;; amdgpu-corpus repo=pytorch/pytorch kind=compiled arch=gfx1100 opt=O3
	.text
	.amdgcn_target "amdgcn-amd-amdhsa--gfx1100"
	.amdhsa_code_object_version 6
	.section	.text._ZN7rocprim17ROCPRIM_400000_NS6detail44device_merge_sort_compile_time_verifier_archINS1_11comp_targetILNS1_3genE0ELNS1_11target_archE4294967295ELNS1_3gpuE0ELNS1_3repE0EEES8_NS0_14default_configES9_NS1_37merge_sort_block_sort_config_selectorIlNS0_10empty_typeEEENS1_38merge_sort_block_merge_config_selectorIlSB_EEEEvv,"axG",@progbits,_ZN7rocprim17ROCPRIM_400000_NS6detail44device_merge_sort_compile_time_verifier_archINS1_11comp_targetILNS1_3genE0ELNS1_11target_archE4294967295ELNS1_3gpuE0ELNS1_3repE0EEES8_NS0_14default_configES9_NS1_37merge_sort_block_sort_config_selectorIlNS0_10empty_typeEEENS1_38merge_sort_block_merge_config_selectorIlSB_EEEEvv,comdat
	.protected	_ZN7rocprim17ROCPRIM_400000_NS6detail44device_merge_sort_compile_time_verifier_archINS1_11comp_targetILNS1_3genE0ELNS1_11target_archE4294967295ELNS1_3gpuE0ELNS1_3repE0EEES8_NS0_14default_configES9_NS1_37merge_sort_block_sort_config_selectorIlNS0_10empty_typeEEENS1_38merge_sort_block_merge_config_selectorIlSB_EEEEvv ; -- Begin function _ZN7rocprim17ROCPRIM_400000_NS6detail44device_merge_sort_compile_time_verifier_archINS1_11comp_targetILNS1_3genE0ELNS1_11target_archE4294967295ELNS1_3gpuE0ELNS1_3repE0EEES8_NS0_14default_configES9_NS1_37merge_sort_block_sort_config_selectorIlNS0_10empty_typeEEENS1_38merge_sort_block_merge_config_selectorIlSB_EEEEvv
	.globl	_ZN7rocprim17ROCPRIM_400000_NS6detail44device_merge_sort_compile_time_verifier_archINS1_11comp_targetILNS1_3genE0ELNS1_11target_archE4294967295ELNS1_3gpuE0ELNS1_3repE0EEES8_NS0_14default_configES9_NS1_37merge_sort_block_sort_config_selectorIlNS0_10empty_typeEEENS1_38merge_sort_block_merge_config_selectorIlSB_EEEEvv
	.p2align	8
	.type	_ZN7rocprim17ROCPRIM_400000_NS6detail44device_merge_sort_compile_time_verifier_archINS1_11comp_targetILNS1_3genE0ELNS1_11target_archE4294967295ELNS1_3gpuE0ELNS1_3repE0EEES8_NS0_14default_configES9_NS1_37merge_sort_block_sort_config_selectorIlNS0_10empty_typeEEENS1_38merge_sort_block_merge_config_selectorIlSB_EEEEvv,@function
_ZN7rocprim17ROCPRIM_400000_NS6detail44device_merge_sort_compile_time_verifier_archINS1_11comp_targetILNS1_3genE0ELNS1_11target_archE4294967295ELNS1_3gpuE0ELNS1_3repE0EEES8_NS0_14default_configES9_NS1_37merge_sort_block_sort_config_selectorIlNS0_10empty_typeEEENS1_38merge_sort_block_merge_config_selectorIlSB_EEEEvv: ; @_ZN7rocprim17ROCPRIM_400000_NS6detail44device_merge_sort_compile_time_verifier_archINS1_11comp_targetILNS1_3genE0ELNS1_11target_archE4294967295ELNS1_3gpuE0ELNS1_3repE0EEES8_NS0_14default_configES9_NS1_37merge_sort_block_sort_config_selectorIlNS0_10empty_typeEEENS1_38merge_sort_block_merge_config_selectorIlSB_EEEEvv
; %bb.0:
	s_endpgm
	.section	.rodata,"a",@progbits
	.p2align	6, 0x0
	.amdhsa_kernel _ZN7rocprim17ROCPRIM_400000_NS6detail44device_merge_sort_compile_time_verifier_archINS1_11comp_targetILNS1_3genE0ELNS1_11target_archE4294967295ELNS1_3gpuE0ELNS1_3repE0EEES8_NS0_14default_configES9_NS1_37merge_sort_block_sort_config_selectorIlNS0_10empty_typeEEENS1_38merge_sort_block_merge_config_selectorIlSB_EEEEvv
		.amdhsa_group_segment_fixed_size 0
		.amdhsa_private_segment_fixed_size 0
		.amdhsa_kernarg_size 0
		.amdhsa_user_sgpr_count 15
		.amdhsa_user_sgpr_dispatch_ptr 0
		.amdhsa_user_sgpr_queue_ptr 0
		.amdhsa_user_sgpr_kernarg_segment_ptr 0
		.amdhsa_user_sgpr_dispatch_id 0
		.amdhsa_user_sgpr_private_segment_size 0
		.amdhsa_wavefront_size32 1
		.amdhsa_uses_dynamic_stack 0
		.amdhsa_enable_private_segment 0
		.amdhsa_system_sgpr_workgroup_id_x 1
		.amdhsa_system_sgpr_workgroup_id_y 0
		.amdhsa_system_sgpr_workgroup_id_z 0
		.amdhsa_system_sgpr_workgroup_info 0
		.amdhsa_system_vgpr_workitem_id 0
		.amdhsa_next_free_vgpr 1
		.amdhsa_next_free_sgpr 1
		.amdhsa_reserve_vcc 0
		.amdhsa_float_round_mode_32 0
		.amdhsa_float_round_mode_16_64 0
		.amdhsa_float_denorm_mode_32 3
		.amdhsa_float_denorm_mode_16_64 3
		.amdhsa_dx10_clamp 1
		.amdhsa_ieee_mode 1
		.amdhsa_fp16_overflow 0
		.amdhsa_workgroup_processor_mode 1
		.amdhsa_memory_ordered 1
		.amdhsa_forward_progress 0
		.amdhsa_shared_vgpr_count 0
		.amdhsa_exception_fp_ieee_invalid_op 0
		.amdhsa_exception_fp_denorm_src 0
		.amdhsa_exception_fp_ieee_div_zero 0
		.amdhsa_exception_fp_ieee_overflow 0
		.amdhsa_exception_fp_ieee_underflow 0
		.amdhsa_exception_fp_ieee_inexact 0
		.amdhsa_exception_int_div_zero 0
	.end_amdhsa_kernel
	.section	.text._ZN7rocprim17ROCPRIM_400000_NS6detail44device_merge_sort_compile_time_verifier_archINS1_11comp_targetILNS1_3genE0ELNS1_11target_archE4294967295ELNS1_3gpuE0ELNS1_3repE0EEES8_NS0_14default_configES9_NS1_37merge_sort_block_sort_config_selectorIlNS0_10empty_typeEEENS1_38merge_sort_block_merge_config_selectorIlSB_EEEEvv,"axG",@progbits,_ZN7rocprim17ROCPRIM_400000_NS6detail44device_merge_sort_compile_time_verifier_archINS1_11comp_targetILNS1_3genE0ELNS1_11target_archE4294967295ELNS1_3gpuE0ELNS1_3repE0EEES8_NS0_14default_configES9_NS1_37merge_sort_block_sort_config_selectorIlNS0_10empty_typeEEENS1_38merge_sort_block_merge_config_selectorIlSB_EEEEvv,comdat
.Lfunc_end0:
	.size	_ZN7rocprim17ROCPRIM_400000_NS6detail44device_merge_sort_compile_time_verifier_archINS1_11comp_targetILNS1_3genE0ELNS1_11target_archE4294967295ELNS1_3gpuE0ELNS1_3repE0EEES8_NS0_14default_configES9_NS1_37merge_sort_block_sort_config_selectorIlNS0_10empty_typeEEENS1_38merge_sort_block_merge_config_selectorIlSB_EEEEvv, .Lfunc_end0-_ZN7rocprim17ROCPRIM_400000_NS6detail44device_merge_sort_compile_time_verifier_archINS1_11comp_targetILNS1_3genE0ELNS1_11target_archE4294967295ELNS1_3gpuE0ELNS1_3repE0EEES8_NS0_14default_configES9_NS1_37merge_sort_block_sort_config_selectorIlNS0_10empty_typeEEENS1_38merge_sort_block_merge_config_selectorIlSB_EEEEvv
                                        ; -- End function
	.section	.AMDGPU.csdata,"",@progbits
; Kernel info:
; codeLenInByte = 4
; NumSgprs: 0
; NumVgprs: 0
; ScratchSize: 0
; MemoryBound: 0
; FloatMode: 240
; IeeeMode: 1
; LDSByteSize: 0 bytes/workgroup (compile time only)
; SGPRBlocks: 0
; VGPRBlocks: 0
; NumSGPRsForWavesPerEU: 1
; NumVGPRsForWavesPerEU: 1
; Occupancy: 16
; WaveLimiterHint : 0
; COMPUTE_PGM_RSRC2:SCRATCH_EN: 0
; COMPUTE_PGM_RSRC2:USER_SGPR: 15
; COMPUTE_PGM_RSRC2:TRAP_HANDLER: 0
; COMPUTE_PGM_RSRC2:TGID_X_EN: 1
; COMPUTE_PGM_RSRC2:TGID_Y_EN: 0
; COMPUTE_PGM_RSRC2:TGID_Z_EN: 0
; COMPUTE_PGM_RSRC2:TIDIG_COMP_CNT: 0
	.section	.text._ZN7rocprim17ROCPRIM_400000_NS6detail44device_merge_sort_compile_time_verifier_archINS1_11comp_targetILNS1_3genE5ELNS1_11target_archE942ELNS1_3gpuE9ELNS1_3repE0EEES8_NS0_14default_configES9_NS1_37merge_sort_block_sort_config_selectorIlNS0_10empty_typeEEENS1_38merge_sort_block_merge_config_selectorIlSB_EEEEvv,"axG",@progbits,_ZN7rocprim17ROCPRIM_400000_NS6detail44device_merge_sort_compile_time_verifier_archINS1_11comp_targetILNS1_3genE5ELNS1_11target_archE942ELNS1_3gpuE9ELNS1_3repE0EEES8_NS0_14default_configES9_NS1_37merge_sort_block_sort_config_selectorIlNS0_10empty_typeEEENS1_38merge_sort_block_merge_config_selectorIlSB_EEEEvv,comdat
	.protected	_ZN7rocprim17ROCPRIM_400000_NS6detail44device_merge_sort_compile_time_verifier_archINS1_11comp_targetILNS1_3genE5ELNS1_11target_archE942ELNS1_3gpuE9ELNS1_3repE0EEES8_NS0_14default_configES9_NS1_37merge_sort_block_sort_config_selectorIlNS0_10empty_typeEEENS1_38merge_sort_block_merge_config_selectorIlSB_EEEEvv ; -- Begin function _ZN7rocprim17ROCPRIM_400000_NS6detail44device_merge_sort_compile_time_verifier_archINS1_11comp_targetILNS1_3genE5ELNS1_11target_archE942ELNS1_3gpuE9ELNS1_3repE0EEES8_NS0_14default_configES9_NS1_37merge_sort_block_sort_config_selectorIlNS0_10empty_typeEEENS1_38merge_sort_block_merge_config_selectorIlSB_EEEEvv
	.globl	_ZN7rocprim17ROCPRIM_400000_NS6detail44device_merge_sort_compile_time_verifier_archINS1_11comp_targetILNS1_3genE5ELNS1_11target_archE942ELNS1_3gpuE9ELNS1_3repE0EEES8_NS0_14default_configES9_NS1_37merge_sort_block_sort_config_selectorIlNS0_10empty_typeEEENS1_38merge_sort_block_merge_config_selectorIlSB_EEEEvv
	.p2align	8
	.type	_ZN7rocprim17ROCPRIM_400000_NS6detail44device_merge_sort_compile_time_verifier_archINS1_11comp_targetILNS1_3genE5ELNS1_11target_archE942ELNS1_3gpuE9ELNS1_3repE0EEES8_NS0_14default_configES9_NS1_37merge_sort_block_sort_config_selectorIlNS0_10empty_typeEEENS1_38merge_sort_block_merge_config_selectorIlSB_EEEEvv,@function
_ZN7rocprim17ROCPRIM_400000_NS6detail44device_merge_sort_compile_time_verifier_archINS1_11comp_targetILNS1_3genE5ELNS1_11target_archE942ELNS1_3gpuE9ELNS1_3repE0EEES8_NS0_14default_configES9_NS1_37merge_sort_block_sort_config_selectorIlNS0_10empty_typeEEENS1_38merge_sort_block_merge_config_selectorIlSB_EEEEvv: ; @_ZN7rocprim17ROCPRIM_400000_NS6detail44device_merge_sort_compile_time_verifier_archINS1_11comp_targetILNS1_3genE5ELNS1_11target_archE942ELNS1_3gpuE9ELNS1_3repE0EEES8_NS0_14default_configES9_NS1_37merge_sort_block_sort_config_selectorIlNS0_10empty_typeEEENS1_38merge_sort_block_merge_config_selectorIlSB_EEEEvv
; %bb.0:
	s_endpgm
	.section	.rodata,"a",@progbits
	.p2align	6, 0x0
	.amdhsa_kernel _ZN7rocprim17ROCPRIM_400000_NS6detail44device_merge_sort_compile_time_verifier_archINS1_11comp_targetILNS1_3genE5ELNS1_11target_archE942ELNS1_3gpuE9ELNS1_3repE0EEES8_NS0_14default_configES9_NS1_37merge_sort_block_sort_config_selectorIlNS0_10empty_typeEEENS1_38merge_sort_block_merge_config_selectorIlSB_EEEEvv
		.amdhsa_group_segment_fixed_size 0
		.amdhsa_private_segment_fixed_size 0
		.amdhsa_kernarg_size 0
		.amdhsa_user_sgpr_count 15
		.amdhsa_user_sgpr_dispatch_ptr 0
		.amdhsa_user_sgpr_queue_ptr 0
		.amdhsa_user_sgpr_kernarg_segment_ptr 0
		.amdhsa_user_sgpr_dispatch_id 0
		.amdhsa_user_sgpr_private_segment_size 0
		.amdhsa_wavefront_size32 1
		.amdhsa_uses_dynamic_stack 0
		.amdhsa_enable_private_segment 0
		.amdhsa_system_sgpr_workgroup_id_x 1
		.amdhsa_system_sgpr_workgroup_id_y 0
		.amdhsa_system_sgpr_workgroup_id_z 0
		.amdhsa_system_sgpr_workgroup_info 0
		.amdhsa_system_vgpr_workitem_id 0
		.amdhsa_next_free_vgpr 1
		.amdhsa_next_free_sgpr 1
		.amdhsa_reserve_vcc 0
		.amdhsa_float_round_mode_32 0
		.amdhsa_float_round_mode_16_64 0
		.amdhsa_float_denorm_mode_32 3
		.amdhsa_float_denorm_mode_16_64 3
		.amdhsa_dx10_clamp 1
		.amdhsa_ieee_mode 1
		.amdhsa_fp16_overflow 0
		.amdhsa_workgroup_processor_mode 1
		.amdhsa_memory_ordered 1
		.amdhsa_forward_progress 0
		.amdhsa_shared_vgpr_count 0
		.amdhsa_exception_fp_ieee_invalid_op 0
		.amdhsa_exception_fp_denorm_src 0
		.amdhsa_exception_fp_ieee_div_zero 0
		.amdhsa_exception_fp_ieee_overflow 0
		.amdhsa_exception_fp_ieee_underflow 0
		.amdhsa_exception_fp_ieee_inexact 0
		.amdhsa_exception_int_div_zero 0
	.end_amdhsa_kernel
	.section	.text._ZN7rocprim17ROCPRIM_400000_NS6detail44device_merge_sort_compile_time_verifier_archINS1_11comp_targetILNS1_3genE5ELNS1_11target_archE942ELNS1_3gpuE9ELNS1_3repE0EEES8_NS0_14default_configES9_NS1_37merge_sort_block_sort_config_selectorIlNS0_10empty_typeEEENS1_38merge_sort_block_merge_config_selectorIlSB_EEEEvv,"axG",@progbits,_ZN7rocprim17ROCPRIM_400000_NS6detail44device_merge_sort_compile_time_verifier_archINS1_11comp_targetILNS1_3genE5ELNS1_11target_archE942ELNS1_3gpuE9ELNS1_3repE0EEES8_NS0_14default_configES9_NS1_37merge_sort_block_sort_config_selectorIlNS0_10empty_typeEEENS1_38merge_sort_block_merge_config_selectorIlSB_EEEEvv,comdat
.Lfunc_end1:
	.size	_ZN7rocprim17ROCPRIM_400000_NS6detail44device_merge_sort_compile_time_verifier_archINS1_11comp_targetILNS1_3genE5ELNS1_11target_archE942ELNS1_3gpuE9ELNS1_3repE0EEES8_NS0_14default_configES9_NS1_37merge_sort_block_sort_config_selectorIlNS0_10empty_typeEEENS1_38merge_sort_block_merge_config_selectorIlSB_EEEEvv, .Lfunc_end1-_ZN7rocprim17ROCPRIM_400000_NS6detail44device_merge_sort_compile_time_verifier_archINS1_11comp_targetILNS1_3genE5ELNS1_11target_archE942ELNS1_3gpuE9ELNS1_3repE0EEES8_NS0_14default_configES9_NS1_37merge_sort_block_sort_config_selectorIlNS0_10empty_typeEEENS1_38merge_sort_block_merge_config_selectorIlSB_EEEEvv
                                        ; -- End function
	.section	.AMDGPU.csdata,"",@progbits
; Kernel info:
; codeLenInByte = 4
; NumSgprs: 0
; NumVgprs: 0
; ScratchSize: 0
; MemoryBound: 0
; FloatMode: 240
; IeeeMode: 1
; LDSByteSize: 0 bytes/workgroup (compile time only)
; SGPRBlocks: 0
; VGPRBlocks: 0
; NumSGPRsForWavesPerEU: 1
; NumVGPRsForWavesPerEU: 1
; Occupancy: 16
; WaveLimiterHint : 0
; COMPUTE_PGM_RSRC2:SCRATCH_EN: 0
; COMPUTE_PGM_RSRC2:USER_SGPR: 15
; COMPUTE_PGM_RSRC2:TRAP_HANDLER: 0
; COMPUTE_PGM_RSRC2:TGID_X_EN: 1
; COMPUTE_PGM_RSRC2:TGID_Y_EN: 0
; COMPUTE_PGM_RSRC2:TGID_Z_EN: 0
; COMPUTE_PGM_RSRC2:TIDIG_COMP_CNT: 0
	.section	.text._ZN7rocprim17ROCPRIM_400000_NS6detail44device_merge_sort_compile_time_verifier_archINS1_11comp_targetILNS1_3genE4ELNS1_11target_archE910ELNS1_3gpuE8ELNS1_3repE0EEES8_NS0_14default_configES9_NS1_37merge_sort_block_sort_config_selectorIlNS0_10empty_typeEEENS1_38merge_sort_block_merge_config_selectorIlSB_EEEEvv,"axG",@progbits,_ZN7rocprim17ROCPRIM_400000_NS6detail44device_merge_sort_compile_time_verifier_archINS1_11comp_targetILNS1_3genE4ELNS1_11target_archE910ELNS1_3gpuE8ELNS1_3repE0EEES8_NS0_14default_configES9_NS1_37merge_sort_block_sort_config_selectorIlNS0_10empty_typeEEENS1_38merge_sort_block_merge_config_selectorIlSB_EEEEvv,comdat
	.protected	_ZN7rocprim17ROCPRIM_400000_NS6detail44device_merge_sort_compile_time_verifier_archINS1_11comp_targetILNS1_3genE4ELNS1_11target_archE910ELNS1_3gpuE8ELNS1_3repE0EEES8_NS0_14default_configES9_NS1_37merge_sort_block_sort_config_selectorIlNS0_10empty_typeEEENS1_38merge_sort_block_merge_config_selectorIlSB_EEEEvv ; -- Begin function _ZN7rocprim17ROCPRIM_400000_NS6detail44device_merge_sort_compile_time_verifier_archINS1_11comp_targetILNS1_3genE4ELNS1_11target_archE910ELNS1_3gpuE8ELNS1_3repE0EEES8_NS0_14default_configES9_NS1_37merge_sort_block_sort_config_selectorIlNS0_10empty_typeEEENS1_38merge_sort_block_merge_config_selectorIlSB_EEEEvv
	.globl	_ZN7rocprim17ROCPRIM_400000_NS6detail44device_merge_sort_compile_time_verifier_archINS1_11comp_targetILNS1_3genE4ELNS1_11target_archE910ELNS1_3gpuE8ELNS1_3repE0EEES8_NS0_14default_configES9_NS1_37merge_sort_block_sort_config_selectorIlNS0_10empty_typeEEENS1_38merge_sort_block_merge_config_selectorIlSB_EEEEvv
	.p2align	8
	.type	_ZN7rocprim17ROCPRIM_400000_NS6detail44device_merge_sort_compile_time_verifier_archINS1_11comp_targetILNS1_3genE4ELNS1_11target_archE910ELNS1_3gpuE8ELNS1_3repE0EEES8_NS0_14default_configES9_NS1_37merge_sort_block_sort_config_selectorIlNS0_10empty_typeEEENS1_38merge_sort_block_merge_config_selectorIlSB_EEEEvv,@function
_ZN7rocprim17ROCPRIM_400000_NS6detail44device_merge_sort_compile_time_verifier_archINS1_11comp_targetILNS1_3genE4ELNS1_11target_archE910ELNS1_3gpuE8ELNS1_3repE0EEES8_NS0_14default_configES9_NS1_37merge_sort_block_sort_config_selectorIlNS0_10empty_typeEEENS1_38merge_sort_block_merge_config_selectorIlSB_EEEEvv: ; @_ZN7rocprim17ROCPRIM_400000_NS6detail44device_merge_sort_compile_time_verifier_archINS1_11comp_targetILNS1_3genE4ELNS1_11target_archE910ELNS1_3gpuE8ELNS1_3repE0EEES8_NS0_14default_configES9_NS1_37merge_sort_block_sort_config_selectorIlNS0_10empty_typeEEENS1_38merge_sort_block_merge_config_selectorIlSB_EEEEvv
; %bb.0:
	s_endpgm
	.section	.rodata,"a",@progbits
	.p2align	6, 0x0
	.amdhsa_kernel _ZN7rocprim17ROCPRIM_400000_NS6detail44device_merge_sort_compile_time_verifier_archINS1_11comp_targetILNS1_3genE4ELNS1_11target_archE910ELNS1_3gpuE8ELNS1_3repE0EEES8_NS0_14default_configES9_NS1_37merge_sort_block_sort_config_selectorIlNS0_10empty_typeEEENS1_38merge_sort_block_merge_config_selectorIlSB_EEEEvv
		.amdhsa_group_segment_fixed_size 0
		.amdhsa_private_segment_fixed_size 0
		.amdhsa_kernarg_size 0
		.amdhsa_user_sgpr_count 15
		.amdhsa_user_sgpr_dispatch_ptr 0
		.amdhsa_user_sgpr_queue_ptr 0
		.amdhsa_user_sgpr_kernarg_segment_ptr 0
		.amdhsa_user_sgpr_dispatch_id 0
		.amdhsa_user_sgpr_private_segment_size 0
		.amdhsa_wavefront_size32 1
		.amdhsa_uses_dynamic_stack 0
		.amdhsa_enable_private_segment 0
		.amdhsa_system_sgpr_workgroup_id_x 1
		.amdhsa_system_sgpr_workgroup_id_y 0
		.amdhsa_system_sgpr_workgroup_id_z 0
		.amdhsa_system_sgpr_workgroup_info 0
		.amdhsa_system_vgpr_workitem_id 0
		.amdhsa_next_free_vgpr 1
		.amdhsa_next_free_sgpr 1
		.amdhsa_reserve_vcc 0
		.amdhsa_float_round_mode_32 0
		.amdhsa_float_round_mode_16_64 0
		.amdhsa_float_denorm_mode_32 3
		.amdhsa_float_denorm_mode_16_64 3
		.amdhsa_dx10_clamp 1
		.amdhsa_ieee_mode 1
		.amdhsa_fp16_overflow 0
		.amdhsa_workgroup_processor_mode 1
		.amdhsa_memory_ordered 1
		.amdhsa_forward_progress 0
		.amdhsa_shared_vgpr_count 0
		.amdhsa_exception_fp_ieee_invalid_op 0
		.amdhsa_exception_fp_denorm_src 0
		.amdhsa_exception_fp_ieee_div_zero 0
		.amdhsa_exception_fp_ieee_overflow 0
		.amdhsa_exception_fp_ieee_underflow 0
		.amdhsa_exception_fp_ieee_inexact 0
		.amdhsa_exception_int_div_zero 0
	.end_amdhsa_kernel
	.section	.text._ZN7rocprim17ROCPRIM_400000_NS6detail44device_merge_sort_compile_time_verifier_archINS1_11comp_targetILNS1_3genE4ELNS1_11target_archE910ELNS1_3gpuE8ELNS1_3repE0EEES8_NS0_14default_configES9_NS1_37merge_sort_block_sort_config_selectorIlNS0_10empty_typeEEENS1_38merge_sort_block_merge_config_selectorIlSB_EEEEvv,"axG",@progbits,_ZN7rocprim17ROCPRIM_400000_NS6detail44device_merge_sort_compile_time_verifier_archINS1_11comp_targetILNS1_3genE4ELNS1_11target_archE910ELNS1_3gpuE8ELNS1_3repE0EEES8_NS0_14default_configES9_NS1_37merge_sort_block_sort_config_selectorIlNS0_10empty_typeEEENS1_38merge_sort_block_merge_config_selectorIlSB_EEEEvv,comdat
.Lfunc_end2:
	.size	_ZN7rocprim17ROCPRIM_400000_NS6detail44device_merge_sort_compile_time_verifier_archINS1_11comp_targetILNS1_3genE4ELNS1_11target_archE910ELNS1_3gpuE8ELNS1_3repE0EEES8_NS0_14default_configES9_NS1_37merge_sort_block_sort_config_selectorIlNS0_10empty_typeEEENS1_38merge_sort_block_merge_config_selectorIlSB_EEEEvv, .Lfunc_end2-_ZN7rocprim17ROCPRIM_400000_NS6detail44device_merge_sort_compile_time_verifier_archINS1_11comp_targetILNS1_3genE4ELNS1_11target_archE910ELNS1_3gpuE8ELNS1_3repE0EEES8_NS0_14default_configES9_NS1_37merge_sort_block_sort_config_selectorIlNS0_10empty_typeEEENS1_38merge_sort_block_merge_config_selectorIlSB_EEEEvv
                                        ; -- End function
	.section	.AMDGPU.csdata,"",@progbits
; Kernel info:
; codeLenInByte = 4
; NumSgprs: 0
; NumVgprs: 0
; ScratchSize: 0
; MemoryBound: 0
; FloatMode: 240
; IeeeMode: 1
; LDSByteSize: 0 bytes/workgroup (compile time only)
; SGPRBlocks: 0
; VGPRBlocks: 0
; NumSGPRsForWavesPerEU: 1
; NumVGPRsForWavesPerEU: 1
; Occupancy: 16
; WaveLimiterHint : 0
; COMPUTE_PGM_RSRC2:SCRATCH_EN: 0
; COMPUTE_PGM_RSRC2:USER_SGPR: 15
; COMPUTE_PGM_RSRC2:TRAP_HANDLER: 0
; COMPUTE_PGM_RSRC2:TGID_X_EN: 1
; COMPUTE_PGM_RSRC2:TGID_Y_EN: 0
; COMPUTE_PGM_RSRC2:TGID_Z_EN: 0
; COMPUTE_PGM_RSRC2:TIDIG_COMP_CNT: 0
	.section	.text._ZN7rocprim17ROCPRIM_400000_NS6detail44device_merge_sort_compile_time_verifier_archINS1_11comp_targetILNS1_3genE3ELNS1_11target_archE908ELNS1_3gpuE7ELNS1_3repE0EEES8_NS0_14default_configES9_NS1_37merge_sort_block_sort_config_selectorIlNS0_10empty_typeEEENS1_38merge_sort_block_merge_config_selectorIlSB_EEEEvv,"axG",@progbits,_ZN7rocprim17ROCPRIM_400000_NS6detail44device_merge_sort_compile_time_verifier_archINS1_11comp_targetILNS1_3genE3ELNS1_11target_archE908ELNS1_3gpuE7ELNS1_3repE0EEES8_NS0_14default_configES9_NS1_37merge_sort_block_sort_config_selectorIlNS0_10empty_typeEEENS1_38merge_sort_block_merge_config_selectorIlSB_EEEEvv,comdat
	.protected	_ZN7rocprim17ROCPRIM_400000_NS6detail44device_merge_sort_compile_time_verifier_archINS1_11comp_targetILNS1_3genE3ELNS1_11target_archE908ELNS1_3gpuE7ELNS1_3repE0EEES8_NS0_14default_configES9_NS1_37merge_sort_block_sort_config_selectorIlNS0_10empty_typeEEENS1_38merge_sort_block_merge_config_selectorIlSB_EEEEvv ; -- Begin function _ZN7rocprim17ROCPRIM_400000_NS6detail44device_merge_sort_compile_time_verifier_archINS1_11comp_targetILNS1_3genE3ELNS1_11target_archE908ELNS1_3gpuE7ELNS1_3repE0EEES8_NS0_14default_configES9_NS1_37merge_sort_block_sort_config_selectorIlNS0_10empty_typeEEENS1_38merge_sort_block_merge_config_selectorIlSB_EEEEvv
	.globl	_ZN7rocprim17ROCPRIM_400000_NS6detail44device_merge_sort_compile_time_verifier_archINS1_11comp_targetILNS1_3genE3ELNS1_11target_archE908ELNS1_3gpuE7ELNS1_3repE0EEES8_NS0_14default_configES9_NS1_37merge_sort_block_sort_config_selectorIlNS0_10empty_typeEEENS1_38merge_sort_block_merge_config_selectorIlSB_EEEEvv
	.p2align	8
	.type	_ZN7rocprim17ROCPRIM_400000_NS6detail44device_merge_sort_compile_time_verifier_archINS1_11comp_targetILNS1_3genE3ELNS1_11target_archE908ELNS1_3gpuE7ELNS1_3repE0EEES8_NS0_14default_configES9_NS1_37merge_sort_block_sort_config_selectorIlNS0_10empty_typeEEENS1_38merge_sort_block_merge_config_selectorIlSB_EEEEvv,@function
_ZN7rocprim17ROCPRIM_400000_NS6detail44device_merge_sort_compile_time_verifier_archINS1_11comp_targetILNS1_3genE3ELNS1_11target_archE908ELNS1_3gpuE7ELNS1_3repE0EEES8_NS0_14default_configES9_NS1_37merge_sort_block_sort_config_selectorIlNS0_10empty_typeEEENS1_38merge_sort_block_merge_config_selectorIlSB_EEEEvv: ; @_ZN7rocprim17ROCPRIM_400000_NS6detail44device_merge_sort_compile_time_verifier_archINS1_11comp_targetILNS1_3genE3ELNS1_11target_archE908ELNS1_3gpuE7ELNS1_3repE0EEES8_NS0_14default_configES9_NS1_37merge_sort_block_sort_config_selectorIlNS0_10empty_typeEEENS1_38merge_sort_block_merge_config_selectorIlSB_EEEEvv
; %bb.0:
	s_endpgm
	.section	.rodata,"a",@progbits
	.p2align	6, 0x0
	.amdhsa_kernel _ZN7rocprim17ROCPRIM_400000_NS6detail44device_merge_sort_compile_time_verifier_archINS1_11comp_targetILNS1_3genE3ELNS1_11target_archE908ELNS1_3gpuE7ELNS1_3repE0EEES8_NS0_14default_configES9_NS1_37merge_sort_block_sort_config_selectorIlNS0_10empty_typeEEENS1_38merge_sort_block_merge_config_selectorIlSB_EEEEvv
		.amdhsa_group_segment_fixed_size 0
		.amdhsa_private_segment_fixed_size 0
		.amdhsa_kernarg_size 0
		.amdhsa_user_sgpr_count 15
		.amdhsa_user_sgpr_dispatch_ptr 0
		.amdhsa_user_sgpr_queue_ptr 0
		.amdhsa_user_sgpr_kernarg_segment_ptr 0
		.amdhsa_user_sgpr_dispatch_id 0
		.amdhsa_user_sgpr_private_segment_size 0
		.amdhsa_wavefront_size32 1
		.amdhsa_uses_dynamic_stack 0
		.amdhsa_enable_private_segment 0
		.amdhsa_system_sgpr_workgroup_id_x 1
		.amdhsa_system_sgpr_workgroup_id_y 0
		.amdhsa_system_sgpr_workgroup_id_z 0
		.amdhsa_system_sgpr_workgroup_info 0
		.amdhsa_system_vgpr_workitem_id 0
		.amdhsa_next_free_vgpr 1
		.amdhsa_next_free_sgpr 1
		.amdhsa_reserve_vcc 0
		.amdhsa_float_round_mode_32 0
		.amdhsa_float_round_mode_16_64 0
		.amdhsa_float_denorm_mode_32 3
		.amdhsa_float_denorm_mode_16_64 3
		.amdhsa_dx10_clamp 1
		.amdhsa_ieee_mode 1
		.amdhsa_fp16_overflow 0
		.amdhsa_workgroup_processor_mode 1
		.amdhsa_memory_ordered 1
		.amdhsa_forward_progress 0
		.amdhsa_shared_vgpr_count 0
		.amdhsa_exception_fp_ieee_invalid_op 0
		.amdhsa_exception_fp_denorm_src 0
		.amdhsa_exception_fp_ieee_div_zero 0
		.amdhsa_exception_fp_ieee_overflow 0
		.amdhsa_exception_fp_ieee_underflow 0
		.amdhsa_exception_fp_ieee_inexact 0
		.amdhsa_exception_int_div_zero 0
	.end_amdhsa_kernel
	.section	.text._ZN7rocprim17ROCPRIM_400000_NS6detail44device_merge_sort_compile_time_verifier_archINS1_11comp_targetILNS1_3genE3ELNS1_11target_archE908ELNS1_3gpuE7ELNS1_3repE0EEES8_NS0_14default_configES9_NS1_37merge_sort_block_sort_config_selectorIlNS0_10empty_typeEEENS1_38merge_sort_block_merge_config_selectorIlSB_EEEEvv,"axG",@progbits,_ZN7rocprim17ROCPRIM_400000_NS6detail44device_merge_sort_compile_time_verifier_archINS1_11comp_targetILNS1_3genE3ELNS1_11target_archE908ELNS1_3gpuE7ELNS1_3repE0EEES8_NS0_14default_configES9_NS1_37merge_sort_block_sort_config_selectorIlNS0_10empty_typeEEENS1_38merge_sort_block_merge_config_selectorIlSB_EEEEvv,comdat
.Lfunc_end3:
	.size	_ZN7rocprim17ROCPRIM_400000_NS6detail44device_merge_sort_compile_time_verifier_archINS1_11comp_targetILNS1_3genE3ELNS1_11target_archE908ELNS1_3gpuE7ELNS1_3repE0EEES8_NS0_14default_configES9_NS1_37merge_sort_block_sort_config_selectorIlNS0_10empty_typeEEENS1_38merge_sort_block_merge_config_selectorIlSB_EEEEvv, .Lfunc_end3-_ZN7rocprim17ROCPRIM_400000_NS6detail44device_merge_sort_compile_time_verifier_archINS1_11comp_targetILNS1_3genE3ELNS1_11target_archE908ELNS1_3gpuE7ELNS1_3repE0EEES8_NS0_14default_configES9_NS1_37merge_sort_block_sort_config_selectorIlNS0_10empty_typeEEENS1_38merge_sort_block_merge_config_selectorIlSB_EEEEvv
                                        ; -- End function
	.section	.AMDGPU.csdata,"",@progbits
; Kernel info:
; codeLenInByte = 4
; NumSgprs: 0
; NumVgprs: 0
; ScratchSize: 0
; MemoryBound: 0
; FloatMode: 240
; IeeeMode: 1
; LDSByteSize: 0 bytes/workgroup (compile time only)
; SGPRBlocks: 0
; VGPRBlocks: 0
; NumSGPRsForWavesPerEU: 1
; NumVGPRsForWavesPerEU: 1
; Occupancy: 16
; WaveLimiterHint : 0
; COMPUTE_PGM_RSRC2:SCRATCH_EN: 0
; COMPUTE_PGM_RSRC2:USER_SGPR: 15
; COMPUTE_PGM_RSRC2:TRAP_HANDLER: 0
; COMPUTE_PGM_RSRC2:TGID_X_EN: 1
; COMPUTE_PGM_RSRC2:TGID_Y_EN: 0
; COMPUTE_PGM_RSRC2:TGID_Z_EN: 0
; COMPUTE_PGM_RSRC2:TIDIG_COMP_CNT: 0
	.section	.text._ZN7rocprim17ROCPRIM_400000_NS6detail44device_merge_sort_compile_time_verifier_archINS1_11comp_targetILNS1_3genE2ELNS1_11target_archE906ELNS1_3gpuE6ELNS1_3repE0EEES8_NS0_14default_configES9_NS1_37merge_sort_block_sort_config_selectorIlNS0_10empty_typeEEENS1_38merge_sort_block_merge_config_selectorIlSB_EEEEvv,"axG",@progbits,_ZN7rocprim17ROCPRIM_400000_NS6detail44device_merge_sort_compile_time_verifier_archINS1_11comp_targetILNS1_3genE2ELNS1_11target_archE906ELNS1_3gpuE6ELNS1_3repE0EEES8_NS0_14default_configES9_NS1_37merge_sort_block_sort_config_selectorIlNS0_10empty_typeEEENS1_38merge_sort_block_merge_config_selectorIlSB_EEEEvv,comdat
	.protected	_ZN7rocprim17ROCPRIM_400000_NS6detail44device_merge_sort_compile_time_verifier_archINS1_11comp_targetILNS1_3genE2ELNS1_11target_archE906ELNS1_3gpuE6ELNS1_3repE0EEES8_NS0_14default_configES9_NS1_37merge_sort_block_sort_config_selectorIlNS0_10empty_typeEEENS1_38merge_sort_block_merge_config_selectorIlSB_EEEEvv ; -- Begin function _ZN7rocprim17ROCPRIM_400000_NS6detail44device_merge_sort_compile_time_verifier_archINS1_11comp_targetILNS1_3genE2ELNS1_11target_archE906ELNS1_3gpuE6ELNS1_3repE0EEES8_NS0_14default_configES9_NS1_37merge_sort_block_sort_config_selectorIlNS0_10empty_typeEEENS1_38merge_sort_block_merge_config_selectorIlSB_EEEEvv
	.globl	_ZN7rocprim17ROCPRIM_400000_NS6detail44device_merge_sort_compile_time_verifier_archINS1_11comp_targetILNS1_3genE2ELNS1_11target_archE906ELNS1_3gpuE6ELNS1_3repE0EEES8_NS0_14default_configES9_NS1_37merge_sort_block_sort_config_selectorIlNS0_10empty_typeEEENS1_38merge_sort_block_merge_config_selectorIlSB_EEEEvv
	.p2align	8
	.type	_ZN7rocprim17ROCPRIM_400000_NS6detail44device_merge_sort_compile_time_verifier_archINS1_11comp_targetILNS1_3genE2ELNS1_11target_archE906ELNS1_3gpuE6ELNS1_3repE0EEES8_NS0_14default_configES9_NS1_37merge_sort_block_sort_config_selectorIlNS0_10empty_typeEEENS1_38merge_sort_block_merge_config_selectorIlSB_EEEEvv,@function
_ZN7rocprim17ROCPRIM_400000_NS6detail44device_merge_sort_compile_time_verifier_archINS1_11comp_targetILNS1_3genE2ELNS1_11target_archE906ELNS1_3gpuE6ELNS1_3repE0EEES8_NS0_14default_configES9_NS1_37merge_sort_block_sort_config_selectorIlNS0_10empty_typeEEENS1_38merge_sort_block_merge_config_selectorIlSB_EEEEvv: ; @_ZN7rocprim17ROCPRIM_400000_NS6detail44device_merge_sort_compile_time_verifier_archINS1_11comp_targetILNS1_3genE2ELNS1_11target_archE906ELNS1_3gpuE6ELNS1_3repE0EEES8_NS0_14default_configES9_NS1_37merge_sort_block_sort_config_selectorIlNS0_10empty_typeEEENS1_38merge_sort_block_merge_config_selectorIlSB_EEEEvv
; %bb.0:
	s_endpgm
	.section	.rodata,"a",@progbits
	.p2align	6, 0x0
	.amdhsa_kernel _ZN7rocprim17ROCPRIM_400000_NS6detail44device_merge_sort_compile_time_verifier_archINS1_11comp_targetILNS1_3genE2ELNS1_11target_archE906ELNS1_3gpuE6ELNS1_3repE0EEES8_NS0_14default_configES9_NS1_37merge_sort_block_sort_config_selectorIlNS0_10empty_typeEEENS1_38merge_sort_block_merge_config_selectorIlSB_EEEEvv
		.amdhsa_group_segment_fixed_size 0
		.amdhsa_private_segment_fixed_size 0
		.amdhsa_kernarg_size 0
		.amdhsa_user_sgpr_count 15
		.amdhsa_user_sgpr_dispatch_ptr 0
		.amdhsa_user_sgpr_queue_ptr 0
		.amdhsa_user_sgpr_kernarg_segment_ptr 0
		.amdhsa_user_sgpr_dispatch_id 0
		.amdhsa_user_sgpr_private_segment_size 0
		.amdhsa_wavefront_size32 1
		.amdhsa_uses_dynamic_stack 0
		.amdhsa_enable_private_segment 0
		.amdhsa_system_sgpr_workgroup_id_x 1
		.amdhsa_system_sgpr_workgroup_id_y 0
		.amdhsa_system_sgpr_workgroup_id_z 0
		.amdhsa_system_sgpr_workgroup_info 0
		.amdhsa_system_vgpr_workitem_id 0
		.amdhsa_next_free_vgpr 1
		.amdhsa_next_free_sgpr 1
		.amdhsa_reserve_vcc 0
		.amdhsa_float_round_mode_32 0
		.amdhsa_float_round_mode_16_64 0
		.amdhsa_float_denorm_mode_32 3
		.amdhsa_float_denorm_mode_16_64 3
		.amdhsa_dx10_clamp 1
		.amdhsa_ieee_mode 1
		.amdhsa_fp16_overflow 0
		.amdhsa_workgroup_processor_mode 1
		.amdhsa_memory_ordered 1
		.amdhsa_forward_progress 0
		.amdhsa_shared_vgpr_count 0
		.amdhsa_exception_fp_ieee_invalid_op 0
		.amdhsa_exception_fp_denorm_src 0
		.amdhsa_exception_fp_ieee_div_zero 0
		.amdhsa_exception_fp_ieee_overflow 0
		.amdhsa_exception_fp_ieee_underflow 0
		.amdhsa_exception_fp_ieee_inexact 0
		.amdhsa_exception_int_div_zero 0
	.end_amdhsa_kernel
	.section	.text._ZN7rocprim17ROCPRIM_400000_NS6detail44device_merge_sort_compile_time_verifier_archINS1_11comp_targetILNS1_3genE2ELNS1_11target_archE906ELNS1_3gpuE6ELNS1_3repE0EEES8_NS0_14default_configES9_NS1_37merge_sort_block_sort_config_selectorIlNS0_10empty_typeEEENS1_38merge_sort_block_merge_config_selectorIlSB_EEEEvv,"axG",@progbits,_ZN7rocprim17ROCPRIM_400000_NS6detail44device_merge_sort_compile_time_verifier_archINS1_11comp_targetILNS1_3genE2ELNS1_11target_archE906ELNS1_3gpuE6ELNS1_3repE0EEES8_NS0_14default_configES9_NS1_37merge_sort_block_sort_config_selectorIlNS0_10empty_typeEEENS1_38merge_sort_block_merge_config_selectorIlSB_EEEEvv,comdat
.Lfunc_end4:
	.size	_ZN7rocprim17ROCPRIM_400000_NS6detail44device_merge_sort_compile_time_verifier_archINS1_11comp_targetILNS1_3genE2ELNS1_11target_archE906ELNS1_3gpuE6ELNS1_3repE0EEES8_NS0_14default_configES9_NS1_37merge_sort_block_sort_config_selectorIlNS0_10empty_typeEEENS1_38merge_sort_block_merge_config_selectorIlSB_EEEEvv, .Lfunc_end4-_ZN7rocprim17ROCPRIM_400000_NS6detail44device_merge_sort_compile_time_verifier_archINS1_11comp_targetILNS1_3genE2ELNS1_11target_archE906ELNS1_3gpuE6ELNS1_3repE0EEES8_NS0_14default_configES9_NS1_37merge_sort_block_sort_config_selectorIlNS0_10empty_typeEEENS1_38merge_sort_block_merge_config_selectorIlSB_EEEEvv
                                        ; -- End function
	.section	.AMDGPU.csdata,"",@progbits
; Kernel info:
; codeLenInByte = 4
; NumSgprs: 0
; NumVgprs: 0
; ScratchSize: 0
; MemoryBound: 0
; FloatMode: 240
; IeeeMode: 1
; LDSByteSize: 0 bytes/workgroup (compile time only)
; SGPRBlocks: 0
; VGPRBlocks: 0
; NumSGPRsForWavesPerEU: 1
; NumVGPRsForWavesPerEU: 1
; Occupancy: 16
; WaveLimiterHint : 0
; COMPUTE_PGM_RSRC2:SCRATCH_EN: 0
; COMPUTE_PGM_RSRC2:USER_SGPR: 15
; COMPUTE_PGM_RSRC2:TRAP_HANDLER: 0
; COMPUTE_PGM_RSRC2:TGID_X_EN: 1
; COMPUTE_PGM_RSRC2:TGID_Y_EN: 0
; COMPUTE_PGM_RSRC2:TGID_Z_EN: 0
; COMPUTE_PGM_RSRC2:TIDIG_COMP_CNT: 0
	.section	.text._ZN7rocprim17ROCPRIM_400000_NS6detail44device_merge_sort_compile_time_verifier_archINS1_11comp_targetILNS1_3genE10ELNS1_11target_archE1201ELNS1_3gpuE5ELNS1_3repE0EEES8_NS0_14default_configES9_NS1_37merge_sort_block_sort_config_selectorIlNS0_10empty_typeEEENS1_38merge_sort_block_merge_config_selectorIlSB_EEEEvv,"axG",@progbits,_ZN7rocprim17ROCPRIM_400000_NS6detail44device_merge_sort_compile_time_verifier_archINS1_11comp_targetILNS1_3genE10ELNS1_11target_archE1201ELNS1_3gpuE5ELNS1_3repE0EEES8_NS0_14default_configES9_NS1_37merge_sort_block_sort_config_selectorIlNS0_10empty_typeEEENS1_38merge_sort_block_merge_config_selectorIlSB_EEEEvv,comdat
	.protected	_ZN7rocprim17ROCPRIM_400000_NS6detail44device_merge_sort_compile_time_verifier_archINS1_11comp_targetILNS1_3genE10ELNS1_11target_archE1201ELNS1_3gpuE5ELNS1_3repE0EEES8_NS0_14default_configES9_NS1_37merge_sort_block_sort_config_selectorIlNS0_10empty_typeEEENS1_38merge_sort_block_merge_config_selectorIlSB_EEEEvv ; -- Begin function _ZN7rocprim17ROCPRIM_400000_NS6detail44device_merge_sort_compile_time_verifier_archINS1_11comp_targetILNS1_3genE10ELNS1_11target_archE1201ELNS1_3gpuE5ELNS1_3repE0EEES8_NS0_14default_configES9_NS1_37merge_sort_block_sort_config_selectorIlNS0_10empty_typeEEENS1_38merge_sort_block_merge_config_selectorIlSB_EEEEvv
	.globl	_ZN7rocprim17ROCPRIM_400000_NS6detail44device_merge_sort_compile_time_verifier_archINS1_11comp_targetILNS1_3genE10ELNS1_11target_archE1201ELNS1_3gpuE5ELNS1_3repE0EEES8_NS0_14default_configES9_NS1_37merge_sort_block_sort_config_selectorIlNS0_10empty_typeEEENS1_38merge_sort_block_merge_config_selectorIlSB_EEEEvv
	.p2align	8
	.type	_ZN7rocprim17ROCPRIM_400000_NS6detail44device_merge_sort_compile_time_verifier_archINS1_11comp_targetILNS1_3genE10ELNS1_11target_archE1201ELNS1_3gpuE5ELNS1_3repE0EEES8_NS0_14default_configES9_NS1_37merge_sort_block_sort_config_selectorIlNS0_10empty_typeEEENS1_38merge_sort_block_merge_config_selectorIlSB_EEEEvv,@function
_ZN7rocprim17ROCPRIM_400000_NS6detail44device_merge_sort_compile_time_verifier_archINS1_11comp_targetILNS1_3genE10ELNS1_11target_archE1201ELNS1_3gpuE5ELNS1_3repE0EEES8_NS0_14default_configES9_NS1_37merge_sort_block_sort_config_selectorIlNS0_10empty_typeEEENS1_38merge_sort_block_merge_config_selectorIlSB_EEEEvv: ; @_ZN7rocprim17ROCPRIM_400000_NS6detail44device_merge_sort_compile_time_verifier_archINS1_11comp_targetILNS1_3genE10ELNS1_11target_archE1201ELNS1_3gpuE5ELNS1_3repE0EEES8_NS0_14default_configES9_NS1_37merge_sort_block_sort_config_selectorIlNS0_10empty_typeEEENS1_38merge_sort_block_merge_config_selectorIlSB_EEEEvv
; %bb.0:
	s_endpgm
	.section	.rodata,"a",@progbits
	.p2align	6, 0x0
	.amdhsa_kernel _ZN7rocprim17ROCPRIM_400000_NS6detail44device_merge_sort_compile_time_verifier_archINS1_11comp_targetILNS1_3genE10ELNS1_11target_archE1201ELNS1_3gpuE5ELNS1_3repE0EEES8_NS0_14default_configES9_NS1_37merge_sort_block_sort_config_selectorIlNS0_10empty_typeEEENS1_38merge_sort_block_merge_config_selectorIlSB_EEEEvv
		.amdhsa_group_segment_fixed_size 0
		.amdhsa_private_segment_fixed_size 0
		.amdhsa_kernarg_size 0
		.amdhsa_user_sgpr_count 15
		.amdhsa_user_sgpr_dispatch_ptr 0
		.amdhsa_user_sgpr_queue_ptr 0
		.amdhsa_user_sgpr_kernarg_segment_ptr 0
		.amdhsa_user_sgpr_dispatch_id 0
		.amdhsa_user_sgpr_private_segment_size 0
		.amdhsa_wavefront_size32 1
		.amdhsa_uses_dynamic_stack 0
		.amdhsa_enable_private_segment 0
		.amdhsa_system_sgpr_workgroup_id_x 1
		.amdhsa_system_sgpr_workgroup_id_y 0
		.amdhsa_system_sgpr_workgroup_id_z 0
		.amdhsa_system_sgpr_workgroup_info 0
		.amdhsa_system_vgpr_workitem_id 0
		.amdhsa_next_free_vgpr 1
		.amdhsa_next_free_sgpr 1
		.amdhsa_reserve_vcc 0
		.amdhsa_float_round_mode_32 0
		.amdhsa_float_round_mode_16_64 0
		.amdhsa_float_denorm_mode_32 3
		.amdhsa_float_denorm_mode_16_64 3
		.amdhsa_dx10_clamp 1
		.amdhsa_ieee_mode 1
		.amdhsa_fp16_overflow 0
		.amdhsa_workgroup_processor_mode 1
		.amdhsa_memory_ordered 1
		.amdhsa_forward_progress 0
		.amdhsa_shared_vgpr_count 0
		.amdhsa_exception_fp_ieee_invalid_op 0
		.amdhsa_exception_fp_denorm_src 0
		.amdhsa_exception_fp_ieee_div_zero 0
		.amdhsa_exception_fp_ieee_overflow 0
		.amdhsa_exception_fp_ieee_underflow 0
		.amdhsa_exception_fp_ieee_inexact 0
		.amdhsa_exception_int_div_zero 0
	.end_amdhsa_kernel
	.section	.text._ZN7rocprim17ROCPRIM_400000_NS6detail44device_merge_sort_compile_time_verifier_archINS1_11comp_targetILNS1_3genE10ELNS1_11target_archE1201ELNS1_3gpuE5ELNS1_3repE0EEES8_NS0_14default_configES9_NS1_37merge_sort_block_sort_config_selectorIlNS0_10empty_typeEEENS1_38merge_sort_block_merge_config_selectorIlSB_EEEEvv,"axG",@progbits,_ZN7rocprim17ROCPRIM_400000_NS6detail44device_merge_sort_compile_time_verifier_archINS1_11comp_targetILNS1_3genE10ELNS1_11target_archE1201ELNS1_3gpuE5ELNS1_3repE0EEES8_NS0_14default_configES9_NS1_37merge_sort_block_sort_config_selectorIlNS0_10empty_typeEEENS1_38merge_sort_block_merge_config_selectorIlSB_EEEEvv,comdat
.Lfunc_end5:
	.size	_ZN7rocprim17ROCPRIM_400000_NS6detail44device_merge_sort_compile_time_verifier_archINS1_11comp_targetILNS1_3genE10ELNS1_11target_archE1201ELNS1_3gpuE5ELNS1_3repE0EEES8_NS0_14default_configES9_NS1_37merge_sort_block_sort_config_selectorIlNS0_10empty_typeEEENS1_38merge_sort_block_merge_config_selectorIlSB_EEEEvv, .Lfunc_end5-_ZN7rocprim17ROCPRIM_400000_NS6detail44device_merge_sort_compile_time_verifier_archINS1_11comp_targetILNS1_3genE10ELNS1_11target_archE1201ELNS1_3gpuE5ELNS1_3repE0EEES8_NS0_14default_configES9_NS1_37merge_sort_block_sort_config_selectorIlNS0_10empty_typeEEENS1_38merge_sort_block_merge_config_selectorIlSB_EEEEvv
                                        ; -- End function
	.section	.AMDGPU.csdata,"",@progbits
; Kernel info:
; codeLenInByte = 4
; NumSgprs: 0
; NumVgprs: 0
; ScratchSize: 0
; MemoryBound: 0
; FloatMode: 240
; IeeeMode: 1
; LDSByteSize: 0 bytes/workgroup (compile time only)
; SGPRBlocks: 0
; VGPRBlocks: 0
; NumSGPRsForWavesPerEU: 1
; NumVGPRsForWavesPerEU: 1
; Occupancy: 16
; WaveLimiterHint : 0
; COMPUTE_PGM_RSRC2:SCRATCH_EN: 0
; COMPUTE_PGM_RSRC2:USER_SGPR: 15
; COMPUTE_PGM_RSRC2:TRAP_HANDLER: 0
; COMPUTE_PGM_RSRC2:TGID_X_EN: 1
; COMPUTE_PGM_RSRC2:TGID_Y_EN: 0
; COMPUTE_PGM_RSRC2:TGID_Z_EN: 0
; COMPUTE_PGM_RSRC2:TIDIG_COMP_CNT: 0
	.section	.text._ZN7rocprim17ROCPRIM_400000_NS6detail44device_merge_sort_compile_time_verifier_archINS1_11comp_targetILNS1_3genE10ELNS1_11target_archE1200ELNS1_3gpuE4ELNS1_3repE0EEENS3_ILS4_10ELS5_1201ELS6_5ELS7_0EEENS0_14default_configESA_NS1_37merge_sort_block_sort_config_selectorIlNS0_10empty_typeEEENS1_38merge_sort_block_merge_config_selectorIlSC_EEEEvv,"axG",@progbits,_ZN7rocprim17ROCPRIM_400000_NS6detail44device_merge_sort_compile_time_verifier_archINS1_11comp_targetILNS1_3genE10ELNS1_11target_archE1200ELNS1_3gpuE4ELNS1_3repE0EEENS3_ILS4_10ELS5_1201ELS6_5ELS7_0EEENS0_14default_configESA_NS1_37merge_sort_block_sort_config_selectorIlNS0_10empty_typeEEENS1_38merge_sort_block_merge_config_selectorIlSC_EEEEvv,comdat
	.protected	_ZN7rocprim17ROCPRIM_400000_NS6detail44device_merge_sort_compile_time_verifier_archINS1_11comp_targetILNS1_3genE10ELNS1_11target_archE1200ELNS1_3gpuE4ELNS1_3repE0EEENS3_ILS4_10ELS5_1201ELS6_5ELS7_0EEENS0_14default_configESA_NS1_37merge_sort_block_sort_config_selectorIlNS0_10empty_typeEEENS1_38merge_sort_block_merge_config_selectorIlSC_EEEEvv ; -- Begin function _ZN7rocprim17ROCPRIM_400000_NS6detail44device_merge_sort_compile_time_verifier_archINS1_11comp_targetILNS1_3genE10ELNS1_11target_archE1200ELNS1_3gpuE4ELNS1_3repE0EEENS3_ILS4_10ELS5_1201ELS6_5ELS7_0EEENS0_14default_configESA_NS1_37merge_sort_block_sort_config_selectorIlNS0_10empty_typeEEENS1_38merge_sort_block_merge_config_selectorIlSC_EEEEvv
	.globl	_ZN7rocprim17ROCPRIM_400000_NS6detail44device_merge_sort_compile_time_verifier_archINS1_11comp_targetILNS1_3genE10ELNS1_11target_archE1200ELNS1_3gpuE4ELNS1_3repE0EEENS3_ILS4_10ELS5_1201ELS6_5ELS7_0EEENS0_14default_configESA_NS1_37merge_sort_block_sort_config_selectorIlNS0_10empty_typeEEENS1_38merge_sort_block_merge_config_selectorIlSC_EEEEvv
	.p2align	8
	.type	_ZN7rocprim17ROCPRIM_400000_NS6detail44device_merge_sort_compile_time_verifier_archINS1_11comp_targetILNS1_3genE10ELNS1_11target_archE1200ELNS1_3gpuE4ELNS1_3repE0EEENS3_ILS4_10ELS5_1201ELS6_5ELS7_0EEENS0_14default_configESA_NS1_37merge_sort_block_sort_config_selectorIlNS0_10empty_typeEEENS1_38merge_sort_block_merge_config_selectorIlSC_EEEEvv,@function
_ZN7rocprim17ROCPRIM_400000_NS6detail44device_merge_sort_compile_time_verifier_archINS1_11comp_targetILNS1_3genE10ELNS1_11target_archE1200ELNS1_3gpuE4ELNS1_3repE0EEENS3_ILS4_10ELS5_1201ELS6_5ELS7_0EEENS0_14default_configESA_NS1_37merge_sort_block_sort_config_selectorIlNS0_10empty_typeEEENS1_38merge_sort_block_merge_config_selectorIlSC_EEEEvv: ; @_ZN7rocprim17ROCPRIM_400000_NS6detail44device_merge_sort_compile_time_verifier_archINS1_11comp_targetILNS1_3genE10ELNS1_11target_archE1200ELNS1_3gpuE4ELNS1_3repE0EEENS3_ILS4_10ELS5_1201ELS6_5ELS7_0EEENS0_14default_configESA_NS1_37merge_sort_block_sort_config_selectorIlNS0_10empty_typeEEENS1_38merge_sort_block_merge_config_selectorIlSC_EEEEvv
; %bb.0:
	s_endpgm
	.section	.rodata,"a",@progbits
	.p2align	6, 0x0
	.amdhsa_kernel _ZN7rocprim17ROCPRIM_400000_NS6detail44device_merge_sort_compile_time_verifier_archINS1_11comp_targetILNS1_3genE10ELNS1_11target_archE1200ELNS1_3gpuE4ELNS1_3repE0EEENS3_ILS4_10ELS5_1201ELS6_5ELS7_0EEENS0_14default_configESA_NS1_37merge_sort_block_sort_config_selectorIlNS0_10empty_typeEEENS1_38merge_sort_block_merge_config_selectorIlSC_EEEEvv
		.amdhsa_group_segment_fixed_size 0
		.amdhsa_private_segment_fixed_size 0
		.amdhsa_kernarg_size 0
		.amdhsa_user_sgpr_count 15
		.amdhsa_user_sgpr_dispatch_ptr 0
		.amdhsa_user_sgpr_queue_ptr 0
		.amdhsa_user_sgpr_kernarg_segment_ptr 0
		.amdhsa_user_sgpr_dispatch_id 0
		.amdhsa_user_sgpr_private_segment_size 0
		.amdhsa_wavefront_size32 1
		.amdhsa_uses_dynamic_stack 0
		.amdhsa_enable_private_segment 0
		.amdhsa_system_sgpr_workgroup_id_x 1
		.amdhsa_system_sgpr_workgroup_id_y 0
		.amdhsa_system_sgpr_workgroup_id_z 0
		.amdhsa_system_sgpr_workgroup_info 0
		.amdhsa_system_vgpr_workitem_id 0
		.amdhsa_next_free_vgpr 1
		.amdhsa_next_free_sgpr 1
		.amdhsa_reserve_vcc 0
		.amdhsa_float_round_mode_32 0
		.amdhsa_float_round_mode_16_64 0
		.amdhsa_float_denorm_mode_32 3
		.amdhsa_float_denorm_mode_16_64 3
		.amdhsa_dx10_clamp 1
		.amdhsa_ieee_mode 1
		.amdhsa_fp16_overflow 0
		.amdhsa_workgroup_processor_mode 1
		.amdhsa_memory_ordered 1
		.amdhsa_forward_progress 0
		.amdhsa_shared_vgpr_count 0
		.amdhsa_exception_fp_ieee_invalid_op 0
		.amdhsa_exception_fp_denorm_src 0
		.amdhsa_exception_fp_ieee_div_zero 0
		.amdhsa_exception_fp_ieee_overflow 0
		.amdhsa_exception_fp_ieee_underflow 0
		.amdhsa_exception_fp_ieee_inexact 0
		.amdhsa_exception_int_div_zero 0
	.end_amdhsa_kernel
	.section	.text._ZN7rocprim17ROCPRIM_400000_NS6detail44device_merge_sort_compile_time_verifier_archINS1_11comp_targetILNS1_3genE10ELNS1_11target_archE1200ELNS1_3gpuE4ELNS1_3repE0EEENS3_ILS4_10ELS5_1201ELS6_5ELS7_0EEENS0_14default_configESA_NS1_37merge_sort_block_sort_config_selectorIlNS0_10empty_typeEEENS1_38merge_sort_block_merge_config_selectorIlSC_EEEEvv,"axG",@progbits,_ZN7rocprim17ROCPRIM_400000_NS6detail44device_merge_sort_compile_time_verifier_archINS1_11comp_targetILNS1_3genE10ELNS1_11target_archE1200ELNS1_3gpuE4ELNS1_3repE0EEENS3_ILS4_10ELS5_1201ELS6_5ELS7_0EEENS0_14default_configESA_NS1_37merge_sort_block_sort_config_selectorIlNS0_10empty_typeEEENS1_38merge_sort_block_merge_config_selectorIlSC_EEEEvv,comdat
.Lfunc_end6:
	.size	_ZN7rocprim17ROCPRIM_400000_NS6detail44device_merge_sort_compile_time_verifier_archINS1_11comp_targetILNS1_3genE10ELNS1_11target_archE1200ELNS1_3gpuE4ELNS1_3repE0EEENS3_ILS4_10ELS5_1201ELS6_5ELS7_0EEENS0_14default_configESA_NS1_37merge_sort_block_sort_config_selectorIlNS0_10empty_typeEEENS1_38merge_sort_block_merge_config_selectorIlSC_EEEEvv, .Lfunc_end6-_ZN7rocprim17ROCPRIM_400000_NS6detail44device_merge_sort_compile_time_verifier_archINS1_11comp_targetILNS1_3genE10ELNS1_11target_archE1200ELNS1_3gpuE4ELNS1_3repE0EEENS3_ILS4_10ELS5_1201ELS6_5ELS7_0EEENS0_14default_configESA_NS1_37merge_sort_block_sort_config_selectorIlNS0_10empty_typeEEENS1_38merge_sort_block_merge_config_selectorIlSC_EEEEvv
                                        ; -- End function
	.section	.AMDGPU.csdata,"",@progbits
; Kernel info:
; codeLenInByte = 4
; NumSgprs: 0
; NumVgprs: 0
; ScratchSize: 0
; MemoryBound: 0
; FloatMode: 240
; IeeeMode: 1
; LDSByteSize: 0 bytes/workgroup (compile time only)
; SGPRBlocks: 0
; VGPRBlocks: 0
; NumSGPRsForWavesPerEU: 1
; NumVGPRsForWavesPerEU: 1
; Occupancy: 16
; WaveLimiterHint : 0
; COMPUTE_PGM_RSRC2:SCRATCH_EN: 0
; COMPUTE_PGM_RSRC2:USER_SGPR: 15
; COMPUTE_PGM_RSRC2:TRAP_HANDLER: 0
; COMPUTE_PGM_RSRC2:TGID_X_EN: 1
; COMPUTE_PGM_RSRC2:TGID_Y_EN: 0
; COMPUTE_PGM_RSRC2:TGID_Z_EN: 0
; COMPUTE_PGM_RSRC2:TIDIG_COMP_CNT: 0
	.section	.text._ZN7rocprim17ROCPRIM_400000_NS6detail44device_merge_sort_compile_time_verifier_archINS1_11comp_targetILNS1_3genE9ELNS1_11target_archE1100ELNS1_3gpuE3ELNS1_3repE0EEES8_NS0_14default_configES9_NS1_37merge_sort_block_sort_config_selectorIlNS0_10empty_typeEEENS1_38merge_sort_block_merge_config_selectorIlSB_EEEEvv,"axG",@progbits,_ZN7rocprim17ROCPRIM_400000_NS6detail44device_merge_sort_compile_time_verifier_archINS1_11comp_targetILNS1_3genE9ELNS1_11target_archE1100ELNS1_3gpuE3ELNS1_3repE0EEES8_NS0_14default_configES9_NS1_37merge_sort_block_sort_config_selectorIlNS0_10empty_typeEEENS1_38merge_sort_block_merge_config_selectorIlSB_EEEEvv,comdat
	.protected	_ZN7rocprim17ROCPRIM_400000_NS6detail44device_merge_sort_compile_time_verifier_archINS1_11comp_targetILNS1_3genE9ELNS1_11target_archE1100ELNS1_3gpuE3ELNS1_3repE0EEES8_NS0_14default_configES9_NS1_37merge_sort_block_sort_config_selectorIlNS0_10empty_typeEEENS1_38merge_sort_block_merge_config_selectorIlSB_EEEEvv ; -- Begin function _ZN7rocprim17ROCPRIM_400000_NS6detail44device_merge_sort_compile_time_verifier_archINS1_11comp_targetILNS1_3genE9ELNS1_11target_archE1100ELNS1_3gpuE3ELNS1_3repE0EEES8_NS0_14default_configES9_NS1_37merge_sort_block_sort_config_selectorIlNS0_10empty_typeEEENS1_38merge_sort_block_merge_config_selectorIlSB_EEEEvv
	.globl	_ZN7rocprim17ROCPRIM_400000_NS6detail44device_merge_sort_compile_time_verifier_archINS1_11comp_targetILNS1_3genE9ELNS1_11target_archE1100ELNS1_3gpuE3ELNS1_3repE0EEES8_NS0_14default_configES9_NS1_37merge_sort_block_sort_config_selectorIlNS0_10empty_typeEEENS1_38merge_sort_block_merge_config_selectorIlSB_EEEEvv
	.p2align	8
	.type	_ZN7rocprim17ROCPRIM_400000_NS6detail44device_merge_sort_compile_time_verifier_archINS1_11comp_targetILNS1_3genE9ELNS1_11target_archE1100ELNS1_3gpuE3ELNS1_3repE0EEES8_NS0_14default_configES9_NS1_37merge_sort_block_sort_config_selectorIlNS0_10empty_typeEEENS1_38merge_sort_block_merge_config_selectorIlSB_EEEEvv,@function
_ZN7rocprim17ROCPRIM_400000_NS6detail44device_merge_sort_compile_time_verifier_archINS1_11comp_targetILNS1_3genE9ELNS1_11target_archE1100ELNS1_3gpuE3ELNS1_3repE0EEES8_NS0_14default_configES9_NS1_37merge_sort_block_sort_config_selectorIlNS0_10empty_typeEEENS1_38merge_sort_block_merge_config_selectorIlSB_EEEEvv: ; @_ZN7rocprim17ROCPRIM_400000_NS6detail44device_merge_sort_compile_time_verifier_archINS1_11comp_targetILNS1_3genE9ELNS1_11target_archE1100ELNS1_3gpuE3ELNS1_3repE0EEES8_NS0_14default_configES9_NS1_37merge_sort_block_sort_config_selectorIlNS0_10empty_typeEEENS1_38merge_sort_block_merge_config_selectorIlSB_EEEEvv
; %bb.0:
	s_endpgm
	.section	.rodata,"a",@progbits
	.p2align	6, 0x0
	.amdhsa_kernel _ZN7rocprim17ROCPRIM_400000_NS6detail44device_merge_sort_compile_time_verifier_archINS1_11comp_targetILNS1_3genE9ELNS1_11target_archE1100ELNS1_3gpuE3ELNS1_3repE0EEES8_NS0_14default_configES9_NS1_37merge_sort_block_sort_config_selectorIlNS0_10empty_typeEEENS1_38merge_sort_block_merge_config_selectorIlSB_EEEEvv
		.amdhsa_group_segment_fixed_size 0
		.amdhsa_private_segment_fixed_size 0
		.amdhsa_kernarg_size 0
		.amdhsa_user_sgpr_count 15
		.amdhsa_user_sgpr_dispatch_ptr 0
		.amdhsa_user_sgpr_queue_ptr 0
		.amdhsa_user_sgpr_kernarg_segment_ptr 0
		.amdhsa_user_sgpr_dispatch_id 0
		.amdhsa_user_sgpr_private_segment_size 0
		.amdhsa_wavefront_size32 1
		.amdhsa_uses_dynamic_stack 0
		.amdhsa_enable_private_segment 0
		.amdhsa_system_sgpr_workgroup_id_x 1
		.amdhsa_system_sgpr_workgroup_id_y 0
		.amdhsa_system_sgpr_workgroup_id_z 0
		.amdhsa_system_sgpr_workgroup_info 0
		.amdhsa_system_vgpr_workitem_id 0
		.amdhsa_next_free_vgpr 1
		.amdhsa_next_free_sgpr 1
		.amdhsa_reserve_vcc 0
		.amdhsa_float_round_mode_32 0
		.amdhsa_float_round_mode_16_64 0
		.amdhsa_float_denorm_mode_32 3
		.amdhsa_float_denorm_mode_16_64 3
		.amdhsa_dx10_clamp 1
		.amdhsa_ieee_mode 1
		.amdhsa_fp16_overflow 0
		.amdhsa_workgroup_processor_mode 1
		.amdhsa_memory_ordered 1
		.amdhsa_forward_progress 0
		.amdhsa_shared_vgpr_count 0
		.amdhsa_exception_fp_ieee_invalid_op 0
		.amdhsa_exception_fp_denorm_src 0
		.amdhsa_exception_fp_ieee_div_zero 0
		.amdhsa_exception_fp_ieee_overflow 0
		.amdhsa_exception_fp_ieee_underflow 0
		.amdhsa_exception_fp_ieee_inexact 0
		.amdhsa_exception_int_div_zero 0
	.end_amdhsa_kernel
	.section	.text._ZN7rocprim17ROCPRIM_400000_NS6detail44device_merge_sort_compile_time_verifier_archINS1_11comp_targetILNS1_3genE9ELNS1_11target_archE1100ELNS1_3gpuE3ELNS1_3repE0EEES8_NS0_14default_configES9_NS1_37merge_sort_block_sort_config_selectorIlNS0_10empty_typeEEENS1_38merge_sort_block_merge_config_selectorIlSB_EEEEvv,"axG",@progbits,_ZN7rocprim17ROCPRIM_400000_NS6detail44device_merge_sort_compile_time_verifier_archINS1_11comp_targetILNS1_3genE9ELNS1_11target_archE1100ELNS1_3gpuE3ELNS1_3repE0EEES8_NS0_14default_configES9_NS1_37merge_sort_block_sort_config_selectorIlNS0_10empty_typeEEENS1_38merge_sort_block_merge_config_selectorIlSB_EEEEvv,comdat
.Lfunc_end7:
	.size	_ZN7rocprim17ROCPRIM_400000_NS6detail44device_merge_sort_compile_time_verifier_archINS1_11comp_targetILNS1_3genE9ELNS1_11target_archE1100ELNS1_3gpuE3ELNS1_3repE0EEES8_NS0_14default_configES9_NS1_37merge_sort_block_sort_config_selectorIlNS0_10empty_typeEEENS1_38merge_sort_block_merge_config_selectorIlSB_EEEEvv, .Lfunc_end7-_ZN7rocprim17ROCPRIM_400000_NS6detail44device_merge_sort_compile_time_verifier_archINS1_11comp_targetILNS1_3genE9ELNS1_11target_archE1100ELNS1_3gpuE3ELNS1_3repE0EEES8_NS0_14default_configES9_NS1_37merge_sort_block_sort_config_selectorIlNS0_10empty_typeEEENS1_38merge_sort_block_merge_config_selectorIlSB_EEEEvv
                                        ; -- End function
	.section	.AMDGPU.csdata,"",@progbits
; Kernel info:
; codeLenInByte = 4
; NumSgprs: 0
; NumVgprs: 0
; ScratchSize: 0
; MemoryBound: 0
; FloatMode: 240
; IeeeMode: 1
; LDSByteSize: 0 bytes/workgroup (compile time only)
; SGPRBlocks: 0
; VGPRBlocks: 0
; NumSGPRsForWavesPerEU: 1
; NumVGPRsForWavesPerEU: 1
; Occupancy: 16
; WaveLimiterHint : 0
; COMPUTE_PGM_RSRC2:SCRATCH_EN: 0
; COMPUTE_PGM_RSRC2:USER_SGPR: 15
; COMPUTE_PGM_RSRC2:TRAP_HANDLER: 0
; COMPUTE_PGM_RSRC2:TGID_X_EN: 1
; COMPUTE_PGM_RSRC2:TGID_Y_EN: 0
; COMPUTE_PGM_RSRC2:TGID_Z_EN: 0
; COMPUTE_PGM_RSRC2:TIDIG_COMP_CNT: 0
	.section	.text._ZN7rocprim17ROCPRIM_400000_NS6detail44device_merge_sort_compile_time_verifier_archINS1_11comp_targetILNS1_3genE8ELNS1_11target_archE1030ELNS1_3gpuE2ELNS1_3repE0EEES8_NS0_14default_configES9_NS1_37merge_sort_block_sort_config_selectorIlNS0_10empty_typeEEENS1_38merge_sort_block_merge_config_selectorIlSB_EEEEvv,"axG",@progbits,_ZN7rocprim17ROCPRIM_400000_NS6detail44device_merge_sort_compile_time_verifier_archINS1_11comp_targetILNS1_3genE8ELNS1_11target_archE1030ELNS1_3gpuE2ELNS1_3repE0EEES8_NS0_14default_configES9_NS1_37merge_sort_block_sort_config_selectorIlNS0_10empty_typeEEENS1_38merge_sort_block_merge_config_selectorIlSB_EEEEvv,comdat
	.protected	_ZN7rocprim17ROCPRIM_400000_NS6detail44device_merge_sort_compile_time_verifier_archINS1_11comp_targetILNS1_3genE8ELNS1_11target_archE1030ELNS1_3gpuE2ELNS1_3repE0EEES8_NS0_14default_configES9_NS1_37merge_sort_block_sort_config_selectorIlNS0_10empty_typeEEENS1_38merge_sort_block_merge_config_selectorIlSB_EEEEvv ; -- Begin function _ZN7rocprim17ROCPRIM_400000_NS6detail44device_merge_sort_compile_time_verifier_archINS1_11comp_targetILNS1_3genE8ELNS1_11target_archE1030ELNS1_3gpuE2ELNS1_3repE0EEES8_NS0_14default_configES9_NS1_37merge_sort_block_sort_config_selectorIlNS0_10empty_typeEEENS1_38merge_sort_block_merge_config_selectorIlSB_EEEEvv
	.globl	_ZN7rocprim17ROCPRIM_400000_NS6detail44device_merge_sort_compile_time_verifier_archINS1_11comp_targetILNS1_3genE8ELNS1_11target_archE1030ELNS1_3gpuE2ELNS1_3repE0EEES8_NS0_14default_configES9_NS1_37merge_sort_block_sort_config_selectorIlNS0_10empty_typeEEENS1_38merge_sort_block_merge_config_selectorIlSB_EEEEvv
	.p2align	8
	.type	_ZN7rocprim17ROCPRIM_400000_NS6detail44device_merge_sort_compile_time_verifier_archINS1_11comp_targetILNS1_3genE8ELNS1_11target_archE1030ELNS1_3gpuE2ELNS1_3repE0EEES8_NS0_14default_configES9_NS1_37merge_sort_block_sort_config_selectorIlNS0_10empty_typeEEENS1_38merge_sort_block_merge_config_selectorIlSB_EEEEvv,@function
_ZN7rocprim17ROCPRIM_400000_NS6detail44device_merge_sort_compile_time_verifier_archINS1_11comp_targetILNS1_3genE8ELNS1_11target_archE1030ELNS1_3gpuE2ELNS1_3repE0EEES8_NS0_14default_configES9_NS1_37merge_sort_block_sort_config_selectorIlNS0_10empty_typeEEENS1_38merge_sort_block_merge_config_selectorIlSB_EEEEvv: ; @_ZN7rocprim17ROCPRIM_400000_NS6detail44device_merge_sort_compile_time_verifier_archINS1_11comp_targetILNS1_3genE8ELNS1_11target_archE1030ELNS1_3gpuE2ELNS1_3repE0EEES8_NS0_14default_configES9_NS1_37merge_sort_block_sort_config_selectorIlNS0_10empty_typeEEENS1_38merge_sort_block_merge_config_selectorIlSB_EEEEvv
; %bb.0:
	s_endpgm
	.section	.rodata,"a",@progbits
	.p2align	6, 0x0
	.amdhsa_kernel _ZN7rocprim17ROCPRIM_400000_NS6detail44device_merge_sort_compile_time_verifier_archINS1_11comp_targetILNS1_3genE8ELNS1_11target_archE1030ELNS1_3gpuE2ELNS1_3repE0EEES8_NS0_14default_configES9_NS1_37merge_sort_block_sort_config_selectorIlNS0_10empty_typeEEENS1_38merge_sort_block_merge_config_selectorIlSB_EEEEvv
		.amdhsa_group_segment_fixed_size 0
		.amdhsa_private_segment_fixed_size 0
		.amdhsa_kernarg_size 0
		.amdhsa_user_sgpr_count 15
		.amdhsa_user_sgpr_dispatch_ptr 0
		.amdhsa_user_sgpr_queue_ptr 0
		.amdhsa_user_sgpr_kernarg_segment_ptr 0
		.amdhsa_user_sgpr_dispatch_id 0
		.amdhsa_user_sgpr_private_segment_size 0
		.amdhsa_wavefront_size32 1
		.amdhsa_uses_dynamic_stack 0
		.amdhsa_enable_private_segment 0
		.amdhsa_system_sgpr_workgroup_id_x 1
		.amdhsa_system_sgpr_workgroup_id_y 0
		.amdhsa_system_sgpr_workgroup_id_z 0
		.amdhsa_system_sgpr_workgroup_info 0
		.amdhsa_system_vgpr_workitem_id 0
		.amdhsa_next_free_vgpr 1
		.amdhsa_next_free_sgpr 1
		.amdhsa_reserve_vcc 0
		.amdhsa_float_round_mode_32 0
		.amdhsa_float_round_mode_16_64 0
		.amdhsa_float_denorm_mode_32 3
		.amdhsa_float_denorm_mode_16_64 3
		.amdhsa_dx10_clamp 1
		.amdhsa_ieee_mode 1
		.amdhsa_fp16_overflow 0
		.amdhsa_workgroup_processor_mode 1
		.amdhsa_memory_ordered 1
		.amdhsa_forward_progress 0
		.amdhsa_shared_vgpr_count 0
		.amdhsa_exception_fp_ieee_invalid_op 0
		.amdhsa_exception_fp_denorm_src 0
		.amdhsa_exception_fp_ieee_div_zero 0
		.amdhsa_exception_fp_ieee_overflow 0
		.amdhsa_exception_fp_ieee_underflow 0
		.amdhsa_exception_fp_ieee_inexact 0
		.amdhsa_exception_int_div_zero 0
	.end_amdhsa_kernel
	.section	.text._ZN7rocprim17ROCPRIM_400000_NS6detail44device_merge_sort_compile_time_verifier_archINS1_11comp_targetILNS1_3genE8ELNS1_11target_archE1030ELNS1_3gpuE2ELNS1_3repE0EEES8_NS0_14default_configES9_NS1_37merge_sort_block_sort_config_selectorIlNS0_10empty_typeEEENS1_38merge_sort_block_merge_config_selectorIlSB_EEEEvv,"axG",@progbits,_ZN7rocprim17ROCPRIM_400000_NS6detail44device_merge_sort_compile_time_verifier_archINS1_11comp_targetILNS1_3genE8ELNS1_11target_archE1030ELNS1_3gpuE2ELNS1_3repE0EEES8_NS0_14default_configES9_NS1_37merge_sort_block_sort_config_selectorIlNS0_10empty_typeEEENS1_38merge_sort_block_merge_config_selectorIlSB_EEEEvv,comdat
.Lfunc_end8:
	.size	_ZN7rocprim17ROCPRIM_400000_NS6detail44device_merge_sort_compile_time_verifier_archINS1_11comp_targetILNS1_3genE8ELNS1_11target_archE1030ELNS1_3gpuE2ELNS1_3repE0EEES8_NS0_14default_configES9_NS1_37merge_sort_block_sort_config_selectorIlNS0_10empty_typeEEENS1_38merge_sort_block_merge_config_selectorIlSB_EEEEvv, .Lfunc_end8-_ZN7rocprim17ROCPRIM_400000_NS6detail44device_merge_sort_compile_time_verifier_archINS1_11comp_targetILNS1_3genE8ELNS1_11target_archE1030ELNS1_3gpuE2ELNS1_3repE0EEES8_NS0_14default_configES9_NS1_37merge_sort_block_sort_config_selectorIlNS0_10empty_typeEEENS1_38merge_sort_block_merge_config_selectorIlSB_EEEEvv
                                        ; -- End function
	.section	.AMDGPU.csdata,"",@progbits
; Kernel info:
; codeLenInByte = 4
; NumSgprs: 0
; NumVgprs: 0
; ScratchSize: 0
; MemoryBound: 0
; FloatMode: 240
; IeeeMode: 1
; LDSByteSize: 0 bytes/workgroup (compile time only)
; SGPRBlocks: 0
; VGPRBlocks: 0
; NumSGPRsForWavesPerEU: 1
; NumVGPRsForWavesPerEU: 1
; Occupancy: 16
; WaveLimiterHint : 0
; COMPUTE_PGM_RSRC2:SCRATCH_EN: 0
; COMPUTE_PGM_RSRC2:USER_SGPR: 15
; COMPUTE_PGM_RSRC2:TRAP_HANDLER: 0
; COMPUTE_PGM_RSRC2:TGID_X_EN: 1
; COMPUTE_PGM_RSRC2:TGID_Y_EN: 0
; COMPUTE_PGM_RSRC2:TGID_Z_EN: 0
; COMPUTE_PGM_RSRC2:TIDIG_COMP_CNT: 0
	.section	.text._ZN7rocprim17ROCPRIM_400000_NS6detail17trampoline_kernelINS0_14default_configENS1_37merge_sort_block_sort_config_selectorIlNS0_10empty_typeEEEZNS1_21merge_sort_block_sortIS3_PlS8_PS5_S9_ZN2at6native12_GLOBAL__N_124unique_dim_cuda_templateIhEESt5tupleIJNSA_6TensorESF_SF_EERKSF_lbbbEUlllE_EE10hipError_tT0_T1_T2_T3_mRjT4_P12ihipStream_tbNS1_7vsmem_tEEUlT_E_NS1_11comp_targetILNS1_3genE0ELNS1_11target_archE4294967295ELNS1_3gpuE0ELNS1_3repE0EEENS1_30default_config_static_selectorELNS0_4arch9wavefront6targetE0EEEvSM_,"axG",@progbits,_ZN7rocprim17ROCPRIM_400000_NS6detail17trampoline_kernelINS0_14default_configENS1_37merge_sort_block_sort_config_selectorIlNS0_10empty_typeEEEZNS1_21merge_sort_block_sortIS3_PlS8_PS5_S9_ZN2at6native12_GLOBAL__N_124unique_dim_cuda_templateIhEESt5tupleIJNSA_6TensorESF_SF_EERKSF_lbbbEUlllE_EE10hipError_tT0_T1_T2_T3_mRjT4_P12ihipStream_tbNS1_7vsmem_tEEUlT_E_NS1_11comp_targetILNS1_3genE0ELNS1_11target_archE4294967295ELNS1_3gpuE0ELNS1_3repE0EEENS1_30default_config_static_selectorELNS0_4arch9wavefront6targetE0EEEvSM_,comdat
	.globl	_ZN7rocprim17ROCPRIM_400000_NS6detail17trampoline_kernelINS0_14default_configENS1_37merge_sort_block_sort_config_selectorIlNS0_10empty_typeEEEZNS1_21merge_sort_block_sortIS3_PlS8_PS5_S9_ZN2at6native12_GLOBAL__N_124unique_dim_cuda_templateIhEESt5tupleIJNSA_6TensorESF_SF_EERKSF_lbbbEUlllE_EE10hipError_tT0_T1_T2_T3_mRjT4_P12ihipStream_tbNS1_7vsmem_tEEUlT_E_NS1_11comp_targetILNS1_3genE0ELNS1_11target_archE4294967295ELNS1_3gpuE0ELNS1_3repE0EEENS1_30default_config_static_selectorELNS0_4arch9wavefront6targetE0EEEvSM_ ; -- Begin function _ZN7rocprim17ROCPRIM_400000_NS6detail17trampoline_kernelINS0_14default_configENS1_37merge_sort_block_sort_config_selectorIlNS0_10empty_typeEEEZNS1_21merge_sort_block_sortIS3_PlS8_PS5_S9_ZN2at6native12_GLOBAL__N_124unique_dim_cuda_templateIhEESt5tupleIJNSA_6TensorESF_SF_EERKSF_lbbbEUlllE_EE10hipError_tT0_T1_T2_T3_mRjT4_P12ihipStream_tbNS1_7vsmem_tEEUlT_E_NS1_11comp_targetILNS1_3genE0ELNS1_11target_archE4294967295ELNS1_3gpuE0ELNS1_3repE0EEENS1_30default_config_static_selectorELNS0_4arch9wavefront6targetE0EEEvSM_
	.p2align	8
	.type	_ZN7rocprim17ROCPRIM_400000_NS6detail17trampoline_kernelINS0_14default_configENS1_37merge_sort_block_sort_config_selectorIlNS0_10empty_typeEEEZNS1_21merge_sort_block_sortIS3_PlS8_PS5_S9_ZN2at6native12_GLOBAL__N_124unique_dim_cuda_templateIhEESt5tupleIJNSA_6TensorESF_SF_EERKSF_lbbbEUlllE_EE10hipError_tT0_T1_T2_T3_mRjT4_P12ihipStream_tbNS1_7vsmem_tEEUlT_E_NS1_11comp_targetILNS1_3genE0ELNS1_11target_archE4294967295ELNS1_3gpuE0ELNS1_3repE0EEENS1_30default_config_static_selectorELNS0_4arch9wavefront6targetE0EEEvSM_,@function
_ZN7rocprim17ROCPRIM_400000_NS6detail17trampoline_kernelINS0_14default_configENS1_37merge_sort_block_sort_config_selectorIlNS0_10empty_typeEEEZNS1_21merge_sort_block_sortIS3_PlS8_PS5_S9_ZN2at6native12_GLOBAL__N_124unique_dim_cuda_templateIhEESt5tupleIJNSA_6TensorESF_SF_EERKSF_lbbbEUlllE_EE10hipError_tT0_T1_T2_T3_mRjT4_P12ihipStream_tbNS1_7vsmem_tEEUlT_E_NS1_11comp_targetILNS1_3genE0ELNS1_11target_archE4294967295ELNS1_3gpuE0ELNS1_3repE0EEENS1_30default_config_static_selectorELNS0_4arch9wavefront6targetE0EEEvSM_: ; @_ZN7rocprim17ROCPRIM_400000_NS6detail17trampoline_kernelINS0_14default_configENS1_37merge_sort_block_sort_config_selectorIlNS0_10empty_typeEEEZNS1_21merge_sort_block_sortIS3_PlS8_PS5_S9_ZN2at6native12_GLOBAL__N_124unique_dim_cuda_templateIhEESt5tupleIJNSA_6TensorESF_SF_EERKSF_lbbbEUlllE_EE10hipError_tT0_T1_T2_T3_mRjT4_P12ihipStream_tbNS1_7vsmem_tEEUlT_E_NS1_11comp_targetILNS1_3genE0ELNS1_11target_archE4294967295ELNS1_3gpuE0ELNS1_3repE0EEENS1_30default_config_static_selectorELNS0_4arch9wavefront6targetE0EEEvSM_
; %bb.0:
	.section	.rodata,"a",@progbits
	.p2align	6, 0x0
	.amdhsa_kernel _ZN7rocprim17ROCPRIM_400000_NS6detail17trampoline_kernelINS0_14default_configENS1_37merge_sort_block_sort_config_selectorIlNS0_10empty_typeEEEZNS1_21merge_sort_block_sortIS3_PlS8_PS5_S9_ZN2at6native12_GLOBAL__N_124unique_dim_cuda_templateIhEESt5tupleIJNSA_6TensorESF_SF_EERKSF_lbbbEUlllE_EE10hipError_tT0_T1_T2_T3_mRjT4_P12ihipStream_tbNS1_7vsmem_tEEUlT_E_NS1_11comp_targetILNS1_3genE0ELNS1_11target_archE4294967295ELNS1_3gpuE0ELNS1_3repE0EEENS1_30default_config_static_selectorELNS0_4arch9wavefront6targetE0EEEvSM_
		.amdhsa_group_segment_fixed_size 0
		.amdhsa_private_segment_fixed_size 0
		.amdhsa_kernarg_size 72
		.amdhsa_user_sgpr_count 15
		.amdhsa_user_sgpr_dispatch_ptr 0
		.amdhsa_user_sgpr_queue_ptr 0
		.amdhsa_user_sgpr_kernarg_segment_ptr 1
		.amdhsa_user_sgpr_dispatch_id 0
		.amdhsa_user_sgpr_private_segment_size 0
		.amdhsa_wavefront_size32 1
		.amdhsa_uses_dynamic_stack 0
		.amdhsa_enable_private_segment 0
		.amdhsa_system_sgpr_workgroup_id_x 1
		.amdhsa_system_sgpr_workgroup_id_y 0
		.amdhsa_system_sgpr_workgroup_id_z 0
		.amdhsa_system_sgpr_workgroup_info 0
		.amdhsa_system_vgpr_workitem_id 0
		.amdhsa_next_free_vgpr 1
		.amdhsa_next_free_sgpr 1
		.amdhsa_reserve_vcc 0
		.amdhsa_float_round_mode_32 0
		.amdhsa_float_round_mode_16_64 0
		.amdhsa_float_denorm_mode_32 3
		.amdhsa_float_denorm_mode_16_64 3
		.amdhsa_dx10_clamp 1
		.amdhsa_ieee_mode 1
		.amdhsa_fp16_overflow 0
		.amdhsa_workgroup_processor_mode 1
		.amdhsa_memory_ordered 1
		.amdhsa_forward_progress 0
		.amdhsa_shared_vgpr_count 0
		.amdhsa_exception_fp_ieee_invalid_op 0
		.amdhsa_exception_fp_denorm_src 0
		.amdhsa_exception_fp_ieee_div_zero 0
		.amdhsa_exception_fp_ieee_overflow 0
		.amdhsa_exception_fp_ieee_underflow 0
		.amdhsa_exception_fp_ieee_inexact 0
		.amdhsa_exception_int_div_zero 0
	.end_amdhsa_kernel
	.section	.text._ZN7rocprim17ROCPRIM_400000_NS6detail17trampoline_kernelINS0_14default_configENS1_37merge_sort_block_sort_config_selectorIlNS0_10empty_typeEEEZNS1_21merge_sort_block_sortIS3_PlS8_PS5_S9_ZN2at6native12_GLOBAL__N_124unique_dim_cuda_templateIhEESt5tupleIJNSA_6TensorESF_SF_EERKSF_lbbbEUlllE_EE10hipError_tT0_T1_T2_T3_mRjT4_P12ihipStream_tbNS1_7vsmem_tEEUlT_E_NS1_11comp_targetILNS1_3genE0ELNS1_11target_archE4294967295ELNS1_3gpuE0ELNS1_3repE0EEENS1_30default_config_static_selectorELNS0_4arch9wavefront6targetE0EEEvSM_,"axG",@progbits,_ZN7rocprim17ROCPRIM_400000_NS6detail17trampoline_kernelINS0_14default_configENS1_37merge_sort_block_sort_config_selectorIlNS0_10empty_typeEEEZNS1_21merge_sort_block_sortIS3_PlS8_PS5_S9_ZN2at6native12_GLOBAL__N_124unique_dim_cuda_templateIhEESt5tupleIJNSA_6TensorESF_SF_EERKSF_lbbbEUlllE_EE10hipError_tT0_T1_T2_T3_mRjT4_P12ihipStream_tbNS1_7vsmem_tEEUlT_E_NS1_11comp_targetILNS1_3genE0ELNS1_11target_archE4294967295ELNS1_3gpuE0ELNS1_3repE0EEENS1_30default_config_static_selectorELNS0_4arch9wavefront6targetE0EEEvSM_,comdat
.Lfunc_end9:
	.size	_ZN7rocprim17ROCPRIM_400000_NS6detail17trampoline_kernelINS0_14default_configENS1_37merge_sort_block_sort_config_selectorIlNS0_10empty_typeEEEZNS1_21merge_sort_block_sortIS3_PlS8_PS5_S9_ZN2at6native12_GLOBAL__N_124unique_dim_cuda_templateIhEESt5tupleIJNSA_6TensorESF_SF_EERKSF_lbbbEUlllE_EE10hipError_tT0_T1_T2_T3_mRjT4_P12ihipStream_tbNS1_7vsmem_tEEUlT_E_NS1_11comp_targetILNS1_3genE0ELNS1_11target_archE4294967295ELNS1_3gpuE0ELNS1_3repE0EEENS1_30default_config_static_selectorELNS0_4arch9wavefront6targetE0EEEvSM_, .Lfunc_end9-_ZN7rocprim17ROCPRIM_400000_NS6detail17trampoline_kernelINS0_14default_configENS1_37merge_sort_block_sort_config_selectorIlNS0_10empty_typeEEEZNS1_21merge_sort_block_sortIS3_PlS8_PS5_S9_ZN2at6native12_GLOBAL__N_124unique_dim_cuda_templateIhEESt5tupleIJNSA_6TensorESF_SF_EERKSF_lbbbEUlllE_EE10hipError_tT0_T1_T2_T3_mRjT4_P12ihipStream_tbNS1_7vsmem_tEEUlT_E_NS1_11comp_targetILNS1_3genE0ELNS1_11target_archE4294967295ELNS1_3gpuE0ELNS1_3repE0EEENS1_30default_config_static_selectorELNS0_4arch9wavefront6targetE0EEEvSM_
                                        ; -- End function
	.section	.AMDGPU.csdata,"",@progbits
; Kernel info:
; codeLenInByte = 0
; NumSgprs: 0
; NumVgprs: 0
; ScratchSize: 0
; MemoryBound: 0
; FloatMode: 240
; IeeeMode: 1
; LDSByteSize: 0 bytes/workgroup (compile time only)
; SGPRBlocks: 0
; VGPRBlocks: 0
; NumSGPRsForWavesPerEU: 1
; NumVGPRsForWavesPerEU: 1
; Occupancy: 16
; WaveLimiterHint : 0
; COMPUTE_PGM_RSRC2:SCRATCH_EN: 0
; COMPUTE_PGM_RSRC2:USER_SGPR: 15
; COMPUTE_PGM_RSRC2:TRAP_HANDLER: 0
; COMPUTE_PGM_RSRC2:TGID_X_EN: 1
; COMPUTE_PGM_RSRC2:TGID_Y_EN: 0
; COMPUTE_PGM_RSRC2:TGID_Z_EN: 0
; COMPUTE_PGM_RSRC2:TIDIG_COMP_CNT: 0
	.section	.text._ZN7rocprim17ROCPRIM_400000_NS6detail17trampoline_kernelINS0_14default_configENS1_37merge_sort_block_sort_config_selectorIlNS0_10empty_typeEEEZNS1_21merge_sort_block_sortIS3_PlS8_PS5_S9_ZN2at6native12_GLOBAL__N_124unique_dim_cuda_templateIhEESt5tupleIJNSA_6TensorESF_SF_EERKSF_lbbbEUlllE_EE10hipError_tT0_T1_T2_T3_mRjT4_P12ihipStream_tbNS1_7vsmem_tEEUlT_E_NS1_11comp_targetILNS1_3genE5ELNS1_11target_archE942ELNS1_3gpuE9ELNS1_3repE0EEENS1_30default_config_static_selectorELNS0_4arch9wavefront6targetE0EEEvSM_,"axG",@progbits,_ZN7rocprim17ROCPRIM_400000_NS6detail17trampoline_kernelINS0_14default_configENS1_37merge_sort_block_sort_config_selectorIlNS0_10empty_typeEEEZNS1_21merge_sort_block_sortIS3_PlS8_PS5_S9_ZN2at6native12_GLOBAL__N_124unique_dim_cuda_templateIhEESt5tupleIJNSA_6TensorESF_SF_EERKSF_lbbbEUlllE_EE10hipError_tT0_T1_T2_T3_mRjT4_P12ihipStream_tbNS1_7vsmem_tEEUlT_E_NS1_11comp_targetILNS1_3genE5ELNS1_11target_archE942ELNS1_3gpuE9ELNS1_3repE0EEENS1_30default_config_static_selectorELNS0_4arch9wavefront6targetE0EEEvSM_,comdat
	.globl	_ZN7rocprim17ROCPRIM_400000_NS6detail17trampoline_kernelINS0_14default_configENS1_37merge_sort_block_sort_config_selectorIlNS0_10empty_typeEEEZNS1_21merge_sort_block_sortIS3_PlS8_PS5_S9_ZN2at6native12_GLOBAL__N_124unique_dim_cuda_templateIhEESt5tupleIJNSA_6TensorESF_SF_EERKSF_lbbbEUlllE_EE10hipError_tT0_T1_T2_T3_mRjT4_P12ihipStream_tbNS1_7vsmem_tEEUlT_E_NS1_11comp_targetILNS1_3genE5ELNS1_11target_archE942ELNS1_3gpuE9ELNS1_3repE0EEENS1_30default_config_static_selectorELNS0_4arch9wavefront6targetE0EEEvSM_ ; -- Begin function _ZN7rocprim17ROCPRIM_400000_NS6detail17trampoline_kernelINS0_14default_configENS1_37merge_sort_block_sort_config_selectorIlNS0_10empty_typeEEEZNS1_21merge_sort_block_sortIS3_PlS8_PS5_S9_ZN2at6native12_GLOBAL__N_124unique_dim_cuda_templateIhEESt5tupleIJNSA_6TensorESF_SF_EERKSF_lbbbEUlllE_EE10hipError_tT0_T1_T2_T3_mRjT4_P12ihipStream_tbNS1_7vsmem_tEEUlT_E_NS1_11comp_targetILNS1_3genE5ELNS1_11target_archE942ELNS1_3gpuE9ELNS1_3repE0EEENS1_30default_config_static_selectorELNS0_4arch9wavefront6targetE0EEEvSM_
	.p2align	8
	.type	_ZN7rocprim17ROCPRIM_400000_NS6detail17trampoline_kernelINS0_14default_configENS1_37merge_sort_block_sort_config_selectorIlNS0_10empty_typeEEEZNS1_21merge_sort_block_sortIS3_PlS8_PS5_S9_ZN2at6native12_GLOBAL__N_124unique_dim_cuda_templateIhEESt5tupleIJNSA_6TensorESF_SF_EERKSF_lbbbEUlllE_EE10hipError_tT0_T1_T2_T3_mRjT4_P12ihipStream_tbNS1_7vsmem_tEEUlT_E_NS1_11comp_targetILNS1_3genE5ELNS1_11target_archE942ELNS1_3gpuE9ELNS1_3repE0EEENS1_30default_config_static_selectorELNS0_4arch9wavefront6targetE0EEEvSM_,@function
_ZN7rocprim17ROCPRIM_400000_NS6detail17trampoline_kernelINS0_14default_configENS1_37merge_sort_block_sort_config_selectorIlNS0_10empty_typeEEEZNS1_21merge_sort_block_sortIS3_PlS8_PS5_S9_ZN2at6native12_GLOBAL__N_124unique_dim_cuda_templateIhEESt5tupleIJNSA_6TensorESF_SF_EERKSF_lbbbEUlllE_EE10hipError_tT0_T1_T2_T3_mRjT4_P12ihipStream_tbNS1_7vsmem_tEEUlT_E_NS1_11comp_targetILNS1_3genE5ELNS1_11target_archE942ELNS1_3gpuE9ELNS1_3repE0EEENS1_30default_config_static_selectorELNS0_4arch9wavefront6targetE0EEEvSM_: ; @_ZN7rocprim17ROCPRIM_400000_NS6detail17trampoline_kernelINS0_14default_configENS1_37merge_sort_block_sort_config_selectorIlNS0_10empty_typeEEEZNS1_21merge_sort_block_sortIS3_PlS8_PS5_S9_ZN2at6native12_GLOBAL__N_124unique_dim_cuda_templateIhEESt5tupleIJNSA_6TensorESF_SF_EERKSF_lbbbEUlllE_EE10hipError_tT0_T1_T2_T3_mRjT4_P12ihipStream_tbNS1_7vsmem_tEEUlT_E_NS1_11comp_targetILNS1_3genE5ELNS1_11target_archE942ELNS1_3gpuE9ELNS1_3repE0EEENS1_30default_config_static_selectorELNS0_4arch9wavefront6targetE0EEEvSM_
; %bb.0:
	.section	.rodata,"a",@progbits
	.p2align	6, 0x0
	.amdhsa_kernel _ZN7rocprim17ROCPRIM_400000_NS6detail17trampoline_kernelINS0_14default_configENS1_37merge_sort_block_sort_config_selectorIlNS0_10empty_typeEEEZNS1_21merge_sort_block_sortIS3_PlS8_PS5_S9_ZN2at6native12_GLOBAL__N_124unique_dim_cuda_templateIhEESt5tupleIJNSA_6TensorESF_SF_EERKSF_lbbbEUlllE_EE10hipError_tT0_T1_T2_T3_mRjT4_P12ihipStream_tbNS1_7vsmem_tEEUlT_E_NS1_11comp_targetILNS1_3genE5ELNS1_11target_archE942ELNS1_3gpuE9ELNS1_3repE0EEENS1_30default_config_static_selectorELNS0_4arch9wavefront6targetE0EEEvSM_
		.amdhsa_group_segment_fixed_size 0
		.amdhsa_private_segment_fixed_size 0
		.amdhsa_kernarg_size 72
		.amdhsa_user_sgpr_count 15
		.amdhsa_user_sgpr_dispatch_ptr 0
		.amdhsa_user_sgpr_queue_ptr 0
		.amdhsa_user_sgpr_kernarg_segment_ptr 1
		.amdhsa_user_sgpr_dispatch_id 0
		.amdhsa_user_sgpr_private_segment_size 0
		.amdhsa_wavefront_size32 1
		.amdhsa_uses_dynamic_stack 0
		.amdhsa_enable_private_segment 0
		.amdhsa_system_sgpr_workgroup_id_x 1
		.amdhsa_system_sgpr_workgroup_id_y 0
		.amdhsa_system_sgpr_workgroup_id_z 0
		.amdhsa_system_sgpr_workgroup_info 0
		.amdhsa_system_vgpr_workitem_id 0
		.amdhsa_next_free_vgpr 1
		.amdhsa_next_free_sgpr 1
		.amdhsa_reserve_vcc 0
		.amdhsa_float_round_mode_32 0
		.amdhsa_float_round_mode_16_64 0
		.amdhsa_float_denorm_mode_32 3
		.amdhsa_float_denorm_mode_16_64 3
		.amdhsa_dx10_clamp 1
		.amdhsa_ieee_mode 1
		.amdhsa_fp16_overflow 0
		.amdhsa_workgroup_processor_mode 1
		.amdhsa_memory_ordered 1
		.amdhsa_forward_progress 0
		.amdhsa_shared_vgpr_count 0
		.amdhsa_exception_fp_ieee_invalid_op 0
		.amdhsa_exception_fp_denorm_src 0
		.amdhsa_exception_fp_ieee_div_zero 0
		.amdhsa_exception_fp_ieee_overflow 0
		.amdhsa_exception_fp_ieee_underflow 0
		.amdhsa_exception_fp_ieee_inexact 0
		.amdhsa_exception_int_div_zero 0
	.end_amdhsa_kernel
	.section	.text._ZN7rocprim17ROCPRIM_400000_NS6detail17trampoline_kernelINS0_14default_configENS1_37merge_sort_block_sort_config_selectorIlNS0_10empty_typeEEEZNS1_21merge_sort_block_sortIS3_PlS8_PS5_S9_ZN2at6native12_GLOBAL__N_124unique_dim_cuda_templateIhEESt5tupleIJNSA_6TensorESF_SF_EERKSF_lbbbEUlllE_EE10hipError_tT0_T1_T2_T3_mRjT4_P12ihipStream_tbNS1_7vsmem_tEEUlT_E_NS1_11comp_targetILNS1_3genE5ELNS1_11target_archE942ELNS1_3gpuE9ELNS1_3repE0EEENS1_30default_config_static_selectorELNS0_4arch9wavefront6targetE0EEEvSM_,"axG",@progbits,_ZN7rocprim17ROCPRIM_400000_NS6detail17trampoline_kernelINS0_14default_configENS1_37merge_sort_block_sort_config_selectorIlNS0_10empty_typeEEEZNS1_21merge_sort_block_sortIS3_PlS8_PS5_S9_ZN2at6native12_GLOBAL__N_124unique_dim_cuda_templateIhEESt5tupleIJNSA_6TensorESF_SF_EERKSF_lbbbEUlllE_EE10hipError_tT0_T1_T2_T3_mRjT4_P12ihipStream_tbNS1_7vsmem_tEEUlT_E_NS1_11comp_targetILNS1_3genE5ELNS1_11target_archE942ELNS1_3gpuE9ELNS1_3repE0EEENS1_30default_config_static_selectorELNS0_4arch9wavefront6targetE0EEEvSM_,comdat
.Lfunc_end10:
	.size	_ZN7rocprim17ROCPRIM_400000_NS6detail17trampoline_kernelINS0_14default_configENS1_37merge_sort_block_sort_config_selectorIlNS0_10empty_typeEEEZNS1_21merge_sort_block_sortIS3_PlS8_PS5_S9_ZN2at6native12_GLOBAL__N_124unique_dim_cuda_templateIhEESt5tupleIJNSA_6TensorESF_SF_EERKSF_lbbbEUlllE_EE10hipError_tT0_T1_T2_T3_mRjT4_P12ihipStream_tbNS1_7vsmem_tEEUlT_E_NS1_11comp_targetILNS1_3genE5ELNS1_11target_archE942ELNS1_3gpuE9ELNS1_3repE0EEENS1_30default_config_static_selectorELNS0_4arch9wavefront6targetE0EEEvSM_, .Lfunc_end10-_ZN7rocprim17ROCPRIM_400000_NS6detail17trampoline_kernelINS0_14default_configENS1_37merge_sort_block_sort_config_selectorIlNS0_10empty_typeEEEZNS1_21merge_sort_block_sortIS3_PlS8_PS5_S9_ZN2at6native12_GLOBAL__N_124unique_dim_cuda_templateIhEESt5tupleIJNSA_6TensorESF_SF_EERKSF_lbbbEUlllE_EE10hipError_tT0_T1_T2_T3_mRjT4_P12ihipStream_tbNS1_7vsmem_tEEUlT_E_NS1_11comp_targetILNS1_3genE5ELNS1_11target_archE942ELNS1_3gpuE9ELNS1_3repE0EEENS1_30default_config_static_selectorELNS0_4arch9wavefront6targetE0EEEvSM_
                                        ; -- End function
	.section	.AMDGPU.csdata,"",@progbits
; Kernel info:
; codeLenInByte = 0
; NumSgprs: 0
; NumVgprs: 0
; ScratchSize: 0
; MemoryBound: 0
; FloatMode: 240
; IeeeMode: 1
; LDSByteSize: 0 bytes/workgroup (compile time only)
; SGPRBlocks: 0
; VGPRBlocks: 0
; NumSGPRsForWavesPerEU: 1
; NumVGPRsForWavesPerEU: 1
; Occupancy: 16
; WaveLimiterHint : 0
; COMPUTE_PGM_RSRC2:SCRATCH_EN: 0
; COMPUTE_PGM_RSRC2:USER_SGPR: 15
; COMPUTE_PGM_RSRC2:TRAP_HANDLER: 0
; COMPUTE_PGM_RSRC2:TGID_X_EN: 1
; COMPUTE_PGM_RSRC2:TGID_Y_EN: 0
; COMPUTE_PGM_RSRC2:TGID_Z_EN: 0
; COMPUTE_PGM_RSRC2:TIDIG_COMP_CNT: 0
	.section	.text._ZN7rocprim17ROCPRIM_400000_NS6detail17trampoline_kernelINS0_14default_configENS1_37merge_sort_block_sort_config_selectorIlNS0_10empty_typeEEEZNS1_21merge_sort_block_sortIS3_PlS8_PS5_S9_ZN2at6native12_GLOBAL__N_124unique_dim_cuda_templateIhEESt5tupleIJNSA_6TensorESF_SF_EERKSF_lbbbEUlllE_EE10hipError_tT0_T1_T2_T3_mRjT4_P12ihipStream_tbNS1_7vsmem_tEEUlT_E_NS1_11comp_targetILNS1_3genE4ELNS1_11target_archE910ELNS1_3gpuE8ELNS1_3repE0EEENS1_30default_config_static_selectorELNS0_4arch9wavefront6targetE0EEEvSM_,"axG",@progbits,_ZN7rocprim17ROCPRIM_400000_NS6detail17trampoline_kernelINS0_14default_configENS1_37merge_sort_block_sort_config_selectorIlNS0_10empty_typeEEEZNS1_21merge_sort_block_sortIS3_PlS8_PS5_S9_ZN2at6native12_GLOBAL__N_124unique_dim_cuda_templateIhEESt5tupleIJNSA_6TensorESF_SF_EERKSF_lbbbEUlllE_EE10hipError_tT0_T1_T2_T3_mRjT4_P12ihipStream_tbNS1_7vsmem_tEEUlT_E_NS1_11comp_targetILNS1_3genE4ELNS1_11target_archE910ELNS1_3gpuE8ELNS1_3repE0EEENS1_30default_config_static_selectorELNS0_4arch9wavefront6targetE0EEEvSM_,comdat
	.globl	_ZN7rocprim17ROCPRIM_400000_NS6detail17trampoline_kernelINS0_14default_configENS1_37merge_sort_block_sort_config_selectorIlNS0_10empty_typeEEEZNS1_21merge_sort_block_sortIS3_PlS8_PS5_S9_ZN2at6native12_GLOBAL__N_124unique_dim_cuda_templateIhEESt5tupleIJNSA_6TensorESF_SF_EERKSF_lbbbEUlllE_EE10hipError_tT0_T1_T2_T3_mRjT4_P12ihipStream_tbNS1_7vsmem_tEEUlT_E_NS1_11comp_targetILNS1_3genE4ELNS1_11target_archE910ELNS1_3gpuE8ELNS1_3repE0EEENS1_30default_config_static_selectorELNS0_4arch9wavefront6targetE0EEEvSM_ ; -- Begin function _ZN7rocprim17ROCPRIM_400000_NS6detail17trampoline_kernelINS0_14default_configENS1_37merge_sort_block_sort_config_selectorIlNS0_10empty_typeEEEZNS1_21merge_sort_block_sortIS3_PlS8_PS5_S9_ZN2at6native12_GLOBAL__N_124unique_dim_cuda_templateIhEESt5tupleIJNSA_6TensorESF_SF_EERKSF_lbbbEUlllE_EE10hipError_tT0_T1_T2_T3_mRjT4_P12ihipStream_tbNS1_7vsmem_tEEUlT_E_NS1_11comp_targetILNS1_3genE4ELNS1_11target_archE910ELNS1_3gpuE8ELNS1_3repE0EEENS1_30default_config_static_selectorELNS0_4arch9wavefront6targetE0EEEvSM_
	.p2align	8
	.type	_ZN7rocprim17ROCPRIM_400000_NS6detail17trampoline_kernelINS0_14default_configENS1_37merge_sort_block_sort_config_selectorIlNS0_10empty_typeEEEZNS1_21merge_sort_block_sortIS3_PlS8_PS5_S9_ZN2at6native12_GLOBAL__N_124unique_dim_cuda_templateIhEESt5tupleIJNSA_6TensorESF_SF_EERKSF_lbbbEUlllE_EE10hipError_tT0_T1_T2_T3_mRjT4_P12ihipStream_tbNS1_7vsmem_tEEUlT_E_NS1_11comp_targetILNS1_3genE4ELNS1_11target_archE910ELNS1_3gpuE8ELNS1_3repE0EEENS1_30default_config_static_selectorELNS0_4arch9wavefront6targetE0EEEvSM_,@function
_ZN7rocprim17ROCPRIM_400000_NS6detail17trampoline_kernelINS0_14default_configENS1_37merge_sort_block_sort_config_selectorIlNS0_10empty_typeEEEZNS1_21merge_sort_block_sortIS3_PlS8_PS5_S9_ZN2at6native12_GLOBAL__N_124unique_dim_cuda_templateIhEESt5tupleIJNSA_6TensorESF_SF_EERKSF_lbbbEUlllE_EE10hipError_tT0_T1_T2_T3_mRjT4_P12ihipStream_tbNS1_7vsmem_tEEUlT_E_NS1_11comp_targetILNS1_3genE4ELNS1_11target_archE910ELNS1_3gpuE8ELNS1_3repE0EEENS1_30default_config_static_selectorELNS0_4arch9wavefront6targetE0EEEvSM_: ; @_ZN7rocprim17ROCPRIM_400000_NS6detail17trampoline_kernelINS0_14default_configENS1_37merge_sort_block_sort_config_selectorIlNS0_10empty_typeEEEZNS1_21merge_sort_block_sortIS3_PlS8_PS5_S9_ZN2at6native12_GLOBAL__N_124unique_dim_cuda_templateIhEESt5tupleIJNSA_6TensorESF_SF_EERKSF_lbbbEUlllE_EE10hipError_tT0_T1_T2_T3_mRjT4_P12ihipStream_tbNS1_7vsmem_tEEUlT_E_NS1_11comp_targetILNS1_3genE4ELNS1_11target_archE910ELNS1_3gpuE8ELNS1_3repE0EEENS1_30default_config_static_selectorELNS0_4arch9wavefront6targetE0EEEvSM_
; %bb.0:
	.section	.rodata,"a",@progbits
	.p2align	6, 0x0
	.amdhsa_kernel _ZN7rocprim17ROCPRIM_400000_NS6detail17trampoline_kernelINS0_14default_configENS1_37merge_sort_block_sort_config_selectorIlNS0_10empty_typeEEEZNS1_21merge_sort_block_sortIS3_PlS8_PS5_S9_ZN2at6native12_GLOBAL__N_124unique_dim_cuda_templateIhEESt5tupleIJNSA_6TensorESF_SF_EERKSF_lbbbEUlllE_EE10hipError_tT0_T1_T2_T3_mRjT4_P12ihipStream_tbNS1_7vsmem_tEEUlT_E_NS1_11comp_targetILNS1_3genE4ELNS1_11target_archE910ELNS1_3gpuE8ELNS1_3repE0EEENS1_30default_config_static_selectorELNS0_4arch9wavefront6targetE0EEEvSM_
		.amdhsa_group_segment_fixed_size 0
		.amdhsa_private_segment_fixed_size 0
		.amdhsa_kernarg_size 72
		.amdhsa_user_sgpr_count 15
		.amdhsa_user_sgpr_dispatch_ptr 0
		.amdhsa_user_sgpr_queue_ptr 0
		.amdhsa_user_sgpr_kernarg_segment_ptr 1
		.amdhsa_user_sgpr_dispatch_id 0
		.amdhsa_user_sgpr_private_segment_size 0
		.amdhsa_wavefront_size32 1
		.amdhsa_uses_dynamic_stack 0
		.amdhsa_enable_private_segment 0
		.amdhsa_system_sgpr_workgroup_id_x 1
		.amdhsa_system_sgpr_workgroup_id_y 0
		.amdhsa_system_sgpr_workgroup_id_z 0
		.amdhsa_system_sgpr_workgroup_info 0
		.amdhsa_system_vgpr_workitem_id 0
		.amdhsa_next_free_vgpr 1
		.amdhsa_next_free_sgpr 1
		.amdhsa_reserve_vcc 0
		.amdhsa_float_round_mode_32 0
		.amdhsa_float_round_mode_16_64 0
		.amdhsa_float_denorm_mode_32 3
		.amdhsa_float_denorm_mode_16_64 3
		.amdhsa_dx10_clamp 1
		.amdhsa_ieee_mode 1
		.amdhsa_fp16_overflow 0
		.amdhsa_workgroup_processor_mode 1
		.amdhsa_memory_ordered 1
		.amdhsa_forward_progress 0
		.amdhsa_shared_vgpr_count 0
		.amdhsa_exception_fp_ieee_invalid_op 0
		.amdhsa_exception_fp_denorm_src 0
		.amdhsa_exception_fp_ieee_div_zero 0
		.amdhsa_exception_fp_ieee_overflow 0
		.amdhsa_exception_fp_ieee_underflow 0
		.amdhsa_exception_fp_ieee_inexact 0
		.amdhsa_exception_int_div_zero 0
	.end_amdhsa_kernel
	.section	.text._ZN7rocprim17ROCPRIM_400000_NS6detail17trampoline_kernelINS0_14default_configENS1_37merge_sort_block_sort_config_selectorIlNS0_10empty_typeEEEZNS1_21merge_sort_block_sortIS3_PlS8_PS5_S9_ZN2at6native12_GLOBAL__N_124unique_dim_cuda_templateIhEESt5tupleIJNSA_6TensorESF_SF_EERKSF_lbbbEUlllE_EE10hipError_tT0_T1_T2_T3_mRjT4_P12ihipStream_tbNS1_7vsmem_tEEUlT_E_NS1_11comp_targetILNS1_3genE4ELNS1_11target_archE910ELNS1_3gpuE8ELNS1_3repE0EEENS1_30default_config_static_selectorELNS0_4arch9wavefront6targetE0EEEvSM_,"axG",@progbits,_ZN7rocprim17ROCPRIM_400000_NS6detail17trampoline_kernelINS0_14default_configENS1_37merge_sort_block_sort_config_selectorIlNS0_10empty_typeEEEZNS1_21merge_sort_block_sortIS3_PlS8_PS5_S9_ZN2at6native12_GLOBAL__N_124unique_dim_cuda_templateIhEESt5tupleIJNSA_6TensorESF_SF_EERKSF_lbbbEUlllE_EE10hipError_tT0_T1_T2_T3_mRjT4_P12ihipStream_tbNS1_7vsmem_tEEUlT_E_NS1_11comp_targetILNS1_3genE4ELNS1_11target_archE910ELNS1_3gpuE8ELNS1_3repE0EEENS1_30default_config_static_selectorELNS0_4arch9wavefront6targetE0EEEvSM_,comdat
.Lfunc_end11:
	.size	_ZN7rocprim17ROCPRIM_400000_NS6detail17trampoline_kernelINS0_14default_configENS1_37merge_sort_block_sort_config_selectorIlNS0_10empty_typeEEEZNS1_21merge_sort_block_sortIS3_PlS8_PS5_S9_ZN2at6native12_GLOBAL__N_124unique_dim_cuda_templateIhEESt5tupleIJNSA_6TensorESF_SF_EERKSF_lbbbEUlllE_EE10hipError_tT0_T1_T2_T3_mRjT4_P12ihipStream_tbNS1_7vsmem_tEEUlT_E_NS1_11comp_targetILNS1_3genE4ELNS1_11target_archE910ELNS1_3gpuE8ELNS1_3repE0EEENS1_30default_config_static_selectorELNS0_4arch9wavefront6targetE0EEEvSM_, .Lfunc_end11-_ZN7rocprim17ROCPRIM_400000_NS6detail17trampoline_kernelINS0_14default_configENS1_37merge_sort_block_sort_config_selectorIlNS0_10empty_typeEEEZNS1_21merge_sort_block_sortIS3_PlS8_PS5_S9_ZN2at6native12_GLOBAL__N_124unique_dim_cuda_templateIhEESt5tupleIJNSA_6TensorESF_SF_EERKSF_lbbbEUlllE_EE10hipError_tT0_T1_T2_T3_mRjT4_P12ihipStream_tbNS1_7vsmem_tEEUlT_E_NS1_11comp_targetILNS1_3genE4ELNS1_11target_archE910ELNS1_3gpuE8ELNS1_3repE0EEENS1_30default_config_static_selectorELNS0_4arch9wavefront6targetE0EEEvSM_
                                        ; -- End function
	.section	.AMDGPU.csdata,"",@progbits
; Kernel info:
; codeLenInByte = 0
; NumSgprs: 0
; NumVgprs: 0
; ScratchSize: 0
; MemoryBound: 0
; FloatMode: 240
; IeeeMode: 1
; LDSByteSize: 0 bytes/workgroup (compile time only)
; SGPRBlocks: 0
; VGPRBlocks: 0
; NumSGPRsForWavesPerEU: 1
; NumVGPRsForWavesPerEU: 1
; Occupancy: 16
; WaveLimiterHint : 0
; COMPUTE_PGM_RSRC2:SCRATCH_EN: 0
; COMPUTE_PGM_RSRC2:USER_SGPR: 15
; COMPUTE_PGM_RSRC2:TRAP_HANDLER: 0
; COMPUTE_PGM_RSRC2:TGID_X_EN: 1
; COMPUTE_PGM_RSRC2:TGID_Y_EN: 0
; COMPUTE_PGM_RSRC2:TGID_Z_EN: 0
; COMPUTE_PGM_RSRC2:TIDIG_COMP_CNT: 0
	.section	.text._ZN7rocprim17ROCPRIM_400000_NS6detail17trampoline_kernelINS0_14default_configENS1_37merge_sort_block_sort_config_selectorIlNS0_10empty_typeEEEZNS1_21merge_sort_block_sortIS3_PlS8_PS5_S9_ZN2at6native12_GLOBAL__N_124unique_dim_cuda_templateIhEESt5tupleIJNSA_6TensorESF_SF_EERKSF_lbbbEUlllE_EE10hipError_tT0_T1_T2_T3_mRjT4_P12ihipStream_tbNS1_7vsmem_tEEUlT_E_NS1_11comp_targetILNS1_3genE3ELNS1_11target_archE908ELNS1_3gpuE7ELNS1_3repE0EEENS1_30default_config_static_selectorELNS0_4arch9wavefront6targetE0EEEvSM_,"axG",@progbits,_ZN7rocprim17ROCPRIM_400000_NS6detail17trampoline_kernelINS0_14default_configENS1_37merge_sort_block_sort_config_selectorIlNS0_10empty_typeEEEZNS1_21merge_sort_block_sortIS3_PlS8_PS5_S9_ZN2at6native12_GLOBAL__N_124unique_dim_cuda_templateIhEESt5tupleIJNSA_6TensorESF_SF_EERKSF_lbbbEUlllE_EE10hipError_tT0_T1_T2_T3_mRjT4_P12ihipStream_tbNS1_7vsmem_tEEUlT_E_NS1_11comp_targetILNS1_3genE3ELNS1_11target_archE908ELNS1_3gpuE7ELNS1_3repE0EEENS1_30default_config_static_selectorELNS0_4arch9wavefront6targetE0EEEvSM_,comdat
	.globl	_ZN7rocprim17ROCPRIM_400000_NS6detail17trampoline_kernelINS0_14default_configENS1_37merge_sort_block_sort_config_selectorIlNS0_10empty_typeEEEZNS1_21merge_sort_block_sortIS3_PlS8_PS5_S9_ZN2at6native12_GLOBAL__N_124unique_dim_cuda_templateIhEESt5tupleIJNSA_6TensorESF_SF_EERKSF_lbbbEUlllE_EE10hipError_tT0_T1_T2_T3_mRjT4_P12ihipStream_tbNS1_7vsmem_tEEUlT_E_NS1_11comp_targetILNS1_3genE3ELNS1_11target_archE908ELNS1_3gpuE7ELNS1_3repE0EEENS1_30default_config_static_selectorELNS0_4arch9wavefront6targetE0EEEvSM_ ; -- Begin function _ZN7rocprim17ROCPRIM_400000_NS6detail17trampoline_kernelINS0_14default_configENS1_37merge_sort_block_sort_config_selectorIlNS0_10empty_typeEEEZNS1_21merge_sort_block_sortIS3_PlS8_PS5_S9_ZN2at6native12_GLOBAL__N_124unique_dim_cuda_templateIhEESt5tupleIJNSA_6TensorESF_SF_EERKSF_lbbbEUlllE_EE10hipError_tT0_T1_T2_T3_mRjT4_P12ihipStream_tbNS1_7vsmem_tEEUlT_E_NS1_11comp_targetILNS1_3genE3ELNS1_11target_archE908ELNS1_3gpuE7ELNS1_3repE0EEENS1_30default_config_static_selectorELNS0_4arch9wavefront6targetE0EEEvSM_
	.p2align	8
	.type	_ZN7rocprim17ROCPRIM_400000_NS6detail17trampoline_kernelINS0_14default_configENS1_37merge_sort_block_sort_config_selectorIlNS0_10empty_typeEEEZNS1_21merge_sort_block_sortIS3_PlS8_PS5_S9_ZN2at6native12_GLOBAL__N_124unique_dim_cuda_templateIhEESt5tupleIJNSA_6TensorESF_SF_EERKSF_lbbbEUlllE_EE10hipError_tT0_T1_T2_T3_mRjT4_P12ihipStream_tbNS1_7vsmem_tEEUlT_E_NS1_11comp_targetILNS1_3genE3ELNS1_11target_archE908ELNS1_3gpuE7ELNS1_3repE0EEENS1_30default_config_static_selectorELNS0_4arch9wavefront6targetE0EEEvSM_,@function
_ZN7rocprim17ROCPRIM_400000_NS6detail17trampoline_kernelINS0_14default_configENS1_37merge_sort_block_sort_config_selectorIlNS0_10empty_typeEEEZNS1_21merge_sort_block_sortIS3_PlS8_PS5_S9_ZN2at6native12_GLOBAL__N_124unique_dim_cuda_templateIhEESt5tupleIJNSA_6TensorESF_SF_EERKSF_lbbbEUlllE_EE10hipError_tT0_T1_T2_T3_mRjT4_P12ihipStream_tbNS1_7vsmem_tEEUlT_E_NS1_11comp_targetILNS1_3genE3ELNS1_11target_archE908ELNS1_3gpuE7ELNS1_3repE0EEENS1_30default_config_static_selectorELNS0_4arch9wavefront6targetE0EEEvSM_: ; @_ZN7rocprim17ROCPRIM_400000_NS6detail17trampoline_kernelINS0_14default_configENS1_37merge_sort_block_sort_config_selectorIlNS0_10empty_typeEEEZNS1_21merge_sort_block_sortIS3_PlS8_PS5_S9_ZN2at6native12_GLOBAL__N_124unique_dim_cuda_templateIhEESt5tupleIJNSA_6TensorESF_SF_EERKSF_lbbbEUlllE_EE10hipError_tT0_T1_T2_T3_mRjT4_P12ihipStream_tbNS1_7vsmem_tEEUlT_E_NS1_11comp_targetILNS1_3genE3ELNS1_11target_archE908ELNS1_3gpuE7ELNS1_3repE0EEENS1_30default_config_static_selectorELNS0_4arch9wavefront6targetE0EEEvSM_
; %bb.0:
	.section	.rodata,"a",@progbits
	.p2align	6, 0x0
	.amdhsa_kernel _ZN7rocprim17ROCPRIM_400000_NS6detail17trampoline_kernelINS0_14default_configENS1_37merge_sort_block_sort_config_selectorIlNS0_10empty_typeEEEZNS1_21merge_sort_block_sortIS3_PlS8_PS5_S9_ZN2at6native12_GLOBAL__N_124unique_dim_cuda_templateIhEESt5tupleIJNSA_6TensorESF_SF_EERKSF_lbbbEUlllE_EE10hipError_tT0_T1_T2_T3_mRjT4_P12ihipStream_tbNS1_7vsmem_tEEUlT_E_NS1_11comp_targetILNS1_3genE3ELNS1_11target_archE908ELNS1_3gpuE7ELNS1_3repE0EEENS1_30default_config_static_selectorELNS0_4arch9wavefront6targetE0EEEvSM_
		.amdhsa_group_segment_fixed_size 0
		.amdhsa_private_segment_fixed_size 0
		.amdhsa_kernarg_size 72
		.amdhsa_user_sgpr_count 15
		.amdhsa_user_sgpr_dispatch_ptr 0
		.amdhsa_user_sgpr_queue_ptr 0
		.amdhsa_user_sgpr_kernarg_segment_ptr 1
		.amdhsa_user_sgpr_dispatch_id 0
		.amdhsa_user_sgpr_private_segment_size 0
		.amdhsa_wavefront_size32 1
		.amdhsa_uses_dynamic_stack 0
		.amdhsa_enable_private_segment 0
		.amdhsa_system_sgpr_workgroup_id_x 1
		.amdhsa_system_sgpr_workgroup_id_y 0
		.amdhsa_system_sgpr_workgroup_id_z 0
		.amdhsa_system_sgpr_workgroup_info 0
		.amdhsa_system_vgpr_workitem_id 0
		.amdhsa_next_free_vgpr 1
		.amdhsa_next_free_sgpr 1
		.amdhsa_reserve_vcc 0
		.amdhsa_float_round_mode_32 0
		.amdhsa_float_round_mode_16_64 0
		.amdhsa_float_denorm_mode_32 3
		.amdhsa_float_denorm_mode_16_64 3
		.amdhsa_dx10_clamp 1
		.amdhsa_ieee_mode 1
		.amdhsa_fp16_overflow 0
		.amdhsa_workgroup_processor_mode 1
		.amdhsa_memory_ordered 1
		.amdhsa_forward_progress 0
		.amdhsa_shared_vgpr_count 0
		.amdhsa_exception_fp_ieee_invalid_op 0
		.amdhsa_exception_fp_denorm_src 0
		.amdhsa_exception_fp_ieee_div_zero 0
		.amdhsa_exception_fp_ieee_overflow 0
		.amdhsa_exception_fp_ieee_underflow 0
		.amdhsa_exception_fp_ieee_inexact 0
		.amdhsa_exception_int_div_zero 0
	.end_amdhsa_kernel
	.section	.text._ZN7rocprim17ROCPRIM_400000_NS6detail17trampoline_kernelINS0_14default_configENS1_37merge_sort_block_sort_config_selectorIlNS0_10empty_typeEEEZNS1_21merge_sort_block_sortIS3_PlS8_PS5_S9_ZN2at6native12_GLOBAL__N_124unique_dim_cuda_templateIhEESt5tupleIJNSA_6TensorESF_SF_EERKSF_lbbbEUlllE_EE10hipError_tT0_T1_T2_T3_mRjT4_P12ihipStream_tbNS1_7vsmem_tEEUlT_E_NS1_11comp_targetILNS1_3genE3ELNS1_11target_archE908ELNS1_3gpuE7ELNS1_3repE0EEENS1_30default_config_static_selectorELNS0_4arch9wavefront6targetE0EEEvSM_,"axG",@progbits,_ZN7rocprim17ROCPRIM_400000_NS6detail17trampoline_kernelINS0_14default_configENS1_37merge_sort_block_sort_config_selectorIlNS0_10empty_typeEEEZNS1_21merge_sort_block_sortIS3_PlS8_PS5_S9_ZN2at6native12_GLOBAL__N_124unique_dim_cuda_templateIhEESt5tupleIJNSA_6TensorESF_SF_EERKSF_lbbbEUlllE_EE10hipError_tT0_T1_T2_T3_mRjT4_P12ihipStream_tbNS1_7vsmem_tEEUlT_E_NS1_11comp_targetILNS1_3genE3ELNS1_11target_archE908ELNS1_3gpuE7ELNS1_3repE0EEENS1_30default_config_static_selectorELNS0_4arch9wavefront6targetE0EEEvSM_,comdat
.Lfunc_end12:
	.size	_ZN7rocprim17ROCPRIM_400000_NS6detail17trampoline_kernelINS0_14default_configENS1_37merge_sort_block_sort_config_selectorIlNS0_10empty_typeEEEZNS1_21merge_sort_block_sortIS3_PlS8_PS5_S9_ZN2at6native12_GLOBAL__N_124unique_dim_cuda_templateIhEESt5tupleIJNSA_6TensorESF_SF_EERKSF_lbbbEUlllE_EE10hipError_tT0_T1_T2_T3_mRjT4_P12ihipStream_tbNS1_7vsmem_tEEUlT_E_NS1_11comp_targetILNS1_3genE3ELNS1_11target_archE908ELNS1_3gpuE7ELNS1_3repE0EEENS1_30default_config_static_selectorELNS0_4arch9wavefront6targetE0EEEvSM_, .Lfunc_end12-_ZN7rocprim17ROCPRIM_400000_NS6detail17trampoline_kernelINS0_14default_configENS1_37merge_sort_block_sort_config_selectorIlNS0_10empty_typeEEEZNS1_21merge_sort_block_sortIS3_PlS8_PS5_S9_ZN2at6native12_GLOBAL__N_124unique_dim_cuda_templateIhEESt5tupleIJNSA_6TensorESF_SF_EERKSF_lbbbEUlllE_EE10hipError_tT0_T1_T2_T3_mRjT4_P12ihipStream_tbNS1_7vsmem_tEEUlT_E_NS1_11comp_targetILNS1_3genE3ELNS1_11target_archE908ELNS1_3gpuE7ELNS1_3repE0EEENS1_30default_config_static_selectorELNS0_4arch9wavefront6targetE0EEEvSM_
                                        ; -- End function
	.section	.AMDGPU.csdata,"",@progbits
; Kernel info:
; codeLenInByte = 0
; NumSgprs: 0
; NumVgprs: 0
; ScratchSize: 0
; MemoryBound: 0
; FloatMode: 240
; IeeeMode: 1
; LDSByteSize: 0 bytes/workgroup (compile time only)
; SGPRBlocks: 0
; VGPRBlocks: 0
; NumSGPRsForWavesPerEU: 1
; NumVGPRsForWavesPerEU: 1
; Occupancy: 16
; WaveLimiterHint : 0
; COMPUTE_PGM_RSRC2:SCRATCH_EN: 0
; COMPUTE_PGM_RSRC2:USER_SGPR: 15
; COMPUTE_PGM_RSRC2:TRAP_HANDLER: 0
; COMPUTE_PGM_RSRC2:TGID_X_EN: 1
; COMPUTE_PGM_RSRC2:TGID_Y_EN: 0
; COMPUTE_PGM_RSRC2:TGID_Z_EN: 0
; COMPUTE_PGM_RSRC2:TIDIG_COMP_CNT: 0
	.section	.text._ZN7rocprim17ROCPRIM_400000_NS6detail17trampoline_kernelINS0_14default_configENS1_37merge_sort_block_sort_config_selectorIlNS0_10empty_typeEEEZNS1_21merge_sort_block_sortIS3_PlS8_PS5_S9_ZN2at6native12_GLOBAL__N_124unique_dim_cuda_templateIhEESt5tupleIJNSA_6TensorESF_SF_EERKSF_lbbbEUlllE_EE10hipError_tT0_T1_T2_T3_mRjT4_P12ihipStream_tbNS1_7vsmem_tEEUlT_E_NS1_11comp_targetILNS1_3genE2ELNS1_11target_archE906ELNS1_3gpuE6ELNS1_3repE0EEENS1_30default_config_static_selectorELNS0_4arch9wavefront6targetE0EEEvSM_,"axG",@progbits,_ZN7rocprim17ROCPRIM_400000_NS6detail17trampoline_kernelINS0_14default_configENS1_37merge_sort_block_sort_config_selectorIlNS0_10empty_typeEEEZNS1_21merge_sort_block_sortIS3_PlS8_PS5_S9_ZN2at6native12_GLOBAL__N_124unique_dim_cuda_templateIhEESt5tupleIJNSA_6TensorESF_SF_EERKSF_lbbbEUlllE_EE10hipError_tT0_T1_T2_T3_mRjT4_P12ihipStream_tbNS1_7vsmem_tEEUlT_E_NS1_11comp_targetILNS1_3genE2ELNS1_11target_archE906ELNS1_3gpuE6ELNS1_3repE0EEENS1_30default_config_static_selectorELNS0_4arch9wavefront6targetE0EEEvSM_,comdat
	.globl	_ZN7rocprim17ROCPRIM_400000_NS6detail17trampoline_kernelINS0_14default_configENS1_37merge_sort_block_sort_config_selectorIlNS0_10empty_typeEEEZNS1_21merge_sort_block_sortIS3_PlS8_PS5_S9_ZN2at6native12_GLOBAL__N_124unique_dim_cuda_templateIhEESt5tupleIJNSA_6TensorESF_SF_EERKSF_lbbbEUlllE_EE10hipError_tT0_T1_T2_T3_mRjT4_P12ihipStream_tbNS1_7vsmem_tEEUlT_E_NS1_11comp_targetILNS1_3genE2ELNS1_11target_archE906ELNS1_3gpuE6ELNS1_3repE0EEENS1_30default_config_static_selectorELNS0_4arch9wavefront6targetE0EEEvSM_ ; -- Begin function _ZN7rocprim17ROCPRIM_400000_NS6detail17trampoline_kernelINS0_14default_configENS1_37merge_sort_block_sort_config_selectorIlNS0_10empty_typeEEEZNS1_21merge_sort_block_sortIS3_PlS8_PS5_S9_ZN2at6native12_GLOBAL__N_124unique_dim_cuda_templateIhEESt5tupleIJNSA_6TensorESF_SF_EERKSF_lbbbEUlllE_EE10hipError_tT0_T1_T2_T3_mRjT4_P12ihipStream_tbNS1_7vsmem_tEEUlT_E_NS1_11comp_targetILNS1_3genE2ELNS1_11target_archE906ELNS1_3gpuE6ELNS1_3repE0EEENS1_30default_config_static_selectorELNS0_4arch9wavefront6targetE0EEEvSM_
	.p2align	8
	.type	_ZN7rocprim17ROCPRIM_400000_NS6detail17trampoline_kernelINS0_14default_configENS1_37merge_sort_block_sort_config_selectorIlNS0_10empty_typeEEEZNS1_21merge_sort_block_sortIS3_PlS8_PS5_S9_ZN2at6native12_GLOBAL__N_124unique_dim_cuda_templateIhEESt5tupleIJNSA_6TensorESF_SF_EERKSF_lbbbEUlllE_EE10hipError_tT0_T1_T2_T3_mRjT4_P12ihipStream_tbNS1_7vsmem_tEEUlT_E_NS1_11comp_targetILNS1_3genE2ELNS1_11target_archE906ELNS1_3gpuE6ELNS1_3repE0EEENS1_30default_config_static_selectorELNS0_4arch9wavefront6targetE0EEEvSM_,@function
_ZN7rocprim17ROCPRIM_400000_NS6detail17trampoline_kernelINS0_14default_configENS1_37merge_sort_block_sort_config_selectorIlNS0_10empty_typeEEEZNS1_21merge_sort_block_sortIS3_PlS8_PS5_S9_ZN2at6native12_GLOBAL__N_124unique_dim_cuda_templateIhEESt5tupleIJNSA_6TensorESF_SF_EERKSF_lbbbEUlllE_EE10hipError_tT0_T1_T2_T3_mRjT4_P12ihipStream_tbNS1_7vsmem_tEEUlT_E_NS1_11comp_targetILNS1_3genE2ELNS1_11target_archE906ELNS1_3gpuE6ELNS1_3repE0EEENS1_30default_config_static_selectorELNS0_4arch9wavefront6targetE0EEEvSM_: ; @_ZN7rocprim17ROCPRIM_400000_NS6detail17trampoline_kernelINS0_14default_configENS1_37merge_sort_block_sort_config_selectorIlNS0_10empty_typeEEEZNS1_21merge_sort_block_sortIS3_PlS8_PS5_S9_ZN2at6native12_GLOBAL__N_124unique_dim_cuda_templateIhEESt5tupleIJNSA_6TensorESF_SF_EERKSF_lbbbEUlllE_EE10hipError_tT0_T1_T2_T3_mRjT4_P12ihipStream_tbNS1_7vsmem_tEEUlT_E_NS1_11comp_targetILNS1_3genE2ELNS1_11target_archE906ELNS1_3gpuE6ELNS1_3repE0EEENS1_30default_config_static_selectorELNS0_4arch9wavefront6targetE0EEEvSM_
; %bb.0:
	.section	.rodata,"a",@progbits
	.p2align	6, 0x0
	.amdhsa_kernel _ZN7rocprim17ROCPRIM_400000_NS6detail17trampoline_kernelINS0_14default_configENS1_37merge_sort_block_sort_config_selectorIlNS0_10empty_typeEEEZNS1_21merge_sort_block_sortIS3_PlS8_PS5_S9_ZN2at6native12_GLOBAL__N_124unique_dim_cuda_templateIhEESt5tupleIJNSA_6TensorESF_SF_EERKSF_lbbbEUlllE_EE10hipError_tT0_T1_T2_T3_mRjT4_P12ihipStream_tbNS1_7vsmem_tEEUlT_E_NS1_11comp_targetILNS1_3genE2ELNS1_11target_archE906ELNS1_3gpuE6ELNS1_3repE0EEENS1_30default_config_static_selectorELNS0_4arch9wavefront6targetE0EEEvSM_
		.amdhsa_group_segment_fixed_size 0
		.amdhsa_private_segment_fixed_size 0
		.amdhsa_kernarg_size 72
		.amdhsa_user_sgpr_count 15
		.amdhsa_user_sgpr_dispatch_ptr 0
		.amdhsa_user_sgpr_queue_ptr 0
		.amdhsa_user_sgpr_kernarg_segment_ptr 1
		.amdhsa_user_sgpr_dispatch_id 0
		.amdhsa_user_sgpr_private_segment_size 0
		.amdhsa_wavefront_size32 1
		.amdhsa_uses_dynamic_stack 0
		.amdhsa_enable_private_segment 0
		.amdhsa_system_sgpr_workgroup_id_x 1
		.amdhsa_system_sgpr_workgroup_id_y 0
		.amdhsa_system_sgpr_workgroup_id_z 0
		.amdhsa_system_sgpr_workgroup_info 0
		.amdhsa_system_vgpr_workitem_id 0
		.amdhsa_next_free_vgpr 1
		.amdhsa_next_free_sgpr 1
		.amdhsa_reserve_vcc 0
		.amdhsa_float_round_mode_32 0
		.amdhsa_float_round_mode_16_64 0
		.amdhsa_float_denorm_mode_32 3
		.amdhsa_float_denorm_mode_16_64 3
		.amdhsa_dx10_clamp 1
		.amdhsa_ieee_mode 1
		.amdhsa_fp16_overflow 0
		.amdhsa_workgroup_processor_mode 1
		.amdhsa_memory_ordered 1
		.amdhsa_forward_progress 0
		.amdhsa_shared_vgpr_count 0
		.amdhsa_exception_fp_ieee_invalid_op 0
		.amdhsa_exception_fp_denorm_src 0
		.amdhsa_exception_fp_ieee_div_zero 0
		.amdhsa_exception_fp_ieee_overflow 0
		.amdhsa_exception_fp_ieee_underflow 0
		.amdhsa_exception_fp_ieee_inexact 0
		.amdhsa_exception_int_div_zero 0
	.end_amdhsa_kernel
	.section	.text._ZN7rocprim17ROCPRIM_400000_NS6detail17trampoline_kernelINS0_14default_configENS1_37merge_sort_block_sort_config_selectorIlNS0_10empty_typeEEEZNS1_21merge_sort_block_sortIS3_PlS8_PS5_S9_ZN2at6native12_GLOBAL__N_124unique_dim_cuda_templateIhEESt5tupleIJNSA_6TensorESF_SF_EERKSF_lbbbEUlllE_EE10hipError_tT0_T1_T2_T3_mRjT4_P12ihipStream_tbNS1_7vsmem_tEEUlT_E_NS1_11comp_targetILNS1_3genE2ELNS1_11target_archE906ELNS1_3gpuE6ELNS1_3repE0EEENS1_30default_config_static_selectorELNS0_4arch9wavefront6targetE0EEEvSM_,"axG",@progbits,_ZN7rocprim17ROCPRIM_400000_NS6detail17trampoline_kernelINS0_14default_configENS1_37merge_sort_block_sort_config_selectorIlNS0_10empty_typeEEEZNS1_21merge_sort_block_sortIS3_PlS8_PS5_S9_ZN2at6native12_GLOBAL__N_124unique_dim_cuda_templateIhEESt5tupleIJNSA_6TensorESF_SF_EERKSF_lbbbEUlllE_EE10hipError_tT0_T1_T2_T3_mRjT4_P12ihipStream_tbNS1_7vsmem_tEEUlT_E_NS1_11comp_targetILNS1_3genE2ELNS1_11target_archE906ELNS1_3gpuE6ELNS1_3repE0EEENS1_30default_config_static_selectorELNS0_4arch9wavefront6targetE0EEEvSM_,comdat
.Lfunc_end13:
	.size	_ZN7rocprim17ROCPRIM_400000_NS6detail17trampoline_kernelINS0_14default_configENS1_37merge_sort_block_sort_config_selectorIlNS0_10empty_typeEEEZNS1_21merge_sort_block_sortIS3_PlS8_PS5_S9_ZN2at6native12_GLOBAL__N_124unique_dim_cuda_templateIhEESt5tupleIJNSA_6TensorESF_SF_EERKSF_lbbbEUlllE_EE10hipError_tT0_T1_T2_T3_mRjT4_P12ihipStream_tbNS1_7vsmem_tEEUlT_E_NS1_11comp_targetILNS1_3genE2ELNS1_11target_archE906ELNS1_3gpuE6ELNS1_3repE0EEENS1_30default_config_static_selectorELNS0_4arch9wavefront6targetE0EEEvSM_, .Lfunc_end13-_ZN7rocprim17ROCPRIM_400000_NS6detail17trampoline_kernelINS0_14default_configENS1_37merge_sort_block_sort_config_selectorIlNS0_10empty_typeEEEZNS1_21merge_sort_block_sortIS3_PlS8_PS5_S9_ZN2at6native12_GLOBAL__N_124unique_dim_cuda_templateIhEESt5tupleIJNSA_6TensorESF_SF_EERKSF_lbbbEUlllE_EE10hipError_tT0_T1_T2_T3_mRjT4_P12ihipStream_tbNS1_7vsmem_tEEUlT_E_NS1_11comp_targetILNS1_3genE2ELNS1_11target_archE906ELNS1_3gpuE6ELNS1_3repE0EEENS1_30default_config_static_selectorELNS0_4arch9wavefront6targetE0EEEvSM_
                                        ; -- End function
	.section	.AMDGPU.csdata,"",@progbits
; Kernel info:
; codeLenInByte = 0
; NumSgprs: 0
; NumVgprs: 0
; ScratchSize: 0
; MemoryBound: 0
; FloatMode: 240
; IeeeMode: 1
; LDSByteSize: 0 bytes/workgroup (compile time only)
; SGPRBlocks: 0
; VGPRBlocks: 0
; NumSGPRsForWavesPerEU: 1
; NumVGPRsForWavesPerEU: 1
; Occupancy: 16
; WaveLimiterHint : 0
; COMPUTE_PGM_RSRC2:SCRATCH_EN: 0
; COMPUTE_PGM_RSRC2:USER_SGPR: 15
; COMPUTE_PGM_RSRC2:TRAP_HANDLER: 0
; COMPUTE_PGM_RSRC2:TGID_X_EN: 1
; COMPUTE_PGM_RSRC2:TGID_Y_EN: 0
; COMPUTE_PGM_RSRC2:TGID_Z_EN: 0
; COMPUTE_PGM_RSRC2:TIDIG_COMP_CNT: 0
	.section	.text._ZN7rocprim17ROCPRIM_400000_NS6detail17trampoline_kernelINS0_14default_configENS1_37merge_sort_block_sort_config_selectorIlNS0_10empty_typeEEEZNS1_21merge_sort_block_sortIS3_PlS8_PS5_S9_ZN2at6native12_GLOBAL__N_124unique_dim_cuda_templateIhEESt5tupleIJNSA_6TensorESF_SF_EERKSF_lbbbEUlllE_EE10hipError_tT0_T1_T2_T3_mRjT4_P12ihipStream_tbNS1_7vsmem_tEEUlT_E_NS1_11comp_targetILNS1_3genE10ELNS1_11target_archE1201ELNS1_3gpuE5ELNS1_3repE0EEENS1_30default_config_static_selectorELNS0_4arch9wavefront6targetE0EEEvSM_,"axG",@progbits,_ZN7rocprim17ROCPRIM_400000_NS6detail17trampoline_kernelINS0_14default_configENS1_37merge_sort_block_sort_config_selectorIlNS0_10empty_typeEEEZNS1_21merge_sort_block_sortIS3_PlS8_PS5_S9_ZN2at6native12_GLOBAL__N_124unique_dim_cuda_templateIhEESt5tupleIJNSA_6TensorESF_SF_EERKSF_lbbbEUlllE_EE10hipError_tT0_T1_T2_T3_mRjT4_P12ihipStream_tbNS1_7vsmem_tEEUlT_E_NS1_11comp_targetILNS1_3genE10ELNS1_11target_archE1201ELNS1_3gpuE5ELNS1_3repE0EEENS1_30default_config_static_selectorELNS0_4arch9wavefront6targetE0EEEvSM_,comdat
	.globl	_ZN7rocprim17ROCPRIM_400000_NS6detail17trampoline_kernelINS0_14default_configENS1_37merge_sort_block_sort_config_selectorIlNS0_10empty_typeEEEZNS1_21merge_sort_block_sortIS3_PlS8_PS5_S9_ZN2at6native12_GLOBAL__N_124unique_dim_cuda_templateIhEESt5tupleIJNSA_6TensorESF_SF_EERKSF_lbbbEUlllE_EE10hipError_tT0_T1_T2_T3_mRjT4_P12ihipStream_tbNS1_7vsmem_tEEUlT_E_NS1_11comp_targetILNS1_3genE10ELNS1_11target_archE1201ELNS1_3gpuE5ELNS1_3repE0EEENS1_30default_config_static_selectorELNS0_4arch9wavefront6targetE0EEEvSM_ ; -- Begin function _ZN7rocprim17ROCPRIM_400000_NS6detail17trampoline_kernelINS0_14default_configENS1_37merge_sort_block_sort_config_selectorIlNS0_10empty_typeEEEZNS1_21merge_sort_block_sortIS3_PlS8_PS5_S9_ZN2at6native12_GLOBAL__N_124unique_dim_cuda_templateIhEESt5tupleIJNSA_6TensorESF_SF_EERKSF_lbbbEUlllE_EE10hipError_tT0_T1_T2_T3_mRjT4_P12ihipStream_tbNS1_7vsmem_tEEUlT_E_NS1_11comp_targetILNS1_3genE10ELNS1_11target_archE1201ELNS1_3gpuE5ELNS1_3repE0EEENS1_30default_config_static_selectorELNS0_4arch9wavefront6targetE0EEEvSM_
	.p2align	8
	.type	_ZN7rocprim17ROCPRIM_400000_NS6detail17trampoline_kernelINS0_14default_configENS1_37merge_sort_block_sort_config_selectorIlNS0_10empty_typeEEEZNS1_21merge_sort_block_sortIS3_PlS8_PS5_S9_ZN2at6native12_GLOBAL__N_124unique_dim_cuda_templateIhEESt5tupleIJNSA_6TensorESF_SF_EERKSF_lbbbEUlllE_EE10hipError_tT0_T1_T2_T3_mRjT4_P12ihipStream_tbNS1_7vsmem_tEEUlT_E_NS1_11comp_targetILNS1_3genE10ELNS1_11target_archE1201ELNS1_3gpuE5ELNS1_3repE0EEENS1_30default_config_static_selectorELNS0_4arch9wavefront6targetE0EEEvSM_,@function
_ZN7rocprim17ROCPRIM_400000_NS6detail17trampoline_kernelINS0_14default_configENS1_37merge_sort_block_sort_config_selectorIlNS0_10empty_typeEEEZNS1_21merge_sort_block_sortIS3_PlS8_PS5_S9_ZN2at6native12_GLOBAL__N_124unique_dim_cuda_templateIhEESt5tupleIJNSA_6TensorESF_SF_EERKSF_lbbbEUlllE_EE10hipError_tT0_T1_T2_T3_mRjT4_P12ihipStream_tbNS1_7vsmem_tEEUlT_E_NS1_11comp_targetILNS1_3genE10ELNS1_11target_archE1201ELNS1_3gpuE5ELNS1_3repE0EEENS1_30default_config_static_selectorELNS0_4arch9wavefront6targetE0EEEvSM_: ; @_ZN7rocprim17ROCPRIM_400000_NS6detail17trampoline_kernelINS0_14default_configENS1_37merge_sort_block_sort_config_selectorIlNS0_10empty_typeEEEZNS1_21merge_sort_block_sortIS3_PlS8_PS5_S9_ZN2at6native12_GLOBAL__N_124unique_dim_cuda_templateIhEESt5tupleIJNSA_6TensorESF_SF_EERKSF_lbbbEUlllE_EE10hipError_tT0_T1_T2_T3_mRjT4_P12ihipStream_tbNS1_7vsmem_tEEUlT_E_NS1_11comp_targetILNS1_3genE10ELNS1_11target_archE1201ELNS1_3gpuE5ELNS1_3repE0EEENS1_30default_config_static_selectorELNS0_4arch9wavefront6targetE0EEEvSM_
; %bb.0:
	.section	.rodata,"a",@progbits
	.p2align	6, 0x0
	.amdhsa_kernel _ZN7rocprim17ROCPRIM_400000_NS6detail17trampoline_kernelINS0_14default_configENS1_37merge_sort_block_sort_config_selectorIlNS0_10empty_typeEEEZNS1_21merge_sort_block_sortIS3_PlS8_PS5_S9_ZN2at6native12_GLOBAL__N_124unique_dim_cuda_templateIhEESt5tupleIJNSA_6TensorESF_SF_EERKSF_lbbbEUlllE_EE10hipError_tT0_T1_T2_T3_mRjT4_P12ihipStream_tbNS1_7vsmem_tEEUlT_E_NS1_11comp_targetILNS1_3genE10ELNS1_11target_archE1201ELNS1_3gpuE5ELNS1_3repE0EEENS1_30default_config_static_selectorELNS0_4arch9wavefront6targetE0EEEvSM_
		.amdhsa_group_segment_fixed_size 0
		.amdhsa_private_segment_fixed_size 0
		.amdhsa_kernarg_size 72
		.amdhsa_user_sgpr_count 15
		.amdhsa_user_sgpr_dispatch_ptr 0
		.amdhsa_user_sgpr_queue_ptr 0
		.amdhsa_user_sgpr_kernarg_segment_ptr 1
		.amdhsa_user_sgpr_dispatch_id 0
		.amdhsa_user_sgpr_private_segment_size 0
		.amdhsa_wavefront_size32 1
		.amdhsa_uses_dynamic_stack 0
		.amdhsa_enable_private_segment 0
		.amdhsa_system_sgpr_workgroup_id_x 1
		.amdhsa_system_sgpr_workgroup_id_y 0
		.amdhsa_system_sgpr_workgroup_id_z 0
		.amdhsa_system_sgpr_workgroup_info 0
		.amdhsa_system_vgpr_workitem_id 0
		.amdhsa_next_free_vgpr 1
		.amdhsa_next_free_sgpr 1
		.amdhsa_reserve_vcc 0
		.amdhsa_float_round_mode_32 0
		.amdhsa_float_round_mode_16_64 0
		.amdhsa_float_denorm_mode_32 3
		.amdhsa_float_denorm_mode_16_64 3
		.amdhsa_dx10_clamp 1
		.amdhsa_ieee_mode 1
		.amdhsa_fp16_overflow 0
		.amdhsa_workgroup_processor_mode 1
		.amdhsa_memory_ordered 1
		.amdhsa_forward_progress 0
		.amdhsa_shared_vgpr_count 0
		.amdhsa_exception_fp_ieee_invalid_op 0
		.amdhsa_exception_fp_denorm_src 0
		.amdhsa_exception_fp_ieee_div_zero 0
		.amdhsa_exception_fp_ieee_overflow 0
		.amdhsa_exception_fp_ieee_underflow 0
		.amdhsa_exception_fp_ieee_inexact 0
		.amdhsa_exception_int_div_zero 0
	.end_amdhsa_kernel
	.section	.text._ZN7rocprim17ROCPRIM_400000_NS6detail17trampoline_kernelINS0_14default_configENS1_37merge_sort_block_sort_config_selectorIlNS0_10empty_typeEEEZNS1_21merge_sort_block_sortIS3_PlS8_PS5_S9_ZN2at6native12_GLOBAL__N_124unique_dim_cuda_templateIhEESt5tupleIJNSA_6TensorESF_SF_EERKSF_lbbbEUlllE_EE10hipError_tT0_T1_T2_T3_mRjT4_P12ihipStream_tbNS1_7vsmem_tEEUlT_E_NS1_11comp_targetILNS1_3genE10ELNS1_11target_archE1201ELNS1_3gpuE5ELNS1_3repE0EEENS1_30default_config_static_selectorELNS0_4arch9wavefront6targetE0EEEvSM_,"axG",@progbits,_ZN7rocprim17ROCPRIM_400000_NS6detail17trampoline_kernelINS0_14default_configENS1_37merge_sort_block_sort_config_selectorIlNS0_10empty_typeEEEZNS1_21merge_sort_block_sortIS3_PlS8_PS5_S9_ZN2at6native12_GLOBAL__N_124unique_dim_cuda_templateIhEESt5tupleIJNSA_6TensorESF_SF_EERKSF_lbbbEUlllE_EE10hipError_tT0_T1_T2_T3_mRjT4_P12ihipStream_tbNS1_7vsmem_tEEUlT_E_NS1_11comp_targetILNS1_3genE10ELNS1_11target_archE1201ELNS1_3gpuE5ELNS1_3repE0EEENS1_30default_config_static_selectorELNS0_4arch9wavefront6targetE0EEEvSM_,comdat
.Lfunc_end14:
	.size	_ZN7rocprim17ROCPRIM_400000_NS6detail17trampoline_kernelINS0_14default_configENS1_37merge_sort_block_sort_config_selectorIlNS0_10empty_typeEEEZNS1_21merge_sort_block_sortIS3_PlS8_PS5_S9_ZN2at6native12_GLOBAL__N_124unique_dim_cuda_templateIhEESt5tupleIJNSA_6TensorESF_SF_EERKSF_lbbbEUlllE_EE10hipError_tT0_T1_T2_T3_mRjT4_P12ihipStream_tbNS1_7vsmem_tEEUlT_E_NS1_11comp_targetILNS1_3genE10ELNS1_11target_archE1201ELNS1_3gpuE5ELNS1_3repE0EEENS1_30default_config_static_selectorELNS0_4arch9wavefront6targetE0EEEvSM_, .Lfunc_end14-_ZN7rocprim17ROCPRIM_400000_NS6detail17trampoline_kernelINS0_14default_configENS1_37merge_sort_block_sort_config_selectorIlNS0_10empty_typeEEEZNS1_21merge_sort_block_sortIS3_PlS8_PS5_S9_ZN2at6native12_GLOBAL__N_124unique_dim_cuda_templateIhEESt5tupleIJNSA_6TensorESF_SF_EERKSF_lbbbEUlllE_EE10hipError_tT0_T1_T2_T3_mRjT4_P12ihipStream_tbNS1_7vsmem_tEEUlT_E_NS1_11comp_targetILNS1_3genE10ELNS1_11target_archE1201ELNS1_3gpuE5ELNS1_3repE0EEENS1_30default_config_static_selectorELNS0_4arch9wavefront6targetE0EEEvSM_
                                        ; -- End function
	.section	.AMDGPU.csdata,"",@progbits
; Kernel info:
; codeLenInByte = 0
; NumSgprs: 0
; NumVgprs: 0
; ScratchSize: 0
; MemoryBound: 0
; FloatMode: 240
; IeeeMode: 1
; LDSByteSize: 0 bytes/workgroup (compile time only)
; SGPRBlocks: 0
; VGPRBlocks: 0
; NumSGPRsForWavesPerEU: 1
; NumVGPRsForWavesPerEU: 1
; Occupancy: 16
; WaveLimiterHint : 0
; COMPUTE_PGM_RSRC2:SCRATCH_EN: 0
; COMPUTE_PGM_RSRC2:USER_SGPR: 15
; COMPUTE_PGM_RSRC2:TRAP_HANDLER: 0
; COMPUTE_PGM_RSRC2:TGID_X_EN: 1
; COMPUTE_PGM_RSRC2:TGID_Y_EN: 0
; COMPUTE_PGM_RSRC2:TGID_Z_EN: 0
; COMPUTE_PGM_RSRC2:TIDIG_COMP_CNT: 0
	.section	.text._ZN7rocprim17ROCPRIM_400000_NS6detail17trampoline_kernelINS0_14default_configENS1_37merge_sort_block_sort_config_selectorIlNS0_10empty_typeEEEZNS1_21merge_sort_block_sortIS3_PlS8_PS5_S9_ZN2at6native12_GLOBAL__N_124unique_dim_cuda_templateIhEESt5tupleIJNSA_6TensorESF_SF_EERKSF_lbbbEUlllE_EE10hipError_tT0_T1_T2_T3_mRjT4_P12ihipStream_tbNS1_7vsmem_tEEUlT_E_NS1_11comp_targetILNS1_3genE10ELNS1_11target_archE1200ELNS1_3gpuE4ELNS1_3repE0EEENS1_30default_config_static_selectorELNS0_4arch9wavefront6targetE0EEEvSM_,"axG",@progbits,_ZN7rocprim17ROCPRIM_400000_NS6detail17trampoline_kernelINS0_14default_configENS1_37merge_sort_block_sort_config_selectorIlNS0_10empty_typeEEEZNS1_21merge_sort_block_sortIS3_PlS8_PS5_S9_ZN2at6native12_GLOBAL__N_124unique_dim_cuda_templateIhEESt5tupleIJNSA_6TensorESF_SF_EERKSF_lbbbEUlllE_EE10hipError_tT0_T1_T2_T3_mRjT4_P12ihipStream_tbNS1_7vsmem_tEEUlT_E_NS1_11comp_targetILNS1_3genE10ELNS1_11target_archE1200ELNS1_3gpuE4ELNS1_3repE0EEENS1_30default_config_static_selectorELNS0_4arch9wavefront6targetE0EEEvSM_,comdat
	.globl	_ZN7rocprim17ROCPRIM_400000_NS6detail17trampoline_kernelINS0_14default_configENS1_37merge_sort_block_sort_config_selectorIlNS0_10empty_typeEEEZNS1_21merge_sort_block_sortIS3_PlS8_PS5_S9_ZN2at6native12_GLOBAL__N_124unique_dim_cuda_templateIhEESt5tupleIJNSA_6TensorESF_SF_EERKSF_lbbbEUlllE_EE10hipError_tT0_T1_T2_T3_mRjT4_P12ihipStream_tbNS1_7vsmem_tEEUlT_E_NS1_11comp_targetILNS1_3genE10ELNS1_11target_archE1200ELNS1_3gpuE4ELNS1_3repE0EEENS1_30default_config_static_selectorELNS0_4arch9wavefront6targetE0EEEvSM_ ; -- Begin function _ZN7rocprim17ROCPRIM_400000_NS6detail17trampoline_kernelINS0_14default_configENS1_37merge_sort_block_sort_config_selectorIlNS0_10empty_typeEEEZNS1_21merge_sort_block_sortIS3_PlS8_PS5_S9_ZN2at6native12_GLOBAL__N_124unique_dim_cuda_templateIhEESt5tupleIJNSA_6TensorESF_SF_EERKSF_lbbbEUlllE_EE10hipError_tT0_T1_T2_T3_mRjT4_P12ihipStream_tbNS1_7vsmem_tEEUlT_E_NS1_11comp_targetILNS1_3genE10ELNS1_11target_archE1200ELNS1_3gpuE4ELNS1_3repE0EEENS1_30default_config_static_selectorELNS0_4arch9wavefront6targetE0EEEvSM_
	.p2align	8
	.type	_ZN7rocprim17ROCPRIM_400000_NS6detail17trampoline_kernelINS0_14default_configENS1_37merge_sort_block_sort_config_selectorIlNS0_10empty_typeEEEZNS1_21merge_sort_block_sortIS3_PlS8_PS5_S9_ZN2at6native12_GLOBAL__N_124unique_dim_cuda_templateIhEESt5tupleIJNSA_6TensorESF_SF_EERKSF_lbbbEUlllE_EE10hipError_tT0_T1_T2_T3_mRjT4_P12ihipStream_tbNS1_7vsmem_tEEUlT_E_NS1_11comp_targetILNS1_3genE10ELNS1_11target_archE1200ELNS1_3gpuE4ELNS1_3repE0EEENS1_30default_config_static_selectorELNS0_4arch9wavefront6targetE0EEEvSM_,@function
_ZN7rocprim17ROCPRIM_400000_NS6detail17trampoline_kernelINS0_14default_configENS1_37merge_sort_block_sort_config_selectorIlNS0_10empty_typeEEEZNS1_21merge_sort_block_sortIS3_PlS8_PS5_S9_ZN2at6native12_GLOBAL__N_124unique_dim_cuda_templateIhEESt5tupleIJNSA_6TensorESF_SF_EERKSF_lbbbEUlllE_EE10hipError_tT0_T1_T2_T3_mRjT4_P12ihipStream_tbNS1_7vsmem_tEEUlT_E_NS1_11comp_targetILNS1_3genE10ELNS1_11target_archE1200ELNS1_3gpuE4ELNS1_3repE0EEENS1_30default_config_static_selectorELNS0_4arch9wavefront6targetE0EEEvSM_: ; @_ZN7rocprim17ROCPRIM_400000_NS6detail17trampoline_kernelINS0_14default_configENS1_37merge_sort_block_sort_config_selectorIlNS0_10empty_typeEEEZNS1_21merge_sort_block_sortIS3_PlS8_PS5_S9_ZN2at6native12_GLOBAL__N_124unique_dim_cuda_templateIhEESt5tupleIJNSA_6TensorESF_SF_EERKSF_lbbbEUlllE_EE10hipError_tT0_T1_T2_T3_mRjT4_P12ihipStream_tbNS1_7vsmem_tEEUlT_E_NS1_11comp_targetILNS1_3genE10ELNS1_11target_archE1200ELNS1_3gpuE4ELNS1_3repE0EEENS1_30default_config_static_selectorELNS0_4arch9wavefront6targetE0EEEvSM_
; %bb.0:
	.section	.rodata,"a",@progbits
	.p2align	6, 0x0
	.amdhsa_kernel _ZN7rocprim17ROCPRIM_400000_NS6detail17trampoline_kernelINS0_14default_configENS1_37merge_sort_block_sort_config_selectorIlNS0_10empty_typeEEEZNS1_21merge_sort_block_sortIS3_PlS8_PS5_S9_ZN2at6native12_GLOBAL__N_124unique_dim_cuda_templateIhEESt5tupleIJNSA_6TensorESF_SF_EERKSF_lbbbEUlllE_EE10hipError_tT0_T1_T2_T3_mRjT4_P12ihipStream_tbNS1_7vsmem_tEEUlT_E_NS1_11comp_targetILNS1_3genE10ELNS1_11target_archE1200ELNS1_3gpuE4ELNS1_3repE0EEENS1_30default_config_static_selectorELNS0_4arch9wavefront6targetE0EEEvSM_
		.amdhsa_group_segment_fixed_size 0
		.amdhsa_private_segment_fixed_size 0
		.amdhsa_kernarg_size 72
		.amdhsa_user_sgpr_count 15
		.amdhsa_user_sgpr_dispatch_ptr 0
		.amdhsa_user_sgpr_queue_ptr 0
		.amdhsa_user_sgpr_kernarg_segment_ptr 1
		.amdhsa_user_sgpr_dispatch_id 0
		.amdhsa_user_sgpr_private_segment_size 0
		.amdhsa_wavefront_size32 1
		.amdhsa_uses_dynamic_stack 0
		.amdhsa_enable_private_segment 0
		.amdhsa_system_sgpr_workgroup_id_x 1
		.amdhsa_system_sgpr_workgroup_id_y 0
		.amdhsa_system_sgpr_workgroup_id_z 0
		.amdhsa_system_sgpr_workgroup_info 0
		.amdhsa_system_vgpr_workitem_id 0
		.amdhsa_next_free_vgpr 1
		.amdhsa_next_free_sgpr 1
		.amdhsa_reserve_vcc 0
		.amdhsa_float_round_mode_32 0
		.amdhsa_float_round_mode_16_64 0
		.amdhsa_float_denorm_mode_32 3
		.amdhsa_float_denorm_mode_16_64 3
		.amdhsa_dx10_clamp 1
		.amdhsa_ieee_mode 1
		.amdhsa_fp16_overflow 0
		.amdhsa_workgroup_processor_mode 1
		.amdhsa_memory_ordered 1
		.amdhsa_forward_progress 0
		.amdhsa_shared_vgpr_count 0
		.amdhsa_exception_fp_ieee_invalid_op 0
		.amdhsa_exception_fp_denorm_src 0
		.amdhsa_exception_fp_ieee_div_zero 0
		.amdhsa_exception_fp_ieee_overflow 0
		.amdhsa_exception_fp_ieee_underflow 0
		.amdhsa_exception_fp_ieee_inexact 0
		.amdhsa_exception_int_div_zero 0
	.end_amdhsa_kernel
	.section	.text._ZN7rocprim17ROCPRIM_400000_NS6detail17trampoline_kernelINS0_14default_configENS1_37merge_sort_block_sort_config_selectorIlNS0_10empty_typeEEEZNS1_21merge_sort_block_sortIS3_PlS8_PS5_S9_ZN2at6native12_GLOBAL__N_124unique_dim_cuda_templateIhEESt5tupleIJNSA_6TensorESF_SF_EERKSF_lbbbEUlllE_EE10hipError_tT0_T1_T2_T3_mRjT4_P12ihipStream_tbNS1_7vsmem_tEEUlT_E_NS1_11comp_targetILNS1_3genE10ELNS1_11target_archE1200ELNS1_3gpuE4ELNS1_3repE0EEENS1_30default_config_static_selectorELNS0_4arch9wavefront6targetE0EEEvSM_,"axG",@progbits,_ZN7rocprim17ROCPRIM_400000_NS6detail17trampoline_kernelINS0_14default_configENS1_37merge_sort_block_sort_config_selectorIlNS0_10empty_typeEEEZNS1_21merge_sort_block_sortIS3_PlS8_PS5_S9_ZN2at6native12_GLOBAL__N_124unique_dim_cuda_templateIhEESt5tupleIJNSA_6TensorESF_SF_EERKSF_lbbbEUlllE_EE10hipError_tT0_T1_T2_T3_mRjT4_P12ihipStream_tbNS1_7vsmem_tEEUlT_E_NS1_11comp_targetILNS1_3genE10ELNS1_11target_archE1200ELNS1_3gpuE4ELNS1_3repE0EEENS1_30default_config_static_selectorELNS0_4arch9wavefront6targetE0EEEvSM_,comdat
.Lfunc_end15:
	.size	_ZN7rocprim17ROCPRIM_400000_NS6detail17trampoline_kernelINS0_14default_configENS1_37merge_sort_block_sort_config_selectorIlNS0_10empty_typeEEEZNS1_21merge_sort_block_sortIS3_PlS8_PS5_S9_ZN2at6native12_GLOBAL__N_124unique_dim_cuda_templateIhEESt5tupleIJNSA_6TensorESF_SF_EERKSF_lbbbEUlllE_EE10hipError_tT0_T1_T2_T3_mRjT4_P12ihipStream_tbNS1_7vsmem_tEEUlT_E_NS1_11comp_targetILNS1_3genE10ELNS1_11target_archE1200ELNS1_3gpuE4ELNS1_3repE0EEENS1_30default_config_static_selectorELNS0_4arch9wavefront6targetE0EEEvSM_, .Lfunc_end15-_ZN7rocprim17ROCPRIM_400000_NS6detail17trampoline_kernelINS0_14default_configENS1_37merge_sort_block_sort_config_selectorIlNS0_10empty_typeEEEZNS1_21merge_sort_block_sortIS3_PlS8_PS5_S9_ZN2at6native12_GLOBAL__N_124unique_dim_cuda_templateIhEESt5tupleIJNSA_6TensorESF_SF_EERKSF_lbbbEUlllE_EE10hipError_tT0_T1_T2_T3_mRjT4_P12ihipStream_tbNS1_7vsmem_tEEUlT_E_NS1_11comp_targetILNS1_3genE10ELNS1_11target_archE1200ELNS1_3gpuE4ELNS1_3repE0EEENS1_30default_config_static_selectorELNS0_4arch9wavefront6targetE0EEEvSM_
                                        ; -- End function
	.section	.AMDGPU.csdata,"",@progbits
; Kernel info:
; codeLenInByte = 0
; NumSgprs: 0
; NumVgprs: 0
; ScratchSize: 0
; MemoryBound: 0
; FloatMode: 240
; IeeeMode: 1
; LDSByteSize: 0 bytes/workgroup (compile time only)
; SGPRBlocks: 0
; VGPRBlocks: 0
; NumSGPRsForWavesPerEU: 1
; NumVGPRsForWavesPerEU: 1
; Occupancy: 16
; WaveLimiterHint : 0
; COMPUTE_PGM_RSRC2:SCRATCH_EN: 0
; COMPUTE_PGM_RSRC2:USER_SGPR: 15
; COMPUTE_PGM_RSRC2:TRAP_HANDLER: 0
; COMPUTE_PGM_RSRC2:TGID_X_EN: 1
; COMPUTE_PGM_RSRC2:TGID_Y_EN: 0
; COMPUTE_PGM_RSRC2:TGID_Z_EN: 0
; COMPUTE_PGM_RSRC2:TIDIG_COMP_CNT: 0
	.section	.text._ZN7rocprim17ROCPRIM_400000_NS6detail17trampoline_kernelINS0_14default_configENS1_37merge_sort_block_sort_config_selectorIlNS0_10empty_typeEEEZNS1_21merge_sort_block_sortIS3_PlS8_PS5_S9_ZN2at6native12_GLOBAL__N_124unique_dim_cuda_templateIhEESt5tupleIJNSA_6TensorESF_SF_EERKSF_lbbbEUlllE_EE10hipError_tT0_T1_T2_T3_mRjT4_P12ihipStream_tbNS1_7vsmem_tEEUlT_E_NS1_11comp_targetILNS1_3genE9ELNS1_11target_archE1100ELNS1_3gpuE3ELNS1_3repE0EEENS1_30default_config_static_selectorELNS0_4arch9wavefront6targetE0EEEvSM_,"axG",@progbits,_ZN7rocprim17ROCPRIM_400000_NS6detail17trampoline_kernelINS0_14default_configENS1_37merge_sort_block_sort_config_selectorIlNS0_10empty_typeEEEZNS1_21merge_sort_block_sortIS3_PlS8_PS5_S9_ZN2at6native12_GLOBAL__N_124unique_dim_cuda_templateIhEESt5tupleIJNSA_6TensorESF_SF_EERKSF_lbbbEUlllE_EE10hipError_tT0_T1_T2_T3_mRjT4_P12ihipStream_tbNS1_7vsmem_tEEUlT_E_NS1_11comp_targetILNS1_3genE9ELNS1_11target_archE1100ELNS1_3gpuE3ELNS1_3repE0EEENS1_30default_config_static_selectorELNS0_4arch9wavefront6targetE0EEEvSM_,comdat
	.globl	_ZN7rocprim17ROCPRIM_400000_NS6detail17trampoline_kernelINS0_14default_configENS1_37merge_sort_block_sort_config_selectorIlNS0_10empty_typeEEEZNS1_21merge_sort_block_sortIS3_PlS8_PS5_S9_ZN2at6native12_GLOBAL__N_124unique_dim_cuda_templateIhEESt5tupleIJNSA_6TensorESF_SF_EERKSF_lbbbEUlllE_EE10hipError_tT0_T1_T2_T3_mRjT4_P12ihipStream_tbNS1_7vsmem_tEEUlT_E_NS1_11comp_targetILNS1_3genE9ELNS1_11target_archE1100ELNS1_3gpuE3ELNS1_3repE0EEENS1_30default_config_static_selectorELNS0_4arch9wavefront6targetE0EEEvSM_ ; -- Begin function _ZN7rocprim17ROCPRIM_400000_NS6detail17trampoline_kernelINS0_14default_configENS1_37merge_sort_block_sort_config_selectorIlNS0_10empty_typeEEEZNS1_21merge_sort_block_sortIS3_PlS8_PS5_S9_ZN2at6native12_GLOBAL__N_124unique_dim_cuda_templateIhEESt5tupleIJNSA_6TensorESF_SF_EERKSF_lbbbEUlllE_EE10hipError_tT0_T1_T2_T3_mRjT4_P12ihipStream_tbNS1_7vsmem_tEEUlT_E_NS1_11comp_targetILNS1_3genE9ELNS1_11target_archE1100ELNS1_3gpuE3ELNS1_3repE0EEENS1_30default_config_static_selectorELNS0_4arch9wavefront6targetE0EEEvSM_
	.p2align	8
	.type	_ZN7rocprim17ROCPRIM_400000_NS6detail17trampoline_kernelINS0_14default_configENS1_37merge_sort_block_sort_config_selectorIlNS0_10empty_typeEEEZNS1_21merge_sort_block_sortIS3_PlS8_PS5_S9_ZN2at6native12_GLOBAL__N_124unique_dim_cuda_templateIhEESt5tupleIJNSA_6TensorESF_SF_EERKSF_lbbbEUlllE_EE10hipError_tT0_T1_T2_T3_mRjT4_P12ihipStream_tbNS1_7vsmem_tEEUlT_E_NS1_11comp_targetILNS1_3genE9ELNS1_11target_archE1100ELNS1_3gpuE3ELNS1_3repE0EEENS1_30default_config_static_selectorELNS0_4arch9wavefront6targetE0EEEvSM_,@function
_ZN7rocprim17ROCPRIM_400000_NS6detail17trampoline_kernelINS0_14default_configENS1_37merge_sort_block_sort_config_selectorIlNS0_10empty_typeEEEZNS1_21merge_sort_block_sortIS3_PlS8_PS5_S9_ZN2at6native12_GLOBAL__N_124unique_dim_cuda_templateIhEESt5tupleIJNSA_6TensorESF_SF_EERKSF_lbbbEUlllE_EE10hipError_tT0_T1_T2_T3_mRjT4_P12ihipStream_tbNS1_7vsmem_tEEUlT_E_NS1_11comp_targetILNS1_3genE9ELNS1_11target_archE1100ELNS1_3gpuE3ELNS1_3repE0EEENS1_30default_config_static_selectorELNS0_4arch9wavefront6targetE0EEEvSM_: ; @_ZN7rocprim17ROCPRIM_400000_NS6detail17trampoline_kernelINS0_14default_configENS1_37merge_sort_block_sort_config_selectorIlNS0_10empty_typeEEEZNS1_21merge_sort_block_sortIS3_PlS8_PS5_S9_ZN2at6native12_GLOBAL__N_124unique_dim_cuda_templateIhEESt5tupleIJNSA_6TensorESF_SF_EERKSF_lbbbEUlllE_EE10hipError_tT0_T1_T2_T3_mRjT4_P12ihipStream_tbNS1_7vsmem_tEEUlT_E_NS1_11comp_targetILNS1_3genE9ELNS1_11target_archE1100ELNS1_3gpuE3ELNS1_3repE0EEENS1_30default_config_static_selectorELNS0_4arch9wavefront6targetE0EEEvSM_
; %bb.0:
	s_clause 0x1
	s_load_b64 s[6:7], s[0:1], 0x48
	s_load_b32 s3, s[0:1], 0x0
	s_add_u32 s4, s0, 0x48
	s_addc_u32 s5, s1, 0
	s_waitcnt lgkmcnt(0)
	s_mul_i32 s2, s7, s15
	s_delay_alu instid0(SALU_CYCLE_1) | instskip(NEXT) | instid1(SALU_CYCLE_1)
	s_add_i32 s2, s2, s14
	s_mul_i32 s2, s2, s6
	s_delay_alu instid0(SALU_CYCLE_1) | instskip(NEXT) | instid1(SALU_CYCLE_1)
	s_add_i32 s2, s2, s13
	s_cmp_ge_u32 s2, s3
	s_cbranch_scc1 .LBB16_878
; %bb.1:
	s_clause 0x2
	s_load_b64 s[18:19], s[0:1], 0x8
	s_load_b128 s[8:11], s[0:1], 0x38
	s_load_b128 s[20:23], s[0:1], 0x18
	v_and_b32_e32 v12, 0x3ff, v0
	s_mov_b32 s3, 0
	v_bfe_u32 v28, v0, 10, 10
	s_lshl_b64 s[0:1], s[2:3], 13
	v_bfe_u32 v29, v0, 20, 10
	v_lshlrev_b32_e32 v26, 3, v12
	v_lshrrev_b32_e32 v31, 2, v12
	v_add_nc_u32_e32 v34, 0x100, v12
	v_add_nc_u32_e32 v33, 0x200, v12
	;; [unrolled: 1-line block ×3, first 2 shown]
	v_lshlrev_b32_e32 v27, 2, v12
	v_lshrrev_b32_e32 v30, 3, v12
	s_waitcnt lgkmcnt(0)
	s_lshr_b64 s[24:25], s[18:19], 10
	v_cmp_gt_i64_e64 s7, s[8:9], 0
	s_add_u32 s16, s20, s0
	s_addc_u32 s17, s21, s1
	s_add_u32 s14, s22, s0
	s_addc_u32 s15, s23, s1
	s_cmp_lg_u64 s[24:25], s[2:3]
	s_cbranch_scc0 .LBB16_8
; %bb.2:
	v_add_co_u32 v0, s0, s16, v26
	s_delay_alu instid0(VALU_DEP_1) | instskip(SKIP_1) | instid1(VALU_DEP_3)
	v_add_co_ci_u32_e64 v1, null, s17, 0, s0
	v_lshrrev_b32_e32 v8, 2, v34
	v_add_co_u32 v0, vcc_lo, 0x1000, v0
	s_delay_alu instid0(VALU_DEP_3)
	v_add_co_ci_u32_e32 v1, vcc_lo, 0, v1, vcc_lo
	v_lshrrev_b32_e32 v9, 2, v33
	s_clause 0x3
	global_load_b64 v[2:3], v26, s[16:17]
	global_load_b64 v[4:5], v26, s[16:17] offset:2048
	global_load_b64 v[6:7], v[0:1], off
	global_load_b64 v[0:1], v[0:1], off offset:2048
	v_lshrrev_b32_e32 v10, 2, v32
	v_and_b32_e32 v11, 0xf8, v31
	v_dual_mov_b32 v13, 0 :: v_dual_and_b32 v8, 0x1f8, v8
	v_and_b32_e32 v9, 0x1f8, v9
	s_delay_alu instid0(VALU_DEP_4) | instskip(NEXT) | instid1(VALU_DEP_4)
	v_and_b32_e32 v10, 0x1f8, v10
	v_add_nc_u32_e32 v35, v11, v26
	v_add_lshl_u32 v39, v30, v27, 3
	v_add_nc_u32_e32 v38, v8, v26
	v_add_nc_u32_e32 v36, v9, v26
	;; [unrolled: 1-line block ×3, first 2 shown]
	s_waitcnt vmcnt(3)
	ds_store_b64 v35, v[2:3]
	s_waitcnt vmcnt(2)
	ds_store_b64 v38, v[4:5] offset:2048
	s_waitcnt vmcnt(1)
	ds_store_b64 v36, v[6:7] offset:4096
	;; [unrolled: 2-line block ×3, first 2 shown]
	s_waitcnt lgkmcnt(0)
	s_barrier
	buffer_gl0_inv
	ds_load_2addr_b64 v[8:11], v39 offset1:1
	ds_load_2addr_b64 v[4:7], v39 offset0:2 offset1:3
	s_waitcnt lgkmcnt(0)
	s_barrier
	buffer_gl0_inv
	s_load_b32 s0, s[4:5], 0xc
	v_dual_mov_b32 v3, v11 :: v_dual_mov_b32 v2, v10
	s_waitcnt lgkmcnt(0)
	s_lshr_b32 s12, s0, 16
	s_cmp_lt_u32 s13, s6
	v_mad_u32_u24 v1, v29, s12, v28
	s_cselect_b32 s0, 12, 18
	s_mov_b32 s12, exec_lo
	s_add_u32 s0, s4, s0
	s_addc_u32 s1, s5, 0
	global_load_u16 v0, v13, s[0:1]
	s_waitcnt vmcnt(0)
	v_mul_lo_u32 v0, v1, v0
	v_mov_b32_e32 v1, v9
	s_delay_alu instid0(VALU_DEP_2) | instskip(SKIP_1) | instid1(VALU_DEP_2)
	v_add_lshl_u32 v40, v0, v12, 2
	v_mov_b32_e32 v0, v8
	v_cmpx_gt_u32_e32 0x400, v40
	s_cbranch_execz .LBB16_62
; %bb.3:
	s_and_not1_b32 vcc_lo, exec_lo, s7
	s_cbranch_vccnz .LBB16_14
; %bb.4:
	v_mad_u64_u32 v[14:15], null, v10, s8, s[10:11]
	v_mul_lo_u32 v18, v10, s9
	v_mul_lo_u32 v19, v11, s8
	v_mad_u64_u32 v[16:17], null, v8, s8, s[10:11]
	v_mul_lo_u32 v20, v8, s9
	v_mul_lo_u32 v21, v9, s8
	s_mov_b32 s22, 0
	s_mov_b64 s[20:21], s[8:9]
                                        ; implicit-def: $sgpr19
                                        ; implicit-def: $sgpr23
                                        ; implicit-def: $sgpr25
                                        ; implicit-def: $sgpr24
                                        ; implicit-def: $sgpr26
                                        ; implicit-def: $sgpr27
	s_delay_alu instid0(VALU_DEP_4) | instskip(NEXT) | instid1(VALU_DEP_2)
	v_add3_u32 v15, v19, v15, v18
	v_add3_u32 v17, v21, v17, v20
	s_branch .LBB16_6
.LBB16_5:                               ;   in Loop: Header=BB16_6 Depth=1
	s_or_b32 exec_lo, exec_lo, s28
	s_delay_alu instid0(SALU_CYCLE_1) | instskip(NEXT) | instid1(SALU_CYCLE_1)
	s_and_b32 s1, exec_lo, s25
	s_or_b32 s22, s1, s22
	s_and_not1_b32 s1, s27, exec_lo
	s_and_b32 s27, s26, exec_lo
	s_and_not1_b32 s23, s23, exec_lo
	s_or_b32 s27, s1, s27
	s_and_b32 s1, s24, exec_lo
	s_and_not1_b32 s19, s19, exec_lo
	s_and_b32 s0, s0, exec_lo
	s_or_b32 s23, s23, s1
	s_or_b32 s19, s19, s0
	s_and_not1_b32 exec_lo, exec_lo, s22
	s_cbranch_execz .LBB16_9
.LBB16_6:                               ; =>This Inner Loop Header: Depth=1
	global_load_u8 v18, v[14:15], off
	global_load_u8 v19, v[16:17], off
	s_and_not1_b32 s26, s26, exec_lo
	s_or_b32 s24, s24, exec_lo
	s_or_b32 s25, s25, exec_lo
	s_waitcnt vmcnt(1)
	v_and_b32_e32 v18, 0xff, v18
	s_waitcnt vmcnt(0)
	v_and_b32_e32 v19, 0xff, v19
	s_delay_alu instid0(VALU_DEP_1)
	v_cmp_le_u16_e32 vcc_lo, v18, v19
	v_cmp_lt_u16_e64 s0, v18, v19
	s_and_b32 s28, vcc_lo, s27
	s_delay_alu instid0(VALU_DEP_1) | instid1(SALU_CYCLE_1)
	s_or_b32 s0, s0, s28
	s_mov_b32 s28, exec_lo
	v_cmpx_eq_u16_e64 v18, v19
	s_cbranch_execz .LBB16_5
; %bb.7:                                ;   in Loop: Header=BB16_6 Depth=1
	s_add_u32 s20, s20, -1
	s_addc_u32 s21, s21, -1
	v_add_co_u32 v14, vcc_lo, v14, 1
	s_cmp_eq_u64 s[20:21], 0
	v_add_co_ci_u32_e32 v15, vcc_lo, 0, v15, vcc_lo
	v_add_co_u32 v16, vcc_lo, v16, 1
	s_cselect_b32 s1, -1, 0
	v_add_co_ci_u32_e32 v17, vcc_lo, 0, v17, vcc_lo
	s_and_not1_b32 s26, s26, exec_lo
	s_and_b32 s27, s0, exec_lo
	s_and_not1_b32 s25, s25, exec_lo
	s_and_b32 s1, s1, exec_lo
	s_or_b32 s26, s26, s27
	s_and_not1_b32 s24, s24, exec_lo
	s_or_b32 s25, s25, s1
                                        ; implicit-def: $sgpr27
	s_branch .LBB16_5
.LBB16_8:
	s_mov_b32 s19, s3
                                        ; implicit-def: $vgpr0_vgpr1
	s_cbranch_execnz .LBB16_520
	s_branch .LBB16_876
.LBB16_9:
	s_or_b32 exec_lo, exec_lo, s22
	s_and_saveexec_b32 s0, s23
	s_delay_alu instid0(SALU_CYCLE_1)
	s_xor_b32 s0, exec_lo, s0
	s_cbranch_execz .LBB16_13
; %bb.10:
	v_dual_mov_b32 v15, v11 :: v_dual_mov_b32 v14, v10
	s_and_saveexec_b32 s1, s19
; %bb.11:
	v_dual_mov_b32 v0, v10 :: v_dual_mov_b32 v1, v11
	v_dual_mov_b32 v2, v8 :: v_dual_mov_b32 v3, v9
	;; [unrolled: 1-line block ×4, first 2 shown]
; %bb.12:
	s_or_b32 exec_lo, exec_lo, s1
	s_delay_alu instid0(VALU_DEP_2)
	v_dual_mov_b32 v10, v14 :: v_dual_mov_b32 v11, v15
.LBB16_13:
	s_or_b32 exec_lo, exec_lo, s0
.LBB16_14:
	v_mul_lo_u32 v20, v5, s8
	v_mul_lo_u32 v21, v4, s9
	v_mad_u64_u32 v[18:19], null, v4, s8, 0
	v_dual_mov_b32 v16, v6 :: v_dual_mov_b32 v17, v7
	v_dual_mov_b32 v14, v4 :: v_dual_mov_b32 v15, v5
	s_and_not1_b32 vcc_lo, exec_lo, s7
	s_delay_alu instid0(VALU_DEP_3)
	v_add3_u32 v19, v19, v21, v20
	s_cbranch_vccnz .LBB16_24
; %bb.15:
	v_mul_lo_u32 v22, v7, s8
	v_mul_lo_u32 v23, v6, s9
	v_mad_u64_u32 v[20:21], null, v6, s8, 0
	s_mov_b32 s22, 0
	s_mov_b64 s[20:21], s[8:9]
                                        ; implicit-def: $sgpr19
                                        ; implicit-def: $sgpr23
                                        ; implicit-def: $sgpr25
                                        ; implicit-def: $sgpr24
                                        ; implicit-def: $sgpr26
                                        ; implicit-def: $sgpr27
	s_delay_alu instid0(VALU_DEP_1) | instskip(NEXT) | instid1(VALU_DEP_2)
	v_add3_u32 v21, v21, v23, v22
	v_add_co_u32 v22, vcc_lo, s10, v20
	s_delay_alu instid0(VALU_DEP_2)
	v_add_co_ci_u32_e32 v23, vcc_lo, s11, v21, vcc_lo
	v_add_co_u32 v24, vcc_lo, s10, v18
	v_add_co_ci_u32_e32 v25, vcc_lo, s11, v19, vcc_lo
	s_branch .LBB16_17
.LBB16_16:                              ;   in Loop: Header=BB16_17 Depth=1
	s_or_b32 exec_lo, exec_lo, s28
	s_delay_alu instid0(SALU_CYCLE_1) | instskip(NEXT) | instid1(SALU_CYCLE_1)
	s_and_b32 s1, exec_lo, s25
	s_or_b32 s22, s1, s22
	s_and_not1_b32 s1, s27, exec_lo
	s_and_b32 s27, s26, exec_lo
	s_and_not1_b32 s23, s23, exec_lo
	s_or_b32 s27, s1, s27
	s_and_b32 s1, s24, exec_lo
	s_and_not1_b32 s19, s19, exec_lo
	s_and_b32 s0, s0, exec_lo
	s_or_b32 s23, s23, s1
	s_or_b32 s19, s19, s0
	s_and_not1_b32 exec_lo, exec_lo, s22
	s_cbranch_execz .LBB16_19
.LBB16_17:                              ; =>This Inner Loop Header: Depth=1
	global_load_u8 v41, v[22:23], off
	global_load_u8 v42, v[24:25], off
	s_and_not1_b32 s26, s26, exec_lo
	s_or_b32 s24, s24, exec_lo
	s_or_b32 s25, s25, exec_lo
	s_waitcnt vmcnt(1)
	v_and_b32_e32 v41, 0xff, v41
	s_waitcnt vmcnt(0)
	v_and_b32_e32 v42, 0xff, v42
	s_delay_alu instid0(VALU_DEP_1)
	v_cmp_le_u16_e32 vcc_lo, v41, v42
	v_cmp_lt_u16_e64 s0, v41, v42
	s_and_b32 s28, vcc_lo, s27
	s_delay_alu instid0(VALU_DEP_1) | instid1(SALU_CYCLE_1)
	s_or_b32 s0, s0, s28
	s_mov_b32 s28, exec_lo
	v_cmpx_eq_u16_e64 v41, v42
	s_cbranch_execz .LBB16_16
; %bb.18:                               ;   in Loop: Header=BB16_17 Depth=1
	s_add_u32 s20, s20, -1
	s_addc_u32 s21, s21, -1
	v_add_co_u32 v22, vcc_lo, v22, 1
	s_cmp_eq_u64 s[20:21], 0
	v_add_co_ci_u32_e32 v23, vcc_lo, 0, v23, vcc_lo
	v_add_co_u32 v24, vcc_lo, v24, 1
	s_cselect_b32 s1, -1, 0
	v_add_co_ci_u32_e32 v25, vcc_lo, 0, v25, vcc_lo
	s_and_not1_b32 s26, s26, exec_lo
	s_and_b32 s27, s0, exec_lo
	s_and_not1_b32 s25, s25, exec_lo
	s_and_b32 s1, s1, exec_lo
	s_or_b32 s26, s26, s27
	s_and_not1_b32 s24, s24, exec_lo
	s_or_b32 s25, s25, s1
                                        ; implicit-def: $sgpr27
	s_branch .LBB16_16
.LBB16_19:
	s_or_b32 exec_lo, exec_lo, s22
	s_and_saveexec_b32 s0, s23
	s_delay_alu instid0(SALU_CYCLE_1)
	s_xor_b32 s0, exec_lo, s0
	s_cbranch_execz .LBB16_23
; %bb.20:
	s_and_saveexec_b32 s1, s19
	s_cbranch_execz .LBB16_22
; %bb.21:
	v_dual_mov_b32 v41, v0 :: v_dual_mov_b32 v42, v1
	v_dual_mov_b32 v43, v2 :: v_dual_mov_b32 v44, v3
	;; [unrolled: 1-line block ×12, first 2 shown]
.LBB16_22:
	s_or_b32 exec_lo, exec_lo, s1
.LBB16_23:
	s_delay_alu instid0(SALU_CYCLE_1)
	s_or_b32 exec_lo, exec_lo, s0
.LBB16_24:
	v_mul_lo_u32 v22, v11, s8
	v_mul_lo_u32 v23, v10, s9
	v_mad_u64_u32 v[20:21], null, v10, s8, 0
	s_and_not1_b32 vcc_lo, exec_lo, s7
	s_delay_alu instid0(VALU_DEP_1)
	v_add3_u32 v21, v21, v23, v22
	s_cbranch_vccnz .LBB16_34
; %bb.25:
	s_mov_b32 s24, 0
	s_mov_b64 s[20:21], s[8:9]
	s_mov_b64 s[22:23], s[10:11]
                                        ; implicit-def: $sgpr19
                                        ; implicit-def: $sgpr25
                                        ; implicit-def: $sgpr27
                                        ; implicit-def: $sgpr26
                                        ; implicit-def: $sgpr28
                                        ; implicit-def: $sgpr29
	s_branch .LBB16_27
.LBB16_26:                              ;   in Loop: Header=BB16_27 Depth=1
	s_or_b32 exec_lo, exec_lo, s30
	s_delay_alu instid0(SALU_CYCLE_1) | instskip(NEXT) | instid1(SALU_CYCLE_1)
	s_and_b32 s1, exec_lo, s27
	s_or_b32 s24, s1, s24
	s_and_not1_b32 s1, s29, exec_lo
	s_and_b32 s29, s28, exec_lo
	s_and_not1_b32 s25, s25, exec_lo
	s_or_b32 s29, s1, s29
	s_and_b32 s1, s26, exec_lo
	s_and_not1_b32 s19, s19, exec_lo
	s_and_b32 s0, s0, exec_lo
	s_or_b32 s25, s25, s1
	s_or_b32 s19, s19, s0
	s_and_not1_b32 exec_lo, exec_lo, s24
	s_cbranch_execz .LBB16_29
.LBB16_27:                              ; =>This Inner Loop Header: Depth=1
	v_add_co_u32 v22, vcc_lo, s22, v18
	v_add_co_ci_u32_e32 v23, vcc_lo, s23, v19, vcc_lo
	v_add_co_u32 v24, vcc_lo, s22, v20
	v_add_co_ci_u32_e32 v25, vcc_lo, s23, v21, vcc_lo
	s_and_not1_b32 s28, s28, exec_lo
	s_clause 0x1
	global_load_u8 v22, v[22:23], off
	global_load_u8 v23, v[24:25], off
	s_or_b32 s26, s26, exec_lo
	s_or_b32 s27, s27, exec_lo
	s_waitcnt vmcnt(1)
	v_and_b32_e32 v22, 0xff, v22
	s_waitcnt vmcnt(0)
	v_and_b32_e32 v23, 0xff, v23
	s_delay_alu instid0(VALU_DEP_1)
	v_cmp_le_u16_e32 vcc_lo, v22, v23
	v_cmp_lt_u16_e64 s0, v22, v23
	s_and_b32 s30, vcc_lo, s29
	s_delay_alu instid0(VALU_DEP_1) | instid1(SALU_CYCLE_1)
	s_or_b32 s0, s0, s30
	s_mov_b32 s30, exec_lo
	v_cmpx_eq_u16_e64 v22, v23
	s_cbranch_execz .LBB16_26
; %bb.28:                               ;   in Loop: Header=BB16_27 Depth=1
	s_add_u32 s22, s22, 1
	s_addc_u32 s23, s23, 0
	s_add_u32 s20, s20, -1
	s_addc_u32 s21, s21, -1
	s_delay_alu instid0(SALU_CYCLE_1)
	s_cmp_eq_u64 s[20:21], 0
	s_cselect_b32 s1, -1, 0
	s_and_not1_b32 s28, s28, exec_lo
	s_and_b32 s29, s0, exec_lo
	s_and_not1_b32 s27, s27, exec_lo
	s_and_b32 s1, s1, exec_lo
	s_or_b32 s28, s28, s29
	s_and_not1_b32 s26, s26, exec_lo
	s_or_b32 s27, s27, s1
                                        ; implicit-def: $sgpr29
	s_branch .LBB16_26
.LBB16_29:
	s_or_b32 exec_lo, exec_lo, s24
	s_and_saveexec_b32 s0, s25
	s_delay_alu instid0(SALU_CYCLE_1)
	s_xor_b32 s0, exec_lo, s0
	s_cbranch_execz .LBB16_33
; %bb.30:
	v_dual_mov_b32 v23, v11 :: v_dual_mov_b32 v22, v10
	s_and_saveexec_b32 s1, s19
; %bb.31:
	v_dual_mov_b32 v2, v14 :: v_dual_mov_b32 v3, v15
	v_dual_mov_b32 v4, v10 :: v_dual_mov_b32 v5, v11
	;; [unrolled: 1-line block ×5, first 2 shown]
; %bb.32:
	s_or_b32 exec_lo, exec_lo, s1
	s_delay_alu instid0(VALU_DEP_3)
	v_dual_mov_b32 v10, v22 :: v_dual_mov_b32 v11, v23
.LBB16_33:
	s_or_b32 exec_lo, exec_lo, s0
.LBB16_34:
	s_delay_alu instid0(SALU_CYCLE_1)
	s_and_not1_b32 vcc_lo, exec_lo, s7
	s_cbranch_vccnz .LBB16_44
; %bb.35:
	v_mad_u64_u32 v[18:19], null, v8, s8, s[10:11]
	v_mul_lo_u32 v22, v8, s9
	v_mul_lo_u32 v23, v9, s8
	v_add_co_u32 v20, vcc_lo, s10, v20
	v_add_co_ci_u32_e32 v21, vcc_lo, s11, v21, vcc_lo
	s_mov_b32 s22, 0
	s_mov_b64 s[20:21], s[8:9]
                                        ; implicit-def: $sgpr19
                                        ; implicit-def: $sgpr23
                                        ; implicit-def: $sgpr25
                                        ; implicit-def: $sgpr24
                                        ; implicit-def: $sgpr26
                                        ; implicit-def: $sgpr27
	s_delay_alu instid0(VALU_DEP_3)
	v_add3_u32 v19, v23, v19, v22
	s_branch .LBB16_37
.LBB16_36:                              ;   in Loop: Header=BB16_37 Depth=1
	s_or_b32 exec_lo, exec_lo, s28
	s_delay_alu instid0(SALU_CYCLE_1) | instskip(NEXT) | instid1(SALU_CYCLE_1)
	s_and_b32 s1, exec_lo, s25
	s_or_b32 s22, s1, s22
	s_and_not1_b32 s1, s27, exec_lo
	s_and_b32 s27, s26, exec_lo
	s_and_not1_b32 s23, s23, exec_lo
	s_or_b32 s27, s1, s27
	s_and_b32 s1, s24, exec_lo
	s_and_not1_b32 s19, s19, exec_lo
	s_and_b32 s0, s0, exec_lo
	s_or_b32 s23, s23, s1
	s_or_b32 s19, s19, s0
	s_and_not1_b32 exec_lo, exec_lo, s22
	s_cbranch_execz .LBB16_39
.LBB16_37:                              ; =>This Inner Loop Header: Depth=1
	global_load_u8 v22, v[20:21], off
	global_load_u8 v23, v[18:19], off
	s_and_not1_b32 s26, s26, exec_lo
	s_or_b32 s24, s24, exec_lo
	s_or_b32 s25, s25, exec_lo
	s_waitcnt vmcnt(1)
	v_and_b32_e32 v22, 0xff, v22
	s_waitcnt vmcnt(0)
	v_and_b32_e32 v23, 0xff, v23
	s_delay_alu instid0(VALU_DEP_1)
	v_cmp_le_u16_e32 vcc_lo, v22, v23
	v_cmp_lt_u16_e64 s0, v22, v23
	s_and_b32 s28, vcc_lo, s27
	s_delay_alu instid0(VALU_DEP_1) | instid1(SALU_CYCLE_1)
	s_or_b32 s0, s0, s28
	s_mov_b32 s28, exec_lo
	v_cmpx_eq_u16_e64 v22, v23
	s_cbranch_execz .LBB16_36
; %bb.38:                               ;   in Loop: Header=BB16_37 Depth=1
	s_add_u32 s20, s20, -1
	s_addc_u32 s21, s21, -1
	v_add_co_u32 v20, vcc_lo, v20, 1
	s_cmp_eq_u64 s[20:21], 0
	v_add_co_ci_u32_e32 v21, vcc_lo, 0, v21, vcc_lo
	v_add_co_u32 v18, vcc_lo, v18, 1
	s_cselect_b32 s1, -1, 0
	v_add_co_ci_u32_e32 v19, vcc_lo, 0, v19, vcc_lo
	s_and_not1_b32 s26, s26, exec_lo
	s_and_b32 s27, s0, exec_lo
	s_and_not1_b32 s25, s25, exec_lo
	s_and_b32 s1, s1, exec_lo
	s_or_b32 s26, s26, s27
	s_and_not1_b32 s24, s24, exec_lo
	s_or_b32 s25, s25, s1
                                        ; implicit-def: $sgpr27
	s_branch .LBB16_36
.LBB16_39:
	s_or_b32 exec_lo, exec_lo, s22
	s_and_saveexec_b32 s0, s23
	s_delay_alu instid0(SALU_CYCLE_1)
	s_xor_b32 s0, exec_lo, s0
	s_cbranch_execz .LBB16_43
; %bb.40:
	v_dual_mov_b32 v19, v11 :: v_dual_mov_b32 v18, v10
	s_and_saveexec_b32 s1, s19
; %bb.41:
	v_dual_mov_b32 v0, v10 :: v_dual_mov_b32 v1, v11
	v_dual_mov_b32 v2, v8 :: v_dual_mov_b32 v3, v9
	;; [unrolled: 1-line block ×4, first 2 shown]
; %bb.42:
	s_or_b32 exec_lo, exec_lo, s1
	s_delay_alu instid0(VALU_DEP_2)
	v_dual_mov_b32 v10, v18 :: v_dual_mov_b32 v11, v19
.LBB16_43:
	s_or_b32 exec_lo, exec_lo, s0
.LBB16_44:
	v_mul_lo_u32 v20, v15, s8
	v_mul_lo_u32 v21, v14, s9
	v_mad_u64_u32 v[18:19], null, v14, s8, 0
	s_and_not1_b32 vcc_lo, exec_lo, s7
	s_delay_alu instid0(VALU_DEP_1)
	v_add3_u32 v19, v19, v21, v20
	s_cbranch_vccnz .LBB16_54
; %bb.45:
	v_mul_lo_u32 v22, v17, s8
	v_mul_lo_u32 v23, v16, s9
	v_mad_u64_u32 v[20:21], null, v16, s8, 0
	s_mov_b32 s22, 0
	s_mov_b64 s[20:21], s[8:9]
                                        ; implicit-def: $sgpr19
                                        ; implicit-def: $sgpr23
                                        ; implicit-def: $sgpr25
                                        ; implicit-def: $sgpr24
                                        ; implicit-def: $sgpr26
                                        ; implicit-def: $sgpr27
	s_delay_alu instid0(VALU_DEP_1) | instskip(NEXT) | instid1(VALU_DEP_2)
	v_add3_u32 v21, v21, v23, v22
	v_add_co_u32 v22, vcc_lo, s10, v20
	s_delay_alu instid0(VALU_DEP_2)
	v_add_co_ci_u32_e32 v23, vcc_lo, s11, v21, vcc_lo
	v_add_co_u32 v24, vcc_lo, s10, v18
	v_add_co_ci_u32_e32 v25, vcc_lo, s11, v19, vcc_lo
	s_branch .LBB16_47
.LBB16_46:                              ;   in Loop: Header=BB16_47 Depth=1
	s_or_b32 exec_lo, exec_lo, s28
	s_delay_alu instid0(SALU_CYCLE_1) | instskip(NEXT) | instid1(SALU_CYCLE_1)
	s_and_b32 s1, exec_lo, s25
	s_or_b32 s22, s1, s22
	s_and_not1_b32 s1, s27, exec_lo
	s_and_b32 s27, s26, exec_lo
	s_and_not1_b32 s23, s23, exec_lo
	s_or_b32 s27, s1, s27
	s_and_b32 s1, s24, exec_lo
	s_and_not1_b32 s19, s19, exec_lo
	s_and_b32 s0, s0, exec_lo
	s_or_b32 s23, s23, s1
	s_or_b32 s19, s19, s0
	s_and_not1_b32 exec_lo, exec_lo, s22
	s_cbranch_execz .LBB16_49
.LBB16_47:                              ; =>This Inner Loop Header: Depth=1
	global_load_u8 v41, v[22:23], off
	global_load_u8 v42, v[24:25], off
	s_and_not1_b32 s26, s26, exec_lo
	s_or_b32 s24, s24, exec_lo
	s_or_b32 s25, s25, exec_lo
	s_waitcnt vmcnt(1)
	v_and_b32_e32 v41, 0xff, v41
	s_waitcnt vmcnt(0)
	v_and_b32_e32 v42, 0xff, v42
	s_delay_alu instid0(VALU_DEP_1)
	v_cmp_le_u16_e32 vcc_lo, v41, v42
	v_cmp_lt_u16_e64 s0, v41, v42
	s_and_b32 s28, vcc_lo, s27
	s_delay_alu instid0(VALU_DEP_1) | instid1(SALU_CYCLE_1)
	s_or_b32 s0, s0, s28
	s_mov_b32 s28, exec_lo
	v_cmpx_eq_u16_e64 v41, v42
	s_cbranch_execz .LBB16_46
; %bb.48:                               ;   in Loop: Header=BB16_47 Depth=1
	s_add_u32 s20, s20, -1
	s_addc_u32 s21, s21, -1
	v_add_co_u32 v22, vcc_lo, v22, 1
	s_cmp_eq_u64 s[20:21], 0
	v_add_co_ci_u32_e32 v23, vcc_lo, 0, v23, vcc_lo
	v_add_co_u32 v24, vcc_lo, v24, 1
	s_cselect_b32 s1, -1, 0
	v_add_co_ci_u32_e32 v25, vcc_lo, 0, v25, vcc_lo
	s_and_not1_b32 s26, s26, exec_lo
	s_and_b32 s27, s0, exec_lo
	s_and_not1_b32 s25, s25, exec_lo
	s_and_b32 s1, s1, exec_lo
	s_or_b32 s26, s26, s27
	s_and_not1_b32 s24, s24, exec_lo
	s_or_b32 s25, s25, s1
                                        ; implicit-def: $sgpr27
	s_branch .LBB16_46
.LBB16_49:
	s_or_b32 exec_lo, exec_lo, s22
	s_and_saveexec_b32 s0, s23
	s_delay_alu instid0(SALU_CYCLE_1)
	s_xor_b32 s0, exec_lo, s0
	s_cbranch_execz .LBB16_53
; %bb.50:
	s_and_saveexec_b32 s1, s19
; %bb.51:
	v_dual_mov_b32 v4, v16 :: v_dual_mov_b32 v5, v17
	v_dual_mov_b32 v6, v14 :: v_dual_mov_b32 v7, v15
	v_dual_mov_b32 v14, v16 :: v_dual_mov_b32 v15, v17
	v_dual_mov_b32 v18, v20 :: v_dual_mov_b32 v19, v21
; %bb.52:
	s_or_b32 exec_lo, exec_lo, s1
.LBB16_53:
	s_delay_alu instid0(SALU_CYCLE_1)
	s_or_b32 exec_lo, exec_lo, s0
.LBB16_54:
	s_delay_alu instid0(SALU_CYCLE_1)
	s_and_not1_b32 vcc_lo, exec_lo, s7
	s_cbranch_vccnz .LBB16_62
; %bb.55:
	v_mad_u64_u32 v[16:17], null, v10, s8, s[10:11]
	v_mul_lo_u32 v20, v10, s9
	v_mul_lo_u32 v21, v11, s8
	v_add_co_u32 v18, vcc_lo, s10, v18
	v_add_co_ci_u32_e32 v19, vcc_lo, s11, v19, vcc_lo
	s_mov_b32 s19, 0
	s_mov_b64 s[20:21], s[8:9]
                                        ; implicit-def: $sgpr22
                                        ; implicit-def: $sgpr23
                                        ; implicit-def: $sgpr25
                                        ; implicit-def: $sgpr24
                                        ; implicit-def: $sgpr26
                                        ; implicit-def: $sgpr27
	s_delay_alu instid0(VALU_DEP_3)
	v_add3_u32 v17, v21, v17, v20
	s_branch .LBB16_57
.LBB16_56:                              ;   in Loop: Header=BB16_57 Depth=1
	s_or_b32 exec_lo, exec_lo, s28
	s_delay_alu instid0(SALU_CYCLE_1) | instskip(NEXT) | instid1(SALU_CYCLE_1)
	s_and_b32 s1, exec_lo, s25
	s_or_b32 s19, s1, s19
	s_and_not1_b32 s1, s27, exec_lo
	s_and_b32 s27, s26, exec_lo
	s_and_not1_b32 s23, s23, exec_lo
	s_or_b32 s27, s1, s27
	s_and_b32 s1, s24, exec_lo
	s_and_not1_b32 s22, s22, exec_lo
	s_and_b32 s0, s0, exec_lo
	s_or_b32 s23, s23, s1
	s_or_b32 s22, s22, s0
	s_and_not1_b32 exec_lo, exec_lo, s19
	s_cbranch_execz .LBB16_59
.LBB16_57:                              ; =>This Inner Loop Header: Depth=1
	global_load_u8 v20, v[18:19], off
	global_load_u8 v21, v[16:17], off
	s_and_not1_b32 s26, s26, exec_lo
	s_or_b32 s24, s24, exec_lo
	s_or_b32 s25, s25, exec_lo
	s_waitcnt vmcnt(1)
	v_and_b32_e32 v20, 0xff, v20
	s_waitcnt vmcnt(0)
	v_and_b32_e32 v21, 0xff, v21
	s_delay_alu instid0(VALU_DEP_1)
	v_cmp_le_u16_e32 vcc_lo, v20, v21
	v_cmp_lt_u16_e64 s0, v20, v21
	s_and_b32 s28, vcc_lo, s27
	s_delay_alu instid0(VALU_DEP_1) | instid1(SALU_CYCLE_1)
	s_or_b32 s0, s0, s28
	s_mov_b32 s28, exec_lo
	v_cmpx_eq_u16_e64 v20, v21
	s_cbranch_execz .LBB16_56
; %bb.58:                               ;   in Loop: Header=BB16_57 Depth=1
	s_add_u32 s20, s20, -1
	s_addc_u32 s21, s21, -1
	v_add_co_u32 v18, vcc_lo, v18, 1
	s_cmp_eq_u64 s[20:21], 0
	v_add_co_ci_u32_e32 v19, vcc_lo, 0, v19, vcc_lo
	v_add_co_u32 v16, vcc_lo, v16, 1
	s_cselect_b32 s1, -1, 0
	v_add_co_ci_u32_e32 v17, vcc_lo, 0, v17, vcc_lo
	s_and_not1_b32 s26, s26, exec_lo
	s_and_b32 s27, s0, exec_lo
	s_and_not1_b32 s25, s25, exec_lo
	s_and_b32 s1, s1, exec_lo
	s_or_b32 s26, s26, s27
	s_and_not1_b32 s24, s24, exec_lo
	s_or_b32 s25, s25, s1
                                        ; implicit-def: $sgpr27
	s_branch .LBB16_56
.LBB16_59:
	s_or_b32 exec_lo, exec_lo, s19
	s_and_saveexec_b32 s0, s23
	s_delay_alu instid0(SALU_CYCLE_1)
	s_xor_b32 s0, exec_lo, s0
; %bb.60:
	v_cndmask_b32_e64 v5, v5, v11, s22
	v_cndmask_b32_e64 v4, v4, v10, s22
	;; [unrolled: 1-line block ×4, first 2 shown]
; %bb.61:
	s_or_b32 exec_lo, exec_lo, s0
.LBB16_62:
	s_delay_alu instid0(SALU_CYCLE_1) | instskip(SKIP_4) | instid1(VALU_DEP_2)
	s_or_b32 exec_lo, exec_lo, s12
	v_mbcnt_lo_u32_b32 v11, -1, 0
	v_and_b32_e32 v10, 0xffffff80, v40
	s_mov_b32 s1, 0
	s_mov_b32 s12, exec_lo
	v_lshlrev_b32_e32 v18, 2, v11
	s_delay_alu instid0(VALU_DEP_2) | instskip(SKIP_2) | instid1(VALU_DEP_4)
	v_sub_nc_u32_e64 v17, 0x400, v10 clamp
	v_lshlrev_b32_e32 v16, 3, v10
	v_mov_b32_e32 v10, v2
	v_or_b32_e32 v14, 4, v18
	v_and_b32_e32 v19, 4, v18
	v_and_b32_e32 v22, 0x78, v18
	s_delay_alu instid0(VALU_DEP_3) | instskip(NEXT) | instid1(VALU_DEP_3)
	v_min_u32_e32 v14, v17, v14
	v_min_u32_e32 v23, v17, v19
	v_lshl_or_b32 v19, v11, 5, v16
	v_mov_b32_e32 v11, v3
	ds_store_b128 v19, v[8:11]
	ds_store_b128 v19, v[4:7] offset:16
	v_add_nc_u32_e32 v15, 4, v14
	v_sub_nc_u32_e32 v21, v14, v22
	; wave barrier
	s_delay_alu instid0(VALU_DEP_2) | instskip(NEXT) | instid1(VALU_DEP_2)
	v_min_u32_e32 v15, v17, v15
	v_min_u32_e32 v24, v23, v21
	v_lshl_or_b32 v21, v22, 3, v16
	s_delay_alu instid0(VALU_DEP_3) | instskip(NEXT) | instid1(VALU_DEP_1)
	v_sub_nc_u32_e32 v20, v15, v14
	v_sub_nc_u32_e64 v20, v23, v20 clamp
	s_delay_alu instid0(VALU_DEP_1)
	v_cmpx_lt_u32_e64 v20, v24
	s_cbranch_execz .LBB16_73
; %bb.63:
	v_lshlrev_b32_e32 v8, 3, v14
	v_lshlrev_b32_e32 v9, 3, v23
	s_delay_alu instid0(VALU_DEP_1)
	v_add3_u32 v25, v16, v8, v9
	s_branch .LBB16_66
.LBB16_64:                              ;   in Loop: Header=BB16_66 Depth=1
	s_or_b32 exec_lo, exec_lo, s19
.LBB16_65:                              ;   in Loop: Header=BB16_66 Depth=1
	s_delay_alu instid0(VALU_DEP_1) | instskip(SKIP_1) | instid1(VALU_DEP_2)
	v_add_nc_u32_e32 v8, 1, v40
	v_cndmask_b32_e64 v24, v24, v40, s22
	v_cndmask_b32_e64 v20, v8, v20, s22
	s_delay_alu instid0(VALU_DEP_1) | instskip(SKIP_1) | instid1(SALU_CYCLE_1)
	v_cmp_ge_u32_e32 vcc_lo, v20, v24
	s_or_b32 s1, vcc_lo, s1
	s_and_not1_b32 exec_lo, exec_lo, s1
	s_cbranch_execz .LBB16_72
.LBB16_66:                              ; =>This Loop Header: Depth=1
                                        ;     Child Loop BB16_69 Depth 2
	v_add_nc_u32_e32 v8, v24, v20
	s_and_not1_b32 vcc_lo, exec_lo, s7
	s_delay_alu instid0(VALU_DEP_1)
	v_lshrrev_b32_e32 v40, 1, v8
	s_cbranch_vccnz .LBB16_71
; %bb.67:                               ;   in Loop: Header=BB16_66 Depth=1
	s_delay_alu instid0(VALU_DEP_1) | instskip(SKIP_3) | instid1(VALU_DEP_2)
	v_not_b32_e32 v8, v40
	v_lshl_add_u32 v9, v40, 3, v21
	s_mov_b32 s19, 0
	s_mov_b64 s[20:21], s[8:9]
                                        ; implicit-def: $sgpr22
                                        ; implicit-def: $sgpr23
                                        ; implicit-def: $sgpr24
                                        ; implicit-def: $sgpr25
                                        ; implicit-def: $sgpr26
	v_lshl_add_u32 v8, v8, 3, v25
	ds_load_b64 v[10:11], v8
	ds_load_b64 v[41:42], v9
	s_waitcnt lgkmcnt(1)
	v_mul_lo_u32 v43, v10, s9
	v_mul_lo_u32 v44, v11, s8
	v_mad_u64_u32 v[8:9], null, v10, s8, s[10:11]
	s_waitcnt lgkmcnt(0)
	v_mul_lo_u32 v45, v41, s9
	v_mul_lo_u32 v42, v42, s8
	v_mad_u64_u32 v[10:11], null, v41, s8, s[10:11]
	s_delay_alu instid0(VALU_DEP_4) | instskip(NEXT) | instid1(VALU_DEP_2)
	v_add3_u32 v9, v44, v9, v43
	v_add3_u32 v11, v42, v11, v45
	s_branch .LBB16_69
.LBB16_68:                              ;   in Loop: Header=BB16_69 Depth=2
	s_or_b32 exec_lo, exec_lo, s0
	s_delay_alu instid0(SALU_CYCLE_1) | instskip(NEXT) | instid1(SALU_CYCLE_1)
	s_and_b32 s0, exec_lo, s23
	s_or_b32 s19, s0, s19
	s_and_not1_b32 s0, s26, exec_lo
	s_and_b32 s26, s24, exec_lo
	s_and_not1_b32 s22, s22, exec_lo
	s_and_b32 s27, s25, exec_lo
	s_or_b32 s26, s0, s26
	s_or_b32 s22, s22, s27
	s_and_not1_b32 exec_lo, exec_lo, s19
	s_cbranch_execz .LBB16_64
.LBB16_69:                              ;   Parent Loop BB16_66 Depth=1
                                        ; =>  This Inner Loop Header: Depth=2
	global_load_u8 v41, v[8:9], off
	global_load_u8 v42, v[10:11], off
	s_and_not1_b32 s25, s25, exec_lo
	s_and_not1_b32 s24, s24, exec_lo
	s_or_b32 s23, s23, exec_lo
	s_waitcnt vmcnt(1)
	v_and_b32_e32 v41, 0xff, v41
	s_waitcnt vmcnt(0)
	v_and_b32_e32 v42, 0xff, v42
	s_delay_alu instid0(VALU_DEP_1)
	v_cmp_le_u16_e32 vcc_lo, v41, v42
	v_cmp_lt_u16_e64 s0, v41, v42
	s_and_b32 s27, vcc_lo, s26
	s_delay_alu instid0(VALU_DEP_1) | instid1(SALU_CYCLE_1)
	s_or_b32 s27, s0, s27
	s_delay_alu instid0(SALU_CYCLE_1) | instskip(NEXT) | instid1(SALU_CYCLE_1)
	s_and_b32 s0, s27, exec_lo
	s_or_b32 s25, s25, s0
	s_mov_b32 s0, exec_lo
	v_cmpx_eq_u16_e64 v41, v42
	s_cbranch_execz .LBB16_68
; %bb.70:                               ;   in Loop: Header=BB16_69 Depth=2
	s_add_u32 s20, s20, -1
	s_addc_u32 s21, s21, -1
	v_add_co_u32 v8, vcc_lo, v8, 1
	s_cmp_eq_u64 s[20:21], 0
	v_add_co_ci_u32_e32 v9, vcc_lo, 0, v9, vcc_lo
	s_cselect_b32 s26, -1, 0
	v_add_co_u32 v10, vcc_lo, v10, 1
	s_and_not1_b32 s24, s24, exec_lo
	s_and_b32 s27, s27, exec_lo
	s_and_not1_b32 s23, s23, exec_lo
	s_and_b32 s26, s26, exec_lo
	v_add_co_ci_u32_e32 v11, vcc_lo, 0, v11, vcc_lo
	s_and_not1_b32 s25, s25, exec_lo
	s_or_b32 s24, s24, s27
	s_or_b32 s23, s23, s26
                                        ; implicit-def: $sgpr26
	s_branch .LBB16_68
.LBB16_71:                              ;   in Loop: Header=BB16_66 Depth=1
	s_mov_b32 s22, 0
	s_branch .LBB16_65
.LBB16_72:
	s_or_b32 exec_lo, exec_lo, s1
.LBB16_73:
	s_delay_alu instid0(SALU_CYCLE_1) | instskip(SKIP_2) | instid1(VALU_DEP_2)
	s_or_b32 exec_lo, exec_lo, s12
	v_add_nc_u32_e32 v9, v14, v23
	v_add_nc_u32_e32 v8, v20, v22
	v_sub_nc_u32_e32 v9, v9, v20
	s_delay_alu instid0(VALU_DEP_2) | instskip(NEXT) | instid1(VALU_DEP_2)
	v_cmp_le_u32_e32 vcc_lo, v8, v14
	v_cmp_le_u32_e64 s0, v9, v15
	s_delay_alu instid0(VALU_DEP_1) | instskip(NEXT) | instid1(SALU_CYCLE_1)
	s_or_b32 s0, vcc_lo, s0
	s_and_saveexec_b32 s1, s0
	s_cbranch_execz .LBB16_120
; %bb.74:
	v_cmp_ge_u32_e32 vcc_lo, v8, v14
	s_mov_b32 s12, exec_lo
                                        ; implicit-def: $vgpr0_vgpr1
	v_cmpx_lt_u32_e64 v8, v14
	s_cbranch_execz .LBB16_76
; %bb.75:
	v_lshl_add_u32 v0, v20, 3, v21
	ds_load_b64 v[0:1], v0
.LBB16_76:
	s_or_b32 exec_lo, exec_lo, s12
	v_cmp_ge_u32_e64 s12, v9, v15
	s_mov_b32 s19, exec_lo
                                        ; implicit-def: $vgpr2_vgpr3
	v_cmpx_lt_u32_e64 v9, v15
	s_cbranch_execz .LBB16_78
; %bb.77:
	v_lshl_add_u32 v2, v9, 3, v16
	ds_load_b64 v[2:3], v2
.LBB16_78:
	s_or_b32 exec_lo, exec_lo, s19
	s_or_b32 s0, vcc_lo, s12
	s_mov_b32 s19, -1
	s_xor_b32 s0, s0, -1
	s_delay_alu instid0(SALU_CYCLE_1)
	s_and_saveexec_b32 s22, s0
	s_cbranch_execz .LBB16_87
; %bb.79:
	s_and_not1_b32 vcc_lo, exec_lo, s7
	s_cbranch_vccnz .LBB16_85
; %bb.80:
	s_waitcnt lgkmcnt(0)
	v_mad_u64_u32 v[4:5], null, v2, s8, s[10:11]
	v_mul_lo_u32 v10, v2, s9
	v_mul_lo_u32 v11, v3, s8
	v_mad_u64_u32 v[6:7], null, v0, s8, s[10:11]
	v_mul_lo_u32 v20, v0, s9
	v_mul_lo_u32 v21, v1, s8
	s_mov_b32 s23, 0
	s_mov_b64 s[20:21], s[8:9]
                                        ; implicit-def: $sgpr24
                                        ; implicit-def: $sgpr25
                                        ; implicit-def: $sgpr26
                                        ; implicit-def: $sgpr27
                                        ; implicit-def: $sgpr28
	s_delay_alu instid0(VALU_DEP_4) | instskip(NEXT) | instid1(VALU_DEP_2)
	v_add3_u32 v5, v11, v5, v10
	v_add3_u32 v7, v21, v7, v20
	s_branch .LBB16_82
.LBB16_81:                              ;   in Loop: Header=BB16_82 Depth=1
	s_or_b32 exec_lo, exec_lo, s0
	s_delay_alu instid0(SALU_CYCLE_1) | instskip(NEXT) | instid1(SALU_CYCLE_1)
	s_and_b32 s0, exec_lo, s25
	s_or_b32 s23, s0, s23
	s_and_not1_b32 s0, s28, exec_lo
	s_and_b32 s28, s27, exec_lo
	s_and_not1_b32 s24, s24, exec_lo
	s_and_b32 s29, s26, exec_lo
	s_or_b32 s28, s0, s28
	s_or_b32 s24, s24, s29
	s_and_not1_b32 exec_lo, exec_lo, s23
	s_cbranch_execz .LBB16_84
.LBB16_82:                              ; =>This Inner Loop Header: Depth=1
	global_load_u8 v10, v[4:5], off
	global_load_u8 v11, v[6:7], off
	s_and_not1_b32 s26, s26, exec_lo
	s_and_not1_b32 s27, s27, exec_lo
	s_or_b32 s25, s25, exec_lo
	s_waitcnt vmcnt(1)
	v_and_b32_e32 v10, 0xff, v10
	s_waitcnt vmcnt(0)
	v_and_b32_e32 v11, 0xff, v11
	s_delay_alu instid0(VALU_DEP_1)
	v_cmp_le_u16_e32 vcc_lo, v10, v11
	v_cmp_lt_u16_e64 s0, v10, v11
	s_and_b32 s29, vcc_lo, s28
	s_delay_alu instid0(VALU_DEP_1) | instid1(SALU_CYCLE_1)
	s_or_b32 s29, s0, s29
	s_delay_alu instid0(SALU_CYCLE_1) | instskip(NEXT) | instid1(SALU_CYCLE_1)
	s_and_b32 s0, s29, exec_lo
	s_or_b32 s26, s26, s0
	s_mov_b32 s0, exec_lo
	v_cmpx_eq_u16_e64 v10, v11
	s_cbranch_execz .LBB16_81
; %bb.83:                               ;   in Loop: Header=BB16_82 Depth=1
	s_add_u32 s20, s20, -1
	s_addc_u32 s21, s21, -1
	v_add_co_u32 v4, vcc_lo, v4, 1
	s_cmp_eq_u64 s[20:21], 0
	v_add_co_ci_u32_e32 v5, vcc_lo, 0, v5, vcc_lo
	s_cselect_b32 s28, -1, 0
	s_and_not1_b32 s27, s27, exec_lo
	s_and_b32 s29, s29, exec_lo
	v_add_co_u32 v6, vcc_lo, v6, 1
	s_and_not1_b32 s25, s25, exec_lo
	s_and_b32 s28, s28, exec_lo
	v_add_co_ci_u32_e32 v7, vcc_lo, 0, v7, vcc_lo
	s_or_b32 s27, s27, s29
	s_and_not1_b32 s26, s26, exec_lo
	s_or_b32 s25, s25, s28
                                        ; implicit-def: $sgpr28
	s_branch .LBB16_81
.LBB16_84:
	s_or_b32 exec_lo, exec_lo, s23
	s_xor_b32 s0, s24, -1
	s_branch .LBB16_86
.LBB16_85:
	s_mov_b32 s0, -1
.LBB16_86:
	s_and_not1_b32 s12, s12, exec_lo
	s_and_b32 s0, s0, exec_lo
	s_delay_alu instid0(SALU_CYCLE_1)
	s_or_b32 s12, s12, s0
.LBB16_87:
	s_or_b32 exec_lo, exec_lo, s22
	v_cndmask_b32_e64 v4, v9, v8, s12
	v_cndmask_b32_e64 v5, v15, v14, s12
	s_mov_b32 s22, exec_lo
	s_delay_alu instid0(VALU_DEP_2) | instskip(NEXT) | instid1(VALU_DEP_2)
	v_add_nc_u32_e32 v6, 1, v4
	v_add_nc_u32_e32 v4, -1, v5
	s_delay_alu instid0(VALU_DEP_2) | instskip(NEXT) | instid1(VALU_DEP_2)
	v_cndmask_b32_e64 v9, v6, v9, s12
	v_min_u32_e32 v4, v6, v4
	v_cndmask_b32_e64 v8, v8, v6, s12
	s_delay_alu instid0(VALU_DEP_2)
	v_lshl_add_u32 v4, v4, 3, v16
	ds_load_b64 v[4:5], v4
	s_waitcnt lgkmcnt(0)
	v_cndmask_b32_e64 v20, v5, v3, s12
	v_cndmask_b32_e64 v21, v4, v2, s12
	;; [unrolled: 1-line block ×4, first 2 shown]
	v_cmpx_lt_u32_e64 v9, v15
	s_cbranch_execz .LBB16_98
; %bb.88:
	s_mov_b32 s0, 0
	s_mov_b32 s19, exec_lo
	v_cmpx_lt_u32_e64 v8, v14
	s_cbranch_execz .LBB16_97
; %bb.89:
	s_and_not1_b32 vcc_lo, exec_lo, s7
	s_cbranch_vccnz .LBB16_95
; %bb.90:
	v_mad_u64_u32 v[4:5], null, v21, s8, s[10:11]
	v_mul_lo_u32 v10, v21, s9
	v_mul_lo_u32 v11, v20, s8
	v_mad_u64_u32 v[6:7], null, v23, s8, s[10:11]
	v_mul_lo_u32 v24, v23, s9
	v_mul_lo_u32 v25, v22, s8
	s_mov_b32 s23, 0
	s_mov_b64 s[20:21], s[8:9]
                                        ; implicit-def: $sgpr24
                                        ; implicit-def: $sgpr25
                                        ; implicit-def: $sgpr26
                                        ; implicit-def: $sgpr27
                                        ; implicit-def: $sgpr28
	s_delay_alu instid0(VALU_DEP_4) | instskip(NEXT) | instid1(VALU_DEP_2)
	v_add3_u32 v5, v11, v5, v10
	v_add3_u32 v7, v25, v7, v24
	s_branch .LBB16_92
.LBB16_91:                              ;   in Loop: Header=BB16_92 Depth=1
	s_or_b32 exec_lo, exec_lo, s0
	s_delay_alu instid0(SALU_CYCLE_1) | instskip(NEXT) | instid1(SALU_CYCLE_1)
	s_and_b32 s0, exec_lo, s25
	s_or_b32 s23, s0, s23
	s_and_not1_b32 s0, s28, exec_lo
	s_and_b32 s28, s27, exec_lo
	s_and_not1_b32 s24, s24, exec_lo
	s_and_b32 s29, s26, exec_lo
	s_or_b32 s28, s0, s28
	s_or_b32 s24, s24, s29
	s_and_not1_b32 exec_lo, exec_lo, s23
	s_cbranch_execz .LBB16_94
.LBB16_92:                              ; =>This Inner Loop Header: Depth=1
	global_load_u8 v10, v[4:5], off
	global_load_u8 v11, v[6:7], off
	s_and_not1_b32 s26, s26, exec_lo
	s_and_not1_b32 s27, s27, exec_lo
	s_or_b32 s25, s25, exec_lo
	s_waitcnt vmcnt(1)
	v_and_b32_e32 v10, 0xff, v10
	s_waitcnt vmcnt(0)
	v_and_b32_e32 v11, 0xff, v11
	s_delay_alu instid0(VALU_DEP_1)
	v_cmp_le_u16_e32 vcc_lo, v10, v11
	v_cmp_lt_u16_e64 s0, v10, v11
	s_and_b32 s29, vcc_lo, s28
	s_delay_alu instid0(VALU_DEP_1) | instid1(SALU_CYCLE_1)
	s_or_b32 s29, s0, s29
	s_delay_alu instid0(SALU_CYCLE_1) | instskip(NEXT) | instid1(SALU_CYCLE_1)
	s_and_b32 s0, s29, exec_lo
	s_or_b32 s26, s26, s0
	s_mov_b32 s0, exec_lo
	v_cmpx_eq_u16_e64 v10, v11
	s_cbranch_execz .LBB16_91
; %bb.93:                               ;   in Loop: Header=BB16_92 Depth=1
	s_add_u32 s20, s20, -1
	s_addc_u32 s21, s21, -1
	v_add_co_u32 v4, vcc_lo, v4, 1
	s_cmp_eq_u64 s[20:21], 0
	v_add_co_ci_u32_e32 v5, vcc_lo, 0, v5, vcc_lo
	v_add_co_u32 v6, vcc_lo, v6, 1
	s_cselect_b32 s28, -1, 0
	v_add_co_ci_u32_e32 v7, vcc_lo, 0, v7, vcc_lo
	s_and_not1_b32 s27, s27, exec_lo
	s_and_b32 s29, s29, exec_lo
	s_and_not1_b32 s25, s25, exec_lo
	s_and_b32 s28, s28, exec_lo
	s_or_b32 s27, s27, s29
	s_and_not1_b32 s26, s26, exec_lo
	s_or_b32 s25, s25, s28
                                        ; implicit-def: $sgpr28
	s_branch .LBB16_91
.LBB16_94:
	s_or_b32 exec_lo, exec_lo, s23
	s_xor_b32 s0, s24, -1
	s_branch .LBB16_96
.LBB16_95:
	s_mov_b32 s0, -1
.LBB16_96:
	s_delay_alu instid0(SALU_CYCLE_1)
	s_and_b32 s0, s0, exec_lo
.LBB16_97:
	s_or_b32 exec_lo, exec_lo, s19
	s_delay_alu instid0(SALU_CYCLE_1)
	s_or_not1_b32 s19, s0, exec_lo
.LBB16_98:
	s_or_b32 exec_lo, exec_lo, s22
	v_cndmask_b32_e64 v4, v9, v8, s19
	v_cndmask_b32_e64 v5, v15, v14, s19
	s_mov_b32 s22, -1
	s_mov_b32 s23, exec_lo
	s_delay_alu instid0(VALU_DEP_2) | instskip(NEXT) | instid1(VALU_DEP_2)
	v_add_nc_u32_e32 v6, 1, v4
	v_add_nc_u32_e32 v4, -1, v5
	s_delay_alu instid0(VALU_DEP_2) | instskip(NEXT) | instid1(VALU_DEP_2)
	v_cndmask_b32_e64 v9, v6, v9, s19
	v_min_u32_e32 v4, v6, v4
	v_cndmask_b32_e64 v8, v8, v6, s19
	s_delay_alu instid0(VALU_DEP_2)
	v_lshl_add_u32 v4, v4, 3, v16
	ds_load_b64 v[4:5], v4
	s_waitcnt lgkmcnt(0)
	v_cndmask_b32_e64 v24, v5, v20, s19
	v_cndmask_b32_e64 v25, v4, v21, s19
	;; [unrolled: 1-line block ×4, first 2 shown]
	v_cmpx_lt_u32_e64 v9, v15
	s_cbranch_execz .LBB16_109
; %bb.99:
	s_mov_b32 s0, 0
	s_mov_b32 s22, exec_lo
	v_cmpx_lt_u32_e64 v8, v14
	s_cbranch_execz .LBB16_108
; %bb.100:
	s_and_not1_b32 vcc_lo, exec_lo, s7
	s_cbranch_vccnz .LBB16_106
; %bb.101:
	v_mad_u64_u32 v[4:5], null, v25, s8, s[10:11]
	v_mul_lo_u32 v10, v25, s9
	v_mul_lo_u32 v11, v24, s8
	v_mad_u64_u32 v[6:7], null, v41, s8, s[10:11]
	v_mul_lo_u32 v42, v41, s9
	v_mul_lo_u32 v43, v40, s8
	s_mov_b32 s24, 0
	s_mov_b64 s[20:21], s[8:9]
                                        ; implicit-def: $sgpr25
                                        ; implicit-def: $sgpr26
                                        ; implicit-def: $sgpr27
                                        ; implicit-def: $sgpr28
                                        ; implicit-def: $sgpr29
	s_delay_alu instid0(VALU_DEP_4) | instskip(NEXT) | instid1(VALU_DEP_2)
	v_add3_u32 v5, v11, v5, v10
	v_add3_u32 v7, v43, v7, v42
	s_branch .LBB16_103
.LBB16_102:                             ;   in Loop: Header=BB16_103 Depth=1
	s_or_b32 exec_lo, exec_lo, s0
	s_delay_alu instid0(SALU_CYCLE_1) | instskip(NEXT) | instid1(SALU_CYCLE_1)
	s_and_b32 s0, exec_lo, s26
	s_or_b32 s24, s0, s24
	s_and_not1_b32 s0, s29, exec_lo
	s_and_b32 s29, s28, exec_lo
	s_and_not1_b32 s25, s25, exec_lo
	s_and_b32 s30, s27, exec_lo
	s_or_b32 s29, s0, s29
	s_or_b32 s25, s25, s30
	s_and_not1_b32 exec_lo, exec_lo, s24
	s_cbranch_execz .LBB16_105
.LBB16_103:                             ; =>This Inner Loop Header: Depth=1
	global_load_u8 v10, v[4:5], off
	global_load_u8 v11, v[6:7], off
	s_and_not1_b32 s27, s27, exec_lo
	s_and_not1_b32 s28, s28, exec_lo
	s_or_b32 s26, s26, exec_lo
	s_waitcnt vmcnt(1)
	v_and_b32_e32 v10, 0xff, v10
	s_waitcnt vmcnt(0)
	v_and_b32_e32 v11, 0xff, v11
	s_delay_alu instid0(VALU_DEP_1)
	v_cmp_le_u16_e32 vcc_lo, v10, v11
	v_cmp_lt_u16_e64 s0, v10, v11
	s_and_b32 s30, vcc_lo, s29
	s_delay_alu instid0(VALU_DEP_1) | instid1(SALU_CYCLE_1)
	s_or_b32 s30, s0, s30
	s_delay_alu instid0(SALU_CYCLE_1) | instskip(NEXT) | instid1(SALU_CYCLE_1)
	s_and_b32 s0, s30, exec_lo
	s_or_b32 s27, s27, s0
	s_mov_b32 s0, exec_lo
	v_cmpx_eq_u16_e64 v10, v11
	s_cbranch_execz .LBB16_102
; %bb.104:                              ;   in Loop: Header=BB16_103 Depth=1
	s_add_u32 s20, s20, -1
	s_addc_u32 s21, s21, -1
	v_add_co_u32 v4, vcc_lo, v4, 1
	s_cmp_eq_u64 s[20:21], 0
	v_add_co_ci_u32_e32 v5, vcc_lo, 0, v5, vcc_lo
	v_add_co_u32 v6, vcc_lo, v6, 1
	s_cselect_b32 s29, -1, 0
	v_add_co_ci_u32_e32 v7, vcc_lo, 0, v7, vcc_lo
	s_and_not1_b32 s28, s28, exec_lo
	s_and_b32 s30, s30, exec_lo
	s_and_not1_b32 s26, s26, exec_lo
	s_and_b32 s29, s29, exec_lo
	s_or_b32 s28, s28, s30
	s_and_not1_b32 s27, s27, exec_lo
	s_or_b32 s26, s26, s29
                                        ; implicit-def: $sgpr29
	s_branch .LBB16_102
.LBB16_105:
	s_or_b32 exec_lo, exec_lo, s24
	s_xor_b32 s0, s25, -1
	s_branch .LBB16_107
.LBB16_106:
	s_mov_b32 s0, -1
.LBB16_107:
	s_delay_alu instid0(SALU_CYCLE_1)
	s_and_b32 s0, s0, exec_lo
.LBB16_108:
	s_or_b32 exec_lo, exec_lo, s22
	s_delay_alu instid0(SALU_CYCLE_1)
	s_or_not1_b32 s22, s0, exec_lo
.LBB16_109:
	s_or_b32 exec_lo, exec_lo, s23
	v_cndmask_b32_e64 v4, v9, v8, s22
	v_cndmask_b32_e64 v5, v15, v14, s22
	s_mov_b32 s23, exec_lo
	s_delay_alu instid0(VALU_DEP_2) | instskip(NEXT) | instid1(VALU_DEP_2)
	v_add_nc_u32_e32 v10, 1, v4
	v_add_nc_u32_e32 v4, -1, v5
	s_delay_alu instid0(VALU_DEP_2) | instskip(NEXT) | instid1(VALU_DEP_2)
	v_cndmask_b32_e64 v9, v10, v9, s22
	v_min_u32_e32 v4, v10, v4
	s_delay_alu instid0(VALU_DEP_1)
	v_lshl_add_u32 v4, v4, 3, v16
	ds_load_b64 v[4:5], v4
	s_waitcnt lgkmcnt(0)
	v_cndmask_b32_e64 v7, v40, v5, s22
	v_cndmask_b32_e64 v6, v41, v4, s22
	v_cmpx_lt_u32_e64 v9, v15
	s_cbranch_execz .LBB16_119
; %bb.110:
	v_cndmask_b32_e64 v8, v8, v10, s22
	v_cndmask_b32_e64 v5, v5, v24, s22
	v_cndmask_b32_e64 v4, v4, v25, s22
	s_mov_b32 s24, exec_lo
	s_delay_alu instid0(VALU_DEP_3)
	v_cmpx_lt_u32_e64 v8, v14
	s_cbranch_execz .LBB16_118
; %bb.111:
	s_and_not1_b32 vcc_lo, exec_lo, s7
	s_cbranch_vccnz .LBB16_117
; %bb.112:
	v_mad_u64_u32 v[8:9], null, v4, s8, s[10:11]
	v_mul_lo_u32 v14, v4, s9
	v_mul_lo_u32 v15, v5, s8
	v_mad_u64_u32 v[10:11], null, v6, s8, s[10:11]
	v_mul_lo_u32 v42, v6, s9
	v_mul_lo_u32 v43, v7, s8
	s_mov_b32 s25, 0
	s_mov_b64 s[20:21], s[8:9]
                                        ; implicit-def: $sgpr26
                                        ; implicit-def: $sgpr27
                                        ; implicit-def: $sgpr28
                                        ; implicit-def: $sgpr29
                                        ; implicit-def: $sgpr30
	s_delay_alu instid0(VALU_DEP_4) | instskip(NEXT) | instid1(VALU_DEP_2)
	v_add3_u32 v9, v15, v9, v14
	v_add3_u32 v11, v43, v11, v42
	s_branch .LBB16_114
.LBB16_113:                             ;   in Loop: Header=BB16_114 Depth=1
	s_or_b32 exec_lo, exec_lo, s0
	s_delay_alu instid0(SALU_CYCLE_1) | instskip(NEXT) | instid1(SALU_CYCLE_1)
	s_and_b32 s0, exec_lo, s27
	s_or_b32 s25, s0, s25
	s_and_not1_b32 s0, s30, exec_lo
	s_and_b32 s30, s29, exec_lo
	s_and_not1_b32 s26, s26, exec_lo
	s_and_b32 s31, s28, exec_lo
	s_or_b32 s30, s0, s30
	s_or_b32 s26, s26, s31
	s_and_not1_b32 exec_lo, exec_lo, s25
	s_cbranch_execz .LBB16_116
.LBB16_114:                             ; =>This Inner Loop Header: Depth=1
	global_load_u8 v14, v[8:9], off
	global_load_u8 v15, v[10:11], off
	s_and_not1_b32 s28, s28, exec_lo
	s_and_not1_b32 s29, s29, exec_lo
	s_or_b32 s27, s27, exec_lo
	s_waitcnt vmcnt(1)
	v_and_b32_e32 v14, 0xff, v14
	s_waitcnt vmcnt(0)
	v_and_b32_e32 v15, 0xff, v15
	s_delay_alu instid0(VALU_DEP_1)
	v_cmp_le_u16_e32 vcc_lo, v14, v15
	v_cmp_lt_u16_e64 s0, v14, v15
	s_and_b32 s31, vcc_lo, s30
	s_delay_alu instid0(VALU_DEP_1) | instid1(SALU_CYCLE_1)
	s_or_b32 s31, s0, s31
	s_delay_alu instid0(SALU_CYCLE_1) | instskip(NEXT) | instid1(SALU_CYCLE_1)
	s_and_b32 s0, s31, exec_lo
	s_or_b32 s28, s28, s0
	s_mov_b32 s0, exec_lo
	v_cmpx_eq_u16_e64 v14, v15
	s_cbranch_execz .LBB16_113
; %bb.115:                              ;   in Loop: Header=BB16_114 Depth=1
	s_add_u32 s20, s20, -1
	s_addc_u32 s21, s21, -1
	v_add_co_u32 v8, vcc_lo, v8, 1
	s_cmp_eq_u64 s[20:21], 0
	v_add_co_ci_u32_e32 v9, vcc_lo, 0, v9, vcc_lo
	v_add_co_u32 v10, vcc_lo, v10, 1
	s_cselect_b32 s30, -1, 0
	v_add_co_ci_u32_e32 v11, vcc_lo, 0, v11, vcc_lo
	s_and_not1_b32 s29, s29, exec_lo
	s_and_b32 s31, s31, exec_lo
	s_and_not1_b32 s27, s27, exec_lo
	s_and_b32 s30, s30, exec_lo
	s_or_b32 s29, s29, s31
	s_and_not1_b32 s28, s28, exec_lo
	s_or_b32 s27, s27, s30
                                        ; implicit-def: $sgpr30
	s_branch .LBB16_113
.LBB16_116:
	s_or_b32 exec_lo, exec_lo, s25
	v_cndmask_b32_e64 v7, v7, v5, s26
	v_cndmask_b32_e64 v6, v6, v4, s26
.LBB16_117:
	s_delay_alu instid0(VALU_DEP_1)
	v_dual_mov_b32 v4, v6 :: v_dual_mov_b32 v5, v7
.LBB16_118:
	s_or_b32 exec_lo, exec_lo, s24
	s_delay_alu instid0(VALU_DEP_1)
	v_dual_mov_b32 v7, v5 :: v_dual_mov_b32 v6, v4
.LBB16_119:
	s_or_b32 exec_lo, exec_lo, s23
	v_cndmask_b32_e64 v1, v3, v1, s12
	v_cndmask_b32_e64 v0, v2, v0, s12
	;; [unrolled: 1-line block ×6, first 2 shown]
.LBB16_120:
	s_or_b32 exec_lo, exec_lo, s1
	v_and_b32_e32 v22, 0x70, v18
	v_and_b32_e32 v9, 12, v18
	s_mov_b32 s1, exec_lo
	; wave barrier
	s_delay_alu instid0(VALU_DEP_2) | instskip(NEXT) | instid1(VALU_DEP_2)
	v_or_b32_e32 v8, 8, v22
	v_min_u32_e32 v23, v17, v9
	v_lshl_add_u32 v21, v22, 3, v16
	ds_store_b128 v19, v[0:3]
	ds_store_b128 v19, v[4:7] offset:16
	v_min_u32_e32 v14, v17, v8
	; wave barrier
	s_delay_alu instid0(VALU_DEP_1) | instskip(SKIP_1) | instid1(VALU_DEP_2)
	v_add_nc_u32_e32 v8, 8, v14
	v_sub_nc_u32_e32 v9, v14, v22
	v_min_u32_e32 v15, v17, v8
	s_delay_alu instid0(VALU_DEP_2) | instskip(NEXT) | instid1(VALU_DEP_2)
	v_min_u32_e32 v24, v23, v9
	v_sub_nc_u32_e32 v8, v15, v14
	s_delay_alu instid0(VALU_DEP_1) | instskip(NEXT) | instid1(VALU_DEP_1)
	v_sub_nc_u32_e64 v20, v23, v8 clamp
	v_cmpx_lt_u32_e64 v20, v24
	s_cbranch_execz .LBB16_130
; %bb.121:
	v_lshlrev_b32_e32 v8, 3, v14
	v_lshlrev_b32_e32 v9, 3, v23
	s_mov_b32 s12, 0
	s_delay_alu instid0(VALU_DEP_1)
	v_add3_u32 v25, v16, v8, v9
	s_branch .LBB16_124
.LBB16_122:                             ;   in Loop: Header=BB16_124 Depth=1
	s_or_b32 exec_lo, exec_lo, s19
.LBB16_123:                             ;   in Loop: Header=BB16_124 Depth=1
	s_delay_alu instid0(VALU_DEP_1) | instskip(SKIP_1) | instid1(VALU_DEP_2)
	v_add_nc_u32_e32 v8, 1, v40
	v_cndmask_b32_e64 v24, v24, v40, s22
	v_cndmask_b32_e64 v20, v8, v20, s22
	s_delay_alu instid0(VALU_DEP_1) | instskip(SKIP_1) | instid1(SALU_CYCLE_1)
	v_cmp_ge_u32_e32 vcc_lo, v20, v24
	s_or_b32 s12, vcc_lo, s12
	s_and_not1_b32 exec_lo, exec_lo, s12
	s_cbranch_execz .LBB16_129
.LBB16_124:                             ; =>This Loop Header: Depth=1
                                        ;     Child Loop BB16_127 Depth 2
	v_add_nc_u32_e32 v8, v24, v20
	s_and_not1_b32 vcc_lo, exec_lo, s7
	s_mov_b32 s22, 0
	s_delay_alu instid0(VALU_DEP_1)
	v_lshrrev_b32_e32 v40, 1, v8
	s_cbranch_vccnz .LBB16_123
; %bb.125:                              ;   in Loop: Header=BB16_124 Depth=1
	s_delay_alu instid0(VALU_DEP_1) | instskip(SKIP_3) | instid1(VALU_DEP_2)
	v_not_b32_e32 v8, v40
	v_lshl_add_u32 v9, v40, 3, v21
	s_mov_b32 s19, 0
	s_mov_b64 s[20:21], s[8:9]
                                        ; implicit-def: $sgpr22
                                        ; implicit-def: $sgpr23
                                        ; implicit-def: $sgpr24
                                        ; implicit-def: $sgpr25
                                        ; implicit-def: $sgpr26
	v_lshl_add_u32 v8, v8, 3, v25
	ds_load_b64 v[10:11], v8
	ds_load_b64 v[41:42], v9
	s_waitcnt lgkmcnt(1)
	v_mul_lo_u32 v43, v10, s9
	v_mul_lo_u32 v44, v11, s8
	v_mad_u64_u32 v[8:9], null, v10, s8, s[10:11]
	s_waitcnt lgkmcnt(0)
	v_mul_lo_u32 v45, v41, s9
	v_mul_lo_u32 v42, v42, s8
	v_mad_u64_u32 v[10:11], null, v41, s8, s[10:11]
	s_delay_alu instid0(VALU_DEP_4) | instskip(NEXT) | instid1(VALU_DEP_2)
	v_add3_u32 v9, v44, v9, v43
	v_add3_u32 v11, v42, v11, v45
	s_branch .LBB16_127
.LBB16_126:                             ;   in Loop: Header=BB16_127 Depth=2
	s_or_b32 exec_lo, exec_lo, s27
	s_delay_alu instid0(SALU_CYCLE_1) | instskip(NEXT) | instid1(SALU_CYCLE_1)
	s_and_b32 s0, exec_lo, s23
	s_or_b32 s19, s0, s19
	s_and_not1_b32 s0, s26, exec_lo
	s_and_b32 s26, s24, exec_lo
	s_and_not1_b32 s22, s22, exec_lo
	s_and_b32 s27, s25, exec_lo
	s_or_b32 s26, s0, s26
	s_or_b32 s22, s22, s27
	s_and_not1_b32 exec_lo, exec_lo, s19
	s_cbranch_execz .LBB16_122
.LBB16_127:                             ;   Parent Loop BB16_124 Depth=1
                                        ; =>  This Inner Loop Header: Depth=2
	global_load_u8 v41, v[8:9], off
	global_load_u8 v42, v[10:11], off
	s_and_not1_b32 s25, s25, exec_lo
	s_and_not1_b32 s24, s24, exec_lo
	s_or_b32 s23, s23, exec_lo
	s_waitcnt vmcnt(1)
	v_and_b32_e32 v41, 0xff, v41
	s_waitcnt vmcnt(0)
	v_and_b32_e32 v42, 0xff, v42
	s_delay_alu instid0(VALU_DEP_1)
	v_cmp_le_u16_e32 vcc_lo, v41, v42
	v_cmp_lt_u16_e64 s0, v41, v42
	s_and_b32 s27, vcc_lo, s26
	s_delay_alu instid0(VALU_DEP_1) | instid1(SALU_CYCLE_1)
	s_or_b32 s0, s0, s27
	s_delay_alu instid0(SALU_CYCLE_1) | instskip(NEXT) | instid1(SALU_CYCLE_1)
	s_and_b32 s27, s0, exec_lo
	s_or_b32 s25, s25, s27
	s_mov_b32 s27, exec_lo
	v_cmpx_eq_u16_e64 v41, v42
	s_cbranch_execz .LBB16_126
; %bb.128:                              ;   in Loop: Header=BB16_127 Depth=2
	s_add_u32 s20, s20, -1
	s_addc_u32 s21, s21, -1
	v_add_co_u32 v8, vcc_lo, v8, 1
	v_add_co_ci_u32_e32 v9, vcc_lo, 0, v9, vcc_lo
	s_cmp_eq_u64 s[20:21], 0
	v_add_co_u32 v10, vcc_lo, v10, 1
	s_cselect_b32 s26, -1, 0
	v_add_co_ci_u32_e32 v11, vcc_lo, 0, v11, vcc_lo
	s_and_not1_b32 s24, s24, exec_lo
	s_and_b32 s0, s0, exec_lo
	s_and_not1_b32 s23, s23, exec_lo
	s_and_b32 s26, s26, exec_lo
	s_and_not1_b32 s25, s25, exec_lo
	s_or_b32 s24, s24, s0
	s_or_b32 s23, s23, s26
                                        ; implicit-def: $sgpr26
	s_branch .LBB16_126
.LBB16_129:
	s_or_b32 exec_lo, exec_lo, s12
.LBB16_130:
	s_delay_alu instid0(SALU_CYCLE_1) | instskip(SKIP_2) | instid1(VALU_DEP_2)
	s_or_b32 exec_lo, exec_lo, s1
	v_add_nc_u32_e32 v9, v14, v23
	v_add_nc_u32_e32 v8, v20, v22
	v_sub_nc_u32_e32 v9, v9, v20
	s_delay_alu instid0(VALU_DEP_2) | instskip(NEXT) | instid1(VALU_DEP_2)
	v_cmp_le_u32_e32 vcc_lo, v8, v14
	v_cmp_le_u32_e64 s0, v9, v15
	s_delay_alu instid0(VALU_DEP_1) | instskip(NEXT) | instid1(SALU_CYCLE_1)
	s_or_b32 s0, vcc_lo, s0
	s_and_saveexec_b32 s1, s0
	s_cbranch_execz .LBB16_177
; %bb.131:
	v_cmp_ge_u32_e32 vcc_lo, v8, v14
	s_mov_b32 s12, exec_lo
                                        ; implicit-def: $vgpr0_vgpr1
	v_cmpx_lt_u32_e64 v8, v14
	s_cbranch_execz .LBB16_133
; %bb.132:
	v_lshl_add_u32 v0, v20, 3, v21
	ds_load_b64 v[0:1], v0
.LBB16_133:
	s_or_b32 exec_lo, exec_lo, s12
	v_cmp_ge_u32_e64 s12, v9, v15
	s_mov_b32 s19, exec_lo
                                        ; implicit-def: $vgpr4_vgpr5
	v_cmpx_lt_u32_e64 v9, v15
	s_cbranch_execz .LBB16_135
; %bb.134:
	v_lshl_add_u32 v2, v9, 3, v16
	ds_load_b64 v[4:5], v2
.LBB16_135:
	s_or_b32 exec_lo, exec_lo, s19
	s_or_b32 s0, vcc_lo, s12
	s_mov_b32 s19, -1
	s_xor_b32 s0, s0, -1
	s_delay_alu instid0(SALU_CYCLE_1)
	s_and_saveexec_b32 s22, s0
	s_cbranch_execz .LBB16_144
; %bb.136:
	s_and_not1_b32 vcc_lo, exec_lo, s7
	s_cbranch_vccnz .LBB16_142
; %bb.137:
	s_waitcnt lgkmcnt(0)
	v_mad_u64_u32 v[2:3], null, v4, s8, s[10:11]
	v_mul_lo_u32 v10, v4, s9
	v_mul_lo_u32 v11, v5, s8
	v_mad_u64_u32 v[6:7], null, v0, s8, s[10:11]
	v_mul_lo_u32 v20, v0, s9
	v_mul_lo_u32 v21, v1, s8
	s_mov_b32 s23, 0
	s_mov_b64 s[20:21], s[8:9]
                                        ; implicit-def: $sgpr24
                                        ; implicit-def: $sgpr25
                                        ; implicit-def: $sgpr26
                                        ; implicit-def: $sgpr27
                                        ; implicit-def: $sgpr28
	s_delay_alu instid0(VALU_DEP_4) | instskip(NEXT) | instid1(VALU_DEP_2)
	v_add3_u32 v3, v11, v3, v10
	v_add3_u32 v7, v21, v7, v20
	s_branch .LBB16_139
.LBB16_138:                             ;   in Loop: Header=BB16_139 Depth=1
	s_or_b32 exec_lo, exec_lo, s0
	s_delay_alu instid0(SALU_CYCLE_1) | instskip(NEXT) | instid1(SALU_CYCLE_1)
	s_and_b32 s0, exec_lo, s25
	s_or_b32 s23, s0, s23
	s_and_not1_b32 s0, s28, exec_lo
	s_and_b32 s28, s27, exec_lo
	s_and_not1_b32 s24, s24, exec_lo
	s_and_b32 s29, s26, exec_lo
	s_or_b32 s28, s0, s28
	s_or_b32 s24, s24, s29
	s_and_not1_b32 exec_lo, exec_lo, s23
	s_cbranch_execz .LBB16_141
.LBB16_139:                             ; =>This Inner Loop Header: Depth=1
	global_load_u8 v10, v[2:3], off
	global_load_u8 v11, v[6:7], off
	s_and_not1_b32 s26, s26, exec_lo
	s_and_not1_b32 s27, s27, exec_lo
	s_or_b32 s25, s25, exec_lo
	s_waitcnt vmcnt(1)
	v_and_b32_e32 v10, 0xff, v10
	s_waitcnt vmcnt(0)
	v_and_b32_e32 v11, 0xff, v11
	s_delay_alu instid0(VALU_DEP_1)
	v_cmp_le_u16_e32 vcc_lo, v10, v11
	v_cmp_lt_u16_e64 s0, v10, v11
	s_and_b32 s29, vcc_lo, s28
	s_delay_alu instid0(VALU_DEP_1) | instid1(SALU_CYCLE_1)
	s_or_b32 s29, s0, s29
	s_delay_alu instid0(SALU_CYCLE_1) | instskip(NEXT) | instid1(SALU_CYCLE_1)
	s_and_b32 s0, s29, exec_lo
	s_or_b32 s26, s26, s0
	s_mov_b32 s0, exec_lo
	v_cmpx_eq_u16_e64 v10, v11
	s_cbranch_execz .LBB16_138
; %bb.140:                              ;   in Loop: Header=BB16_139 Depth=1
	s_add_u32 s20, s20, -1
	s_addc_u32 s21, s21, -1
	v_add_co_u32 v2, vcc_lo, v2, 1
	s_cmp_eq_u64 s[20:21], 0
	v_add_co_ci_u32_e32 v3, vcc_lo, 0, v3, vcc_lo
	v_add_co_u32 v6, vcc_lo, v6, 1
	s_cselect_b32 s28, -1, 0
	v_add_co_ci_u32_e32 v7, vcc_lo, 0, v7, vcc_lo
	s_and_not1_b32 s27, s27, exec_lo
	s_and_b32 s29, s29, exec_lo
	s_and_not1_b32 s25, s25, exec_lo
	s_and_b32 s28, s28, exec_lo
	s_or_b32 s27, s27, s29
	s_and_not1_b32 s26, s26, exec_lo
	s_or_b32 s25, s25, s28
                                        ; implicit-def: $sgpr28
	s_branch .LBB16_138
.LBB16_141:
	s_or_b32 exec_lo, exec_lo, s23
	s_xor_b32 s0, s24, -1
	s_branch .LBB16_143
.LBB16_142:
	s_mov_b32 s0, -1
.LBB16_143:
	s_and_not1_b32 s12, s12, exec_lo
	s_and_b32 s0, s0, exec_lo
	s_delay_alu instid0(SALU_CYCLE_1)
	s_or_b32 s12, s12, s0
.LBB16_144:
	s_or_b32 exec_lo, exec_lo, s22
	v_cndmask_b32_e64 v2, v9, v8, s12
	v_cndmask_b32_e64 v3, v15, v14, s12
	s_mov_b32 s22, exec_lo
	s_delay_alu instid0(VALU_DEP_2) | instskip(NEXT) | instid1(VALU_DEP_2)
	v_add_nc_u32_e32 v6, 1, v2
	v_add_nc_u32_e32 v2, -1, v3
	s_delay_alu instid0(VALU_DEP_2) | instskip(NEXT) | instid1(VALU_DEP_2)
	v_cndmask_b32_e64 v9, v6, v9, s12
	v_min_u32_e32 v2, v6, v2
	v_cndmask_b32_e64 v8, v8, v6, s12
	s_delay_alu instid0(VALU_DEP_2)
	v_lshl_add_u32 v2, v2, 3, v16
	ds_load_b64 v[2:3], v2
	s_waitcnt lgkmcnt(0)
	v_cndmask_b32_e64 v10, v3, v5, s12
	v_cndmask_b32_e64 v11, v2, v4, s12
	;; [unrolled: 1-line block ×4, first 2 shown]
	v_cmpx_lt_u32_e64 v9, v15
	s_cbranch_execz .LBB16_155
; %bb.145:
	s_mov_b32 s0, 0
	s_mov_b32 s19, exec_lo
	v_cmpx_lt_u32_e64 v8, v14
	s_cbranch_execz .LBB16_154
; %bb.146:
	s_and_not1_b32 vcc_lo, exec_lo, s7
	s_cbranch_vccnz .LBB16_152
; %bb.147:
	v_mad_u64_u32 v[2:3], null, v11, s8, s[10:11]
	v_mul_lo_u32 v22, v11, s9
	v_mul_lo_u32 v23, v10, s8
	v_mad_u64_u32 v[6:7], null, v21, s8, s[10:11]
	v_mul_lo_u32 v24, v21, s9
	v_mul_lo_u32 v25, v20, s8
	s_mov_b32 s23, 0
	s_mov_b64 s[20:21], s[8:9]
                                        ; implicit-def: $sgpr24
                                        ; implicit-def: $sgpr25
                                        ; implicit-def: $sgpr26
                                        ; implicit-def: $sgpr27
                                        ; implicit-def: $sgpr28
	s_delay_alu instid0(VALU_DEP_4) | instskip(NEXT) | instid1(VALU_DEP_2)
	v_add3_u32 v3, v23, v3, v22
	v_add3_u32 v7, v25, v7, v24
	s_branch .LBB16_149
.LBB16_148:                             ;   in Loop: Header=BB16_149 Depth=1
	s_or_b32 exec_lo, exec_lo, s0
	s_delay_alu instid0(SALU_CYCLE_1) | instskip(NEXT) | instid1(SALU_CYCLE_1)
	s_and_b32 s0, exec_lo, s25
	s_or_b32 s23, s0, s23
	s_and_not1_b32 s0, s28, exec_lo
	s_and_b32 s28, s27, exec_lo
	s_and_not1_b32 s24, s24, exec_lo
	s_and_b32 s29, s26, exec_lo
	s_or_b32 s28, s0, s28
	s_or_b32 s24, s24, s29
	s_and_not1_b32 exec_lo, exec_lo, s23
	s_cbranch_execz .LBB16_151
.LBB16_149:                             ; =>This Inner Loop Header: Depth=1
	global_load_u8 v22, v[2:3], off
	global_load_u8 v23, v[6:7], off
	s_and_not1_b32 s26, s26, exec_lo
	s_and_not1_b32 s27, s27, exec_lo
	s_or_b32 s25, s25, exec_lo
	s_waitcnt vmcnt(1)
	v_and_b32_e32 v22, 0xff, v22
	s_waitcnt vmcnt(0)
	v_and_b32_e32 v23, 0xff, v23
	s_delay_alu instid0(VALU_DEP_1)
	v_cmp_le_u16_e32 vcc_lo, v22, v23
	v_cmp_lt_u16_e64 s0, v22, v23
	s_and_b32 s29, vcc_lo, s28
	s_delay_alu instid0(VALU_DEP_1) | instid1(SALU_CYCLE_1)
	s_or_b32 s29, s0, s29
	s_delay_alu instid0(SALU_CYCLE_1) | instskip(NEXT) | instid1(SALU_CYCLE_1)
	s_and_b32 s0, s29, exec_lo
	s_or_b32 s26, s26, s0
	s_mov_b32 s0, exec_lo
	v_cmpx_eq_u16_e64 v22, v23
	s_cbranch_execz .LBB16_148
; %bb.150:                              ;   in Loop: Header=BB16_149 Depth=1
	s_add_u32 s20, s20, -1
	s_addc_u32 s21, s21, -1
	v_add_co_u32 v2, vcc_lo, v2, 1
	s_cmp_eq_u64 s[20:21], 0
	v_add_co_ci_u32_e32 v3, vcc_lo, 0, v3, vcc_lo
	v_add_co_u32 v6, vcc_lo, v6, 1
	s_cselect_b32 s28, -1, 0
	v_add_co_ci_u32_e32 v7, vcc_lo, 0, v7, vcc_lo
	s_and_not1_b32 s27, s27, exec_lo
	s_and_b32 s29, s29, exec_lo
	s_and_not1_b32 s25, s25, exec_lo
	s_and_b32 s28, s28, exec_lo
	s_or_b32 s27, s27, s29
	s_and_not1_b32 s26, s26, exec_lo
	s_or_b32 s25, s25, s28
                                        ; implicit-def: $sgpr28
	s_branch .LBB16_148
.LBB16_151:
	s_or_b32 exec_lo, exec_lo, s23
	s_xor_b32 s0, s24, -1
	s_branch .LBB16_153
.LBB16_152:
	s_mov_b32 s0, -1
.LBB16_153:
	s_delay_alu instid0(SALU_CYCLE_1)
	s_and_b32 s0, s0, exec_lo
.LBB16_154:
	s_or_b32 exec_lo, exec_lo, s19
	s_delay_alu instid0(SALU_CYCLE_1)
	s_or_not1_b32 s19, s0, exec_lo
.LBB16_155:
	s_or_b32 exec_lo, exec_lo, s22
	v_cndmask_b32_e64 v2, v9, v8, s19
	v_cndmask_b32_e64 v3, v15, v14, s19
	s_mov_b32 s0, -1
	s_mov_b32 s22, exec_lo
	s_delay_alu instid0(VALU_DEP_2) | instskip(NEXT) | instid1(VALU_DEP_2)
	v_add_nc_u32_e32 v6, 1, v2
	v_add_nc_u32_e32 v2, -1, v3
	s_delay_alu instid0(VALU_DEP_2) | instskip(NEXT) | instid1(VALU_DEP_2)
	v_cndmask_b32_e64 v25, v6, v9, s19
	v_min_u32_e32 v2, v6, v2
	v_cndmask_b32_e64 v22, v8, v6, s19
	s_delay_alu instid0(VALU_DEP_2)
	v_lshl_add_u32 v2, v2, 3, v16
	ds_load_b64 v[2:3], v2
	s_waitcnt lgkmcnt(0)
	v_cndmask_b32_e64 v23, v3, v10, s19
	v_cndmask_b32_e64 v24, v2, v11, s19
	;; [unrolled: 1-line block ×4, first 2 shown]
	v_cmpx_lt_u32_e64 v25, v15
	s_cbranch_execz .LBB16_166
; %bb.156:
	s_mov_b32 s0, 0
	s_mov_b32 s23, exec_lo
	v_cmpx_lt_u32_e64 v22, v14
	s_cbranch_execz .LBB16_165
; %bb.157:
	s_and_not1_b32 vcc_lo, exec_lo, s7
	s_cbranch_vccnz .LBB16_163
; %bb.158:
	v_mad_u64_u32 v[2:3], null, v24, s8, s[10:11]
	v_mul_lo_u32 v8, v24, s9
	v_mul_lo_u32 v9, v23, s8
	v_mad_u64_u32 v[6:7], null, v41, s8, s[10:11]
	v_mul_lo_u32 v42, v41, s9
	v_mul_lo_u32 v43, v40, s8
	s_mov_b32 s24, 0
	s_mov_b64 s[20:21], s[8:9]
                                        ; implicit-def: $sgpr25
                                        ; implicit-def: $sgpr26
                                        ; implicit-def: $sgpr27
                                        ; implicit-def: $sgpr28
                                        ; implicit-def: $sgpr29
	s_delay_alu instid0(VALU_DEP_4) | instskip(NEXT) | instid1(VALU_DEP_2)
	v_add3_u32 v3, v9, v3, v8
	v_add3_u32 v7, v43, v7, v42
	s_branch .LBB16_160
.LBB16_159:                             ;   in Loop: Header=BB16_160 Depth=1
	s_or_b32 exec_lo, exec_lo, s0
	s_delay_alu instid0(SALU_CYCLE_1) | instskip(NEXT) | instid1(SALU_CYCLE_1)
	s_and_b32 s0, exec_lo, s26
	s_or_b32 s24, s0, s24
	s_and_not1_b32 s0, s29, exec_lo
	s_and_b32 s29, s28, exec_lo
	s_and_not1_b32 s25, s25, exec_lo
	s_and_b32 s30, s27, exec_lo
	s_or_b32 s29, s0, s29
	s_or_b32 s25, s25, s30
	s_and_not1_b32 exec_lo, exec_lo, s24
	s_cbranch_execz .LBB16_162
.LBB16_160:                             ; =>This Inner Loop Header: Depth=1
	global_load_u8 v8, v[2:3], off
	global_load_u8 v9, v[6:7], off
	s_and_not1_b32 s27, s27, exec_lo
	s_and_not1_b32 s28, s28, exec_lo
	s_or_b32 s26, s26, exec_lo
	s_waitcnt vmcnt(1)
	v_and_b32_e32 v8, 0xff, v8
	s_waitcnt vmcnt(0)
	v_and_b32_e32 v9, 0xff, v9
	s_delay_alu instid0(VALU_DEP_1)
	v_cmp_le_u16_e32 vcc_lo, v8, v9
	v_cmp_lt_u16_e64 s0, v8, v9
	s_and_b32 s30, vcc_lo, s29
	s_delay_alu instid0(VALU_DEP_1) | instid1(SALU_CYCLE_1)
	s_or_b32 s30, s0, s30
	s_delay_alu instid0(SALU_CYCLE_1) | instskip(NEXT) | instid1(SALU_CYCLE_1)
	s_and_b32 s0, s30, exec_lo
	s_or_b32 s27, s27, s0
	s_mov_b32 s0, exec_lo
	v_cmpx_eq_u16_e64 v8, v9
	s_cbranch_execz .LBB16_159
; %bb.161:                              ;   in Loop: Header=BB16_160 Depth=1
	s_add_u32 s20, s20, -1
	s_addc_u32 s21, s21, -1
	v_add_co_u32 v2, vcc_lo, v2, 1
	s_cmp_eq_u64 s[20:21], 0
	v_add_co_ci_u32_e32 v3, vcc_lo, 0, v3, vcc_lo
	v_add_co_u32 v6, vcc_lo, v6, 1
	s_cselect_b32 s29, -1, 0
	v_add_co_ci_u32_e32 v7, vcc_lo, 0, v7, vcc_lo
	s_and_not1_b32 s28, s28, exec_lo
	s_and_b32 s30, s30, exec_lo
	s_and_not1_b32 s26, s26, exec_lo
	s_and_b32 s29, s29, exec_lo
	s_or_b32 s28, s28, s30
	s_and_not1_b32 s27, s27, exec_lo
	s_or_b32 s26, s26, s29
                                        ; implicit-def: $sgpr29
	s_branch .LBB16_159
.LBB16_162:
	s_or_b32 exec_lo, exec_lo, s24
	s_xor_b32 s0, s25, -1
	s_branch .LBB16_164
.LBB16_163:
	s_mov_b32 s0, -1
.LBB16_164:
	s_delay_alu instid0(SALU_CYCLE_1)
	s_and_b32 s0, s0, exec_lo
.LBB16_165:
	s_or_b32 exec_lo, exec_lo, s23
	s_delay_alu instid0(SALU_CYCLE_1)
	s_or_not1_b32 s0, s0, exec_lo
.LBB16_166:
	s_or_b32 exec_lo, exec_lo, s22
	v_cndmask_b32_e64 v2, v25, v22, s0
	v_cndmask_b32_e64 v3, v15, v14, s0
	;; [unrolled: 1-line block ×5, first 2 shown]
	v_add_nc_u32_e32 v42, 1, v2
	v_add_nc_u32_e32 v2, -1, v3
	v_cndmask_b32_e64 v3, v10, v20, s19
	v_cndmask_b32_e64 v4, v24, v41, s0
	s_mov_b32 s12, exec_lo
	v_cndmask_b32_e64 v10, v42, v25, s0
	v_min_u32_e32 v2, v42, v2
	s_delay_alu instid0(VALU_DEP_1)
	v_lshl_add_u32 v2, v2, 3, v16
	ds_load_b64 v[8:9], v2
	v_cndmask_b32_e64 v2, v11, v21, s19
	s_waitcnt lgkmcnt(0)
	v_cndmask_b32_e64 v7, v40, v9, s0
	v_cndmask_b32_e64 v6, v41, v8, s0
	v_cmpx_lt_u32_e64 v10, v15
	s_cbranch_execz .LBB16_176
; %bb.167:
	v_cndmask_b32_e64 v10, v22, v42, s0
	v_cndmask_b32_e64 v9, v9, v23, s0
	;; [unrolled: 1-line block ×3, first 2 shown]
	s_mov_b32 s19, exec_lo
	s_delay_alu instid0(VALU_DEP_3)
	v_cmpx_lt_u32_e64 v10, v14
	s_cbranch_execz .LBB16_175
; %bb.168:
	s_and_not1_b32 vcc_lo, exec_lo, s7
	s_cbranch_vccnz .LBB16_174
; %bb.169:
	v_mad_u64_u32 v[10:11], null, v8, s8, s[10:11]
	v_mul_lo_u32 v20, v8, s9
	v_mul_lo_u32 v21, v9, s8
	v_mad_u64_u32 v[14:15], null, v6, s8, s[10:11]
	v_mul_lo_u32 v22, v6, s9
	v_mul_lo_u32 v23, v7, s8
	s_mov_b32 s22, 0
	s_mov_b64 s[20:21], s[8:9]
                                        ; implicit-def: $sgpr23
                                        ; implicit-def: $sgpr24
                                        ; implicit-def: $sgpr25
                                        ; implicit-def: $sgpr26
                                        ; implicit-def: $sgpr27
	s_delay_alu instid0(VALU_DEP_4) | instskip(NEXT) | instid1(VALU_DEP_2)
	v_add3_u32 v11, v21, v11, v20
	v_add3_u32 v15, v23, v15, v22
	s_branch .LBB16_171
.LBB16_170:                             ;   in Loop: Header=BB16_171 Depth=1
	s_or_b32 exec_lo, exec_lo, s0
	s_delay_alu instid0(SALU_CYCLE_1) | instskip(NEXT) | instid1(SALU_CYCLE_1)
	s_and_b32 s0, exec_lo, s24
	s_or_b32 s22, s0, s22
	s_and_not1_b32 s0, s27, exec_lo
	s_and_b32 s27, s26, exec_lo
	s_and_not1_b32 s23, s23, exec_lo
	s_and_b32 s28, s25, exec_lo
	s_or_b32 s27, s0, s27
	s_or_b32 s23, s23, s28
	s_and_not1_b32 exec_lo, exec_lo, s22
	s_cbranch_execz .LBB16_173
.LBB16_171:                             ; =>This Inner Loop Header: Depth=1
	global_load_u8 v20, v[10:11], off
	global_load_u8 v21, v[14:15], off
	s_and_not1_b32 s25, s25, exec_lo
	s_and_not1_b32 s26, s26, exec_lo
	s_or_b32 s24, s24, exec_lo
	s_waitcnt vmcnt(1)
	v_and_b32_e32 v20, 0xff, v20
	s_waitcnt vmcnt(0)
	v_and_b32_e32 v21, 0xff, v21
	s_delay_alu instid0(VALU_DEP_1)
	v_cmp_le_u16_e32 vcc_lo, v20, v21
	v_cmp_lt_u16_e64 s0, v20, v21
	s_and_b32 s28, vcc_lo, s27
	s_delay_alu instid0(VALU_DEP_1) | instid1(SALU_CYCLE_1)
	s_or_b32 s28, s0, s28
	s_delay_alu instid0(SALU_CYCLE_1) | instskip(NEXT) | instid1(SALU_CYCLE_1)
	s_and_b32 s0, s28, exec_lo
	s_or_b32 s25, s25, s0
	s_mov_b32 s0, exec_lo
	v_cmpx_eq_u16_e64 v20, v21
	s_cbranch_execz .LBB16_170
; %bb.172:                              ;   in Loop: Header=BB16_171 Depth=1
	s_add_u32 s20, s20, -1
	s_addc_u32 s21, s21, -1
	v_add_co_u32 v10, vcc_lo, v10, 1
	s_cmp_eq_u64 s[20:21], 0
	v_add_co_ci_u32_e32 v11, vcc_lo, 0, v11, vcc_lo
	v_add_co_u32 v14, vcc_lo, v14, 1
	s_cselect_b32 s27, -1, 0
	v_add_co_ci_u32_e32 v15, vcc_lo, 0, v15, vcc_lo
	s_and_not1_b32 s26, s26, exec_lo
	s_and_b32 s28, s28, exec_lo
	s_and_not1_b32 s24, s24, exec_lo
	s_and_b32 s27, s27, exec_lo
	s_or_b32 s26, s26, s28
	s_and_not1_b32 s25, s25, exec_lo
	s_or_b32 s24, s24, s27
                                        ; implicit-def: $sgpr27
	s_branch .LBB16_170
.LBB16_173:
	s_or_b32 exec_lo, exec_lo, s22
	v_cndmask_b32_e64 v7, v7, v9, s23
	v_cndmask_b32_e64 v6, v6, v8, s23
.LBB16_174:
	s_delay_alu instid0(VALU_DEP_1)
	v_dual_mov_b32 v9, v7 :: v_dual_mov_b32 v8, v6
.LBB16_175:
	s_or_b32 exec_lo, exec_lo, s19
	s_delay_alu instid0(VALU_DEP_1)
	v_dual_mov_b32 v6, v8 :: v_dual_mov_b32 v7, v9
.LBB16_176:
	s_or_b32 exec_lo, exec_lo, s12
.LBB16_177:
	s_delay_alu instid0(SALU_CYCLE_1) | instskip(SKIP_3) | instid1(VALU_DEP_2)
	s_or_b32 exec_lo, exec_lo, s1
	v_and_b32_e32 v22, 0x60, v18
	v_and_b32_e32 v9, 28, v18
	s_mov_b32 s1, exec_lo
	; wave barrier
	v_or_b32_e32 v8, 16, v22
	s_delay_alu instid0(VALU_DEP_2) | instskip(SKIP_4) | instid1(VALU_DEP_1)
	v_min_u32_e32 v23, v17, v9
	v_lshl_add_u32 v21, v22, 3, v16
	ds_store_b128 v19, v[0:3]
	ds_store_b128 v19, v[4:7] offset:16
	v_min_u32_e32 v14, v17, v8
	; wave barrier
	v_add_nc_u32_e32 v8, 16, v14
	v_sub_nc_u32_e32 v9, v14, v22
	s_delay_alu instid0(VALU_DEP_2) | instskip(NEXT) | instid1(VALU_DEP_2)
	v_min_u32_e32 v15, v17, v8
	v_min_u32_e32 v24, v23, v9
	s_delay_alu instid0(VALU_DEP_2) | instskip(NEXT) | instid1(VALU_DEP_1)
	v_sub_nc_u32_e32 v8, v15, v14
	v_sub_nc_u32_e64 v20, v23, v8 clamp
	s_delay_alu instid0(VALU_DEP_1)
	v_cmpx_lt_u32_e64 v20, v24
	s_cbranch_execz .LBB16_187
; %bb.178:
	v_lshlrev_b32_e32 v8, 3, v14
	v_lshlrev_b32_e32 v9, 3, v23
	s_mov_b32 s12, 0
	s_delay_alu instid0(VALU_DEP_1)
	v_add3_u32 v25, v16, v8, v9
	s_branch .LBB16_181
.LBB16_179:                             ;   in Loop: Header=BB16_181 Depth=1
	s_or_b32 exec_lo, exec_lo, s19
.LBB16_180:                             ;   in Loop: Header=BB16_181 Depth=1
	s_delay_alu instid0(VALU_DEP_1) | instskip(SKIP_1) | instid1(VALU_DEP_2)
	v_add_nc_u32_e32 v8, 1, v40
	v_cndmask_b32_e64 v24, v24, v40, s22
	v_cndmask_b32_e64 v20, v8, v20, s22
	s_delay_alu instid0(VALU_DEP_1) | instskip(SKIP_1) | instid1(SALU_CYCLE_1)
	v_cmp_ge_u32_e32 vcc_lo, v20, v24
	s_or_b32 s12, vcc_lo, s12
	s_and_not1_b32 exec_lo, exec_lo, s12
	s_cbranch_execz .LBB16_186
.LBB16_181:                             ; =>This Loop Header: Depth=1
                                        ;     Child Loop BB16_184 Depth 2
	v_add_nc_u32_e32 v8, v24, v20
	s_and_not1_b32 vcc_lo, exec_lo, s7
	s_mov_b32 s22, 0
	s_delay_alu instid0(VALU_DEP_1)
	v_lshrrev_b32_e32 v40, 1, v8
	s_cbranch_vccnz .LBB16_180
; %bb.182:                              ;   in Loop: Header=BB16_181 Depth=1
	s_delay_alu instid0(VALU_DEP_1) | instskip(SKIP_3) | instid1(VALU_DEP_2)
	v_not_b32_e32 v8, v40
	v_lshl_add_u32 v9, v40, 3, v21
	s_mov_b32 s19, 0
	s_mov_b64 s[20:21], s[8:9]
                                        ; implicit-def: $sgpr22
                                        ; implicit-def: $sgpr23
                                        ; implicit-def: $sgpr24
                                        ; implicit-def: $sgpr25
                                        ; implicit-def: $sgpr26
	v_lshl_add_u32 v8, v8, 3, v25
	ds_load_b64 v[10:11], v8
	ds_load_b64 v[41:42], v9
	s_waitcnt lgkmcnt(1)
	v_mul_lo_u32 v43, v10, s9
	v_mul_lo_u32 v44, v11, s8
	v_mad_u64_u32 v[8:9], null, v10, s8, s[10:11]
	s_waitcnt lgkmcnt(0)
	v_mul_lo_u32 v45, v41, s9
	v_mul_lo_u32 v42, v42, s8
	v_mad_u64_u32 v[10:11], null, v41, s8, s[10:11]
	s_delay_alu instid0(VALU_DEP_4) | instskip(NEXT) | instid1(VALU_DEP_2)
	v_add3_u32 v9, v44, v9, v43
	v_add3_u32 v11, v42, v11, v45
	s_branch .LBB16_184
.LBB16_183:                             ;   in Loop: Header=BB16_184 Depth=2
	s_or_b32 exec_lo, exec_lo, s27
	s_delay_alu instid0(SALU_CYCLE_1) | instskip(NEXT) | instid1(SALU_CYCLE_1)
	s_and_b32 s0, exec_lo, s23
	s_or_b32 s19, s0, s19
	s_and_not1_b32 s0, s26, exec_lo
	s_and_b32 s26, s24, exec_lo
	s_and_not1_b32 s22, s22, exec_lo
	s_and_b32 s27, s25, exec_lo
	s_or_b32 s26, s0, s26
	s_or_b32 s22, s22, s27
	s_and_not1_b32 exec_lo, exec_lo, s19
	s_cbranch_execz .LBB16_179
.LBB16_184:                             ;   Parent Loop BB16_181 Depth=1
                                        ; =>  This Inner Loop Header: Depth=2
	global_load_u8 v41, v[8:9], off
	global_load_u8 v42, v[10:11], off
	s_and_not1_b32 s25, s25, exec_lo
	s_and_not1_b32 s24, s24, exec_lo
	s_or_b32 s23, s23, exec_lo
	s_waitcnt vmcnt(1)
	v_and_b32_e32 v41, 0xff, v41
	s_waitcnt vmcnt(0)
	v_and_b32_e32 v42, 0xff, v42
	s_delay_alu instid0(VALU_DEP_1)
	v_cmp_le_u16_e32 vcc_lo, v41, v42
	v_cmp_lt_u16_e64 s0, v41, v42
	s_and_b32 s27, vcc_lo, s26
	s_delay_alu instid0(VALU_DEP_1) | instid1(SALU_CYCLE_1)
	s_or_b32 s0, s0, s27
	s_delay_alu instid0(SALU_CYCLE_1) | instskip(NEXT) | instid1(SALU_CYCLE_1)
	s_and_b32 s27, s0, exec_lo
	s_or_b32 s25, s25, s27
	s_mov_b32 s27, exec_lo
	v_cmpx_eq_u16_e64 v41, v42
	s_cbranch_execz .LBB16_183
; %bb.185:                              ;   in Loop: Header=BB16_184 Depth=2
	s_add_u32 s20, s20, -1
	s_addc_u32 s21, s21, -1
	v_add_co_u32 v8, vcc_lo, v8, 1
	v_add_co_ci_u32_e32 v9, vcc_lo, 0, v9, vcc_lo
	s_cmp_eq_u64 s[20:21], 0
	v_add_co_u32 v10, vcc_lo, v10, 1
	s_cselect_b32 s26, -1, 0
	v_add_co_ci_u32_e32 v11, vcc_lo, 0, v11, vcc_lo
	s_and_not1_b32 s24, s24, exec_lo
	s_and_b32 s0, s0, exec_lo
	s_and_not1_b32 s23, s23, exec_lo
	s_and_b32 s26, s26, exec_lo
	s_and_not1_b32 s25, s25, exec_lo
	s_or_b32 s24, s24, s0
	s_or_b32 s23, s23, s26
                                        ; implicit-def: $sgpr26
	s_branch .LBB16_183
.LBB16_186:
	s_or_b32 exec_lo, exec_lo, s12
.LBB16_187:
	s_delay_alu instid0(SALU_CYCLE_1) | instskip(SKIP_2) | instid1(VALU_DEP_2)
	s_or_b32 exec_lo, exec_lo, s1
	v_add_nc_u32_e32 v9, v14, v23
	v_add_nc_u32_e32 v8, v20, v22
	v_sub_nc_u32_e32 v9, v9, v20
	s_delay_alu instid0(VALU_DEP_2) | instskip(NEXT) | instid1(VALU_DEP_2)
	v_cmp_le_u32_e32 vcc_lo, v8, v14
	v_cmp_le_u32_e64 s0, v9, v15
	s_delay_alu instid0(VALU_DEP_1) | instskip(NEXT) | instid1(SALU_CYCLE_1)
	s_or_b32 s0, vcc_lo, s0
	s_and_saveexec_b32 s1, s0
	s_cbranch_execz .LBB16_234
; %bb.188:
	v_cmp_ge_u32_e32 vcc_lo, v8, v14
	s_mov_b32 s12, exec_lo
                                        ; implicit-def: $vgpr0_vgpr1
	v_cmpx_lt_u32_e64 v8, v14
	s_cbranch_execz .LBB16_190
; %bb.189:
	v_lshl_add_u32 v0, v20, 3, v21
	ds_load_b64 v[0:1], v0
.LBB16_190:
	s_or_b32 exec_lo, exec_lo, s12
	v_cmp_ge_u32_e64 s12, v9, v15
	s_mov_b32 s19, exec_lo
                                        ; implicit-def: $vgpr4_vgpr5
	v_cmpx_lt_u32_e64 v9, v15
	s_cbranch_execz .LBB16_192
; %bb.191:
	v_lshl_add_u32 v2, v9, 3, v16
	ds_load_b64 v[4:5], v2
.LBB16_192:
	s_or_b32 exec_lo, exec_lo, s19
	s_or_b32 s0, vcc_lo, s12
	s_mov_b32 s19, -1
	s_xor_b32 s0, s0, -1
	s_delay_alu instid0(SALU_CYCLE_1)
	s_and_saveexec_b32 s22, s0
	s_cbranch_execz .LBB16_201
; %bb.193:
	s_and_not1_b32 vcc_lo, exec_lo, s7
	s_cbranch_vccnz .LBB16_199
; %bb.194:
	s_waitcnt lgkmcnt(0)
	v_mad_u64_u32 v[2:3], null, v4, s8, s[10:11]
	v_mul_lo_u32 v10, v4, s9
	v_mul_lo_u32 v11, v5, s8
	v_mad_u64_u32 v[6:7], null, v0, s8, s[10:11]
	v_mul_lo_u32 v20, v0, s9
	v_mul_lo_u32 v21, v1, s8
	s_mov_b32 s23, 0
	s_mov_b64 s[20:21], s[8:9]
                                        ; implicit-def: $sgpr24
                                        ; implicit-def: $sgpr25
                                        ; implicit-def: $sgpr26
                                        ; implicit-def: $sgpr27
                                        ; implicit-def: $sgpr28
	s_delay_alu instid0(VALU_DEP_4) | instskip(NEXT) | instid1(VALU_DEP_2)
	v_add3_u32 v3, v11, v3, v10
	v_add3_u32 v7, v21, v7, v20
	s_branch .LBB16_196
.LBB16_195:                             ;   in Loop: Header=BB16_196 Depth=1
	s_or_b32 exec_lo, exec_lo, s0
	s_delay_alu instid0(SALU_CYCLE_1) | instskip(NEXT) | instid1(SALU_CYCLE_1)
	s_and_b32 s0, exec_lo, s25
	s_or_b32 s23, s0, s23
	s_and_not1_b32 s0, s28, exec_lo
	s_and_b32 s28, s27, exec_lo
	s_and_not1_b32 s24, s24, exec_lo
	s_and_b32 s29, s26, exec_lo
	s_or_b32 s28, s0, s28
	s_or_b32 s24, s24, s29
	s_and_not1_b32 exec_lo, exec_lo, s23
	s_cbranch_execz .LBB16_198
.LBB16_196:                             ; =>This Inner Loop Header: Depth=1
	global_load_u8 v10, v[2:3], off
	global_load_u8 v11, v[6:7], off
	s_and_not1_b32 s26, s26, exec_lo
	s_and_not1_b32 s27, s27, exec_lo
	s_or_b32 s25, s25, exec_lo
	s_waitcnt vmcnt(1)
	v_and_b32_e32 v10, 0xff, v10
	s_waitcnt vmcnt(0)
	v_and_b32_e32 v11, 0xff, v11
	s_delay_alu instid0(VALU_DEP_1)
	v_cmp_le_u16_e32 vcc_lo, v10, v11
	v_cmp_lt_u16_e64 s0, v10, v11
	s_and_b32 s29, vcc_lo, s28
	s_delay_alu instid0(VALU_DEP_1) | instid1(SALU_CYCLE_1)
	s_or_b32 s29, s0, s29
	s_delay_alu instid0(SALU_CYCLE_1) | instskip(NEXT) | instid1(SALU_CYCLE_1)
	s_and_b32 s0, s29, exec_lo
	s_or_b32 s26, s26, s0
	s_mov_b32 s0, exec_lo
	v_cmpx_eq_u16_e64 v10, v11
	s_cbranch_execz .LBB16_195
; %bb.197:                              ;   in Loop: Header=BB16_196 Depth=1
	s_add_u32 s20, s20, -1
	s_addc_u32 s21, s21, -1
	v_add_co_u32 v2, vcc_lo, v2, 1
	s_cmp_eq_u64 s[20:21], 0
	v_add_co_ci_u32_e32 v3, vcc_lo, 0, v3, vcc_lo
	v_add_co_u32 v6, vcc_lo, v6, 1
	s_cselect_b32 s28, -1, 0
	v_add_co_ci_u32_e32 v7, vcc_lo, 0, v7, vcc_lo
	s_and_not1_b32 s27, s27, exec_lo
	s_and_b32 s29, s29, exec_lo
	s_and_not1_b32 s25, s25, exec_lo
	s_and_b32 s28, s28, exec_lo
	s_or_b32 s27, s27, s29
	s_and_not1_b32 s26, s26, exec_lo
	s_or_b32 s25, s25, s28
                                        ; implicit-def: $sgpr28
	s_branch .LBB16_195
.LBB16_198:
	s_or_b32 exec_lo, exec_lo, s23
	s_xor_b32 s0, s24, -1
	s_branch .LBB16_200
.LBB16_199:
	s_mov_b32 s0, -1
.LBB16_200:
	s_and_not1_b32 s12, s12, exec_lo
	s_and_b32 s0, s0, exec_lo
	s_delay_alu instid0(SALU_CYCLE_1)
	s_or_b32 s12, s12, s0
.LBB16_201:
	s_or_b32 exec_lo, exec_lo, s22
	v_cndmask_b32_e64 v2, v9, v8, s12
	v_cndmask_b32_e64 v3, v15, v14, s12
	s_mov_b32 s22, exec_lo
	s_delay_alu instid0(VALU_DEP_2) | instskip(NEXT) | instid1(VALU_DEP_2)
	v_add_nc_u32_e32 v6, 1, v2
	v_add_nc_u32_e32 v2, -1, v3
	s_delay_alu instid0(VALU_DEP_2) | instskip(NEXT) | instid1(VALU_DEP_2)
	v_cndmask_b32_e64 v9, v6, v9, s12
	v_min_u32_e32 v2, v6, v2
	v_cndmask_b32_e64 v8, v8, v6, s12
	s_delay_alu instid0(VALU_DEP_2)
	v_lshl_add_u32 v2, v2, 3, v16
	ds_load_b64 v[2:3], v2
	s_waitcnt lgkmcnt(0)
	v_cndmask_b32_e64 v10, v3, v5, s12
	v_cndmask_b32_e64 v11, v2, v4, s12
	;; [unrolled: 1-line block ×4, first 2 shown]
	v_cmpx_lt_u32_e64 v9, v15
	s_cbranch_execz .LBB16_212
; %bb.202:
	s_mov_b32 s0, 0
	s_mov_b32 s19, exec_lo
	v_cmpx_lt_u32_e64 v8, v14
	s_cbranch_execz .LBB16_211
; %bb.203:
	s_and_not1_b32 vcc_lo, exec_lo, s7
	s_cbranch_vccnz .LBB16_209
; %bb.204:
	v_mad_u64_u32 v[2:3], null, v11, s8, s[10:11]
	v_mul_lo_u32 v22, v11, s9
	v_mul_lo_u32 v23, v10, s8
	v_mad_u64_u32 v[6:7], null, v21, s8, s[10:11]
	v_mul_lo_u32 v24, v21, s9
	v_mul_lo_u32 v25, v20, s8
	s_mov_b32 s23, 0
	s_mov_b64 s[20:21], s[8:9]
                                        ; implicit-def: $sgpr24
                                        ; implicit-def: $sgpr25
                                        ; implicit-def: $sgpr26
                                        ; implicit-def: $sgpr27
                                        ; implicit-def: $sgpr28
	s_delay_alu instid0(VALU_DEP_4) | instskip(NEXT) | instid1(VALU_DEP_2)
	v_add3_u32 v3, v23, v3, v22
	v_add3_u32 v7, v25, v7, v24
	s_branch .LBB16_206
.LBB16_205:                             ;   in Loop: Header=BB16_206 Depth=1
	s_or_b32 exec_lo, exec_lo, s0
	s_delay_alu instid0(SALU_CYCLE_1) | instskip(NEXT) | instid1(SALU_CYCLE_1)
	s_and_b32 s0, exec_lo, s25
	s_or_b32 s23, s0, s23
	s_and_not1_b32 s0, s28, exec_lo
	s_and_b32 s28, s27, exec_lo
	s_and_not1_b32 s24, s24, exec_lo
	s_and_b32 s29, s26, exec_lo
	s_or_b32 s28, s0, s28
	s_or_b32 s24, s24, s29
	s_and_not1_b32 exec_lo, exec_lo, s23
	s_cbranch_execz .LBB16_208
.LBB16_206:                             ; =>This Inner Loop Header: Depth=1
	global_load_u8 v22, v[2:3], off
	global_load_u8 v23, v[6:7], off
	s_and_not1_b32 s26, s26, exec_lo
	s_and_not1_b32 s27, s27, exec_lo
	s_or_b32 s25, s25, exec_lo
	s_waitcnt vmcnt(1)
	v_and_b32_e32 v22, 0xff, v22
	s_waitcnt vmcnt(0)
	v_and_b32_e32 v23, 0xff, v23
	s_delay_alu instid0(VALU_DEP_1)
	v_cmp_le_u16_e32 vcc_lo, v22, v23
	v_cmp_lt_u16_e64 s0, v22, v23
	s_and_b32 s29, vcc_lo, s28
	s_delay_alu instid0(VALU_DEP_1) | instid1(SALU_CYCLE_1)
	s_or_b32 s29, s0, s29
	s_delay_alu instid0(SALU_CYCLE_1) | instskip(NEXT) | instid1(SALU_CYCLE_1)
	s_and_b32 s0, s29, exec_lo
	s_or_b32 s26, s26, s0
	s_mov_b32 s0, exec_lo
	v_cmpx_eq_u16_e64 v22, v23
	s_cbranch_execz .LBB16_205
; %bb.207:                              ;   in Loop: Header=BB16_206 Depth=1
	s_add_u32 s20, s20, -1
	s_addc_u32 s21, s21, -1
	v_add_co_u32 v2, vcc_lo, v2, 1
	s_cmp_eq_u64 s[20:21], 0
	v_add_co_ci_u32_e32 v3, vcc_lo, 0, v3, vcc_lo
	v_add_co_u32 v6, vcc_lo, v6, 1
	s_cselect_b32 s28, -1, 0
	v_add_co_ci_u32_e32 v7, vcc_lo, 0, v7, vcc_lo
	s_and_not1_b32 s27, s27, exec_lo
	s_and_b32 s29, s29, exec_lo
	s_and_not1_b32 s25, s25, exec_lo
	s_and_b32 s28, s28, exec_lo
	s_or_b32 s27, s27, s29
	s_and_not1_b32 s26, s26, exec_lo
	s_or_b32 s25, s25, s28
                                        ; implicit-def: $sgpr28
	s_branch .LBB16_205
.LBB16_208:
	s_or_b32 exec_lo, exec_lo, s23
	s_xor_b32 s0, s24, -1
	s_branch .LBB16_210
.LBB16_209:
	s_mov_b32 s0, -1
.LBB16_210:
	s_delay_alu instid0(SALU_CYCLE_1)
	s_and_b32 s0, s0, exec_lo
.LBB16_211:
	s_or_b32 exec_lo, exec_lo, s19
	s_delay_alu instid0(SALU_CYCLE_1)
	s_or_not1_b32 s19, s0, exec_lo
.LBB16_212:
	s_or_b32 exec_lo, exec_lo, s22
	v_cndmask_b32_e64 v2, v9, v8, s19
	v_cndmask_b32_e64 v3, v15, v14, s19
	s_mov_b32 s0, -1
	s_mov_b32 s22, exec_lo
	s_delay_alu instid0(VALU_DEP_2) | instskip(NEXT) | instid1(VALU_DEP_2)
	v_add_nc_u32_e32 v6, 1, v2
	v_add_nc_u32_e32 v2, -1, v3
	s_delay_alu instid0(VALU_DEP_2) | instskip(NEXT) | instid1(VALU_DEP_2)
	v_cndmask_b32_e64 v25, v6, v9, s19
	v_min_u32_e32 v2, v6, v2
	v_cndmask_b32_e64 v22, v8, v6, s19
	s_delay_alu instid0(VALU_DEP_2)
	v_lshl_add_u32 v2, v2, 3, v16
	ds_load_b64 v[2:3], v2
	s_waitcnt lgkmcnt(0)
	v_cndmask_b32_e64 v23, v3, v10, s19
	v_cndmask_b32_e64 v24, v2, v11, s19
	;; [unrolled: 1-line block ×4, first 2 shown]
	v_cmpx_lt_u32_e64 v25, v15
	s_cbranch_execz .LBB16_223
; %bb.213:
	s_mov_b32 s0, 0
	s_mov_b32 s23, exec_lo
	v_cmpx_lt_u32_e64 v22, v14
	s_cbranch_execz .LBB16_222
; %bb.214:
	s_and_not1_b32 vcc_lo, exec_lo, s7
	s_cbranch_vccnz .LBB16_220
; %bb.215:
	v_mad_u64_u32 v[2:3], null, v24, s8, s[10:11]
	v_mul_lo_u32 v8, v24, s9
	v_mul_lo_u32 v9, v23, s8
	v_mad_u64_u32 v[6:7], null, v41, s8, s[10:11]
	v_mul_lo_u32 v42, v41, s9
	v_mul_lo_u32 v43, v40, s8
	s_mov_b32 s24, 0
	s_mov_b64 s[20:21], s[8:9]
                                        ; implicit-def: $sgpr25
                                        ; implicit-def: $sgpr26
                                        ; implicit-def: $sgpr27
                                        ; implicit-def: $sgpr28
                                        ; implicit-def: $sgpr29
	s_delay_alu instid0(VALU_DEP_4) | instskip(NEXT) | instid1(VALU_DEP_2)
	v_add3_u32 v3, v9, v3, v8
	v_add3_u32 v7, v43, v7, v42
	s_branch .LBB16_217
.LBB16_216:                             ;   in Loop: Header=BB16_217 Depth=1
	s_or_b32 exec_lo, exec_lo, s0
	s_delay_alu instid0(SALU_CYCLE_1) | instskip(NEXT) | instid1(SALU_CYCLE_1)
	s_and_b32 s0, exec_lo, s26
	s_or_b32 s24, s0, s24
	s_and_not1_b32 s0, s29, exec_lo
	s_and_b32 s29, s28, exec_lo
	s_and_not1_b32 s25, s25, exec_lo
	s_and_b32 s30, s27, exec_lo
	s_or_b32 s29, s0, s29
	s_or_b32 s25, s25, s30
	s_and_not1_b32 exec_lo, exec_lo, s24
	s_cbranch_execz .LBB16_219
.LBB16_217:                             ; =>This Inner Loop Header: Depth=1
	global_load_u8 v8, v[2:3], off
	global_load_u8 v9, v[6:7], off
	s_and_not1_b32 s27, s27, exec_lo
	s_and_not1_b32 s28, s28, exec_lo
	s_or_b32 s26, s26, exec_lo
	s_waitcnt vmcnt(1)
	v_and_b32_e32 v8, 0xff, v8
	s_waitcnt vmcnt(0)
	v_and_b32_e32 v9, 0xff, v9
	s_delay_alu instid0(VALU_DEP_1)
	v_cmp_le_u16_e32 vcc_lo, v8, v9
	v_cmp_lt_u16_e64 s0, v8, v9
	s_and_b32 s30, vcc_lo, s29
	s_delay_alu instid0(VALU_DEP_1) | instid1(SALU_CYCLE_1)
	s_or_b32 s30, s0, s30
	s_delay_alu instid0(SALU_CYCLE_1) | instskip(NEXT) | instid1(SALU_CYCLE_1)
	s_and_b32 s0, s30, exec_lo
	s_or_b32 s27, s27, s0
	s_mov_b32 s0, exec_lo
	v_cmpx_eq_u16_e64 v8, v9
	s_cbranch_execz .LBB16_216
; %bb.218:                              ;   in Loop: Header=BB16_217 Depth=1
	s_add_u32 s20, s20, -1
	s_addc_u32 s21, s21, -1
	v_add_co_u32 v2, vcc_lo, v2, 1
	s_cmp_eq_u64 s[20:21], 0
	v_add_co_ci_u32_e32 v3, vcc_lo, 0, v3, vcc_lo
	v_add_co_u32 v6, vcc_lo, v6, 1
	s_cselect_b32 s29, -1, 0
	v_add_co_ci_u32_e32 v7, vcc_lo, 0, v7, vcc_lo
	s_and_not1_b32 s28, s28, exec_lo
	s_and_b32 s30, s30, exec_lo
	s_and_not1_b32 s26, s26, exec_lo
	s_and_b32 s29, s29, exec_lo
	s_or_b32 s28, s28, s30
	s_and_not1_b32 s27, s27, exec_lo
	s_or_b32 s26, s26, s29
                                        ; implicit-def: $sgpr29
	s_branch .LBB16_216
.LBB16_219:
	s_or_b32 exec_lo, exec_lo, s24
	s_xor_b32 s0, s25, -1
	s_branch .LBB16_221
.LBB16_220:
	s_mov_b32 s0, -1
.LBB16_221:
	s_delay_alu instid0(SALU_CYCLE_1)
	s_and_b32 s0, s0, exec_lo
.LBB16_222:
	s_or_b32 exec_lo, exec_lo, s23
	s_delay_alu instid0(SALU_CYCLE_1)
	s_or_not1_b32 s0, s0, exec_lo
.LBB16_223:
	s_or_b32 exec_lo, exec_lo, s22
	v_cndmask_b32_e64 v2, v25, v22, s0
	v_cndmask_b32_e64 v3, v15, v14, s0
	;; [unrolled: 1-line block ×5, first 2 shown]
	v_add_nc_u32_e32 v42, 1, v2
	v_add_nc_u32_e32 v2, -1, v3
	v_cndmask_b32_e64 v3, v10, v20, s19
	v_cndmask_b32_e64 v4, v24, v41, s0
	s_mov_b32 s12, exec_lo
	v_cndmask_b32_e64 v10, v42, v25, s0
	v_min_u32_e32 v2, v42, v2
	s_delay_alu instid0(VALU_DEP_1)
	v_lshl_add_u32 v2, v2, 3, v16
	ds_load_b64 v[8:9], v2
	v_cndmask_b32_e64 v2, v11, v21, s19
	s_waitcnt lgkmcnt(0)
	v_cndmask_b32_e64 v7, v40, v9, s0
	v_cndmask_b32_e64 v6, v41, v8, s0
	v_cmpx_lt_u32_e64 v10, v15
	s_cbranch_execz .LBB16_233
; %bb.224:
	v_cndmask_b32_e64 v10, v22, v42, s0
	v_cndmask_b32_e64 v9, v9, v23, s0
	;; [unrolled: 1-line block ×3, first 2 shown]
	s_mov_b32 s19, exec_lo
	s_delay_alu instid0(VALU_DEP_3)
	v_cmpx_lt_u32_e64 v10, v14
	s_cbranch_execz .LBB16_232
; %bb.225:
	s_and_not1_b32 vcc_lo, exec_lo, s7
	s_cbranch_vccnz .LBB16_231
; %bb.226:
	v_mad_u64_u32 v[10:11], null, v8, s8, s[10:11]
	v_mul_lo_u32 v20, v8, s9
	v_mul_lo_u32 v21, v9, s8
	v_mad_u64_u32 v[14:15], null, v6, s8, s[10:11]
	v_mul_lo_u32 v22, v6, s9
	v_mul_lo_u32 v23, v7, s8
	s_mov_b32 s22, 0
	s_mov_b64 s[20:21], s[8:9]
                                        ; implicit-def: $sgpr23
                                        ; implicit-def: $sgpr24
                                        ; implicit-def: $sgpr25
                                        ; implicit-def: $sgpr26
                                        ; implicit-def: $sgpr27
	s_delay_alu instid0(VALU_DEP_4) | instskip(NEXT) | instid1(VALU_DEP_2)
	v_add3_u32 v11, v21, v11, v20
	v_add3_u32 v15, v23, v15, v22
	s_branch .LBB16_228
.LBB16_227:                             ;   in Loop: Header=BB16_228 Depth=1
	s_or_b32 exec_lo, exec_lo, s0
	s_delay_alu instid0(SALU_CYCLE_1) | instskip(NEXT) | instid1(SALU_CYCLE_1)
	s_and_b32 s0, exec_lo, s24
	s_or_b32 s22, s0, s22
	s_and_not1_b32 s0, s27, exec_lo
	s_and_b32 s27, s26, exec_lo
	s_and_not1_b32 s23, s23, exec_lo
	s_and_b32 s28, s25, exec_lo
	s_or_b32 s27, s0, s27
	s_or_b32 s23, s23, s28
	s_and_not1_b32 exec_lo, exec_lo, s22
	s_cbranch_execz .LBB16_230
.LBB16_228:                             ; =>This Inner Loop Header: Depth=1
	global_load_u8 v20, v[10:11], off
	global_load_u8 v21, v[14:15], off
	s_and_not1_b32 s25, s25, exec_lo
	s_and_not1_b32 s26, s26, exec_lo
	s_or_b32 s24, s24, exec_lo
	s_waitcnt vmcnt(1)
	v_and_b32_e32 v20, 0xff, v20
	s_waitcnt vmcnt(0)
	v_and_b32_e32 v21, 0xff, v21
	s_delay_alu instid0(VALU_DEP_1)
	v_cmp_le_u16_e32 vcc_lo, v20, v21
	v_cmp_lt_u16_e64 s0, v20, v21
	s_and_b32 s28, vcc_lo, s27
	s_delay_alu instid0(VALU_DEP_1) | instid1(SALU_CYCLE_1)
	s_or_b32 s28, s0, s28
	s_delay_alu instid0(SALU_CYCLE_1) | instskip(NEXT) | instid1(SALU_CYCLE_1)
	s_and_b32 s0, s28, exec_lo
	s_or_b32 s25, s25, s0
	s_mov_b32 s0, exec_lo
	v_cmpx_eq_u16_e64 v20, v21
	s_cbranch_execz .LBB16_227
; %bb.229:                              ;   in Loop: Header=BB16_228 Depth=1
	s_add_u32 s20, s20, -1
	s_addc_u32 s21, s21, -1
	v_add_co_u32 v10, vcc_lo, v10, 1
	s_cmp_eq_u64 s[20:21], 0
	v_add_co_ci_u32_e32 v11, vcc_lo, 0, v11, vcc_lo
	v_add_co_u32 v14, vcc_lo, v14, 1
	s_cselect_b32 s27, -1, 0
	v_add_co_ci_u32_e32 v15, vcc_lo, 0, v15, vcc_lo
	s_and_not1_b32 s26, s26, exec_lo
	s_and_b32 s28, s28, exec_lo
	s_and_not1_b32 s24, s24, exec_lo
	s_and_b32 s27, s27, exec_lo
	s_or_b32 s26, s26, s28
	s_and_not1_b32 s25, s25, exec_lo
	s_or_b32 s24, s24, s27
                                        ; implicit-def: $sgpr27
	s_branch .LBB16_227
.LBB16_230:
	s_or_b32 exec_lo, exec_lo, s22
	v_cndmask_b32_e64 v7, v7, v9, s23
	v_cndmask_b32_e64 v6, v6, v8, s23
.LBB16_231:
	s_delay_alu instid0(VALU_DEP_1)
	v_dual_mov_b32 v9, v7 :: v_dual_mov_b32 v8, v6
.LBB16_232:
	s_or_b32 exec_lo, exec_lo, s19
	s_delay_alu instid0(VALU_DEP_1)
	v_dual_mov_b32 v6, v8 :: v_dual_mov_b32 v7, v9
.LBB16_233:
	s_or_b32 exec_lo, exec_lo, s12
.LBB16_234:
	s_delay_alu instid0(SALU_CYCLE_1) | instskip(SKIP_3) | instid1(VALU_DEP_2)
	s_or_b32 exec_lo, exec_lo, s1
	v_and_b32_e32 v20, 64, v18
	v_and_b32_e32 v9, 60, v18
	s_mov_b32 s1, exec_lo
	; wave barrier
	v_or_b32_e32 v8, 32, v20
	s_delay_alu instid0(VALU_DEP_2) | instskip(SKIP_4) | instid1(VALU_DEP_1)
	v_min_u32_e32 v21, v17, v9
	v_lshl_add_u32 v18, v20, 3, v16
	ds_store_b128 v19, v[0:3]
	ds_store_b128 v19, v[4:7] offset:16
	v_min_u32_e32 v14, v17, v8
	; wave barrier
	v_add_nc_u32_e32 v8, 32, v14
	v_sub_nc_u32_e32 v9, v14, v20
	s_delay_alu instid0(VALU_DEP_2) | instskip(NEXT) | instid1(VALU_DEP_2)
	v_min_u32_e32 v15, v17, v8
	v_min_u32_e32 v22, v21, v9
	s_delay_alu instid0(VALU_DEP_2) | instskip(NEXT) | instid1(VALU_DEP_1)
	v_sub_nc_u32_e32 v8, v15, v14
	v_sub_nc_u32_e64 v17, v21, v8 clamp
	s_delay_alu instid0(VALU_DEP_1)
	v_cmpx_lt_u32_e64 v17, v22
	s_cbranch_execz .LBB16_244
; %bb.235:
	v_lshlrev_b32_e32 v8, 3, v14
	v_lshlrev_b32_e32 v9, 3, v21
	s_mov_b32 s12, 0
	s_delay_alu instid0(VALU_DEP_1)
	v_add3_u32 v19, v16, v8, v9
	s_branch .LBB16_238
.LBB16_236:                             ;   in Loop: Header=BB16_238 Depth=1
	s_or_b32 exec_lo, exec_lo, s19
.LBB16_237:                             ;   in Loop: Header=BB16_238 Depth=1
	s_delay_alu instid0(VALU_DEP_1) | instskip(SKIP_1) | instid1(VALU_DEP_2)
	v_add_nc_u32_e32 v8, 1, v23
	v_cndmask_b32_e64 v22, v22, v23, s22
	v_cndmask_b32_e64 v17, v8, v17, s22
	s_delay_alu instid0(VALU_DEP_1) | instskip(SKIP_1) | instid1(SALU_CYCLE_1)
	v_cmp_ge_u32_e32 vcc_lo, v17, v22
	s_or_b32 s12, vcc_lo, s12
	s_and_not1_b32 exec_lo, exec_lo, s12
	s_cbranch_execz .LBB16_243
.LBB16_238:                             ; =>This Loop Header: Depth=1
                                        ;     Child Loop BB16_241 Depth 2
	v_add_nc_u32_e32 v8, v22, v17
	s_and_not1_b32 vcc_lo, exec_lo, s7
	s_mov_b32 s22, 0
	s_delay_alu instid0(VALU_DEP_1)
	v_lshrrev_b32_e32 v23, 1, v8
	s_cbranch_vccnz .LBB16_237
; %bb.239:                              ;   in Loop: Header=BB16_238 Depth=1
	s_delay_alu instid0(VALU_DEP_1) | instskip(SKIP_3) | instid1(VALU_DEP_2)
	v_not_b32_e32 v8, v23
	v_lshl_add_u32 v9, v23, 3, v18
	s_mov_b32 s19, 0
	s_mov_b64 s[20:21], s[8:9]
                                        ; implicit-def: $sgpr22
                                        ; implicit-def: $sgpr23
                                        ; implicit-def: $sgpr24
                                        ; implicit-def: $sgpr25
                                        ; implicit-def: $sgpr26
	v_lshl_add_u32 v8, v8, 3, v19
	ds_load_b64 v[10:11], v8
	ds_load_b64 v[24:25], v9
	s_waitcnt lgkmcnt(1)
	v_mul_lo_u32 v40, v10, s9
	v_mul_lo_u32 v41, v11, s8
	v_mad_u64_u32 v[8:9], null, v10, s8, s[10:11]
	s_waitcnt lgkmcnt(0)
	v_mul_lo_u32 v42, v24, s9
	v_mul_lo_u32 v25, v25, s8
	v_mad_u64_u32 v[10:11], null, v24, s8, s[10:11]
	s_delay_alu instid0(VALU_DEP_4) | instskip(NEXT) | instid1(VALU_DEP_2)
	v_add3_u32 v9, v41, v9, v40
	v_add3_u32 v11, v25, v11, v42
	s_branch .LBB16_241
.LBB16_240:                             ;   in Loop: Header=BB16_241 Depth=2
	s_or_b32 exec_lo, exec_lo, s27
	s_delay_alu instid0(SALU_CYCLE_1) | instskip(NEXT) | instid1(SALU_CYCLE_1)
	s_and_b32 s0, exec_lo, s23
	s_or_b32 s19, s0, s19
	s_and_not1_b32 s0, s26, exec_lo
	s_and_b32 s26, s24, exec_lo
	s_and_not1_b32 s22, s22, exec_lo
	s_and_b32 s27, s25, exec_lo
	s_or_b32 s26, s0, s26
	s_or_b32 s22, s22, s27
	s_and_not1_b32 exec_lo, exec_lo, s19
	s_cbranch_execz .LBB16_236
.LBB16_241:                             ;   Parent Loop BB16_238 Depth=1
                                        ; =>  This Inner Loop Header: Depth=2
	global_load_u8 v24, v[8:9], off
	global_load_u8 v25, v[10:11], off
	s_and_not1_b32 s25, s25, exec_lo
	s_and_not1_b32 s24, s24, exec_lo
	s_or_b32 s23, s23, exec_lo
	s_waitcnt vmcnt(1)
	v_and_b32_e32 v24, 0xff, v24
	s_waitcnt vmcnt(0)
	v_and_b32_e32 v25, 0xff, v25
	s_delay_alu instid0(VALU_DEP_1)
	v_cmp_le_u16_e32 vcc_lo, v24, v25
	v_cmp_lt_u16_e64 s0, v24, v25
	s_and_b32 s27, vcc_lo, s26
	s_delay_alu instid0(VALU_DEP_1) | instid1(SALU_CYCLE_1)
	s_or_b32 s0, s0, s27
	s_delay_alu instid0(SALU_CYCLE_1) | instskip(NEXT) | instid1(SALU_CYCLE_1)
	s_and_b32 s27, s0, exec_lo
	s_or_b32 s25, s25, s27
	s_mov_b32 s27, exec_lo
	v_cmpx_eq_u16_e64 v24, v25
	s_cbranch_execz .LBB16_240
; %bb.242:                              ;   in Loop: Header=BB16_241 Depth=2
	s_add_u32 s20, s20, -1
	s_addc_u32 s21, s21, -1
	v_add_co_u32 v8, vcc_lo, v8, 1
	v_add_co_ci_u32_e32 v9, vcc_lo, 0, v9, vcc_lo
	s_cmp_eq_u64 s[20:21], 0
	v_add_co_u32 v10, vcc_lo, v10, 1
	s_cselect_b32 s26, -1, 0
	v_add_co_ci_u32_e32 v11, vcc_lo, 0, v11, vcc_lo
	s_and_not1_b32 s24, s24, exec_lo
	s_and_b32 s0, s0, exec_lo
	s_and_not1_b32 s23, s23, exec_lo
	s_and_b32 s26, s26, exec_lo
	s_and_not1_b32 s25, s25, exec_lo
	s_or_b32 s24, s24, s0
	s_or_b32 s23, s23, s26
                                        ; implicit-def: $sgpr26
	s_branch .LBB16_240
.LBB16_243:
	s_or_b32 exec_lo, exec_lo, s12
.LBB16_244:
	s_delay_alu instid0(SALU_CYCLE_1) | instskip(SKIP_2) | instid1(VALU_DEP_2)
	s_or_b32 exec_lo, exec_lo, s1
	v_add_nc_u32_e32 v9, v14, v21
	v_add_nc_u32_e32 v8, v17, v20
	v_sub_nc_u32_e32 v9, v9, v17
	s_delay_alu instid0(VALU_DEP_2) | instskip(NEXT) | instid1(VALU_DEP_2)
	v_cmp_le_u32_e32 vcc_lo, v8, v14
	v_cmp_le_u32_e64 s0, v9, v15
	s_delay_alu instid0(VALU_DEP_1) | instskip(NEXT) | instid1(SALU_CYCLE_1)
	s_or_b32 s0, vcc_lo, s0
	s_and_saveexec_b32 s1, s0
	s_cbranch_execz .LBB16_291
; %bb.245:
	v_cmp_ge_u32_e32 vcc_lo, v8, v14
	s_mov_b32 s12, exec_lo
                                        ; implicit-def: $vgpr0_vgpr1
	v_cmpx_lt_u32_e64 v8, v14
	s_cbranch_execz .LBB16_247
; %bb.246:
	v_lshl_add_u32 v0, v17, 3, v18
	ds_load_b64 v[0:1], v0
.LBB16_247:
	s_or_b32 exec_lo, exec_lo, s12
	v_cmp_ge_u32_e64 s12, v9, v15
	s_mov_b32 s19, exec_lo
                                        ; implicit-def: $vgpr4_vgpr5
	v_cmpx_lt_u32_e64 v9, v15
	s_cbranch_execz .LBB16_249
; %bb.248:
	v_lshl_add_u32 v2, v9, 3, v16
	ds_load_b64 v[4:5], v2
.LBB16_249:
	s_or_b32 exec_lo, exec_lo, s19
	s_or_b32 s0, vcc_lo, s12
	s_mov_b32 s19, -1
	s_xor_b32 s0, s0, -1
	s_delay_alu instid0(SALU_CYCLE_1)
	s_and_saveexec_b32 s22, s0
	s_cbranch_execz .LBB16_258
; %bb.250:
	s_and_not1_b32 vcc_lo, exec_lo, s7
	s_cbranch_vccnz .LBB16_256
; %bb.251:
	s_waitcnt lgkmcnt(0)
	v_mad_u64_u32 v[2:3], null, v4, s8, s[10:11]
	v_mul_lo_u32 v10, v4, s9
	v_mul_lo_u32 v11, v5, s8
	v_mad_u64_u32 v[6:7], null, v0, s8, s[10:11]
	v_mul_lo_u32 v17, v0, s9
	v_mul_lo_u32 v18, v1, s8
	s_mov_b32 s23, 0
	s_mov_b64 s[20:21], s[8:9]
                                        ; implicit-def: $sgpr24
                                        ; implicit-def: $sgpr25
                                        ; implicit-def: $sgpr26
                                        ; implicit-def: $sgpr27
                                        ; implicit-def: $sgpr28
	s_delay_alu instid0(VALU_DEP_4) | instskip(NEXT) | instid1(VALU_DEP_2)
	v_add3_u32 v3, v11, v3, v10
	v_add3_u32 v7, v18, v7, v17
	s_branch .LBB16_253
.LBB16_252:                             ;   in Loop: Header=BB16_253 Depth=1
	s_or_b32 exec_lo, exec_lo, s0
	s_delay_alu instid0(SALU_CYCLE_1) | instskip(NEXT) | instid1(SALU_CYCLE_1)
	s_and_b32 s0, exec_lo, s25
	s_or_b32 s23, s0, s23
	s_and_not1_b32 s0, s28, exec_lo
	s_and_b32 s28, s27, exec_lo
	s_and_not1_b32 s24, s24, exec_lo
	s_and_b32 s29, s26, exec_lo
	s_or_b32 s28, s0, s28
	s_or_b32 s24, s24, s29
	s_and_not1_b32 exec_lo, exec_lo, s23
	s_cbranch_execz .LBB16_255
.LBB16_253:                             ; =>This Inner Loop Header: Depth=1
	global_load_u8 v10, v[2:3], off
	global_load_u8 v11, v[6:7], off
	s_and_not1_b32 s26, s26, exec_lo
	s_and_not1_b32 s27, s27, exec_lo
	s_or_b32 s25, s25, exec_lo
	s_waitcnt vmcnt(1)
	v_and_b32_e32 v10, 0xff, v10
	s_waitcnt vmcnt(0)
	v_and_b32_e32 v11, 0xff, v11
	s_delay_alu instid0(VALU_DEP_1)
	v_cmp_le_u16_e32 vcc_lo, v10, v11
	v_cmp_lt_u16_e64 s0, v10, v11
	s_and_b32 s29, vcc_lo, s28
	s_delay_alu instid0(VALU_DEP_1) | instid1(SALU_CYCLE_1)
	s_or_b32 s29, s0, s29
	s_delay_alu instid0(SALU_CYCLE_1) | instskip(NEXT) | instid1(SALU_CYCLE_1)
	s_and_b32 s0, s29, exec_lo
	s_or_b32 s26, s26, s0
	s_mov_b32 s0, exec_lo
	v_cmpx_eq_u16_e64 v10, v11
	s_cbranch_execz .LBB16_252
; %bb.254:                              ;   in Loop: Header=BB16_253 Depth=1
	s_add_u32 s20, s20, -1
	s_addc_u32 s21, s21, -1
	v_add_co_u32 v2, vcc_lo, v2, 1
	s_cmp_eq_u64 s[20:21], 0
	v_add_co_ci_u32_e32 v3, vcc_lo, 0, v3, vcc_lo
	v_add_co_u32 v6, vcc_lo, v6, 1
	s_cselect_b32 s28, -1, 0
	v_add_co_ci_u32_e32 v7, vcc_lo, 0, v7, vcc_lo
	s_and_not1_b32 s27, s27, exec_lo
	s_and_b32 s29, s29, exec_lo
	s_and_not1_b32 s25, s25, exec_lo
	s_and_b32 s28, s28, exec_lo
	s_or_b32 s27, s27, s29
	s_and_not1_b32 s26, s26, exec_lo
	s_or_b32 s25, s25, s28
                                        ; implicit-def: $sgpr28
	s_branch .LBB16_252
.LBB16_255:
	s_or_b32 exec_lo, exec_lo, s23
	s_xor_b32 s0, s24, -1
	s_branch .LBB16_257
.LBB16_256:
	s_mov_b32 s0, -1
.LBB16_257:
	s_and_not1_b32 s12, s12, exec_lo
	s_and_b32 s0, s0, exec_lo
	s_delay_alu instid0(SALU_CYCLE_1)
	s_or_b32 s12, s12, s0
.LBB16_258:
	s_or_b32 exec_lo, exec_lo, s22
	v_cndmask_b32_e64 v2, v9, v8, s12
	v_cndmask_b32_e64 v3, v15, v14, s12
	s_mov_b32 s22, exec_lo
	s_delay_alu instid0(VALU_DEP_2) | instskip(NEXT) | instid1(VALU_DEP_2)
	v_add_nc_u32_e32 v6, 1, v2
	v_add_nc_u32_e32 v2, -1, v3
	s_delay_alu instid0(VALU_DEP_2) | instskip(NEXT) | instid1(VALU_DEP_2)
	v_cndmask_b32_e64 v9, v6, v9, s12
	v_min_u32_e32 v2, v6, v2
	v_cndmask_b32_e64 v8, v8, v6, s12
	s_delay_alu instid0(VALU_DEP_2)
	v_lshl_add_u32 v2, v2, 3, v16
	ds_load_b64 v[2:3], v2
	s_waitcnt lgkmcnt(0)
	v_cndmask_b32_e64 v10, v3, v5, s12
	v_cndmask_b32_e64 v11, v2, v4, s12
	;; [unrolled: 1-line block ×4, first 2 shown]
	v_cmpx_lt_u32_e64 v9, v15
	s_cbranch_execz .LBB16_269
; %bb.259:
	s_mov_b32 s0, 0
	s_mov_b32 s19, exec_lo
	v_cmpx_lt_u32_e64 v8, v14
	s_cbranch_execz .LBB16_268
; %bb.260:
	s_and_not1_b32 vcc_lo, exec_lo, s7
	s_cbranch_vccnz .LBB16_266
; %bb.261:
	v_mad_u64_u32 v[2:3], null, v11, s8, s[10:11]
	v_mul_lo_u32 v19, v11, s9
	v_mul_lo_u32 v20, v10, s8
	v_mad_u64_u32 v[6:7], null, v18, s8, s[10:11]
	v_mul_lo_u32 v21, v18, s9
	v_mul_lo_u32 v22, v17, s8
	s_mov_b32 s23, 0
	s_mov_b64 s[20:21], s[8:9]
                                        ; implicit-def: $sgpr24
                                        ; implicit-def: $sgpr25
                                        ; implicit-def: $sgpr26
                                        ; implicit-def: $sgpr27
                                        ; implicit-def: $sgpr28
	s_delay_alu instid0(VALU_DEP_4) | instskip(NEXT) | instid1(VALU_DEP_2)
	v_add3_u32 v3, v20, v3, v19
	v_add3_u32 v7, v22, v7, v21
	s_branch .LBB16_263
.LBB16_262:                             ;   in Loop: Header=BB16_263 Depth=1
	s_or_b32 exec_lo, exec_lo, s0
	s_delay_alu instid0(SALU_CYCLE_1) | instskip(NEXT) | instid1(SALU_CYCLE_1)
	s_and_b32 s0, exec_lo, s25
	s_or_b32 s23, s0, s23
	s_and_not1_b32 s0, s28, exec_lo
	s_and_b32 s28, s27, exec_lo
	s_and_not1_b32 s24, s24, exec_lo
	s_and_b32 s29, s26, exec_lo
	s_or_b32 s28, s0, s28
	s_or_b32 s24, s24, s29
	s_and_not1_b32 exec_lo, exec_lo, s23
	s_cbranch_execz .LBB16_265
.LBB16_263:                             ; =>This Inner Loop Header: Depth=1
	global_load_u8 v19, v[2:3], off
	global_load_u8 v20, v[6:7], off
	s_and_not1_b32 s26, s26, exec_lo
	s_and_not1_b32 s27, s27, exec_lo
	s_or_b32 s25, s25, exec_lo
	s_waitcnt vmcnt(1)
	v_and_b32_e32 v19, 0xff, v19
	s_waitcnt vmcnt(0)
	v_and_b32_e32 v20, 0xff, v20
	s_delay_alu instid0(VALU_DEP_1)
	v_cmp_le_u16_e32 vcc_lo, v19, v20
	v_cmp_lt_u16_e64 s0, v19, v20
	s_and_b32 s29, vcc_lo, s28
	s_delay_alu instid0(VALU_DEP_1) | instid1(SALU_CYCLE_1)
	s_or_b32 s29, s0, s29
	s_delay_alu instid0(SALU_CYCLE_1) | instskip(NEXT) | instid1(SALU_CYCLE_1)
	s_and_b32 s0, s29, exec_lo
	s_or_b32 s26, s26, s0
	s_mov_b32 s0, exec_lo
	v_cmpx_eq_u16_e64 v19, v20
	s_cbranch_execz .LBB16_262
; %bb.264:                              ;   in Loop: Header=BB16_263 Depth=1
	s_add_u32 s20, s20, -1
	s_addc_u32 s21, s21, -1
	v_add_co_u32 v2, vcc_lo, v2, 1
	s_cmp_eq_u64 s[20:21], 0
	v_add_co_ci_u32_e32 v3, vcc_lo, 0, v3, vcc_lo
	v_add_co_u32 v6, vcc_lo, v6, 1
	s_cselect_b32 s28, -1, 0
	v_add_co_ci_u32_e32 v7, vcc_lo, 0, v7, vcc_lo
	s_and_not1_b32 s27, s27, exec_lo
	s_and_b32 s29, s29, exec_lo
	s_and_not1_b32 s25, s25, exec_lo
	s_and_b32 s28, s28, exec_lo
	s_or_b32 s27, s27, s29
	s_and_not1_b32 s26, s26, exec_lo
	s_or_b32 s25, s25, s28
                                        ; implicit-def: $sgpr28
	s_branch .LBB16_262
.LBB16_265:
	s_or_b32 exec_lo, exec_lo, s23
	s_xor_b32 s0, s24, -1
	s_branch .LBB16_267
.LBB16_266:
	s_mov_b32 s0, -1
.LBB16_267:
	s_delay_alu instid0(SALU_CYCLE_1)
	s_and_b32 s0, s0, exec_lo
.LBB16_268:
	s_or_b32 exec_lo, exec_lo, s19
	s_delay_alu instid0(SALU_CYCLE_1)
	s_or_not1_b32 s19, s0, exec_lo
.LBB16_269:
	s_or_b32 exec_lo, exec_lo, s22
	v_cndmask_b32_e64 v2, v9, v8, s19
	v_cndmask_b32_e64 v3, v15, v14, s19
	s_mov_b32 s0, -1
	s_mov_b32 s22, exec_lo
	s_delay_alu instid0(VALU_DEP_2) | instskip(NEXT) | instid1(VALU_DEP_2)
	v_add_nc_u32_e32 v6, 1, v2
	v_add_nc_u32_e32 v2, -1, v3
	s_delay_alu instid0(VALU_DEP_2) | instskip(NEXT) | instid1(VALU_DEP_2)
	v_cndmask_b32_e64 v22, v6, v9, s19
	v_min_u32_e32 v2, v6, v2
	v_cndmask_b32_e64 v19, v8, v6, s19
	s_delay_alu instid0(VALU_DEP_2)
	v_lshl_add_u32 v2, v2, 3, v16
	ds_load_b64 v[2:3], v2
	s_waitcnt lgkmcnt(0)
	v_cndmask_b32_e64 v20, v3, v10, s19
	v_cndmask_b32_e64 v21, v2, v11, s19
	;; [unrolled: 1-line block ×4, first 2 shown]
	v_cmpx_lt_u32_e64 v22, v15
	s_cbranch_execz .LBB16_280
; %bb.270:
	s_mov_b32 s0, 0
	s_mov_b32 s23, exec_lo
	v_cmpx_lt_u32_e64 v19, v14
	s_cbranch_execz .LBB16_279
; %bb.271:
	s_and_not1_b32 vcc_lo, exec_lo, s7
	s_cbranch_vccnz .LBB16_277
; %bb.272:
	v_mad_u64_u32 v[2:3], null, v21, s8, s[10:11]
	v_mul_lo_u32 v8, v21, s9
	v_mul_lo_u32 v9, v20, s8
	v_mad_u64_u32 v[6:7], null, v24, s8, s[10:11]
	v_mul_lo_u32 v25, v24, s9
	v_mul_lo_u32 v40, v23, s8
	s_mov_b32 s24, 0
	s_mov_b64 s[20:21], s[8:9]
                                        ; implicit-def: $sgpr25
                                        ; implicit-def: $sgpr26
                                        ; implicit-def: $sgpr27
                                        ; implicit-def: $sgpr28
                                        ; implicit-def: $sgpr29
	s_delay_alu instid0(VALU_DEP_4) | instskip(NEXT) | instid1(VALU_DEP_2)
	v_add3_u32 v3, v9, v3, v8
	v_add3_u32 v7, v40, v7, v25
	s_branch .LBB16_274
.LBB16_273:                             ;   in Loop: Header=BB16_274 Depth=1
	s_or_b32 exec_lo, exec_lo, s0
	s_delay_alu instid0(SALU_CYCLE_1) | instskip(NEXT) | instid1(SALU_CYCLE_1)
	s_and_b32 s0, exec_lo, s26
	s_or_b32 s24, s0, s24
	s_and_not1_b32 s0, s29, exec_lo
	s_and_b32 s29, s28, exec_lo
	s_and_not1_b32 s25, s25, exec_lo
	s_and_b32 s30, s27, exec_lo
	s_or_b32 s29, s0, s29
	s_or_b32 s25, s25, s30
	s_and_not1_b32 exec_lo, exec_lo, s24
	s_cbranch_execz .LBB16_276
.LBB16_274:                             ; =>This Inner Loop Header: Depth=1
	global_load_u8 v8, v[2:3], off
	global_load_u8 v9, v[6:7], off
	s_and_not1_b32 s27, s27, exec_lo
	s_and_not1_b32 s28, s28, exec_lo
	s_or_b32 s26, s26, exec_lo
	s_waitcnt vmcnt(1)
	v_and_b32_e32 v8, 0xff, v8
	s_waitcnt vmcnt(0)
	v_and_b32_e32 v9, 0xff, v9
	s_delay_alu instid0(VALU_DEP_1)
	v_cmp_le_u16_e32 vcc_lo, v8, v9
	v_cmp_lt_u16_e64 s0, v8, v9
	s_and_b32 s30, vcc_lo, s29
	s_delay_alu instid0(VALU_DEP_1) | instid1(SALU_CYCLE_1)
	s_or_b32 s30, s0, s30
	s_delay_alu instid0(SALU_CYCLE_1) | instskip(NEXT) | instid1(SALU_CYCLE_1)
	s_and_b32 s0, s30, exec_lo
	s_or_b32 s27, s27, s0
	s_mov_b32 s0, exec_lo
	v_cmpx_eq_u16_e64 v8, v9
	s_cbranch_execz .LBB16_273
; %bb.275:                              ;   in Loop: Header=BB16_274 Depth=1
	s_add_u32 s20, s20, -1
	s_addc_u32 s21, s21, -1
	v_add_co_u32 v2, vcc_lo, v2, 1
	s_cmp_eq_u64 s[20:21], 0
	v_add_co_ci_u32_e32 v3, vcc_lo, 0, v3, vcc_lo
	v_add_co_u32 v6, vcc_lo, v6, 1
	s_cselect_b32 s29, -1, 0
	v_add_co_ci_u32_e32 v7, vcc_lo, 0, v7, vcc_lo
	s_and_not1_b32 s28, s28, exec_lo
	s_and_b32 s30, s30, exec_lo
	s_and_not1_b32 s26, s26, exec_lo
	s_and_b32 s29, s29, exec_lo
	s_or_b32 s28, s28, s30
	s_and_not1_b32 s27, s27, exec_lo
	s_or_b32 s26, s26, s29
                                        ; implicit-def: $sgpr29
	s_branch .LBB16_273
.LBB16_276:
	s_or_b32 exec_lo, exec_lo, s24
	s_xor_b32 s0, s25, -1
	s_branch .LBB16_278
.LBB16_277:
	s_mov_b32 s0, -1
.LBB16_278:
	s_delay_alu instid0(SALU_CYCLE_1)
	s_and_b32 s0, s0, exec_lo
.LBB16_279:
	s_or_b32 exec_lo, exec_lo, s23
	s_delay_alu instid0(SALU_CYCLE_1)
	s_or_not1_b32 s0, s0, exec_lo
.LBB16_280:
	s_or_b32 exec_lo, exec_lo, s22
	v_cndmask_b32_e64 v2, v22, v19, s0
	v_cndmask_b32_e64 v3, v15, v14, s0
	;; [unrolled: 1-line block ×5, first 2 shown]
	v_add_nc_u32_e32 v25, 1, v2
	v_add_nc_u32_e32 v2, -1, v3
	v_cndmask_b32_e64 v3, v10, v17, s19
	v_cndmask_b32_e64 v4, v21, v24, s0
	s_mov_b32 s12, exec_lo
	v_cndmask_b32_e64 v10, v25, v22, s0
	v_min_u32_e32 v2, v25, v2
	s_delay_alu instid0(VALU_DEP_1)
	v_lshl_add_u32 v2, v2, 3, v16
	ds_load_b64 v[8:9], v2
	v_cndmask_b32_e64 v2, v11, v18, s19
	s_waitcnt lgkmcnt(0)
	v_cndmask_b32_e64 v7, v23, v9, s0
	v_cndmask_b32_e64 v6, v24, v8, s0
	v_cmpx_lt_u32_e64 v10, v15
	s_cbranch_execz .LBB16_290
; %bb.281:
	v_cndmask_b32_e64 v10, v19, v25, s0
	v_cndmask_b32_e64 v9, v9, v20, s0
	;; [unrolled: 1-line block ×3, first 2 shown]
	s_mov_b32 s19, exec_lo
	s_delay_alu instid0(VALU_DEP_3)
	v_cmpx_lt_u32_e64 v10, v14
	s_cbranch_execz .LBB16_289
; %bb.282:
	s_and_not1_b32 vcc_lo, exec_lo, s7
	s_cbranch_vccnz .LBB16_288
; %bb.283:
	v_mad_u64_u32 v[10:11], null, v8, s8, s[10:11]
	v_mul_lo_u32 v16, v8, s9
	v_mul_lo_u32 v17, v9, s8
	v_mad_u64_u32 v[14:15], null, v6, s8, s[10:11]
	v_mul_lo_u32 v18, v6, s9
	v_mul_lo_u32 v19, v7, s8
	s_mov_b32 s22, 0
	s_mov_b64 s[20:21], s[8:9]
                                        ; implicit-def: $sgpr23
                                        ; implicit-def: $sgpr24
                                        ; implicit-def: $sgpr25
                                        ; implicit-def: $sgpr26
                                        ; implicit-def: $sgpr27
	s_delay_alu instid0(VALU_DEP_4) | instskip(NEXT) | instid1(VALU_DEP_2)
	v_add3_u32 v11, v17, v11, v16
	v_add3_u32 v15, v19, v15, v18
	s_branch .LBB16_285
.LBB16_284:                             ;   in Loop: Header=BB16_285 Depth=1
	s_or_b32 exec_lo, exec_lo, s0
	s_delay_alu instid0(SALU_CYCLE_1) | instskip(NEXT) | instid1(SALU_CYCLE_1)
	s_and_b32 s0, exec_lo, s24
	s_or_b32 s22, s0, s22
	s_and_not1_b32 s0, s27, exec_lo
	s_and_b32 s27, s26, exec_lo
	s_and_not1_b32 s23, s23, exec_lo
	s_and_b32 s28, s25, exec_lo
	s_or_b32 s27, s0, s27
	s_or_b32 s23, s23, s28
	s_and_not1_b32 exec_lo, exec_lo, s22
	s_cbranch_execz .LBB16_287
.LBB16_285:                             ; =>This Inner Loop Header: Depth=1
	global_load_u8 v16, v[10:11], off
	global_load_u8 v17, v[14:15], off
	s_and_not1_b32 s25, s25, exec_lo
	s_and_not1_b32 s26, s26, exec_lo
	s_or_b32 s24, s24, exec_lo
	s_waitcnt vmcnt(1)
	v_and_b32_e32 v16, 0xff, v16
	s_waitcnt vmcnt(0)
	v_and_b32_e32 v17, 0xff, v17
	s_delay_alu instid0(VALU_DEP_1)
	v_cmp_le_u16_e32 vcc_lo, v16, v17
	v_cmp_lt_u16_e64 s0, v16, v17
	s_and_b32 s28, vcc_lo, s27
	s_delay_alu instid0(VALU_DEP_1) | instid1(SALU_CYCLE_1)
	s_or_b32 s28, s0, s28
	s_delay_alu instid0(SALU_CYCLE_1) | instskip(NEXT) | instid1(SALU_CYCLE_1)
	s_and_b32 s0, s28, exec_lo
	s_or_b32 s25, s25, s0
	s_mov_b32 s0, exec_lo
	v_cmpx_eq_u16_e64 v16, v17
	s_cbranch_execz .LBB16_284
; %bb.286:                              ;   in Loop: Header=BB16_285 Depth=1
	s_add_u32 s20, s20, -1
	s_addc_u32 s21, s21, -1
	v_add_co_u32 v10, vcc_lo, v10, 1
	s_cmp_eq_u64 s[20:21], 0
	v_add_co_ci_u32_e32 v11, vcc_lo, 0, v11, vcc_lo
	v_add_co_u32 v14, vcc_lo, v14, 1
	s_cselect_b32 s27, -1, 0
	v_add_co_ci_u32_e32 v15, vcc_lo, 0, v15, vcc_lo
	s_and_not1_b32 s26, s26, exec_lo
	s_and_b32 s28, s28, exec_lo
	s_and_not1_b32 s24, s24, exec_lo
	s_and_b32 s27, s27, exec_lo
	s_or_b32 s26, s26, s28
	s_and_not1_b32 s25, s25, exec_lo
	s_or_b32 s24, s24, s27
                                        ; implicit-def: $sgpr27
	s_branch .LBB16_284
.LBB16_287:
	s_or_b32 exec_lo, exec_lo, s22
	v_cndmask_b32_e64 v7, v7, v9, s23
	v_cndmask_b32_e64 v6, v6, v8, s23
.LBB16_288:
	s_delay_alu instid0(VALU_DEP_1)
	v_dual_mov_b32 v9, v7 :: v_dual_mov_b32 v8, v6
.LBB16_289:
	s_or_b32 exec_lo, exec_lo, s19
	s_delay_alu instid0(VALU_DEP_1)
	v_dual_mov_b32 v6, v8 :: v_dual_mov_b32 v7, v9
.LBB16_290:
	s_or_b32 exec_lo, exec_lo, s12
.LBB16_291:
	s_delay_alu instid0(SALU_CYCLE_1) | instskip(SKIP_4) | instid1(VALU_DEP_3)
	s_or_b32 exec_lo, exec_lo, s1
	v_and_b32_e32 v19, 0xf80, v27
	v_and_b32_e32 v20, 0x7c, v27
	v_lshlrev_b32_e32 v16, 3, v27
	s_mov_b32 s1, exec_lo
	v_or_b32_e32 v8, 64, v19
	v_lshlrev_b32_e32 v18, 3, v19
	; wave barrier
	s_waitcnt lgkmcnt(0)
	s_barrier
	s_delay_alu instid0(VALU_DEP_2)
	v_min_u32_e32 v9, 0x3c0, v8
	v_min_u32_e32 v14, 0x400, v8
	buffer_gl0_inv
	ds_store_b128 v16, v[0:3]
	ds_store_b128 v16, v[4:7] offset:16
	s_waitcnt lgkmcnt(0)
	v_add_nc_u32_e32 v15, 64, v9
	v_sub_nc_u32_e32 v8, v14, v19
	s_barrier
	buffer_gl0_inv
	v_sub_nc_u32_e32 v9, v15, v14
	v_min_u32_e32 v21, v20, v8
	s_delay_alu instid0(VALU_DEP_2) | instskip(NEXT) | instid1(VALU_DEP_1)
	v_sub_nc_u32_e64 v17, v20, v9 clamp
	v_cmpx_lt_u32_e64 v17, v21
	s_cbranch_execz .LBB16_301
; %bb.292:
	v_lshlrev_b32_e32 v8, 3, v20
	s_mov_b32 s12, 0
	s_delay_alu instid0(VALU_DEP_1)
	v_lshl_add_u32 v22, v14, 3, v8
	s_branch .LBB16_295
.LBB16_293:                             ;   in Loop: Header=BB16_295 Depth=1
	s_or_b32 exec_lo, exec_lo, s19
.LBB16_294:                             ;   in Loop: Header=BB16_295 Depth=1
	s_delay_alu instid0(VALU_DEP_1) | instskip(SKIP_1) | instid1(VALU_DEP_2)
	v_add_nc_u32_e32 v8, 1, v23
	v_cndmask_b32_e64 v21, v21, v23, s22
	v_cndmask_b32_e64 v17, v8, v17, s22
	s_delay_alu instid0(VALU_DEP_1) | instskip(SKIP_1) | instid1(SALU_CYCLE_1)
	v_cmp_ge_u32_e32 vcc_lo, v17, v21
	s_or_b32 s12, vcc_lo, s12
	s_and_not1_b32 exec_lo, exec_lo, s12
	s_cbranch_execz .LBB16_300
.LBB16_295:                             ; =>This Loop Header: Depth=1
                                        ;     Child Loop BB16_298 Depth 2
	v_add_nc_u32_e32 v8, v21, v17
	s_and_not1_b32 vcc_lo, exec_lo, s7
	s_mov_b32 s22, 0
	s_delay_alu instid0(VALU_DEP_1)
	v_lshrrev_b32_e32 v23, 1, v8
	s_cbranch_vccnz .LBB16_294
; %bb.296:                              ;   in Loop: Header=BB16_295 Depth=1
	s_delay_alu instid0(VALU_DEP_1) | instskip(SKIP_3) | instid1(VALU_DEP_2)
	v_not_b32_e32 v8, v23
	v_lshl_add_u32 v9, v23, 3, v18
	s_mov_b32 s19, 0
	s_mov_b64 s[20:21], s[8:9]
                                        ; implicit-def: $sgpr22
                                        ; implicit-def: $sgpr23
                                        ; implicit-def: $sgpr24
                                        ; implicit-def: $sgpr25
                                        ; implicit-def: $sgpr26
	v_lshl_add_u32 v8, v8, 3, v22
	ds_load_b64 v[10:11], v8
	ds_load_b64 v[24:25], v9
	s_waitcnt lgkmcnt(1)
	v_mul_lo_u32 v40, v10, s9
	v_mul_lo_u32 v41, v11, s8
	v_mad_u64_u32 v[8:9], null, v10, s8, s[10:11]
	s_waitcnt lgkmcnt(0)
	v_mul_lo_u32 v42, v24, s9
	v_mul_lo_u32 v25, v25, s8
	v_mad_u64_u32 v[10:11], null, v24, s8, s[10:11]
	s_delay_alu instid0(VALU_DEP_4) | instskip(NEXT) | instid1(VALU_DEP_2)
	v_add3_u32 v9, v41, v9, v40
	v_add3_u32 v11, v25, v11, v42
	s_branch .LBB16_298
.LBB16_297:                             ;   in Loop: Header=BB16_298 Depth=2
	s_or_b32 exec_lo, exec_lo, s0
	s_delay_alu instid0(SALU_CYCLE_1) | instskip(NEXT) | instid1(SALU_CYCLE_1)
	s_and_b32 s0, exec_lo, s23
	s_or_b32 s19, s0, s19
	s_and_not1_b32 s0, s26, exec_lo
	s_and_b32 s26, s24, exec_lo
	s_and_not1_b32 s22, s22, exec_lo
	s_and_b32 s27, s25, exec_lo
	s_or_b32 s26, s0, s26
	s_or_b32 s22, s22, s27
	s_and_not1_b32 exec_lo, exec_lo, s19
	s_cbranch_execz .LBB16_293
.LBB16_298:                             ;   Parent Loop BB16_295 Depth=1
                                        ; =>  This Inner Loop Header: Depth=2
	global_load_u8 v24, v[8:9], off
	global_load_u8 v25, v[10:11], off
	s_and_not1_b32 s25, s25, exec_lo
	s_and_not1_b32 s24, s24, exec_lo
	s_or_b32 s23, s23, exec_lo
	s_waitcnt vmcnt(1)
	v_and_b32_e32 v24, 0xff, v24
	s_waitcnt vmcnt(0)
	v_and_b32_e32 v25, 0xff, v25
	s_delay_alu instid0(VALU_DEP_1)
	v_cmp_le_u16_e32 vcc_lo, v24, v25
	v_cmp_lt_u16_e64 s0, v24, v25
	s_and_b32 s27, vcc_lo, s26
	s_delay_alu instid0(VALU_DEP_1) | instid1(SALU_CYCLE_1)
	s_or_b32 s27, s0, s27
	s_delay_alu instid0(SALU_CYCLE_1) | instskip(NEXT) | instid1(SALU_CYCLE_1)
	s_and_b32 s0, s27, exec_lo
	s_or_b32 s25, s25, s0
	s_mov_b32 s0, exec_lo
	v_cmpx_eq_u16_e64 v24, v25
	s_cbranch_execz .LBB16_297
; %bb.299:                              ;   in Loop: Header=BB16_298 Depth=2
	s_add_u32 s20, s20, -1
	s_addc_u32 s21, s21, -1
	v_add_co_u32 v8, vcc_lo, v8, 1
	v_add_co_ci_u32_e32 v9, vcc_lo, 0, v9, vcc_lo
	s_cmp_eq_u64 s[20:21], 0
	v_add_co_u32 v10, vcc_lo, v10, 1
	s_cselect_b32 s26, -1, 0
	v_add_co_ci_u32_e32 v11, vcc_lo, 0, v11, vcc_lo
	s_and_not1_b32 s24, s24, exec_lo
	s_and_b32 s27, s27, exec_lo
	s_and_not1_b32 s23, s23, exec_lo
	s_and_b32 s26, s26, exec_lo
	s_and_not1_b32 s25, s25, exec_lo
	s_or_b32 s24, s24, s27
	s_or_b32 s23, s23, s26
                                        ; implicit-def: $sgpr26
	s_branch .LBB16_297
.LBB16_300:
	s_or_b32 exec_lo, exec_lo, s12
.LBB16_301:
	s_delay_alu instid0(SALU_CYCLE_1) | instskip(SKIP_2) | instid1(VALU_DEP_2)
	s_or_b32 exec_lo, exec_lo, s1
	v_sub_nc_u32_e32 v9, v20, v17
	v_add_nc_u32_e32 v8, v17, v19
	v_add_nc_u32_e32 v9, v9, v14
	s_delay_alu instid0(VALU_DEP_2) | instskip(NEXT) | instid1(VALU_DEP_2)
	v_cmp_le_u32_e32 vcc_lo, v8, v14
	v_cmp_le_u32_e64 s0, v9, v15
	s_delay_alu instid0(VALU_DEP_1) | instskip(NEXT) | instid1(SALU_CYCLE_1)
	s_or_b32 s0, vcc_lo, s0
	s_and_saveexec_b32 s1, s0
	s_cbranch_execz .LBB16_348
; %bb.302:
	v_cmp_ge_u32_e32 vcc_lo, v8, v14
	s_mov_b32 s12, exec_lo
                                        ; implicit-def: $vgpr0_vgpr1
	v_cmpx_lt_u32_e64 v8, v14
	s_cbranch_execz .LBB16_304
; %bb.303:
	v_lshl_add_u32 v0, v17, 3, v18
	ds_load_b64 v[0:1], v0
.LBB16_304:
	s_or_b32 exec_lo, exec_lo, s12
	v_cmp_ge_u32_e64 s12, v9, v15
	s_mov_b32 s19, exec_lo
                                        ; implicit-def: $vgpr4_vgpr5
	v_cmpx_lt_u32_e64 v9, v15
	s_cbranch_execz .LBB16_306
; %bb.305:
	v_lshlrev_b32_e32 v2, 3, v9
	ds_load_b64 v[4:5], v2
.LBB16_306:
	s_or_b32 exec_lo, exec_lo, s19
	s_or_b32 s0, vcc_lo, s12
	s_mov_b32 s19, -1
	s_xor_b32 s0, s0, -1
	s_delay_alu instid0(SALU_CYCLE_1)
	s_and_saveexec_b32 s22, s0
	s_cbranch_execz .LBB16_315
; %bb.307:
	s_and_not1_b32 vcc_lo, exec_lo, s7
	s_cbranch_vccnz .LBB16_313
; %bb.308:
	s_waitcnt lgkmcnt(0)
	v_mad_u64_u32 v[2:3], null, v4, s8, s[10:11]
	v_mul_lo_u32 v10, v4, s9
	v_mul_lo_u32 v11, v5, s8
	v_mad_u64_u32 v[6:7], null, v0, s8, s[10:11]
	v_mul_lo_u32 v17, v0, s9
	v_mul_lo_u32 v18, v1, s8
	s_mov_b32 s23, 0
	s_mov_b64 s[20:21], s[8:9]
                                        ; implicit-def: $sgpr24
                                        ; implicit-def: $sgpr25
                                        ; implicit-def: $sgpr26
                                        ; implicit-def: $sgpr27
                                        ; implicit-def: $sgpr28
	s_delay_alu instid0(VALU_DEP_4) | instskip(NEXT) | instid1(VALU_DEP_2)
	v_add3_u32 v3, v11, v3, v10
	v_add3_u32 v7, v18, v7, v17
	s_branch .LBB16_310
.LBB16_309:                             ;   in Loop: Header=BB16_310 Depth=1
	s_or_b32 exec_lo, exec_lo, s0
	s_delay_alu instid0(SALU_CYCLE_1) | instskip(NEXT) | instid1(SALU_CYCLE_1)
	s_and_b32 s0, exec_lo, s25
	s_or_b32 s23, s0, s23
	s_and_not1_b32 s0, s28, exec_lo
	s_and_b32 s28, s27, exec_lo
	s_and_not1_b32 s24, s24, exec_lo
	s_and_b32 s29, s26, exec_lo
	s_or_b32 s28, s0, s28
	s_or_b32 s24, s24, s29
	s_and_not1_b32 exec_lo, exec_lo, s23
	s_cbranch_execz .LBB16_312
.LBB16_310:                             ; =>This Inner Loop Header: Depth=1
	global_load_u8 v10, v[2:3], off
	global_load_u8 v11, v[6:7], off
	s_and_not1_b32 s26, s26, exec_lo
	s_and_not1_b32 s27, s27, exec_lo
	s_or_b32 s25, s25, exec_lo
	s_waitcnt vmcnt(1)
	v_and_b32_e32 v10, 0xff, v10
	s_waitcnt vmcnt(0)
	v_and_b32_e32 v11, 0xff, v11
	s_delay_alu instid0(VALU_DEP_1)
	v_cmp_le_u16_e32 vcc_lo, v10, v11
	v_cmp_lt_u16_e64 s0, v10, v11
	s_and_b32 s29, vcc_lo, s28
	s_delay_alu instid0(VALU_DEP_1) | instid1(SALU_CYCLE_1)
	s_or_b32 s29, s0, s29
	s_delay_alu instid0(SALU_CYCLE_1) | instskip(NEXT) | instid1(SALU_CYCLE_1)
	s_and_b32 s0, s29, exec_lo
	s_or_b32 s26, s26, s0
	s_mov_b32 s0, exec_lo
	v_cmpx_eq_u16_e64 v10, v11
	s_cbranch_execz .LBB16_309
; %bb.311:                              ;   in Loop: Header=BB16_310 Depth=1
	s_add_u32 s20, s20, -1
	s_addc_u32 s21, s21, -1
	v_add_co_u32 v2, vcc_lo, v2, 1
	s_cmp_eq_u64 s[20:21], 0
	v_add_co_ci_u32_e32 v3, vcc_lo, 0, v3, vcc_lo
	s_cselect_b32 s28, -1, 0
	s_and_not1_b32 s27, s27, exec_lo
	s_and_b32 s29, s29, exec_lo
	v_add_co_u32 v6, vcc_lo, v6, 1
	s_and_not1_b32 s25, s25, exec_lo
	s_and_b32 s28, s28, exec_lo
	v_add_co_ci_u32_e32 v7, vcc_lo, 0, v7, vcc_lo
	s_or_b32 s27, s27, s29
	s_and_not1_b32 s26, s26, exec_lo
	s_or_b32 s25, s25, s28
                                        ; implicit-def: $sgpr28
	s_branch .LBB16_309
.LBB16_312:
	s_or_b32 exec_lo, exec_lo, s23
	s_xor_b32 s0, s24, -1
	s_branch .LBB16_314
.LBB16_313:
	s_mov_b32 s0, -1
.LBB16_314:
	s_and_not1_b32 s12, s12, exec_lo
	s_and_b32 s0, s0, exec_lo
	s_delay_alu instid0(SALU_CYCLE_1)
	s_or_b32 s12, s12, s0
.LBB16_315:
	s_or_b32 exec_lo, exec_lo, s22
	v_cndmask_b32_e64 v2, v9, v8, s12
	v_cndmask_b32_e64 v3, v15, v14, s12
	s_mov_b32 s22, exec_lo
	s_delay_alu instid0(VALU_DEP_2) | instskip(NEXT) | instid1(VALU_DEP_2)
	v_add_nc_u32_e32 v6, 1, v2
	v_add_nc_u32_e32 v2, -1, v3
	s_delay_alu instid0(VALU_DEP_2) | instskip(NEXT) | instid1(VALU_DEP_2)
	v_cndmask_b32_e64 v9, v6, v9, s12
	v_min_u32_e32 v2, v6, v2
	v_cndmask_b32_e64 v8, v8, v6, s12
	s_delay_alu instid0(VALU_DEP_2)
	v_lshlrev_b32_e32 v2, 3, v2
	ds_load_b64 v[2:3], v2
	s_waitcnt lgkmcnt(0)
	v_cndmask_b32_e64 v10, v3, v5, s12
	v_cndmask_b32_e64 v11, v2, v4, s12
	;; [unrolled: 1-line block ×4, first 2 shown]
	v_cmpx_lt_u32_e64 v9, v15
	s_cbranch_execz .LBB16_326
; %bb.316:
	s_mov_b32 s0, 0
	s_mov_b32 s19, exec_lo
	v_cmpx_lt_u32_e64 v8, v14
	s_cbranch_execz .LBB16_325
; %bb.317:
	s_and_not1_b32 vcc_lo, exec_lo, s7
	s_cbranch_vccnz .LBB16_323
; %bb.318:
	v_mad_u64_u32 v[2:3], null, v11, s8, s[10:11]
	v_mul_lo_u32 v19, v11, s9
	v_mul_lo_u32 v20, v10, s8
	v_mad_u64_u32 v[6:7], null, v18, s8, s[10:11]
	v_mul_lo_u32 v21, v18, s9
	v_mul_lo_u32 v22, v17, s8
	s_mov_b32 s23, 0
	s_mov_b64 s[20:21], s[8:9]
                                        ; implicit-def: $sgpr24
                                        ; implicit-def: $sgpr25
                                        ; implicit-def: $sgpr26
                                        ; implicit-def: $sgpr27
                                        ; implicit-def: $sgpr28
	s_delay_alu instid0(VALU_DEP_4) | instskip(NEXT) | instid1(VALU_DEP_2)
	v_add3_u32 v3, v20, v3, v19
	v_add3_u32 v7, v22, v7, v21
	s_branch .LBB16_320
.LBB16_319:                             ;   in Loop: Header=BB16_320 Depth=1
	s_or_b32 exec_lo, exec_lo, s0
	s_delay_alu instid0(SALU_CYCLE_1) | instskip(NEXT) | instid1(SALU_CYCLE_1)
	s_and_b32 s0, exec_lo, s25
	s_or_b32 s23, s0, s23
	s_and_not1_b32 s0, s28, exec_lo
	s_and_b32 s28, s27, exec_lo
	s_and_not1_b32 s24, s24, exec_lo
	s_and_b32 s29, s26, exec_lo
	s_or_b32 s28, s0, s28
	s_or_b32 s24, s24, s29
	s_and_not1_b32 exec_lo, exec_lo, s23
	s_cbranch_execz .LBB16_322
.LBB16_320:                             ; =>This Inner Loop Header: Depth=1
	global_load_u8 v19, v[2:3], off
	global_load_u8 v20, v[6:7], off
	s_and_not1_b32 s26, s26, exec_lo
	s_and_not1_b32 s27, s27, exec_lo
	s_or_b32 s25, s25, exec_lo
	s_waitcnt vmcnt(1)
	v_and_b32_e32 v19, 0xff, v19
	s_waitcnt vmcnt(0)
	v_and_b32_e32 v20, 0xff, v20
	s_delay_alu instid0(VALU_DEP_1)
	v_cmp_le_u16_e32 vcc_lo, v19, v20
	v_cmp_lt_u16_e64 s0, v19, v20
	s_and_b32 s29, vcc_lo, s28
	s_delay_alu instid0(VALU_DEP_1) | instid1(SALU_CYCLE_1)
	s_or_b32 s29, s0, s29
	s_delay_alu instid0(SALU_CYCLE_1) | instskip(NEXT) | instid1(SALU_CYCLE_1)
	s_and_b32 s0, s29, exec_lo
	s_or_b32 s26, s26, s0
	s_mov_b32 s0, exec_lo
	v_cmpx_eq_u16_e64 v19, v20
	s_cbranch_execz .LBB16_319
; %bb.321:                              ;   in Loop: Header=BB16_320 Depth=1
	s_add_u32 s20, s20, -1
	s_addc_u32 s21, s21, -1
	v_add_co_u32 v2, vcc_lo, v2, 1
	s_cmp_eq_u64 s[20:21], 0
	v_add_co_ci_u32_e32 v3, vcc_lo, 0, v3, vcc_lo
	v_add_co_u32 v6, vcc_lo, v6, 1
	s_cselect_b32 s28, -1, 0
	v_add_co_ci_u32_e32 v7, vcc_lo, 0, v7, vcc_lo
	s_and_not1_b32 s27, s27, exec_lo
	s_and_b32 s29, s29, exec_lo
	s_and_not1_b32 s25, s25, exec_lo
	s_and_b32 s28, s28, exec_lo
	s_or_b32 s27, s27, s29
	s_and_not1_b32 s26, s26, exec_lo
	s_or_b32 s25, s25, s28
                                        ; implicit-def: $sgpr28
	s_branch .LBB16_319
.LBB16_322:
	s_or_b32 exec_lo, exec_lo, s23
	s_xor_b32 s0, s24, -1
	s_branch .LBB16_324
.LBB16_323:
	s_mov_b32 s0, -1
.LBB16_324:
	s_delay_alu instid0(SALU_CYCLE_1)
	s_and_b32 s0, s0, exec_lo
.LBB16_325:
	s_or_b32 exec_lo, exec_lo, s19
	s_delay_alu instid0(SALU_CYCLE_1)
	s_or_not1_b32 s19, s0, exec_lo
.LBB16_326:
	s_or_b32 exec_lo, exec_lo, s22
	v_cndmask_b32_e64 v2, v9, v8, s19
	v_cndmask_b32_e64 v3, v15, v14, s19
	s_mov_b32 s0, -1
	s_mov_b32 s22, exec_lo
	s_delay_alu instid0(VALU_DEP_2) | instskip(NEXT) | instid1(VALU_DEP_2)
	v_add_nc_u32_e32 v6, 1, v2
	v_add_nc_u32_e32 v2, -1, v3
	s_delay_alu instid0(VALU_DEP_2) | instskip(NEXT) | instid1(VALU_DEP_2)
	v_cndmask_b32_e64 v22, v6, v9, s19
	v_min_u32_e32 v2, v6, v2
	v_cndmask_b32_e64 v19, v8, v6, s19
	s_delay_alu instid0(VALU_DEP_2)
	v_lshlrev_b32_e32 v2, 3, v2
	ds_load_b64 v[2:3], v2
	s_waitcnt lgkmcnt(0)
	v_cndmask_b32_e64 v20, v3, v10, s19
	v_cndmask_b32_e64 v21, v2, v11, s19
	;; [unrolled: 1-line block ×4, first 2 shown]
	v_cmpx_lt_u32_e64 v22, v15
	s_cbranch_execz .LBB16_337
; %bb.327:
	s_mov_b32 s0, 0
	s_mov_b32 s23, exec_lo
	v_cmpx_lt_u32_e64 v19, v14
	s_cbranch_execz .LBB16_336
; %bb.328:
	s_and_not1_b32 vcc_lo, exec_lo, s7
	s_cbranch_vccnz .LBB16_334
; %bb.329:
	v_mad_u64_u32 v[2:3], null, v21, s8, s[10:11]
	v_mul_lo_u32 v8, v21, s9
	v_mul_lo_u32 v9, v20, s8
	v_mad_u64_u32 v[6:7], null, v24, s8, s[10:11]
	v_mul_lo_u32 v25, v24, s9
	v_mul_lo_u32 v40, v23, s8
	s_mov_b32 s24, 0
	s_mov_b64 s[20:21], s[8:9]
                                        ; implicit-def: $sgpr25
                                        ; implicit-def: $sgpr26
                                        ; implicit-def: $sgpr27
                                        ; implicit-def: $sgpr28
                                        ; implicit-def: $sgpr29
	s_delay_alu instid0(VALU_DEP_4) | instskip(NEXT) | instid1(VALU_DEP_2)
	v_add3_u32 v3, v9, v3, v8
	v_add3_u32 v7, v40, v7, v25
	s_branch .LBB16_331
.LBB16_330:                             ;   in Loop: Header=BB16_331 Depth=1
	s_or_b32 exec_lo, exec_lo, s0
	s_delay_alu instid0(SALU_CYCLE_1) | instskip(NEXT) | instid1(SALU_CYCLE_1)
	s_and_b32 s0, exec_lo, s26
	s_or_b32 s24, s0, s24
	s_and_not1_b32 s0, s29, exec_lo
	s_and_b32 s29, s28, exec_lo
	s_and_not1_b32 s25, s25, exec_lo
	s_and_b32 s30, s27, exec_lo
	s_or_b32 s29, s0, s29
	s_or_b32 s25, s25, s30
	s_and_not1_b32 exec_lo, exec_lo, s24
	s_cbranch_execz .LBB16_333
.LBB16_331:                             ; =>This Inner Loop Header: Depth=1
	global_load_u8 v8, v[2:3], off
	global_load_u8 v9, v[6:7], off
	s_and_not1_b32 s27, s27, exec_lo
	s_and_not1_b32 s28, s28, exec_lo
	s_or_b32 s26, s26, exec_lo
	s_waitcnt vmcnt(1)
	v_and_b32_e32 v8, 0xff, v8
	s_waitcnt vmcnt(0)
	v_and_b32_e32 v9, 0xff, v9
	s_delay_alu instid0(VALU_DEP_1)
	v_cmp_le_u16_e32 vcc_lo, v8, v9
	v_cmp_lt_u16_e64 s0, v8, v9
	s_and_b32 s30, vcc_lo, s29
	s_delay_alu instid0(VALU_DEP_1) | instid1(SALU_CYCLE_1)
	s_or_b32 s30, s0, s30
	s_delay_alu instid0(SALU_CYCLE_1) | instskip(NEXT) | instid1(SALU_CYCLE_1)
	s_and_b32 s0, s30, exec_lo
	s_or_b32 s27, s27, s0
	s_mov_b32 s0, exec_lo
	v_cmpx_eq_u16_e64 v8, v9
	s_cbranch_execz .LBB16_330
; %bb.332:                              ;   in Loop: Header=BB16_331 Depth=1
	s_add_u32 s20, s20, -1
	s_addc_u32 s21, s21, -1
	v_add_co_u32 v2, vcc_lo, v2, 1
	s_cmp_eq_u64 s[20:21], 0
	v_add_co_ci_u32_e32 v3, vcc_lo, 0, v3, vcc_lo
	v_add_co_u32 v6, vcc_lo, v6, 1
	s_cselect_b32 s29, -1, 0
	v_add_co_ci_u32_e32 v7, vcc_lo, 0, v7, vcc_lo
	s_and_not1_b32 s28, s28, exec_lo
	s_and_b32 s30, s30, exec_lo
	s_and_not1_b32 s26, s26, exec_lo
	s_and_b32 s29, s29, exec_lo
	s_or_b32 s28, s28, s30
	s_and_not1_b32 s27, s27, exec_lo
	s_or_b32 s26, s26, s29
                                        ; implicit-def: $sgpr29
	s_branch .LBB16_330
.LBB16_333:
	s_or_b32 exec_lo, exec_lo, s24
	s_xor_b32 s0, s25, -1
	s_branch .LBB16_335
.LBB16_334:
	s_mov_b32 s0, -1
.LBB16_335:
	s_delay_alu instid0(SALU_CYCLE_1)
	s_and_b32 s0, s0, exec_lo
.LBB16_336:
	s_or_b32 exec_lo, exec_lo, s23
	s_delay_alu instid0(SALU_CYCLE_1)
	s_or_not1_b32 s0, s0, exec_lo
.LBB16_337:
	s_or_b32 exec_lo, exec_lo, s22
	v_cndmask_b32_e64 v2, v22, v19, s0
	v_cndmask_b32_e64 v3, v15, v14, s0
	;; [unrolled: 1-line block ×5, first 2 shown]
	v_add_nc_u32_e32 v25, 1, v2
	v_add_nc_u32_e32 v2, -1, v3
	v_cndmask_b32_e64 v3, v10, v17, s19
	v_cndmask_b32_e64 v4, v21, v24, s0
	s_mov_b32 s12, exec_lo
	v_cndmask_b32_e64 v10, v25, v22, s0
	v_min_u32_e32 v2, v25, v2
	s_delay_alu instid0(VALU_DEP_1)
	v_lshlrev_b32_e32 v2, 3, v2
	ds_load_b64 v[8:9], v2
	v_cndmask_b32_e64 v2, v11, v18, s19
	s_waitcnt lgkmcnt(0)
	v_cndmask_b32_e64 v7, v23, v9, s0
	v_cndmask_b32_e64 v6, v24, v8, s0
	v_cmpx_lt_u32_e64 v10, v15
	s_cbranch_execz .LBB16_347
; %bb.338:
	v_cndmask_b32_e64 v10, v19, v25, s0
	v_cndmask_b32_e64 v9, v9, v20, s0
	;; [unrolled: 1-line block ×3, first 2 shown]
	s_mov_b32 s19, exec_lo
	s_delay_alu instid0(VALU_DEP_3)
	v_cmpx_lt_u32_e64 v10, v14
	s_cbranch_execz .LBB16_346
; %bb.339:
	s_and_not1_b32 vcc_lo, exec_lo, s7
	s_cbranch_vccnz .LBB16_345
; %bb.340:
	v_mad_u64_u32 v[10:11], null, v8, s8, s[10:11]
	v_mul_lo_u32 v17, v8, s9
	v_mul_lo_u32 v18, v9, s8
	v_mad_u64_u32 v[14:15], null, v6, s8, s[10:11]
	v_mul_lo_u32 v19, v6, s9
	v_mul_lo_u32 v20, v7, s8
	s_mov_b32 s22, 0
	s_mov_b64 s[20:21], s[8:9]
                                        ; implicit-def: $sgpr23
                                        ; implicit-def: $sgpr24
                                        ; implicit-def: $sgpr25
                                        ; implicit-def: $sgpr26
                                        ; implicit-def: $sgpr27
	s_delay_alu instid0(VALU_DEP_4) | instskip(NEXT) | instid1(VALU_DEP_2)
	v_add3_u32 v11, v18, v11, v17
	v_add3_u32 v15, v20, v15, v19
	s_branch .LBB16_342
.LBB16_341:                             ;   in Loop: Header=BB16_342 Depth=1
	s_or_b32 exec_lo, exec_lo, s0
	s_delay_alu instid0(SALU_CYCLE_1) | instskip(NEXT) | instid1(SALU_CYCLE_1)
	s_and_b32 s0, exec_lo, s24
	s_or_b32 s22, s0, s22
	s_and_not1_b32 s0, s27, exec_lo
	s_and_b32 s27, s26, exec_lo
	s_and_not1_b32 s23, s23, exec_lo
	s_and_b32 s28, s25, exec_lo
	s_or_b32 s27, s0, s27
	s_or_b32 s23, s23, s28
	s_and_not1_b32 exec_lo, exec_lo, s22
	s_cbranch_execz .LBB16_344
.LBB16_342:                             ; =>This Inner Loop Header: Depth=1
	global_load_u8 v17, v[10:11], off
	global_load_u8 v18, v[14:15], off
	s_and_not1_b32 s25, s25, exec_lo
	s_and_not1_b32 s26, s26, exec_lo
	s_or_b32 s24, s24, exec_lo
	s_waitcnt vmcnt(1)
	v_and_b32_e32 v17, 0xff, v17
	s_waitcnt vmcnt(0)
	v_and_b32_e32 v18, 0xff, v18
	s_delay_alu instid0(VALU_DEP_1)
	v_cmp_le_u16_e32 vcc_lo, v17, v18
	v_cmp_lt_u16_e64 s0, v17, v18
	s_and_b32 s28, vcc_lo, s27
	s_delay_alu instid0(VALU_DEP_1) | instid1(SALU_CYCLE_1)
	s_or_b32 s28, s0, s28
	s_delay_alu instid0(SALU_CYCLE_1) | instskip(NEXT) | instid1(SALU_CYCLE_1)
	s_and_b32 s0, s28, exec_lo
	s_or_b32 s25, s25, s0
	s_mov_b32 s0, exec_lo
	v_cmpx_eq_u16_e64 v17, v18
	s_cbranch_execz .LBB16_341
; %bb.343:                              ;   in Loop: Header=BB16_342 Depth=1
	s_add_u32 s20, s20, -1
	s_addc_u32 s21, s21, -1
	v_add_co_u32 v10, vcc_lo, v10, 1
	s_cmp_eq_u64 s[20:21], 0
	v_add_co_ci_u32_e32 v11, vcc_lo, 0, v11, vcc_lo
	v_add_co_u32 v14, vcc_lo, v14, 1
	s_cselect_b32 s27, -1, 0
	v_add_co_ci_u32_e32 v15, vcc_lo, 0, v15, vcc_lo
	s_and_not1_b32 s26, s26, exec_lo
	s_and_b32 s28, s28, exec_lo
	s_and_not1_b32 s24, s24, exec_lo
	s_and_b32 s27, s27, exec_lo
	s_or_b32 s26, s26, s28
	s_and_not1_b32 s25, s25, exec_lo
	s_or_b32 s24, s24, s27
                                        ; implicit-def: $sgpr27
	s_branch .LBB16_341
.LBB16_344:
	s_or_b32 exec_lo, exec_lo, s22
	v_cndmask_b32_e64 v7, v7, v9, s23
	v_cndmask_b32_e64 v6, v6, v8, s23
.LBB16_345:
	s_delay_alu instid0(VALU_DEP_1)
	v_dual_mov_b32 v9, v7 :: v_dual_mov_b32 v8, v6
.LBB16_346:
	s_or_b32 exec_lo, exec_lo, s19
	s_delay_alu instid0(VALU_DEP_1)
	v_dual_mov_b32 v6, v8 :: v_dual_mov_b32 v7, v9
.LBB16_347:
	s_or_b32 exec_lo, exec_lo, s12
.LBB16_348:
	s_delay_alu instid0(SALU_CYCLE_1) | instskip(SKIP_4) | instid1(VALU_DEP_2)
	s_or_b32 exec_lo, exec_lo, s1
	v_and_b32_e32 v19, 0xf00, v27
	v_and_b32_e32 v20, 0xfc, v27
	s_mov_b32 s1, exec_lo
	s_barrier
	v_or_b32_e32 v8, 0x80, v19
	v_lshlrev_b32_e32 v18, 3, v19
	buffer_gl0_inv
	ds_store_b128 v16, v[0:3]
	ds_store_b128 v16, v[4:7] offset:16
	s_waitcnt lgkmcnt(0)
	v_min_u32_e32 v9, 0x380, v8
	v_min_u32_e32 v14, 0x400, v8
	s_barrier
	buffer_gl0_inv
	v_add_nc_u32_e32 v15, 0x80, v9
	v_sub_nc_u32_e32 v8, v14, v19
	s_delay_alu instid0(VALU_DEP_2) | instskip(NEXT) | instid1(VALU_DEP_2)
	v_sub_nc_u32_e32 v9, v15, v14
	v_min_u32_e32 v21, v20, v8
	s_delay_alu instid0(VALU_DEP_2) | instskip(NEXT) | instid1(VALU_DEP_1)
	v_sub_nc_u32_e64 v17, v20, v9 clamp
	v_cmpx_lt_u32_e64 v17, v21
	s_cbranch_execz .LBB16_358
; %bb.349:
	v_lshlrev_b32_e32 v8, 3, v20
	s_mov_b32 s12, 0
	s_delay_alu instid0(VALU_DEP_1)
	v_lshl_add_u32 v22, v14, 3, v8
	s_branch .LBB16_352
.LBB16_350:                             ;   in Loop: Header=BB16_352 Depth=1
	s_or_b32 exec_lo, exec_lo, s19
.LBB16_351:                             ;   in Loop: Header=BB16_352 Depth=1
	s_delay_alu instid0(VALU_DEP_1) | instskip(SKIP_1) | instid1(VALU_DEP_2)
	v_add_nc_u32_e32 v8, 1, v23
	v_cndmask_b32_e64 v21, v21, v23, s22
	v_cndmask_b32_e64 v17, v8, v17, s22
	s_delay_alu instid0(VALU_DEP_1) | instskip(SKIP_1) | instid1(SALU_CYCLE_1)
	v_cmp_ge_u32_e32 vcc_lo, v17, v21
	s_or_b32 s12, vcc_lo, s12
	s_and_not1_b32 exec_lo, exec_lo, s12
	s_cbranch_execz .LBB16_357
.LBB16_352:                             ; =>This Loop Header: Depth=1
                                        ;     Child Loop BB16_355 Depth 2
	v_add_nc_u32_e32 v8, v21, v17
	s_and_not1_b32 vcc_lo, exec_lo, s7
	s_mov_b32 s22, 0
	s_delay_alu instid0(VALU_DEP_1)
	v_lshrrev_b32_e32 v23, 1, v8
	s_cbranch_vccnz .LBB16_351
; %bb.353:                              ;   in Loop: Header=BB16_352 Depth=1
	s_delay_alu instid0(VALU_DEP_1) | instskip(SKIP_3) | instid1(VALU_DEP_2)
	v_not_b32_e32 v8, v23
	v_lshl_add_u32 v9, v23, 3, v18
	s_mov_b32 s19, 0
	s_mov_b64 s[20:21], s[8:9]
                                        ; implicit-def: $sgpr22
                                        ; implicit-def: $sgpr23
                                        ; implicit-def: $sgpr24
                                        ; implicit-def: $sgpr25
                                        ; implicit-def: $sgpr26
	v_lshl_add_u32 v8, v8, 3, v22
	ds_load_b64 v[10:11], v8
	ds_load_b64 v[24:25], v9
	s_waitcnt lgkmcnt(1)
	v_mul_lo_u32 v40, v10, s9
	v_mul_lo_u32 v41, v11, s8
	v_mad_u64_u32 v[8:9], null, v10, s8, s[10:11]
	s_waitcnt lgkmcnt(0)
	v_mul_lo_u32 v42, v24, s9
	v_mul_lo_u32 v25, v25, s8
	v_mad_u64_u32 v[10:11], null, v24, s8, s[10:11]
	s_delay_alu instid0(VALU_DEP_4) | instskip(NEXT) | instid1(VALU_DEP_2)
	v_add3_u32 v9, v41, v9, v40
	v_add3_u32 v11, v25, v11, v42
	s_branch .LBB16_355
.LBB16_354:                             ;   in Loop: Header=BB16_355 Depth=2
	s_or_b32 exec_lo, exec_lo, s27
	s_delay_alu instid0(SALU_CYCLE_1) | instskip(NEXT) | instid1(SALU_CYCLE_1)
	s_and_b32 s0, exec_lo, s23
	s_or_b32 s19, s0, s19
	s_and_not1_b32 s0, s26, exec_lo
	s_and_b32 s26, s24, exec_lo
	s_and_not1_b32 s22, s22, exec_lo
	s_and_b32 s27, s25, exec_lo
	s_or_b32 s26, s0, s26
	s_or_b32 s22, s22, s27
	s_and_not1_b32 exec_lo, exec_lo, s19
	s_cbranch_execz .LBB16_350
.LBB16_355:                             ;   Parent Loop BB16_352 Depth=1
                                        ; =>  This Inner Loop Header: Depth=2
	global_load_u8 v24, v[8:9], off
	global_load_u8 v25, v[10:11], off
	s_and_not1_b32 s25, s25, exec_lo
	s_and_not1_b32 s24, s24, exec_lo
	s_or_b32 s23, s23, exec_lo
	s_waitcnt vmcnt(1)
	v_and_b32_e32 v24, 0xff, v24
	s_waitcnt vmcnt(0)
	v_and_b32_e32 v25, 0xff, v25
	s_delay_alu instid0(VALU_DEP_1)
	v_cmp_le_u16_e32 vcc_lo, v24, v25
	v_cmp_lt_u16_e64 s0, v24, v25
	s_and_b32 s27, vcc_lo, s26
	s_delay_alu instid0(VALU_DEP_1) | instid1(SALU_CYCLE_1)
	s_or_b32 s0, s0, s27
	s_delay_alu instid0(SALU_CYCLE_1) | instskip(NEXT) | instid1(SALU_CYCLE_1)
	s_and_b32 s27, s0, exec_lo
	s_or_b32 s25, s25, s27
	s_mov_b32 s27, exec_lo
	v_cmpx_eq_u16_e64 v24, v25
	s_cbranch_execz .LBB16_354
; %bb.356:                              ;   in Loop: Header=BB16_355 Depth=2
	s_add_u32 s20, s20, -1
	s_addc_u32 s21, s21, -1
	v_add_co_u32 v8, vcc_lo, v8, 1
	v_add_co_ci_u32_e32 v9, vcc_lo, 0, v9, vcc_lo
	s_cmp_eq_u64 s[20:21], 0
	v_add_co_u32 v10, vcc_lo, v10, 1
	s_cselect_b32 s26, -1, 0
	v_add_co_ci_u32_e32 v11, vcc_lo, 0, v11, vcc_lo
	s_and_not1_b32 s24, s24, exec_lo
	s_and_b32 s0, s0, exec_lo
	s_and_not1_b32 s23, s23, exec_lo
	s_and_b32 s26, s26, exec_lo
	s_and_not1_b32 s25, s25, exec_lo
	s_or_b32 s24, s24, s0
	s_or_b32 s23, s23, s26
                                        ; implicit-def: $sgpr26
	s_branch .LBB16_354
.LBB16_357:
	s_or_b32 exec_lo, exec_lo, s12
.LBB16_358:
	s_delay_alu instid0(SALU_CYCLE_1) | instskip(SKIP_2) | instid1(VALU_DEP_2)
	s_or_b32 exec_lo, exec_lo, s1
	v_sub_nc_u32_e32 v9, v20, v17
	v_add_nc_u32_e32 v8, v17, v19
	v_add_nc_u32_e32 v9, v9, v14
	s_delay_alu instid0(VALU_DEP_2) | instskip(NEXT) | instid1(VALU_DEP_2)
	v_cmp_le_u32_e32 vcc_lo, v8, v14
	v_cmp_le_u32_e64 s0, v9, v15
	s_delay_alu instid0(VALU_DEP_1) | instskip(NEXT) | instid1(SALU_CYCLE_1)
	s_or_b32 s0, vcc_lo, s0
	s_and_saveexec_b32 s1, s0
	s_cbranch_execz .LBB16_405
; %bb.359:
	v_cmp_ge_u32_e32 vcc_lo, v8, v14
	s_mov_b32 s12, exec_lo
                                        ; implicit-def: $vgpr0_vgpr1
	v_cmpx_lt_u32_e64 v8, v14
	s_cbranch_execz .LBB16_361
; %bb.360:
	v_lshl_add_u32 v0, v17, 3, v18
	ds_load_b64 v[0:1], v0
.LBB16_361:
	s_or_b32 exec_lo, exec_lo, s12
	v_cmp_ge_u32_e64 s12, v9, v15
	s_mov_b32 s19, exec_lo
                                        ; implicit-def: $vgpr4_vgpr5
	v_cmpx_lt_u32_e64 v9, v15
	s_cbranch_execz .LBB16_363
; %bb.362:
	v_lshlrev_b32_e32 v2, 3, v9
	ds_load_b64 v[4:5], v2
.LBB16_363:
	s_or_b32 exec_lo, exec_lo, s19
	s_or_b32 s0, vcc_lo, s12
	s_mov_b32 s19, -1
	s_xor_b32 s0, s0, -1
	s_delay_alu instid0(SALU_CYCLE_1)
	s_and_saveexec_b32 s22, s0
	s_cbranch_execz .LBB16_372
; %bb.364:
	s_and_not1_b32 vcc_lo, exec_lo, s7
	s_cbranch_vccnz .LBB16_370
; %bb.365:
	s_waitcnt lgkmcnt(0)
	v_mad_u64_u32 v[2:3], null, v4, s8, s[10:11]
	v_mul_lo_u32 v10, v4, s9
	v_mul_lo_u32 v11, v5, s8
	v_mad_u64_u32 v[6:7], null, v0, s8, s[10:11]
	v_mul_lo_u32 v17, v0, s9
	v_mul_lo_u32 v18, v1, s8
	s_mov_b32 s23, 0
	s_mov_b64 s[20:21], s[8:9]
                                        ; implicit-def: $sgpr24
                                        ; implicit-def: $sgpr25
                                        ; implicit-def: $sgpr26
                                        ; implicit-def: $sgpr27
                                        ; implicit-def: $sgpr28
	s_delay_alu instid0(VALU_DEP_4) | instskip(NEXT) | instid1(VALU_DEP_2)
	v_add3_u32 v3, v11, v3, v10
	v_add3_u32 v7, v18, v7, v17
	s_branch .LBB16_367
.LBB16_366:                             ;   in Loop: Header=BB16_367 Depth=1
	s_or_b32 exec_lo, exec_lo, s0
	s_delay_alu instid0(SALU_CYCLE_1) | instskip(NEXT) | instid1(SALU_CYCLE_1)
	s_and_b32 s0, exec_lo, s25
	s_or_b32 s23, s0, s23
	s_and_not1_b32 s0, s28, exec_lo
	s_and_b32 s28, s27, exec_lo
	s_and_not1_b32 s24, s24, exec_lo
	s_and_b32 s29, s26, exec_lo
	s_or_b32 s28, s0, s28
	s_or_b32 s24, s24, s29
	s_and_not1_b32 exec_lo, exec_lo, s23
	s_cbranch_execz .LBB16_369
.LBB16_367:                             ; =>This Inner Loop Header: Depth=1
	global_load_u8 v10, v[2:3], off
	global_load_u8 v11, v[6:7], off
	s_and_not1_b32 s26, s26, exec_lo
	s_and_not1_b32 s27, s27, exec_lo
	s_or_b32 s25, s25, exec_lo
	s_waitcnt vmcnt(1)
	v_and_b32_e32 v10, 0xff, v10
	s_waitcnt vmcnt(0)
	v_and_b32_e32 v11, 0xff, v11
	s_delay_alu instid0(VALU_DEP_1)
	v_cmp_le_u16_e32 vcc_lo, v10, v11
	v_cmp_lt_u16_e64 s0, v10, v11
	s_and_b32 s29, vcc_lo, s28
	s_delay_alu instid0(VALU_DEP_1) | instid1(SALU_CYCLE_1)
	s_or_b32 s29, s0, s29
	s_delay_alu instid0(SALU_CYCLE_1) | instskip(NEXT) | instid1(SALU_CYCLE_1)
	s_and_b32 s0, s29, exec_lo
	s_or_b32 s26, s26, s0
	s_mov_b32 s0, exec_lo
	v_cmpx_eq_u16_e64 v10, v11
	s_cbranch_execz .LBB16_366
; %bb.368:                              ;   in Loop: Header=BB16_367 Depth=1
	s_add_u32 s20, s20, -1
	s_addc_u32 s21, s21, -1
	v_add_co_u32 v2, vcc_lo, v2, 1
	s_cmp_eq_u64 s[20:21], 0
	v_add_co_ci_u32_e32 v3, vcc_lo, 0, v3, vcc_lo
	v_add_co_u32 v6, vcc_lo, v6, 1
	s_cselect_b32 s28, -1, 0
	v_add_co_ci_u32_e32 v7, vcc_lo, 0, v7, vcc_lo
	s_and_not1_b32 s27, s27, exec_lo
	s_and_b32 s29, s29, exec_lo
	s_and_not1_b32 s25, s25, exec_lo
	s_and_b32 s28, s28, exec_lo
	s_or_b32 s27, s27, s29
	s_and_not1_b32 s26, s26, exec_lo
	s_or_b32 s25, s25, s28
                                        ; implicit-def: $sgpr28
	s_branch .LBB16_366
.LBB16_369:
	s_or_b32 exec_lo, exec_lo, s23
	s_xor_b32 s0, s24, -1
	s_branch .LBB16_371
.LBB16_370:
	s_mov_b32 s0, -1
.LBB16_371:
	s_and_not1_b32 s12, s12, exec_lo
	s_and_b32 s0, s0, exec_lo
	s_delay_alu instid0(SALU_CYCLE_1)
	s_or_b32 s12, s12, s0
.LBB16_372:
	s_or_b32 exec_lo, exec_lo, s22
	v_cndmask_b32_e64 v2, v9, v8, s12
	v_cndmask_b32_e64 v3, v15, v14, s12
	s_mov_b32 s22, exec_lo
	s_delay_alu instid0(VALU_DEP_2) | instskip(NEXT) | instid1(VALU_DEP_2)
	v_add_nc_u32_e32 v6, 1, v2
	v_add_nc_u32_e32 v2, -1, v3
	s_delay_alu instid0(VALU_DEP_2) | instskip(NEXT) | instid1(VALU_DEP_2)
	v_cndmask_b32_e64 v9, v6, v9, s12
	v_min_u32_e32 v2, v6, v2
	v_cndmask_b32_e64 v8, v8, v6, s12
	s_delay_alu instid0(VALU_DEP_2)
	v_lshlrev_b32_e32 v2, 3, v2
	ds_load_b64 v[2:3], v2
	s_waitcnt lgkmcnt(0)
	v_cndmask_b32_e64 v10, v3, v5, s12
	v_cndmask_b32_e64 v11, v2, v4, s12
	;; [unrolled: 1-line block ×4, first 2 shown]
	v_cmpx_lt_u32_e64 v9, v15
	s_cbranch_execz .LBB16_383
; %bb.373:
	s_mov_b32 s0, 0
	s_mov_b32 s19, exec_lo
	v_cmpx_lt_u32_e64 v8, v14
	s_cbranch_execz .LBB16_382
; %bb.374:
	s_and_not1_b32 vcc_lo, exec_lo, s7
	s_cbranch_vccnz .LBB16_380
; %bb.375:
	v_mad_u64_u32 v[2:3], null, v11, s8, s[10:11]
	v_mul_lo_u32 v19, v11, s9
	v_mul_lo_u32 v20, v10, s8
	v_mad_u64_u32 v[6:7], null, v18, s8, s[10:11]
	v_mul_lo_u32 v21, v18, s9
	v_mul_lo_u32 v22, v17, s8
	s_mov_b32 s23, 0
	s_mov_b64 s[20:21], s[8:9]
                                        ; implicit-def: $sgpr24
                                        ; implicit-def: $sgpr25
                                        ; implicit-def: $sgpr26
                                        ; implicit-def: $sgpr27
                                        ; implicit-def: $sgpr28
	s_delay_alu instid0(VALU_DEP_4) | instskip(NEXT) | instid1(VALU_DEP_2)
	v_add3_u32 v3, v20, v3, v19
	v_add3_u32 v7, v22, v7, v21
	s_branch .LBB16_377
.LBB16_376:                             ;   in Loop: Header=BB16_377 Depth=1
	s_or_b32 exec_lo, exec_lo, s0
	s_delay_alu instid0(SALU_CYCLE_1) | instskip(NEXT) | instid1(SALU_CYCLE_1)
	s_and_b32 s0, exec_lo, s25
	s_or_b32 s23, s0, s23
	s_and_not1_b32 s0, s28, exec_lo
	s_and_b32 s28, s27, exec_lo
	s_and_not1_b32 s24, s24, exec_lo
	s_and_b32 s29, s26, exec_lo
	s_or_b32 s28, s0, s28
	s_or_b32 s24, s24, s29
	s_and_not1_b32 exec_lo, exec_lo, s23
	s_cbranch_execz .LBB16_379
.LBB16_377:                             ; =>This Inner Loop Header: Depth=1
	global_load_u8 v19, v[2:3], off
	global_load_u8 v20, v[6:7], off
	s_and_not1_b32 s26, s26, exec_lo
	s_and_not1_b32 s27, s27, exec_lo
	s_or_b32 s25, s25, exec_lo
	s_waitcnt vmcnt(1)
	v_and_b32_e32 v19, 0xff, v19
	s_waitcnt vmcnt(0)
	v_and_b32_e32 v20, 0xff, v20
	s_delay_alu instid0(VALU_DEP_1)
	v_cmp_le_u16_e32 vcc_lo, v19, v20
	v_cmp_lt_u16_e64 s0, v19, v20
	s_and_b32 s29, vcc_lo, s28
	s_delay_alu instid0(VALU_DEP_1) | instid1(SALU_CYCLE_1)
	s_or_b32 s29, s0, s29
	s_delay_alu instid0(SALU_CYCLE_1) | instskip(NEXT) | instid1(SALU_CYCLE_1)
	s_and_b32 s0, s29, exec_lo
	s_or_b32 s26, s26, s0
	s_mov_b32 s0, exec_lo
	v_cmpx_eq_u16_e64 v19, v20
	s_cbranch_execz .LBB16_376
; %bb.378:                              ;   in Loop: Header=BB16_377 Depth=1
	s_add_u32 s20, s20, -1
	s_addc_u32 s21, s21, -1
	v_add_co_u32 v2, vcc_lo, v2, 1
	s_cmp_eq_u64 s[20:21], 0
	v_add_co_ci_u32_e32 v3, vcc_lo, 0, v3, vcc_lo
	v_add_co_u32 v6, vcc_lo, v6, 1
	s_cselect_b32 s28, -1, 0
	v_add_co_ci_u32_e32 v7, vcc_lo, 0, v7, vcc_lo
	s_and_not1_b32 s27, s27, exec_lo
	s_and_b32 s29, s29, exec_lo
	s_and_not1_b32 s25, s25, exec_lo
	s_and_b32 s28, s28, exec_lo
	s_or_b32 s27, s27, s29
	s_and_not1_b32 s26, s26, exec_lo
	s_or_b32 s25, s25, s28
                                        ; implicit-def: $sgpr28
	s_branch .LBB16_376
.LBB16_379:
	s_or_b32 exec_lo, exec_lo, s23
	s_xor_b32 s0, s24, -1
	s_branch .LBB16_381
.LBB16_380:
	s_mov_b32 s0, -1
.LBB16_381:
	s_delay_alu instid0(SALU_CYCLE_1)
	s_and_b32 s0, s0, exec_lo
.LBB16_382:
	s_or_b32 exec_lo, exec_lo, s19
	s_delay_alu instid0(SALU_CYCLE_1)
	s_or_not1_b32 s19, s0, exec_lo
.LBB16_383:
	s_or_b32 exec_lo, exec_lo, s22
	v_cndmask_b32_e64 v2, v9, v8, s19
	v_cndmask_b32_e64 v3, v15, v14, s19
	s_mov_b32 s0, -1
	s_mov_b32 s22, exec_lo
	s_delay_alu instid0(VALU_DEP_2) | instskip(NEXT) | instid1(VALU_DEP_2)
	v_add_nc_u32_e32 v6, 1, v2
	v_add_nc_u32_e32 v2, -1, v3
	s_delay_alu instid0(VALU_DEP_2) | instskip(NEXT) | instid1(VALU_DEP_2)
	v_cndmask_b32_e64 v22, v6, v9, s19
	v_min_u32_e32 v2, v6, v2
	v_cndmask_b32_e64 v19, v8, v6, s19
	s_delay_alu instid0(VALU_DEP_2)
	v_lshlrev_b32_e32 v2, 3, v2
	ds_load_b64 v[2:3], v2
	s_waitcnt lgkmcnt(0)
	v_cndmask_b32_e64 v20, v3, v10, s19
	v_cndmask_b32_e64 v21, v2, v11, s19
	;; [unrolled: 1-line block ×4, first 2 shown]
	v_cmpx_lt_u32_e64 v22, v15
	s_cbranch_execz .LBB16_394
; %bb.384:
	s_mov_b32 s0, 0
	s_mov_b32 s23, exec_lo
	v_cmpx_lt_u32_e64 v19, v14
	s_cbranch_execz .LBB16_393
; %bb.385:
	s_and_not1_b32 vcc_lo, exec_lo, s7
	s_cbranch_vccnz .LBB16_391
; %bb.386:
	v_mad_u64_u32 v[2:3], null, v21, s8, s[10:11]
	v_mul_lo_u32 v8, v21, s9
	v_mul_lo_u32 v9, v20, s8
	v_mad_u64_u32 v[6:7], null, v24, s8, s[10:11]
	v_mul_lo_u32 v25, v24, s9
	v_mul_lo_u32 v40, v23, s8
	s_mov_b32 s24, 0
	s_mov_b64 s[20:21], s[8:9]
                                        ; implicit-def: $sgpr25
                                        ; implicit-def: $sgpr26
                                        ; implicit-def: $sgpr27
                                        ; implicit-def: $sgpr28
                                        ; implicit-def: $sgpr29
	s_delay_alu instid0(VALU_DEP_4) | instskip(NEXT) | instid1(VALU_DEP_2)
	v_add3_u32 v3, v9, v3, v8
	v_add3_u32 v7, v40, v7, v25
	s_branch .LBB16_388
.LBB16_387:                             ;   in Loop: Header=BB16_388 Depth=1
	s_or_b32 exec_lo, exec_lo, s0
	s_delay_alu instid0(SALU_CYCLE_1) | instskip(NEXT) | instid1(SALU_CYCLE_1)
	s_and_b32 s0, exec_lo, s26
	s_or_b32 s24, s0, s24
	s_and_not1_b32 s0, s29, exec_lo
	s_and_b32 s29, s28, exec_lo
	s_and_not1_b32 s25, s25, exec_lo
	s_and_b32 s30, s27, exec_lo
	s_or_b32 s29, s0, s29
	s_or_b32 s25, s25, s30
	s_and_not1_b32 exec_lo, exec_lo, s24
	s_cbranch_execz .LBB16_390
.LBB16_388:                             ; =>This Inner Loop Header: Depth=1
	global_load_u8 v8, v[2:3], off
	global_load_u8 v9, v[6:7], off
	s_and_not1_b32 s27, s27, exec_lo
	s_and_not1_b32 s28, s28, exec_lo
	s_or_b32 s26, s26, exec_lo
	s_waitcnt vmcnt(1)
	v_and_b32_e32 v8, 0xff, v8
	s_waitcnt vmcnt(0)
	v_and_b32_e32 v9, 0xff, v9
	s_delay_alu instid0(VALU_DEP_1)
	v_cmp_le_u16_e32 vcc_lo, v8, v9
	v_cmp_lt_u16_e64 s0, v8, v9
	s_and_b32 s30, vcc_lo, s29
	s_delay_alu instid0(VALU_DEP_1) | instid1(SALU_CYCLE_1)
	s_or_b32 s30, s0, s30
	s_delay_alu instid0(SALU_CYCLE_1) | instskip(NEXT) | instid1(SALU_CYCLE_1)
	s_and_b32 s0, s30, exec_lo
	s_or_b32 s27, s27, s0
	s_mov_b32 s0, exec_lo
	v_cmpx_eq_u16_e64 v8, v9
	s_cbranch_execz .LBB16_387
; %bb.389:                              ;   in Loop: Header=BB16_388 Depth=1
	s_add_u32 s20, s20, -1
	s_addc_u32 s21, s21, -1
	v_add_co_u32 v2, vcc_lo, v2, 1
	s_cmp_eq_u64 s[20:21], 0
	v_add_co_ci_u32_e32 v3, vcc_lo, 0, v3, vcc_lo
	v_add_co_u32 v6, vcc_lo, v6, 1
	s_cselect_b32 s29, -1, 0
	v_add_co_ci_u32_e32 v7, vcc_lo, 0, v7, vcc_lo
	s_and_not1_b32 s28, s28, exec_lo
	s_and_b32 s30, s30, exec_lo
	s_and_not1_b32 s26, s26, exec_lo
	s_and_b32 s29, s29, exec_lo
	s_or_b32 s28, s28, s30
	s_and_not1_b32 s27, s27, exec_lo
	s_or_b32 s26, s26, s29
                                        ; implicit-def: $sgpr29
	s_branch .LBB16_387
.LBB16_390:
	s_or_b32 exec_lo, exec_lo, s24
	s_xor_b32 s0, s25, -1
	s_branch .LBB16_392
.LBB16_391:
	s_mov_b32 s0, -1
.LBB16_392:
	s_delay_alu instid0(SALU_CYCLE_1)
	s_and_b32 s0, s0, exec_lo
.LBB16_393:
	s_or_b32 exec_lo, exec_lo, s23
	s_delay_alu instid0(SALU_CYCLE_1)
	s_or_not1_b32 s0, s0, exec_lo
.LBB16_394:
	s_or_b32 exec_lo, exec_lo, s22
	v_cndmask_b32_e64 v2, v22, v19, s0
	v_cndmask_b32_e64 v3, v15, v14, s0
	v_cndmask_b32_e64 v1, v5, v1, s12
	v_cndmask_b32_e64 v0, v4, v0, s12
	v_cndmask_b32_e64 v5, v20, v23, s0
	v_add_nc_u32_e32 v25, 1, v2
	v_add_nc_u32_e32 v2, -1, v3
	v_cndmask_b32_e64 v3, v10, v17, s19
	v_cndmask_b32_e64 v4, v21, v24, s0
	s_mov_b32 s12, exec_lo
	v_cndmask_b32_e64 v10, v25, v22, s0
	v_min_u32_e32 v2, v25, v2
	s_delay_alu instid0(VALU_DEP_1)
	v_lshlrev_b32_e32 v2, 3, v2
	ds_load_b64 v[8:9], v2
	v_cndmask_b32_e64 v2, v11, v18, s19
	s_waitcnt lgkmcnt(0)
	v_cndmask_b32_e64 v7, v23, v9, s0
	v_cndmask_b32_e64 v6, v24, v8, s0
	v_cmpx_lt_u32_e64 v10, v15
	s_cbranch_execz .LBB16_404
; %bb.395:
	v_cndmask_b32_e64 v10, v19, v25, s0
	v_cndmask_b32_e64 v9, v9, v20, s0
	;; [unrolled: 1-line block ×3, first 2 shown]
	s_mov_b32 s19, exec_lo
	s_delay_alu instid0(VALU_DEP_3)
	v_cmpx_lt_u32_e64 v10, v14
	s_cbranch_execz .LBB16_403
; %bb.396:
	s_and_not1_b32 vcc_lo, exec_lo, s7
	s_cbranch_vccnz .LBB16_402
; %bb.397:
	v_mad_u64_u32 v[10:11], null, v8, s8, s[10:11]
	v_mul_lo_u32 v17, v8, s9
	v_mul_lo_u32 v18, v9, s8
	v_mad_u64_u32 v[14:15], null, v6, s8, s[10:11]
	v_mul_lo_u32 v19, v6, s9
	v_mul_lo_u32 v20, v7, s8
	s_mov_b32 s22, 0
	s_mov_b64 s[20:21], s[8:9]
                                        ; implicit-def: $sgpr23
                                        ; implicit-def: $sgpr24
                                        ; implicit-def: $sgpr25
                                        ; implicit-def: $sgpr26
                                        ; implicit-def: $sgpr27
	s_delay_alu instid0(VALU_DEP_4) | instskip(NEXT) | instid1(VALU_DEP_2)
	v_add3_u32 v11, v18, v11, v17
	v_add3_u32 v15, v20, v15, v19
	s_branch .LBB16_399
.LBB16_398:                             ;   in Loop: Header=BB16_399 Depth=1
	s_or_b32 exec_lo, exec_lo, s0
	s_delay_alu instid0(SALU_CYCLE_1) | instskip(NEXT) | instid1(SALU_CYCLE_1)
	s_and_b32 s0, exec_lo, s24
	s_or_b32 s22, s0, s22
	s_and_not1_b32 s0, s27, exec_lo
	s_and_b32 s27, s26, exec_lo
	s_and_not1_b32 s23, s23, exec_lo
	s_and_b32 s28, s25, exec_lo
	s_or_b32 s27, s0, s27
	s_or_b32 s23, s23, s28
	s_and_not1_b32 exec_lo, exec_lo, s22
	s_cbranch_execz .LBB16_401
.LBB16_399:                             ; =>This Inner Loop Header: Depth=1
	global_load_u8 v17, v[10:11], off
	global_load_u8 v18, v[14:15], off
	s_and_not1_b32 s25, s25, exec_lo
	s_and_not1_b32 s26, s26, exec_lo
	s_or_b32 s24, s24, exec_lo
	s_waitcnt vmcnt(1)
	v_and_b32_e32 v17, 0xff, v17
	s_waitcnt vmcnt(0)
	v_and_b32_e32 v18, 0xff, v18
	s_delay_alu instid0(VALU_DEP_1)
	v_cmp_le_u16_e32 vcc_lo, v17, v18
	v_cmp_lt_u16_e64 s0, v17, v18
	s_and_b32 s28, vcc_lo, s27
	s_delay_alu instid0(VALU_DEP_1) | instid1(SALU_CYCLE_1)
	s_or_b32 s28, s0, s28
	s_delay_alu instid0(SALU_CYCLE_1) | instskip(NEXT) | instid1(SALU_CYCLE_1)
	s_and_b32 s0, s28, exec_lo
	s_or_b32 s25, s25, s0
	s_mov_b32 s0, exec_lo
	v_cmpx_eq_u16_e64 v17, v18
	s_cbranch_execz .LBB16_398
; %bb.400:                              ;   in Loop: Header=BB16_399 Depth=1
	s_add_u32 s20, s20, -1
	s_addc_u32 s21, s21, -1
	v_add_co_u32 v10, vcc_lo, v10, 1
	s_cmp_eq_u64 s[20:21], 0
	v_add_co_ci_u32_e32 v11, vcc_lo, 0, v11, vcc_lo
	v_add_co_u32 v14, vcc_lo, v14, 1
	s_cselect_b32 s27, -1, 0
	v_add_co_ci_u32_e32 v15, vcc_lo, 0, v15, vcc_lo
	s_and_not1_b32 s26, s26, exec_lo
	s_and_b32 s28, s28, exec_lo
	s_and_not1_b32 s24, s24, exec_lo
	s_and_b32 s27, s27, exec_lo
	s_or_b32 s26, s26, s28
	s_and_not1_b32 s25, s25, exec_lo
	s_or_b32 s24, s24, s27
                                        ; implicit-def: $sgpr27
	s_branch .LBB16_398
.LBB16_401:
	s_or_b32 exec_lo, exec_lo, s22
	v_cndmask_b32_e64 v7, v7, v9, s23
	v_cndmask_b32_e64 v6, v6, v8, s23
.LBB16_402:
	s_delay_alu instid0(VALU_DEP_1)
	v_dual_mov_b32 v9, v7 :: v_dual_mov_b32 v8, v6
.LBB16_403:
	s_or_b32 exec_lo, exec_lo, s19
	s_delay_alu instid0(VALU_DEP_1)
	v_dual_mov_b32 v6, v8 :: v_dual_mov_b32 v7, v9
.LBB16_404:
	s_or_b32 exec_lo, exec_lo, s12
.LBB16_405:
	s_delay_alu instid0(SALU_CYCLE_1) | instskip(SKIP_4) | instid1(VALU_DEP_2)
	s_or_b32 exec_lo, exec_lo, s1
	v_and_b32_e32 v19, 0xe00, v27
	v_and_b32_e32 v20, 0x1fc, v27
	s_mov_b32 s1, exec_lo
	s_barrier
	v_or_b32_e32 v8, 0x100, v19
	v_lshlrev_b32_e32 v18, 3, v19
	buffer_gl0_inv
	ds_store_b128 v16, v[0:3]
	ds_store_b128 v16, v[4:7] offset:16
	s_waitcnt lgkmcnt(0)
	v_min_u32_e32 v9, 0x300, v8
	v_min_u32_e32 v14, 0x400, v8
	s_barrier
	buffer_gl0_inv
	v_add_nc_u32_e32 v15, 0x100, v9
	v_sub_nc_u32_e32 v8, v14, v19
	s_delay_alu instid0(VALU_DEP_2) | instskip(NEXT) | instid1(VALU_DEP_2)
	v_sub_nc_u32_e32 v9, v15, v14
	v_min_u32_e32 v21, v20, v8
	s_delay_alu instid0(VALU_DEP_2) | instskip(NEXT) | instid1(VALU_DEP_1)
	v_sub_nc_u32_e64 v17, v20, v9 clamp
	v_cmpx_lt_u32_e64 v17, v21
	s_cbranch_execz .LBB16_415
; %bb.406:
	v_lshlrev_b32_e32 v8, 3, v20
	s_mov_b32 s12, 0
	s_delay_alu instid0(VALU_DEP_1)
	v_lshl_add_u32 v22, v14, 3, v8
	s_branch .LBB16_409
.LBB16_407:                             ;   in Loop: Header=BB16_409 Depth=1
	s_or_b32 exec_lo, exec_lo, s19
.LBB16_408:                             ;   in Loop: Header=BB16_409 Depth=1
	s_delay_alu instid0(VALU_DEP_1) | instskip(SKIP_1) | instid1(VALU_DEP_2)
	v_add_nc_u32_e32 v8, 1, v23
	v_cndmask_b32_e64 v21, v21, v23, s22
	v_cndmask_b32_e64 v17, v8, v17, s22
	s_delay_alu instid0(VALU_DEP_1) | instskip(SKIP_1) | instid1(SALU_CYCLE_1)
	v_cmp_ge_u32_e32 vcc_lo, v17, v21
	s_or_b32 s12, vcc_lo, s12
	s_and_not1_b32 exec_lo, exec_lo, s12
	s_cbranch_execz .LBB16_414
.LBB16_409:                             ; =>This Loop Header: Depth=1
                                        ;     Child Loop BB16_412 Depth 2
	v_add_nc_u32_e32 v8, v21, v17
	s_and_not1_b32 vcc_lo, exec_lo, s7
	s_mov_b32 s22, 0
	s_delay_alu instid0(VALU_DEP_1)
	v_lshrrev_b32_e32 v23, 1, v8
	s_cbranch_vccnz .LBB16_408
; %bb.410:                              ;   in Loop: Header=BB16_409 Depth=1
	s_delay_alu instid0(VALU_DEP_1) | instskip(SKIP_3) | instid1(VALU_DEP_2)
	v_not_b32_e32 v8, v23
	v_lshl_add_u32 v9, v23, 3, v18
	s_mov_b32 s19, 0
	s_mov_b64 s[20:21], s[8:9]
                                        ; implicit-def: $sgpr22
                                        ; implicit-def: $sgpr23
                                        ; implicit-def: $sgpr24
                                        ; implicit-def: $sgpr25
                                        ; implicit-def: $sgpr26
	v_lshl_add_u32 v8, v8, 3, v22
	ds_load_b64 v[10:11], v8
	ds_load_b64 v[24:25], v9
	s_waitcnt lgkmcnt(1)
	v_mul_lo_u32 v40, v10, s9
	v_mul_lo_u32 v41, v11, s8
	v_mad_u64_u32 v[8:9], null, v10, s8, s[10:11]
	s_waitcnt lgkmcnt(0)
	v_mul_lo_u32 v42, v24, s9
	v_mul_lo_u32 v25, v25, s8
	v_mad_u64_u32 v[10:11], null, v24, s8, s[10:11]
	s_delay_alu instid0(VALU_DEP_4) | instskip(NEXT) | instid1(VALU_DEP_2)
	v_add3_u32 v9, v41, v9, v40
	v_add3_u32 v11, v25, v11, v42
	s_branch .LBB16_412
.LBB16_411:                             ;   in Loop: Header=BB16_412 Depth=2
	s_or_b32 exec_lo, exec_lo, s27
	s_delay_alu instid0(SALU_CYCLE_1) | instskip(NEXT) | instid1(SALU_CYCLE_1)
	s_and_b32 s0, exec_lo, s23
	s_or_b32 s19, s0, s19
	s_and_not1_b32 s0, s26, exec_lo
	s_and_b32 s26, s24, exec_lo
	s_and_not1_b32 s22, s22, exec_lo
	s_and_b32 s27, s25, exec_lo
	s_or_b32 s26, s0, s26
	s_or_b32 s22, s22, s27
	s_and_not1_b32 exec_lo, exec_lo, s19
	s_cbranch_execz .LBB16_407
.LBB16_412:                             ;   Parent Loop BB16_409 Depth=1
                                        ; =>  This Inner Loop Header: Depth=2
	global_load_u8 v24, v[8:9], off
	global_load_u8 v25, v[10:11], off
	s_and_not1_b32 s25, s25, exec_lo
	s_and_not1_b32 s24, s24, exec_lo
	s_or_b32 s23, s23, exec_lo
	s_waitcnt vmcnt(1)
	v_and_b32_e32 v24, 0xff, v24
	s_waitcnt vmcnt(0)
	v_and_b32_e32 v25, 0xff, v25
	s_delay_alu instid0(VALU_DEP_1)
	v_cmp_le_u16_e32 vcc_lo, v24, v25
	v_cmp_lt_u16_e64 s0, v24, v25
	s_and_b32 s27, vcc_lo, s26
	s_delay_alu instid0(VALU_DEP_1) | instid1(SALU_CYCLE_1)
	s_or_b32 s0, s0, s27
	s_delay_alu instid0(SALU_CYCLE_1) | instskip(NEXT) | instid1(SALU_CYCLE_1)
	s_and_b32 s27, s0, exec_lo
	s_or_b32 s25, s25, s27
	s_mov_b32 s27, exec_lo
	v_cmpx_eq_u16_e64 v24, v25
	s_cbranch_execz .LBB16_411
; %bb.413:                              ;   in Loop: Header=BB16_412 Depth=2
	s_add_u32 s20, s20, -1
	s_addc_u32 s21, s21, -1
	v_add_co_u32 v8, vcc_lo, v8, 1
	v_add_co_ci_u32_e32 v9, vcc_lo, 0, v9, vcc_lo
	s_cmp_eq_u64 s[20:21], 0
	v_add_co_u32 v10, vcc_lo, v10, 1
	s_cselect_b32 s26, -1, 0
	v_add_co_ci_u32_e32 v11, vcc_lo, 0, v11, vcc_lo
	s_and_not1_b32 s24, s24, exec_lo
	s_and_b32 s0, s0, exec_lo
	s_and_not1_b32 s23, s23, exec_lo
	s_and_b32 s26, s26, exec_lo
	s_and_not1_b32 s25, s25, exec_lo
	s_or_b32 s24, s24, s0
	s_or_b32 s23, s23, s26
                                        ; implicit-def: $sgpr26
	s_branch .LBB16_411
.LBB16_414:
	s_or_b32 exec_lo, exec_lo, s12
.LBB16_415:
	s_delay_alu instid0(SALU_CYCLE_1) | instskip(SKIP_2) | instid1(VALU_DEP_2)
	s_or_b32 exec_lo, exec_lo, s1
	v_sub_nc_u32_e32 v9, v20, v17
	v_add_nc_u32_e32 v8, v17, v19
	v_add_nc_u32_e32 v9, v9, v14
	s_delay_alu instid0(VALU_DEP_2) | instskip(NEXT) | instid1(VALU_DEP_2)
	v_cmp_le_u32_e32 vcc_lo, v8, v14
	v_cmp_le_u32_e64 s0, v9, v15
	s_delay_alu instid0(VALU_DEP_1) | instskip(NEXT) | instid1(SALU_CYCLE_1)
	s_or_b32 s0, vcc_lo, s0
	s_and_saveexec_b32 s1, s0
	s_cbranch_execz .LBB16_462
; %bb.416:
	v_cmp_ge_u32_e32 vcc_lo, v8, v14
	s_mov_b32 s12, exec_lo
                                        ; implicit-def: $vgpr0_vgpr1
	v_cmpx_lt_u32_e64 v8, v14
	s_cbranch_execz .LBB16_418
; %bb.417:
	v_lshl_add_u32 v0, v17, 3, v18
	ds_load_b64 v[0:1], v0
.LBB16_418:
	s_or_b32 exec_lo, exec_lo, s12
	v_cmp_ge_u32_e64 s12, v9, v15
	s_mov_b32 s19, exec_lo
                                        ; implicit-def: $vgpr4_vgpr5
	v_cmpx_lt_u32_e64 v9, v15
	s_cbranch_execz .LBB16_420
; %bb.419:
	v_lshlrev_b32_e32 v2, 3, v9
	ds_load_b64 v[4:5], v2
.LBB16_420:
	s_or_b32 exec_lo, exec_lo, s19
	s_or_b32 s0, vcc_lo, s12
	s_mov_b32 s19, -1
	s_xor_b32 s0, s0, -1
	s_delay_alu instid0(SALU_CYCLE_1)
	s_and_saveexec_b32 s22, s0
	s_cbranch_execz .LBB16_429
; %bb.421:
	s_and_not1_b32 vcc_lo, exec_lo, s7
	s_cbranch_vccnz .LBB16_427
; %bb.422:
	s_waitcnt lgkmcnt(0)
	v_mad_u64_u32 v[2:3], null, v4, s8, s[10:11]
	v_mul_lo_u32 v10, v4, s9
	v_mul_lo_u32 v11, v5, s8
	v_mad_u64_u32 v[6:7], null, v0, s8, s[10:11]
	v_mul_lo_u32 v17, v0, s9
	v_mul_lo_u32 v18, v1, s8
	s_mov_b32 s23, 0
	s_mov_b64 s[20:21], s[8:9]
                                        ; implicit-def: $sgpr24
                                        ; implicit-def: $sgpr25
                                        ; implicit-def: $sgpr26
                                        ; implicit-def: $sgpr27
                                        ; implicit-def: $sgpr28
	s_delay_alu instid0(VALU_DEP_4) | instskip(NEXT) | instid1(VALU_DEP_2)
	v_add3_u32 v3, v11, v3, v10
	v_add3_u32 v7, v18, v7, v17
	s_branch .LBB16_424
.LBB16_423:                             ;   in Loop: Header=BB16_424 Depth=1
	s_or_b32 exec_lo, exec_lo, s0
	s_delay_alu instid0(SALU_CYCLE_1) | instskip(NEXT) | instid1(SALU_CYCLE_1)
	s_and_b32 s0, exec_lo, s25
	s_or_b32 s23, s0, s23
	s_and_not1_b32 s0, s28, exec_lo
	s_and_b32 s28, s27, exec_lo
	s_and_not1_b32 s24, s24, exec_lo
	s_and_b32 s29, s26, exec_lo
	s_or_b32 s28, s0, s28
	s_or_b32 s24, s24, s29
	s_and_not1_b32 exec_lo, exec_lo, s23
	s_cbranch_execz .LBB16_426
.LBB16_424:                             ; =>This Inner Loop Header: Depth=1
	global_load_u8 v10, v[2:3], off
	global_load_u8 v11, v[6:7], off
	s_and_not1_b32 s26, s26, exec_lo
	s_and_not1_b32 s27, s27, exec_lo
	s_or_b32 s25, s25, exec_lo
	s_waitcnt vmcnt(1)
	v_and_b32_e32 v10, 0xff, v10
	s_waitcnt vmcnt(0)
	v_and_b32_e32 v11, 0xff, v11
	s_delay_alu instid0(VALU_DEP_1)
	v_cmp_le_u16_e32 vcc_lo, v10, v11
	v_cmp_lt_u16_e64 s0, v10, v11
	s_and_b32 s29, vcc_lo, s28
	s_delay_alu instid0(VALU_DEP_1) | instid1(SALU_CYCLE_1)
	s_or_b32 s29, s0, s29
	s_delay_alu instid0(SALU_CYCLE_1) | instskip(NEXT) | instid1(SALU_CYCLE_1)
	s_and_b32 s0, s29, exec_lo
	s_or_b32 s26, s26, s0
	s_mov_b32 s0, exec_lo
	v_cmpx_eq_u16_e64 v10, v11
	s_cbranch_execz .LBB16_423
; %bb.425:                              ;   in Loop: Header=BB16_424 Depth=1
	s_add_u32 s20, s20, -1
	s_addc_u32 s21, s21, -1
	v_add_co_u32 v2, vcc_lo, v2, 1
	s_cmp_eq_u64 s[20:21], 0
	v_add_co_ci_u32_e32 v3, vcc_lo, 0, v3, vcc_lo
	v_add_co_u32 v6, vcc_lo, v6, 1
	s_cselect_b32 s28, -1, 0
	v_add_co_ci_u32_e32 v7, vcc_lo, 0, v7, vcc_lo
	s_and_not1_b32 s27, s27, exec_lo
	s_and_b32 s29, s29, exec_lo
	s_and_not1_b32 s25, s25, exec_lo
	s_and_b32 s28, s28, exec_lo
	s_or_b32 s27, s27, s29
	s_and_not1_b32 s26, s26, exec_lo
	s_or_b32 s25, s25, s28
                                        ; implicit-def: $sgpr28
	s_branch .LBB16_423
.LBB16_426:
	s_or_b32 exec_lo, exec_lo, s23
	s_xor_b32 s0, s24, -1
	s_branch .LBB16_428
.LBB16_427:
	s_mov_b32 s0, -1
.LBB16_428:
	s_and_not1_b32 s12, s12, exec_lo
	s_and_b32 s0, s0, exec_lo
	s_delay_alu instid0(SALU_CYCLE_1)
	s_or_b32 s12, s12, s0
.LBB16_429:
	s_or_b32 exec_lo, exec_lo, s22
	v_cndmask_b32_e64 v2, v9, v8, s12
	v_cndmask_b32_e64 v3, v15, v14, s12
	s_mov_b32 s22, exec_lo
	s_delay_alu instid0(VALU_DEP_2) | instskip(NEXT) | instid1(VALU_DEP_2)
	v_add_nc_u32_e32 v6, 1, v2
	v_add_nc_u32_e32 v2, -1, v3
	s_delay_alu instid0(VALU_DEP_2) | instskip(NEXT) | instid1(VALU_DEP_2)
	v_cndmask_b32_e64 v9, v6, v9, s12
	v_min_u32_e32 v2, v6, v2
	v_cndmask_b32_e64 v8, v8, v6, s12
	s_delay_alu instid0(VALU_DEP_2)
	v_lshlrev_b32_e32 v2, 3, v2
	ds_load_b64 v[2:3], v2
	s_waitcnt lgkmcnt(0)
	v_cndmask_b32_e64 v10, v3, v5, s12
	v_cndmask_b32_e64 v11, v2, v4, s12
	v_cndmask_b32_e64 v17, v1, v3, s12
	v_cndmask_b32_e64 v18, v0, v2, s12
	v_cmpx_lt_u32_e64 v9, v15
	s_cbranch_execz .LBB16_440
; %bb.430:
	s_mov_b32 s0, 0
	s_mov_b32 s19, exec_lo
	v_cmpx_lt_u32_e64 v8, v14
	s_cbranch_execz .LBB16_439
; %bb.431:
	s_and_not1_b32 vcc_lo, exec_lo, s7
	s_cbranch_vccnz .LBB16_437
; %bb.432:
	v_mad_u64_u32 v[2:3], null, v11, s8, s[10:11]
	v_mul_lo_u32 v19, v11, s9
	v_mul_lo_u32 v20, v10, s8
	v_mad_u64_u32 v[6:7], null, v18, s8, s[10:11]
	v_mul_lo_u32 v21, v18, s9
	v_mul_lo_u32 v22, v17, s8
	s_mov_b32 s23, 0
	s_mov_b64 s[20:21], s[8:9]
                                        ; implicit-def: $sgpr24
                                        ; implicit-def: $sgpr25
                                        ; implicit-def: $sgpr26
                                        ; implicit-def: $sgpr27
                                        ; implicit-def: $sgpr28
	s_delay_alu instid0(VALU_DEP_4) | instskip(NEXT) | instid1(VALU_DEP_2)
	v_add3_u32 v3, v20, v3, v19
	v_add3_u32 v7, v22, v7, v21
	s_branch .LBB16_434
.LBB16_433:                             ;   in Loop: Header=BB16_434 Depth=1
	s_or_b32 exec_lo, exec_lo, s0
	s_delay_alu instid0(SALU_CYCLE_1) | instskip(NEXT) | instid1(SALU_CYCLE_1)
	s_and_b32 s0, exec_lo, s25
	s_or_b32 s23, s0, s23
	s_and_not1_b32 s0, s28, exec_lo
	s_and_b32 s28, s27, exec_lo
	s_and_not1_b32 s24, s24, exec_lo
	s_and_b32 s29, s26, exec_lo
	s_or_b32 s28, s0, s28
	s_or_b32 s24, s24, s29
	s_and_not1_b32 exec_lo, exec_lo, s23
	s_cbranch_execz .LBB16_436
.LBB16_434:                             ; =>This Inner Loop Header: Depth=1
	global_load_u8 v19, v[2:3], off
	global_load_u8 v20, v[6:7], off
	s_and_not1_b32 s26, s26, exec_lo
	s_and_not1_b32 s27, s27, exec_lo
	s_or_b32 s25, s25, exec_lo
	s_waitcnt vmcnt(1)
	v_and_b32_e32 v19, 0xff, v19
	s_waitcnt vmcnt(0)
	v_and_b32_e32 v20, 0xff, v20
	s_delay_alu instid0(VALU_DEP_1)
	v_cmp_le_u16_e32 vcc_lo, v19, v20
	v_cmp_lt_u16_e64 s0, v19, v20
	s_and_b32 s29, vcc_lo, s28
	s_delay_alu instid0(VALU_DEP_1) | instid1(SALU_CYCLE_1)
	s_or_b32 s29, s0, s29
	s_delay_alu instid0(SALU_CYCLE_1) | instskip(NEXT) | instid1(SALU_CYCLE_1)
	s_and_b32 s0, s29, exec_lo
	s_or_b32 s26, s26, s0
	s_mov_b32 s0, exec_lo
	v_cmpx_eq_u16_e64 v19, v20
	s_cbranch_execz .LBB16_433
; %bb.435:                              ;   in Loop: Header=BB16_434 Depth=1
	s_add_u32 s20, s20, -1
	s_addc_u32 s21, s21, -1
	v_add_co_u32 v2, vcc_lo, v2, 1
	s_cmp_eq_u64 s[20:21], 0
	v_add_co_ci_u32_e32 v3, vcc_lo, 0, v3, vcc_lo
	v_add_co_u32 v6, vcc_lo, v6, 1
	s_cselect_b32 s28, -1, 0
	v_add_co_ci_u32_e32 v7, vcc_lo, 0, v7, vcc_lo
	s_and_not1_b32 s27, s27, exec_lo
	s_and_b32 s29, s29, exec_lo
	s_and_not1_b32 s25, s25, exec_lo
	s_and_b32 s28, s28, exec_lo
	s_or_b32 s27, s27, s29
	s_and_not1_b32 s26, s26, exec_lo
	s_or_b32 s25, s25, s28
                                        ; implicit-def: $sgpr28
	s_branch .LBB16_433
.LBB16_436:
	s_or_b32 exec_lo, exec_lo, s23
	s_xor_b32 s0, s24, -1
	s_branch .LBB16_438
.LBB16_437:
	s_mov_b32 s0, -1
.LBB16_438:
	s_delay_alu instid0(SALU_CYCLE_1)
	s_and_b32 s0, s0, exec_lo
.LBB16_439:
	s_or_b32 exec_lo, exec_lo, s19
	s_delay_alu instid0(SALU_CYCLE_1)
	s_or_not1_b32 s19, s0, exec_lo
.LBB16_440:
	s_or_b32 exec_lo, exec_lo, s22
	v_cndmask_b32_e64 v2, v9, v8, s19
	v_cndmask_b32_e64 v3, v15, v14, s19
	s_mov_b32 s0, -1
	s_mov_b32 s22, exec_lo
	s_delay_alu instid0(VALU_DEP_2) | instskip(NEXT) | instid1(VALU_DEP_2)
	v_add_nc_u32_e32 v6, 1, v2
	v_add_nc_u32_e32 v2, -1, v3
	s_delay_alu instid0(VALU_DEP_2) | instskip(NEXT) | instid1(VALU_DEP_2)
	v_cndmask_b32_e64 v22, v6, v9, s19
	v_min_u32_e32 v2, v6, v2
	v_cndmask_b32_e64 v19, v8, v6, s19
	s_delay_alu instid0(VALU_DEP_2)
	v_lshlrev_b32_e32 v2, 3, v2
	ds_load_b64 v[2:3], v2
	s_waitcnt lgkmcnt(0)
	v_cndmask_b32_e64 v20, v3, v10, s19
	v_cndmask_b32_e64 v21, v2, v11, s19
	;; [unrolled: 1-line block ×4, first 2 shown]
	v_cmpx_lt_u32_e64 v22, v15
	s_cbranch_execz .LBB16_451
; %bb.441:
	s_mov_b32 s0, 0
	s_mov_b32 s23, exec_lo
	v_cmpx_lt_u32_e64 v19, v14
	s_cbranch_execz .LBB16_450
; %bb.442:
	s_and_not1_b32 vcc_lo, exec_lo, s7
	s_cbranch_vccnz .LBB16_448
; %bb.443:
	v_mad_u64_u32 v[2:3], null, v21, s8, s[10:11]
	v_mul_lo_u32 v8, v21, s9
	v_mul_lo_u32 v9, v20, s8
	v_mad_u64_u32 v[6:7], null, v24, s8, s[10:11]
	v_mul_lo_u32 v25, v24, s9
	v_mul_lo_u32 v40, v23, s8
	s_mov_b32 s24, 0
	s_mov_b64 s[20:21], s[8:9]
                                        ; implicit-def: $sgpr25
                                        ; implicit-def: $sgpr26
                                        ; implicit-def: $sgpr27
                                        ; implicit-def: $sgpr28
                                        ; implicit-def: $sgpr29
	s_delay_alu instid0(VALU_DEP_4) | instskip(NEXT) | instid1(VALU_DEP_2)
	v_add3_u32 v3, v9, v3, v8
	v_add3_u32 v7, v40, v7, v25
	s_branch .LBB16_445
.LBB16_444:                             ;   in Loop: Header=BB16_445 Depth=1
	s_or_b32 exec_lo, exec_lo, s0
	s_delay_alu instid0(SALU_CYCLE_1) | instskip(NEXT) | instid1(SALU_CYCLE_1)
	s_and_b32 s0, exec_lo, s26
	s_or_b32 s24, s0, s24
	s_and_not1_b32 s0, s29, exec_lo
	s_and_b32 s29, s28, exec_lo
	s_and_not1_b32 s25, s25, exec_lo
	s_and_b32 s30, s27, exec_lo
	s_or_b32 s29, s0, s29
	s_or_b32 s25, s25, s30
	s_and_not1_b32 exec_lo, exec_lo, s24
	s_cbranch_execz .LBB16_447
.LBB16_445:                             ; =>This Inner Loop Header: Depth=1
	global_load_u8 v8, v[2:3], off
	global_load_u8 v9, v[6:7], off
	s_and_not1_b32 s27, s27, exec_lo
	s_and_not1_b32 s28, s28, exec_lo
	s_or_b32 s26, s26, exec_lo
	s_waitcnt vmcnt(1)
	v_and_b32_e32 v8, 0xff, v8
	s_waitcnt vmcnt(0)
	v_and_b32_e32 v9, 0xff, v9
	s_delay_alu instid0(VALU_DEP_1)
	v_cmp_le_u16_e32 vcc_lo, v8, v9
	v_cmp_lt_u16_e64 s0, v8, v9
	s_and_b32 s30, vcc_lo, s29
	s_delay_alu instid0(VALU_DEP_1) | instid1(SALU_CYCLE_1)
	s_or_b32 s30, s0, s30
	s_delay_alu instid0(SALU_CYCLE_1) | instskip(NEXT) | instid1(SALU_CYCLE_1)
	s_and_b32 s0, s30, exec_lo
	s_or_b32 s27, s27, s0
	s_mov_b32 s0, exec_lo
	v_cmpx_eq_u16_e64 v8, v9
	s_cbranch_execz .LBB16_444
; %bb.446:                              ;   in Loop: Header=BB16_445 Depth=1
	s_add_u32 s20, s20, -1
	s_addc_u32 s21, s21, -1
	v_add_co_u32 v2, vcc_lo, v2, 1
	s_cmp_eq_u64 s[20:21], 0
	v_add_co_ci_u32_e32 v3, vcc_lo, 0, v3, vcc_lo
	v_add_co_u32 v6, vcc_lo, v6, 1
	s_cselect_b32 s29, -1, 0
	v_add_co_ci_u32_e32 v7, vcc_lo, 0, v7, vcc_lo
	s_and_not1_b32 s28, s28, exec_lo
	s_and_b32 s30, s30, exec_lo
	s_and_not1_b32 s26, s26, exec_lo
	s_and_b32 s29, s29, exec_lo
	s_or_b32 s28, s28, s30
	s_and_not1_b32 s27, s27, exec_lo
	s_or_b32 s26, s26, s29
                                        ; implicit-def: $sgpr29
	s_branch .LBB16_444
.LBB16_447:
	s_or_b32 exec_lo, exec_lo, s24
	s_xor_b32 s0, s25, -1
	s_branch .LBB16_449
.LBB16_448:
	s_mov_b32 s0, -1
.LBB16_449:
	s_delay_alu instid0(SALU_CYCLE_1)
	s_and_b32 s0, s0, exec_lo
.LBB16_450:
	s_or_b32 exec_lo, exec_lo, s23
	s_delay_alu instid0(SALU_CYCLE_1)
	s_or_not1_b32 s0, s0, exec_lo
.LBB16_451:
	s_or_b32 exec_lo, exec_lo, s22
	v_cndmask_b32_e64 v2, v22, v19, s0
	v_cndmask_b32_e64 v3, v15, v14, s0
	;; [unrolled: 1-line block ×5, first 2 shown]
	v_add_nc_u32_e32 v25, 1, v2
	v_add_nc_u32_e32 v2, -1, v3
	v_cndmask_b32_e64 v3, v10, v17, s19
	v_cndmask_b32_e64 v4, v21, v24, s0
	s_mov_b32 s12, exec_lo
	v_cndmask_b32_e64 v10, v25, v22, s0
	v_min_u32_e32 v2, v25, v2
	s_delay_alu instid0(VALU_DEP_1)
	v_lshlrev_b32_e32 v2, 3, v2
	ds_load_b64 v[8:9], v2
	v_cndmask_b32_e64 v2, v11, v18, s19
	s_waitcnt lgkmcnt(0)
	v_cndmask_b32_e64 v7, v23, v9, s0
	v_cndmask_b32_e64 v6, v24, v8, s0
	v_cmpx_lt_u32_e64 v10, v15
	s_cbranch_execz .LBB16_461
; %bb.452:
	v_cndmask_b32_e64 v10, v19, v25, s0
	v_cndmask_b32_e64 v9, v9, v20, s0
	;; [unrolled: 1-line block ×3, first 2 shown]
	s_mov_b32 s19, exec_lo
	s_delay_alu instid0(VALU_DEP_3)
	v_cmpx_lt_u32_e64 v10, v14
	s_cbranch_execz .LBB16_460
; %bb.453:
	s_and_not1_b32 vcc_lo, exec_lo, s7
	s_cbranch_vccnz .LBB16_459
; %bb.454:
	v_mad_u64_u32 v[10:11], null, v8, s8, s[10:11]
	v_mul_lo_u32 v17, v8, s9
	v_mul_lo_u32 v18, v9, s8
	v_mad_u64_u32 v[14:15], null, v6, s8, s[10:11]
	v_mul_lo_u32 v19, v6, s9
	v_mul_lo_u32 v20, v7, s8
	s_mov_b32 s22, 0
	s_mov_b64 s[20:21], s[8:9]
                                        ; implicit-def: $sgpr23
                                        ; implicit-def: $sgpr24
                                        ; implicit-def: $sgpr25
                                        ; implicit-def: $sgpr26
                                        ; implicit-def: $sgpr27
	s_delay_alu instid0(VALU_DEP_4) | instskip(NEXT) | instid1(VALU_DEP_2)
	v_add3_u32 v11, v18, v11, v17
	v_add3_u32 v15, v20, v15, v19
	s_branch .LBB16_456
.LBB16_455:                             ;   in Loop: Header=BB16_456 Depth=1
	s_or_b32 exec_lo, exec_lo, s0
	s_delay_alu instid0(SALU_CYCLE_1) | instskip(NEXT) | instid1(SALU_CYCLE_1)
	s_and_b32 s0, exec_lo, s24
	s_or_b32 s22, s0, s22
	s_and_not1_b32 s0, s27, exec_lo
	s_and_b32 s27, s26, exec_lo
	s_and_not1_b32 s23, s23, exec_lo
	s_and_b32 s28, s25, exec_lo
	s_or_b32 s27, s0, s27
	s_or_b32 s23, s23, s28
	s_and_not1_b32 exec_lo, exec_lo, s22
	s_cbranch_execz .LBB16_458
.LBB16_456:                             ; =>This Inner Loop Header: Depth=1
	global_load_u8 v17, v[10:11], off
	global_load_u8 v18, v[14:15], off
	s_and_not1_b32 s25, s25, exec_lo
	s_and_not1_b32 s26, s26, exec_lo
	s_or_b32 s24, s24, exec_lo
	s_waitcnt vmcnt(1)
	v_and_b32_e32 v17, 0xff, v17
	s_waitcnt vmcnt(0)
	v_and_b32_e32 v18, 0xff, v18
	s_delay_alu instid0(VALU_DEP_1)
	v_cmp_le_u16_e32 vcc_lo, v17, v18
	v_cmp_lt_u16_e64 s0, v17, v18
	s_and_b32 s28, vcc_lo, s27
	s_delay_alu instid0(VALU_DEP_1) | instid1(SALU_CYCLE_1)
	s_or_b32 s28, s0, s28
	s_delay_alu instid0(SALU_CYCLE_1) | instskip(NEXT) | instid1(SALU_CYCLE_1)
	s_and_b32 s0, s28, exec_lo
	s_or_b32 s25, s25, s0
	s_mov_b32 s0, exec_lo
	v_cmpx_eq_u16_e64 v17, v18
	s_cbranch_execz .LBB16_455
; %bb.457:                              ;   in Loop: Header=BB16_456 Depth=1
	s_add_u32 s20, s20, -1
	s_addc_u32 s21, s21, -1
	v_add_co_u32 v10, vcc_lo, v10, 1
	s_cmp_eq_u64 s[20:21], 0
	v_add_co_ci_u32_e32 v11, vcc_lo, 0, v11, vcc_lo
	v_add_co_u32 v14, vcc_lo, v14, 1
	s_cselect_b32 s27, -1, 0
	v_add_co_ci_u32_e32 v15, vcc_lo, 0, v15, vcc_lo
	s_and_not1_b32 s26, s26, exec_lo
	s_and_b32 s28, s28, exec_lo
	s_and_not1_b32 s24, s24, exec_lo
	s_and_b32 s27, s27, exec_lo
	s_or_b32 s26, s26, s28
	s_and_not1_b32 s25, s25, exec_lo
	s_or_b32 s24, s24, s27
                                        ; implicit-def: $sgpr27
	s_branch .LBB16_455
.LBB16_458:
	s_or_b32 exec_lo, exec_lo, s22
	v_cndmask_b32_e64 v7, v7, v9, s23
	v_cndmask_b32_e64 v6, v6, v8, s23
.LBB16_459:
	s_delay_alu instid0(VALU_DEP_1)
	v_dual_mov_b32 v9, v7 :: v_dual_mov_b32 v8, v6
.LBB16_460:
	s_or_b32 exec_lo, exec_lo, s19
	s_delay_alu instid0(VALU_DEP_1)
	v_dual_mov_b32 v6, v8 :: v_dual_mov_b32 v7, v9
.LBB16_461:
	s_or_b32 exec_lo, exec_lo, s12
.LBB16_462:
	s_delay_alu instid0(SALU_CYCLE_1) | instskip(SKIP_4) | instid1(VALU_DEP_2)
	s_or_b32 exec_lo, exec_lo, s1
	v_and_b32_e32 v18, 0xc00, v27
	v_and_b32_e32 v19, 0x3fc, v27
	s_mov_b32 s1, exec_lo
	s_barrier
	v_or_b32_e32 v8, 0x200, v18
	v_lshlrev_b32_e32 v17, 3, v18
	buffer_gl0_inv
	ds_store_b128 v16, v[0:3]
	ds_store_b128 v16, v[4:7] offset:16
	s_waitcnt lgkmcnt(0)
	v_min_u32_e32 v14, 0x400, v8
	s_barrier
	buffer_gl0_inv
	v_sub_nc_u32_e32 v8, 0x400, v14
	v_sub_nc_u32_e32 v9, v14, v18
	s_delay_alu instid0(VALU_DEP_2) | instskip(NEXT) | instid1(VALU_DEP_2)
	v_sub_nc_u32_e64 v15, v19, v8 clamp
	v_min_u32_e32 v20, v19, v9
	s_delay_alu instid0(VALU_DEP_1)
	v_cmpx_lt_u32_e64 v15, v20
	s_cbranch_execz .LBB16_472
; %bb.463:
	v_lshlrev_b32_e32 v8, 3, v19
	s_mov_b32 s12, 0
	s_delay_alu instid0(VALU_DEP_1)
	v_lshl_add_u32 v16, v14, 3, v8
	s_branch .LBB16_466
.LBB16_464:                             ;   in Loop: Header=BB16_466 Depth=1
	s_or_b32 exec_lo, exec_lo, s19
.LBB16_465:                             ;   in Loop: Header=BB16_466 Depth=1
	s_delay_alu instid0(VALU_DEP_1) | instskip(SKIP_1) | instid1(VALU_DEP_2)
	v_add_nc_u32_e32 v8, 1, v21
	v_cndmask_b32_e64 v20, v20, v21, s22
	v_cndmask_b32_e64 v15, v8, v15, s22
	s_delay_alu instid0(VALU_DEP_1) | instskip(SKIP_1) | instid1(SALU_CYCLE_1)
	v_cmp_ge_u32_e32 vcc_lo, v15, v20
	s_or_b32 s12, vcc_lo, s12
	s_and_not1_b32 exec_lo, exec_lo, s12
	s_cbranch_execz .LBB16_471
.LBB16_466:                             ; =>This Loop Header: Depth=1
                                        ;     Child Loop BB16_469 Depth 2
	v_add_nc_u32_e32 v8, v20, v15
	s_and_not1_b32 vcc_lo, exec_lo, s7
	s_mov_b32 s22, 0
	s_delay_alu instid0(VALU_DEP_1)
	v_lshrrev_b32_e32 v21, 1, v8
	s_cbranch_vccnz .LBB16_465
; %bb.467:                              ;   in Loop: Header=BB16_466 Depth=1
	s_delay_alu instid0(VALU_DEP_1) | instskip(SKIP_3) | instid1(VALU_DEP_2)
	v_not_b32_e32 v8, v21
	v_lshl_add_u32 v9, v21, 3, v17
	s_mov_b32 s19, 0
	s_mov_b64 s[20:21], s[8:9]
                                        ; implicit-def: $sgpr22
                                        ; implicit-def: $sgpr23
                                        ; implicit-def: $sgpr24
                                        ; implicit-def: $sgpr25
                                        ; implicit-def: $sgpr26
	v_lshl_add_u32 v8, v8, 3, v16
	ds_load_b64 v[10:11], v8
	ds_load_b64 v[22:23], v9
	s_waitcnt lgkmcnt(1)
	v_mul_lo_u32 v24, v10, s9
	v_mul_lo_u32 v25, v11, s8
	v_mad_u64_u32 v[8:9], null, v10, s8, s[10:11]
	s_waitcnt lgkmcnt(0)
	v_mul_lo_u32 v40, v22, s9
	v_mul_lo_u32 v23, v23, s8
	v_mad_u64_u32 v[10:11], null, v22, s8, s[10:11]
	s_delay_alu instid0(VALU_DEP_4) | instskip(NEXT) | instid1(VALU_DEP_2)
	v_add3_u32 v9, v25, v9, v24
	v_add3_u32 v11, v23, v11, v40
	s_branch .LBB16_469
.LBB16_468:                             ;   in Loop: Header=BB16_469 Depth=2
	s_or_b32 exec_lo, exec_lo, s27
	s_delay_alu instid0(SALU_CYCLE_1) | instskip(NEXT) | instid1(SALU_CYCLE_1)
	s_and_b32 s0, exec_lo, s23
	s_or_b32 s19, s0, s19
	s_and_not1_b32 s0, s26, exec_lo
	s_and_b32 s26, s24, exec_lo
	s_and_not1_b32 s22, s22, exec_lo
	s_and_b32 s27, s25, exec_lo
	s_or_b32 s26, s0, s26
	s_or_b32 s22, s22, s27
	s_and_not1_b32 exec_lo, exec_lo, s19
	s_cbranch_execz .LBB16_464
.LBB16_469:                             ;   Parent Loop BB16_466 Depth=1
                                        ; =>  This Inner Loop Header: Depth=2
	global_load_u8 v22, v[8:9], off
	global_load_u8 v23, v[10:11], off
	s_and_not1_b32 s25, s25, exec_lo
	s_and_not1_b32 s24, s24, exec_lo
	s_or_b32 s23, s23, exec_lo
	s_waitcnt vmcnt(1)
	v_and_b32_e32 v22, 0xff, v22
	s_waitcnt vmcnt(0)
	v_and_b32_e32 v23, 0xff, v23
	s_delay_alu instid0(VALU_DEP_1)
	v_cmp_le_u16_e32 vcc_lo, v22, v23
	v_cmp_lt_u16_e64 s0, v22, v23
	s_and_b32 s27, vcc_lo, s26
	s_delay_alu instid0(VALU_DEP_1) | instid1(SALU_CYCLE_1)
	s_or_b32 s0, s0, s27
	s_delay_alu instid0(SALU_CYCLE_1) | instskip(NEXT) | instid1(SALU_CYCLE_1)
	s_and_b32 s27, s0, exec_lo
	s_or_b32 s25, s25, s27
	s_mov_b32 s27, exec_lo
	v_cmpx_eq_u16_e64 v22, v23
	s_cbranch_execz .LBB16_468
; %bb.470:                              ;   in Loop: Header=BB16_469 Depth=2
	s_add_u32 s20, s20, -1
	s_addc_u32 s21, s21, -1
	v_add_co_u32 v8, vcc_lo, v8, 1
	v_add_co_ci_u32_e32 v9, vcc_lo, 0, v9, vcc_lo
	s_cmp_eq_u64 s[20:21], 0
	v_add_co_u32 v10, vcc_lo, v10, 1
	s_cselect_b32 s26, -1, 0
	v_add_co_ci_u32_e32 v11, vcc_lo, 0, v11, vcc_lo
	s_and_not1_b32 s24, s24, exec_lo
	s_and_b32 s0, s0, exec_lo
	s_and_not1_b32 s23, s23, exec_lo
	s_and_b32 s26, s26, exec_lo
	s_and_not1_b32 s25, s25, exec_lo
	s_or_b32 s24, s24, s0
	s_or_b32 s23, s23, s26
                                        ; implicit-def: $sgpr26
	s_branch .LBB16_468
.LBB16_471:
	s_or_b32 exec_lo, exec_lo, s12
.LBB16_472:
	s_delay_alu instid0(SALU_CYCLE_1) | instskip(SKIP_2) | instid1(VALU_DEP_2)
	s_or_b32 exec_lo, exec_lo, s1
	v_sub_nc_u32_e32 v8, v19, v15
	v_add_nc_u32_e32 v9, v15, v18
	v_add_nc_u32_e32 v10, v8, v14
	s_delay_alu instid0(VALU_DEP_2) | instskip(NEXT) | instid1(VALU_DEP_2)
	v_cmp_le_u32_e32 vcc_lo, v9, v14
	v_cmp_gt_u32_e64 s0, 0x401, v10
	s_delay_alu instid0(VALU_DEP_1) | instskip(NEXT) | instid1(SALU_CYCLE_1)
	s_or_b32 s0, vcc_lo, s0
	s_and_saveexec_b32 s1, s0
	s_cbranch_execz .LBB16_519
; %bb.473:
	v_cmp_ge_u32_e32 vcc_lo, v9, v14
	s_mov_b32 s12, exec_lo
                                        ; implicit-def: $vgpr0_vgpr1
	v_cmpx_lt_u32_e64 v9, v14
	s_cbranch_execz .LBB16_475
; %bb.474:
	v_lshl_add_u32 v0, v15, 3, v17
	ds_load_b64 v[0:1], v0
.LBB16_475:
	s_or_b32 exec_lo, exec_lo, s12
	v_cmp_lt_u32_e64 s12, 0x3ff, v10
	s_mov_b32 s19, exec_lo
                                        ; implicit-def: $vgpr4_vgpr5
	v_cmpx_gt_u32_e32 0x400, v10
	s_cbranch_execz .LBB16_477
; %bb.476:
	v_lshlrev_b32_e32 v2, 3, v10
	ds_load_b64 v[4:5], v2
.LBB16_477:
	s_or_b32 exec_lo, exec_lo, s19
	s_or_b32 s0, vcc_lo, s12
	s_mov_b32 s19, -1
	s_xor_b32 s0, s0, -1
	s_delay_alu instid0(SALU_CYCLE_1)
	s_and_saveexec_b32 s22, s0
	s_cbranch_execz .LBB16_486
; %bb.478:
	s_and_not1_b32 vcc_lo, exec_lo, s7
	s_cbranch_vccnz .LBB16_484
; %bb.479:
	s_waitcnt lgkmcnt(0)
	v_mad_u64_u32 v[2:3], null, v4, s8, s[10:11]
	v_mul_lo_u32 v8, v4, s9
	v_mul_lo_u32 v11, v5, s8
	v_mad_u64_u32 v[6:7], null, v0, s8, s[10:11]
	v_mul_lo_u32 v15, v0, s9
	v_mul_lo_u32 v16, v1, s8
	s_mov_b32 s23, 0
	s_mov_b64 s[20:21], s[8:9]
                                        ; implicit-def: $sgpr24
                                        ; implicit-def: $sgpr25
                                        ; implicit-def: $sgpr26
                                        ; implicit-def: $sgpr27
                                        ; implicit-def: $sgpr28
	s_delay_alu instid0(VALU_DEP_4) | instskip(NEXT) | instid1(VALU_DEP_2)
	v_add3_u32 v3, v11, v3, v8
	v_add3_u32 v7, v16, v7, v15
	s_branch .LBB16_481
.LBB16_480:                             ;   in Loop: Header=BB16_481 Depth=1
	s_or_b32 exec_lo, exec_lo, s0
	s_delay_alu instid0(SALU_CYCLE_1) | instskip(NEXT) | instid1(SALU_CYCLE_1)
	s_and_b32 s0, exec_lo, s25
	s_or_b32 s23, s0, s23
	s_and_not1_b32 s0, s28, exec_lo
	s_and_b32 s28, s27, exec_lo
	s_and_not1_b32 s24, s24, exec_lo
	s_and_b32 s29, s26, exec_lo
	s_or_b32 s28, s0, s28
	s_or_b32 s24, s24, s29
	s_and_not1_b32 exec_lo, exec_lo, s23
	s_cbranch_execz .LBB16_483
.LBB16_481:                             ; =>This Inner Loop Header: Depth=1
	global_load_u8 v8, v[2:3], off
	global_load_u8 v11, v[6:7], off
	s_and_not1_b32 s26, s26, exec_lo
	s_and_not1_b32 s27, s27, exec_lo
	s_or_b32 s25, s25, exec_lo
	s_waitcnt vmcnt(1)
	v_and_b32_e32 v8, 0xff, v8
	s_waitcnt vmcnt(0)
	v_and_b32_e32 v11, 0xff, v11
	s_delay_alu instid0(VALU_DEP_1)
	v_cmp_le_u16_e32 vcc_lo, v8, v11
	v_cmp_lt_u16_e64 s0, v8, v11
	s_and_b32 s29, vcc_lo, s28
	s_delay_alu instid0(VALU_DEP_1) | instid1(SALU_CYCLE_1)
	s_or_b32 s29, s0, s29
	s_delay_alu instid0(SALU_CYCLE_1) | instskip(NEXT) | instid1(SALU_CYCLE_1)
	s_and_b32 s0, s29, exec_lo
	s_or_b32 s26, s26, s0
	s_mov_b32 s0, exec_lo
	v_cmpx_eq_u16_e64 v8, v11
	s_cbranch_execz .LBB16_480
; %bb.482:                              ;   in Loop: Header=BB16_481 Depth=1
	s_add_u32 s20, s20, -1
	s_addc_u32 s21, s21, -1
	v_add_co_u32 v2, vcc_lo, v2, 1
	s_cmp_eq_u64 s[20:21], 0
	v_add_co_ci_u32_e32 v3, vcc_lo, 0, v3, vcc_lo
	v_add_co_u32 v6, vcc_lo, v6, 1
	s_cselect_b32 s28, -1, 0
	v_add_co_ci_u32_e32 v7, vcc_lo, 0, v7, vcc_lo
	s_and_not1_b32 s27, s27, exec_lo
	s_and_b32 s29, s29, exec_lo
	s_and_not1_b32 s25, s25, exec_lo
	s_and_b32 s28, s28, exec_lo
	s_or_b32 s27, s27, s29
	s_and_not1_b32 s26, s26, exec_lo
	s_or_b32 s25, s25, s28
                                        ; implicit-def: $sgpr28
	s_branch .LBB16_480
.LBB16_483:
	s_or_b32 exec_lo, exec_lo, s23
	s_xor_b32 s0, s24, -1
	s_branch .LBB16_485
.LBB16_484:
	s_mov_b32 s0, -1
.LBB16_485:
	s_and_not1_b32 s12, s12, exec_lo
	s_and_b32 s0, s0, exec_lo
	s_delay_alu instid0(SALU_CYCLE_1)
	s_or_b32 s12, s12, s0
.LBB16_486:
	s_or_b32 exec_lo, exec_lo, s22
	v_cndmask_b32_e64 v2, v10, v9, s12
	v_add_nc_u32_e32 v8, -1, v14
	s_mov_b32 s22, exec_lo
	s_delay_alu instid0(VALU_DEP_2) | instskip(NEXT) | instid1(VALU_DEP_2)
	v_add_nc_u32_e32 v6, 1, v2
	v_cndmask_b32_e64 v2, 0x3ff, v8, s12
	s_delay_alu instid0(VALU_DEP_2) | instskip(NEXT) | instid1(VALU_DEP_2)
	v_cndmask_b32_e64 v17, v6, v10, s12
	v_min_u32_e32 v2, v6, v2
	v_cndmask_b32_e64 v9, v9, v6, s12
	s_delay_alu instid0(VALU_DEP_2)
	v_lshlrev_b32_e32 v2, 3, v2
	ds_load_b64 v[2:3], v2
	s_waitcnt lgkmcnt(0)
	v_cndmask_b32_e64 v10, v3, v5, s12
	v_cndmask_b32_e64 v11, v2, v4, s12
	;; [unrolled: 1-line block ×4, first 2 shown]
	v_cmpx_gt_u32_e32 0x400, v17
	s_cbranch_execz .LBB16_497
; %bb.487:
	s_mov_b32 s0, 0
	s_mov_b32 s19, exec_lo
	v_cmpx_lt_u32_e64 v9, v14
	s_cbranch_execz .LBB16_496
; %bb.488:
	s_and_not1_b32 vcc_lo, exec_lo, s7
	s_cbranch_vccnz .LBB16_494
; %bb.489:
	v_mad_u64_u32 v[2:3], null, v11, s8, s[10:11]
	v_mul_lo_u32 v18, v11, s9
	v_mul_lo_u32 v19, v10, s8
	v_mad_u64_u32 v[6:7], null, v16, s8, s[10:11]
	v_mul_lo_u32 v20, v16, s9
	v_mul_lo_u32 v21, v15, s8
	s_mov_b32 s23, 0
	s_mov_b64 s[20:21], s[8:9]
                                        ; implicit-def: $sgpr24
                                        ; implicit-def: $sgpr25
                                        ; implicit-def: $sgpr26
                                        ; implicit-def: $sgpr27
                                        ; implicit-def: $sgpr28
	s_delay_alu instid0(VALU_DEP_4) | instskip(NEXT) | instid1(VALU_DEP_2)
	v_add3_u32 v3, v19, v3, v18
	v_add3_u32 v7, v21, v7, v20
	s_branch .LBB16_491
.LBB16_490:                             ;   in Loop: Header=BB16_491 Depth=1
	s_or_b32 exec_lo, exec_lo, s0
	s_delay_alu instid0(SALU_CYCLE_1) | instskip(NEXT) | instid1(SALU_CYCLE_1)
	s_and_b32 s0, exec_lo, s25
	s_or_b32 s23, s0, s23
	s_and_not1_b32 s0, s28, exec_lo
	s_and_b32 s28, s27, exec_lo
	s_and_not1_b32 s24, s24, exec_lo
	s_and_b32 s29, s26, exec_lo
	s_or_b32 s28, s0, s28
	s_or_b32 s24, s24, s29
	s_and_not1_b32 exec_lo, exec_lo, s23
	s_cbranch_execz .LBB16_493
.LBB16_491:                             ; =>This Inner Loop Header: Depth=1
	global_load_u8 v18, v[2:3], off
	global_load_u8 v19, v[6:7], off
	s_and_not1_b32 s26, s26, exec_lo
	s_and_not1_b32 s27, s27, exec_lo
	s_or_b32 s25, s25, exec_lo
	s_waitcnt vmcnt(1)
	v_and_b32_e32 v18, 0xff, v18
	s_waitcnt vmcnt(0)
	v_and_b32_e32 v19, 0xff, v19
	s_delay_alu instid0(VALU_DEP_1)
	v_cmp_le_u16_e32 vcc_lo, v18, v19
	v_cmp_lt_u16_e64 s0, v18, v19
	s_and_b32 s29, vcc_lo, s28
	s_delay_alu instid0(VALU_DEP_1) | instid1(SALU_CYCLE_1)
	s_or_b32 s29, s0, s29
	s_delay_alu instid0(SALU_CYCLE_1) | instskip(NEXT) | instid1(SALU_CYCLE_1)
	s_and_b32 s0, s29, exec_lo
	s_or_b32 s26, s26, s0
	s_mov_b32 s0, exec_lo
	v_cmpx_eq_u16_e64 v18, v19
	s_cbranch_execz .LBB16_490
; %bb.492:                              ;   in Loop: Header=BB16_491 Depth=1
	s_add_u32 s20, s20, -1
	s_addc_u32 s21, s21, -1
	v_add_co_u32 v2, vcc_lo, v2, 1
	s_cmp_eq_u64 s[20:21], 0
	v_add_co_ci_u32_e32 v3, vcc_lo, 0, v3, vcc_lo
	v_add_co_u32 v6, vcc_lo, v6, 1
	s_cselect_b32 s28, -1, 0
	v_add_co_ci_u32_e32 v7, vcc_lo, 0, v7, vcc_lo
	s_and_not1_b32 s27, s27, exec_lo
	s_and_b32 s29, s29, exec_lo
	s_and_not1_b32 s25, s25, exec_lo
	s_and_b32 s28, s28, exec_lo
	s_or_b32 s27, s27, s29
	s_and_not1_b32 s26, s26, exec_lo
	s_or_b32 s25, s25, s28
                                        ; implicit-def: $sgpr28
	s_branch .LBB16_490
.LBB16_493:
	s_or_b32 exec_lo, exec_lo, s23
	s_xor_b32 s0, s24, -1
	s_branch .LBB16_495
.LBB16_494:
	s_mov_b32 s0, -1
.LBB16_495:
	s_delay_alu instid0(SALU_CYCLE_1)
	s_and_b32 s0, s0, exec_lo
.LBB16_496:
	s_or_b32 exec_lo, exec_lo, s19
	s_delay_alu instid0(SALU_CYCLE_1)
	s_or_not1_b32 s19, s0, exec_lo
.LBB16_497:
	s_or_b32 exec_lo, exec_lo, s22
	v_cndmask_b32_e64 v2, v17, v9, s19
	v_cndmask_b32_e64 v3, 0x3ff, v8, s19
	s_mov_b32 s0, -1
	s_mov_b32 s22, exec_lo
	s_delay_alu instid0(VALU_DEP_2) | instskip(NEXT) | instid1(VALU_DEP_1)
	v_add_nc_u32_e32 v6, 1, v2
	v_min_u32_e32 v2, v6, v3
	v_cndmask_b32_e64 v20, v6, v17, s19
	v_cndmask_b32_e64 v17, v9, v6, s19
	s_delay_alu instid0(VALU_DEP_3)
	v_lshlrev_b32_e32 v2, 3, v2
	ds_load_b64 v[2:3], v2
	s_waitcnt lgkmcnt(0)
	v_cndmask_b32_e64 v18, v3, v10, s19
	v_cndmask_b32_e64 v19, v2, v11, s19
	;; [unrolled: 1-line block ×4, first 2 shown]
	v_cmpx_gt_u32_e32 0x400, v20
	s_cbranch_execz .LBB16_508
; %bb.498:
	s_mov_b32 s0, 0
	s_mov_b32 s23, exec_lo
	v_cmpx_lt_u32_e64 v17, v14
	s_cbranch_execz .LBB16_507
; %bb.499:
	s_and_not1_b32 vcc_lo, exec_lo, s7
	s_cbranch_vccnz .LBB16_505
; %bb.500:
	v_mad_u64_u32 v[2:3], null, v19, s8, s[10:11]
	v_mul_lo_u32 v9, v19, s9
	v_mul_lo_u32 v23, v18, s8
	v_mad_u64_u32 v[6:7], null, v22, s8, s[10:11]
	v_mul_lo_u32 v24, v22, s9
	v_mul_lo_u32 v25, v21, s8
	s_mov_b32 s24, 0
	s_mov_b64 s[20:21], s[8:9]
                                        ; implicit-def: $sgpr25
                                        ; implicit-def: $sgpr26
                                        ; implicit-def: $sgpr27
                                        ; implicit-def: $sgpr28
                                        ; implicit-def: $sgpr29
	s_delay_alu instid0(VALU_DEP_4) | instskip(NEXT) | instid1(VALU_DEP_2)
	v_add3_u32 v3, v23, v3, v9
	v_add3_u32 v7, v25, v7, v24
	s_branch .LBB16_502
.LBB16_501:                             ;   in Loop: Header=BB16_502 Depth=1
	s_or_b32 exec_lo, exec_lo, s0
	s_delay_alu instid0(SALU_CYCLE_1) | instskip(NEXT) | instid1(SALU_CYCLE_1)
	s_and_b32 s0, exec_lo, s26
	s_or_b32 s24, s0, s24
	s_and_not1_b32 s0, s29, exec_lo
	s_and_b32 s29, s28, exec_lo
	s_and_not1_b32 s25, s25, exec_lo
	s_and_b32 s30, s27, exec_lo
	s_or_b32 s29, s0, s29
	s_or_b32 s25, s25, s30
	s_and_not1_b32 exec_lo, exec_lo, s24
	s_cbranch_execz .LBB16_504
.LBB16_502:                             ; =>This Inner Loop Header: Depth=1
	global_load_u8 v9, v[2:3], off
	global_load_u8 v23, v[6:7], off
	s_and_not1_b32 s27, s27, exec_lo
	s_and_not1_b32 s28, s28, exec_lo
	s_or_b32 s26, s26, exec_lo
	s_waitcnt vmcnt(1)
	v_and_b32_e32 v9, 0xff, v9
	s_waitcnt vmcnt(0)
	v_and_b32_e32 v23, 0xff, v23
	s_delay_alu instid0(VALU_DEP_1)
	v_cmp_le_u16_e32 vcc_lo, v9, v23
	v_cmp_lt_u16_e64 s0, v9, v23
	s_and_b32 s30, vcc_lo, s29
	s_delay_alu instid0(VALU_DEP_1) | instid1(SALU_CYCLE_1)
	s_or_b32 s30, s0, s30
	s_delay_alu instid0(SALU_CYCLE_1) | instskip(NEXT) | instid1(SALU_CYCLE_1)
	s_and_b32 s0, s30, exec_lo
	s_or_b32 s27, s27, s0
	s_mov_b32 s0, exec_lo
	v_cmpx_eq_u16_e64 v9, v23
	s_cbranch_execz .LBB16_501
; %bb.503:                              ;   in Loop: Header=BB16_502 Depth=1
	s_add_u32 s20, s20, -1
	s_addc_u32 s21, s21, -1
	v_add_co_u32 v2, vcc_lo, v2, 1
	s_cmp_eq_u64 s[20:21], 0
	v_add_co_ci_u32_e32 v3, vcc_lo, 0, v3, vcc_lo
	v_add_co_u32 v6, vcc_lo, v6, 1
	s_cselect_b32 s29, -1, 0
	v_add_co_ci_u32_e32 v7, vcc_lo, 0, v7, vcc_lo
	s_and_not1_b32 s28, s28, exec_lo
	s_and_b32 s30, s30, exec_lo
	s_and_not1_b32 s26, s26, exec_lo
	s_and_b32 s29, s29, exec_lo
	s_or_b32 s28, s28, s30
	s_and_not1_b32 s27, s27, exec_lo
	s_or_b32 s26, s26, s29
                                        ; implicit-def: $sgpr29
	s_branch .LBB16_501
.LBB16_504:
	s_or_b32 exec_lo, exec_lo, s24
	s_xor_b32 s0, s25, -1
	s_branch .LBB16_506
.LBB16_505:
	s_mov_b32 s0, -1
.LBB16_506:
	s_delay_alu instid0(SALU_CYCLE_1)
	s_and_b32 s0, s0, exec_lo
.LBB16_507:
	s_or_b32 exec_lo, exec_lo, s23
	s_delay_alu instid0(SALU_CYCLE_1)
	s_or_not1_b32 s0, s0, exec_lo
.LBB16_508:
	s_or_b32 exec_lo, exec_lo, s22
	v_cndmask_b32_e64 v2, v20, v17, s0
	v_cndmask_b32_e64 v3, 0x3ff, v8, s0
	v_cndmask_b32_e64 v1, v5, v1, s12
	v_cndmask_b32_e64 v0, v4, v0, s12
	v_cndmask_b32_e64 v5, v18, v21, s0
	v_add_nc_u32_e32 v23, 1, v2
	v_cndmask_b32_e64 v4, v19, v22, s0
	s_mov_b32 s12, exec_lo
	s_delay_alu instid0(VALU_DEP_2) | instskip(SKIP_2) | instid1(VALU_DEP_3)
	v_min_u32_e32 v2, v23, v3
	v_cndmask_b32_e64 v3, v10, v15, s19
	v_cndmask_b32_e64 v10, v23, v20, s0
	v_lshlrev_b32_e32 v2, 3, v2
	ds_load_b64 v[8:9], v2
	v_cndmask_b32_e64 v2, v11, v16, s19
	s_waitcnt lgkmcnt(0)
	v_cndmask_b32_e64 v7, v21, v9, s0
	v_cndmask_b32_e64 v6, v22, v8, s0
	v_cmpx_gt_u32_e32 0x400, v10
	s_cbranch_execz .LBB16_518
; %bb.509:
	v_cndmask_b32_e64 v10, v17, v23, s0
	v_cndmask_b32_e64 v9, v9, v18, s0
	;; [unrolled: 1-line block ×3, first 2 shown]
	s_mov_b32 s19, exec_lo
	s_delay_alu instid0(VALU_DEP_3)
	v_cmpx_lt_u32_e64 v10, v14
	s_cbranch_execz .LBB16_517
; %bb.510:
	s_and_not1_b32 vcc_lo, exec_lo, s7
	s_cbranch_vccnz .LBB16_516
; %bb.511:
	v_mad_u64_u32 v[10:11], null, v8, s8, s[10:11]
	v_mul_lo_u32 v16, v8, s9
	v_mul_lo_u32 v17, v9, s8
	v_mad_u64_u32 v[14:15], null, v6, s8, s[10:11]
	v_mul_lo_u32 v18, v6, s9
	v_mul_lo_u32 v19, v7, s8
	s_mov_b32 s7, 0
	s_mov_b64 s[20:21], s[8:9]
                                        ; implicit-def: $sgpr22
                                        ; implicit-def: $sgpr23
                                        ; implicit-def: $sgpr24
                                        ; implicit-def: $sgpr25
                                        ; implicit-def: $sgpr26
	s_delay_alu instid0(VALU_DEP_4) | instskip(NEXT) | instid1(VALU_DEP_2)
	v_add3_u32 v11, v17, v11, v16
	v_add3_u32 v15, v19, v15, v18
	s_branch .LBB16_513
.LBB16_512:                             ;   in Loop: Header=BB16_513 Depth=1
	s_or_b32 exec_lo, exec_lo, s0
	s_delay_alu instid0(SALU_CYCLE_1) | instskip(NEXT) | instid1(SALU_CYCLE_1)
	s_and_b32 s0, exec_lo, s23
	s_or_b32 s7, s0, s7
	s_and_not1_b32 s0, s26, exec_lo
	s_and_b32 s26, s25, exec_lo
	s_and_not1_b32 s22, s22, exec_lo
	s_and_b32 s27, s24, exec_lo
	s_or_b32 s26, s0, s26
	s_or_b32 s22, s22, s27
	s_and_not1_b32 exec_lo, exec_lo, s7
	s_cbranch_execz .LBB16_515
.LBB16_513:                             ; =>This Inner Loop Header: Depth=1
	global_load_u8 v16, v[10:11], off
	global_load_u8 v17, v[14:15], off
	s_and_not1_b32 s24, s24, exec_lo
	s_and_not1_b32 s25, s25, exec_lo
	s_or_b32 s23, s23, exec_lo
	s_waitcnt vmcnt(1)
	v_and_b32_e32 v16, 0xff, v16
	s_waitcnt vmcnt(0)
	v_and_b32_e32 v17, 0xff, v17
	s_delay_alu instid0(VALU_DEP_1)
	v_cmp_le_u16_e32 vcc_lo, v16, v17
	v_cmp_lt_u16_e64 s0, v16, v17
	s_and_b32 s27, vcc_lo, s26
	s_delay_alu instid0(VALU_DEP_1) | instid1(SALU_CYCLE_1)
	s_or_b32 s27, s0, s27
	s_delay_alu instid0(SALU_CYCLE_1) | instskip(NEXT) | instid1(SALU_CYCLE_1)
	s_and_b32 s0, s27, exec_lo
	s_or_b32 s24, s24, s0
	s_mov_b32 s0, exec_lo
	v_cmpx_eq_u16_e64 v16, v17
	s_cbranch_execz .LBB16_512
; %bb.514:                              ;   in Loop: Header=BB16_513 Depth=1
	s_add_u32 s20, s20, -1
	s_addc_u32 s21, s21, -1
	v_add_co_u32 v10, vcc_lo, v10, 1
	s_cmp_eq_u64 s[20:21], 0
	v_add_co_ci_u32_e32 v11, vcc_lo, 0, v11, vcc_lo
	v_add_co_u32 v14, vcc_lo, v14, 1
	s_cselect_b32 s26, -1, 0
	v_add_co_ci_u32_e32 v15, vcc_lo, 0, v15, vcc_lo
	s_and_not1_b32 s25, s25, exec_lo
	s_and_b32 s27, s27, exec_lo
	s_and_not1_b32 s23, s23, exec_lo
	s_and_b32 s26, s26, exec_lo
	s_or_b32 s25, s25, s27
	s_and_not1_b32 s24, s24, exec_lo
	s_or_b32 s23, s23, s26
                                        ; implicit-def: $sgpr26
	s_branch .LBB16_512
.LBB16_515:
	s_or_b32 exec_lo, exec_lo, s7
	v_cndmask_b32_e64 v7, v7, v9, s22
	v_cndmask_b32_e64 v6, v6, v8, s22
.LBB16_516:
	s_delay_alu instid0(VALU_DEP_1)
	v_dual_mov_b32 v9, v7 :: v_dual_mov_b32 v8, v6
.LBB16_517:
	s_or_b32 exec_lo, exec_lo, s19
	s_delay_alu instid0(VALU_DEP_1)
	v_dual_mov_b32 v6, v8 :: v_dual_mov_b32 v7, v9
.LBB16_518:
	s_or_b32 exec_lo, exec_lo, s12
.LBB16_519:
	s_delay_alu instid0(SALU_CYCLE_1)
	s_or_b32 exec_lo, exec_lo, s1
	s_barrier
	buffer_gl0_inv
	s_barrier
	buffer_gl0_inv
	ds_store_2addr_b64 v39, v[0:1], v[2:3] offset1:1
	ds_store_2addr_b64 v39, v[4:5], v[6:7] offset0:2 offset1:3
	s_waitcnt lgkmcnt(0)
	s_barrier
	buffer_gl0_inv
	ds_load_b64 v[2:3], v38 offset:2048
	ds_load_b64 v[4:5], v35
	ds_load_b64 v[6:7], v36 offset:4096
	ds_load_b64 v[0:1], v37 offset:6144
	v_add_co_u32 v8, s0, s14, v26
	s_delay_alu instid0(VALU_DEP_1) | instskip(NEXT) | instid1(VALU_DEP_2)
	v_add_co_ci_u32_e64 v9, null, s15, 0, s0
	v_add_co_u32 v8, vcc_lo, 0x1000, v8
	s_delay_alu instid0(VALU_DEP_2)
	v_add_co_ci_u32_e32 v9, vcc_lo, 0, v9, vcc_lo
	s_mov_b32 s19, -1
	s_waitcnt lgkmcnt(3)
	global_store_b64 v26, v[2:3], s[14:15] offset:2048
	s_waitcnt lgkmcnt(2)
	global_store_b64 v26, v[4:5], s[14:15]
	s_waitcnt lgkmcnt(1)
	global_store_b64 v[8:9], v[6:7], off
	s_branch .LBB16_876
.LBB16_520:
	s_lshl_b64 s[0:1], s[2:3], 10
                                        ; implicit-def: $vgpr0_vgpr1_vgpr2_vgpr3_vgpr4_vgpr5_vgpr6_vgpr7
	s_delay_alu instid0(SALU_CYCLE_1) | instskip(NEXT) | instid1(SALU_CYCLE_1)
	s_sub_i32 s18, s18, s0
	v_cmp_gt_u32_e64 s0, s18, v12
	s_delay_alu instid0(VALU_DEP_1)
	s_and_saveexec_b32 s1, s0
	s_cbranch_execnz .LBB16_531
; %bb.521:
	s_or_b32 exec_lo, exec_lo, s1
	v_cmp_gt_u32_e64 s1, s18, v34
	s_delay_alu instid0(VALU_DEP_1)
	s_and_saveexec_b32 s2, s1
	s_cbranch_execnz .LBB16_532
.LBB16_522:
	s_or_b32 exec_lo, exec_lo, s2
	v_cmp_gt_u32_e64 s2, s18, v33
	s_delay_alu instid0(VALU_DEP_1)
	s_and_saveexec_b32 s3, s2
	s_cbranch_execnz .LBB16_533
.LBB16_523:
	s_or_b32 exec_lo, exec_lo, s3
	v_cmp_gt_u32_e64 s19, s18, v32
	s_delay_alu instid0(VALU_DEP_1)
	s_and_saveexec_b32 s3, s19
	s_cbranch_execz .LBB16_525
.LBB16_524:
	v_lshlrev_b32_e32 v6, 3, v32
	global_load_b64 v[6:7], v6, s[16:17]
.LBB16_525:
	s_or_b32 exec_lo, exec_lo, s3
	v_lshrrev_b32_e32 v8, 2, v34
	v_lshrrev_b32_e32 v9, 2, v33
	;; [unrolled: 1-line block ×3, first 2 shown]
	v_and_b32_e32 v11, 0xf8, v31
	v_add_lshl_u32 v17, v30, v27, 3
	v_and_b32_e32 v8, 0x1f8, v8
	v_and_b32_e32 v9, 0x1f8, v9
	;; [unrolled: 1-line block ×3, first 2 shown]
	v_cmp_gt_i64_e64 s16, s[8:9], 0
	s_delay_alu instid0(VALU_DEP_4)
	v_dual_mov_b32 v8, 0 :: v_dual_add_nc_u32 v13, v8, v26
	v_add_nc_u32_e32 v14, v11, v26
	v_add_nc_u32_e32 v15, v9, v26
	;; [unrolled: 1-line block ×3, first 2 shown]
	s_waitcnt vmcnt(0) lgkmcnt(0)
	ds_store_b64 v14, v[0:1]
	ds_store_b64 v13, v[2:3] offset:2048
	ds_store_b64 v15, v[4:5] offset:4096
	;; [unrolled: 1-line block ×3, first 2 shown]
	s_waitcnt lgkmcnt(0)
	s_waitcnt_vscnt null, 0x0
	s_barrier
	buffer_gl0_inv
	ds_load_2addr_b64 v[0:3], v17 offset1:1
	ds_load_2addr_b64 v[4:7], v17 offset0:2 offset1:3
	s_waitcnt lgkmcnt(0)
	s_barrier
	buffer_gl0_inv
	s_load_b32 s3, s[4:5], 0xc
	s_waitcnt lgkmcnt(0)
	s_lshr_b32 s3, s3, 16
	s_cmp_lt_u32 s13, s6
	v_mad_u32_u24 v9, v29, s3, v28
	s_cselect_b32 s6, 12, 18
	s_delay_alu instid0(SALU_CYCLE_1) | instskip(SKIP_4) | instid1(VALU_DEP_1)
	s_add_u32 s4, s4, s6
	s_addc_u32 s5, s5, 0
	global_load_u16 v8, v8, s[4:5]
	s_waitcnt vmcnt(0)
	v_mul_lo_u32 v8, v9, v8
	v_add_lshl_u32 v18, v8, v12, 2
	s_delay_alu instid0(VALU_DEP_1) | instskip(NEXT) | instid1(VALU_DEP_1)
	v_sub_nc_u32_e64 v19, s18, v18 clamp
	v_cmp_lt_u32_e64 s3, 1, v19
	s_delay_alu instid0(VALU_DEP_1)
	s_and_saveexec_b32 s12, s3
	s_cbranch_execz .LBB16_537
; %bb.526:
	s_and_not1_b32 vcc_lo, exec_lo, s16
	s_cbranch_vccnz .LBB16_537
; %bb.527:
	v_mad_u64_u32 v[8:9], null, v2, s8, s[10:11]
	v_mul_lo_u32 v20, v2, s9
	v_mul_lo_u32 v21, v3, s8
	v_mad_u64_u32 v[10:11], null, v0, s8, s[10:11]
	v_mul_lo_u32 v22, v0, s9
	v_mul_lo_u32 v23, v1, s8
	s_mov_b32 s13, 0
	s_mov_b64 s[6:7], s[8:9]
                                        ; implicit-def: $sgpr17
                                        ; implicit-def: $sgpr20
                                        ; implicit-def: $sgpr22
                                        ; implicit-def: $sgpr21
                                        ; implicit-def: $sgpr23
                                        ; implicit-def: $sgpr24
	s_delay_alu instid0(VALU_DEP_4) | instskip(NEXT) | instid1(VALU_DEP_2)
	v_add3_u32 v9, v21, v9, v20
	v_add3_u32 v11, v23, v11, v22
	s_branch .LBB16_529
.LBB16_528:                             ;   in Loop: Header=BB16_529 Depth=1
	s_or_b32 exec_lo, exec_lo, s25
	s_delay_alu instid0(SALU_CYCLE_1) | instskip(NEXT) | instid1(SALU_CYCLE_1)
	s_and_b32 s5, exec_lo, s22
	s_or_b32 s13, s5, s13
	s_and_not1_b32 s5, s24, exec_lo
	s_and_b32 s24, s23, exec_lo
	s_and_not1_b32 s20, s20, exec_lo
	s_or_b32 s24, s5, s24
	s_and_b32 s5, s21, exec_lo
	s_and_not1_b32 s17, s17, exec_lo
	s_and_b32 s4, s4, exec_lo
	s_or_b32 s20, s20, s5
	s_or_b32 s17, s17, s4
	s_and_not1_b32 exec_lo, exec_lo, s13
	s_cbranch_execz .LBB16_534
.LBB16_529:                             ; =>This Inner Loop Header: Depth=1
	global_load_u8 v20, v[8:9], off
	global_load_u8 v21, v[10:11], off
	s_and_not1_b32 s23, s23, exec_lo
	s_or_b32 s21, s21, exec_lo
	s_or_b32 s22, s22, exec_lo
	s_waitcnt vmcnt(1)
	v_and_b32_e32 v20, 0xff, v20
	s_waitcnt vmcnt(0)
	v_and_b32_e32 v21, 0xff, v21
	s_delay_alu instid0(VALU_DEP_1)
	v_cmp_le_u16_e32 vcc_lo, v20, v21
	v_cmp_lt_u16_e64 s4, v20, v21
	s_and_b32 s25, vcc_lo, s24
	s_delay_alu instid0(VALU_DEP_1) | instid1(SALU_CYCLE_1)
	s_or_b32 s4, s4, s25
	s_mov_b32 s25, exec_lo
	v_cmpx_eq_u16_e64 v20, v21
	s_cbranch_execz .LBB16_528
; %bb.530:                              ;   in Loop: Header=BB16_529 Depth=1
	s_add_u32 s6, s6, -1
	s_addc_u32 s7, s7, -1
	v_add_co_u32 v8, vcc_lo, v8, 1
	s_cmp_eq_u64 s[6:7], 0
	v_add_co_ci_u32_e32 v9, vcc_lo, 0, v9, vcc_lo
	v_add_co_u32 v10, vcc_lo, v10, 1
	s_cselect_b32 s5, -1, 0
	v_add_co_ci_u32_e32 v11, vcc_lo, 0, v11, vcc_lo
	s_and_not1_b32 s23, s23, exec_lo
	s_and_b32 s24, s4, exec_lo
	s_and_not1_b32 s22, s22, exec_lo
	s_and_b32 s5, s5, exec_lo
	s_or_b32 s23, s23, s24
	s_and_not1_b32 s21, s21, exec_lo
	s_or_b32 s22, s22, s5
                                        ; implicit-def: $sgpr24
	s_branch .LBB16_528
.LBB16_531:
	s_waitcnt lgkmcnt(0)
	global_load_b64 v[0:1], v26, s[16:17]
	s_or_b32 exec_lo, exec_lo, s1
	v_cmp_gt_u32_e64 s1, s18, v34
	s_delay_alu instid0(VALU_DEP_1)
	s_and_saveexec_b32 s2, s1
	s_cbranch_execz .LBB16_522
.LBB16_532:
	global_load_b64 v[2:3], v26, s[16:17] offset:2048
	s_or_b32 exec_lo, exec_lo, s2
	v_cmp_gt_u32_e64 s2, s18, v33
	s_delay_alu instid0(VALU_DEP_1)
	s_and_saveexec_b32 s3, s2
	s_cbranch_execz .LBB16_523
.LBB16_533:
	v_lshlrev_b32_e32 v4, 3, v33
	global_load_b64 v[4:5], v4, s[16:17]
	s_or_b32 exec_lo, exec_lo, s3
	v_cmp_gt_u32_e64 s19, s18, v32
	s_delay_alu instid0(VALU_DEP_1)
	s_and_saveexec_b32 s3, s19
	s_cbranch_execnz .LBB16_524
	s_branch .LBB16_525
.LBB16_534:
	s_or_b32 exec_lo, exec_lo, s13
	s_and_saveexec_b32 s4, s20
	s_delay_alu instid0(SALU_CYCLE_1)
	s_xor_b32 s4, exec_lo, s4
; %bb.535:
	v_cndmask_b32_e64 v28, v0, v2, s17
	v_cndmask_b32_e64 v31, v3, v1, s17
	;; [unrolled: 1-line block ×4, first 2 shown]
	v_dual_mov_b32 v32, v4 :: v_dual_mov_b32 v33, v5
	v_dual_mov_b32 v34, v6 :: v_dual_mov_b32 v35, v7
	s_delay_alu instid0(VALU_DEP_3) | instskip(SKIP_1) | instid1(VALU_DEP_4)
	v_dual_mov_b32 v0, v28 :: v_dual_mov_b32 v1, v29
	v_dual_mov_b32 v2, v30 :: v_dual_mov_b32 v3, v31
	;; [unrolled: 1-line block ×3, first 2 shown]
	s_delay_alu instid0(VALU_DEP_4)
	v_dual_mov_b32 v6, v34 :: v_dual_mov_b32 v7, v35
; %bb.536:
	s_or_b32 exec_lo, exec_lo, s4
.LBB16_537:
	s_delay_alu instid0(SALU_CYCLE_1) | instskip(SKIP_1) | instid1(VALU_DEP_1)
	s_or_b32 exec_lo, exec_lo, s12
	v_cmp_lt_u32_e64 s4, 3, v19
	s_and_saveexec_b32 s7, s4
	s_cbranch_execz .LBB16_546
; %bb.538:
	s_and_not1_b32 vcc_lo, exec_lo, s16
	s_cbranch_vccnz .LBB16_546
; %bb.539:
	v_mad_u64_u32 v[8:9], null, v6, s8, s[10:11]
	v_mul_lo_u32 v20, v6, s9
	v_mul_lo_u32 v21, v7, s8
	v_mad_u64_u32 v[10:11], null, v4, s8, s[10:11]
	v_mul_lo_u32 v22, v4, s9
	v_mul_lo_u32 v23, v5, s8
	s_mov_b32 s17, 0
	s_mov_b64 s[12:13], s[8:9]
                                        ; implicit-def: $sgpr20
                                        ; implicit-def: $sgpr21
                                        ; implicit-def: $sgpr23
                                        ; implicit-def: $sgpr22
                                        ; implicit-def: $sgpr24
                                        ; implicit-def: $sgpr25
	s_delay_alu instid0(VALU_DEP_4) | instskip(NEXT) | instid1(VALU_DEP_2)
	v_add3_u32 v9, v21, v9, v20
	v_add3_u32 v11, v23, v11, v22
	s_branch .LBB16_541
.LBB16_540:                             ;   in Loop: Header=BB16_541 Depth=1
	s_or_b32 exec_lo, exec_lo, s26
	s_delay_alu instid0(SALU_CYCLE_1) | instskip(NEXT) | instid1(SALU_CYCLE_1)
	s_and_b32 s6, exec_lo, s23
	s_or_b32 s17, s6, s17
	s_and_not1_b32 s6, s25, exec_lo
	s_and_b32 s25, s24, exec_lo
	s_and_not1_b32 s21, s21, exec_lo
	s_or_b32 s25, s6, s25
	s_and_b32 s6, s22, exec_lo
	s_and_not1_b32 s20, s20, exec_lo
	s_and_b32 s5, s5, exec_lo
	s_or_b32 s21, s21, s6
	s_or_b32 s20, s20, s5
	s_and_not1_b32 exec_lo, exec_lo, s17
	s_cbranch_execz .LBB16_543
.LBB16_541:                             ; =>This Inner Loop Header: Depth=1
	global_load_u8 v20, v[8:9], off
	global_load_u8 v21, v[10:11], off
	s_and_not1_b32 s24, s24, exec_lo
	s_or_b32 s22, s22, exec_lo
	s_or_b32 s23, s23, exec_lo
	s_waitcnt vmcnt(1)
	v_and_b32_e32 v20, 0xff, v20
	s_waitcnt vmcnt(0)
	v_and_b32_e32 v21, 0xff, v21
	s_delay_alu instid0(VALU_DEP_1)
	v_cmp_le_u16_e32 vcc_lo, v20, v21
	v_cmp_lt_u16_e64 s5, v20, v21
	s_and_b32 s26, vcc_lo, s25
	s_delay_alu instid0(VALU_DEP_1) | instid1(SALU_CYCLE_1)
	s_or_b32 s5, s5, s26
	s_mov_b32 s26, exec_lo
	v_cmpx_eq_u16_e64 v20, v21
	s_cbranch_execz .LBB16_540
; %bb.542:                              ;   in Loop: Header=BB16_541 Depth=1
	s_add_u32 s12, s12, -1
	s_addc_u32 s13, s13, -1
	v_add_co_u32 v8, vcc_lo, v8, 1
	s_cmp_eq_u64 s[12:13], 0
	v_add_co_ci_u32_e32 v9, vcc_lo, 0, v9, vcc_lo
	v_add_co_u32 v10, vcc_lo, v10, 1
	s_cselect_b32 s6, -1, 0
	v_add_co_ci_u32_e32 v11, vcc_lo, 0, v11, vcc_lo
	s_and_not1_b32 s24, s24, exec_lo
	s_and_b32 s25, s5, exec_lo
	s_and_not1_b32 s23, s23, exec_lo
	s_and_b32 s6, s6, exec_lo
	s_or_b32 s24, s24, s25
	s_and_not1_b32 s22, s22, exec_lo
	s_or_b32 s23, s23, s6
                                        ; implicit-def: $sgpr25
	s_branch .LBB16_540
.LBB16_543:
	s_or_b32 exec_lo, exec_lo, s17
	s_and_saveexec_b32 s5, s21
	s_delay_alu instid0(SALU_CYCLE_1)
	s_xor_b32 s5, exec_lo, s5
; %bb.544:
	v_cndmask_b32_e64 v8, v6, v4, s20
	v_cndmask_b32_e64 v9, v7, v5, s20
	;; [unrolled: 1-line block ×4, first 2 shown]
	s_delay_alu instid0(VALU_DEP_3)
	v_dual_mov_b32 v6, v8 :: v_dual_mov_b32 v7, v9
; %bb.545:
	s_or_b32 exec_lo, exec_lo, s5
.LBB16_546:
	s_delay_alu instid0(SALU_CYCLE_1) | instskip(SKIP_1) | instid1(VALU_DEP_1)
	s_or_b32 exec_lo, exec_lo, s7
	v_cmp_lt_u32_e64 s5, 2, v19
	s_and_saveexec_b32 s6, s5
	s_delay_alu instid0(SALU_CYCLE_1)
	s_xor_b32 s17, exec_lo, s6
	s_cbranch_execz .LBB16_555
; %bb.547:
	s_and_not1_b32 vcc_lo, exec_lo, s16
	s_cbranch_vccnz .LBB16_555
; %bb.548:
	v_mad_u64_u32 v[8:9], null, v4, s8, s[10:11]
	v_mul_lo_u32 v19, v4, s9
	v_mul_lo_u32 v20, v5, s8
	v_mad_u64_u32 v[10:11], null, v2, s8, s[10:11]
	v_mul_lo_u32 v21, v2, s9
	v_mul_lo_u32 v22, v3, s8
	s_mov_b32 s20, 0
	s_mov_b64 s[12:13], s[8:9]
                                        ; implicit-def: $sgpr21
                                        ; implicit-def: $sgpr22
                                        ; implicit-def: $sgpr24
                                        ; implicit-def: $sgpr23
                                        ; implicit-def: $sgpr25
                                        ; implicit-def: $sgpr26
	s_delay_alu instid0(VALU_DEP_4) | instskip(NEXT) | instid1(VALU_DEP_2)
	v_add3_u32 v9, v20, v9, v19
	v_add3_u32 v11, v22, v11, v21
	s_branch .LBB16_550
.LBB16_549:                             ;   in Loop: Header=BB16_550 Depth=1
	s_or_b32 exec_lo, exec_lo, s27
	s_delay_alu instid0(SALU_CYCLE_1) | instskip(NEXT) | instid1(SALU_CYCLE_1)
	s_and_b32 s7, exec_lo, s24
	s_or_b32 s20, s7, s20
	s_and_not1_b32 s7, s26, exec_lo
	s_and_b32 s26, s25, exec_lo
	s_and_not1_b32 s22, s22, exec_lo
	s_or_b32 s26, s7, s26
	s_and_b32 s7, s23, exec_lo
	s_and_not1_b32 s21, s21, exec_lo
	s_and_b32 s6, s6, exec_lo
	s_or_b32 s22, s22, s7
	s_or_b32 s21, s21, s6
	s_and_not1_b32 exec_lo, exec_lo, s20
	s_cbranch_execz .LBB16_552
.LBB16_550:                             ; =>This Inner Loop Header: Depth=1
	global_load_u8 v19, v[8:9], off
	global_load_u8 v20, v[10:11], off
	s_and_not1_b32 s25, s25, exec_lo
	s_or_b32 s23, s23, exec_lo
	s_or_b32 s24, s24, exec_lo
	s_waitcnt vmcnt(1)
	v_and_b32_e32 v19, 0xff, v19
	s_waitcnt vmcnt(0)
	v_and_b32_e32 v20, 0xff, v20
	s_delay_alu instid0(VALU_DEP_1)
	v_cmp_le_u16_e32 vcc_lo, v19, v20
	v_cmp_lt_u16_e64 s6, v19, v20
	s_and_b32 s27, vcc_lo, s26
	s_delay_alu instid0(VALU_DEP_1) | instid1(SALU_CYCLE_1)
	s_or_b32 s6, s6, s27
	s_mov_b32 s27, exec_lo
	v_cmpx_eq_u16_e64 v19, v20
	s_cbranch_execz .LBB16_549
; %bb.551:                              ;   in Loop: Header=BB16_550 Depth=1
	s_add_u32 s12, s12, -1
	s_addc_u32 s13, s13, -1
	v_add_co_u32 v8, vcc_lo, v8, 1
	s_cmp_eq_u64 s[12:13], 0
	v_add_co_ci_u32_e32 v9, vcc_lo, 0, v9, vcc_lo
	v_add_co_u32 v10, vcc_lo, v10, 1
	s_cselect_b32 s7, -1, 0
	v_add_co_ci_u32_e32 v11, vcc_lo, 0, v11, vcc_lo
	s_and_not1_b32 s25, s25, exec_lo
	s_and_b32 s26, s6, exec_lo
	s_and_not1_b32 s24, s24, exec_lo
	s_and_b32 s7, s7, exec_lo
	s_or_b32 s25, s25, s26
	s_and_not1_b32 s23, s23, exec_lo
	s_or_b32 s24, s24, s7
                                        ; implicit-def: $sgpr26
	s_branch .LBB16_549
.LBB16_552:
	s_or_b32 exec_lo, exec_lo, s20
	s_and_saveexec_b32 s6, s22
	s_delay_alu instid0(SALU_CYCLE_1)
	s_xor_b32 s6, exec_lo, s6
; %bb.553:
	v_cndmask_b32_e64 v8, v4, v2, s21
	v_cndmask_b32_e64 v9, v5, v3, s21
	;; [unrolled: 1-line block ×4, first 2 shown]
	s_delay_alu instid0(VALU_DEP_3)
	v_dual_mov_b32 v4, v8 :: v_dual_mov_b32 v5, v9
; %bb.554:
	s_or_b32 exec_lo, exec_lo, s6
.LBB16_555:
	s_delay_alu instid0(SALU_CYCLE_1)
	s_or_b32 exec_lo, exec_lo, s17
	s_and_saveexec_b32 s7, s3
	s_cbranch_execz .LBB16_564
; %bb.556:
	s_and_not1_b32 vcc_lo, exec_lo, s16
	s_cbranch_vccnz .LBB16_564
; %bb.557:
	v_mad_u64_u32 v[8:9], null, v2, s8, s[10:11]
	v_mul_lo_u32 v19, v2, s9
	v_mul_lo_u32 v20, v3, s8
	v_mad_u64_u32 v[10:11], null, v0, s8, s[10:11]
	v_mul_lo_u32 v21, v0, s9
	v_mul_lo_u32 v22, v1, s8
	s_mov_b32 s17, 0
	s_mov_b64 s[12:13], s[8:9]
                                        ; implicit-def: $sgpr20
                                        ; implicit-def: $sgpr21
                                        ; implicit-def: $sgpr23
                                        ; implicit-def: $sgpr22
                                        ; implicit-def: $sgpr24
                                        ; implicit-def: $sgpr25
	s_delay_alu instid0(VALU_DEP_4) | instskip(NEXT) | instid1(VALU_DEP_2)
	v_add3_u32 v9, v20, v9, v19
	v_add3_u32 v11, v22, v11, v21
	s_branch .LBB16_559
.LBB16_558:                             ;   in Loop: Header=BB16_559 Depth=1
	s_or_b32 exec_lo, exec_lo, s26
	s_delay_alu instid0(SALU_CYCLE_1) | instskip(NEXT) | instid1(SALU_CYCLE_1)
	s_and_b32 s6, exec_lo, s23
	s_or_b32 s17, s6, s17
	s_and_not1_b32 s6, s25, exec_lo
	s_and_b32 s25, s24, exec_lo
	s_and_not1_b32 s21, s21, exec_lo
	s_or_b32 s25, s6, s25
	s_and_b32 s6, s22, exec_lo
	s_and_not1_b32 s20, s20, exec_lo
	s_and_b32 s3, s3, exec_lo
	s_or_b32 s21, s21, s6
	s_or_b32 s20, s20, s3
	s_and_not1_b32 exec_lo, exec_lo, s17
	s_cbranch_execz .LBB16_561
.LBB16_559:                             ; =>This Inner Loop Header: Depth=1
	global_load_u8 v19, v[8:9], off
	global_load_u8 v20, v[10:11], off
	s_and_not1_b32 s24, s24, exec_lo
	s_or_b32 s22, s22, exec_lo
	s_or_b32 s23, s23, exec_lo
	s_waitcnt vmcnt(1)
	v_and_b32_e32 v19, 0xff, v19
	s_waitcnt vmcnt(0)
	v_and_b32_e32 v20, 0xff, v20
	s_delay_alu instid0(VALU_DEP_1)
	v_cmp_le_u16_e32 vcc_lo, v19, v20
	v_cmp_lt_u16_e64 s3, v19, v20
	s_and_b32 s26, vcc_lo, s25
	s_delay_alu instid0(VALU_DEP_1) | instid1(SALU_CYCLE_1)
	s_or_b32 s3, s3, s26
	s_mov_b32 s26, exec_lo
	v_cmpx_eq_u16_e64 v19, v20
	s_cbranch_execz .LBB16_558
; %bb.560:                              ;   in Loop: Header=BB16_559 Depth=1
	s_add_u32 s12, s12, -1
	s_addc_u32 s13, s13, -1
	v_add_co_u32 v8, vcc_lo, v8, 1
	s_cmp_eq_u64 s[12:13], 0
	v_add_co_ci_u32_e32 v9, vcc_lo, 0, v9, vcc_lo
	v_add_co_u32 v10, vcc_lo, v10, 1
	s_cselect_b32 s6, -1, 0
	v_add_co_ci_u32_e32 v11, vcc_lo, 0, v11, vcc_lo
	s_and_not1_b32 s24, s24, exec_lo
	s_and_b32 s25, s3, exec_lo
	s_and_not1_b32 s23, s23, exec_lo
	s_and_b32 s6, s6, exec_lo
	s_or_b32 s24, s24, s25
	s_and_not1_b32 s22, s22, exec_lo
	s_or_b32 s23, s23, s6
                                        ; implicit-def: $sgpr25
	s_branch .LBB16_558
.LBB16_561:
	s_or_b32 exec_lo, exec_lo, s17
	s_and_saveexec_b32 s3, s21
	s_delay_alu instid0(SALU_CYCLE_1)
	s_xor_b32 s3, exec_lo, s3
; %bb.562:
	v_cndmask_b32_e64 v28, v0, v2, s20
	v_cndmask_b32_e64 v31, v3, v1, s20
	;; [unrolled: 1-line block ×4, first 2 shown]
	v_dual_mov_b32 v32, v4 :: v_dual_mov_b32 v33, v5
	v_dual_mov_b32 v34, v6 :: v_dual_mov_b32 v35, v7
	s_delay_alu instid0(VALU_DEP_3) | instskip(SKIP_1) | instid1(VALU_DEP_4)
	v_dual_mov_b32 v0, v28 :: v_dual_mov_b32 v1, v29
	v_dual_mov_b32 v2, v30 :: v_dual_mov_b32 v3, v31
	v_dual_mov_b32 v4, v32 :: v_dual_mov_b32 v5, v33
	s_delay_alu instid0(VALU_DEP_4)
	v_dual_mov_b32 v6, v34 :: v_dual_mov_b32 v7, v35
; %bb.563:
	s_or_b32 exec_lo, exec_lo, s3
.LBB16_564:
	s_delay_alu instid0(SALU_CYCLE_1)
	s_or_b32 exec_lo, exec_lo, s7
	s_and_saveexec_b32 s12, s4
	s_cbranch_execz .LBB16_573
; %bb.565:
	s_and_not1_b32 vcc_lo, exec_lo, s16
	s_cbranch_vccnz .LBB16_573
; %bb.566:
	v_mad_u64_u32 v[8:9], null, v6, s8, s[10:11]
	v_mul_lo_u32 v19, v6, s9
	v_mul_lo_u32 v20, v7, s8
	v_mad_u64_u32 v[10:11], null, v4, s8, s[10:11]
	v_mul_lo_u32 v21, v4, s9
	v_mul_lo_u32 v22, v5, s8
	s_mov_b32 s13, 0
	s_mov_b64 s[6:7], s[8:9]
                                        ; implicit-def: $sgpr17
                                        ; implicit-def: $sgpr20
                                        ; implicit-def: $sgpr22
                                        ; implicit-def: $sgpr21
                                        ; implicit-def: $sgpr23
                                        ; implicit-def: $sgpr24
	s_delay_alu instid0(VALU_DEP_4) | instskip(NEXT) | instid1(VALU_DEP_2)
	v_add3_u32 v9, v20, v9, v19
	v_add3_u32 v11, v22, v11, v21
	s_branch .LBB16_568
.LBB16_567:                             ;   in Loop: Header=BB16_568 Depth=1
	s_or_b32 exec_lo, exec_lo, s25
	s_delay_alu instid0(SALU_CYCLE_1) | instskip(NEXT) | instid1(SALU_CYCLE_1)
	s_and_b32 s4, exec_lo, s22
	s_or_b32 s13, s4, s13
	s_and_not1_b32 s4, s24, exec_lo
	s_and_b32 s24, s23, exec_lo
	s_and_not1_b32 s20, s20, exec_lo
	s_or_b32 s24, s4, s24
	s_and_b32 s4, s21, exec_lo
	s_and_not1_b32 s17, s17, exec_lo
	s_and_b32 s3, s3, exec_lo
	s_or_b32 s20, s20, s4
	s_or_b32 s17, s17, s3
	s_and_not1_b32 exec_lo, exec_lo, s13
	s_cbranch_execz .LBB16_570
.LBB16_568:                             ; =>This Inner Loop Header: Depth=1
	global_load_u8 v19, v[8:9], off
	global_load_u8 v20, v[10:11], off
	s_and_not1_b32 s23, s23, exec_lo
	s_or_b32 s21, s21, exec_lo
	s_or_b32 s22, s22, exec_lo
	s_waitcnt vmcnt(1)
	v_and_b32_e32 v19, 0xff, v19
	s_waitcnt vmcnt(0)
	v_and_b32_e32 v20, 0xff, v20
	s_delay_alu instid0(VALU_DEP_1)
	v_cmp_le_u16_e32 vcc_lo, v19, v20
	v_cmp_lt_u16_e64 s3, v19, v20
	s_and_b32 s25, vcc_lo, s24
	s_delay_alu instid0(VALU_DEP_1) | instid1(SALU_CYCLE_1)
	s_or_b32 s3, s3, s25
	s_mov_b32 s25, exec_lo
	v_cmpx_eq_u16_e64 v19, v20
	s_cbranch_execz .LBB16_567
; %bb.569:                              ;   in Loop: Header=BB16_568 Depth=1
	s_add_u32 s6, s6, -1
	s_addc_u32 s7, s7, -1
	v_add_co_u32 v8, vcc_lo, v8, 1
	s_cmp_eq_u64 s[6:7], 0
	v_add_co_ci_u32_e32 v9, vcc_lo, 0, v9, vcc_lo
	v_add_co_u32 v10, vcc_lo, v10, 1
	s_cselect_b32 s4, -1, 0
	v_add_co_ci_u32_e32 v11, vcc_lo, 0, v11, vcc_lo
	s_and_not1_b32 s23, s23, exec_lo
	s_and_b32 s24, s3, exec_lo
	s_and_not1_b32 s22, s22, exec_lo
	s_and_b32 s4, s4, exec_lo
	s_or_b32 s23, s23, s24
	s_and_not1_b32 s21, s21, exec_lo
	s_or_b32 s22, s22, s4
                                        ; implicit-def: $sgpr24
	s_branch .LBB16_567
.LBB16_570:
	s_or_b32 exec_lo, exec_lo, s13
	s_and_saveexec_b32 s3, s20
	s_delay_alu instid0(SALU_CYCLE_1)
	s_xor_b32 s3, exec_lo, s3
; %bb.571:
	v_cndmask_b32_e64 v8, v6, v4, s17
	v_cndmask_b32_e64 v9, v7, v5, s17
	;; [unrolled: 1-line block ×4, first 2 shown]
	s_delay_alu instid0(VALU_DEP_3)
	v_dual_mov_b32 v6, v8 :: v_dual_mov_b32 v7, v9
; %bb.572:
	s_or_b32 exec_lo, exec_lo, s3
.LBB16_573:
	s_delay_alu instid0(SALU_CYCLE_1)
	s_or_b32 exec_lo, exec_lo, s12
	s_and_saveexec_b32 s12, s5
	s_cbranch_execz .LBB16_582
; %bb.574:
	s_and_not1_b32 vcc_lo, exec_lo, s16
	s_cbranch_vccnz .LBB16_582
; %bb.575:
	v_mad_u64_u32 v[8:9], null, v4, s8, s[10:11]
	v_mul_lo_u32 v19, v4, s9
	v_mul_lo_u32 v20, v5, s8
	v_mad_u64_u32 v[10:11], null, v2, s8, s[10:11]
	v_mul_lo_u32 v21, v2, s9
	v_mul_lo_u32 v22, v3, s8
	s_mov_b32 s5, 0
	s_mov_b64 s[6:7], s[8:9]
                                        ; implicit-def: $sgpr13
                                        ; implicit-def: $sgpr17
                                        ; implicit-def: $sgpr21
                                        ; implicit-def: $sgpr20
                                        ; implicit-def: $sgpr22
                                        ; implicit-def: $sgpr23
	s_delay_alu instid0(VALU_DEP_4) | instskip(NEXT) | instid1(VALU_DEP_2)
	v_add3_u32 v9, v20, v9, v19
	v_add3_u32 v11, v22, v11, v21
	s_branch .LBB16_577
.LBB16_576:                             ;   in Loop: Header=BB16_577 Depth=1
	s_or_b32 exec_lo, exec_lo, s24
	s_delay_alu instid0(SALU_CYCLE_1) | instskip(NEXT) | instid1(SALU_CYCLE_1)
	s_and_b32 s4, exec_lo, s21
	s_or_b32 s5, s4, s5
	s_and_not1_b32 s4, s23, exec_lo
	s_and_b32 s23, s22, exec_lo
	s_and_not1_b32 s17, s17, exec_lo
	s_or_b32 s23, s4, s23
	s_and_b32 s4, s20, exec_lo
	s_and_not1_b32 s13, s13, exec_lo
	s_and_b32 s3, s3, exec_lo
	s_or_b32 s17, s17, s4
	s_or_b32 s13, s13, s3
	s_and_not1_b32 exec_lo, exec_lo, s5
	s_cbranch_execz .LBB16_579
.LBB16_577:                             ; =>This Inner Loop Header: Depth=1
	global_load_u8 v19, v[8:9], off
	global_load_u8 v20, v[10:11], off
	s_and_not1_b32 s22, s22, exec_lo
	s_or_b32 s20, s20, exec_lo
	s_or_b32 s21, s21, exec_lo
	s_waitcnt vmcnt(1)
	v_and_b32_e32 v19, 0xff, v19
	s_waitcnt vmcnt(0)
	v_and_b32_e32 v20, 0xff, v20
	s_delay_alu instid0(VALU_DEP_1)
	v_cmp_le_u16_e32 vcc_lo, v19, v20
	v_cmp_lt_u16_e64 s3, v19, v20
	s_and_b32 s24, vcc_lo, s23
	s_delay_alu instid0(VALU_DEP_1) | instid1(SALU_CYCLE_1)
	s_or_b32 s3, s3, s24
	s_mov_b32 s24, exec_lo
	v_cmpx_eq_u16_e64 v19, v20
	s_cbranch_execz .LBB16_576
; %bb.578:                              ;   in Loop: Header=BB16_577 Depth=1
	s_add_u32 s6, s6, -1
	s_addc_u32 s7, s7, -1
	v_add_co_u32 v8, vcc_lo, v8, 1
	s_cmp_eq_u64 s[6:7], 0
	v_add_co_ci_u32_e32 v9, vcc_lo, 0, v9, vcc_lo
	v_add_co_u32 v10, vcc_lo, v10, 1
	s_cselect_b32 s4, -1, 0
	v_add_co_ci_u32_e32 v11, vcc_lo, 0, v11, vcc_lo
	s_and_not1_b32 s22, s22, exec_lo
	s_and_b32 s23, s3, exec_lo
	s_and_not1_b32 s21, s21, exec_lo
	s_and_b32 s4, s4, exec_lo
	s_or_b32 s22, s22, s23
	s_and_not1_b32 s20, s20, exec_lo
	s_or_b32 s21, s21, s4
                                        ; implicit-def: $sgpr23
	s_branch .LBB16_576
.LBB16_579:
	s_or_b32 exec_lo, exec_lo, s5
	s_and_saveexec_b32 s3, s17
	s_delay_alu instid0(SALU_CYCLE_1)
	s_xor_b32 s3, exec_lo, s3
; %bb.580:
	v_cndmask_b32_e64 v8, v4, v2, s13
	v_cndmask_b32_e64 v9, v5, v3, s13
	;; [unrolled: 1-line block ×4, first 2 shown]
	s_delay_alu instid0(VALU_DEP_3)
	v_dual_mov_b32 v4, v8 :: v_dual_mov_b32 v5, v9
; %bb.581:
	s_or_b32 exec_lo, exec_lo, s3
.LBB16_582:
	s_delay_alu instid0(SALU_CYCLE_1) | instskip(SKIP_4) | instid1(VALU_DEP_2)
	s_or_b32 exec_lo, exec_lo, s12
	v_mbcnt_lo_u32_b32 v8, -1, 0
	v_and_b32_e32 v9, 0xffffff80, v18
	s_mov_b32 s6, 0
	s_mov_b32 s7, exec_lo
	v_lshlrev_b32_e32 v20, 2, v8
	s_delay_alu instid0(VALU_DEP_2) | instskip(SKIP_1) | instid1(VALU_DEP_3)
	v_sub_nc_u32_e64 v19, s18, v9 clamp
	v_lshlrev_b32_e32 v18, 3, v9
	v_or_b32_e32 v10, 4, v20
	v_and_b32_e32 v11, 4, v20
	v_and_b32_e32 v28, 0x78, v20
	s_delay_alu instid0(VALU_DEP_4)
	v_lshl_or_b32 v21, v8, 5, v18
	ds_store_b128 v21, v[0:3]
	ds_store_b128 v21, v[4:7] offset:16
	v_min_u32_e32 v22, v19, v10
	v_min_u32_e32 v29, v19, v11
	v_lshl_or_b32 v25, v28, 3, v18
	; wave barrier
	s_delay_alu instid0(VALU_DEP_3) | instskip(SKIP_1) | instid1(VALU_DEP_2)
	v_add_nc_u32_e32 v10, 4, v22
	v_sub_nc_u32_e32 v11, v22, v28
	v_min_u32_e32 v23, v19, v10
	s_delay_alu instid0(VALU_DEP_2) | instskip(NEXT) | instid1(VALU_DEP_2)
	v_min_u32_e32 v30, v29, v11
	v_sub_nc_u32_e32 v10, v23, v22
	s_delay_alu instid0(VALU_DEP_1) | instskip(NEXT) | instid1(VALU_DEP_1)
	v_sub_nc_u32_e64 v24, v29, v10 clamp
	v_cmpx_lt_u32_e64 v24, v30
	s_cbranch_execz .LBB16_593
; %bb.583:
	v_lshlrev_b32_e32 v8, 3, v22
	v_lshlrev_b32_e32 v9, 3, v29
	s_delay_alu instid0(VALU_DEP_1)
	v_add3_u32 v31, v18, v8, v9
	s_branch .LBB16_586
.LBB16_584:                             ;   in Loop: Header=BB16_586 Depth=1
	s_or_b32 exec_lo, exec_lo, s12
.LBB16_585:                             ;   in Loop: Header=BB16_586 Depth=1
	s_delay_alu instid0(VALU_DEP_1) | instskip(SKIP_1) | instid1(VALU_DEP_2)
	v_add_nc_u32_e32 v8, 1, v32
	v_cndmask_b32_e64 v30, v30, v32, s13
	v_cndmask_b32_e64 v24, v8, v24, s13
	s_delay_alu instid0(VALU_DEP_1) | instskip(SKIP_1) | instid1(SALU_CYCLE_1)
	v_cmp_ge_u32_e32 vcc_lo, v24, v30
	s_or_b32 s6, vcc_lo, s6
	s_and_not1_b32 exec_lo, exec_lo, s6
	s_cbranch_execz .LBB16_592
.LBB16_586:                             ; =>This Loop Header: Depth=1
                                        ;     Child Loop BB16_589 Depth 2
	v_add_nc_u32_e32 v8, v30, v24
	s_and_not1_b32 vcc_lo, exec_lo, s16
	s_delay_alu instid0(VALU_DEP_1)
	v_lshrrev_b32_e32 v32, 1, v8
	s_cbranch_vccnz .LBB16_591
; %bb.587:                              ;   in Loop: Header=BB16_586 Depth=1
	s_delay_alu instid0(VALU_DEP_1) | instskip(SKIP_3) | instid1(VALU_DEP_2)
	v_not_b32_e32 v8, v32
	v_lshl_add_u32 v9, v32, 3, v25
	s_mov_b32 s12, 0
	s_mov_b64 s[4:5], s[8:9]
                                        ; implicit-def: $sgpr13
                                        ; implicit-def: $sgpr17
                                        ; implicit-def: $sgpr20
                                        ; implicit-def: $sgpr21
                                        ; implicit-def: $sgpr22
	v_lshl_add_u32 v8, v8, 3, v31
	ds_load_b64 v[10:11], v8
	ds_load_b64 v[33:34], v9
	s_waitcnt lgkmcnt(1)
	v_mul_lo_u32 v35, v10, s9
	v_mul_lo_u32 v36, v11, s8
	v_mad_u64_u32 v[8:9], null, v10, s8, s[10:11]
	s_waitcnt lgkmcnt(0)
	v_mul_lo_u32 v37, v33, s9
	v_mul_lo_u32 v34, v34, s8
	v_mad_u64_u32 v[10:11], null, v33, s8, s[10:11]
	s_delay_alu instid0(VALU_DEP_4) | instskip(NEXT) | instid1(VALU_DEP_2)
	v_add3_u32 v9, v36, v9, v35
	v_add3_u32 v11, v34, v11, v37
	s_branch .LBB16_589
.LBB16_588:                             ;   in Loop: Header=BB16_589 Depth=2
	s_or_b32 exec_lo, exec_lo, s3
	s_delay_alu instid0(SALU_CYCLE_1) | instskip(NEXT) | instid1(SALU_CYCLE_1)
	s_and_b32 s3, exec_lo, s17
	s_or_b32 s12, s3, s12
	s_and_not1_b32 s3, s22, exec_lo
	s_and_b32 s22, s20, exec_lo
	s_and_not1_b32 s13, s13, exec_lo
	s_and_b32 s23, s21, exec_lo
	s_or_b32 s22, s3, s22
	s_or_b32 s13, s13, s23
	s_and_not1_b32 exec_lo, exec_lo, s12
	s_cbranch_execz .LBB16_584
.LBB16_589:                             ;   Parent Loop BB16_586 Depth=1
                                        ; =>  This Inner Loop Header: Depth=2
	global_load_u8 v33, v[8:9], off
	global_load_u8 v34, v[10:11], off
	s_and_not1_b32 s21, s21, exec_lo
	s_and_not1_b32 s20, s20, exec_lo
	s_or_b32 s17, s17, exec_lo
	s_waitcnt vmcnt(1)
	v_and_b32_e32 v33, 0xff, v33
	s_waitcnt vmcnt(0)
	v_and_b32_e32 v34, 0xff, v34
	s_delay_alu instid0(VALU_DEP_1)
	v_cmp_le_u16_e32 vcc_lo, v33, v34
	v_cmp_lt_u16_e64 s3, v33, v34
	s_and_b32 s23, vcc_lo, s22
	s_delay_alu instid0(VALU_DEP_1) | instid1(SALU_CYCLE_1)
	s_or_b32 s23, s3, s23
	s_delay_alu instid0(SALU_CYCLE_1) | instskip(NEXT) | instid1(SALU_CYCLE_1)
	s_and_b32 s3, s23, exec_lo
	s_or_b32 s21, s21, s3
	s_mov_b32 s3, exec_lo
	v_cmpx_eq_u16_e64 v33, v34
	s_cbranch_execz .LBB16_588
; %bb.590:                              ;   in Loop: Header=BB16_589 Depth=2
	s_add_u32 s4, s4, -1
	s_addc_u32 s5, s5, -1
	v_add_co_u32 v8, vcc_lo, v8, 1
	s_cmp_eq_u64 s[4:5], 0
	v_add_co_ci_u32_e32 v9, vcc_lo, 0, v9, vcc_lo
	s_cselect_b32 s22, -1, 0
	v_add_co_u32 v10, vcc_lo, v10, 1
	s_and_not1_b32 s20, s20, exec_lo
	s_and_b32 s23, s23, exec_lo
	s_and_not1_b32 s17, s17, exec_lo
	s_and_b32 s22, s22, exec_lo
	v_add_co_ci_u32_e32 v11, vcc_lo, 0, v11, vcc_lo
	s_and_not1_b32 s21, s21, exec_lo
	s_or_b32 s20, s20, s23
	s_or_b32 s17, s17, s22
                                        ; implicit-def: $sgpr22
	s_branch .LBB16_588
.LBB16_591:                             ;   in Loop: Header=BB16_586 Depth=1
	s_mov_b32 s13, 0
	s_branch .LBB16_585
.LBB16_592:
	s_or_b32 exec_lo, exec_lo, s6
.LBB16_593:
	s_delay_alu instid0(SALU_CYCLE_1) | instskip(SKIP_2) | instid1(VALU_DEP_2)
	s_or_b32 exec_lo, exec_lo, s7
	v_add_nc_u32_e32 v9, v22, v29
	v_add_nc_u32_e32 v8, v24, v28
	v_sub_nc_u32_e32 v9, v9, v24
	s_delay_alu instid0(VALU_DEP_2) | instskip(NEXT) | instid1(VALU_DEP_2)
	v_cmp_le_u32_e32 vcc_lo, v8, v22
	v_cmp_le_u32_e64 s3, v9, v23
	s_delay_alu instid0(VALU_DEP_1) | instskip(NEXT) | instid1(SALU_CYCLE_1)
	s_or_b32 s3, vcc_lo, s3
	s_and_saveexec_b32 s6, s3
	s_cbranch_execz .LBB16_640
; %bb.594:
	v_cmp_ge_u32_e32 vcc_lo, v8, v22
	s_mov_b32 s4, exec_lo
                                        ; implicit-def: $vgpr0_vgpr1
	v_cmpx_lt_u32_e64 v8, v22
	s_cbranch_execz .LBB16_596
; %bb.595:
	v_lshl_add_u32 v0, v24, 3, v25
	ds_load_b64 v[0:1], v0
.LBB16_596:
	s_or_b32 exec_lo, exec_lo, s4
	v_cmp_ge_u32_e64 s7, v9, v23
	s_mov_b32 s4, exec_lo
                                        ; implicit-def: $vgpr2_vgpr3
	v_cmpx_lt_u32_e64 v9, v23
	s_cbranch_execz .LBB16_598
; %bb.597:
	v_lshl_add_u32 v2, v9, 3, v18
	ds_load_b64 v[2:3], v2
.LBB16_598:
	s_or_b32 exec_lo, exec_lo, s4
	s_or_b32 s3, vcc_lo, s7
	s_mov_b32 s12, -1
	s_xor_b32 s3, s3, -1
	s_delay_alu instid0(SALU_CYCLE_1)
	s_and_saveexec_b32 s13, s3
	s_cbranch_execz .LBB16_607
; %bb.599:
	s_and_not1_b32 vcc_lo, exec_lo, s16
	s_cbranch_vccnz .LBB16_605
; %bb.600:
	s_waitcnt lgkmcnt(0)
	v_mad_u64_u32 v[4:5], null, v2, s8, s[10:11]
	v_mul_lo_u32 v10, v2, s9
	v_mul_lo_u32 v11, v3, s8
	v_mad_u64_u32 v[6:7], null, v0, s8, s[10:11]
	v_mul_lo_u32 v24, v0, s9
	v_mul_lo_u32 v25, v1, s8
	s_mov_b32 s17, 0
	s_mov_b64 s[4:5], s[8:9]
                                        ; implicit-def: $sgpr20
                                        ; implicit-def: $sgpr21
                                        ; implicit-def: $sgpr22
                                        ; implicit-def: $sgpr23
                                        ; implicit-def: $sgpr24
	s_delay_alu instid0(VALU_DEP_4) | instskip(NEXT) | instid1(VALU_DEP_2)
	v_add3_u32 v5, v11, v5, v10
	v_add3_u32 v7, v25, v7, v24
	s_branch .LBB16_602
.LBB16_601:                             ;   in Loop: Header=BB16_602 Depth=1
	s_or_b32 exec_lo, exec_lo, s3
	s_delay_alu instid0(SALU_CYCLE_1) | instskip(NEXT) | instid1(SALU_CYCLE_1)
	s_and_b32 s3, exec_lo, s21
	s_or_b32 s17, s3, s17
	s_and_not1_b32 s3, s24, exec_lo
	s_and_b32 s24, s23, exec_lo
	s_and_not1_b32 s20, s20, exec_lo
	s_and_b32 s25, s22, exec_lo
	s_or_b32 s24, s3, s24
	s_or_b32 s20, s20, s25
	s_and_not1_b32 exec_lo, exec_lo, s17
	s_cbranch_execz .LBB16_604
.LBB16_602:                             ; =>This Inner Loop Header: Depth=1
	global_load_u8 v10, v[4:5], off
	global_load_u8 v11, v[6:7], off
	s_and_not1_b32 s22, s22, exec_lo
	s_and_not1_b32 s23, s23, exec_lo
	s_or_b32 s21, s21, exec_lo
	s_waitcnt vmcnt(1)
	v_and_b32_e32 v10, 0xff, v10
	s_waitcnt vmcnt(0)
	v_and_b32_e32 v11, 0xff, v11
	s_delay_alu instid0(VALU_DEP_1)
	v_cmp_le_u16_e32 vcc_lo, v10, v11
	v_cmp_lt_u16_e64 s3, v10, v11
	s_and_b32 s25, vcc_lo, s24
	s_delay_alu instid0(VALU_DEP_1) | instid1(SALU_CYCLE_1)
	s_or_b32 s25, s3, s25
	s_delay_alu instid0(SALU_CYCLE_1) | instskip(NEXT) | instid1(SALU_CYCLE_1)
	s_and_b32 s3, s25, exec_lo
	s_or_b32 s22, s22, s3
	s_mov_b32 s3, exec_lo
	v_cmpx_eq_u16_e64 v10, v11
	s_cbranch_execz .LBB16_601
; %bb.603:                              ;   in Loop: Header=BB16_602 Depth=1
	s_add_u32 s4, s4, -1
	s_addc_u32 s5, s5, -1
	v_add_co_u32 v4, vcc_lo, v4, 1
	s_cmp_eq_u64 s[4:5], 0
	v_add_co_ci_u32_e32 v5, vcc_lo, 0, v5, vcc_lo
	s_cselect_b32 s24, -1, 0
	s_and_not1_b32 s23, s23, exec_lo
	s_and_b32 s25, s25, exec_lo
	v_add_co_u32 v6, vcc_lo, v6, 1
	s_and_not1_b32 s21, s21, exec_lo
	s_and_b32 s24, s24, exec_lo
	v_add_co_ci_u32_e32 v7, vcc_lo, 0, v7, vcc_lo
	s_or_b32 s23, s23, s25
	s_and_not1_b32 s22, s22, exec_lo
	s_or_b32 s21, s21, s24
                                        ; implicit-def: $sgpr24
	s_branch .LBB16_601
.LBB16_604:
	s_or_b32 exec_lo, exec_lo, s17
	s_xor_b32 s3, s20, -1
	s_branch .LBB16_606
.LBB16_605:
	s_mov_b32 s3, -1
.LBB16_606:
	s_and_not1_b32 s4, s7, exec_lo
	s_and_b32 s3, s3, exec_lo
	s_delay_alu instid0(SALU_CYCLE_1)
	s_or_b32 s7, s4, s3
.LBB16_607:
	s_or_b32 exec_lo, exec_lo, s13
	v_cndmask_b32_e64 v4, v9, v8, s7
	v_cndmask_b32_e64 v5, v23, v22, s7
	s_mov_b32 s13, exec_lo
	s_delay_alu instid0(VALU_DEP_2) | instskip(NEXT) | instid1(VALU_DEP_2)
	v_add_nc_u32_e32 v6, 1, v4
	v_add_nc_u32_e32 v4, -1, v5
	s_delay_alu instid0(VALU_DEP_2) | instskip(NEXT) | instid1(VALU_DEP_2)
	v_cndmask_b32_e64 v9, v6, v9, s7
	v_min_u32_e32 v4, v6, v4
	v_cndmask_b32_e64 v8, v8, v6, s7
	s_delay_alu instid0(VALU_DEP_2)
	v_lshl_add_u32 v4, v4, 3, v18
	ds_load_b64 v[4:5], v4
	s_waitcnt lgkmcnt(0)
	v_cndmask_b32_e64 v24, v5, v3, s7
	v_cndmask_b32_e64 v25, v4, v2, s7
	;; [unrolled: 1-line block ×4, first 2 shown]
	v_cmpx_lt_u32_e64 v9, v23
	s_cbranch_execz .LBB16_618
; %bb.608:
	s_mov_b32 s3, 0
	s_mov_b32 s12, exec_lo
	v_cmpx_lt_u32_e64 v8, v22
	s_cbranch_execz .LBB16_617
; %bb.609:
	s_and_not1_b32 vcc_lo, exec_lo, s16
	s_cbranch_vccnz .LBB16_615
; %bb.610:
	v_mad_u64_u32 v[4:5], null, v25, s8, s[10:11]
	v_mul_lo_u32 v10, v25, s9
	v_mul_lo_u32 v11, v24, s8
	v_mad_u64_u32 v[6:7], null, v29, s8, s[10:11]
	v_mul_lo_u32 v30, v29, s9
	v_mul_lo_u32 v31, v28, s8
	s_mov_b32 s17, 0
	s_mov_b64 s[4:5], s[8:9]
                                        ; implicit-def: $sgpr20
                                        ; implicit-def: $sgpr21
                                        ; implicit-def: $sgpr22
                                        ; implicit-def: $sgpr23
                                        ; implicit-def: $sgpr24
	s_delay_alu instid0(VALU_DEP_4) | instskip(NEXT) | instid1(VALU_DEP_2)
	v_add3_u32 v5, v11, v5, v10
	v_add3_u32 v7, v31, v7, v30
	s_branch .LBB16_612
.LBB16_611:                             ;   in Loop: Header=BB16_612 Depth=1
	s_or_b32 exec_lo, exec_lo, s3
	s_delay_alu instid0(SALU_CYCLE_1) | instskip(NEXT) | instid1(SALU_CYCLE_1)
	s_and_b32 s3, exec_lo, s21
	s_or_b32 s17, s3, s17
	s_and_not1_b32 s3, s24, exec_lo
	s_and_b32 s24, s23, exec_lo
	s_and_not1_b32 s20, s20, exec_lo
	s_and_b32 s25, s22, exec_lo
	s_or_b32 s24, s3, s24
	s_or_b32 s20, s20, s25
	s_and_not1_b32 exec_lo, exec_lo, s17
	s_cbranch_execz .LBB16_614
.LBB16_612:                             ; =>This Inner Loop Header: Depth=1
	global_load_u8 v10, v[4:5], off
	global_load_u8 v11, v[6:7], off
	s_and_not1_b32 s22, s22, exec_lo
	s_and_not1_b32 s23, s23, exec_lo
	s_or_b32 s21, s21, exec_lo
	s_waitcnt vmcnt(1)
	v_and_b32_e32 v10, 0xff, v10
	s_waitcnt vmcnt(0)
	v_and_b32_e32 v11, 0xff, v11
	s_delay_alu instid0(VALU_DEP_1)
	v_cmp_le_u16_e32 vcc_lo, v10, v11
	v_cmp_lt_u16_e64 s3, v10, v11
	s_and_b32 s25, vcc_lo, s24
	s_delay_alu instid0(VALU_DEP_1) | instid1(SALU_CYCLE_1)
	s_or_b32 s25, s3, s25
	s_delay_alu instid0(SALU_CYCLE_1) | instskip(NEXT) | instid1(SALU_CYCLE_1)
	s_and_b32 s3, s25, exec_lo
	s_or_b32 s22, s22, s3
	s_mov_b32 s3, exec_lo
	v_cmpx_eq_u16_e64 v10, v11
	s_cbranch_execz .LBB16_611
; %bb.613:                              ;   in Loop: Header=BB16_612 Depth=1
	s_add_u32 s4, s4, -1
	s_addc_u32 s5, s5, -1
	v_add_co_u32 v4, vcc_lo, v4, 1
	s_cmp_eq_u64 s[4:5], 0
	v_add_co_ci_u32_e32 v5, vcc_lo, 0, v5, vcc_lo
	v_add_co_u32 v6, vcc_lo, v6, 1
	s_cselect_b32 s24, -1, 0
	v_add_co_ci_u32_e32 v7, vcc_lo, 0, v7, vcc_lo
	s_and_not1_b32 s23, s23, exec_lo
	s_and_b32 s25, s25, exec_lo
	s_and_not1_b32 s21, s21, exec_lo
	s_and_b32 s24, s24, exec_lo
	s_or_b32 s23, s23, s25
	s_and_not1_b32 s22, s22, exec_lo
	s_or_b32 s21, s21, s24
                                        ; implicit-def: $sgpr24
	s_branch .LBB16_611
.LBB16_614:
	s_or_b32 exec_lo, exec_lo, s17
	s_xor_b32 s3, s20, -1
	s_branch .LBB16_616
.LBB16_615:
	s_mov_b32 s3, -1
.LBB16_616:
	s_delay_alu instid0(SALU_CYCLE_1)
	s_and_b32 s3, s3, exec_lo
.LBB16_617:
	s_or_b32 exec_lo, exec_lo, s12
	s_delay_alu instid0(SALU_CYCLE_1)
	s_or_not1_b32 s12, s3, exec_lo
.LBB16_618:
	s_or_b32 exec_lo, exec_lo, s13
	v_cndmask_b32_e64 v4, v9, v8, s12
	v_cndmask_b32_e64 v5, v23, v22, s12
	s_mov_b32 s13, -1
	s_mov_b32 s17, exec_lo
	s_delay_alu instid0(VALU_DEP_2) | instskip(NEXT) | instid1(VALU_DEP_2)
	v_add_nc_u32_e32 v6, 1, v4
	v_add_nc_u32_e32 v4, -1, v5
	s_delay_alu instid0(VALU_DEP_2) | instskip(NEXT) | instid1(VALU_DEP_2)
	v_cndmask_b32_e64 v9, v6, v9, s12
	v_min_u32_e32 v4, v6, v4
	v_cndmask_b32_e64 v8, v8, v6, s12
	s_delay_alu instid0(VALU_DEP_2)
	v_lshl_add_u32 v4, v4, 3, v18
	ds_load_b64 v[4:5], v4
	s_waitcnt lgkmcnt(0)
	v_cndmask_b32_e64 v30, v5, v24, s12
	v_cndmask_b32_e64 v31, v4, v25, s12
	;; [unrolled: 1-line block ×4, first 2 shown]
	v_cmpx_lt_u32_e64 v9, v23
	s_cbranch_execz .LBB16_629
; %bb.619:
	s_mov_b32 s3, 0
	s_mov_b32 s13, exec_lo
	v_cmpx_lt_u32_e64 v8, v22
	s_cbranch_execz .LBB16_628
; %bb.620:
	s_and_not1_b32 vcc_lo, exec_lo, s16
	s_cbranch_vccnz .LBB16_626
; %bb.621:
	v_mad_u64_u32 v[4:5], null, v31, s8, s[10:11]
	v_mul_lo_u32 v10, v31, s9
	v_mul_lo_u32 v11, v30, s8
	v_mad_u64_u32 v[6:7], null, v33, s8, s[10:11]
	v_mul_lo_u32 v34, v33, s9
	v_mul_lo_u32 v35, v32, s8
	s_mov_b32 s20, 0
	s_mov_b64 s[4:5], s[8:9]
                                        ; implicit-def: $sgpr21
                                        ; implicit-def: $sgpr22
                                        ; implicit-def: $sgpr23
                                        ; implicit-def: $sgpr24
                                        ; implicit-def: $sgpr25
	s_delay_alu instid0(VALU_DEP_4) | instskip(NEXT) | instid1(VALU_DEP_2)
	v_add3_u32 v5, v11, v5, v10
	v_add3_u32 v7, v35, v7, v34
	s_branch .LBB16_623
.LBB16_622:                             ;   in Loop: Header=BB16_623 Depth=1
	s_or_b32 exec_lo, exec_lo, s3
	s_delay_alu instid0(SALU_CYCLE_1) | instskip(NEXT) | instid1(SALU_CYCLE_1)
	s_and_b32 s3, exec_lo, s22
	s_or_b32 s20, s3, s20
	s_and_not1_b32 s3, s25, exec_lo
	s_and_b32 s25, s24, exec_lo
	s_and_not1_b32 s21, s21, exec_lo
	s_and_b32 s26, s23, exec_lo
	s_or_b32 s25, s3, s25
	s_or_b32 s21, s21, s26
	s_and_not1_b32 exec_lo, exec_lo, s20
	s_cbranch_execz .LBB16_625
.LBB16_623:                             ; =>This Inner Loop Header: Depth=1
	global_load_u8 v10, v[4:5], off
	global_load_u8 v11, v[6:7], off
	s_and_not1_b32 s23, s23, exec_lo
	s_and_not1_b32 s24, s24, exec_lo
	s_or_b32 s22, s22, exec_lo
	s_waitcnt vmcnt(1)
	v_and_b32_e32 v10, 0xff, v10
	s_waitcnt vmcnt(0)
	v_and_b32_e32 v11, 0xff, v11
	s_delay_alu instid0(VALU_DEP_1)
	v_cmp_le_u16_e32 vcc_lo, v10, v11
	v_cmp_lt_u16_e64 s3, v10, v11
	s_and_b32 s26, vcc_lo, s25
	s_delay_alu instid0(VALU_DEP_1) | instid1(SALU_CYCLE_1)
	s_or_b32 s26, s3, s26
	s_delay_alu instid0(SALU_CYCLE_1) | instskip(NEXT) | instid1(SALU_CYCLE_1)
	s_and_b32 s3, s26, exec_lo
	s_or_b32 s23, s23, s3
	s_mov_b32 s3, exec_lo
	v_cmpx_eq_u16_e64 v10, v11
	s_cbranch_execz .LBB16_622
; %bb.624:                              ;   in Loop: Header=BB16_623 Depth=1
	s_add_u32 s4, s4, -1
	s_addc_u32 s5, s5, -1
	v_add_co_u32 v4, vcc_lo, v4, 1
	s_cmp_eq_u64 s[4:5], 0
	v_add_co_ci_u32_e32 v5, vcc_lo, 0, v5, vcc_lo
	v_add_co_u32 v6, vcc_lo, v6, 1
	s_cselect_b32 s25, -1, 0
	v_add_co_ci_u32_e32 v7, vcc_lo, 0, v7, vcc_lo
	s_and_not1_b32 s24, s24, exec_lo
	s_and_b32 s26, s26, exec_lo
	s_and_not1_b32 s22, s22, exec_lo
	s_and_b32 s25, s25, exec_lo
	s_or_b32 s24, s24, s26
	s_and_not1_b32 s23, s23, exec_lo
	s_or_b32 s22, s22, s25
                                        ; implicit-def: $sgpr25
	s_branch .LBB16_622
.LBB16_625:
	s_or_b32 exec_lo, exec_lo, s20
	s_xor_b32 s3, s21, -1
	s_branch .LBB16_627
.LBB16_626:
	s_mov_b32 s3, -1
.LBB16_627:
	s_delay_alu instid0(SALU_CYCLE_1)
	s_and_b32 s3, s3, exec_lo
.LBB16_628:
	s_or_b32 exec_lo, exec_lo, s13
	s_delay_alu instid0(SALU_CYCLE_1)
	s_or_not1_b32 s13, s3, exec_lo
.LBB16_629:
	s_or_b32 exec_lo, exec_lo, s17
	v_cndmask_b32_e64 v4, v9, v8, s13
	v_cndmask_b32_e64 v5, v23, v22, s13
	s_mov_b32 s17, exec_lo
	s_delay_alu instid0(VALU_DEP_2) | instskip(NEXT) | instid1(VALU_DEP_2)
	v_add_nc_u32_e32 v10, 1, v4
	v_add_nc_u32_e32 v4, -1, v5
	s_delay_alu instid0(VALU_DEP_2) | instskip(NEXT) | instid1(VALU_DEP_2)
	v_cndmask_b32_e64 v9, v10, v9, s13
	v_min_u32_e32 v4, v10, v4
	s_delay_alu instid0(VALU_DEP_1)
	v_lshl_add_u32 v4, v4, 3, v18
	ds_load_b64 v[4:5], v4
	s_waitcnt lgkmcnt(0)
	v_cndmask_b32_e64 v7, v32, v5, s13
	v_cndmask_b32_e64 v6, v33, v4, s13
	v_cmpx_lt_u32_e64 v9, v23
	s_cbranch_execz .LBB16_639
; %bb.630:
	v_cndmask_b32_e64 v8, v8, v10, s13
	v_cndmask_b32_e64 v5, v5, v30, s13
	;; [unrolled: 1-line block ×3, first 2 shown]
	s_mov_b32 s20, exec_lo
	s_delay_alu instid0(VALU_DEP_3)
	v_cmpx_lt_u32_e64 v8, v22
	s_cbranch_execz .LBB16_638
; %bb.631:
	s_and_not1_b32 vcc_lo, exec_lo, s16
	s_cbranch_vccnz .LBB16_637
; %bb.632:
	v_mad_u64_u32 v[8:9], null, v4, s8, s[10:11]
	v_mul_lo_u32 v22, v4, s9
	v_mul_lo_u32 v23, v5, s8
	v_mad_u64_u32 v[10:11], null, v6, s8, s[10:11]
	v_mul_lo_u32 v34, v6, s9
	v_mul_lo_u32 v35, v7, s8
	s_mov_b32 s21, 0
	s_mov_b64 s[4:5], s[8:9]
                                        ; implicit-def: $sgpr22
                                        ; implicit-def: $sgpr23
                                        ; implicit-def: $sgpr24
                                        ; implicit-def: $sgpr25
                                        ; implicit-def: $sgpr26
	s_delay_alu instid0(VALU_DEP_4) | instskip(NEXT) | instid1(VALU_DEP_2)
	v_add3_u32 v9, v23, v9, v22
	v_add3_u32 v11, v35, v11, v34
	s_branch .LBB16_634
.LBB16_633:                             ;   in Loop: Header=BB16_634 Depth=1
	s_or_b32 exec_lo, exec_lo, s3
	s_delay_alu instid0(SALU_CYCLE_1) | instskip(NEXT) | instid1(SALU_CYCLE_1)
	s_and_b32 s3, exec_lo, s23
	s_or_b32 s21, s3, s21
	s_and_not1_b32 s3, s26, exec_lo
	s_and_b32 s26, s25, exec_lo
	s_and_not1_b32 s22, s22, exec_lo
	s_and_b32 s27, s24, exec_lo
	s_or_b32 s26, s3, s26
	s_or_b32 s22, s22, s27
	s_and_not1_b32 exec_lo, exec_lo, s21
	s_cbranch_execz .LBB16_636
.LBB16_634:                             ; =>This Inner Loop Header: Depth=1
	global_load_u8 v22, v[8:9], off
	global_load_u8 v23, v[10:11], off
	s_and_not1_b32 s24, s24, exec_lo
	s_and_not1_b32 s25, s25, exec_lo
	s_or_b32 s23, s23, exec_lo
	s_waitcnt vmcnt(1)
	v_and_b32_e32 v22, 0xff, v22
	s_waitcnt vmcnt(0)
	v_and_b32_e32 v23, 0xff, v23
	s_delay_alu instid0(VALU_DEP_1)
	v_cmp_le_u16_e32 vcc_lo, v22, v23
	v_cmp_lt_u16_e64 s3, v22, v23
	s_and_b32 s27, vcc_lo, s26
	s_delay_alu instid0(VALU_DEP_1) | instid1(SALU_CYCLE_1)
	s_or_b32 s27, s3, s27
	s_delay_alu instid0(SALU_CYCLE_1) | instskip(NEXT) | instid1(SALU_CYCLE_1)
	s_and_b32 s3, s27, exec_lo
	s_or_b32 s24, s24, s3
	s_mov_b32 s3, exec_lo
	v_cmpx_eq_u16_e64 v22, v23
	s_cbranch_execz .LBB16_633
; %bb.635:                              ;   in Loop: Header=BB16_634 Depth=1
	s_add_u32 s4, s4, -1
	s_addc_u32 s5, s5, -1
	v_add_co_u32 v8, vcc_lo, v8, 1
	s_cmp_eq_u64 s[4:5], 0
	v_add_co_ci_u32_e32 v9, vcc_lo, 0, v9, vcc_lo
	v_add_co_u32 v10, vcc_lo, v10, 1
	s_cselect_b32 s26, -1, 0
	v_add_co_ci_u32_e32 v11, vcc_lo, 0, v11, vcc_lo
	s_and_not1_b32 s25, s25, exec_lo
	s_and_b32 s27, s27, exec_lo
	s_and_not1_b32 s23, s23, exec_lo
	s_and_b32 s26, s26, exec_lo
	s_or_b32 s25, s25, s27
	s_and_not1_b32 s24, s24, exec_lo
	s_or_b32 s23, s23, s26
                                        ; implicit-def: $sgpr26
	s_branch .LBB16_633
.LBB16_636:
	s_or_b32 exec_lo, exec_lo, s21
	v_cndmask_b32_e64 v7, v7, v5, s22
	v_cndmask_b32_e64 v6, v6, v4, s22
.LBB16_637:
	s_delay_alu instid0(VALU_DEP_1)
	v_dual_mov_b32 v4, v6 :: v_dual_mov_b32 v5, v7
.LBB16_638:
	s_or_b32 exec_lo, exec_lo, s20
	s_delay_alu instid0(VALU_DEP_1)
	v_dual_mov_b32 v7, v5 :: v_dual_mov_b32 v6, v4
.LBB16_639:
	s_or_b32 exec_lo, exec_lo, s17
	v_cndmask_b32_e64 v1, v3, v1, s7
	v_cndmask_b32_e64 v0, v2, v0, s7
	;; [unrolled: 1-line block ×6, first 2 shown]
.LBB16_640:
	s_or_b32 exec_lo, exec_lo, s6
	v_and_b32_e32 v28, 0x70, v20
	v_and_b32_e32 v9, 12, v20
	s_mov_b32 s6, exec_lo
	; wave barrier
	s_delay_alu instid0(VALU_DEP_2) | instskip(NEXT) | instid1(VALU_DEP_2)
	v_or_b32_e32 v8, 8, v28
	v_min_u32_e32 v29, v19, v9
	v_lshl_add_u32 v25, v28, 3, v18
	ds_store_b128 v21, v[0:3]
	ds_store_b128 v21, v[4:7] offset:16
	v_min_u32_e32 v22, v19, v8
	; wave barrier
	s_delay_alu instid0(VALU_DEP_1) | instskip(SKIP_1) | instid1(VALU_DEP_2)
	v_add_nc_u32_e32 v8, 8, v22
	v_sub_nc_u32_e32 v9, v22, v28
	v_min_u32_e32 v23, v19, v8
	s_delay_alu instid0(VALU_DEP_2) | instskip(NEXT) | instid1(VALU_DEP_2)
	v_min_u32_e32 v30, v29, v9
	v_sub_nc_u32_e32 v8, v23, v22
	s_delay_alu instid0(VALU_DEP_1) | instskip(NEXT) | instid1(VALU_DEP_1)
	v_sub_nc_u32_e64 v24, v29, v8 clamp
	v_cmpx_lt_u32_e64 v24, v30
	s_cbranch_execz .LBB16_650
; %bb.641:
	v_lshlrev_b32_e32 v8, 3, v22
	v_lshlrev_b32_e32 v9, 3, v29
	s_mov_b32 s7, 0
	s_delay_alu instid0(VALU_DEP_1)
	v_add3_u32 v31, v18, v8, v9
	s_branch .LBB16_644
.LBB16_642:                             ;   in Loop: Header=BB16_644 Depth=1
	s_or_b32 exec_lo, exec_lo, s12
.LBB16_643:                             ;   in Loop: Header=BB16_644 Depth=1
	s_delay_alu instid0(VALU_DEP_1) | instskip(SKIP_1) | instid1(VALU_DEP_2)
	v_add_nc_u32_e32 v8, 1, v32
	v_cndmask_b32_e64 v30, v30, v32, s13
	v_cndmask_b32_e64 v24, v8, v24, s13
	s_delay_alu instid0(VALU_DEP_1) | instskip(SKIP_1) | instid1(SALU_CYCLE_1)
	v_cmp_ge_u32_e32 vcc_lo, v24, v30
	s_or_b32 s7, vcc_lo, s7
	s_and_not1_b32 exec_lo, exec_lo, s7
	s_cbranch_execz .LBB16_649
.LBB16_644:                             ; =>This Loop Header: Depth=1
                                        ;     Child Loop BB16_647 Depth 2
	v_add_nc_u32_e32 v8, v30, v24
	s_and_not1_b32 vcc_lo, exec_lo, s16
	s_mov_b32 s13, 0
	s_delay_alu instid0(VALU_DEP_1)
	v_lshrrev_b32_e32 v32, 1, v8
	s_cbranch_vccnz .LBB16_643
; %bb.645:                              ;   in Loop: Header=BB16_644 Depth=1
	s_delay_alu instid0(VALU_DEP_1) | instskip(SKIP_3) | instid1(VALU_DEP_2)
	v_not_b32_e32 v8, v32
	v_lshl_add_u32 v9, v32, 3, v25
	s_mov_b32 s12, 0
	s_mov_b64 s[4:5], s[8:9]
                                        ; implicit-def: $sgpr13
                                        ; implicit-def: $sgpr17
                                        ; implicit-def: $sgpr20
                                        ; implicit-def: $sgpr21
                                        ; implicit-def: $sgpr22
	v_lshl_add_u32 v8, v8, 3, v31
	ds_load_b64 v[10:11], v8
	ds_load_b64 v[33:34], v9
	s_waitcnt lgkmcnt(1)
	v_mul_lo_u32 v35, v10, s9
	v_mul_lo_u32 v36, v11, s8
	v_mad_u64_u32 v[8:9], null, v10, s8, s[10:11]
	s_waitcnt lgkmcnt(0)
	v_mul_lo_u32 v37, v33, s9
	v_mul_lo_u32 v34, v34, s8
	v_mad_u64_u32 v[10:11], null, v33, s8, s[10:11]
	s_delay_alu instid0(VALU_DEP_4) | instskip(NEXT) | instid1(VALU_DEP_2)
	v_add3_u32 v9, v36, v9, v35
	v_add3_u32 v11, v34, v11, v37
	s_branch .LBB16_647
.LBB16_646:                             ;   in Loop: Header=BB16_647 Depth=2
	s_or_b32 exec_lo, exec_lo, s23
	s_delay_alu instid0(SALU_CYCLE_1) | instskip(NEXT) | instid1(SALU_CYCLE_1)
	s_and_b32 s3, exec_lo, s17
	s_or_b32 s12, s3, s12
	s_and_not1_b32 s3, s22, exec_lo
	s_and_b32 s22, s20, exec_lo
	s_and_not1_b32 s13, s13, exec_lo
	s_and_b32 s23, s21, exec_lo
	s_or_b32 s22, s3, s22
	s_or_b32 s13, s13, s23
	s_and_not1_b32 exec_lo, exec_lo, s12
	s_cbranch_execz .LBB16_642
.LBB16_647:                             ;   Parent Loop BB16_644 Depth=1
                                        ; =>  This Inner Loop Header: Depth=2
	global_load_u8 v33, v[8:9], off
	global_load_u8 v34, v[10:11], off
	s_and_not1_b32 s21, s21, exec_lo
	s_and_not1_b32 s20, s20, exec_lo
	s_or_b32 s17, s17, exec_lo
	s_waitcnt vmcnt(1)
	v_and_b32_e32 v33, 0xff, v33
	s_waitcnt vmcnt(0)
	v_and_b32_e32 v34, 0xff, v34
	s_delay_alu instid0(VALU_DEP_1)
	v_cmp_le_u16_e32 vcc_lo, v33, v34
	v_cmp_lt_u16_e64 s3, v33, v34
	s_and_b32 s23, vcc_lo, s22
	s_delay_alu instid0(VALU_DEP_1) | instid1(SALU_CYCLE_1)
	s_or_b32 s3, s3, s23
	s_delay_alu instid0(SALU_CYCLE_1) | instskip(NEXT) | instid1(SALU_CYCLE_1)
	s_and_b32 s23, s3, exec_lo
	s_or_b32 s21, s21, s23
	s_mov_b32 s23, exec_lo
	v_cmpx_eq_u16_e64 v33, v34
	s_cbranch_execz .LBB16_646
; %bb.648:                              ;   in Loop: Header=BB16_647 Depth=2
	s_add_u32 s4, s4, -1
	s_addc_u32 s5, s5, -1
	v_add_co_u32 v8, vcc_lo, v8, 1
	v_add_co_ci_u32_e32 v9, vcc_lo, 0, v9, vcc_lo
	s_cmp_eq_u64 s[4:5], 0
	v_add_co_u32 v10, vcc_lo, v10, 1
	s_cselect_b32 s22, -1, 0
	v_add_co_ci_u32_e32 v11, vcc_lo, 0, v11, vcc_lo
	s_and_not1_b32 s20, s20, exec_lo
	s_and_b32 s3, s3, exec_lo
	s_and_not1_b32 s17, s17, exec_lo
	s_and_b32 s22, s22, exec_lo
	s_and_not1_b32 s21, s21, exec_lo
	s_or_b32 s20, s20, s3
	s_or_b32 s17, s17, s22
                                        ; implicit-def: $sgpr22
	s_branch .LBB16_646
.LBB16_649:
	s_or_b32 exec_lo, exec_lo, s7
.LBB16_650:
	s_delay_alu instid0(SALU_CYCLE_1) | instskip(SKIP_2) | instid1(VALU_DEP_2)
	s_or_b32 exec_lo, exec_lo, s6
	v_add_nc_u32_e32 v9, v22, v29
	v_add_nc_u32_e32 v8, v24, v28
	v_sub_nc_u32_e32 v9, v9, v24
	s_delay_alu instid0(VALU_DEP_2) | instskip(NEXT) | instid1(VALU_DEP_2)
	v_cmp_le_u32_e32 vcc_lo, v8, v22
	v_cmp_le_u32_e64 s3, v9, v23
	s_delay_alu instid0(VALU_DEP_1) | instskip(NEXT) | instid1(SALU_CYCLE_1)
	s_or_b32 s3, vcc_lo, s3
	s_and_saveexec_b32 s6, s3
	s_cbranch_execz .LBB16_697
; %bb.651:
	v_cmp_ge_u32_e32 vcc_lo, v8, v22
	s_mov_b32 s4, exec_lo
                                        ; implicit-def: $vgpr0_vgpr1
	v_cmpx_lt_u32_e64 v8, v22
	s_cbranch_execz .LBB16_653
; %bb.652:
	v_lshl_add_u32 v0, v24, 3, v25
	ds_load_b64 v[0:1], v0
.LBB16_653:
	s_or_b32 exec_lo, exec_lo, s4
	v_cmp_ge_u32_e64 s7, v9, v23
	s_mov_b32 s4, exec_lo
                                        ; implicit-def: $vgpr2_vgpr3
	v_cmpx_lt_u32_e64 v9, v23
	s_cbranch_execz .LBB16_655
; %bb.654:
	v_lshl_add_u32 v2, v9, 3, v18
	ds_load_b64 v[2:3], v2
.LBB16_655:
	s_or_b32 exec_lo, exec_lo, s4
	s_or_b32 s3, vcc_lo, s7
	s_mov_b32 s12, -1
	s_xor_b32 s3, s3, -1
	s_delay_alu instid0(SALU_CYCLE_1)
	s_and_saveexec_b32 s13, s3
	s_cbranch_execz .LBB16_664
; %bb.656:
	s_and_not1_b32 vcc_lo, exec_lo, s16
	s_cbranch_vccnz .LBB16_662
; %bb.657:
	s_waitcnt lgkmcnt(0)
	v_mad_u64_u32 v[4:5], null, v2, s8, s[10:11]
	v_mul_lo_u32 v10, v2, s9
	v_mul_lo_u32 v11, v3, s8
	v_mad_u64_u32 v[6:7], null, v0, s8, s[10:11]
	v_mul_lo_u32 v24, v0, s9
	v_mul_lo_u32 v25, v1, s8
	s_mov_b32 s17, 0
	s_mov_b64 s[4:5], s[8:9]
                                        ; implicit-def: $sgpr20
                                        ; implicit-def: $sgpr21
                                        ; implicit-def: $sgpr22
                                        ; implicit-def: $sgpr23
                                        ; implicit-def: $sgpr24
	s_delay_alu instid0(VALU_DEP_4) | instskip(NEXT) | instid1(VALU_DEP_2)
	v_add3_u32 v5, v11, v5, v10
	v_add3_u32 v7, v25, v7, v24
	s_branch .LBB16_659
.LBB16_658:                             ;   in Loop: Header=BB16_659 Depth=1
	s_or_b32 exec_lo, exec_lo, s3
	s_delay_alu instid0(SALU_CYCLE_1) | instskip(NEXT) | instid1(SALU_CYCLE_1)
	s_and_b32 s3, exec_lo, s21
	s_or_b32 s17, s3, s17
	s_and_not1_b32 s3, s24, exec_lo
	s_and_b32 s24, s23, exec_lo
	s_and_not1_b32 s20, s20, exec_lo
	s_and_b32 s25, s22, exec_lo
	s_or_b32 s24, s3, s24
	s_or_b32 s20, s20, s25
	s_and_not1_b32 exec_lo, exec_lo, s17
	s_cbranch_execz .LBB16_661
.LBB16_659:                             ; =>This Inner Loop Header: Depth=1
	global_load_u8 v10, v[4:5], off
	global_load_u8 v11, v[6:7], off
	s_and_not1_b32 s22, s22, exec_lo
	s_and_not1_b32 s23, s23, exec_lo
	s_or_b32 s21, s21, exec_lo
	s_waitcnt vmcnt(1)
	v_and_b32_e32 v10, 0xff, v10
	s_waitcnt vmcnt(0)
	v_and_b32_e32 v11, 0xff, v11
	s_delay_alu instid0(VALU_DEP_1)
	v_cmp_le_u16_e32 vcc_lo, v10, v11
	v_cmp_lt_u16_e64 s3, v10, v11
	s_and_b32 s25, vcc_lo, s24
	s_delay_alu instid0(VALU_DEP_1) | instid1(SALU_CYCLE_1)
	s_or_b32 s25, s3, s25
	s_delay_alu instid0(SALU_CYCLE_1) | instskip(NEXT) | instid1(SALU_CYCLE_1)
	s_and_b32 s3, s25, exec_lo
	s_or_b32 s22, s22, s3
	s_mov_b32 s3, exec_lo
	v_cmpx_eq_u16_e64 v10, v11
	s_cbranch_execz .LBB16_658
; %bb.660:                              ;   in Loop: Header=BB16_659 Depth=1
	s_add_u32 s4, s4, -1
	s_addc_u32 s5, s5, -1
	v_add_co_u32 v4, vcc_lo, v4, 1
	s_cmp_eq_u64 s[4:5], 0
	v_add_co_ci_u32_e32 v5, vcc_lo, 0, v5, vcc_lo
	v_add_co_u32 v6, vcc_lo, v6, 1
	s_cselect_b32 s24, -1, 0
	v_add_co_ci_u32_e32 v7, vcc_lo, 0, v7, vcc_lo
	s_and_not1_b32 s23, s23, exec_lo
	s_and_b32 s25, s25, exec_lo
	s_and_not1_b32 s21, s21, exec_lo
	s_and_b32 s24, s24, exec_lo
	s_or_b32 s23, s23, s25
	s_and_not1_b32 s22, s22, exec_lo
	s_or_b32 s21, s21, s24
                                        ; implicit-def: $sgpr24
	s_branch .LBB16_658
.LBB16_661:
	s_or_b32 exec_lo, exec_lo, s17
	s_xor_b32 s3, s20, -1
	s_branch .LBB16_663
.LBB16_662:
	s_mov_b32 s3, -1
.LBB16_663:
	s_and_not1_b32 s4, s7, exec_lo
	s_and_b32 s3, s3, exec_lo
	s_delay_alu instid0(SALU_CYCLE_1)
	s_or_b32 s7, s4, s3
.LBB16_664:
	s_or_b32 exec_lo, exec_lo, s13
	v_cndmask_b32_e64 v4, v9, v8, s7
	v_cndmask_b32_e64 v5, v23, v22, s7
	s_mov_b32 s13, exec_lo
	s_delay_alu instid0(VALU_DEP_2) | instskip(NEXT) | instid1(VALU_DEP_2)
	v_add_nc_u32_e32 v6, 1, v4
	v_add_nc_u32_e32 v4, -1, v5
	s_delay_alu instid0(VALU_DEP_2) | instskip(NEXT) | instid1(VALU_DEP_2)
	v_cndmask_b32_e64 v9, v6, v9, s7
	v_min_u32_e32 v4, v6, v4
	v_cndmask_b32_e64 v8, v8, v6, s7
	s_delay_alu instid0(VALU_DEP_2)
	v_lshl_add_u32 v4, v4, 3, v18
	ds_load_b64 v[4:5], v4
	s_waitcnt lgkmcnt(0)
	v_cndmask_b32_e64 v24, v5, v3, s7
	v_cndmask_b32_e64 v25, v4, v2, s7
	v_cndmask_b32_e64 v28, v1, v5, s7
	v_cndmask_b32_e64 v29, v0, v4, s7
	v_cmpx_lt_u32_e64 v9, v23
	s_cbranch_execz .LBB16_675
; %bb.665:
	s_mov_b32 s3, 0
	s_mov_b32 s12, exec_lo
	v_cmpx_lt_u32_e64 v8, v22
	s_cbranch_execz .LBB16_674
; %bb.666:
	s_and_not1_b32 vcc_lo, exec_lo, s16
	s_cbranch_vccnz .LBB16_672
; %bb.667:
	v_mad_u64_u32 v[4:5], null, v25, s8, s[10:11]
	v_mul_lo_u32 v10, v25, s9
	v_mul_lo_u32 v11, v24, s8
	v_mad_u64_u32 v[6:7], null, v29, s8, s[10:11]
	v_mul_lo_u32 v30, v29, s9
	v_mul_lo_u32 v31, v28, s8
	s_mov_b32 s17, 0
	s_mov_b64 s[4:5], s[8:9]
                                        ; implicit-def: $sgpr20
                                        ; implicit-def: $sgpr21
                                        ; implicit-def: $sgpr22
                                        ; implicit-def: $sgpr23
                                        ; implicit-def: $sgpr24
	s_delay_alu instid0(VALU_DEP_4) | instskip(NEXT) | instid1(VALU_DEP_2)
	v_add3_u32 v5, v11, v5, v10
	v_add3_u32 v7, v31, v7, v30
	s_branch .LBB16_669
.LBB16_668:                             ;   in Loop: Header=BB16_669 Depth=1
	s_or_b32 exec_lo, exec_lo, s3
	s_delay_alu instid0(SALU_CYCLE_1) | instskip(NEXT) | instid1(SALU_CYCLE_1)
	s_and_b32 s3, exec_lo, s21
	s_or_b32 s17, s3, s17
	s_and_not1_b32 s3, s24, exec_lo
	s_and_b32 s24, s23, exec_lo
	s_and_not1_b32 s20, s20, exec_lo
	s_and_b32 s25, s22, exec_lo
	s_or_b32 s24, s3, s24
	s_or_b32 s20, s20, s25
	s_and_not1_b32 exec_lo, exec_lo, s17
	s_cbranch_execz .LBB16_671
.LBB16_669:                             ; =>This Inner Loop Header: Depth=1
	global_load_u8 v10, v[4:5], off
	global_load_u8 v11, v[6:7], off
	s_and_not1_b32 s22, s22, exec_lo
	s_and_not1_b32 s23, s23, exec_lo
	s_or_b32 s21, s21, exec_lo
	s_waitcnt vmcnt(1)
	v_and_b32_e32 v10, 0xff, v10
	s_waitcnt vmcnt(0)
	v_and_b32_e32 v11, 0xff, v11
	s_delay_alu instid0(VALU_DEP_1)
	v_cmp_le_u16_e32 vcc_lo, v10, v11
	v_cmp_lt_u16_e64 s3, v10, v11
	s_and_b32 s25, vcc_lo, s24
	s_delay_alu instid0(VALU_DEP_1) | instid1(SALU_CYCLE_1)
	s_or_b32 s25, s3, s25
	s_delay_alu instid0(SALU_CYCLE_1) | instskip(NEXT) | instid1(SALU_CYCLE_1)
	s_and_b32 s3, s25, exec_lo
	s_or_b32 s22, s22, s3
	s_mov_b32 s3, exec_lo
	v_cmpx_eq_u16_e64 v10, v11
	s_cbranch_execz .LBB16_668
; %bb.670:                              ;   in Loop: Header=BB16_669 Depth=1
	s_add_u32 s4, s4, -1
	s_addc_u32 s5, s5, -1
	v_add_co_u32 v4, vcc_lo, v4, 1
	s_cmp_eq_u64 s[4:5], 0
	v_add_co_ci_u32_e32 v5, vcc_lo, 0, v5, vcc_lo
	v_add_co_u32 v6, vcc_lo, v6, 1
	s_cselect_b32 s24, -1, 0
	v_add_co_ci_u32_e32 v7, vcc_lo, 0, v7, vcc_lo
	s_and_not1_b32 s23, s23, exec_lo
	s_and_b32 s25, s25, exec_lo
	s_and_not1_b32 s21, s21, exec_lo
	s_and_b32 s24, s24, exec_lo
	s_or_b32 s23, s23, s25
	s_and_not1_b32 s22, s22, exec_lo
	s_or_b32 s21, s21, s24
                                        ; implicit-def: $sgpr24
	s_branch .LBB16_668
.LBB16_671:
	s_or_b32 exec_lo, exec_lo, s17
	s_xor_b32 s3, s20, -1
	s_branch .LBB16_673
.LBB16_672:
	s_mov_b32 s3, -1
.LBB16_673:
	s_delay_alu instid0(SALU_CYCLE_1)
	s_and_b32 s3, s3, exec_lo
.LBB16_674:
	s_or_b32 exec_lo, exec_lo, s12
	s_delay_alu instid0(SALU_CYCLE_1)
	s_or_not1_b32 s12, s3, exec_lo
.LBB16_675:
	s_or_b32 exec_lo, exec_lo, s13
	v_cndmask_b32_e64 v4, v9, v8, s12
	v_cndmask_b32_e64 v5, v23, v22, s12
	s_mov_b32 s13, -1
	s_mov_b32 s17, exec_lo
	s_delay_alu instid0(VALU_DEP_2) | instskip(NEXT) | instid1(VALU_DEP_2)
	v_add_nc_u32_e32 v6, 1, v4
	v_add_nc_u32_e32 v4, -1, v5
	s_delay_alu instid0(VALU_DEP_2) | instskip(NEXT) | instid1(VALU_DEP_2)
	v_cndmask_b32_e64 v9, v6, v9, s12
	v_min_u32_e32 v4, v6, v4
	v_cndmask_b32_e64 v8, v8, v6, s12
	s_delay_alu instid0(VALU_DEP_2)
	v_lshl_add_u32 v4, v4, 3, v18
	ds_load_b64 v[4:5], v4
	s_waitcnt lgkmcnt(0)
	v_cndmask_b32_e64 v30, v5, v24, s12
	v_cndmask_b32_e64 v31, v4, v25, s12
	;; [unrolled: 1-line block ×4, first 2 shown]
	v_cmpx_lt_u32_e64 v9, v23
	s_cbranch_execz .LBB16_686
; %bb.676:
	s_mov_b32 s3, 0
	s_mov_b32 s13, exec_lo
	v_cmpx_lt_u32_e64 v8, v22
	s_cbranch_execz .LBB16_685
; %bb.677:
	s_and_not1_b32 vcc_lo, exec_lo, s16
	s_cbranch_vccnz .LBB16_683
; %bb.678:
	v_mad_u64_u32 v[4:5], null, v31, s8, s[10:11]
	v_mul_lo_u32 v10, v31, s9
	v_mul_lo_u32 v11, v30, s8
	v_mad_u64_u32 v[6:7], null, v33, s8, s[10:11]
	v_mul_lo_u32 v34, v33, s9
	v_mul_lo_u32 v35, v32, s8
	s_mov_b32 s20, 0
	s_mov_b64 s[4:5], s[8:9]
                                        ; implicit-def: $sgpr21
                                        ; implicit-def: $sgpr22
                                        ; implicit-def: $sgpr23
                                        ; implicit-def: $sgpr24
                                        ; implicit-def: $sgpr25
	s_delay_alu instid0(VALU_DEP_4) | instskip(NEXT) | instid1(VALU_DEP_2)
	v_add3_u32 v5, v11, v5, v10
	v_add3_u32 v7, v35, v7, v34
	s_branch .LBB16_680
.LBB16_679:                             ;   in Loop: Header=BB16_680 Depth=1
	s_or_b32 exec_lo, exec_lo, s3
	s_delay_alu instid0(SALU_CYCLE_1) | instskip(NEXT) | instid1(SALU_CYCLE_1)
	s_and_b32 s3, exec_lo, s22
	s_or_b32 s20, s3, s20
	s_and_not1_b32 s3, s25, exec_lo
	s_and_b32 s25, s24, exec_lo
	s_and_not1_b32 s21, s21, exec_lo
	s_and_b32 s26, s23, exec_lo
	s_or_b32 s25, s3, s25
	s_or_b32 s21, s21, s26
	s_and_not1_b32 exec_lo, exec_lo, s20
	s_cbranch_execz .LBB16_682
.LBB16_680:                             ; =>This Inner Loop Header: Depth=1
	global_load_u8 v10, v[4:5], off
	global_load_u8 v11, v[6:7], off
	s_and_not1_b32 s23, s23, exec_lo
	s_and_not1_b32 s24, s24, exec_lo
	s_or_b32 s22, s22, exec_lo
	s_waitcnt vmcnt(1)
	v_and_b32_e32 v10, 0xff, v10
	s_waitcnt vmcnt(0)
	v_and_b32_e32 v11, 0xff, v11
	s_delay_alu instid0(VALU_DEP_1)
	v_cmp_le_u16_e32 vcc_lo, v10, v11
	v_cmp_lt_u16_e64 s3, v10, v11
	s_and_b32 s26, vcc_lo, s25
	s_delay_alu instid0(VALU_DEP_1) | instid1(SALU_CYCLE_1)
	s_or_b32 s26, s3, s26
	s_delay_alu instid0(SALU_CYCLE_1) | instskip(NEXT) | instid1(SALU_CYCLE_1)
	s_and_b32 s3, s26, exec_lo
	s_or_b32 s23, s23, s3
	s_mov_b32 s3, exec_lo
	v_cmpx_eq_u16_e64 v10, v11
	s_cbranch_execz .LBB16_679
; %bb.681:                              ;   in Loop: Header=BB16_680 Depth=1
	s_add_u32 s4, s4, -1
	s_addc_u32 s5, s5, -1
	v_add_co_u32 v4, vcc_lo, v4, 1
	s_cmp_eq_u64 s[4:5], 0
	v_add_co_ci_u32_e32 v5, vcc_lo, 0, v5, vcc_lo
	v_add_co_u32 v6, vcc_lo, v6, 1
	s_cselect_b32 s25, -1, 0
	v_add_co_ci_u32_e32 v7, vcc_lo, 0, v7, vcc_lo
	s_and_not1_b32 s24, s24, exec_lo
	s_and_b32 s26, s26, exec_lo
	s_and_not1_b32 s22, s22, exec_lo
	s_and_b32 s25, s25, exec_lo
	s_or_b32 s24, s24, s26
	s_and_not1_b32 s23, s23, exec_lo
	s_or_b32 s22, s22, s25
                                        ; implicit-def: $sgpr25
	s_branch .LBB16_679
.LBB16_682:
	s_or_b32 exec_lo, exec_lo, s20
	s_xor_b32 s3, s21, -1
	s_branch .LBB16_684
.LBB16_683:
	s_mov_b32 s3, -1
.LBB16_684:
	s_delay_alu instid0(SALU_CYCLE_1)
	s_and_b32 s3, s3, exec_lo
.LBB16_685:
	s_or_b32 exec_lo, exec_lo, s13
	s_delay_alu instid0(SALU_CYCLE_1)
	s_or_not1_b32 s13, s3, exec_lo
.LBB16_686:
	s_or_b32 exec_lo, exec_lo, s17
	v_cndmask_b32_e64 v4, v9, v8, s13
	v_cndmask_b32_e64 v5, v23, v22, s13
	s_mov_b32 s17, exec_lo
	s_delay_alu instid0(VALU_DEP_2) | instskip(NEXT) | instid1(VALU_DEP_2)
	v_add_nc_u32_e32 v10, 1, v4
	v_add_nc_u32_e32 v4, -1, v5
	s_delay_alu instid0(VALU_DEP_2) | instskip(NEXT) | instid1(VALU_DEP_2)
	v_cndmask_b32_e64 v9, v10, v9, s13
	v_min_u32_e32 v4, v10, v4
	s_delay_alu instid0(VALU_DEP_1)
	v_lshl_add_u32 v4, v4, 3, v18
	ds_load_b64 v[4:5], v4
	s_waitcnt lgkmcnt(0)
	v_cndmask_b32_e64 v7, v32, v5, s13
	v_cndmask_b32_e64 v6, v33, v4, s13
	v_cmpx_lt_u32_e64 v9, v23
	s_cbranch_execz .LBB16_696
; %bb.687:
	v_cndmask_b32_e64 v8, v8, v10, s13
	v_cndmask_b32_e64 v5, v5, v30, s13
	;; [unrolled: 1-line block ×3, first 2 shown]
	s_mov_b32 s20, exec_lo
	s_delay_alu instid0(VALU_DEP_3)
	v_cmpx_lt_u32_e64 v8, v22
	s_cbranch_execz .LBB16_695
; %bb.688:
	s_and_not1_b32 vcc_lo, exec_lo, s16
	s_cbranch_vccnz .LBB16_694
; %bb.689:
	v_mad_u64_u32 v[8:9], null, v4, s8, s[10:11]
	v_mul_lo_u32 v22, v4, s9
	v_mul_lo_u32 v23, v5, s8
	v_mad_u64_u32 v[10:11], null, v6, s8, s[10:11]
	v_mul_lo_u32 v34, v6, s9
	v_mul_lo_u32 v35, v7, s8
	s_mov_b32 s21, 0
	s_mov_b64 s[4:5], s[8:9]
                                        ; implicit-def: $sgpr22
                                        ; implicit-def: $sgpr23
                                        ; implicit-def: $sgpr24
                                        ; implicit-def: $sgpr25
                                        ; implicit-def: $sgpr26
	s_delay_alu instid0(VALU_DEP_4) | instskip(NEXT) | instid1(VALU_DEP_2)
	v_add3_u32 v9, v23, v9, v22
	v_add3_u32 v11, v35, v11, v34
	s_branch .LBB16_691
.LBB16_690:                             ;   in Loop: Header=BB16_691 Depth=1
	s_or_b32 exec_lo, exec_lo, s3
	s_delay_alu instid0(SALU_CYCLE_1) | instskip(NEXT) | instid1(SALU_CYCLE_1)
	s_and_b32 s3, exec_lo, s23
	s_or_b32 s21, s3, s21
	s_and_not1_b32 s3, s26, exec_lo
	s_and_b32 s26, s25, exec_lo
	s_and_not1_b32 s22, s22, exec_lo
	s_and_b32 s27, s24, exec_lo
	s_or_b32 s26, s3, s26
	s_or_b32 s22, s22, s27
	s_and_not1_b32 exec_lo, exec_lo, s21
	s_cbranch_execz .LBB16_693
.LBB16_691:                             ; =>This Inner Loop Header: Depth=1
	global_load_u8 v22, v[8:9], off
	global_load_u8 v23, v[10:11], off
	s_and_not1_b32 s24, s24, exec_lo
	s_and_not1_b32 s25, s25, exec_lo
	s_or_b32 s23, s23, exec_lo
	s_waitcnt vmcnt(1)
	v_and_b32_e32 v22, 0xff, v22
	s_waitcnt vmcnt(0)
	v_and_b32_e32 v23, 0xff, v23
	s_delay_alu instid0(VALU_DEP_1)
	v_cmp_le_u16_e32 vcc_lo, v22, v23
	v_cmp_lt_u16_e64 s3, v22, v23
	s_and_b32 s27, vcc_lo, s26
	s_delay_alu instid0(VALU_DEP_1) | instid1(SALU_CYCLE_1)
	s_or_b32 s27, s3, s27
	s_delay_alu instid0(SALU_CYCLE_1) | instskip(NEXT) | instid1(SALU_CYCLE_1)
	s_and_b32 s3, s27, exec_lo
	s_or_b32 s24, s24, s3
	s_mov_b32 s3, exec_lo
	v_cmpx_eq_u16_e64 v22, v23
	s_cbranch_execz .LBB16_690
; %bb.692:                              ;   in Loop: Header=BB16_691 Depth=1
	s_add_u32 s4, s4, -1
	s_addc_u32 s5, s5, -1
	v_add_co_u32 v8, vcc_lo, v8, 1
	s_cmp_eq_u64 s[4:5], 0
	v_add_co_ci_u32_e32 v9, vcc_lo, 0, v9, vcc_lo
	v_add_co_u32 v10, vcc_lo, v10, 1
	s_cselect_b32 s26, -1, 0
	v_add_co_ci_u32_e32 v11, vcc_lo, 0, v11, vcc_lo
	s_and_not1_b32 s25, s25, exec_lo
	s_and_b32 s27, s27, exec_lo
	s_and_not1_b32 s23, s23, exec_lo
	s_and_b32 s26, s26, exec_lo
	s_or_b32 s25, s25, s27
	s_and_not1_b32 s24, s24, exec_lo
	s_or_b32 s23, s23, s26
                                        ; implicit-def: $sgpr26
	s_branch .LBB16_690
.LBB16_693:
	s_or_b32 exec_lo, exec_lo, s21
	v_cndmask_b32_e64 v7, v7, v5, s22
	v_cndmask_b32_e64 v6, v6, v4, s22
.LBB16_694:
	s_delay_alu instid0(VALU_DEP_1)
	v_dual_mov_b32 v4, v6 :: v_dual_mov_b32 v5, v7
.LBB16_695:
	s_or_b32 exec_lo, exec_lo, s20
	s_delay_alu instid0(VALU_DEP_1)
	v_dual_mov_b32 v7, v5 :: v_dual_mov_b32 v6, v4
.LBB16_696:
	s_or_b32 exec_lo, exec_lo, s17
	v_cndmask_b32_e64 v1, v3, v1, s7
	v_cndmask_b32_e64 v0, v2, v0, s7
	;; [unrolled: 1-line block ×6, first 2 shown]
.LBB16_697:
	s_or_b32 exec_lo, exec_lo, s6
	v_and_b32_e32 v28, 0x60, v20
	v_and_b32_e32 v9, 28, v20
	s_mov_b32 s6, exec_lo
	; wave barrier
	s_delay_alu instid0(VALU_DEP_2) | instskip(NEXT) | instid1(VALU_DEP_2)
	v_or_b32_e32 v8, 16, v28
	v_min_u32_e32 v29, v19, v9
	v_lshl_add_u32 v25, v28, 3, v18
	ds_store_b128 v21, v[0:3]
	ds_store_b128 v21, v[4:7] offset:16
	v_min_u32_e32 v22, v19, v8
	; wave barrier
	s_delay_alu instid0(VALU_DEP_1) | instskip(SKIP_1) | instid1(VALU_DEP_2)
	v_add_nc_u32_e32 v8, 16, v22
	v_sub_nc_u32_e32 v9, v22, v28
	v_min_u32_e32 v23, v19, v8
	s_delay_alu instid0(VALU_DEP_2) | instskip(NEXT) | instid1(VALU_DEP_2)
	v_min_u32_e32 v30, v29, v9
	v_sub_nc_u32_e32 v8, v23, v22
	s_delay_alu instid0(VALU_DEP_1) | instskip(NEXT) | instid1(VALU_DEP_1)
	v_sub_nc_u32_e64 v24, v29, v8 clamp
	v_cmpx_lt_u32_e64 v24, v30
	s_cbranch_execz .LBB16_707
; %bb.698:
	v_lshlrev_b32_e32 v8, 3, v22
	v_lshlrev_b32_e32 v9, 3, v29
	s_mov_b32 s7, 0
	s_delay_alu instid0(VALU_DEP_1)
	v_add3_u32 v31, v18, v8, v9
	s_branch .LBB16_701
.LBB16_699:                             ;   in Loop: Header=BB16_701 Depth=1
	s_or_b32 exec_lo, exec_lo, s12
.LBB16_700:                             ;   in Loop: Header=BB16_701 Depth=1
	s_delay_alu instid0(VALU_DEP_1) | instskip(SKIP_1) | instid1(VALU_DEP_2)
	v_add_nc_u32_e32 v8, 1, v32
	v_cndmask_b32_e64 v30, v30, v32, s13
	v_cndmask_b32_e64 v24, v8, v24, s13
	s_delay_alu instid0(VALU_DEP_1) | instskip(SKIP_1) | instid1(SALU_CYCLE_1)
	v_cmp_ge_u32_e32 vcc_lo, v24, v30
	s_or_b32 s7, vcc_lo, s7
	s_and_not1_b32 exec_lo, exec_lo, s7
	s_cbranch_execz .LBB16_706
.LBB16_701:                             ; =>This Loop Header: Depth=1
                                        ;     Child Loop BB16_704 Depth 2
	v_add_nc_u32_e32 v8, v30, v24
	s_and_not1_b32 vcc_lo, exec_lo, s16
	s_mov_b32 s13, 0
	s_delay_alu instid0(VALU_DEP_1)
	v_lshrrev_b32_e32 v32, 1, v8
	s_cbranch_vccnz .LBB16_700
; %bb.702:                              ;   in Loop: Header=BB16_701 Depth=1
	s_delay_alu instid0(VALU_DEP_1) | instskip(SKIP_3) | instid1(VALU_DEP_2)
	v_not_b32_e32 v8, v32
	v_lshl_add_u32 v9, v32, 3, v25
	s_mov_b32 s12, 0
	s_mov_b64 s[4:5], s[8:9]
                                        ; implicit-def: $sgpr13
                                        ; implicit-def: $sgpr17
                                        ; implicit-def: $sgpr20
                                        ; implicit-def: $sgpr21
                                        ; implicit-def: $sgpr22
	v_lshl_add_u32 v8, v8, 3, v31
	ds_load_b64 v[10:11], v8
	ds_load_b64 v[33:34], v9
	s_waitcnt lgkmcnt(1)
	v_mul_lo_u32 v35, v10, s9
	v_mul_lo_u32 v36, v11, s8
	v_mad_u64_u32 v[8:9], null, v10, s8, s[10:11]
	s_waitcnt lgkmcnt(0)
	v_mul_lo_u32 v37, v33, s9
	v_mul_lo_u32 v34, v34, s8
	v_mad_u64_u32 v[10:11], null, v33, s8, s[10:11]
	s_delay_alu instid0(VALU_DEP_4) | instskip(NEXT) | instid1(VALU_DEP_2)
	v_add3_u32 v9, v36, v9, v35
	v_add3_u32 v11, v34, v11, v37
	s_branch .LBB16_704
.LBB16_703:                             ;   in Loop: Header=BB16_704 Depth=2
	s_or_b32 exec_lo, exec_lo, s23
	s_delay_alu instid0(SALU_CYCLE_1) | instskip(NEXT) | instid1(SALU_CYCLE_1)
	s_and_b32 s3, exec_lo, s17
	s_or_b32 s12, s3, s12
	s_and_not1_b32 s3, s22, exec_lo
	s_and_b32 s22, s20, exec_lo
	s_and_not1_b32 s13, s13, exec_lo
	s_and_b32 s23, s21, exec_lo
	s_or_b32 s22, s3, s22
	s_or_b32 s13, s13, s23
	s_and_not1_b32 exec_lo, exec_lo, s12
	s_cbranch_execz .LBB16_699
.LBB16_704:                             ;   Parent Loop BB16_701 Depth=1
                                        ; =>  This Inner Loop Header: Depth=2
	global_load_u8 v33, v[8:9], off
	global_load_u8 v34, v[10:11], off
	s_and_not1_b32 s21, s21, exec_lo
	s_and_not1_b32 s20, s20, exec_lo
	s_or_b32 s17, s17, exec_lo
	s_waitcnt vmcnt(1)
	v_and_b32_e32 v33, 0xff, v33
	s_waitcnt vmcnt(0)
	v_and_b32_e32 v34, 0xff, v34
	s_delay_alu instid0(VALU_DEP_1)
	v_cmp_le_u16_e32 vcc_lo, v33, v34
	v_cmp_lt_u16_e64 s3, v33, v34
	s_and_b32 s23, vcc_lo, s22
	s_delay_alu instid0(VALU_DEP_1) | instid1(SALU_CYCLE_1)
	s_or_b32 s3, s3, s23
	s_delay_alu instid0(SALU_CYCLE_1) | instskip(NEXT) | instid1(SALU_CYCLE_1)
	s_and_b32 s23, s3, exec_lo
	s_or_b32 s21, s21, s23
	s_mov_b32 s23, exec_lo
	v_cmpx_eq_u16_e64 v33, v34
	s_cbranch_execz .LBB16_703
; %bb.705:                              ;   in Loop: Header=BB16_704 Depth=2
	s_add_u32 s4, s4, -1
	s_addc_u32 s5, s5, -1
	v_add_co_u32 v8, vcc_lo, v8, 1
	v_add_co_ci_u32_e32 v9, vcc_lo, 0, v9, vcc_lo
	s_cmp_eq_u64 s[4:5], 0
	v_add_co_u32 v10, vcc_lo, v10, 1
	s_cselect_b32 s22, -1, 0
	v_add_co_ci_u32_e32 v11, vcc_lo, 0, v11, vcc_lo
	s_and_not1_b32 s20, s20, exec_lo
	s_and_b32 s3, s3, exec_lo
	s_and_not1_b32 s17, s17, exec_lo
	s_and_b32 s22, s22, exec_lo
	s_and_not1_b32 s21, s21, exec_lo
	s_or_b32 s20, s20, s3
	s_or_b32 s17, s17, s22
                                        ; implicit-def: $sgpr22
	s_branch .LBB16_703
.LBB16_706:
	s_or_b32 exec_lo, exec_lo, s7
.LBB16_707:
	s_delay_alu instid0(SALU_CYCLE_1) | instskip(SKIP_2) | instid1(VALU_DEP_2)
	s_or_b32 exec_lo, exec_lo, s6
	v_add_nc_u32_e32 v9, v22, v29
	v_add_nc_u32_e32 v8, v24, v28
	v_sub_nc_u32_e32 v9, v9, v24
	s_delay_alu instid0(VALU_DEP_2) | instskip(NEXT) | instid1(VALU_DEP_2)
	v_cmp_le_u32_e32 vcc_lo, v8, v22
	v_cmp_le_u32_e64 s3, v9, v23
	s_delay_alu instid0(VALU_DEP_1) | instskip(NEXT) | instid1(SALU_CYCLE_1)
	s_or_b32 s3, vcc_lo, s3
	s_and_saveexec_b32 s6, s3
	s_cbranch_execz .LBB16_754
; %bb.708:
	v_cmp_ge_u32_e32 vcc_lo, v8, v22
	s_mov_b32 s4, exec_lo
                                        ; implicit-def: $vgpr0_vgpr1
	v_cmpx_lt_u32_e64 v8, v22
	s_cbranch_execz .LBB16_710
; %bb.709:
	v_lshl_add_u32 v0, v24, 3, v25
	ds_load_b64 v[0:1], v0
.LBB16_710:
	s_or_b32 exec_lo, exec_lo, s4
	v_cmp_ge_u32_e64 s7, v9, v23
	s_mov_b32 s4, exec_lo
                                        ; implicit-def: $vgpr2_vgpr3
	v_cmpx_lt_u32_e64 v9, v23
	s_cbranch_execz .LBB16_712
; %bb.711:
	v_lshl_add_u32 v2, v9, 3, v18
	ds_load_b64 v[2:3], v2
.LBB16_712:
	s_or_b32 exec_lo, exec_lo, s4
	s_or_b32 s3, vcc_lo, s7
	s_mov_b32 s12, -1
	s_xor_b32 s3, s3, -1
	s_delay_alu instid0(SALU_CYCLE_1)
	s_and_saveexec_b32 s13, s3
	s_cbranch_execz .LBB16_721
; %bb.713:
	s_and_not1_b32 vcc_lo, exec_lo, s16
	s_cbranch_vccnz .LBB16_719
; %bb.714:
	s_waitcnt lgkmcnt(0)
	v_mad_u64_u32 v[4:5], null, v2, s8, s[10:11]
	v_mul_lo_u32 v10, v2, s9
	v_mul_lo_u32 v11, v3, s8
	v_mad_u64_u32 v[6:7], null, v0, s8, s[10:11]
	v_mul_lo_u32 v24, v0, s9
	v_mul_lo_u32 v25, v1, s8
	s_mov_b32 s17, 0
	s_mov_b64 s[4:5], s[8:9]
                                        ; implicit-def: $sgpr20
                                        ; implicit-def: $sgpr21
                                        ; implicit-def: $sgpr22
                                        ; implicit-def: $sgpr23
                                        ; implicit-def: $sgpr24
	s_delay_alu instid0(VALU_DEP_4) | instskip(NEXT) | instid1(VALU_DEP_2)
	v_add3_u32 v5, v11, v5, v10
	v_add3_u32 v7, v25, v7, v24
	s_branch .LBB16_716
.LBB16_715:                             ;   in Loop: Header=BB16_716 Depth=1
	s_or_b32 exec_lo, exec_lo, s3
	s_delay_alu instid0(SALU_CYCLE_1) | instskip(NEXT) | instid1(SALU_CYCLE_1)
	s_and_b32 s3, exec_lo, s21
	s_or_b32 s17, s3, s17
	s_and_not1_b32 s3, s24, exec_lo
	s_and_b32 s24, s23, exec_lo
	s_and_not1_b32 s20, s20, exec_lo
	s_and_b32 s25, s22, exec_lo
	s_or_b32 s24, s3, s24
	s_or_b32 s20, s20, s25
	s_and_not1_b32 exec_lo, exec_lo, s17
	s_cbranch_execz .LBB16_718
.LBB16_716:                             ; =>This Inner Loop Header: Depth=1
	global_load_u8 v10, v[4:5], off
	global_load_u8 v11, v[6:7], off
	s_and_not1_b32 s22, s22, exec_lo
	s_and_not1_b32 s23, s23, exec_lo
	s_or_b32 s21, s21, exec_lo
	s_waitcnt vmcnt(1)
	v_and_b32_e32 v10, 0xff, v10
	s_waitcnt vmcnt(0)
	v_and_b32_e32 v11, 0xff, v11
	s_delay_alu instid0(VALU_DEP_1)
	v_cmp_le_u16_e32 vcc_lo, v10, v11
	v_cmp_lt_u16_e64 s3, v10, v11
	s_and_b32 s25, vcc_lo, s24
	s_delay_alu instid0(VALU_DEP_1) | instid1(SALU_CYCLE_1)
	s_or_b32 s25, s3, s25
	s_delay_alu instid0(SALU_CYCLE_1) | instskip(NEXT) | instid1(SALU_CYCLE_1)
	s_and_b32 s3, s25, exec_lo
	s_or_b32 s22, s22, s3
	s_mov_b32 s3, exec_lo
	v_cmpx_eq_u16_e64 v10, v11
	s_cbranch_execz .LBB16_715
; %bb.717:                              ;   in Loop: Header=BB16_716 Depth=1
	s_add_u32 s4, s4, -1
	s_addc_u32 s5, s5, -1
	v_add_co_u32 v4, vcc_lo, v4, 1
	s_cmp_eq_u64 s[4:5], 0
	v_add_co_ci_u32_e32 v5, vcc_lo, 0, v5, vcc_lo
	v_add_co_u32 v6, vcc_lo, v6, 1
	s_cselect_b32 s24, -1, 0
	v_add_co_ci_u32_e32 v7, vcc_lo, 0, v7, vcc_lo
	s_and_not1_b32 s23, s23, exec_lo
	s_and_b32 s25, s25, exec_lo
	s_and_not1_b32 s21, s21, exec_lo
	s_and_b32 s24, s24, exec_lo
	s_or_b32 s23, s23, s25
	s_and_not1_b32 s22, s22, exec_lo
	s_or_b32 s21, s21, s24
                                        ; implicit-def: $sgpr24
	s_branch .LBB16_715
.LBB16_718:
	s_or_b32 exec_lo, exec_lo, s17
	s_xor_b32 s3, s20, -1
	s_branch .LBB16_720
.LBB16_719:
	s_mov_b32 s3, -1
.LBB16_720:
	s_and_not1_b32 s4, s7, exec_lo
	s_and_b32 s3, s3, exec_lo
	s_delay_alu instid0(SALU_CYCLE_1)
	s_or_b32 s7, s4, s3
.LBB16_721:
	s_or_b32 exec_lo, exec_lo, s13
	v_cndmask_b32_e64 v4, v9, v8, s7
	v_cndmask_b32_e64 v5, v23, v22, s7
	s_mov_b32 s13, exec_lo
	s_delay_alu instid0(VALU_DEP_2) | instskip(NEXT) | instid1(VALU_DEP_2)
	v_add_nc_u32_e32 v6, 1, v4
	v_add_nc_u32_e32 v4, -1, v5
	s_delay_alu instid0(VALU_DEP_2) | instskip(NEXT) | instid1(VALU_DEP_2)
	v_cndmask_b32_e64 v9, v6, v9, s7
	v_min_u32_e32 v4, v6, v4
	v_cndmask_b32_e64 v8, v8, v6, s7
	s_delay_alu instid0(VALU_DEP_2)
	v_lshl_add_u32 v4, v4, 3, v18
	ds_load_b64 v[4:5], v4
	s_waitcnt lgkmcnt(0)
	v_cndmask_b32_e64 v24, v5, v3, s7
	v_cndmask_b32_e64 v25, v4, v2, s7
	v_cndmask_b32_e64 v28, v1, v5, s7
	v_cndmask_b32_e64 v29, v0, v4, s7
	v_cmpx_lt_u32_e64 v9, v23
	s_cbranch_execz .LBB16_732
; %bb.722:
	s_mov_b32 s3, 0
	s_mov_b32 s12, exec_lo
	v_cmpx_lt_u32_e64 v8, v22
	s_cbranch_execz .LBB16_731
; %bb.723:
	s_and_not1_b32 vcc_lo, exec_lo, s16
	s_cbranch_vccnz .LBB16_729
; %bb.724:
	v_mad_u64_u32 v[4:5], null, v25, s8, s[10:11]
	v_mul_lo_u32 v10, v25, s9
	v_mul_lo_u32 v11, v24, s8
	v_mad_u64_u32 v[6:7], null, v29, s8, s[10:11]
	v_mul_lo_u32 v30, v29, s9
	v_mul_lo_u32 v31, v28, s8
	s_mov_b32 s17, 0
	s_mov_b64 s[4:5], s[8:9]
                                        ; implicit-def: $sgpr20
                                        ; implicit-def: $sgpr21
                                        ; implicit-def: $sgpr22
                                        ; implicit-def: $sgpr23
                                        ; implicit-def: $sgpr24
	s_delay_alu instid0(VALU_DEP_4) | instskip(NEXT) | instid1(VALU_DEP_2)
	v_add3_u32 v5, v11, v5, v10
	v_add3_u32 v7, v31, v7, v30
	s_branch .LBB16_726
.LBB16_725:                             ;   in Loop: Header=BB16_726 Depth=1
	s_or_b32 exec_lo, exec_lo, s3
	s_delay_alu instid0(SALU_CYCLE_1) | instskip(NEXT) | instid1(SALU_CYCLE_1)
	s_and_b32 s3, exec_lo, s21
	s_or_b32 s17, s3, s17
	s_and_not1_b32 s3, s24, exec_lo
	s_and_b32 s24, s23, exec_lo
	s_and_not1_b32 s20, s20, exec_lo
	s_and_b32 s25, s22, exec_lo
	s_or_b32 s24, s3, s24
	s_or_b32 s20, s20, s25
	s_and_not1_b32 exec_lo, exec_lo, s17
	s_cbranch_execz .LBB16_728
.LBB16_726:                             ; =>This Inner Loop Header: Depth=1
	global_load_u8 v10, v[4:5], off
	global_load_u8 v11, v[6:7], off
	s_and_not1_b32 s22, s22, exec_lo
	s_and_not1_b32 s23, s23, exec_lo
	s_or_b32 s21, s21, exec_lo
	s_waitcnt vmcnt(1)
	v_and_b32_e32 v10, 0xff, v10
	s_waitcnt vmcnt(0)
	v_and_b32_e32 v11, 0xff, v11
	s_delay_alu instid0(VALU_DEP_1)
	v_cmp_le_u16_e32 vcc_lo, v10, v11
	v_cmp_lt_u16_e64 s3, v10, v11
	s_and_b32 s25, vcc_lo, s24
	s_delay_alu instid0(VALU_DEP_1) | instid1(SALU_CYCLE_1)
	s_or_b32 s25, s3, s25
	s_delay_alu instid0(SALU_CYCLE_1) | instskip(NEXT) | instid1(SALU_CYCLE_1)
	s_and_b32 s3, s25, exec_lo
	s_or_b32 s22, s22, s3
	s_mov_b32 s3, exec_lo
	v_cmpx_eq_u16_e64 v10, v11
	s_cbranch_execz .LBB16_725
; %bb.727:                              ;   in Loop: Header=BB16_726 Depth=1
	s_add_u32 s4, s4, -1
	s_addc_u32 s5, s5, -1
	v_add_co_u32 v4, vcc_lo, v4, 1
	s_cmp_eq_u64 s[4:5], 0
	v_add_co_ci_u32_e32 v5, vcc_lo, 0, v5, vcc_lo
	v_add_co_u32 v6, vcc_lo, v6, 1
	s_cselect_b32 s24, -1, 0
	v_add_co_ci_u32_e32 v7, vcc_lo, 0, v7, vcc_lo
	s_and_not1_b32 s23, s23, exec_lo
	s_and_b32 s25, s25, exec_lo
	s_and_not1_b32 s21, s21, exec_lo
	s_and_b32 s24, s24, exec_lo
	s_or_b32 s23, s23, s25
	s_and_not1_b32 s22, s22, exec_lo
	s_or_b32 s21, s21, s24
                                        ; implicit-def: $sgpr24
	s_branch .LBB16_725
.LBB16_728:
	s_or_b32 exec_lo, exec_lo, s17
	s_xor_b32 s3, s20, -1
	s_branch .LBB16_730
.LBB16_729:
	s_mov_b32 s3, -1
.LBB16_730:
	s_delay_alu instid0(SALU_CYCLE_1)
	s_and_b32 s3, s3, exec_lo
.LBB16_731:
	s_or_b32 exec_lo, exec_lo, s12
	s_delay_alu instid0(SALU_CYCLE_1)
	s_or_not1_b32 s12, s3, exec_lo
.LBB16_732:
	s_or_b32 exec_lo, exec_lo, s13
	v_cndmask_b32_e64 v4, v9, v8, s12
	v_cndmask_b32_e64 v5, v23, v22, s12
	s_mov_b32 s13, -1
	s_mov_b32 s17, exec_lo
	s_delay_alu instid0(VALU_DEP_2) | instskip(NEXT) | instid1(VALU_DEP_2)
	v_add_nc_u32_e32 v6, 1, v4
	v_add_nc_u32_e32 v4, -1, v5
	s_delay_alu instid0(VALU_DEP_2) | instskip(NEXT) | instid1(VALU_DEP_2)
	v_cndmask_b32_e64 v9, v6, v9, s12
	v_min_u32_e32 v4, v6, v4
	v_cndmask_b32_e64 v8, v8, v6, s12
	s_delay_alu instid0(VALU_DEP_2)
	v_lshl_add_u32 v4, v4, 3, v18
	ds_load_b64 v[4:5], v4
	s_waitcnt lgkmcnt(0)
	v_cndmask_b32_e64 v30, v5, v24, s12
	v_cndmask_b32_e64 v31, v4, v25, s12
	;; [unrolled: 1-line block ×4, first 2 shown]
	v_cmpx_lt_u32_e64 v9, v23
	s_cbranch_execz .LBB16_743
; %bb.733:
	s_mov_b32 s3, 0
	s_mov_b32 s13, exec_lo
	v_cmpx_lt_u32_e64 v8, v22
	s_cbranch_execz .LBB16_742
; %bb.734:
	s_and_not1_b32 vcc_lo, exec_lo, s16
	s_cbranch_vccnz .LBB16_740
; %bb.735:
	v_mad_u64_u32 v[4:5], null, v31, s8, s[10:11]
	v_mul_lo_u32 v10, v31, s9
	v_mul_lo_u32 v11, v30, s8
	v_mad_u64_u32 v[6:7], null, v33, s8, s[10:11]
	v_mul_lo_u32 v34, v33, s9
	v_mul_lo_u32 v35, v32, s8
	s_mov_b32 s20, 0
	s_mov_b64 s[4:5], s[8:9]
                                        ; implicit-def: $sgpr21
                                        ; implicit-def: $sgpr22
                                        ; implicit-def: $sgpr23
                                        ; implicit-def: $sgpr24
                                        ; implicit-def: $sgpr25
	s_delay_alu instid0(VALU_DEP_4) | instskip(NEXT) | instid1(VALU_DEP_2)
	v_add3_u32 v5, v11, v5, v10
	v_add3_u32 v7, v35, v7, v34
	s_branch .LBB16_737
.LBB16_736:                             ;   in Loop: Header=BB16_737 Depth=1
	s_or_b32 exec_lo, exec_lo, s3
	s_delay_alu instid0(SALU_CYCLE_1) | instskip(NEXT) | instid1(SALU_CYCLE_1)
	s_and_b32 s3, exec_lo, s22
	s_or_b32 s20, s3, s20
	s_and_not1_b32 s3, s25, exec_lo
	s_and_b32 s25, s24, exec_lo
	s_and_not1_b32 s21, s21, exec_lo
	s_and_b32 s26, s23, exec_lo
	s_or_b32 s25, s3, s25
	s_or_b32 s21, s21, s26
	s_and_not1_b32 exec_lo, exec_lo, s20
	s_cbranch_execz .LBB16_739
.LBB16_737:                             ; =>This Inner Loop Header: Depth=1
	global_load_u8 v10, v[4:5], off
	global_load_u8 v11, v[6:7], off
	s_and_not1_b32 s23, s23, exec_lo
	s_and_not1_b32 s24, s24, exec_lo
	s_or_b32 s22, s22, exec_lo
	s_waitcnt vmcnt(1)
	v_and_b32_e32 v10, 0xff, v10
	s_waitcnt vmcnt(0)
	v_and_b32_e32 v11, 0xff, v11
	s_delay_alu instid0(VALU_DEP_1)
	v_cmp_le_u16_e32 vcc_lo, v10, v11
	v_cmp_lt_u16_e64 s3, v10, v11
	s_and_b32 s26, vcc_lo, s25
	s_delay_alu instid0(VALU_DEP_1) | instid1(SALU_CYCLE_1)
	s_or_b32 s26, s3, s26
	s_delay_alu instid0(SALU_CYCLE_1) | instskip(NEXT) | instid1(SALU_CYCLE_1)
	s_and_b32 s3, s26, exec_lo
	s_or_b32 s23, s23, s3
	s_mov_b32 s3, exec_lo
	v_cmpx_eq_u16_e64 v10, v11
	s_cbranch_execz .LBB16_736
; %bb.738:                              ;   in Loop: Header=BB16_737 Depth=1
	s_add_u32 s4, s4, -1
	s_addc_u32 s5, s5, -1
	v_add_co_u32 v4, vcc_lo, v4, 1
	s_cmp_eq_u64 s[4:5], 0
	v_add_co_ci_u32_e32 v5, vcc_lo, 0, v5, vcc_lo
	v_add_co_u32 v6, vcc_lo, v6, 1
	s_cselect_b32 s25, -1, 0
	v_add_co_ci_u32_e32 v7, vcc_lo, 0, v7, vcc_lo
	s_and_not1_b32 s24, s24, exec_lo
	s_and_b32 s26, s26, exec_lo
	s_and_not1_b32 s22, s22, exec_lo
	s_and_b32 s25, s25, exec_lo
	s_or_b32 s24, s24, s26
	s_and_not1_b32 s23, s23, exec_lo
	s_or_b32 s22, s22, s25
                                        ; implicit-def: $sgpr25
	s_branch .LBB16_736
.LBB16_739:
	s_or_b32 exec_lo, exec_lo, s20
	s_xor_b32 s3, s21, -1
	s_branch .LBB16_741
.LBB16_740:
	s_mov_b32 s3, -1
.LBB16_741:
	s_delay_alu instid0(SALU_CYCLE_1)
	s_and_b32 s3, s3, exec_lo
.LBB16_742:
	s_or_b32 exec_lo, exec_lo, s13
	s_delay_alu instid0(SALU_CYCLE_1)
	s_or_not1_b32 s13, s3, exec_lo
.LBB16_743:
	s_or_b32 exec_lo, exec_lo, s17
	v_cndmask_b32_e64 v4, v9, v8, s13
	v_cndmask_b32_e64 v5, v23, v22, s13
	s_mov_b32 s17, exec_lo
	s_delay_alu instid0(VALU_DEP_2) | instskip(NEXT) | instid1(VALU_DEP_2)
	v_add_nc_u32_e32 v10, 1, v4
	v_add_nc_u32_e32 v4, -1, v5
	s_delay_alu instid0(VALU_DEP_2) | instskip(NEXT) | instid1(VALU_DEP_2)
	v_cndmask_b32_e64 v9, v10, v9, s13
	v_min_u32_e32 v4, v10, v4
	s_delay_alu instid0(VALU_DEP_1)
	v_lshl_add_u32 v4, v4, 3, v18
	ds_load_b64 v[4:5], v4
	s_waitcnt lgkmcnt(0)
	v_cndmask_b32_e64 v7, v32, v5, s13
	v_cndmask_b32_e64 v6, v33, v4, s13
	v_cmpx_lt_u32_e64 v9, v23
	s_cbranch_execz .LBB16_753
; %bb.744:
	v_cndmask_b32_e64 v8, v8, v10, s13
	v_cndmask_b32_e64 v5, v5, v30, s13
	;; [unrolled: 1-line block ×3, first 2 shown]
	s_mov_b32 s20, exec_lo
	s_delay_alu instid0(VALU_DEP_3)
	v_cmpx_lt_u32_e64 v8, v22
	s_cbranch_execz .LBB16_752
; %bb.745:
	s_and_not1_b32 vcc_lo, exec_lo, s16
	s_cbranch_vccnz .LBB16_751
; %bb.746:
	v_mad_u64_u32 v[8:9], null, v4, s8, s[10:11]
	v_mul_lo_u32 v22, v4, s9
	v_mul_lo_u32 v23, v5, s8
	v_mad_u64_u32 v[10:11], null, v6, s8, s[10:11]
	v_mul_lo_u32 v34, v6, s9
	v_mul_lo_u32 v35, v7, s8
	s_mov_b32 s21, 0
	s_mov_b64 s[4:5], s[8:9]
                                        ; implicit-def: $sgpr22
                                        ; implicit-def: $sgpr23
                                        ; implicit-def: $sgpr24
                                        ; implicit-def: $sgpr25
                                        ; implicit-def: $sgpr26
	s_delay_alu instid0(VALU_DEP_4) | instskip(NEXT) | instid1(VALU_DEP_2)
	v_add3_u32 v9, v23, v9, v22
	v_add3_u32 v11, v35, v11, v34
	s_branch .LBB16_748
.LBB16_747:                             ;   in Loop: Header=BB16_748 Depth=1
	s_or_b32 exec_lo, exec_lo, s3
	s_delay_alu instid0(SALU_CYCLE_1) | instskip(NEXT) | instid1(SALU_CYCLE_1)
	s_and_b32 s3, exec_lo, s23
	s_or_b32 s21, s3, s21
	s_and_not1_b32 s3, s26, exec_lo
	s_and_b32 s26, s25, exec_lo
	s_and_not1_b32 s22, s22, exec_lo
	s_and_b32 s27, s24, exec_lo
	s_or_b32 s26, s3, s26
	s_or_b32 s22, s22, s27
	s_and_not1_b32 exec_lo, exec_lo, s21
	s_cbranch_execz .LBB16_750
.LBB16_748:                             ; =>This Inner Loop Header: Depth=1
	global_load_u8 v22, v[8:9], off
	global_load_u8 v23, v[10:11], off
	s_and_not1_b32 s24, s24, exec_lo
	s_and_not1_b32 s25, s25, exec_lo
	s_or_b32 s23, s23, exec_lo
	s_waitcnt vmcnt(1)
	v_and_b32_e32 v22, 0xff, v22
	s_waitcnt vmcnt(0)
	v_and_b32_e32 v23, 0xff, v23
	s_delay_alu instid0(VALU_DEP_1)
	v_cmp_le_u16_e32 vcc_lo, v22, v23
	v_cmp_lt_u16_e64 s3, v22, v23
	s_and_b32 s27, vcc_lo, s26
	s_delay_alu instid0(VALU_DEP_1) | instid1(SALU_CYCLE_1)
	s_or_b32 s27, s3, s27
	s_delay_alu instid0(SALU_CYCLE_1) | instskip(NEXT) | instid1(SALU_CYCLE_1)
	s_and_b32 s3, s27, exec_lo
	s_or_b32 s24, s24, s3
	s_mov_b32 s3, exec_lo
	v_cmpx_eq_u16_e64 v22, v23
	s_cbranch_execz .LBB16_747
; %bb.749:                              ;   in Loop: Header=BB16_748 Depth=1
	s_add_u32 s4, s4, -1
	s_addc_u32 s5, s5, -1
	v_add_co_u32 v8, vcc_lo, v8, 1
	s_cmp_eq_u64 s[4:5], 0
	v_add_co_ci_u32_e32 v9, vcc_lo, 0, v9, vcc_lo
	v_add_co_u32 v10, vcc_lo, v10, 1
	s_cselect_b32 s26, -1, 0
	v_add_co_ci_u32_e32 v11, vcc_lo, 0, v11, vcc_lo
	s_and_not1_b32 s25, s25, exec_lo
	s_and_b32 s27, s27, exec_lo
	s_and_not1_b32 s23, s23, exec_lo
	s_and_b32 s26, s26, exec_lo
	s_or_b32 s25, s25, s27
	s_and_not1_b32 s24, s24, exec_lo
	s_or_b32 s23, s23, s26
                                        ; implicit-def: $sgpr26
	s_branch .LBB16_747
.LBB16_750:
	s_or_b32 exec_lo, exec_lo, s21
	v_cndmask_b32_e64 v7, v7, v5, s22
	v_cndmask_b32_e64 v6, v6, v4, s22
.LBB16_751:
	s_delay_alu instid0(VALU_DEP_1)
	v_dual_mov_b32 v4, v6 :: v_dual_mov_b32 v5, v7
.LBB16_752:
	s_or_b32 exec_lo, exec_lo, s20
	s_delay_alu instid0(VALU_DEP_1)
	v_dual_mov_b32 v7, v5 :: v_dual_mov_b32 v6, v4
.LBB16_753:
	s_or_b32 exec_lo, exec_lo, s17
	v_cndmask_b32_e64 v1, v3, v1, s7
	v_cndmask_b32_e64 v0, v2, v0, s7
	;; [unrolled: 1-line block ×6, first 2 shown]
.LBB16_754:
	s_or_b32 exec_lo, exec_lo, s6
	v_and_b32_e32 v24, 64, v20
	v_and_b32_e32 v9, 60, v20
	s_mov_b32 s6, exec_lo
	; wave barrier
	s_delay_alu instid0(VALU_DEP_2) | instskip(NEXT) | instid1(VALU_DEP_2)
	v_or_b32_e32 v8, 32, v24
	v_min_u32_e32 v25, v19, v9
	v_lshl_add_u32 v23, v24, 3, v18
	ds_store_b128 v21, v[0:3]
	ds_store_b128 v21, v[4:7] offset:16
	v_min_u32_e32 v22, v19, v8
	; wave barrier
	s_delay_alu instid0(VALU_DEP_1) | instskip(SKIP_1) | instid1(VALU_DEP_2)
	v_add_nc_u32_e32 v8, 32, v22
	v_sub_nc_u32_e32 v9, v22, v24
	v_min_u32_e32 v20, v19, v8
	s_delay_alu instid0(VALU_DEP_2) | instskip(NEXT) | instid1(VALU_DEP_2)
	v_min_u32_e32 v28, v25, v9
	v_sub_nc_u32_e32 v8, v20, v22
	s_delay_alu instid0(VALU_DEP_1) | instskip(NEXT) | instid1(VALU_DEP_1)
	v_sub_nc_u32_e64 v19, v25, v8 clamp
	v_cmpx_lt_u32_e64 v19, v28
	s_cbranch_execz .LBB16_764
; %bb.755:
	v_lshlrev_b32_e32 v8, 3, v22
	v_lshlrev_b32_e32 v9, 3, v25
	s_mov_b32 s7, 0
	s_delay_alu instid0(VALU_DEP_1)
	v_add3_u32 v21, v18, v8, v9
	s_branch .LBB16_758
.LBB16_756:                             ;   in Loop: Header=BB16_758 Depth=1
	s_or_b32 exec_lo, exec_lo, s12
.LBB16_757:                             ;   in Loop: Header=BB16_758 Depth=1
	s_delay_alu instid0(VALU_DEP_1) | instskip(SKIP_1) | instid1(VALU_DEP_2)
	v_add_nc_u32_e32 v8, 1, v29
	v_cndmask_b32_e64 v28, v28, v29, s13
	v_cndmask_b32_e64 v19, v8, v19, s13
	s_delay_alu instid0(VALU_DEP_1) | instskip(SKIP_1) | instid1(SALU_CYCLE_1)
	v_cmp_ge_u32_e32 vcc_lo, v19, v28
	s_or_b32 s7, vcc_lo, s7
	s_and_not1_b32 exec_lo, exec_lo, s7
	s_cbranch_execz .LBB16_763
.LBB16_758:                             ; =>This Loop Header: Depth=1
                                        ;     Child Loop BB16_761 Depth 2
	v_add_nc_u32_e32 v8, v28, v19
	s_and_not1_b32 vcc_lo, exec_lo, s16
	s_mov_b32 s13, 0
	s_delay_alu instid0(VALU_DEP_1)
	v_lshrrev_b32_e32 v29, 1, v8
	s_cbranch_vccnz .LBB16_757
; %bb.759:                              ;   in Loop: Header=BB16_758 Depth=1
	s_delay_alu instid0(VALU_DEP_1) | instskip(SKIP_3) | instid1(VALU_DEP_2)
	v_not_b32_e32 v8, v29
	v_lshl_add_u32 v9, v29, 3, v23
	s_mov_b32 s12, 0
	s_mov_b64 s[4:5], s[8:9]
                                        ; implicit-def: $sgpr13
                                        ; implicit-def: $sgpr17
                                        ; implicit-def: $sgpr20
                                        ; implicit-def: $sgpr21
                                        ; implicit-def: $sgpr22
	v_lshl_add_u32 v8, v8, 3, v21
	ds_load_b64 v[10:11], v8
	ds_load_b64 v[30:31], v9
	s_waitcnt lgkmcnt(1)
	v_mul_lo_u32 v32, v10, s9
	v_mul_lo_u32 v33, v11, s8
	v_mad_u64_u32 v[8:9], null, v10, s8, s[10:11]
	s_waitcnt lgkmcnt(0)
	v_mul_lo_u32 v34, v30, s9
	v_mul_lo_u32 v31, v31, s8
	v_mad_u64_u32 v[10:11], null, v30, s8, s[10:11]
	s_delay_alu instid0(VALU_DEP_4) | instskip(NEXT) | instid1(VALU_DEP_2)
	v_add3_u32 v9, v33, v9, v32
	v_add3_u32 v11, v31, v11, v34
	s_branch .LBB16_761
.LBB16_760:                             ;   in Loop: Header=BB16_761 Depth=2
	s_or_b32 exec_lo, exec_lo, s23
	s_delay_alu instid0(SALU_CYCLE_1) | instskip(NEXT) | instid1(SALU_CYCLE_1)
	s_and_b32 s3, exec_lo, s17
	s_or_b32 s12, s3, s12
	s_and_not1_b32 s3, s22, exec_lo
	s_and_b32 s22, s20, exec_lo
	s_and_not1_b32 s13, s13, exec_lo
	s_and_b32 s23, s21, exec_lo
	s_or_b32 s22, s3, s22
	s_or_b32 s13, s13, s23
	s_and_not1_b32 exec_lo, exec_lo, s12
	s_cbranch_execz .LBB16_756
.LBB16_761:                             ;   Parent Loop BB16_758 Depth=1
                                        ; =>  This Inner Loop Header: Depth=2
	global_load_u8 v30, v[8:9], off
	global_load_u8 v31, v[10:11], off
	s_and_not1_b32 s21, s21, exec_lo
	s_and_not1_b32 s20, s20, exec_lo
	s_or_b32 s17, s17, exec_lo
	s_waitcnt vmcnt(1)
	v_and_b32_e32 v30, 0xff, v30
	s_waitcnt vmcnt(0)
	v_and_b32_e32 v31, 0xff, v31
	s_delay_alu instid0(VALU_DEP_1)
	v_cmp_le_u16_e32 vcc_lo, v30, v31
	v_cmp_lt_u16_e64 s3, v30, v31
	s_and_b32 s23, vcc_lo, s22
	s_delay_alu instid0(VALU_DEP_1) | instid1(SALU_CYCLE_1)
	s_or_b32 s3, s3, s23
	s_delay_alu instid0(SALU_CYCLE_1) | instskip(NEXT) | instid1(SALU_CYCLE_1)
	s_and_b32 s23, s3, exec_lo
	s_or_b32 s21, s21, s23
	s_mov_b32 s23, exec_lo
	v_cmpx_eq_u16_e64 v30, v31
	s_cbranch_execz .LBB16_760
; %bb.762:                              ;   in Loop: Header=BB16_761 Depth=2
	s_add_u32 s4, s4, -1
	s_addc_u32 s5, s5, -1
	v_add_co_u32 v8, vcc_lo, v8, 1
	v_add_co_ci_u32_e32 v9, vcc_lo, 0, v9, vcc_lo
	s_cmp_eq_u64 s[4:5], 0
	v_add_co_u32 v10, vcc_lo, v10, 1
	s_cselect_b32 s22, -1, 0
	v_add_co_ci_u32_e32 v11, vcc_lo, 0, v11, vcc_lo
	s_and_not1_b32 s20, s20, exec_lo
	s_and_b32 s3, s3, exec_lo
	s_and_not1_b32 s17, s17, exec_lo
	s_and_b32 s22, s22, exec_lo
	s_and_not1_b32 s21, s21, exec_lo
	s_or_b32 s20, s20, s3
	s_or_b32 s17, s17, s22
                                        ; implicit-def: $sgpr22
	s_branch .LBB16_760
.LBB16_763:
	s_or_b32 exec_lo, exec_lo, s7
.LBB16_764:
	s_delay_alu instid0(SALU_CYCLE_1) | instskip(SKIP_2) | instid1(VALU_DEP_2)
	s_or_b32 exec_lo, exec_lo, s6
	v_add_nc_u32_e32 v9, v22, v25
	v_add_nc_u32_e32 v8, v19, v24
	v_sub_nc_u32_e32 v9, v9, v19
	s_delay_alu instid0(VALU_DEP_2) | instskip(NEXT) | instid1(VALU_DEP_2)
	v_cmp_le_u32_e32 vcc_lo, v8, v22
	v_cmp_le_u32_e64 s3, v9, v20
	s_delay_alu instid0(VALU_DEP_1) | instskip(NEXT) | instid1(SALU_CYCLE_1)
	s_or_b32 s3, vcc_lo, s3
	s_and_saveexec_b32 s6, s3
	s_cbranch_execz .LBB16_811
; %bb.765:
	v_cmp_ge_u32_e32 vcc_lo, v8, v22
	s_mov_b32 s4, exec_lo
                                        ; implicit-def: $vgpr0_vgpr1
	v_cmpx_lt_u32_e64 v8, v22
	s_cbranch_execz .LBB16_767
; %bb.766:
	v_lshl_add_u32 v0, v19, 3, v23
	ds_load_b64 v[0:1], v0
.LBB16_767:
	s_or_b32 exec_lo, exec_lo, s4
	v_cmp_ge_u32_e64 s7, v9, v20
	s_mov_b32 s4, exec_lo
                                        ; implicit-def: $vgpr2_vgpr3
	v_cmpx_lt_u32_e64 v9, v20
	s_cbranch_execz .LBB16_769
; %bb.768:
	v_lshl_add_u32 v2, v9, 3, v18
	ds_load_b64 v[2:3], v2
.LBB16_769:
	s_or_b32 exec_lo, exec_lo, s4
	s_or_b32 s3, vcc_lo, s7
	s_mov_b32 s12, -1
	s_xor_b32 s3, s3, -1
	s_delay_alu instid0(SALU_CYCLE_1)
	s_and_saveexec_b32 s13, s3
	s_cbranch_execz .LBB16_778
; %bb.770:
	s_and_not1_b32 vcc_lo, exec_lo, s16
	s_cbranch_vccnz .LBB16_776
; %bb.771:
	s_waitcnt lgkmcnt(0)
	v_mad_u64_u32 v[4:5], null, v2, s8, s[10:11]
	v_mul_lo_u32 v10, v2, s9
	v_mul_lo_u32 v11, v3, s8
	v_mad_u64_u32 v[6:7], null, v0, s8, s[10:11]
	v_mul_lo_u32 v19, v0, s9
	v_mul_lo_u32 v21, v1, s8
	s_mov_b32 s17, 0
	s_mov_b64 s[4:5], s[8:9]
                                        ; implicit-def: $sgpr20
                                        ; implicit-def: $sgpr21
                                        ; implicit-def: $sgpr22
                                        ; implicit-def: $sgpr23
                                        ; implicit-def: $sgpr24
	s_delay_alu instid0(VALU_DEP_4) | instskip(NEXT) | instid1(VALU_DEP_2)
	v_add3_u32 v5, v11, v5, v10
	v_add3_u32 v7, v21, v7, v19
	s_branch .LBB16_773
.LBB16_772:                             ;   in Loop: Header=BB16_773 Depth=1
	s_or_b32 exec_lo, exec_lo, s3
	s_delay_alu instid0(SALU_CYCLE_1) | instskip(NEXT) | instid1(SALU_CYCLE_1)
	s_and_b32 s3, exec_lo, s21
	s_or_b32 s17, s3, s17
	s_and_not1_b32 s3, s24, exec_lo
	s_and_b32 s24, s23, exec_lo
	s_and_not1_b32 s20, s20, exec_lo
	s_and_b32 s25, s22, exec_lo
	s_or_b32 s24, s3, s24
	s_or_b32 s20, s20, s25
	s_and_not1_b32 exec_lo, exec_lo, s17
	s_cbranch_execz .LBB16_775
.LBB16_773:                             ; =>This Inner Loop Header: Depth=1
	global_load_u8 v10, v[4:5], off
	global_load_u8 v11, v[6:7], off
	s_and_not1_b32 s22, s22, exec_lo
	s_and_not1_b32 s23, s23, exec_lo
	s_or_b32 s21, s21, exec_lo
	s_waitcnt vmcnt(1)
	v_and_b32_e32 v10, 0xff, v10
	s_waitcnt vmcnt(0)
	v_and_b32_e32 v11, 0xff, v11
	s_delay_alu instid0(VALU_DEP_1)
	v_cmp_le_u16_e32 vcc_lo, v10, v11
	v_cmp_lt_u16_e64 s3, v10, v11
	s_and_b32 s25, vcc_lo, s24
	s_delay_alu instid0(VALU_DEP_1) | instid1(SALU_CYCLE_1)
	s_or_b32 s25, s3, s25
	s_delay_alu instid0(SALU_CYCLE_1) | instskip(NEXT) | instid1(SALU_CYCLE_1)
	s_and_b32 s3, s25, exec_lo
	s_or_b32 s22, s22, s3
	s_mov_b32 s3, exec_lo
	v_cmpx_eq_u16_e64 v10, v11
	s_cbranch_execz .LBB16_772
; %bb.774:                              ;   in Loop: Header=BB16_773 Depth=1
	s_add_u32 s4, s4, -1
	s_addc_u32 s5, s5, -1
	v_add_co_u32 v4, vcc_lo, v4, 1
	s_cmp_eq_u64 s[4:5], 0
	v_add_co_ci_u32_e32 v5, vcc_lo, 0, v5, vcc_lo
	v_add_co_u32 v6, vcc_lo, v6, 1
	s_cselect_b32 s24, -1, 0
	v_add_co_ci_u32_e32 v7, vcc_lo, 0, v7, vcc_lo
	s_and_not1_b32 s23, s23, exec_lo
	s_and_b32 s25, s25, exec_lo
	s_and_not1_b32 s21, s21, exec_lo
	s_and_b32 s24, s24, exec_lo
	s_or_b32 s23, s23, s25
	s_and_not1_b32 s22, s22, exec_lo
	s_or_b32 s21, s21, s24
                                        ; implicit-def: $sgpr24
	s_branch .LBB16_772
.LBB16_775:
	s_or_b32 exec_lo, exec_lo, s17
	s_xor_b32 s3, s20, -1
	s_branch .LBB16_777
.LBB16_776:
	s_mov_b32 s3, -1
.LBB16_777:
	s_and_not1_b32 s4, s7, exec_lo
	s_and_b32 s3, s3, exec_lo
	s_delay_alu instid0(SALU_CYCLE_1)
	s_or_b32 s7, s4, s3
.LBB16_778:
	s_or_b32 exec_lo, exec_lo, s13
	v_cndmask_b32_e64 v4, v9, v8, s7
	v_cndmask_b32_e64 v5, v20, v22, s7
	s_mov_b32 s13, exec_lo
	s_delay_alu instid0(VALU_DEP_2) | instskip(NEXT) | instid1(VALU_DEP_2)
	v_add_nc_u32_e32 v6, 1, v4
	v_add_nc_u32_e32 v4, -1, v5
	s_delay_alu instid0(VALU_DEP_2) | instskip(NEXT) | instid1(VALU_DEP_2)
	v_cndmask_b32_e64 v9, v6, v9, s7
	v_min_u32_e32 v4, v6, v4
	v_cndmask_b32_e64 v8, v8, v6, s7
	s_delay_alu instid0(VALU_DEP_2)
	v_lshl_add_u32 v4, v4, 3, v18
	ds_load_b64 v[4:5], v4
	s_waitcnt lgkmcnt(0)
	v_cndmask_b32_e64 v19, v5, v3, s7
	v_cndmask_b32_e64 v21, v4, v2, s7
	;; [unrolled: 1-line block ×4, first 2 shown]
	v_cmpx_lt_u32_e64 v9, v20
	s_cbranch_execz .LBB16_789
; %bb.779:
	s_mov_b32 s3, 0
	s_mov_b32 s12, exec_lo
	v_cmpx_lt_u32_e64 v8, v22
	s_cbranch_execz .LBB16_788
; %bb.780:
	s_and_not1_b32 vcc_lo, exec_lo, s16
	s_cbranch_vccnz .LBB16_786
; %bb.781:
	v_mad_u64_u32 v[4:5], null, v21, s8, s[10:11]
	v_mul_lo_u32 v10, v21, s9
	v_mul_lo_u32 v11, v19, s8
	v_mad_u64_u32 v[6:7], null, v24, s8, s[10:11]
	v_mul_lo_u32 v25, v24, s9
	v_mul_lo_u32 v28, v23, s8
	s_mov_b32 s17, 0
	s_mov_b64 s[4:5], s[8:9]
                                        ; implicit-def: $sgpr20
                                        ; implicit-def: $sgpr21
                                        ; implicit-def: $sgpr22
                                        ; implicit-def: $sgpr23
                                        ; implicit-def: $sgpr24
	s_delay_alu instid0(VALU_DEP_4) | instskip(NEXT) | instid1(VALU_DEP_2)
	v_add3_u32 v5, v11, v5, v10
	v_add3_u32 v7, v28, v7, v25
	s_branch .LBB16_783
.LBB16_782:                             ;   in Loop: Header=BB16_783 Depth=1
	s_or_b32 exec_lo, exec_lo, s3
	s_delay_alu instid0(SALU_CYCLE_1) | instskip(NEXT) | instid1(SALU_CYCLE_1)
	s_and_b32 s3, exec_lo, s21
	s_or_b32 s17, s3, s17
	s_and_not1_b32 s3, s24, exec_lo
	s_and_b32 s24, s23, exec_lo
	s_and_not1_b32 s20, s20, exec_lo
	s_and_b32 s25, s22, exec_lo
	s_or_b32 s24, s3, s24
	s_or_b32 s20, s20, s25
	s_and_not1_b32 exec_lo, exec_lo, s17
	s_cbranch_execz .LBB16_785
.LBB16_783:                             ; =>This Inner Loop Header: Depth=1
	global_load_u8 v10, v[4:5], off
	global_load_u8 v11, v[6:7], off
	s_and_not1_b32 s22, s22, exec_lo
	s_and_not1_b32 s23, s23, exec_lo
	s_or_b32 s21, s21, exec_lo
	s_waitcnt vmcnt(1)
	v_and_b32_e32 v10, 0xff, v10
	s_waitcnt vmcnt(0)
	v_and_b32_e32 v11, 0xff, v11
	s_delay_alu instid0(VALU_DEP_1)
	v_cmp_le_u16_e32 vcc_lo, v10, v11
	v_cmp_lt_u16_e64 s3, v10, v11
	s_and_b32 s25, vcc_lo, s24
	s_delay_alu instid0(VALU_DEP_1) | instid1(SALU_CYCLE_1)
	s_or_b32 s25, s3, s25
	s_delay_alu instid0(SALU_CYCLE_1) | instskip(NEXT) | instid1(SALU_CYCLE_1)
	s_and_b32 s3, s25, exec_lo
	s_or_b32 s22, s22, s3
	s_mov_b32 s3, exec_lo
	v_cmpx_eq_u16_e64 v10, v11
	s_cbranch_execz .LBB16_782
; %bb.784:                              ;   in Loop: Header=BB16_783 Depth=1
	s_add_u32 s4, s4, -1
	s_addc_u32 s5, s5, -1
	v_add_co_u32 v4, vcc_lo, v4, 1
	s_cmp_eq_u64 s[4:5], 0
	v_add_co_ci_u32_e32 v5, vcc_lo, 0, v5, vcc_lo
	v_add_co_u32 v6, vcc_lo, v6, 1
	s_cselect_b32 s24, -1, 0
	v_add_co_ci_u32_e32 v7, vcc_lo, 0, v7, vcc_lo
	s_and_not1_b32 s23, s23, exec_lo
	s_and_b32 s25, s25, exec_lo
	s_and_not1_b32 s21, s21, exec_lo
	s_and_b32 s24, s24, exec_lo
	s_or_b32 s23, s23, s25
	s_and_not1_b32 s22, s22, exec_lo
	s_or_b32 s21, s21, s24
                                        ; implicit-def: $sgpr24
	s_branch .LBB16_782
.LBB16_785:
	s_or_b32 exec_lo, exec_lo, s17
	s_xor_b32 s3, s20, -1
	s_branch .LBB16_787
.LBB16_786:
	s_mov_b32 s3, -1
.LBB16_787:
	s_delay_alu instid0(SALU_CYCLE_1)
	s_and_b32 s3, s3, exec_lo
.LBB16_788:
	s_or_b32 exec_lo, exec_lo, s12
	s_delay_alu instid0(SALU_CYCLE_1)
	s_or_not1_b32 s12, s3, exec_lo
.LBB16_789:
	s_or_b32 exec_lo, exec_lo, s13
	v_cndmask_b32_e64 v4, v9, v8, s12
	v_cndmask_b32_e64 v5, v20, v22, s12
	s_mov_b32 s13, -1
	s_mov_b32 s17, exec_lo
	s_delay_alu instid0(VALU_DEP_2) | instskip(NEXT) | instid1(VALU_DEP_2)
	v_add_nc_u32_e32 v6, 1, v4
	v_add_nc_u32_e32 v4, -1, v5
	s_delay_alu instid0(VALU_DEP_2) | instskip(NEXT) | instid1(VALU_DEP_2)
	v_cndmask_b32_e64 v9, v6, v9, s12
	v_min_u32_e32 v4, v6, v4
	v_cndmask_b32_e64 v8, v8, v6, s12
	s_delay_alu instid0(VALU_DEP_2)
	v_lshl_add_u32 v4, v4, 3, v18
	ds_load_b64 v[4:5], v4
	s_waitcnt lgkmcnt(0)
	v_cndmask_b32_e64 v25, v5, v19, s12
	v_cndmask_b32_e64 v28, v4, v21, s12
	;; [unrolled: 1-line block ×4, first 2 shown]
	v_cmpx_lt_u32_e64 v9, v20
	s_cbranch_execz .LBB16_800
; %bb.790:
	s_mov_b32 s3, 0
	s_mov_b32 s13, exec_lo
	v_cmpx_lt_u32_e64 v8, v22
	s_cbranch_execz .LBB16_799
; %bb.791:
	s_and_not1_b32 vcc_lo, exec_lo, s16
	s_cbranch_vccnz .LBB16_797
; %bb.792:
	v_mad_u64_u32 v[4:5], null, v28, s8, s[10:11]
	v_mul_lo_u32 v10, v28, s9
	v_mul_lo_u32 v11, v25, s8
	v_mad_u64_u32 v[6:7], null, v30, s8, s[10:11]
	v_mul_lo_u32 v31, v30, s9
	v_mul_lo_u32 v32, v29, s8
	s_mov_b32 s20, 0
	s_mov_b64 s[4:5], s[8:9]
                                        ; implicit-def: $sgpr21
                                        ; implicit-def: $sgpr22
                                        ; implicit-def: $sgpr23
                                        ; implicit-def: $sgpr24
                                        ; implicit-def: $sgpr25
	s_delay_alu instid0(VALU_DEP_4) | instskip(NEXT) | instid1(VALU_DEP_2)
	v_add3_u32 v5, v11, v5, v10
	v_add3_u32 v7, v32, v7, v31
	s_branch .LBB16_794
.LBB16_793:                             ;   in Loop: Header=BB16_794 Depth=1
	s_or_b32 exec_lo, exec_lo, s3
	s_delay_alu instid0(SALU_CYCLE_1) | instskip(NEXT) | instid1(SALU_CYCLE_1)
	s_and_b32 s3, exec_lo, s22
	s_or_b32 s20, s3, s20
	s_and_not1_b32 s3, s25, exec_lo
	s_and_b32 s25, s24, exec_lo
	s_and_not1_b32 s21, s21, exec_lo
	s_and_b32 s26, s23, exec_lo
	s_or_b32 s25, s3, s25
	s_or_b32 s21, s21, s26
	s_and_not1_b32 exec_lo, exec_lo, s20
	s_cbranch_execz .LBB16_796
.LBB16_794:                             ; =>This Inner Loop Header: Depth=1
	global_load_u8 v10, v[4:5], off
	global_load_u8 v11, v[6:7], off
	s_and_not1_b32 s23, s23, exec_lo
	s_and_not1_b32 s24, s24, exec_lo
	s_or_b32 s22, s22, exec_lo
	s_waitcnt vmcnt(1)
	v_and_b32_e32 v10, 0xff, v10
	s_waitcnt vmcnt(0)
	v_and_b32_e32 v11, 0xff, v11
	s_delay_alu instid0(VALU_DEP_1)
	v_cmp_le_u16_e32 vcc_lo, v10, v11
	v_cmp_lt_u16_e64 s3, v10, v11
	s_and_b32 s26, vcc_lo, s25
	s_delay_alu instid0(VALU_DEP_1) | instid1(SALU_CYCLE_1)
	s_or_b32 s26, s3, s26
	s_delay_alu instid0(SALU_CYCLE_1) | instskip(NEXT) | instid1(SALU_CYCLE_1)
	s_and_b32 s3, s26, exec_lo
	s_or_b32 s23, s23, s3
	s_mov_b32 s3, exec_lo
	v_cmpx_eq_u16_e64 v10, v11
	s_cbranch_execz .LBB16_793
; %bb.795:                              ;   in Loop: Header=BB16_794 Depth=1
	s_add_u32 s4, s4, -1
	s_addc_u32 s5, s5, -1
	v_add_co_u32 v4, vcc_lo, v4, 1
	s_cmp_eq_u64 s[4:5], 0
	v_add_co_ci_u32_e32 v5, vcc_lo, 0, v5, vcc_lo
	v_add_co_u32 v6, vcc_lo, v6, 1
	s_cselect_b32 s25, -1, 0
	v_add_co_ci_u32_e32 v7, vcc_lo, 0, v7, vcc_lo
	s_and_not1_b32 s24, s24, exec_lo
	s_and_b32 s26, s26, exec_lo
	s_and_not1_b32 s22, s22, exec_lo
	s_and_b32 s25, s25, exec_lo
	s_or_b32 s24, s24, s26
	s_and_not1_b32 s23, s23, exec_lo
	s_or_b32 s22, s22, s25
                                        ; implicit-def: $sgpr25
	s_branch .LBB16_793
.LBB16_796:
	s_or_b32 exec_lo, exec_lo, s20
	s_xor_b32 s3, s21, -1
	s_branch .LBB16_798
.LBB16_797:
	s_mov_b32 s3, -1
.LBB16_798:
	s_delay_alu instid0(SALU_CYCLE_1)
	s_and_b32 s3, s3, exec_lo
.LBB16_799:
	s_or_b32 exec_lo, exec_lo, s13
	s_delay_alu instid0(SALU_CYCLE_1)
	s_or_not1_b32 s13, s3, exec_lo
.LBB16_800:
	s_or_b32 exec_lo, exec_lo, s17
	v_cndmask_b32_e64 v4, v9, v8, s13
	v_cndmask_b32_e64 v5, v20, v22, s13
	s_mov_b32 s17, exec_lo
	s_delay_alu instid0(VALU_DEP_2) | instskip(NEXT) | instid1(VALU_DEP_2)
	v_add_nc_u32_e32 v10, 1, v4
	v_add_nc_u32_e32 v4, -1, v5
	s_delay_alu instid0(VALU_DEP_2) | instskip(NEXT) | instid1(VALU_DEP_2)
	v_cndmask_b32_e64 v9, v10, v9, s13
	v_min_u32_e32 v4, v10, v4
	s_delay_alu instid0(VALU_DEP_1)
	v_lshl_add_u32 v4, v4, 3, v18
	ds_load_b64 v[4:5], v4
	s_waitcnt lgkmcnt(0)
	v_cndmask_b32_e64 v7, v29, v5, s13
	v_cndmask_b32_e64 v6, v30, v4, s13
	v_cmpx_lt_u32_e64 v9, v20
	s_cbranch_execz .LBB16_810
; %bb.801:
	v_cndmask_b32_e64 v8, v8, v10, s13
	v_cndmask_b32_e64 v5, v5, v25, s13
	;; [unrolled: 1-line block ×3, first 2 shown]
	s_mov_b32 s20, exec_lo
	s_delay_alu instid0(VALU_DEP_3)
	v_cmpx_lt_u32_e64 v8, v22
	s_cbranch_execz .LBB16_809
; %bb.802:
	s_and_not1_b32 vcc_lo, exec_lo, s16
	s_cbranch_vccnz .LBB16_808
; %bb.803:
	v_mad_u64_u32 v[8:9], null, v4, s8, s[10:11]
	v_mul_lo_u32 v18, v4, s9
	v_mul_lo_u32 v20, v5, s8
	v_mad_u64_u32 v[10:11], null, v6, s8, s[10:11]
	v_mul_lo_u32 v22, v6, s9
	v_mul_lo_u32 v31, v7, s8
	s_mov_b32 s21, 0
	s_mov_b64 s[4:5], s[8:9]
                                        ; implicit-def: $sgpr22
                                        ; implicit-def: $sgpr23
                                        ; implicit-def: $sgpr24
                                        ; implicit-def: $sgpr25
                                        ; implicit-def: $sgpr26
	s_delay_alu instid0(VALU_DEP_4) | instskip(NEXT) | instid1(VALU_DEP_2)
	v_add3_u32 v9, v20, v9, v18
	v_add3_u32 v11, v31, v11, v22
	s_branch .LBB16_805
.LBB16_804:                             ;   in Loop: Header=BB16_805 Depth=1
	s_or_b32 exec_lo, exec_lo, s3
	s_delay_alu instid0(SALU_CYCLE_1) | instskip(NEXT) | instid1(SALU_CYCLE_1)
	s_and_b32 s3, exec_lo, s23
	s_or_b32 s21, s3, s21
	s_and_not1_b32 s3, s26, exec_lo
	s_and_b32 s26, s25, exec_lo
	s_and_not1_b32 s22, s22, exec_lo
	s_and_b32 s27, s24, exec_lo
	s_or_b32 s26, s3, s26
	s_or_b32 s22, s22, s27
	s_and_not1_b32 exec_lo, exec_lo, s21
	s_cbranch_execz .LBB16_807
.LBB16_805:                             ; =>This Inner Loop Header: Depth=1
	global_load_u8 v18, v[8:9], off
	global_load_u8 v20, v[10:11], off
	s_and_not1_b32 s24, s24, exec_lo
	s_and_not1_b32 s25, s25, exec_lo
	s_or_b32 s23, s23, exec_lo
	s_waitcnt vmcnt(1)
	v_and_b32_e32 v18, 0xff, v18
	s_waitcnt vmcnt(0)
	v_and_b32_e32 v20, 0xff, v20
	s_delay_alu instid0(VALU_DEP_1)
	v_cmp_le_u16_e32 vcc_lo, v18, v20
	v_cmp_lt_u16_e64 s3, v18, v20
	s_and_b32 s27, vcc_lo, s26
	s_delay_alu instid0(VALU_DEP_1) | instid1(SALU_CYCLE_1)
	s_or_b32 s27, s3, s27
	s_delay_alu instid0(SALU_CYCLE_1) | instskip(NEXT) | instid1(SALU_CYCLE_1)
	s_and_b32 s3, s27, exec_lo
	s_or_b32 s24, s24, s3
	s_mov_b32 s3, exec_lo
	v_cmpx_eq_u16_e64 v18, v20
	s_cbranch_execz .LBB16_804
; %bb.806:                              ;   in Loop: Header=BB16_805 Depth=1
	s_add_u32 s4, s4, -1
	s_addc_u32 s5, s5, -1
	v_add_co_u32 v8, vcc_lo, v8, 1
	s_cmp_eq_u64 s[4:5], 0
	v_add_co_ci_u32_e32 v9, vcc_lo, 0, v9, vcc_lo
	v_add_co_u32 v10, vcc_lo, v10, 1
	s_cselect_b32 s26, -1, 0
	v_add_co_ci_u32_e32 v11, vcc_lo, 0, v11, vcc_lo
	s_and_not1_b32 s25, s25, exec_lo
	s_and_b32 s27, s27, exec_lo
	s_and_not1_b32 s23, s23, exec_lo
	s_and_b32 s26, s26, exec_lo
	s_or_b32 s25, s25, s27
	s_and_not1_b32 s24, s24, exec_lo
	s_or_b32 s23, s23, s26
                                        ; implicit-def: $sgpr26
	s_branch .LBB16_804
.LBB16_807:
	s_or_b32 exec_lo, exec_lo, s21
	v_cndmask_b32_e64 v7, v7, v5, s22
	v_cndmask_b32_e64 v6, v6, v4, s22
.LBB16_808:
	s_delay_alu instid0(VALU_DEP_1)
	v_dual_mov_b32 v4, v6 :: v_dual_mov_b32 v5, v7
.LBB16_809:
	s_or_b32 exec_lo, exec_lo, s20
	s_delay_alu instid0(VALU_DEP_1)
	v_dual_mov_b32 v7, v5 :: v_dual_mov_b32 v6, v4
.LBB16_810:
	s_or_b32 exec_lo, exec_lo, s17
	v_cndmask_b32_e64 v1, v3, v1, s7
	v_cndmask_b32_e64 v0, v2, v0, s7
	;; [unrolled: 1-line block ×6, first 2 shown]
.LBB16_811:
	s_or_b32 exec_lo, exec_lo, s6
	s_cmpk_lt_u32 s18, 0x41
	; wave barrier
	s_waitcnt lgkmcnt(0)
	s_barrier
	buffer_gl0_inv
	s_cbranch_scc1 .LBB16_871
; %bb.812:
	v_lshlrev_b32_e32 v18, 3, v27
	s_mov_b32 s6, 64
	s_branch .LBB16_818
.LBB16_813:                             ;   in Loop: Header=BB16_818 Depth=1
	s_or_b32 exec_lo, exec_lo, s22
	v_cndmask_b32_e64 v7, v7, v5, s23
	v_cndmask_b32_e64 v6, v6, v4, s23
.LBB16_814:                             ;   in Loop: Header=BB16_818 Depth=1
	s_delay_alu instid0(VALU_DEP_1)
	v_dual_mov_b32 v4, v6 :: v_dual_mov_b32 v5, v7
.LBB16_815:                             ;   in Loop: Header=BB16_818 Depth=1
	s_or_b32 exec_lo, exec_lo, s21
	s_delay_alu instid0(VALU_DEP_1)
	v_dual_mov_b32 v7, v5 :: v_dual_mov_b32 v6, v4
.LBB16_816:                             ;   in Loop: Header=BB16_818 Depth=1
	s_or_b32 exec_lo, exec_lo, s20
	v_cndmask_b32_e64 v1, v3, v1, s12
	v_cndmask_b32_e64 v0, v2, v0, s12
	;; [unrolled: 1-line block ×6, first 2 shown]
.LBB16_817:                             ;   in Loop: Header=BB16_818 Depth=1
	s_or_b32 exec_lo, exec_lo, s7
	s_cmp_lt_u32 s6, s18
	s_barrier
	buffer_gl0_inv
	s_cbranch_scc0 .LBB16_871
.LBB16_818:                             ; =>This Loop Header: Depth=1
                                        ;     Child Loop BB16_822 Depth 2
                                        ;       Child Loop BB16_825 Depth 3
                                        ;     Child Loop BB16_837 Depth 2
                                        ;     Child Loop BB16_847 Depth 2
	;; [unrolled: 1-line block ×4, first 2 shown]
	s_mov_b32 s3, s6
	s_lshl_b32 s6, s6, 1
	s_mov_b32 s7, exec_lo
	s_sub_i32 s4, 0, s6
	ds_store_b128 v18, v[0:3]
	ds_store_b128 v18, v[4:7] offset:16
	v_and_b32_e32 v23, s4, v27
	s_waitcnt lgkmcnt(0)
	s_barrier
	buffer_gl0_inv
	v_add_nc_u32_e32 v8, s3, v23
	v_lshlrev_b32_e32 v22, 3, v23
	s_delay_alu instid0(VALU_DEP_2) | instskip(NEXT) | instid1(VALU_DEP_1)
	v_min_u32_e32 v19, s18, v8
	v_add_nc_u32_e32 v8, s3, v19
	s_add_i32 s3, s6, -1
	s_delay_alu instid0(SALU_CYCLE_1) | instskip(NEXT) | instid1(VALU_DEP_2)
	v_and_b32_e32 v9, s3, v27
	v_min_u32_e32 v20, s18, v8
	v_sub_nc_u32_e32 v8, v19, v23
	s_delay_alu instid0(VALU_DEP_3) | instskip(NEXT) | instid1(VALU_DEP_3)
	v_min_u32_e32 v24, s18, v9
	v_sub_nc_u32_e32 v9, v20, v19
	s_delay_alu instid0(VALU_DEP_2) | instskip(NEXT) | instid1(VALU_DEP_2)
	v_min_u32_e32 v25, v24, v8
	v_sub_nc_u32_e64 v21, v24, v9 clamp
	s_delay_alu instid0(VALU_DEP_1)
	v_cmpx_lt_u32_e64 v21, v25
	s_cbranch_execz .LBB16_828
; %bb.819:                              ;   in Loop: Header=BB16_818 Depth=1
	v_lshlrev_b32_e32 v8, 3, v24
	s_mov_b32 s12, 0
	s_delay_alu instid0(VALU_DEP_1)
	v_lshl_add_u32 v28, v19, 3, v8
	s_branch .LBB16_822
.LBB16_820:                             ;   in Loop: Header=BB16_822 Depth=2
	s_or_b32 exec_lo, exec_lo, s13
.LBB16_821:                             ;   in Loop: Header=BB16_822 Depth=2
	s_delay_alu instid0(VALU_DEP_1) | instskip(SKIP_1) | instid1(VALU_DEP_2)
	v_add_nc_u32_e32 v8, 1, v29
	v_cndmask_b32_e64 v25, v25, v29, s17
	v_cndmask_b32_e64 v21, v8, v21, s17
	s_delay_alu instid0(VALU_DEP_1) | instskip(SKIP_1) | instid1(SALU_CYCLE_1)
	v_cmp_ge_u32_e32 vcc_lo, v21, v25
	s_or_b32 s12, vcc_lo, s12
	s_and_not1_b32 exec_lo, exec_lo, s12
	s_cbranch_execz .LBB16_827
.LBB16_822:                             ;   Parent Loop BB16_818 Depth=1
                                        ; =>  This Loop Header: Depth=2
                                        ;       Child Loop BB16_825 Depth 3
	v_add_nc_u32_e32 v8, v25, v21
	s_and_not1_b32 vcc_lo, exec_lo, s16
	s_mov_b32 s17, 0
	s_delay_alu instid0(VALU_DEP_1)
	v_lshrrev_b32_e32 v29, 1, v8
	s_cbranch_vccnz .LBB16_821
; %bb.823:                              ;   in Loop: Header=BB16_822 Depth=2
	s_delay_alu instid0(VALU_DEP_1) | instskip(SKIP_3) | instid1(VALU_DEP_2)
	v_not_b32_e32 v8, v29
	v_lshl_add_u32 v9, v29, 3, v22
	s_mov_b32 s13, 0
	s_mov_b64 s[4:5], s[8:9]
                                        ; implicit-def: $sgpr17
                                        ; implicit-def: $sgpr20
                                        ; implicit-def: $sgpr21
                                        ; implicit-def: $sgpr22
                                        ; implicit-def: $sgpr23
	v_lshl_add_u32 v8, v8, 3, v28
	ds_load_b64 v[10:11], v8
	ds_load_b64 v[30:31], v9
	s_waitcnt lgkmcnt(1)
	v_mul_lo_u32 v32, v10, s9
	v_mul_lo_u32 v33, v11, s8
	v_mad_u64_u32 v[8:9], null, v10, s8, s[10:11]
	s_waitcnt lgkmcnt(0)
	v_mul_lo_u32 v34, v30, s9
	v_mul_lo_u32 v31, v31, s8
	v_mad_u64_u32 v[10:11], null, v30, s8, s[10:11]
	s_delay_alu instid0(VALU_DEP_4) | instskip(NEXT) | instid1(VALU_DEP_2)
	v_add3_u32 v9, v33, v9, v32
	v_add3_u32 v11, v31, v11, v34
	s_branch .LBB16_825
.LBB16_824:                             ;   in Loop: Header=BB16_825 Depth=3
	s_or_b32 exec_lo, exec_lo, s3
	s_delay_alu instid0(SALU_CYCLE_1) | instskip(NEXT) | instid1(SALU_CYCLE_1)
	s_and_b32 s3, exec_lo, s20
	s_or_b32 s13, s3, s13
	s_and_not1_b32 s3, s23, exec_lo
	s_and_b32 s23, s21, exec_lo
	s_and_not1_b32 s17, s17, exec_lo
	s_and_b32 s24, s22, exec_lo
	s_or_b32 s23, s3, s23
	s_or_b32 s17, s17, s24
	s_and_not1_b32 exec_lo, exec_lo, s13
	s_cbranch_execz .LBB16_820
.LBB16_825:                             ;   Parent Loop BB16_818 Depth=1
                                        ;     Parent Loop BB16_822 Depth=2
                                        ; =>    This Inner Loop Header: Depth=3
	global_load_u8 v30, v[8:9], off
	global_load_u8 v31, v[10:11], off
	s_and_not1_b32 s22, s22, exec_lo
	s_and_not1_b32 s21, s21, exec_lo
	s_or_b32 s20, s20, exec_lo
	s_waitcnt vmcnt(1)
	v_and_b32_e32 v30, 0xff, v30
	s_waitcnt vmcnt(0)
	v_and_b32_e32 v31, 0xff, v31
	s_delay_alu instid0(VALU_DEP_1)
	v_cmp_le_u16_e32 vcc_lo, v30, v31
	v_cmp_lt_u16_e64 s3, v30, v31
	s_and_b32 s24, vcc_lo, s23
	s_delay_alu instid0(VALU_DEP_1) | instid1(SALU_CYCLE_1)
	s_or_b32 s24, s3, s24
	s_delay_alu instid0(SALU_CYCLE_1) | instskip(NEXT) | instid1(SALU_CYCLE_1)
	s_and_b32 s3, s24, exec_lo
	s_or_b32 s22, s22, s3
	s_mov_b32 s3, exec_lo
	v_cmpx_eq_u16_e64 v30, v31
	s_cbranch_execz .LBB16_824
; %bb.826:                              ;   in Loop: Header=BB16_825 Depth=3
	s_add_u32 s4, s4, -1
	s_addc_u32 s5, s5, -1
	v_add_co_u32 v8, vcc_lo, v8, 1
	v_add_co_ci_u32_e32 v9, vcc_lo, 0, v9, vcc_lo
	s_cmp_eq_u64 s[4:5], 0
	v_add_co_u32 v10, vcc_lo, v10, 1
	s_cselect_b32 s23, -1, 0
	v_add_co_ci_u32_e32 v11, vcc_lo, 0, v11, vcc_lo
	s_and_not1_b32 s21, s21, exec_lo
	s_and_b32 s24, s24, exec_lo
	s_and_not1_b32 s20, s20, exec_lo
	s_and_b32 s23, s23, exec_lo
	s_and_not1_b32 s22, s22, exec_lo
	s_or_b32 s21, s21, s24
	s_or_b32 s20, s20, s23
                                        ; implicit-def: $sgpr23
	s_branch .LBB16_824
.LBB16_827:                             ;   in Loop: Header=BB16_818 Depth=1
	s_or_b32 exec_lo, exec_lo, s12
.LBB16_828:                             ;   in Loop: Header=BB16_818 Depth=1
	s_delay_alu instid0(SALU_CYCLE_1) | instskip(SKIP_2) | instid1(VALU_DEP_2)
	s_or_b32 exec_lo, exec_lo, s7
	v_sub_nc_u32_e32 v9, v24, v21
	v_add_nc_u32_e32 v8, v21, v23
	v_add_nc_u32_e32 v9, v9, v19
	s_delay_alu instid0(VALU_DEP_2) | instskip(NEXT) | instid1(VALU_DEP_2)
	v_cmp_le_u32_e32 vcc_lo, v8, v19
	v_cmp_le_u32_e64 s3, v9, v20
	s_delay_alu instid0(VALU_DEP_1) | instskip(NEXT) | instid1(SALU_CYCLE_1)
	s_or_b32 s3, vcc_lo, s3
	s_and_saveexec_b32 s7, s3
	s_cbranch_execz .LBB16_817
; %bb.829:                              ;   in Loop: Header=BB16_818 Depth=1
	v_cmp_ge_u32_e32 vcc_lo, v8, v19
	s_mov_b32 s4, exec_lo
                                        ; implicit-def: $vgpr0_vgpr1
	v_cmpx_lt_u32_e64 v8, v19
	s_cbranch_execz .LBB16_831
; %bb.830:                              ;   in Loop: Header=BB16_818 Depth=1
	v_lshl_add_u32 v0, v21, 3, v22
	ds_load_b64 v[0:1], v0
.LBB16_831:                             ;   in Loop: Header=BB16_818 Depth=1
	s_or_b32 exec_lo, exec_lo, s4
	v_cmp_ge_u32_e64 s12, v9, v20
	s_mov_b32 s4, exec_lo
                                        ; implicit-def: $vgpr2_vgpr3
	v_cmpx_lt_u32_e64 v9, v20
	s_cbranch_execz .LBB16_833
; %bb.832:                              ;   in Loop: Header=BB16_818 Depth=1
	v_lshlrev_b32_e32 v2, 3, v9
	ds_load_b64 v[2:3], v2
.LBB16_833:                             ;   in Loop: Header=BB16_818 Depth=1
	s_or_b32 exec_lo, exec_lo, s4
	s_or_b32 s3, vcc_lo, s12
	s_delay_alu instid0(SALU_CYCLE_1) | instskip(NEXT) | instid1(SALU_CYCLE_1)
	s_xor_b32 s3, s3, -1
	s_and_saveexec_b32 s13, s3
	s_cbranch_execz .LBB16_842
; %bb.834:                              ;   in Loop: Header=BB16_818 Depth=1
	s_and_not1_b32 vcc_lo, exec_lo, s16
	s_cbranch_vccnz .LBB16_840
; %bb.835:                              ;   in Loop: Header=BB16_818 Depth=1
	s_waitcnt lgkmcnt(0)
	v_mad_u64_u32 v[4:5], null, v2, s8, s[10:11]
	v_mul_lo_u32 v10, v2, s9
	v_mul_lo_u32 v11, v3, s8
	v_mad_u64_u32 v[6:7], null, v0, s8, s[10:11]
	v_mul_lo_u32 v21, v0, s9
	v_mul_lo_u32 v22, v1, s8
	s_mov_b32 s17, 0
	s_mov_b64 s[4:5], s[8:9]
                                        ; implicit-def: $sgpr20
                                        ; implicit-def: $sgpr21
                                        ; implicit-def: $sgpr22
                                        ; implicit-def: $sgpr23
                                        ; implicit-def: $sgpr24
	s_delay_alu instid0(VALU_DEP_4) | instskip(NEXT) | instid1(VALU_DEP_2)
	v_add3_u32 v5, v11, v5, v10
	v_add3_u32 v7, v22, v7, v21
	s_branch .LBB16_837
.LBB16_836:                             ;   in Loop: Header=BB16_837 Depth=2
	s_or_b32 exec_lo, exec_lo, s3
	s_delay_alu instid0(SALU_CYCLE_1) | instskip(NEXT) | instid1(SALU_CYCLE_1)
	s_and_b32 s3, exec_lo, s21
	s_or_b32 s17, s3, s17
	s_and_not1_b32 s3, s24, exec_lo
	s_and_b32 s24, s23, exec_lo
	s_and_not1_b32 s20, s20, exec_lo
	s_and_b32 s25, s22, exec_lo
	s_or_b32 s24, s3, s24
	s_or_b32 s20, s20, s25
	s_and_not1_b32 exec_lo, exec_lo, s17
	s_cbranch_execz .LBB16_839
.LBB16_837:                             ;   Parent Loop BB16_818 Depth=1
                                        ; =>  This Inner Loop Header: Depth=2
	global_load_u8 v10, v[4:5], off
	global_load_u8 v11, v[6:7], off
	s_and_not1_b32 s22, s22, exec_lo
	s_and_not1_b32 s23, s23, exec_lo
	s_or_b32 s21, s21, exec_lo
	s_waitcnt vmcnt(1)
	v_and_b32_e32 v10, 0xff, v10
	s_waitcnt vmcnt(0)
	v_and_b32_e32 v11, 0xff, v11
	s_delay_alu instid0(VALU_DEP_1)
	v_cmp_le_u16_e32 vcc_lo, v10, v11
	v_cmp_lt_u16_e64 s3, v10, v11
	s_and_b32 s25, vcc_lo, s24
	s_delay_alu instid0(VALU_DEP_1) | instid1(SALU_CYCLE_1)
	s_or_b32 s25, s3, s25
	s_delay_alu instid0(SALU_CYCLE_1) | instskip(NEXT) | instid1(SALU_CYCLE_1)
	s_and_b32 s3, s25, exec_lo
	s_or_b32 s22, s22, s3
	s_mov_b32 s3, exec_lo
	v_cmpx_eq_u16_e64 v10, v11
	s_cbranch_execz .LBB16_836
; %bb.838:                              ;   in Loop: Header=BB16_837 Depth=2
	s_add_u32 s4, s4, -1
	s_addc_u32 s5, s5, -1
	v_add_co_u32 v4, vcc_lo, v4, 1
	s_cmp_eq_u64 s[4:5], 0
	v_add_co_ci_u32_e32 v5, vcc_lo, 0, v5, vcc_lo
	s_cselect_b32 s24, -1, 0
	s_and_not1_b32 s23, s23, exec_lo
	s_and_b32 s25, s25, exec_lo
	v_add_co_u32 v6, vcc_lo, v6, 1
	s_and_not1_b32 s21, s21, exec_lo
	s_and_b32 s24, s24, exec_lo
	v_add_co_ci_u32_e32 v7, vcc_lo, 0, v7, vcc_lo
	s_or_b32 s23, s23, s25
	s_and_not1_b32 s22, s22, exec_lo
	s_or_b32 s21, s21, s24
                                        ; implicit-def: $sgpr24
	s_branch .LBB16_836
.LBB16_839:                             ;   in Loop: Header=BB16_818 Depth=1
	s_or_b32 exec_lo, exec_lo, s17
	s_xor_b32 s3, s20, -1
	s_branch .LBB16_841
.LBB16_840:                             ;   in Loop: Header=BB16_818 Depth=1
	s_mov_b32 s3, -1
.LBB16_841:                             ;   in Loop: Header=BB16_818 Depth=1
	s_and_not1_b32 s4, s12, exec_lo
	s_and_b32 s3, s3, exec_lo
	s_delay_alu instid0(SALU_CYCLE_1)
	s_or_b32 s12, s4, s3
.LBB16_842:                             ;   in Loop: Header=BB16_818 Depth=1
	s_or_b32 exec_lo, exec_lo, s13
	v_cndmask_b32_e64 v4, v9, v8, s12
	v_cndmask_b32_e64 v5, v20, v19, s12
	s_mov_b32 s13, -1
	s_mov_b32 s17, -1
	s_mov_b32 s20, exec_lo
	v_add_nc_u32_e32 v6, 1, v4
	v_add_nc_u32_e32 v4, -1, v5
	s_delay_alu instid0(VALU_DEP_2) | instskip(NEXT) | instid1(VALU_DEP_2)
	v_cndmask_b32_e64 v9, v6, v9, s12
	v_min_u32_e32 v4, v6, v4
	v_cndmask_b32_e64 v8, v8, v6, s12
	s_delay_alu instid0(VALU_DEP_2)
	v_lshlrev_b32_e32 v4, 3, v4
	ds_load_b64 v[4:5], v4
	s_waitcnt lgkmcnt(0)
	v_cndmask_b32_e64 v21, v5, v3, s12
	v_cndmask_b32_e64 v22, v4, v2, s12
	v_cndmask_b32_e64 v23, v1, v5, s12
	v_cndmask_b32_e64 v24, v0, v4, s12
	v_cmpx_lt_u32_e64 v9, v20
	s_cbranch_execz .LBB16_853
; %bb.843:                              ;   in Loop: Header=BB16_818 Depth=1
	s_mov_b32 s3, 0
	s_mov_b32 s17, exec_lo
	v_cmpx_lt_u32_e64 v8, v19
	s_cbranch_execz .LBB16_852
; %bb.844:                              ;   in Loop: Header=BB16_818 Depth=1
	s_and_not1_b32 vcc_lo, exec_lo, s16
	s_cbranch_vccnz .LBB16_850
; %bb.845:                              ;   in Loop: Header=BB16_818 Depth=1
	v_mad_u64_u32 v[4:5], null, v22, s8, s[10:11]
	v_mul_lo_u32 v10, v22, s9
	v_mul_lo_u32 v11, v21, s8
	v_mad_u64_u32 v[6:7], null, v24, s8, s[10:11]
	v_mul_lo_u32 v25, v24, s9
	v_mul_lo_u32 v28, v23, s8
	s_mov_b32 s21, 0
	s_mov_b64 s[4:5], s[8:9]
                                        ; implicit-def: $sgpr22
                                        ; implicit-def: $sgpr23
                                        ; implicit-def: $sgpr24
                                        ; implicit-def: $sgpr25
                                        ; implicit-def: $sgpr26
	s_delay_alu instid0(VALU_DEP_4) | instskip(NEXT) | instid1(VALU_DEP_2)
	v_add3_u32 v5, v11, v5, v10
	v_add3_u32 v7, v28, v7, v25
	s_branch .LBB16_847
.LBB16_846:                             ;   in Loop: Header=BB16_847 Depth=2
	s_or_b32 exec_lo, exec_lo, s3
	s_delay_alu instid0(SALU_CYCLE_1) | instskip(NEXT) | instid1(SALU_CYCLE_1)
	s_and_b32 s3, exec_lo, s23
	s_or_b32 s21, s3, s21
	s_and_not1_b32 s3, s26, exec_lo
	s_and_b32 s26, s25, exec_lo
	s_and_not1_b32 s22, s22, exec_lo
	s_and_b32 s27, s24, exec_lo
	s_or_b32 s26, s3, s26
	s_or_b32 s22, s22, s27
	s_and_not1_b32 exec_lo, exec_lo, s21
	s_cbranch_execz .LBB16_849
.LBB16_847:                             ;   Parent Loop BB16_818 Depth=1
                                        ; =>  This Inner Loop Header: Depth=2
	global_load_u8 v10, v[4:5], off
	global_load_u8 v11, v[6:7], off
	s_and_not1_b32 s24, s24, exec_lo
	s_and_not1_b32 s25, s25, exec_lo
	s_or_b32 s23, s23, exec_lo
	s_waitcnt vmcnt(1)
	v_and_b32_e32 v10, 0xff, v10
	s_waitcnt vmcnt(0)
	v_and_b32_e32 v11, 0xff, v11
	s_delay_alu instid0(VALU_DEP_1)
	v_cmp_le_u16_e32 vcc_lo, v10, v11
	v_cmp_lt_u16_e64 s3, v10, v11
	s_and_b32 s27, vcc_lo, s26
	s_delay_alu instid0(VALU_DEP_1) | instid1(SALU_CYCLE_1)
	s_or_b32 s27, s3, s27
	s_delay_alu instid0(SALU_CYCLE_1) | instskip(NEXT) | instid1(SALU_CYCLE_1)
	s_and_b32 s3, s27, exec_lo
	s_or_b32 s24, s24, s3
	s_mov_b32 s3, exec_lo
	v_cmpx_eq_u16_e64 v10, v11
	s_cbranch_execz .LBB16_846
; %bb.848:                              ;   in Loop: Header=BB16_847 Depth=2
	s_add_u32 s4, s4, -1
	s_addc_u32 s5, s5, -1
	v_add_co_u32 v4, vcc_lo, v4, 1
	s_cmp_eq_u64 s[4:5], 0
	v_add_co_ci_u32_e32 v5, vcc_lo, 0, v5, vcc_lo
	v_add_co_u32 v6, vcc_lo, v6, 1
	s_cselect_b32 s26, -1, 0
	v_add_co_ci_u32_e32 v7, vcc_lo, 0, v7, vcc_lo
	s_and_not1_b32 s25, s25, exec_lo
	s_and_b32 s27, s27, exec_lo
	s_and_not1_b32 s23, s23, exec_lo
	s_and_b32 s26, s26, exec_lo
	s_or_b32 s25, s25, s27
	s_and_not1_b32 s24, s24, exec_lo
	s_or_b32 s23, s23, s26
                                        ; implicit-def: $sgpr26
	s_branch .LBB16_846
.LBB16_849:                             ;   in Loop: Header=BB16_818 Depth=1
	s_or_b32 exec_lo, exec_lo, s21
	s_xor_b32 s3, s22, -1
	s_branch .LBB16_851
.LBB16_850:                             ;   in Loop: Header=BB16_818 Depth=1
	s_mov_b32 s3, -1
.LBB16_851:                             ;   in Loop: Header=BB16_818 Depth=1
	s_delay_alu instid0(SALU_CYCLE_1)
	s_and_b32 s3, s3, exec_lo
.LBB16_852:                             ;   in Loop: Header=BB16_818 Depth=1
	s_or_b32 exec_lo, exec_lo, s17
	s_delay_alu instid0(SALU_CYCLE_1)
	s_or_not1_b32 s17, s3, exec_lo
.LBB16_853:                             ;   in Loop: Header=BB16_818 Depth=1
	s_or_b32 exec_lo, exec_lo, s20
	v_cndmask_b32_e64 v4, v9, v8, s17
	v_cndmask_b32_e64 v5, v20, v19, s17
	s_mov_b32 s20, exec_lo
	s_delay_alu instid0(VALU_DEP_2) | instskip(NEXT) | instid1(VALU_DEP_2)
	v_add_nc_u32_e32 v6, 1, v4
	v_add_nc_u32_e32 v4, -1, v5
	s_delay_alu instid0(VALU_DEP_2) | instskip(NEXT) | instid1(VALU_DEP_2)
	v_cndmask_b32_e64 v9, v6, v9, s17
	v_min_u32_e32 v4, v6, v4
	v_cndmask_b32_e64 v8, v8, v6, s17
	s_delay_alu instid0(VALU_DEP_2)
	v_lshlrev_b32_e32 v4, 3, v4
	ds_load_b64 v[4:5], v4
	s_waitcnt lgkmcnt(0)
	v_cndmask_b32_e64 v25, v5, v21, s17
	v_cndmask_b32_e64 v28, v4, v22, s17
	;; [unrolled: 1-line block ×4, first 2 shown]
	v_cmpx_lt_u32_e64 v9, v20
	s_cbranch_execz .LBB16_864
; %bb.854:                              ;   in Loop: Header=BB16_818 Depth=1
	s_mov_b32 s3, 0
	s_mov_b32 s13, exec_lo
	v_cmpx_lt_u32_e64 v8, v19
	s_cbranch_execz .LBB16_863
; %bb.855:                              ;   in Loop: Header=BB16_818 Depth=1
	s_and_not1_b32 vcc_lo, exec_lo, s16
	s_cbranch_vccnz .LBB16_861
; %bb.856:                              ;   in Loop: Header=BB16_818 Depth=1
	v_mad_u64_u32 v[4:5], null, v28, s8, s[10:11]
	v_mul_lo_u32 v10, v28, s9
	v_mul_lo_u32 v11, v25, s8
	v_mad_u64_u32 v[6:7], null, v30, s8, s[10:11]
	v_mul_lo_u32 v31, v30, s9
	v_mul_lo_u32 v32, v29, s8
	s_mov_b32 s21, 0
	s_mov_b64 s[4:5], s[8:9]
                                        ; implicit-def: $sgpr22
                                        ; implicit-def: $sgpr23
                                        ; implicit-def: $sgpr24
                                        ; implicit-def: $sgpr25
                                        ; implicit-def: $sgpr26
	s_delay_alu instid0(VALU_DEP_4) | instskip(NEXT) | instid1(VALU_DEP_2)
	v_add3_u32 v5, v11, v5, v10
	v_add3_u32 v7, v32, v7, v31
	s_branch .LBB16_858
.LBB16_857:                             ;   in Loop: Header=BB16_858 Depth=2
	s_or_b32 exec_lo, exec_lo, s3
	s_delay_alu instid0(SALU_CYCLE_1) | instskip(NEXT) | instid1(SALU_CYCLE_1)
	s_and_b32 s3, exec_lo, s23
	s_or_b32 s21, s3, s21
	s_and_not1_b32 s3, s26, exec_lo
	s_and_b32 s26, s25, exec_lo
	s_and_not1_b32 s22, s22, exec_lo
	s_and_b32 s27, s24, exec_lo
	s_or_b32 s26, s3, s26
	s_or_b32 s22, s22, s27
	s_and_not1_b32 exec_lo, exec_lo, s21
	s_cbranch_execz .LBB16_860
.LBB16_858:                             ;   Parent Loop BB16_818 Depth=1
                                        ; =>  This Inner Loop Header: Depth=2
	global_load_u8 v10, v[4:5], off
	global_load_u8 v11, v[6:7], off
	s_and_not1_b32 s24, s24, exec_lo
	s_and_not1_b32 s25, s25, exec_lo
	s_or_b32 s23, s23, exec_lo
	s_waitcnt vmcnt(1)
	v_and_b32_e32 v10, 0xff, v10
	s_waitcnt vmcnt(0)
	v_and_b32_e32 v11, 0xff, v11
	s_delay_alu instid0(VALU_DEP_1)
	v_cmp_le_u16_e32 vcc_lo, v10, v11
	v_cmp_lt_u16_e64 s3, v10, v11
	s_and_b32 s27, vcc_lo, s26
	s_delay_alu instid0(VALU_DEP_1) | instid1(SALU_CYCLE_1)
	s_or_b32 s27, s3, s27
	s_delay_alu instid0(SALU_CYCLE_1) | instskip(NEXT) | instid1(SALU_CYCLE_1)
	s_and_b32 s3, s27, exec_lo
	s_or_b32 s24, s24, s3
	s_mov_b32 s3, exec_lo
	v_cmpx_eq_u16_e64 v10, v11
	s_cbranch_execz .LBB16_857
; %bb.859:                              ;   in Loop: Header=BB16_858 Depth=2
	s_add_u32 s4, s4, -1
	s_addc_u32 s5, s5, -1
	v_add_co_u32 v4, vcc_lo, v4, 1
	s_cmp_eq_u64 s[4:5], 0
	v_add_co_ci_u32_e32 v5, vcc_lo, 0, v5, vcc_lo
	v_add_co_u32 v6, vcc_lo, v6, 1
	s_cselect_b32 s26, -1, 0
	v_add_co_ci_u32_e32 v7, vcc_lo, 0, v7, vcc_lo
	s_and_not1_b32 s25, s25, exec_lo
	s_and_b32 s27, s27, exec_lo
	s_and_not1_b32 s23, s23, exec_lo
	s_and_b32 s26, s26, exec_lo
	s_or_b32 s25, s25, s27
	s_and_not1_b32 s24, s24, exec_lo
	s_or_b32 s23, s23, s26
                                        ; implicit-def: $sgpr26
	s_branch .LBB16_857
.LBB16_860:                             ;   in Loop: Header=BB16_818 Depth=1
	s_or_b32 exec_lo, exec_lo, s21
	s_xor_b32 s3, s22, -1
	s_branch .LBB16_862
.LBB16_861:                             ;   in Loop: Header=BB16_818 Depth=1
	s_mov_b32 s3, -1
.LBB16_862:                             ;   in Loop: Header=BB16_818 Depth=1
	s_delay_alu instid0(SALU_CYCLE_1)
	s_and_b32 s3, s3, exec_lo
.LBB16_863:                             ;   in Loop: Header=BB16_818 Depth=1
	s_or_b32 exec_lo, exec_lo, s13
	s_delay_alu instid0(SALU_CYCLE_1)
	s_or_not1_b32 s13, s3, exec_lo
.LBB16_864:                             ;   in Loop: Header=BB16_818 Depth=1
	s_or_b32 exec_lo, exec_lo, s20
	v_cndmask_b32_e64 v4, v9, v8, s13
	v_cndmask_b32_e64 v5, v20, v19, s13
	s_mov_b32 s20, exec_lo
	s_delay_alu instid0(VALU_DEP_2) | instskip(NEXT) | instid1(VALU_DEP_2)
	v_add_nc_u32_e32 v10, 1, v4
	v_add_nc_u32_e32 v4, -1, v5
	s_delay_alu instid0(VALU_DEP_2) | instskip(NEXT) | instid1(VALU_DEP_2)
	v_cndmask_b32_e64 v9, v10, v9, s13
	v_min_u32_e32 v4, v10, v4
	s_delay_alu instid0(VALU_DEP_1)
	v_lshlrev_b32_e32 v4, 3, v4
	ds_load_b64 v[4:5], v4
	s_waitcnt lgkmcnt(0)
	v_cndmask_b32_e64 v7, v29, v5, s13
	v_cndmask_b32_e64 v6, v30, v4, s13
	v_cmpx_lt_u32_e64 v9, v20
	s_cbranch_execz .LBB16_816
; %bb.865:                              ;   in Loop: Header=BB16_818 Depth=1
	v_cndmask_b32_e64 v8, v8, v10, s13
	v_cndmask_b32_e64 v5, v5, v25, s13
	;; [unrolled: 1-line block ×3, first 2 shown]
	s_mov_b32 s21, exec_lo
	s_delay_alu instid0(VALU_DEP_3)
	v_cmpx_lt_u32_e64 v8, v19
	s_cbranch_execz .LBB16_815
; %bb.866:                              ;   in Loop: Header=BB16_818 Depth=1
	s_and_not1_b32 vcc_lo, exec_lo, s16
	s_cbranch_vccnz .LBB16_814
; %bb.867:                              ;   in Loop: Header=BB16_818 Depth=1
	v_mad_u64_u32 v[8:9], null, v4, s8, s[10:11]
	v_mul_lo_u32 v19, v4, s9
	v_mul_lo_u32 v20, v5, s8
	v_mad_u64_u32 v[10:11], null, v6, s8, s[10:11]
	v_mul_lo_u32 v31, v6, s9
	v_mul_lo_u32 v32, v7, s8
	s_mov_b32 s22, 0
	s_mov_b64 s[4:5], s[8:9]
                                        ; implicit-def: $sgpr23
                                        ; implicit-def: $sgpr24
                                        ; implicit-def: $sgpr25
                                        ; implicit-def: $sgpr26
                                        ; implicit-def: $sgpr27
	s_delay_alu instid0(VALU_DEP_4) | instskip(NEXT) | instid1(VALU_DEP_2)
	v_add3_u32 v9, v20, v9, v19
	v_add3_u32 v11, v32, v11, v31
	s_branch .LBB16_869
.LBB16_868:                             ;   in Loop: Header=BB16_869 Depth=2
	s_or_b32 exec_lo, exec_lo, s3
	s_delay_alu instid0(SALU_CYCLE_1) | instskip(NEXT) | instid1(SALU_CYCLE_1)
	s_and_b32 s3, exec_lo, s24
	s_or_b32 s22, s3, s22
	s_and_not1_b32 s3, s27, exec_lo
	s_and_b32 s27, s26, exec_lo
	s_and_not1_b32 s23, s23, exec_lo
	s_and_b32 s28, s25, exec_lo
	s_or_b32 s27, s3, s27
	s_or_b32 s23, s23, s28
	s_and_not1_b32 exec_lo, exec_lo, s22
	s_cbranch_execz .LBB16_813
.LBB16_869:                             ;   Parent Loop BB16_818 Depth=1
                                        ; =>  This Inner Loop Header: Depth=2
	global_load_u8 v19, v[8:9], off
	global_load_u8 v20, v[10:11], off
	s_and_not1_b32 s25, s25, exec_lo
	s_and_not1_b32 s26, s26, exec_lo
	s_or_b32 s24, s24, exec_lo
	s_waitcnt vmcnt(1)
	v_and_b32_e32 v19, 0xff, v19
	s_waitcnt vmcnt(0)
	v_and_b32_e32 v20, 0xff, v20
	s_delay_alu instid0(VALU_DEP_1)
	v_cmp_le_u16_e32 vcc_lo, v19, v20
	v_cmp_lt_u16_e64 s3, v19, v20
	s_and_b32 s28, vcc_lo, s27
	s_delay_alu instid0(VALU_DEP_1) | instid1(SALU_CYCLE_1)
	s_or_b32 s28, s3, s28
	s_delay_alu instid0(SALU_CYCLE_1) | instskip(NEXT) | instid1(SALU_CYCLE_1)
	s_and_b32 s3, s28, exec_lo
	s_or_b32 s25, s25, s3
	s_mov_b32 s3, exec_lo
	v_cmpx_eq_u16_e64 v19, v20
	s_cbranch_execz .LBB16_868
; %bb.870:                              ;   in Loop: Header=BB16_869 Depth=2
	s_add_u32 s4, s4, -1
	s_addc_u32 s5, s5, -1
	v_add_co_u32 v8, vcc_lo, v8, 1
	s_cmp_eq_u64 s[4:5], 0
	v_add_co_ci_u32_e32 v9, vcc_lo, 0, v9, vcc_lo
	v_add_co_u32 v10, vcc_lo, v10, 1
	s_cselect_b32 s27, -1, 0
	v_add_co_ci_u32_e32 v11, vcc_lo, 0, v11, vcc_lo
	s_and_not1_b32 s26, s26, exec_lo
	s_and_b32 s28, s28, exec_lo
	s_and_not1_b32 s24, s24, exec_lo
	s_and_b32 s27, s27, exec_lo
	s_or_b32 s26, s26, s28
	s_and_not1_b32 s25, s25, exec_lo
	s_or_b32 s24, s24, s27
                                        ; implicit-def: $sgpr27
	s_branch .LBB16_868
.LBB16_871:
	s_barrier
	buffer_gl0_inv
	ds_store_2addr_b64 v17, v[0:1], v[2:3] offset1:1
	ds_store_2addr_b64 v17, v[4:5], v[6:7] offset0:2 offset1:3
	s_waitcnt lgkmcnt(0)
	s_barrier
	buffer_gl0_inv
	ds_load_b64 v[6:7], v13 offset:2048
	ds_load_b64 v[2:3], v15 offset:4096
	;; [unrolled: 1-line block ×3, first 2 shown]
	v_add_co_u32 v4, s3, s14, v26
	v_mov_b32_e32 v13, 0
	v_add_co_ci_u32_e64 v5, null, s15, 0, s3
	s_and_saveexec_b32 s3, s0
	s_cbranch_execnz .LBB16_879
; %bb.872:
	s_or_b32 exec_lo, exec_lo, s3
	s_and_saveexec_b32 s0, s1
	s_cbranch_execnz .LBB16_880
.LBB16_873:
	s_or_b32 exec_lo, exec_lo, s0
	s_and_saveexec_b32 s0, s2
	s_cbranch_execz .LBB16_875
.LBB16_874:
	v_add_co_u32 v4, vcc_lo, 0x1000, v4
	v_add_co_ci_u32_e32 v5, vcc_lo, 0, v5, vcc_lo
	s_waitcnt lgkmcnt(1)
	global_store_b64 v[4:5], v[2:3], off
.LBB16_875:
	s_or_b32 exec_lo, exec_lo, s0
.LBB16_876:
	s_and_saveexec_b32 s0, s19
	s_cbranch_execz .LBB16_878
; %bb.877:
	s_waitcnt lgkmcnt(1)
	v_lshlrev_b64 v[2:3], 3, v[12:13]
	s_delay_alu instid0(VALU_DEP_1) | instskip(NEXT) | instid1(VALU_DEP_2)
	v_add_co_u32 v2, vcc_lo, s14, v2
	v_add_co_ci_u32_e32 v3, vcc_lo, s15, v3, vcc_lo
	s_delay_alu instid0(VALU_DEP_2) | instskip(NEXT) | instid1(VALU_DEP_2)
	v_add_co_u32 v2, vcc_lo, 0x1000, v2
	v_add_co_ci_u32_e32 v3, vcc_lo, 0, v3, vcc_lo
	s_waitcnt lgkmcnt(0)
	global_store_b64 v[2:3], v[0:1], off offset:2048
.LBB16_878:
	s_nop 0
	s_sendmsg sendmsg(MSG_DEALLOC_VGPRS)
	s_endpgm
.LBB16_879:
	ds_load_b64 v[8:9], v14
	s_waitcnt lgkmcnt(0)
	global_store_b64 v[4:5], v[8:9], off
	s_or_b32 exec_lo, exec_lo, s3
	s_and_saveexec_b32 s0, s1
	s_cbranch_execz .LBB16_873
.LBB16_880:
	s_waitcnt lgkmcnt(2)
	global_store_b64 v[4:5], v[6:7], off offset:2048
	s_or_b32 exec_lo, exec_lo, s0
	s_and_saveexec_b32 s0, s2
	s_cbranch_execnz .LBB16_874
	s_branch .LBB16_875
	.section	.rodata,"a",@progbits
	.p2align	6, 0x0
	.amdhsa_kernel _ZN7rocprim17ROCPRIM_400000_NS6detail17trampoline_kernelINS0_14default_configENS1_37merge_sort_block_sort_config_selectorIlNS0_10empty_typeEEEZNS1_21merge_sort_block_sortIS3_PlS8_PS5_S9_ZN2at6native12_GLOBAL__N_124unique_dim_cuda_templateIhEESt5tupleIJNSA_6TensorESF_SF_EERKSF_lbbbEUlllE_EE10hipError_tT0_T1_T2_T3_mRjT4_P12ihipStream_tbNS1_7vsmem_tEEUlT_E_NS1_11comp_targetILNS1_3genE9ELNS1_11target_archE1100ELNS1_3gpuE3ELNS1_3repE0EEENS1_30default_config_static_selectorELNS0_4arch9wavefront6targetE0EEEvSM_
		.amdhsa_group_segment_fixed_size 8448
		.amdhsa_private_segment_fixed_size 0
		.amdhsa_kernarg_size 328
		.amdhsa_user_sgpr_count 13
		.amdhsa_user_sgpr_dispatch_ptr 0
		.amdhsa_user_sgpr_queue_ptr 0
		.amdhsa_user_sgpr_kernarg_segment_ptr 1
		.amdhsa_user_sgpr_dispatch_id 0
		.amdhsa_user_sgpr_private_segment_size 0
		.amdhsa_wavefront_size32 1
		.amdhsa_uses_dynamic_stack 0
		.amdhsa_enable_private_segment 0
		.amdhsa_system_sgpr_workgroup_id_x 1
		.amdhsa_system_sgpr_workgroup_id_y 1
		.amdhsa_system_sgpr_workgroup_id_z 1
		.amdhsa_system_sgpr_workgroup_info 0
		.amdhsa_system_vgpr_workitem_id 2
		.amdhsa_next_free_vgpr 49
		.amdhsa_next_free_sgpr 32
		.amdhsa_reserve_vcc 1
		.amdhsa_float_round_mode_32 0
		.amdhsa_float_round_mode_16_64 0
		.amdhsa_float_denorm_mode_32 3
		.amdhsa_float_denorm_mode_16_64 3
		.amdhsa_dx10_clamp 1
		.amdhsa_ieee_mode 1
		.amdhsa_fp16_overflow 0
		.amdhsa_workgroup_processor_mode 1
		.amdhsa_memory_ordered 1
		.amdhsa_forward_progress 0
		.amdhsa_shared_vgpr_count 0
		.amdhsa_exception_fp_ieee_invalid_op 0
		.amdhsa_exception_fp_denorm_src 0
		.amdhsa_exception_fp_ieee_div_zero 0
		.amdhsa_exception_fp_ieee_overflow 0
		.amdhsa_exception_fp_ieee_underflow 0
		.amdhsa_exception_fp_ieee_inexact 0
		.amdhsa_exception_int_div_zero 0
	.end_amdhsa_kernel
	.section	.text._ZN7rocprim17ROCPRIM_400000_NS6detail17trampoline_kernelINS0_14default_configENS1_37merge_sort_block_sort_config_selectorIlNS0_10empty_typeEEEZNS1_21merge_sort_block_sortIS3_PlS8_PS5_S9_ZN2at6native12_GLOBAL__N_124unique_dim_cuda_templateIhEESt5tupleIJNSA_6TensorESF_SF_EERKSF_lbbbEUlllE_EE10hipError_tT0_T1_T2_T3_mRjT4_P12ihipStream_tbNS1_7vsmem_tEEUlT_E_NS1_11comp_targetILNS1_3genE9ELNS1_11target_archE1100ELNS1_3gpuE3ELNS1_3repE0EEENS1_30default_config_static_selectorELNS0_4arch9wavefront6targetE0EEEvSM_,"axG",@progbits,_ZN7rocprim17ROCPRIM_400000_NS6detail17trampoline_kernelINS0_14default_configENS1_37merge_sort_block_sort_config_selectorIlNS0_10empty_typeEEEZNS1_21merge_sort_block_sortIS3_PlS8_PS5_S9_ZN2at6native12_GLOBAL__N_124unique_dim_cuda_templateIhEESt5tupleIJNSA_6TensorESF_SF_EERKSF_lbbbEUlllE_EE10hipError_tT0_T1_T2_T3_mRjT4_P12ihipStream_tbNS1_7vsmem_tEEUlT_E_NS1_11comp_targetILNS1_3genE9ELNS1_11target_archE1100ELNS1_3gpuE3ELNS1_3repE0EEENS1_30default_config_static_selectorELNS0_4arch9wavefront6targetE0EEEvSM_,comdat
.Lfunc_end16:
	.size	_ZN7rocprim17ROCPRIM_400000_NS6detail17trampoline_kernelINS0_14default_configENS1_37merge_sort_block_sort_config_selectorIlNS0_10empty_typeEEEZNS1_21merge_sort_block_sortIS3_PlS8_PS5_S9_ZN2at6native12_GLOBAL__N_124unique_dim_cuda_templateIhEESt5tupleIJNSA_6TensorESF_SF_EERKSF_lbbbEUlllE_EE10hipError_tT0_T1_T2_T3_mRjT4_P12ihipStream_tbNS1_7vsmem_tEEUlT_E_NS1_11comp_targetILNS1_3genE9ELNS1_11target_archE1100ELNS1_3gpuE3ELNS1_3repE0EEENS1_30default_config_static_selectorELNS0_4arch9wavefront6targetE0EEEvSM_, .Lfunc_end16-_ZN7rocprim17ROCPRIM_400000_NS6detail17trampoline_kernelINS0_14default_configENS1_37merge_sort_block_sort_config_selectorIlNS0_10empty_typeEEEZNS1_21merge_sort_block_sortIS3_PlS8_PS5_S9_ZN2at6native12_GLOBAL__N_124unique_dim_cuda_templateIhEESt5tupleIJNSA_6TensorESF_SF_EERKSF_lbbbEUlllE_EE10hipError_tT0_T1_T2_T3_mRjT4_P12ihipStream_tbNS1_7vsmem_tEEUlT_E_NS1_11comp_targetILNS1_3genE9ELNS1_11target_archE1100ELNS1_3gpuE3ELNS1_3repE0EEENS1_30default_config_static_selectorELNS0_4arch9wavefront6targetE0EEEvSM_
                                        ; -- End function
	.section	.AMDGPU.csdata,"",@progbits
; Kernel info:
; codeLenInByte = 41128
; NumSgprs: 34
; NumVgprs: 49
; ScratchSize: 0
; MemoryBound: 0
; FloatMode: 240
; IeeeMode: 1
; LDSByteSize: 8448 bytes/workgroup (compile time only)
; SGPRBlocks: 4
; VGPRBlocks: 6
; NumSGPRsForWavesPerEU: 34
; NumVGPRsForWavesPerEU: 49
; Occupancy: 16
; WaveLimiterHint : 1
; COMPUTE_PGM_RSRC2:SCRATCH_EN: 0
; COMPUTE_PGM_RSRC2:USER_SGPR: 13
; COMPUTE_PGM_RSRC2:TRAP_HANDLER: 0
; COMPUTE_PGM_RSRC2:TGID_X_EN: 1
; COMPUTE_PGM_RSRC2:TGID_Y_EN: 1
; COMPUTE_PGM_RSRC2:TGID_Z_EN: 1
; COMPUTE_PGM_RSRC2:TIDIG_COMP_CNT: 2
	.section	.text._ZN7rocprim17ROCPRIM_400000_NS6detail17trampoline_kernelINS0_14default_configENS1_37merge_sort_block_sort_config_selectorIlNS0_10empty_typeEEEZNS1_21merge_sort_block_sortIS3_PlS8_PS5_S9_ZN2at6native12_GLOBAL__N_124unique_dim_cuda_templateIhEESt5tupleIJNSA_6TensorESF_SF_EERKSF_lbbbEUlllE_EE10hipError_tT0_T1_T2_T3_mRjT4_P12ihipStream_tbNS1_7vsmem_tEEUlT_E_NS1_11comp_targetILNS1_3genE8ELNS1_11target_archE1030ELNS1_3gpuE2ELNS1_3repE0EEENS1_30default_config_static_selectorELNS0_4arch9wavefront6targetE0EEEvSM_,"axG",@progbits,_ZN7rocprim17ROCPRIM_400000_NS6detail17trampoline_kernelINS0_14default_configENS1_37merge_sort_block_sort_config_selectorIlNS0_10empty_typeEEEZNS1_21merge_sort_block_sortIS3_PlS8_PS5_S9_ZN2at6native12_GLOBAL__N_124unique_dim_cuda_templateIhEESt5tupleIJNSA_6TensorESF_SF_EERKSF_lbbbEUlllE_EE10hipError_tT0_T1_T2_T3_mRjT4_P12ihipStream_tbNS1_7vsmem_tEEUlT_E_NS1_11comp_targetILNS1_3genE8ELNS1_11target_archE1030ELNS1_3gpuE2ELNS1_3repE0EEENS1_30default_config_static_selectorELNS0_4arch9wavefront6targetE0EEEvSM_,comdat
	.globl	_ZN7rocprim17ROCPRIM_400000_NS6detail17trampoline_kernelINS0_14default_configENS1_37merge_sort_block_sort_config_selectorIlNS0_10empty_typeEEEZNS1_21merge_sort_block_sortIS3_PlS8_PS5_S9_ZN2at6native12_GLOBAL__N_124unique_dim_cuda_templateIhEESt5tupleIJNSA_6TensorESF_SF_EERKSF_lbbbEUlllE_EE10hipError_tT0_T1_T2_T3_mRjT4_P12ihipStream_tbNS1_7vsmem_tEEUlT_E_NS1_11comp_targetILNS1_3genE8ELNS1_11target_archE1030ELNS1_3gpuE2ELNS1_3repE0EEENS1_30default_config_static_selectorELNS0_4arch9wavefront6targetE0EEEvSM_ ; -- Begin function _ZN7rocprim17ROCPRIM_400000_NS6detail17trampoline_kernelINS0_14default_configENS1_37merge_sort_block_sort_config_selectorIlNS0_10empty_typeEEEZNS1_21merge_sort_block_sortIS3_PlS8_PS5_S9_ZN2at6native12_GLOBAL__N_124unique_dim_cuda_templateIhEESt5tupleIJNSA_6TensorESF_SF_EERKSF_lbbbEUlllE_EE10hipError_tT0_T1_T2_T3_mRjT4_P12ihipStream_tbNS1_7vsmem_tEEUlT_E_NS1_11comp_targetILNS1_3genE8ELNS1_11target_archE1030ELNS1_3gpuE2ELNS1_3repE0EEENS1_30default_config_static_selectorELNS0_4arch9wavefront6targetE0EEEvSM_
	.p2align	8
	.type	_ZN7rocprim17ROCPRIM_400000_NS6detail17trampoline_kernelINS0_14default_configENS1_37merge_sort_block_sort_config_selectorIlNS0_10empty_typeEEEZNS1_21merge_sort_block_sortIS3_PlS8_PS5_S9_ZN2at6native12_GLOBAL__N_124unique_dim_cuda_templateIhEESt5tupleIJNSA_6TensorESF_SF_EERKSF_lbbbEUlllE_EE10hipError_tT0_T1_T2_T3_mRjT4_P12ihipStream_tbNS1_7vsmem_tEEUlT_E_NS1_11comp_targetILNS1_3genE8ELNS1_11target_archE1030ELNS1_3gpuE2ELNS1_3repE0EEENS1_30default_config_static_selectorELNS0_4arch9wavefront6targetE0EEEvSM_,@function
_ZN7rocprim17ROCPRIM_400000_NS6detail17trampoline_kernelINS0_14default_configENS1_37merge_sort_block_sort_config_selectorIlNS0_10empty_typeEEEZNS1_21merge_sort_block_sortIS3_PlS8_PS5_S9_ZN2at6native12_GLOBAL__N_124unique_dim_cuda_templateIhEESt5tupleIJNSA_6TensorESF_SF_EERKSF_lbbbEUlllE_EE10hipError_tT0_T1_T2_T3_mRjT4_P12ihipStream_tbNS1_7vsmem_tEEUlT_E_NS1_11comp_targetILNS1_3genE8ELNS1_11target_archE1030ELNS1_3gpuE2ELNS1_3repE0EEENS1_30default_config_static_selectorELNS0_4arch9wavefront6targetE0EEEvSM_: ; @_ZN7rocprim17ROCPRIM_400000_NS6detail17trampoline_kernelINS0_14default_configENS1_37merge_sort_block_sort_config_selectorIlNS0_10empty_typeEEEZNS1_21merge_sort_block_sortIS3_PlS8_PS5_S9_ZN2at6native12_GLOBAL__N_124unique_dim_cuda_templateIhEESt5tupleIJNSA_6TensorESF_SF_EERKSF_lbbbEUlllE_EE10hipError_tT0_T1_T2_T3_mRjT4_P12ihipStream_tbNS1_7vsmem_tEEUlT_E_NS1_11comp_targetILNS1_3genE8ELNS1_11target_archE1030ELNS1_3gpuE2ELNS1_3repE0EEENS1_30default_config_static_selectorELNS0_4arch9wavefront6targetE0EEEvSM_
; %bb.0:
	.section	.rodata,"a",@progbits
	.p2align	6, 0x0
	.amdhsa_kernel _ZN7rocprim17ROCPRIM_400000_NS6detail17trampoline_kernelINS0_14default_configENS1_37merge_sort_block_sort_config_selectorIlNS0_10empty_typeEEEZNS1_21merge_sort_block_sortIS3_PlS8_PS5_S9_ZN2at6native12_GLOBAL__N_124unique_dim_cuda_templateIhEESt5tupleIJNSA_6TensorESF_SF_EERKSF_lbbbEUlllE_EE10hipError_tT0_T1_T2_T3_mRjT4_P12ihipStream_tbNS1_7vsmem_tEEUlT_E_NS1_11comp_targetILNS1_3genE8ELNS1_11target_archE1030ELNS1_3gpuE2ELNS1_3repE0EEENS1_30default_config_static_selectorELNS0_4arch9wavefront6targetE0EEEvSM_
		.amdhsa_group_segment_fixed_size 0
		.amdhsa_private_segment_fixed_size 0
		.amdhsa_kernarg_size 72
		.amdhsa_user_sgpr_count 15
		.amdhsa_user_sgpr_dispatch_ptr 0
		.amdhsa_user_sgpr_queue_ptr 0
		.amdhsa_user_sgpr_kernarg_segment_ptr 1
		.amdhsa_user_sgpr_dispatch_id 0
		.amdhsa_user_sgpr_private_segment_size 0
		.amdhsa_wavefront_size32 1
		.amdhsa_uses_dynamic_stack 0
		.amdhsa_enable_private_segment 0
		.amdhsa_system_sgpr_workgroup_id_x 1
		.amdhsa_system_sgpr_workgroup_id_y 0
		.amdhsa_system_sgpr_workgroup_id_z 0
		.amdhsa_system_sgpr_workgroup_info 0
		.amdhsa_system_vgpr_workitem_id 0
		.amdhsa_next_free_vgpr 1
		.amdhsa_next_free_sgpr 1
		.amdhsa_reserve_vcc 0
		.amdhsa_float_round_mode_32 0
		.amdhsa_float_round_mode_16_64 0
		.amdhsa_float_denorm_mode_32 3
		.amdhsa_float_denorm_mode_16_64 3
		.amdhsa_dx10_clamp 1
		.amdhsa_ieee_mode 1
		.amdhsa_fp16_overflow 0
		.amdhsa_workgroup_processor_mode 1
		.amdhsa_memory_ordered 1
		.amdhsa_forward_progress 0
		.amdhsa_shared_vgpr_count 0
		.amdhsa_exception_fp_ieee_invalid_op 0
		.amdhsa_exception_fp_denorm_src 0
		.amdhsa_exception_fp_ieee_div_zero 0
		.amdhsa_exception_fp_ieee_overflow 0
		.amdhsa_exception_fp_ieee_underflow 0
		.amdhsa_exception_fp_ieee_inexact 0
		.amdhsa_exception_int_div_zero 0
	.end_amdhsa_kernel
	.section	.text._ZN7rocprim17ROCPRIM_400000_NS6detail17trampoline_kernelINS0_14default_configENS1_37merge_sort_block_sort_config_selectorIlNS0_10empty_typeEEEZNS1_21merge_sort_block_sortIS3_PlS8_PS5_S9_ZN2at6native12_GLOBAL__N_124unique_dim_cuda_templateIhEESt5tupleIJNSA_6TensorESF_SF_EERKSF_lbbbEUlllE_EE10hipError_tT0_T1_T2_T3_mRjT4_P12ihipStream_tbNS1_7vsmem_tEEUlT_E_NS1_11comp_targetILNS1_3genE8ELNS1_11target_archE1030ELNS1_3gpuE2ELNS1_3repE0EEENS1_30default_config_static_selectorELNS0_4arch9wavefront6targetE0EEEvSM_,"axG",@progbits,_ZN7rocprim17ROCPRIM_400000_NS6detail17trampoline_kernelINS0_14default_configENS1_37merge_sort_block_sort_config_selectorIlNS0_10empty_typeEEEZNS1_21merge_sort_block_sortIS3_PlS8_PS5_S9_ZN2at6native12_GLOBAL__N_124unique_dim_cuda_templateIhEESt5tupleIJNSA_6TensorESF_SF_EERKSF_lbbbEUlllE_EE10hipError_tT0_T1_T2_T3_mRjT4_P12ihipStream_tbNS1_7vsmem_tEEUlT_E_NS1_11comp_targetILNS1_3genE8ELNS1_11target_archE1030ELNS1_3gpuE2ELNS1_3repE0EEENS1_30default_config_static_selectorELNS0_4arch9wavefront6targetE0EEEvSM_,comdat
.Lfunc_end17:
	.size	_ZN7rocprim17ROCPRIM_400000_NS6detail17trampoline_kernelINS0_14default_configENS1_37merge_sort_block_sort_config_selectorIlNS0_10empty_typeEEEZNS1_21merge_sort_block_sortIS3_PlS8_PS5_S9_ZN2at6native12_GLOBAL__N_124unique_dim_cuda_templateIhEESt5tupleIJNSA_6TensorESF_SF_EERKSF_lbbbEUlllE_EE10hipError_tT0_T1_T2_T3_mRjT4_P12ihipStream_tbNS1_7vsmem_tEEUlT_E_NS1_11comp_targetILNS1_3genE8ELNS1_11target_archE1030ELNS1_3gpuE2ELNS1_3repE0EEENS1_30default_config_static_selectorELNS0_4arch9wavefront6targetE0EEEvSM_, .Lfunc_end17-_ZN7rocprim17ROCPRIM_400000_NS6detail17trampoline_kernelINS0_14default_configENS1_37merge_sort_block_sort_config_selectorIlNS0_10empty_typeEEEZNS1_21merge_sort_block_sortIS3_PlS8_PS5_S9_ZN2at6native12_GLOBAL__N_124unique_dim_cuda_templateIhEESt5tupleIJNSA_6TensorESF_SF_EERKSF_lbbbEUlllE_EE10hipError_tT0_T1_T2_T3_mRjT4_P12ihipStream_tbNS1_7vsmem_tEEUlT_E_NS1_11comp_targetILNS1_3genE8ELNS1_11target_archE1030ELNS1_3gpuE2ELNS1_3repE0EEENS1_30default_config_static_selectorELNS0_4arch9wavefront6targetE0EEEvSM_
                                        ; -- End function
	.section	.AMDGPU.csdata,"",@progbits
; Kernel info:
; codeLenInByte = 0
; NumSgprs: 0
; NumVgprs: 0
; ScratchSize: 0
; MemoryBound: 0
; FloatMode: 240
; IeeeMode: 1
; LDSByteSize: 0 bytes/workgroup (compile time only)
; SGPRBlocks: 0
; VGPRBlocks: 0
; NumSGPRsForWavesPerEU: 1
; NumVGPRsForWavesPerEU: 1
; Occupancy: 16
; WaveLimiterHint : 0
; COMPUTE_PGM_RSRC2:SCRATCH_EN: 0
; COMPUTE_PGM_RSRC2:USER_SGPR: 15
; COMPUTE_PGM_RSRC2:TRAP_HANDLER: 0
; COMPUTE_PGM_RSRC2:TGID_X_EN: 1
; COMPUTE_PGM_RSRC2:TGID_Y_EN: 0
; COMPUTE_PGM_RSRC2:TGID_Z_EN: 0
; COMPUTE_PGM_RSRC2:TIDIG_COMP_CNT: 0
	.section	.text._ZN7rocprim17ROCPRIM_400000_NS6detail17trampoline_kernelINS0_14default_configENS1_38merge_sort_block_merge_config_selectorIlNS0_10empty_typeEEEZZNS1_27merge_sort_block_merge_implIS3_PlPS5_mZN2at6native12_GLOBAL__N_124unique_dim_cuda_templateIhEESt5tupleIJNSA_6TensorESF_SF_EERKSF_lbbbEUlllE_EE10hipError_tT0_T1_T2_jT3_P12ihipStream_tbPNSt15iterator_traitsISL_E10value_typeEPNSR_ISM_E10value_typeEPSN_NS1_7vsmem_tEENKUlT_SL_SM_SN_E_clIS8_S8_S9_S9_EESK_S10_SL_SM_SN_EUlS10_E_NS1_11comp_targetILNS1_3genE0ELNS1_11target_archE4294967295ELNS1_3gpuE0ELNS1_3repE0EEENS1_48merge_mergepath_partition_config_static_selectorELNS0_4arch9wavefront6targetE0EEEvSM_,"axG",@progbits,_ZN7rocprim17ROCPRIM_400000_NS6detail17trampoline_kernelINS0_14default_configENS1_38merge_sort_block_merge_config_selectorIlNS0_10empty_typeEEEZZNS1_27merge_sort_block_merge_implIS3_PlPS5_mZN2at6native12_GLOBAL__N_124unique_dim_cuda_templateIhEESt5tupleIJNSA_6TensorESF_SF_EERKSF_lbbbEUlllE_EE10hipError_tT0_T1_T2_jT3_P12ihipStream_tbPNSt15iterator_traitsISL_E10value_typeEPNSR_ISM_E10value_typeEPSN_NS1_7vsmem_tEENKUlT_SL_SM_SN_E_clIS8_S8_S9_S9_EESK_S10_SL_SM_SN_EUlS10_E_NS1_11comp_targetILNS1_3genE0ELNS1_11target_archE4294967295ELNS1_3gpuE0ELNS1_3repE0EEENS1_48merge_mergepath_partition_config_static_selectorELNS0_4arch9wavefront6targetE0EEEvSM_,comdat
	.globl	_ZN7rocprim17ROCPRIM_400000_NS6detail17trampoline_kernelINS0_14default_configENS1_38merge_sort_block_merge_config_selectorIlNS0_10empty_typeEEEZZNS1_27merge_sort_block_merge_implIS3_PlPS5_mZN2at6native12_GLOBAL__N_124unique_dim_cuda_templateIhEESt5tupleIJNSA_6TensorESF_SF_EERKSF_lbbbEUlllE_EE10hipError_tT0_T1_T2_jT3_P12ihipStream_tbPNSt15iterator_traitsISL_E10value_typeEPNSR_ISM_E10value_typeEPSN_NS1_7vsmem_tEENKUlT_SL_SM_SN_E_clIS8_S8_S9_S9_EESK_S10_SL_SM_SN_EUlS10_E_NS1_11comp_targetILNS1_3genE0ELNS1_11target_archE4294967295ELNS1_3gpuE0ELNS1_3repE0EEENS1_48merge_mergepath_partition_config_static_selectorELNS0_4arch9wavefront6targetE0EEEvSM_ ; -- Begin function _ZN7rocprim17ROCPRIM_400000_NS6detail17trampoline_kernelINS0_14default_configENS1_38merge_sort_block_merge_config_selectorIlNS0_10empty_typeEEEZZNS1_27merge_sort_block_merge_implIS3_PlPS5_mZN2at6native12_GLOBAL__N_124unique_dim_cuda_templateIhEESt5tupleIJNSA_6TensorESF_SF_EERKSF_lbbbEUlllE_EE10hipError_tT0_T1_T2_jT3_P12ihipStream_tbPNSt15iterator_traitsISL_E10value_typeEPNSR_ISM_E10value_typeEPSN_NS1_7vsmem_tEENKUlT_SL_SM_SN_E_clIS8_S8_S9_S9_EESK_S10_SL_SM_SN_EUlS10_E_NS1_11comp_targetILNS1_3genE0ELNS1_11target_archE4294967295ELNS1_3gpuE0ELNS1_3repE0EEENS1_48merge_mergepath_partition_config_static_selectorELNS0_4arch9wavefront6targetE0EEEvSM_
	.p2align	8
	.type	_ZN7rocprim17ROCPRIM_400000_NS6detail17trampoline_kernelINS0_14default_configENS1_38merge_sort_block_merge_config_selectorIlNS0_10empty_typeEEEZZNS1_27merge_sort_block_merge_implIS3_PlPS5_mZN2at6native12_GLOBAL__N_124unique_dim_cuda_templateIhEESt5tupleIJNSA_6TensorESF_SF_EERKSF_lbbbEUlllE_EE10hipError_tT0_T1_T2_jT3_P12ihipStream_tbPNSt15iterator_traitsISL_E10value_typeEPNSR_ISM_E10value_typeEPSN_NS1_7vsmem_tEENKUlT_SL_SM_SN_E_clIS8_S8_S9_S9_EESK_S10_SL_SM_SN_EUlS10_E_NS1_11comp_targetILNS1_3genE0ELNS1_11target_archE4294967295ELNS1_3gpuE0ELNS1_3repE0EEENS1_48merge_mergepath_partition_config_static_selectorELNS0_4arch9wavefront6targetE0EEEvSM_,@function
_ZN7rocprim17ROCPRIM_400000_NS6detail17trampoline_kernelINS0_14default_configENS1_38merge_sort_block_merge_config_selectorIlNS0_10empty_typeEEEZZNS1_27merge_sort_block_merge_implIS3_PlPS5_mZN2at6native12_GLOBAL__N_124unique_dim_cuda_templateIhEESt5tupleIJNSA_6TensorESF_SF_EERKSF_lbbbEUlllE_EE10hipError_tT0_T1_T2_jT3_P12ihipStream_tbPNSt15iterator_traitsISL_E10value_typeEPNSR_ISM_E10value_typeEPSN_NS1_7vsmem_tEENKUlT_SL_SM_SN_E_clIS8_S8_S9_S9_EESK_S10_SL_SM_SN_EUlS10_E_NS1_11comp_targetILNS1_3genE0ELNS1_11target_archE4294967295ELNS1_3gpuE0ELNS1_3repE0EEENS1_48merge_mergepath_partition_config_static_selectorELNS0_4arch9wavefront6targetE0EEEvSM_: ; @_ZN7rocprim17ROCPRIM_400000_NS6detail17trampoline_kernelINS0_14default_configENS1_38merge_sort_block_merge_config_selectorIlNS0_10empty_typeEEEZZNS1_27merge_sort_block_merge_implIS3_PlPS5_mZN2at6native12_GLOBAL__N_124unique_dim_cuda_templateIhEESt5tupleIJNSA_6TensorESF_SF_EERKSF_lbbbEUlllE_EE10hipError_tT0_T1_T2_jT3_P12ihipStream_tbPNSt15iterator_traitsISL_E10value_typeEPNSR_ISM_E10value_typeEPSN_NS1_7vsmem_tEENKUlT_SL_SM_SN_E_clIS8_S8_S9_S9_EESK_S10_SL_SM_SN_EUlS10_E_NS1_11comp_targetILNS1_3genE0ELNS1_11target_archE4294967295ELNS1_3gpuE0ELNS1_3repE0EEENS1_48merge_mergepath_partition_config_static_selectorELNS0_4arch9wavefront6targetE0EEEvSM_
; %bb.0:
	.section	.rodata,"a",@progbits
	.p2align	6, 0x0
	.amdhsa_kernel _ZN7rocprim17ROCPRIM_400000_NS6detail17trampoline_kernelINS0_14default_configENS1_38merge_sort_block_merge_config_selectorIlNS0_10empty_typeEEEZZNS1_27merge_sort_block_merge_implIS3_PlPS5_mZN2at6native12_GLOBAL__N_124unique_dim_cuda_templateIhEESt5tupleIJNSA_6TensorESF_SF_EERKSF_lbbbEUlllE_EE10hipError_tT0_T1_T2_jT3_P12ihipStream_tbPNSt15iterator_traitsISL_E10value_typeEPNSR_ISM_E10value_typeEPSN_NS1_7vsmem_tEENKUlT_SL_SM_SN_E_clIS8_S8_S9_S9_EESK_S10_SL_SM_SN_EUlS10_E_NS1_11comp_targetILNS1_3genE0ELNS1_11target_archE4294967295ELNS1_3gpuE0ELNS1_3repE0EEENS1_48merge_mergepath_partition_config_static_selectorELNS0_4arch9wavefront6targetE0EEEvSM_
		.amdhsa_group_segment_fixed_size 0
		.amdhsa_private_segment_fixed_size 0
		.amdhsa_kernarg_size 56
		.amdhsa_user_sgpr_count 15
		.amdhsa_user_sgpr_dispatch_ptr 0
		.amdhsa_user_sgpr_queue_ptr 0
		.amdhsa_user_sgpr_kernarg_segment_ptr 1
		.amdhsa_user_sgpr_dispatch_id 0
		.amdhsa_user_sgpr_private_segment_size 0
		.amdhsa_wavefront_size32 1
		.amdhsa_uses_dynamic_stack 0
		.amdhsa_enable_private_segment 0
		.amdhsa_system_sgpr_workgroup_id_x 1
		.amdhsa_system_sgpr_workgroup_id_y 0
		.amdhsa_system_sgpr_workgroup_id_z 0
		.amdhsa_system_sgpr_workgroup_info 0
		.amdhsa_system_vgpr_workitem_id 0
		.amdhsa_next_free_vgpr 1
		.amdhsa_next_free_sgpr 1
		.amdhsa_reserve_vcc 0
		.amdhsa_float_round_mode_32 0
		.amdhsa_float_round_mode_16_64 0
		.amdhsa_float_denorm_mode_32 3
		.amdhsa_float_denorm_mode_16_64 3
		.amdhsa_dx10_clamp 1
		.amdhsa_ieee_mode 1
		.amdhsa_fp16_overflow 0
		.amdhsa_workgroup_processor_mode 1
		.amdhsa_memory_ordered 1
		.amdhsa_forward_progress 0
		.amdhsa_shared_vgpr_count 0
		.amdhsa_exception_fp_ieee_invalid_op 0
		.amdhsa_exception_fp_denorm_src 0
		.amdhsa_exception_fp_ieee_div_zero 0
		.amdhsa_exception_fp_ieee_overflow 0
		.amdhsa_exception_fp_ieee_underflow 0
		.amdhsa_exception_fp_ieee_inexact 0
		.amdhsa_exception_int_div_zero 0
	.end_amdhsa_kernel
	.section	.text._ZN7rocprim17ROCPRIM_400000_NS6detail17trampoline_kernelINS0_14default_configENS1_38merge_sort_block_merge_config_selectorIlNS0_10empty_typeEEEZZNS1_27merge_sort_block_merge_implIS3_PlPS5_mZN2at6native12_GLOBAL__N_124unique_dim_cuda_templateIhEESt5tupleIJNSA_6TensorESF_SF_EERKSF_lbbbEUlllE_EE10hipError_tT0_T1_T2_jT3_P12ihipStream_tbPNSt15iterator_traitsISL_E10value_typeEPNSR_ISM_E10value_typeEPSN_NS1_7vsmem_tEENKUlT_SL_SM_SN_E_clIS8_S8_S9_S9_EESK_S10_SL_SM_SN_EUlS10_E_NS1_11comp_targetILNS1_3genE0ELNS1_11target_archE4294967295ELNS1_3gpuE0ELNS1_3repE0EEENS1_48merge_mergepath_partition_config_static_selectorELNS0_4arch9wavefront6targetE0EEEvSM_,"axG",@progbits,_ZN7rocprim17ROCPRIM_400000_NS6detail17trampoline_kernelINS0_14default_configENS1_38merge_sort_block_merge_config_selectorIlNS0_10empty_typeEEEZZNS1_27merge_sort_block_merge_implIS3_PlPS5_mZN2at6native12_GLOBAL__N_124unique_dim_cuda_templateIhEESt5tupleIJNSA_6TensorESF_SF_EERKSF_lbbbEUlllE_EE10hipError_tT0_T1_T2_jT3_P12ihipStream_tbPNSt15iterator_traitsISL_E10value_typeEPNSR_ISM_E10value_typeEPSN_NS1_7vsmem_tEENKUlT_SL_SM_SN_E_clIS8_S8_S9_S9_EESK_S10_SL_SM_SN_EUlS10_E_NS1_11comp_targetILNS1_3genE0ELNS1_11target_archE4294967295ELNS1_3gpuE0ELNS1_3repE0EEENS1_48merge_mergepath_partition_config_static_selectorELNS0_4arch9wavefront6targetE0EEEvSM_,comdat
.Lfunc_end18:
	.size	_ZN7rocprim17ROCPRIM_400000_NS6detail17trampoline_kernelINS0_14default_configENS1_38merge_sort_block_merge_config_selectorIlNS0_10empty_typeEEEZZNS1_27merge_sort_block_merge_implIS3_PlPS5_mZN2at6native12_GLOBAL__N_124unique_dim_cuda_templateIhEESt5tupleIJNSA_6TensorESF_SF_EERKSF_lbbbEUlllE_EE10hipError_tT0_T1_T2_jT3_P12ihipStream_tbPNSt15iterator_traitsISL_E10value_typeEPNSR_ISM_E10value_typeEPSN_NS1_7vsmem_tEENKUlT_SL_SM_SN_E_clIS8_S8_S9_S9_EESK_S10_SL_SM_SN_EUlS10_E_NS1_11comp_targetILNS1_3genE0ELNS1_11target_archE4294967295ELNS1_3gpuE0ELNS1_3repE0EEENS1_48merge_mergepath_partition_config_static_selectorELNS0_4arch9wavefront6targetE0EEEvSM_, .Lfunc_end18-_ZN7rocprim17ROCPRIM_400000_NS6detail17trampoline_kernelINS0_14default_configENS1_38merge_sort_block_merge_config_selectorIlNS0_10empty_typeEEEZZNS1_27merge_sort_block_merge_implIS3_PlPS5_mZN2at6native12_GLOBAL__N_124unique_dim_cuda_templateIhEESt5tupleIJNSA_6TensorESF_SF_EERKSF_lbbbEUlllE_EE10hipError_tT0_T1_T2_jT3_P12ihipStream_tbPNSt15iterator_traitsISL_E10value_typeEPNSR_ISM_E10value_typeEPSN_NS1_7vsmem_tEENKUlT_SL_SM_SN_E_clIS8_S8_S9_S9_EESK_S10_SL_SM_SN_EUlS10_E_NS1_11comp_targetILNS1_3genE0ELNS1_11target_archE4294967295ELNS1_3gpuE0ELNS1_3repE0EEENS1_48merge_mergepath_partition_config_static_selectorELNS0_4arch9wavefront6targetE0EEEvSM_
                                        ; -- End function
	.section	.AMDGPU.csdata,"",@progbits
; Kernel info:
; codeLenInByte = 0
; NumSgprs: 0
; NumVgprs: 0
; ScratchSize: 0
; MemoryBound: 0
; FloatMode: 240
; IeeeMode: 1
; LDSByteSize: 0 bytes/workgroup (compile time only)
; SGPRBlocks: 0
; VGPRBlocks: 0
; NumSGPRsForWavesPerEU: 1
; NumVGPRsForWavesPerEU: 1
; Occupancy: 16
; WaveLimiterHint : 0
; COMPUTE_PGM_RSRC2:SCRATCH_EN: 0
; COMPUTE_PGM_RSRC2:USER_SGPR: 15
; COMPUTE_PGM_RSRC2:TRAP_HANDLER: 0
; COMPUTE_PGM_RSRC2:TGID_X_EN: 1
; COMPUTE_PGM_RSRC2:TGID_Y_EN: 0
; COMPUTE_PGM_RSRC2:TGID_Z_EN: 0
; COMPUTE_PGM_RSRC2:TIDIG_COMP_CNT: 0
	.section	.text._ZN7rocprim17ROCPRIM_400000_NS6detail17trampoline_kernelINS0_14default_configENS1_38merge_sort_block_merge_config_selectorIlNS0_10empty_typeEEEZZNS1_27merge_sort_block_merge_implIS3_PlPS5_mZN2at6native12_GLOBAL__N_124unique_dim_cuda_templateIhEESt5tupleIJNSA_6TensorESF_SF_EERKSF_lbbbEUlllE_EE10hipError_tT0_T1_T2_jT3_P12ihipStream_tbPNSt15iterator_traitsISL_E10value_typeEPNSR_ISM_E10value_typeEPSN_NS1_7vsmem_tEENKUlT_SL_SM_SN_E_clIS8_S8_S9_S9_EESK_S10_SL_SM_SN_EUlS10_E_NS1_11comp_targetILNS1_3genE10ELNS1_11target_archE1201ELNS1_3gpuE5ELNS1_3repE0EEENS1_48merge_mergepath_partition_config_static_selectorELNS0_4arch9wavefront6targetE0EEEvSM_,"axG",@progbits,_ZN7rocprim17ROCPRIM_400000_NS6detail17trampoline_kernelINS0_14default_configENS1_38merge_sort_block_merge_config_selectorIlNS0_10empty_typeEEEZZNS1_27merge_sort_block_merge_implIS3_PlPS5_mZN2at6native12_GLOBAL__N_124unique_dim_cuda_templateIhEESt5tupleIJNSA_6TensorESF_SF_EERKSF_lbbbEUlllE_EE10hipError_tT0_T1_T2_jT3_P12ihipStream_tbPNSt15iterator_traitsISL_E10value_typeEPNSR_ISM_E10value_typeEPSN_NS1_7vsmem_tEENKUlT_SL_SM_SN_E_clIS8_S8_S9_S9_EESK_S10_SL_SM_SN_EUlS10_E_NS1_11comp_targetILNS1_3genE10ELNS1_11target_archE1201ELNS1_3gpuE5ELNS1_3repE0EEENS1_48merge_mergepath_partition_config_static_selectorELNS0_4arch9wavefront6targetE0EEEvSM_,comdat
	.globl	_ZN7rocprim17ROCPRIM_400000_NS6detail17trampoline_kernelINS0_14default_configENS1_38merge_sort_block_merge_config_selectorIlNS0_10empty_typeEEEZZNS1_27merge_sort_block_merge_implIS3_PlPS5_mZN2at6native12_GLOBAL__N_124unique_dim_cuda_templateIhEESt5tupleIJNSA_6TensorESF_SF_EERKSF_lbbbEUlllE_EE10hipError_tT0_T1_T2_jT3_P12ihipStream_tbPNSt15iterator_traitsISL_E10value_typeEPNSR_ISM_E10value_typeEPSN_NS1_7vsmem_tEENKUlT_SL_SM_SN_E_clIS8_S8_S9_S9_EESK_S10_SL_SM_SN_EUlS10_E_NS1_11comp_targetILNS1_3genE10ELNS1_11target_archE1201ELNS1_3gpuE5ELNS1_3repE0EEENS1_48merge_mergepath_partition_config_static_selectorELNS0_4arch9wavefront6targetE0EEEvSM_ ; -- Begin function _ZN7rocprim17ROCPRIM_400000_NS6detail17trampoline_kernelINS0_14default_configENS1_38merge_sort_block_merge_config_selectorIlNS0_10empty_typeEEEZZNS1_27merge_sort_block_merge_implIS3_PlPS5_mZN2at6native12_GLOBAL__N_124unique_dim_cuda_templateIhEESt5tupleIJNSA_6TensorESF_SF_EERKSF_lbbbEUlllE_EE10hipError_tT0_T1_T2_jT3_P12ihipStream_tbPNSt15iterator_traitsISL_E10value_typeEPNSR_ISM_E10value_typeEPSN_NS1_7vsmem_tEENKUlT_SL_SM_SN_E_clIS8_S8_S9_S9_EESK_S10_SL_SM_SN_EUlS10_E_NS1_11comp_targetILNS1_3genE10ELNS1_11target_archE1201ELNS1_3gpuE5ELNS1_3repE0EEENS1_48merge_mergepath_partition_config_static_selectorELNS0_4arch9wavefront6targetE0EEEvSM_
	.p2align	8
	.type	_ZN7rocprim17ROCPRIM_400000_NS6detail17trampoline_kernelINS0_14default_configENS1_38merge_sort_block_merge_config_selectorIlNS0_10empty_typeEEEZZNS1_27merge_sort_block_merge_implIS3_PlPS5_mZN2at6native12_GLOBAL__N_124unique_dim_cuda_templateIhEESt5tupleIJNSA_6TensorESF_SF_EERKSF_lbbbEUlllE_EE10hipError_tT0_T1_T2_jT3_P12ihipStream_tbPNSt15iterator_traitsISL_E10value_typeEPNSR_ISM_E10value_typeEPSN_NS1_7vsmem_tEENKUlT_SL_SM_SN_E_clIS8_S8_S9_S9_EESK_S10_SL_SM_SN_EUlS10_E_NS1_11comp_targetILNS1_3genE10ELNS1_11target_archE1201ELNS1_3gpuE5ELNS1_3repE0EEENS1_48merge_mergepath_partition_config_static_selectorELNS0_4arch9wavefront6targetE0EEEvSM_,@function
_ZN7rocprim17ROCPRIM_400000_NS6detail17trampoline_kernelINS0_14default_configENS1_38merge_sort_block_merge_config_selectorIlNS0_10empty_typeEEEZZNS1_27merge_sort_block_merge_implIS3_PlPS5_mZN2at6native12_GLOBAL__N_124unique_dim_cuda_templateIhEESt5tupleIJNSA_6TensorESF_SF_EERKSF_lbbbEUlllE_EE10hipError_tT0_T1_T2_jT3_P12ihipStream_tbPNSt15iterator_traitsISL_E10value_typeEPNSR_ISM_E10value_typeEPSN_NS1_7vsmem_tEENKUlT_SL_SM_SN_E_clIS8_S8_S9_S9_EESK_S10_SL_SM_SN_EUlS10_E_NS1_11comp_targetILNS1_3genE10ELNS1_11target_archE1201ELNS1_3gpuE5ELNS1_3repE0EEENS1_48merge_mergepath_partition_config_static_selectorELNS0_4arch9wavefront6targetE0EEEvSM_: ; @_ZN7rocprim17ROCPRIM_400000_NS6detail17trampoline_kernelINS0_14default_configENS1_38merge_sort_block_merge_config_selectorIlNS0_10empty_typeEEEZZNS1_27merge_sort_block_merge_implIS3_PlPS5_mZN2at6native12_GLOBAL__N_124unique_dim_cuda_templateIhEESt5tupleIJNSA_6TensorESF_SF_EERKSF_lbbbEUlllE_EE10hipError_tT0_T1_T2_jT3_P12ihipStream_tbPNSt15iterator_traitsISL_E10value_typeEPNSR_ISM_E10value_typeEPSN_NS1_7vsmem_tEENKUlT_SL_SM_SN_E_clIS8_S8_S9_S9_EESK_S10_SL_SM_SN_EUlS10_E_NS1_11comp_targetILNS1_3genE10ELNS1_11target_archE1201ELNS1_3gpuE5ELNS1_3repE0EEENS1_48merge_mergepath_partition_config_static_selectorELNS0_4arch9wavefront6targetE0EEEvSM_
; %bb.0:
	.section	.rodata,"a",@progbits
	.p2align	6, 0x0
	.amdhsa_kernel _ZN7rocprim17ROCPRIM_400000_NS6detail17trampoline_kernelINS0_14default_configENS1_38merge_sort_block_merge_config_selectorIlNS0_10empty_typeEEEZZNS1_27merge_sort_block_merge_implIS3_PlPS5_mZN2at6native12_GLOBAL__N_124unique_dim_cuda_templateIhEESt5tupleIJNSA_6TensorESF_SF_EERKSF_lbbbEUlllE_EE10hipError_tT0_T1_T2_jT3_P12ihipStream_tbPNSt15iterator_traitsISL_E10value_typeEPNSR_ISM_E10value_typeEPSN_NS1_7vsmem_tEENKUlT_SL_SM_SN_E_clIS8_S8_S9_S9_EESK_S10_SL_SM_SN_EUlS10_E_NS1_11comp_targetILNS1_3genE10ELNS1_11target_archE1201ELNS1_3gpuE5ELNS1_3repE0EEENS1_48merge_mergepath_partition_config_static_selectorELNS0_4arch9wavefront6targetE0EEEvSM_
		.amdhsa_group_segment_fixed_size 0
		.amdhsa_private_segment_fixed_size 0
		.amdhsa_kernarg_size 56
		.amdhsa_user_sgpr_count 15
		.amdhsa_user_sgpr_dispatch_ptr 0
		.amdhsa_user_sgpr_queue_ptr 0
		.amdhsa_user_sgpr_kernarg_segment_ptr 1
		.amdhsa_user_sgpr_dispatch_id 0
		.amdhsa_user_sgpr_private_segment_size 0
		.amdhsa_wavefront_size32 1
		.amdhsa_uses_dynamic_stack 0
		.amdhsa_enable_private_segment 0
		.amdhsa_system_sgpr_workgroup_id_x 1
		.amdhsa_system_sgpr_workgroup_id_y 0
		.amdhsa_system_sgpr_workgroup_id_z 0
		.amdhsa_system_sgpr_workgroup_info 0
		.amdhsa_system_vgpr_workitem_id 0
		.amdhsa_next_free_vgpr 1
		.amdhsa_next_free_sgpr 1
		.amdhsa_reserve_vcc 0
		.amdhsa_float_round_mode_32 0
		.amdhsa_float_round_mode_16_64 0
		.amdhsa_float_denorm_mode_32 3
		.amdhsa_float_denorm_mode_16_64 3
		.amdhsa_dx10_clamp 1
		.amdhsa_ieee_mode 1
		.amdhsa_fp16_overflow 0
		.amdhsa_workgroup_processor_mode 1
		.amdhsa_memory_ordered 1
		.amdhsa_forward_progress 0
		.amdhsa_shared_vgpr_count 0
		.amdhsa_exception_fp_ieee_invalid_op 0
		.amdhsa_exception_fp_denorm_src 0
		.amdhsa_exception_fp_ieee_div_zero 0
		.amdhsa_exception_fp_ieee_overflow 0
		.amdhsa_exception_fp_ieee_underflow 0
		.amdhsa_exception_fp_ieee_inexact 0
		.amdhsa_exception_int_div_zero 0
	.end_amdhsa_kernel
	.section	.text._ZN7rocprim17ROCPRIM_400000_NS6detail17trampoline_kernelINS0_14default_configENS1_38merge_sort_block_merge_config_selectorIlNS0_10empty_typeEEEZZNS1_27merge_sort_block_merge_implIS3_PlPS5_mZN2at6native12_GLOBAL__N_124unique_dim_cuda_templateIhEESt5tupleIJNSA_6TensorESF_SF_EERKSF_lbbbEUlllE_EE10hipError_tT0_T1_T2_jT3_P12ihipStream_tbPNSt15iterator_traitsISL_E10value_typeEPNSR_ISM_E10value_typeEPSN_NS1_7vsmem_tEENKUlT_SL_SM_SN_E_clIS8_S8_S9_S9_EESK_S10_SL_SM_SN_EUlS10_E_NS1_11comp_targetILNS1_3genE10ELNS1_11target_archE1201ELNS1_3gpuE5ELNS1_3repE0EEENS1_48merge_mergepath_partition_config_static_selectorELNS0_4arch9wavefront6targetE0EEEvSM_,"axG",@progbits,_ZN7rocprim17ROCPRIM_400000_NS6detail17trampoline_kernelINS0_14default_configENS1_38merge_sort_block_merge_config_selectorIlNS0_10empty_typeEEEZZNS1_27merge_sort_block_merge_implIS3_PlPS5_mZN2at6native12_GLOBAL__N_124unique_dim_cuda_templateIhEESt5tupleIJNSA_6TensorESF_SF_EERKSF_lbbbEUlllE_EE10hipError_tT0_T1_T2_jT3_P12ihipStream_tbPNSt15iterator_traitsISL_E10value_typeEPNSR_ISM_E10value_typeEPSN_NS1_7vsmem_tEENKUlT_SL_SM_SN_E_clIS8_S8_S9_S9_EESK_S10_SL_SM_SN_EUlS10_E_NS1_11comp_targetILNS1_3genE10ELNS1_11target_archE1201ELNS1_3gpuE5ELNS1_3repE0EEENS1_48merge_mergepath_partition_config_static_selectorELNS0_4arch9wavefront6targetE0EEEvSM_,comdat
.Lfunc_end19:
	.size	_ZN7rocprim17ROCPRIM_400000_NS6detail17trampoline_kernelINS0_14default_configENS1_38merge_sort_block_merge_config_selectorIlNS0_10empty_typeEEEZZNS1_27merge_sort_block_merge_implIS3_PlPS5_mZN2at6native12_GLOBAL__N_124unique_dim_cuda_templateIhEESt5tupleIJNSA_6TensorESF_SF_EERKSF_lbbbEUlllE_EE10hipError_tT0_T1_T2_jT3_P12ihipStream_tbPNSt15iterator_traitsISL_E10value_typeEPNSR_ISM_E10value_typeEPSN_NS1_7vsmem_tEENKUlT_SL_SM_SN_E_clIS8_S8_S9_S9_EESK_S10_SL_SM_SN_EUlS10_E_NS1_11comp_targetILNS1_3genE10ELNS1_11target_archE1201ELNS1_3gpuE5ELNS1_3repE0EEENS1_48merge_mergepath_partition_config_static_selectorELNS0_4arch9wavefront6targetE0EEEvSM_, .Lfunc_end19-_ZN7rocprim17ROCPRIM_400000_NS6detail17trampoline_kernelINS0_14default_configENS1_38merge_sort_block_merge_config_selectorIlNS0_10empty_typeEEEZZNS1_27merge_sort_block_merge_implIS3_PlPS5_mZN2at6native12_GLOBAL__N_124unique_dim_cuda_templateIhEESt5tupleIJNSA_6TensorESF_SF_EERKSF_lbbbEUlllE_EE10hipError_tT0_T1_T2_jT3_P12ihipStream_tbPNSt15iterator_traitsISL_E10value_typeEPNSR_ISM_E10value_typeEPSN_NS1_7vsmem_tEENKUlT_SL_SM_SN_E_clIS8_S8_S9_S9_EESK_S10_SL_SM_SN_EUlS10_E_NS1_11comp_targetILNS1_3genE10ELNS1_11target_archE1201ELNS1_3gpuE5ELNS1_3repE0EEENS1_48merge_mergepath_partition_config_static_selectorELNS0_4arch9wavefront6targetE0EEEvSM_
                                        ; -- End function
	.section	.AMDGPU.csdata,"",@progbits
; Kernel info:
; codeLenInByte = 0
; NumSgprs: 0
; NumVgprs: 0
; ScratchSize: 0
; MemoryBound: 0
; FloatMode: 240
; IeeeMode: 1
; LDSByteSize: 0 bytes/workgroup (compile time only)
; SGPRBlocks: 0
; VGPRBlocks: 0
; NumSGPRsForWavesPerEU: 1
; NumVGPRsForWavesPerEU: 1
; Occupancy: 16
; WaveLimiterHint : 0
; COMPUTE_PGM_RSRC2:SCRATCH_EN: 0
; COMPUTE_PGM_RSRC2:USER_SGPR: 15
; COMPUTE_PGM_RSRC2:TRAP_HANDLER: 0
; COMPUTE_PGM_RSRC2:TGID_X_EN: 1
; COMPUTE_PGM_RSRC2:TGID_Y_EN: 0
; COMPUTE_PGM_RSRC2:TGID_Z_EN: 0
; COMPUTE_PGM_RSRC2:TIDIG_COMP_CNT: 0
	.section	.text._ZN7rocprim17ROCPRIM_400000_NS6detail17trampoline_kernelINS0_14default_configENS1_38merge_sort_block_merge_config_selectorIlNS0_10empty_typeEEEZZNS1_27merge_sort_block_merge_implIS3_PlPS5_mZN2at6native12_GLOBAL__N_124unique_dim_cuda_templateIhEESt5tupleIJNSA_6TensorESF_SF_EERKSF_lbbbEUlllE_EE10hipError_tT0_T1_T2_jT3_P12ihipStream_tbPNSt15iterator_traitsISL_E10value_typeEPNSR_ISM_E10value_typeEPSN_NS1_7vsmem_tEENKUlT_SL_SM_SN_E_clIS8_S8_S9_S9_EESK_S10_SL_SM_SN_EUlS10_E_NS1_11comp_targetILNS1_3genE5ELNS1_11target_archE942ELNS1_3gpuE9ELNS1_3repE0EEENS1_48merge_mergepath_partition_config_static_selectorELNS0_4arch9wavefront6targetE0EEEvSM_,"axG",@progbits,_ZN7rocprim17ROCPRIM_400000_NS6detail17trampoline_kernelINS0_14default_configENS1_38merge_sort_block_merge_config_selectorIlNS0_10empty_typeEEEZZNS1_27merge_sort_block_merge_implIS3_PlPS5_mZN2at6native12_GLOBAL__N_124unique_dim_cuda_templateIhEESt5tupleIJNSA_6TensorESF_SF_EERKSF_lbbbEUlllE_EE10hipError_tT0_T1_T2_jT3_P12ihipStream_tbPNSt15iterator_traitsISL_E10value_typeEPNSR_ISM_E10value_typeEPSN_NS1_7vsmem_tEENKUlT_SL_SM_SN_E_clIS8_S8_S9_S9_EESK_S10_SL_SM_SN_EUlS10_E_NS1_11comp_targetILNS1_3genE5ELNS1_11target_archE942ELNS1_3gpuE9ELNS1_3repE0EEENS1_48merge_mergepath_partition_config_static_selectorELNS0_4arch9wavefront6targetE0EEEvSM_,comdat
	.globl	_ZN7rocprim17ROCPRIM_400000_NS6detail17trampoline_kernelINS0_14default_configENS1_38merge_sort_block_merge_config_selectorIlNS0_10empty_typeEEEZZNS1_27merge_sort_block_merge_implIS3_PlPS5_mZN2at6native12_GLOBAL__N_124unique_dim_cuda_templateIhEESt5tupleIJNSA_6TensorESF_SF_EERKSF_lbbbEUlllE_EE10hipError_tT0_T1_T2_jT3_P12ihipStream_tbPNSt15iterator_traitsISL_E10value_typeEPNSR_ISM_E10value_typeEPSN_NS1_7vsmem_tEENKUlT_SL_SM_SN_E_clIS8_S8_S9_S9_EESK_S10_SL_SM_SN_EUlS10_E_NS1_11comp_targetILNS1_3genE5ELNS1_11target_archE942ELNS1_3gpuE9ELNS1_3repE0EEENS1_48merge_mergepath_partition_config_static_selectorELNS0_4arch9wavefront6targetE0EEEvSM_ ; -- Begin function _ZN7rocprim17ROCPRIM_400000_NS6detail17trampoline_kernelINS0_14default_configENS1_38merge_sort_block_merge_config_selectorIlNS0_10empty_typeEEEZZNS1_27merge_sort_block_merge_implIS3_PlPS5_mZN2at6native12_GLOBAL__N_124unique_dim_cuda_templateIhEESt5tupleIJNSA_6TensorESF_SF_EERKSF_lbbbEUlllE_EE10hipError_tT0_T1_T2_jT3_P12ihipStream_tbPNSt15iterator_traitsISL_E10value_typeEPNSR_ISM_E10value_typeEPSN_NS1_7vsmem_tEENKUlT_SL_SM_SN_E_clIS8_S8_S9_S9_EESK_S10_SL_SM_SN_EUlS10_E_NS1_11comp_targetILNS1_3genE5ELNS1_11target_archE942ELNS1_3gpuE9ELNS1_3repE0EEENS1_48merge_mergepath_partition_config_static_selectorELNS0_4arch9wavefront6targetE0EEEvSM_
	.p2align	8
	.type	_ZN7rocprim17ROCPRIM_400000_NS6detail17trampoline_kernelINS0_14default_configENS1_38merge_sort_block_merge_config_selectorIlNS0_10empty_typeEEEZZNS1_27merge_sort_block_merge_implIS3_PlPS5_mZN2at6native12_GLOBAL__N_124unique_dim_cuda_templateIhEESt5tupleIJNSA_6TensorESF_SF_EERKSF_lbbbEUlllE_EE10hipError_tT0_T1_T2_jT3_P12ihipStream_tbPNSt15iterator_traitsISL_E10value_typeEPNSR_ISM_E10value_typeEPSN_NS1_7vsmem_tEENKUlT_SL_SM_SN_E_clIS8_S8_S9_S9_EESK_S10_SL_SM_SN_EUlS10_E_NS1_11comp_targetILNS1_3genE5ELNS1_11target_archE942ELNS1_3gpuE9ELNS1_3repE0EEENS1_48merge_mergepath_partition_config_static_selectorELNS0_4arch9wavefront6targetE0EEEvSM_,@function
_ZN7rocprim17ROCPRIM_400000_NS6detail17trampoline_kernelINS0_14default_configENS1_38merge_sort_block_merge_config_selectorIlNS0_10empty_typeEEEZZNS1_27merge_sort_block_merge_implIS3_PlPS5_mZN2at6native12_GLOBAL__N_124unique_dim_cuda_templateIhEESt5tupleIJNSA_6TensorESF_SF_EERKSF_lbbbEUlllE_EE10hipError_tT0_T1_T2_jT3_P12ihipStream_tbPNSt15iterator_traitsISL_E10value_typeEPNSR_ISM_E10value_typeEPSN_NS1_7vsmem_tEENKUlT_SL_SM_SN_E_clIS8_S8_S9_S9_EESK_S10_SL_SM_SN_EUlS10_E_NS1_11comp_targetILNS1_3genE5ELNS1_11target_archE942ELNS1_3gpuE9ELNS1_3repE0EEENS1_48merge_mergepath_partition_config_static_selectorELNS0_4arch9wavefront6targetE0EEEvSM_: ; @_ZN7rocprim17ROCPRIM_400000_NS6detail17trampoline_kernelINS0_14default_configENS1_38merge_sort_block_merge_config_selectorIlNS0_10empty_typeEEEZZNS1_27merge_sort_block_merge_implIS3_PlPS5_mZN2at6native12_GLOBAL__N_124unique_dim_cuda_templateIhEESt5tupleIJNSA_6TensorESF_SF_EERKSF_lbbbEUlllE_EE10hipError_tT0_T1_T2_jT3_P12ihipStream_tbPNSt15iterator_traitsISL_E10value_typeEPNSR_ISM_E10value_typeEPSN_NS1_7vsmem_tEENKUlT_SL_SM_SN_E_clIS8_S8_S9_S9_EESK_S10_SL_SM_SN_EUlS10_E_NS1_11comp_targetILNS1_3genE5ELNS1_11target_archE942ELNS1_3gpuE9ELNS1_3repE0EEENS1_48merge_mergepath_partition_config_static_selectorELNS0_4arch9wavefront6targetE0EEEvSM_
; %bb.0:
	.section	.rodata,"a",@progbits
	.p2align	6, 0x0
	.amdhsa_kernel _ZN7rocprim17ROCPRIM_400000_NS6detail17trampoline_kernelINS0_14default_configENS1_38merge_sort_block_merge_config_selectorIlNS0_10empty_typeEEEZZNS1_27merge_sort_block_merge_implIS3_PlPS5_mZN2at6native12_GLOBAL__N_124unique_dim_cuda_templateIhEESt5tupleIJNSA_6TensorESF_SF_EERKSF_lbbbEUlllE_EE10hipError_tT0_T1_T2_jT3_P12ihipStream_tbPNSt15iterator_traitsISL_E10value_typeEPNSR_ISM_E10value_typeEPSN_NS1_7vsmem_tEENKUlT_SL_SM_SN_E_clIS8_S8_S9_S9_EESK_S10_SL_SM_SN_EUlS10_E_NS1_11comp_targetILNS1_3genE5ELNS1_11target_archE942ELNS1_3gpuE9ELNS1_3repE0EEENS1_48merge_mergepath_partition_config_static_selectorELNS0_4arch9wavefront6targetE0EEEvSM_
		.amdhsa_group_segment_fixed_size 0
		.amdhsa_private_segment_fixed_size 0
		.amdhsa_kernarg_size 56
		.amdhsa_user_sgpr_count 15
		.amdhsa_user_sgpr_dispatch_ptr 0
		.amdhsa_user_sgpr_queue_ptr 0
		.amdhsa_user_sgpr_kernarg_segment_ptr 1
		.amdhsa_user_sgpr_dispatch_id 0
		.amdhsa_user_sgpr_private_segment_size 0
		.amdhsa_wavefront_size32 1
		.amdhsa_uses_dynamic_stack 0
		.amdhsa_enable_private_segment 0
		.amdhsa_system_sgpr_workgroup_id_x 1
		.amdhsa_system_sgpr_workgroup_id_y 0
		.amdhsa_system_sgpr_workgroup_id_z 0
		.amdhsa_system_sgpr_workgroup_info 0
		.amdhsa_system_vgpr_workitem_id 0
		.amdhsa_next_free_vgpr 1
		.amdhsa_next_free_sgpr 1
		.amdhsa_reserve_vcc 0
		.amdhsa_float_round_mode_32 0
		.amdhsa_float_round_mode_16_64 0
		.amdhsa_float_denorm_mode_32 3
		.amdhsa_float_denorm_mode_16_64 3
		.amdhsa_dx10_clamp 1
		.amdhsa_ieee_mode 1
		.amdhsa_fp16_overflow 0
		.amdhsa_workgroup_processor_mode 1
		.amdhsa_memory_ordered 1
		.amdhsa_forward_progress 0
		.amdhsa_shared_vgpr_count 0
		.amdhsa_exception_fp_ieee_invalid_op 0
		.amdhsa_exception_fp_denorm_src 0
		.amdhsa_exception_fp_ieee_div_zero 0
		.amdhsa_exception_fp_ieee_overflow 0
		.amdhsa_exception_fp_ieee_underflow 0
		.amdhsa_exception_fp_ieee_inexact 0
		.amdhsa_exception_int_div_zero 0
	.end_amdhsa_kernel
	.section	.text._ZN7rocprim17ROCPRIM_400000_NS6detail17trampoline_kernelINS0_14default_configENS1_38merge_sort_block_merge_config_selectorIlNS0_10empty_typeEEEZZNS1_27merge_sort_block_merge_implIS3_PlPS5_mZN2at6native12_GLOBAL__N_124unique_dim_cuda_templateIhEESt5tupleIJNSA_6TensorESF_SF_EERKSF_lbbbEUlllE_EE10hipError_tT0_T1_T2_jT3_P12ihipStream_tbPNSt15iterator_traitsISL_E10value_typeEPNSR_ISM_E10value_typeEPSN_NS1_7vsmem_tEENKUlT_SL_SM_SN_E_clIS8_S8_S9_S9_EESK_S10_SL_SM_SN_EUlS10_E_NS1_11comp_targetILNS1_3genE5ELNS1_11target_archE942ELNS1_3gpuE9ELNS1_3repE0EEENS1_48merge_mergepath_partition_config_static_selectorELNS0_4arch9wavefront6targetE0EEEvSM_,"axG",@progbits,_ZN7rocprim17ROCPRIM_400000_NS6detail17trampoline_kernelINS0_14default_configENS1_38merge_sort_block_merge_config_selectorIlNS0_10empty_typeEEEZZNS1_27merge_sort_block_merge_implIS3_PlPS5_mZN2at6native12_GLOBAL__N_124unique_dim_cuda_templateIhEESt5tupleIJNSA_6TensorESF_SF_EERKSF_lbbbEUlllE_EE10hipError_tT0_T1_T2_jT3_P12ihipStream_tbPNSt15iterator_traitsISL_E10value_typeEPNSR_ISM_E10value_typeEPSN_NS1_7vsmem_tEENKUlT_SL_SM_SN_E_clIS8_S8_S9_S9_EESK_S10_SL_SM_SN_EUlS10_E_NS1_11comp_targetILNS1_3genE5ELNS1_11target_archE942ELNS1_3gpuE9ELNS1_3repE0EEENS1_48merge_mergepath_partition_config_static_selectorELNS0_4arch9wavefront6targetE0EEEvSM_,comdat
.Lfunc_end20:
	.size	_ZN7rocprim17ROCPRIM_400000_NS6detail17trampoline_kernelINS0_14default_configENS1_38merge_sort_block_merge_config_selectorIlNS0_10empty_typeEEEZZNS1_27merge_sort_block_merge_implIS3_PlPS5_mZN2at6native12_GLOBAL__N_124unique_dim_cuda_templateIhEESt5tupleIJNSA_6TensorESF_SF_EERKSF_lbbbEUlllE_EE10hipError_tT0_T1_T2_jT3_P12ihipStream_tbPNSt15iterator_traitsISL_E10value_typeEPNSR_ISM_E10value_typeEPSN_NS1_7vsmem_tEENKUlT_SL_SM_SN_E_clIS8_S8_S9_S9_EESK_S10_SL_SM_SN_EUlS10_E_NS1_11comp_targetILNS1_3genE5ELNS1_11target_archE942ELNS1_3gpuE9ELNS1_3repE0EEENS1_48merge_mergepath_partition_config_static_selectorELNS0_4arch9wavefront6targetE0EEEvSM_, .Lfunc_end20-_ZN7rocprim17ROCPRIM_400000_NS6detail17trampoline_kernelINS0_14default_configENS1_38merge_sort_block_merge_config_selectorIlNS0_10empty_typeEEEZZNS1_27merge_sort_block_merge_implIS3_PlPS5_mZN2at6native12_GLOBAL__N_124unique_dim_cuda_templateIhEESt5tupleIJNSA_6TensorESF_SF_EERKSF_lbbbEUlllE_EE10hipError_tT0_T1_T2_jT3_P12ihipStream_tbPNSt15iterator_traitsISL_E10value_typeEPNSR_ISM_E10value_typeEPSN_NS1_7vsmem_tEENKUlT_SL_SM_SN_E_clIS8_S8_S9_S9_EESK_S10_SL_SM_SN_EUlS10_E_NS1_11comp_targetILNS1_3genE5ELNS1_11target_archE942ELNS1_3gpuE9ELNS1_3repE0EEENS1_48merge_mergepath_partition_config_static_selectorELNS0_4arch9wavefront6targetE0EEEvSM_
                                        ; -- End function
	.section	.AMDGPU.csdata,"",@progbits
; Kernel info:
; codeLenInByte = 0
; NumSgprs: 0
; NumVgprs: 0
; ScratchSize: 0
; MemoryBound: 0
; FloatMode: 240
; IeeeMode: 1
; LDSByteSize: 0 bytes/workgroup (compile time only)
; SGPRBlocks: 0
; VGPRBlocks: 0
; NumSGPRsForWavesPerEU: 1
; NumVGPRsForWavesPerEU: 1
; Occupancy: 16
; WaveLimiterHint : 0
; COMPUTE_PGM_RSRC2:SCRATCH_EN: 0
; COMPUTE_PGM_RSRC2:USER_SGPR: 15
; COMPUTE_PGM_RSRC2:TRAP_HANDLER: 0
; COMPUTE_PGM_RSRC2:TGID_X_EN: 1
; COMPUTE_PGM_RSRC2:TGID_Y_EN: 0
; COMPUTE_PGM_RSRC2:TGID_Z_EN: 0
; COMPUTE_PGM_RSRC2:TIDIG_COMP_CNT: 0
	.section	.text._ZN7rocprim17ROCPRIM_400000_NS6detail17trampoline_kernelINS0_14default_configENS1_38merge_sort_block_merge_config_selectorIlNS0_10empty_typeEEEZZNS1_27merge_sort_block_merge_implIS3_PlPS5_mZN2at6native12_GLOBAL__N_124unique_dim_cuda_templateIhEESt5tupleIJNSA_6TensorESF_SF_EERKSF_lbbbEUlllE_EE10hipError_tT0_T1_T2_jT3_P12ihipStream_tbPNSt15iterator_traitsISL_E10value_typeEPNSR_ISM_E10value_typeEPSN_NS1_7vsmem_tEENKUlT_SL_SM_SN_E_clIS8_S8_S9_S9_EESK_S10_SL_SM_SN_EUlS10_E_NS1_11comp_targetILNS1_3genE4ELNS1_11target_archE910ELNS1_3gpuE8ELNS1_3repE0EEENS1_48merge_mergepath_partition_config_static_selectorELNS0_4arch9wavefront6targetE0EEEvSM_,"axG",@progbits,_ZN7rocprim17ROCPRIM_400000_NS6detail17trampoline_kernelINS0_14default_configENS1_38merge_sort_block_merge_config_selectorIlNS0_10empty_typeEEEZZNS1_27merge_sort_block_merge_implIS3_PlPS5_mZN2at6native12_GLOBAL__N_124unique_dim_cuda_templateIhEESt5tupleIJNSA_6TensorESF_SF_EERKSF_lbbbEUlllE_EE10hipError_tT0_T1_T2_jT3_P12ihipStream_tbPNSt15iterator_traitsISL_E10value_typeEPNSR_ISM_E10value_typeEPSN_NS1_7vsmem_tEENKUlT_SL_SM_SN_E_clIS8_S8_S9_S9_EESK_S10_SL_SM_SN_EUlS10_E_NS1_11comp_targetILNS1_3genE4ELNS1_11target_archE910ELNS1_3gpuE8ELNS1_3repE0EEENS1_48merge_mergepath_partition_config_static_selectorELNS0_4arch9wavefront6targetE0EEEvSM_,comdat
	.globl	_ZN7rocprim17ROCPRIM_400000_NS6detail17trampoline_kernelINS0_14default_configENS1_38merge_sort_block_merge_config_selectorIlNS0_10empty_typeEEEZZNS1_27merge_sort_block_merge_implIS3_PlPS5_mZN2at6native12_GLOBAL__N_124unique_dim_cuda_templateIhEESt5tupleIJNSA_6TensorESF_SF_EERKSF_lbbbEUlllE_EE10hipError_tT0_T1_T2_jT3_P12ihipStream_tbPNSt15iterator_traitsISL_E10value_typeEPNSR_ISM_E10value_typeEPSN_NS1_7vsmem_tEENKUlT_SL_SM_SN_E_clIS8_S8_S9_S9_EESK_S10_SL_SM_SN_EUlS10_E_NS1_11comp_targetILNS1_3genE4ELNS1_11target_archE910ELNS1_3gpuE8ELNS1_3repE0EEENS1_48merge_mergepath_partition_config_static_selectorELNS0_4arch9wavefront6targetE0EEEvSM_ ; -- Begin function _ZN7rocprim17ROCPRIM_400000_NS6detail17trampoline_kernelINS0_14default_configENS1_38merge_sort_block_merge_config_selectorIlNS0_10empty_typeEEEZZNS1_27merge_sort_block_merge_implIS3_PlPS5_mZN2at6native12_GLOBAL__N_124unique_dim_cuda_templateIhEESt5tupleIJNSA_6TensorESF_SF_EERKSF_lbbbEUlllE_EE10hipError_tT0_T1_T2_jT3_P12ihipStream_tbPNSt15iterator_traitsISL_E10value_typeEPNSR_ISM_E10value_typeEPSN_NS1_7vsmem_tEENKUlT_SL_SM_SN_E_clIS8_S8_S9_S9_EESK_S10_SL_SM_SN_EUlS10_E_NS1_11comp_targetILNS1_3genE4ELNS1_11target_archE910ELNS1_3gpuE8ELNS1_3repE0EEENS1_48merge_mergepath_partition_config_static_selectorELNS0_4arch9wavefront6targetE0EEEvSM_
	.p2align	8
	.type	_ZN7rocprim17ROCPRIM_400000_NS6detail17trampoline_kernelINS0_14default_configENS1_38merge_sort_block_merge_config_selectorIlNS0_10empty_typeEEEZZNS1_27merge_sort_block_merge_implIS3_PlPS5_mZN2at6native12_GLOBAL__N_124unique_dim_cuda_templateIhEESt5tupleIJNSA_6TensorESF_SF_EERKSF_lbbbEUlllE_EE10hipError_tT0_T1_T2_jT3_P12ihipStream_tbPNSt15iterator_traitsISL_E10value_typeEPNSR_ISM_E10value_typeEPSN_NS1_7vsmem_tEENKUlT_SL_SM_SN_E_clIS8_S8_S9_S9_EESK_S10_SL_SM_SN_EUlS10_E_NS1_11comp_targetILNS1_3genE4ELNS1_11target_archE910ELNS1_3gpuE8ELNS1_3repE0EEENS1_48merge_mergepath_partition_config_static_selectorELNS0_4arch9wavefront6targetE0EEEvSM_,@function
_ZN7rocprim17ROCPRIM_400000_NS6detail17trampoline_kernelINS0_14default_configENS1_38merge_sort_block_merge_config_selectorIlNS0_10empty_typeEEEZZNS1_27merge_sort_block_merge_implIS3_PlPS5_mZN2at6native12_GLOBAL__N_124unique_dim_cuda_templateIhEESt5tupleIJNSA_6TensorESF_SF_EERKSF_lbbbEUlllE_EE10hipError_tT0_T1_T2_jT3_P12ihipStream_tbPNSt15iterator_traitsISL_E10value_typeEPNSR_ISM_E10value_typeEPSN_NS1_7vsmem_tEENKUlT_SL_SM_SN_E_clIS8_S8_S9_S9_EESK_S10_SL_SM_SN_EUlS10_E_NS1_11comp_targetILNS1_3genE4ELNS1_11target_archE910ELNS1_3gpuE8ELNS1_3repE0EEENS1_48merge_mergepath_partition_config_static_selectorELNS0_4arch9wavefront6targetE0EEEvSM_: ; @_ZN7rocprim17ROCPRIM_400000_NS6detail17trampoline_kernelINS0_14default_configENS1_38merge_sort_block_merge_config_selectorIlNS0_10empty_typeEEEZZNS1_27merge_sort_block_merge_implIS3_PlPS5_mZN2at6native12_GLOBAL__N_124unique_dim_cuda_templateIhEESt5tupleIJNSA_6TensorESF_SF_EERKSF_lbbbEUlllE_EE10hipError_tT0_T1_T2_jT3_P12ihipStream_tbPNSt15iterator_traitsISL_E10value_typeEPNSR_ISM_E10value_typeEPSN_NS1_7vsmem_tEENKUlT_SL_SM_SN_E_clIS8_S8_S9_S9_EESK_S10_SL_SM_SN_EUlS10_E_NS1_11comp_targetILNS1_3genE4ELNS1_11target_archE910ELNS1_3gpuE8ELNS1_3repE0EEENS1_48merge_mergepath_partition_config_static_selectorELNS0_4arch9wavefront6targetE0EEEvSM_
; %bb.0:
	.section	.rodata,"a",@progbits
	.p2align	6, 0x0
	.amdhsa_kernel _ZN7rocprim17ROCPRIM_400000_NS6detail17trampoline_kernelINS0_14default_configENS1_38merge_sort_block_merge_config_selectorIlNS0_10empty_typeEEEZZNS1_27merge_sort_block_merge_implIS3_PlPS5_mZN2at6native12_GLOBAL__N_124unique_dim_cuda_templateIhEESt5tupleIJNSA_6TensorESF_SF_EERKSF_lbbbEUlllE_EE10hipError_tT0_T1_T2_jT3_P12ihipStream_tbPNSt15iterator_traitsISL_E10value_typeEPNSR_ISM_E10value_typeEPSN_NS1_7vsmem_tEENKUlT_SL_SM_SN_E_clIS8_S8_S9_S9_EESK_S10_SL_SM_SN_EUlS10_E_NS1_11comp_targetILNS1_3genE4ELNS1_11target_archE910ELNS1_3gpuE8ELNS1_3repE0EEENS1_48merge_mergepath_partition_config_static_selectorELNS0_4arch9wavefront6targetE0EEEvSM_
		.amdhsa_group_segment_fixed_size 0
		.amdhsa_private_segment_fixed_size 0
		.amdhsa_kernarg_size 56
		.amdhsa_user_sgpr_count 15
		.amdhsa_user_sgpr_dispatch_ptr 0
		.amdhsa_user_sgpr_queue_ptr 0
		.amdhsa_user_sgpr_kernarg_segment_ptr 1
		.amdhsa_user_sgpr_dispatch_id 0
		.amdhsa_user_sgpr_private_segment_size 0
		.amdhsa_wavefront_size32 1
		.amdhsa_uses_dynamic_stack 0
		.amdhsa_enable_private_segment 0
		.amdhsa_system_sgpr_workgroup_id_x 1
		.amdhsa_system_sgpr_workgroup_id_y 0
		.amdhsa_system_sgpr_workgroup_id_z 0
		.amdhsa_system_sgpr_workgroup_info 0
		.amdhsa_system_vgpr_workitem_id 0
		.amdhsa_next_free_vgpr 1
		.amdhsa_next_free_sgpr 1
		.amdhsa_reserve_vcc 0
		.amdhsa_float_round_mode_32 0
		.amdhsa_float_round_mode_16_64 0
		.amdhsa_float_denorm_mode_32 3
		.amdhsa_float_denorm_mode_16_64 3
		.amdhsa_dx10_clamp 1
		.amdhsa_ieee_mode 1
		.amdhsa_fp16_overflow 0
		.amdhsa_workgroup_processor_mode 1
		.amdhsa_memory_ordered 1
		.amdhsa_forward_progress 0
		.amdhsa_shared_vgpr_count 0
		.amdhsa_exception_fp_ieee_invalid_op 0
		.amdhsa_exception_fp_denorm_src 0
		.amdhsa_exception_fp_ieee_div_zero 0
		.amdhsa_exception_fp_ieee_overflow 0
		.amdhsa_exception_fp_ieee_underflow 0
		.amdhsa_exception_fp_ieee_inexact 0
		.amdhsa_exception_int_div_zero 0
	.end_amdhsa_kernel
	.section	.text._ZN7rocprim17ROCPRIM_400000_NS6detail17trampoline_kernelINS0_14default_configENS1_38merge_sort_block_merge_config_selectorIlNS0_10empty_typeEEEZZNS1_27merge_sort_block_merge_implIS3_PlPS5_mZN2at6native12_GLOBAL__N_124unique_dim_cuda_templateIhEESt5tupleIJNSA_6TensorESF_SF_EERKSF_lbbbEUlllE_EE10hipError_tT0_T1_T2_jT3_P12ihipStream_tbPNSt15iterator_traitsISL_E10value_typeEPNSR_ISM_E10value_typeEPSN_NS1_7vsmem_tEENKUlT_SL_SM_SN_E_clIS8_S8_S9_S9_EESK_S10_SL_SM_SN_EUlS10_E_NS1_11comp_targetILNS1_3genE4ELNS1_11target_archE910ELNS1_3gpuE8ELNS1_3repE0EEENS1_48merge_mergepath_partition_config_static_selectorELNS0_4arch9wavefront6targetE0EEEvSM_,"axG",@progbits,_ZN7rocprim17ROCPRIM_400000_NS6detail17trampoline_kernelINS0_14default_configENS1_38merge_sort_block_merge_config_selectorIlNS0_10empty_typeEEEZZNS1_27merge_sort_block_merge_implIS3_PlPS5_mZN2at6native12_GLOBAL__N_124unique_dim_cuda_templateIhEESt5tupleIJNSA_6TensorESF_SF_EERKSF_lbbbEUlllE_EE10hipError_tT0_T1_T2_jT3_P12ihipStream_tbPNSt15iterator_traitsISL_E10value_typeEPNSR_ISM_E10value_typeEPSN_NS1_7vsmem_tEENKUlT_SL_SM_SN_E_clIS8_S8_S9_S9_EESK_S10_SL_SM_SN_EUlS10_E_NS1_11comp_targetILNS1_3genE4ELNS1_11target_archE910ELNS1_3gpuE8ELNS1_3repE0EEENS1_48merge_mergepath_partition_config_static_selectorELNS0_4arch9wavefront6targetE0EEEvSM_,comdat
.Lfunc_end21:
	.size	_ZN7rocprim17ROCPRIM_400000_NS6detail17trampoline_kernelINS0_14default_configENS1_38merge_sort_block_merge_config_selectorIlNS0_10empty_typeEEEZZNS1_27merge_sort_block_merge_implIS3_PlPS5_mZN2at6native12_GLOBAL__N_124unique_dim_cuda_templateIhEESt5tupleIJNSA_6TensorESF_SF_EERKSF_lbbbEUlllE_EE10hipError_tT0_T1_T2_jT3_P12ihipStream_tbPNSt15iterator_traitsISL_E10value_typeEPNSR_ISM_E10value_typeEPSN_NS1_7vsmem_tEENKUlT_SL_SM_SN_E_clIS8_S8_S9_S9_EESK_S10_SL_SM_SN_EUlS10_E_NS1_11comp_targetILNS1_3genE4ELNS1_11target_archE910ELNS1_3gpuE8ELNS1_3repE0EEENS1_48merge_mergepath_partition_config_static_selectorELNS0_4arch9wavefront6targetE0EEEvSM_, .Lfunc_end21-_ZN7rocprim17ROCPRIM_400000_NS6detail17trampoline_kernelINS0_14default_configENS1_38merge_sort_block_merge_config_selectorIlNS0_10empty_typeEEEZZNS1_27merge_sort_block_merge_implIS3_PlPS5_mZN2at6native12_GLOBAL__N_124unique_dim_cuda_templateIhEESt5tupleIJNSA_6TensorESF_SF_EERKSF_lbbbEUlllE_EE10hipError_tT0_T1_T2_jT3_P12ihipStream_tbPNSt15iterator_traitsISL_E10value_typeEPNSR_ISM_E10value_typeEPSN_NS1_7vsmem_tEENKUlT_SL_SM_SN_E_clIS8_S8_S9_S9_EESK_S10_SL_SM_SN_EUlS10_E_NS1_11comp_targetILNS1_3genE4ELNS1_11target_archE910ELNS1_3gpuE8ELNS1_3repE0EEENS1_48merge_mergepath_partition_config_static_selectorELNS0_4arch9wavefront6targetE0EEEvSM_
                                        ; -- End function
	.section	.AMDGPU.csdata,"",@progbits
; Kernel info:
; codeLenInByte = 0
; NumSgprs: 0
; NumVgprs: 0
; ScratchSize: 0
; MemoryBound: 0
; FloatMode: 240
; IeeeMode: 1
; LDSByteSize: 0 bytes/workgroup (compile time only)
; SGPRBlocks: 0
; VGPRBlocks: 0
; NumSGPRsForWavesPerEU: 1
; NumVGPRsForWavesPerEU: 1
; Occupancy: 16
; WaveLimiterHint : 0
; COMPUTE_PGM_RSRC2:SCRATCH_EN: 0
; COMPUTE_PGM_RSRC2:USER_SGPR: 15
; COMPUTE_PGM_RSRC2:TRAP_HANDLER: 0
; COMPUTE_PGM_RSRC2:TGID_X_EN: 1
; COMPUTE_PGM_RSRC2:TGID_Y_EN: 0
; COMPUTE_PGM_RSRC2:TGID_Z_EN: 0
; COMPUTE_PGM_RSRC2:TIDIG_COMP_CNT: 0
	.section	.text._ZN7rocprim17ROCPRIM_400000_NS6detail17trampoline_kernelINS0_14default_configENS1_38merge_sort_block_merge_config_selectorIlNS0_10empty_typeEEEZZNS1_27merge_sort_block_merge_implIS3_PlPS5_mZN2at6native12_GLOBAL__N_124unique_dim_cuda_templateIhEESt5tupleIJNSA_6TensorESF_SF_EERKSF_lbbbEUlllE_EE10hipError_tT0_T1_T2_jT3_P12ihipStream_tbPNSt15iterator_traitsISL_E10value_typeEPNSR_ISM_E10value_typeEPSN_NS1_7vsmem_tEENKUlT_SL_SM_SN_E_clIS8_S8_S9_S9_EESK_S10_SL_SM_SN_EUlS10_E_NS1_11comp_targetILNS1_3genE3ELNS1_11target_archE908ELNS1_3gpuE7ELNS1_3repE0EEENS1_48merge_mergepath_partition_config_static_selectorELNS0_4arch9wavefront6targetE0EEEvSM_,"axG",@progbits,_ZN7rocprim17ROCPRIM_400000_NS6detail17trampoline_kernelINS0_14default_configENS1_38merge_sort_block_merge_config_selectorIlNS0_10empty_typeEEEZZNS1_27merge_sort_block_merge_implIS3_PlPS5_mZN2at6native12_GLOBAL__N_124unique_dim_cuda_templateIhEESt5tupleIJNSA_6TensorESF_SF_EERKSF_lbbbEUlllE_EE10hipError_tT0_T1_T2_jT3_P12ihipStream_tbPNSt15iterator_traitsISL_E10value_typeEPNSR_ISM_E10value_typeEPSN_NS1_7vsmem_tEENKUlT_SL_SM_SN_E_clIS8_S8_S9_S9_EESK_S10_SL_SM_SN_EUlS10_E_NS1_11comp_targetILNS1_3genE3ELNS1_11target_archE908ELNS1_3gpuE7ELNS1_3repE0EEENS1_48merge_mergepath_partition_config_static_selectorELNS0_4arch9wavefront6targetE0EEEvSM_,comdat
	.globl	_ZN7rocprim17ROCPRIM_400000_NS6detail17trampoline_kernelINS0_14default_configENS1_38merge_sort_block_merge_config_selectorIlNS0_10empty_typeEEEZZNS1_27merge_sort_block_merge_implIS3_PlPS5_mZN2at6native12_GLOBAL__N_124unique_dim_cuda_templateIhEESt5tupleIJNSA_6TensorESF_SF_EERKSF_lbbbEUlllE_EE10hipError_tT0_T1_T2_jT3_P12ihipStream_tbPNSt15iterator_traitsISL_E10value_typeEPNSR_ISM_E10value_typeEPSN_NS1_7vsmem_tEENKUlT_SL_SM_SN_E_clIS8_S8_S9_S9_EESK_S10_SL_SM_SN_EUlS10_E_NS1_11comp_targetILNS1_3genE3ELNS1_11target_archE908ELNS1_3gpuE7ELNS1_3repE0EEENS1_48merge_mergepath_partition_config_static_selectorELNS0_4arch9wavefront6targetE0EEEvSM_ ; -- Begin function _ZN7rocprim17ROCPRIM_400000_NS6detail17trampoline_kernelINS0_14default_configENS1_38merge_sort_block_merge_config_selectorIlNS0_10empty_typeEEEZZNS1_27merge_sort_block_merge_implIS3_PlPS5_mZN2at6native12_GLOBAL__N_124unique_dim_cuda_templateIhEESt5tupleIJNSA_6TensorESF_SF_EERKSF_lbbbEUlllE_EE10hipError_tT0_T1_T2_jT3_P12ihipStream_tbPNSt15iterator_traitsISL_E10value_typeEPNSR_ISM_E10value_typeEPSN_NS1_7vsmem_tEENKUlT_SL_SM_SN_E_clIS8_S8_S9_S9_EESK_S10_SL_SM_SN_EUlS10_E_NS1_11comp_targetILNS1_3genE3ELNS1_11target_archE908ELNS1_3gpuE7ELNS1_3repE0EEENS1_48merge_mergepath_partition_config_static_selectorELNS0_4arch9wavefront6targetE0EEEvSM_
	.p2align	8
	.type	_ZN7rocprim17ROCPRIM_400000_NS6detail17trampoline_kernelINS0_14default_configENS1_38merge_sort_block_merge_config_selectorIlNS0_10empty_typeEEEZZNS1_27merge_sort_block_merge_implIS3_PlPS5_mZN2at6native12_GLOBAL__N_124unique_dim_cuda_templateIhEESt5tupleIJNSA_6TensorESF_SF_EERKSF_lbbbEUlllE_EE10hipError_tT0_T1_T2_jT3_P12ihipStream_tbPNSt15iterator_traitsISL_E10value_typeEPNSR_ISM_E10value_typeEPSN_NS1_7vsmem_tEENKUlT_SL_SM_SN_E_clIS8_S8_S9_S9_EESK_S10_SL_SM_SN_EUlS10_E_NS1_11comp_targetILNS1_3genE3ELNS1_11target_archE908ELNS1_3gpuE7ELNS1_3repE0EEENS1_48merge_mergepath_partition_config_static_selectorELNS0_4arch9wavefront6targetE0EEEvSM_,@function
_ZN7rocprim17ROCPRIM_400000_NS6detail17trampoline_kernelINS0_14default_configENS1_38merge_sort_block_merge_config_selectorIlNS0_10empty_typeEEEZZNS1_27merge_sort_block_merge_implIS3_PlPS5_mZN2at6native12_GLOBAL__N_124unique_dim_cuda_templateIhEESt5tupleIJNSA_6TensorESF_SF_EERKSF_lbbbEUlllE_EE10hipError_tT0_T1_T2_jT3_P12ihipStream_tbPNSt15iterator_traitsISL_E10value_typeEPNSR_ISM_E10value_typeEPSN_NS1_7vsmem_tEENKUlT_SL_SM_SN_E_clIS8_S8_S9_S9_EESK_S10_SL_SM_SN_EUlS10_E_NS1_11comp_targetILNS1_3genE3ELNS1_11target_archE908ELNS1_3gpuE7ELNS1_3repE0EEENS1_48merge_mergepath_partition_config_static_selectorELNS0_4arch9wavefront6targetE0EEEvSM_: ; @_ZN7rocprim17ROCPRIM_400000_NS6detail17trampoline_kernelINS0_14default_configENS1_38merge_sort_block_merge_config_selectorIlNS0_10empty_typeEEEZZNS1_27merge_sort_block_merge_implIS3_PlPS5_mZN2at6native12_GLOBAL__N_124unique_dim_cuda_templateIhEESt5tupleIJNSA_6TensorESF_SF_EERKSF_lbbbEUlllE_EE10hipError_tT0_T1_T2_jT3_P12ihipStream_tbPNSt15iterator_traitsISL_E10value_typeEPNSR_ISM_E10value_typeEPSN_NS1_7vsmem_tEENKUlT_SL_SM_SN_E_clIS8_S8_S9_S9_EESK_S10_SL_SM_SN_EUlS10_E_NS1_11comp_targetILNS1_3genE3ELNS1_11target_archE908ELNS1_3gpuE7ELNS1_3repE0EEENS1_48merge_mergepath_partition_config_static_selectorELNS0_4arch9wavefront6targetE0EEEvSM_
; %bb.0:
	.section	.rodata,"a",@progbits
	.p2align	6, 0x0
	.amdhsa_kernel _ZN7rocprim17ROCPRIM_400000_NS6detail17trampoline_kernelINS0_14default_configENS1_38merge_sort_block_merge_config_selectorIlNS0_10empty_typeEEEZZNS1_27merge_sort_block_merge_implIS3_PlPS5_mZN2at6native12_GLOBAL__N_124unique_dim_cuda_templateIhEESt5tupleIJNSA_6TensorESF_SF_EERKSF_lbbbEUlllE_EE10hipError_tT0_T1_T2_jT3_P12ihipStream_tbPNSt15iterator_traitsISL_E10value_typeEPNSR_ISM_E10value_typeEPSN_NS1_7vsmem_tEENKUlT_SL_SM_SN_E_clIS8_S8_S9_S9_EESK_S10_SL_SM_SN_EUlS10_E_NS1_11comp_targetILNS1_3genE3ELNS1_11target_archE908ELNS1_3gpuE7ELNS1_3repE0EEENS1_48merge_mergepath_partition_config_static_selectorELNS0_4arch9wavefront6targetE0EEEvSM_
		.amdhsa_group_segment_fixed_size 0
		.amdhsa_private_segment_fixed_size 0
		.amdhsa_kernarg_size 56
		.amdhsa_user_sgpr_count 15
		.amdhsa_user_sgpr_dispatch_ptr 0
		.amdhsa_user_sgpr_queue_ptr 0
		.amdhsa_user_sgpr_kernarg_segment_ptr 1
		.amdhsa_user_sgpr_dispatch_id 0
		.amdhsa_user_sgpr_private_segment_size 0
		.amdhsa_wavefront_size32 1
		.amdhsa_uses_dynamic_stack 0
		.amdhsa_enable_private_segment 0
		.amdhsa_system_sgpr_workgroup_id_x 1
		.amdhsa_system_sgpr_workgroup_id_y 0
		.amdhsa_system_sgpr_workgroup_id_z 0
		.amdhsa_system_sgpr_workgroup_info 0
		.amdhsa_system_vgpr_workitem_id 0
		.amdhsa_next_free_vgpr 1
		.amdhsa_next_free_sgpr 1
		.amdhsa_reserve_vcc 0
		.amdhsa_float_round_mode_32 0
		.amdhsa_float_round_mode_16_64 0
		.amdhsa_float_denorm_mode_32 3
		.amdhsa_float_denorm_mode_16_64 3
		.amdhsa_dx10_clamp 1
		.amdhsa_ieee_mode 1
		.amdhsa_fp16_overflow 0
		.amdhsa_workgroup_processor_mode 1
		.amdhsa_memory_ordered 1
		.amdhsa_forward_progress 0
		.amdhsa_shared_vgpr_count 0
		.amdhsa_exception_fp_ieee_invalid_op 0
		.amdhsa_exception_fp_denorm_src 0
		.amdhsa_exception_fp_ieee_div_zero 0
		.amdhsa_exception_fp_ieee_overflow 0
		.amdhsa_exception_fp_ieee_underflow 0
		.amdhsa_exception_fp_ieee_inexact 0
		.amdhsa_exception_int_div_zero 0
	.end_amdhsa_kernel
	.section	.text._ZN7rocprim17ROCPRIM_400000_NS6detail17trampoline_kernelINS0_14default_configENS1_38merge_sort_block_merge_config_selectorIlNS0_10empty_typeEEEZZNS1_27merge_sort_block_merge_implIS3_PlPS5_mZN2at6native12_GLOBAL__N_124unique_dim_cuda_templateIhEESt5tupleIJNSA_6TensorESF_SF_EERKSF_lbbbEUlllE_EE10hipError_tT0_T1_T2_jT3_P12ihipStream_tbPNSt15iterator_traitsISL_E10value_typeEPNSR_ISM_E10value_typeEPSN_NS1_7vsmem_tEENKUlT_SL_SM_SN_E_clIS8_S8_S9_S9_EESK_S10_SL_SM_SN_EUlS10_E_NS1_11comp_targetILNS1_3genE3ELNS1_11target_archE908ELNS1_3gpuE7ELNS1_3repE0EEENS1_48merge_mergepath_partition_config_static_selectorELNS0_4arch9wavefront6targetE0EEEvSM_,"axG",@progbits,_ZN7rocprim17ROCPRIM_400000_NS6detail17trampoline_kernelINS0_14default_configENS1_38merge_sort_block_merge_config_selectorIlNS0_10empty_typeEEEZZNS1_27merge_sort_block_merge_implIS3_PlPS5_mZN2at6native12_GLOBAL__N_124unique_dim_cuda_templateIhEESt5tupleIJNSA_6TensorESF_SF_EERKSF_lbbbEUlllE_EE10hipError_tT0_T1_T2_jT3_P12ihipStream_tbPNSt15iterator_traitsISL_E10value_typeEPNSR_ISM_E10value_typeEPSN_NS1_7vsmem_tEENKUlT_SL_SM_SN_E_clIS8_S8_S9_S9_EESK_S10_SL_SM_SN_EUlS10_E_NS1_11comp_targetILNS1_3genE3ELNS1_11target_archE908ELNS1_3gpuE7ELNS1_3repE0EEENS1_48merge_mergepath_partition_config_static_selectorELNS0_4arch9wavefront6targetE0EEEvSM_,comdat
.Lfunc_end22:
	.size	_ZN7rocprim17ROCPRIM_400000_NS6detail17trampoline_kernelINS0_14default_configENS1_38merge_sort_block_merge_config_selectorIlNS0_10empty_typeEEEZZNS1_27merge_sort_block_merge_implIS3_PlPS5_mZN2at6native12_GLOBAL__N_124unique_dim_cuda_templateIhEESt5tupleIJNSA_6TensorESF_SF_EERKSF_lbbbEUlllE_EE10hipError_tT0_T1_T2_jT3_P12ihipStream_tbPNSt15iterator_traitsISL_E10value_typeEPNSR_ISM_E10value_typeEPSN_NS1_7vsmem_tEENKUlT_SL_SM_SN_E_clIS8_S8_S9_S9_EESK_S10_SL_SM_SN_EUlS10_E_NS1_11comp_targetILNS1_3genE3ELNS1_11target_archE908ELNS1_3gpuE7ELNS1_3repE0EEENS1_48merge_mergepath_partition_config_static_selectorELNS0_4arch9wavefront6targetE0EEEvSM_, .Lfunc_end22-_ZN7rocprim17ROCPRIM_400000_NS6detail17trampoline_kernelINS0_14default_configENS1_38merge_sort_block_merge_config_selectorIlNS0_10empty_typeEEEZZNS1_27merge_sort_block_merge_implIS3_PlPS5_mZN2at6native12_GLOBAL__N_124unique_dim_cuda_templateIhEESt5tupleIJNSA_6TensorESF_SF_EERKSF_lbbbEUlllE_EE10hipError_tT0_T1_T2_jT3_P12ihipStream_tbPNSt15iterator_traitsISL_E10value_typeEPNSR_ISM_E10value_typeEPSN_NS1_7vsmem_tEENKUlT_SL_SM_SN_E_clIS8_S8_S9_S9_EESK_S10_SL_SM_SN_EUlS10_E_NS1_11comp_targetILNS1_3genE3ELNS1_11target_archE908ELNS1_3gpuE7ELNS1_3repE0EEENS1_48merge_mergepath_partition_config_static_selectorELNS0_4arch9wavefront6targetE0EEEvSM_
                                        ; -- End function
	.section	.AMDGPU.csdata,"",@progbits
; Kernel info:
; codeLenInByte = 0
; NumSgprs: 0
; NumVgprs: 0
; ScratchSize: 0
; MemoryBound: 0
; FloatMode: 240
; IeeeMode: 1
; LDSByteSize: 0 bytes/workgroup (compile time only)
; SGPRBlocks: 0
; VGPRBlocks: 0
; NumSGPRsForWavesPerEU: 1
; NumVGPRsForWavesPerEU: 1
; Occupancy: 16
; WaveLimiterHint : 0
; COMPUTE_PGM_RSRC2:SCRATCH_EN: 0
; COMPUTE_PGM_RSRC2:USER_SGPR: 15
; COMPUTE_PGM_RSRC2:TRAP_HANDLER: 0
; COMPUTE_PGM_RSRC2:TGID_X_EN: 1
; COMPUTE_PGM_RSRC2:TGID_Y_EN: 0
; COMPUTE_PGM_RSRC2:TGID_Z_EN: 0
; COMPUTE_PGM_RSRC2:TIDIG_COMP_CNT: 0
	.section	.text._ZN7rocprim17ROCPRIM_400000_NS6detail17trampoline_kernelINS0_14default_configENS1_38merge_sort_block_merge_config_selectorIlNS0_10empty_typeEEEZZNS1_27merge_sort_block_merge_implIS3_PlPS5_mZN2at6native12_GLOBAL__N_124unique_dim_cuda_templateIhEESt5tupleIJNSA_6TensorESF_SF_EERKSF_lbbbEUlllE_EE10hipError_tT0_T1_T2_jT3_P12ihipStream_tbPNSt15iterator_traitsISL_E10value_typeEPNSR_ISM_E10value_typeEPSN_NS1_7vsmem_tEENKUlT_SL_SM_SN_E_clIS8_S8_S9_S9_EESK_S10_SL_SM_SN_EUlS10_E_NS1_11comp_targetILNS1_3genE2ELNS1_11target_archE906ELNS1_3gpuE6ELNS1_3repE0EEENS1_48merge_mergepath_partition_config_static_selectorELNS0_4arch9wavefront6targetE0EEEvSM_,"axG",@progbits,_ZN7rocprim17ROCPRIM_400000_NS6detail17trampoline_kernelINS0_14default_configENS1_38merge_sort_block_merge_config_selectorIlNS0_10empty_typeEEEZZNS1_27merge_sort_block_merge_implIS3_PlPS5_mZN2at6native12_GLOBAL__N_124unique_dim_cuda_templateIhEESt5tupleIJNSA_6TensorESF_SF_EERKSF_lbbbEUlllE_EE10hipError_tT0_T1_T2_jT3_P12ihipStream_tbPNSt15iterator_traitsISL_E10value_typeEPNSR_ISM_E10value_typeEPSN_NS1_7vsmem_tEENKUlT_SL_SM_SN_E_clIS8_S8_S9_S9_EESK_S10_SL_SM_SN_EUlS10_E_NS1_11comp_targetILNS1_3genE2ELNS1_11target_archE906ELNS1_3gpuE6ELNS1_3repE0EEENS1_48merge_mergepath_partition_config_static_selectorELNS0_4arch9wavefront6targetE0EEEvSM_,comdat
	.globl	_ZN7rocprim17ROCPRIM_400000_NS6detail17trampoline_kernelINS0_14default_configENS1_38merge_sort_block_merge_config_selectorIlNS0_10empty_typeEEEZZNS1_27merge_sort_block_merge_implIS3_PlPS5_mZN2at6native12_GLOBAL__N_124unique_dim_cuda_templateIhEESt5tupleIJNSA_6TensorESF_SF_EERKSF_lbbbEUlllE_EE10hipError_tT0_T1_T2_jT3_P12ihipStream_tbPNSt15iterator_traitsISL_E10value_typeEPNSR_ISM_E10value_typeEPSN_NS1_7vsmem_tEENKUlT_SL_SM_SN_E_clIS8_S8_S9_S9_EESK_S10_SL_SM_SN_EUlS10_E_NS1_11comp_targetILNS1_3genE2ELNS1_11target_archE906ELNS1_3gpuE6ELNS1_3repE0EEENS1_48merge_mergepath_partition_config_static_selectorELNS0_4arch9wavefront6targetE0EEEvSM_ ; -- Begin function _ZN7rocprim17ROCPRIM_400000_NS6detail17trampoline_kernelINS0_14default_configENS1_38merge_sort_block_merge_config_selectorIlNS0_10empty_typeEEEZZNS1_27merge_sort_block_merge_implIS3_PlPS5_mZN2at6native12_GLOBAL__N_124unique_dim_cuda_templateIhEESt5tupleIJNSA_6TensorESF_SF_EERKSF_lbbbEUlllE_EE10hipError_tT0_T1_T2_jT3_P12ihipStream_tbPNSt15iterator_traitsISL_E10value_typeEPNSR_ISM_E10value_typeEPSN_NS1_7vsmem_tEENKUlT_SL_SM_SN_E_clIS8_S8_S9_S9_EESK_S10_SL_SM_SN_EUlS10_E_NS1_11comp_targetILNS1_3genE2ELNS1_11target_archE906ELNS1_3gpuE6ELNS1_3repE0EEENS1_48merge_mergepath_partition_config_static_selectorELNS0_4arch9wavefront6targetE0EEEvSM_
	.p2align	8
	.type	_ZN7rocprim17ROCPRIM_400000_NS6detail17trampoline_kernelINS0_14default_configENS1_38merge_sort_block_merge_config_selectorIlNS0_10empty_typeEEEZZNS1_27merge_sort_block_merge_implIS3_PlPS5_mZN2at6native12_GLOBAL__N_124unique_dim_cuda_templateIhEESt5tupleIJNSA_6TensorESF_SF_EERKSF_lbbbEUlllE_EE10hipError_tT0_T1_T2_jT3_P12ihipStream_tbPNSt15iterator_traitsISL_E10value_typeEPNSR_ISM_E10value_typeEPSN_NS1_7vsmem_tEENKUlT_SL_SM_SN_E_clIS8_S8_S9_S9_EESK_S10_SL_SM_SN_EUlS10_E_NS1_11comp_targetILNS1_3genE2ELNS1_11target_archE906ELNS1_3gpuE6ELNS1_3repE0EEENS1_48merge_mergepath_partition_config_static_selectorELNS0_4arch9wavefront6targetE0EEEvSM_,@function
_ZN7rocprim17ROCPRIM_400000_NS6detail17trampoline_kernelINS0_14default_configENS1_38merge_sort_block_merge_config_selectorIlNS0_10empty_typeEEEZZNS1_27merge_sort_block_merge_implIS3_PlPS5_mZN2at6native12_GLOBAL__N_124unique_dim_cuda_templateIhEESt5tupleIJNSA_6TensorESF_SF_EERKSF_lbbbEUlllE_EE10hipError_tT0_T1_T2_jT3_P12ihipStream_tbPNSt15iterator_traitsISL_E10value_typeEPNSR_ISM_E10value_typeEPSN_NS1_7vsmem_tEENKUlT_SL_SM_SN_E_clIS8_S8_S9_S9_EESK_S10_SL_SM_SN_EUlS10_E_NS1_11comp_targetILNS1_3genE2ELNS1_11target_archE906ELNS1_3gpuE6ELNS1_3repE0EEENS1_48merge_mergepath_partition_config_static_selectorELNS0_4arch9wavefront6targetE0EEEvSM_: ; @_ZN7rocprim17ROCPRIM_400000_NS6detail17trampoline_kernelINS0_14default_configENS1_38merge_sort_block_merge_config_selectorIlNS0_10empty_typeEEEZZNS1_27merge_sort_block_merge_implIS3_PlPS5_mZN2at6native12_GLOBAL__N_124unique_dim_cuda_templateIhEESt5tupleIJNSA_6TensorESF_SF_EERKSF_lbbbEUlllE_EE10hipError_tT0_T1_T2_jT3_P12ihipStream_tbPNSt15iterator_traitsISL_E10value_typeEPNSR_ISM_E10value_typeEPSN_NS1_7vsmem_tEENKUlT_SL_SM_SN_E_clIS8_S8_S9_S9_EESK_S10_SL_SM_SN_EUlS10_E_NS1_11comp_targetILNS1_3genE2ELNS1_11target_archE906ELNS1_3gpuE6ELNS1_3repE0EEENS1_48merge_mergepath_partition_config_static_selectorELNS0_4arch9wavefront6targetE0EEEvSM_
; %bb.0:
	.section	.rodata,"a",@progbits
	.p2align	6, 0x0
	.amdhsa_kernel _ZN7rocprim17ROCPRIM_400000_NS6detail17trampoline_kernelINS0_14default_configENS1_38merge_sort_block_merge_config_selectorIlNS0_10empty_typeEEEZZNS1_27merge_sort_block_merge_implIS3_PlPS5_mZN2at6native12_GLOBAL__N_124unique_dim_cuda_templateIhEESt5tupleIJNSA_6TensorESF_SF_EERKSF_lbbbEUlllE_EE10hipError_tT0_T1_T2_jT3_P12ihipStream_tbPNSt15iterator_traitsISL_E10value_typeEPNSR_ISM_E10value_typeEPSN_NS1_7vsmem_tEENKUlT_SL_SM_SN_E_clIS8_S8_S9_S9_EESK_S10_SL_SM_SN_EUlS10_E_NS1_11comp_targetILNS1_3genE2ELNS1_11target_archE906ELNS1_3gpuE6ELNS1_3repE0EEENS1_48merge_mergepath_partition_config_static_selectorELNS0_4arch9wavefront6targetE0EEEvSM_
		.amdhsa_group_segment_fixed_size 0
		.amdhsa_private_segment_fixed_size 0
		.amdhsa_kernarg_size 56
		.amdhsa_user_sgpr_count 15
		.amdhsa_user_sgpr_dispatch_ptr 0
		.amdhsa_user_sgpr_queue_ptr 0
		.amdhsa_user_sgpr_kernarg_segment_ptr 1
		.amdhsa_user_sgpr_dispatch_id 0
		.amdhsa_user_sgpr_private_segment_size 0
		.amdhsa_wavefront_size32 1
		.amdhsa_uses_dynamic_stack 0
		.amdhsa_enable_private_segment 0
		.amdhsa_system_sgpr_workgroup_id_x 1
		.amdhsa_system_sgpr_workgroup_id_y 0
		.amdhsa_system_sgpr_workgroup_id_z 0
		.amdhsa_system_sgpr_workgroup_info 0
		.amdhsa_system_vgpr_workitem_id 0
		.amdhsa_next_free_vgpr 1
		.amdhsa_next_free_sgpr 1
		.amdhsa_reserve_vcc 0
		.amdhsa_float_round_mode_32 0
		.amdhsa_float_round_mode_16_64 0
		.amdhsa_float_denorm_mode_32 3
		.amdhsa_float_denorm_mode_16_64 3
		.amdhsa_dx10_clamp 1
		.amdhsa_ieee_mode 1
		.amdhsa_fp16_overflow 0
		.amdhsa_workgroup_processor_mode 1
		.amdhsa_memory_ordered 1
		.amdhsa_forward_progress 0
		.amdhsa_shared_vgpr_count 0
		.amdhsa_exception_fp_ieee_invalid_op 0
		.amdhsa_exception_fp_denorm_src 0
		.amdhsa_exception_fp_ieee_div_zero 0
		.amdhsa_exception_fp_ieee_overflow 0
		.amdhsa_exception_fp_ieee_underflow 0
		.amdhsa_exception_fp_ieee_inexact 0
		.amdhsa_exception_int_div_zero 0
	.end_amdhsa_kernel
	.section	.text._ZN7rocprim17ROCPRIM_400000_NS6detail17trampoline_kernelINS0_14default_configENS1_38merge_sort_block_merge_config_selectorIlNS0_10empty_typeEEEZZNS1_27merge_sort_block_merge_implIS3_PlPS5_mZN2at6native12_GLOBAL__N_124unique_dim_cuda_templateIhEESt5tupleIJNSA_6TensorESF_SF_EERKSF_lbbbEUlllE_EE10hipError_tT0_T1_T2_jT3_P12ihipStream_tbPNSt15iterator_traitsISL_E10value_typeEPNSR_ISM_E10value_typeEPSN_NS1_7vsmem_tEENKUlT_SL_SM_SN_E_clIS8_S8_S9_S9_EESK_S10_SL_SM_SN_EUlS10_E_NS1_11comp_targetILNS1_3genE2ELNS1_11target_archE906ELNS1_3gpuE6ELNS1_3repE0EEENS1_48merge_mergepath_partition_config_static_selectorELNS0_4arch9wavefront6targetE0EEEvSM_,"axG",@progbits,_ZN7rocprim17ROCPRIM_400000_NS6detail17trampoline_kernelINS0_14default_configENS1_38merge_sort_block_merge_config_selectorIlNS0_10empty_typeEEEZZNS1_27merge_sort_block_merge_implIS3_PlPS5_mZN2at6native12_GLOBAL__N_124unique_dim_cuda_templateIhEESt5tupleIJNSA_6TensorESF_SF_EERKSF_lbbbEUlllE_EE10hipError_tT0_T1_T2_jT3_P12ihipStream_tbPNSt15iterator_traitsISL_E10value_typeEPNSR_ISM_E10value_typeEPSN_NS1_7vsmem_tEENKUlT_SL_SM_SN_E_clIS8_S8_S9_S9_EESK_S10_SL_SM_SN_EUlS10_E_NS1_11comp_targetILNS1_3genE2ELNS1_11target_archE906ELNS1_3gpuE6ELNS1_3repE0EEENS1_48merge_mergepath_partition_config_static_selectorELNS0_4arch9wavefront6targetE0EEEvSM_,comdat
.Lfunc_end23:
	.size	_ZN7rocprim17ROCPRIM_400000_NS6detail17trampoline_kernelINS0_14default_configENS1_38merge_sort_block_merge_config_selectorIlNS0_10empty_typeEEEZZNS1_27merge_sort_block_merge_implIS3_PlPS5_mZN2at6native12_GLOBAL__N_124unique_dim_cuda_templateIhEESt5tupleIJNSA_6TensorESF_SF_EERKSF_lbbbEUlllE_EE10hipError_tT0_T1_T2_jT3_P12ihipStream_tbPNSt15iterator_traitsISL_E10value_typeEPNSR_ISM_E10value_typeEPSN_NS1_7vsmem_tEENKUlT_SL_SM_SN_E_clIS8_S8_S9_S9_EESK_S10_SL_SM_SN_EUlS10_E_NS1_11comp_targetILNS1_3genE2ELNS1_11target_archE906ELNS1_3gpuE6ELNS1_3repE0EEENS1_48merge_mergepath_partition_config_static_selectorELNS0_4arch9wavefront6targetE0EEEvSM_, .Lfunc_end23-_ZN7rocprim17ROCPRIM_400000_NS6detail17trampoline_kernelINS0_14default_configENS1_38merge_sort_block_merge_config_selectorIlNS0_10empty_typeEEEZZNS1_27merge_sort_block_merge_implIS3_PlPS5_mZN2at6native12_GLOBAL__N_124unique_dim_cuda_templateIhEESt5tupleIJNSA_6TensorESF_SF_EERKSF_lbbbEUlllE_EE10hipError_tT0_T1_T2_jT3_P12ihipStream_tbPNSt15iterator_traitsISL_E10value_typeEPNSR_ISM_E10value_typeEPSN_NS1_7vsmem_tEENKUlT_SL_SM_SN_E_clIS8_S8_S9_S9_EESK_S10_SL_SM_SN_EUlS10_E_NS1_11comp_targetILNS1_3genE2ELNS1_11target_archE906ELNS1_3gpuE6ELNS1_3repE0EEENS1_48merge_mergepath_partition_config_static_selectorELNS0_4arch9wavefront6targetE0EEEvSM_
                                        ; -- End function
	.section	.AMDGPU.csdata,"",@progbits
; Kernel info:
; codeLenInByte = 0
; NumSgprs: 0
; NumVgprs: 0
; ScratchSize: 0
; MemoryBound: 0
; FloatMode: 240
; IeeeMode: 1
; LDSByteSize: 0 bytes/workgroup (compile time only)
; SGPRBlocks: 0
; VGPRBlocks: 0
; NumSGPRsForWavesPerEU: 1
; NumVGPRsForWavesPerEU: 1
; Occupancy: 16
; WaveLimiterHint : 0
; COMPUTE_PGM_RSRC2:SCRATCH_EN: 0
; COMPUTE_PGM_RSRC2:USER_SGPR: 15
; COMPUTE_PGM_RSRC2:TRAP_HANDLER: 0
; COMPUTE_PGM_RSRC2:TGID_X_EN: 1
; COMPUTE_PGM_RSRC2:TGID_Y_EN: 0
; COMPUTE_PGM_RSRC2:TGID_Z_EN: 0
; COMPUTE_PGM_RSRC2:TIDIG_COMP_CNT: 0
	.section	.text._ZN7rocprim17ROCPRIM_400000_NS6detail17trampoline_kernelINS0_14default_configENS1_38merge_sort_block_merge_config_selectorIlNS0_10empty_typeEEEZZNS1_27merge_sort_block_merge_implIS3_PlPS5_mZN2at6native12_GLOBAL__N_124unique_dim_cuda_templateIhEESt5tupleIJNSA_6TensorESF_SF_EERKSF_lbbbEUlllE_EE10hipError_tT0_T1_T2_jT3_P12ihipStream_tbPNSt15iterator_traitsISL_E10value_typeEPNSR_ISM_E10value_typeEPSN_NS1_7vsmem_tEENKUlT_SL_SM_SN_E_clIS8_S8_S9_S9_EESK_S10_SL_SM_SN_EUlS10_E_NS1_11comp_targetILNS1_3genE9ELNS1_11target_archE1100ELNS1_3gpuE3ELNS1_3repE0EEENS1_48merge_mergepath_partition_config_static_selectorELNS0_4arch9wavefront6targetE0EEEvSM_,"axG",@progbits,_ZN7rocprim17ROCPRIM_400000_NS6detail17trampoline_kernelINS0_14default_configENS1_38merge_sort_block_merge_config_selectorIlNS0_10empty_typeEEEZZNS1_27merge_sort_block_merge_implIS3_PlPS5_mZN2at6native12_GLOBAL__N_124unique_dim_cuda_templateIhEESt5tupleIJNSA_6TensorESF_SF_EERKSF_lbbbEUlllE_EE10hipError_tT0_T1_T2_jT3_P12ihipStream_tbPNSt15iterator_traitsISL_E10value_typeEPNSR_ISM_E10value_typeEPSN_NS1_7vsmem_tEENKUlT_SL_SM_SN_E_clIS8_S8_S9_S9_EESK_S10_SL_SM_SN_EUlS10_E_NS1_11comp_targetILNS1_3genE9ELNS1_11target_archE1100ELNS1_3gpuE3ELNS1_3repE0EEENS1_48merge_mergepath_partition_config_static_selectorELNS0_4arch9wavefront6targetE0EEEvSM_,comdat
	.globl	_ZN7rocprim17ROCPRIM_400000_NS6detail17trampoline_kernelINS0_14default_configENS1_38merge_sort_block_merge_config_selectorIlNS0_10empty_typeEEEZZNS1_27merge_sort_block_merge_implIS3_PlPS5_mZN2at6native12_GLOBAL__N_124unique_dim_cuda_templateIhEESt5tupleIJNSA_6TensorESF_SF_EERKSF_lbbbEUlllE_EE10hipError_tT0_T1_T2_jT3_P12ihipStream_tbPNSt15iterator_traitsISL_E10value_typeEPNSR_ISM_E10value_typeEPSN_NS1_7vsmem_tEENKUlT_SL_SM_SN_E_clIS8_S8_S9_S9_EESK_S10_SL_SM_SN_EUlS10_E_NS1_11comp_targetILNS1_3genE9ELNS1_11target_archE1100ELNS1_3gpuE3ELNS1_3repE0EEENS1_48merge_mergepath_partition_config_static_selectorELNS0_4arch9wavefront6targetE0EEEvSM_ ; -- Begin function _ZN7rocprim17ROCPRIM_400000_NS6detail17trampoline_kernelINS0_14default_configENS1_38merge_sort_block_merge_config_selectorIlNS0_10empty_typeEEEZZNS1_27merge_sort_block_merge_implIS3_PlPS5_mZN2at6native12_GLOBAL__N_124unique_dim_cuda_templateIhEESt5tupleIJNSA_6TensorESF_SF_EERKSF_lbbbEUlllE_EE10hipError_tT0_T1_T2_jT3_P12ihipStream_tbPNSt15iterator_traitsISL_E10value_typeEPNSR_ISM_E10value_typeEPSN_NS1_7vsmem_tEENKUlT_SL_SM_SN_E_clIS8_S8_S9_S9_EESK_S10_SL_SM_SN_EUlS10_E_NS1_11comp_targetILNS1_3genE9ELNS1_11target_archE1100ELNS1_3gpuE3ELNS1_3repE0EEENS1_48merge_mergepath_partition_config_static_selectorELNS0_4arch9wavefront6targetE0EEEvSM_
	.p2align	8
	.type	_ZN7rocprim17ROCPRIM_400000_NS6detail17trampoline_kernelINS0_14default_configENS1_38merge_sort_block_merge_config_selectorIlNS0_10empty_typeEEEZZNS1_27merge_sort_block_merge_implIS3_PlPS5_mZN2at6native12_GLOBAL__N_124unique_dim_cuda_templateIhEESt5tupleIJNSA_6TensorESF_SF_EERKSF_lbbbEUlllE_EE10hipError_tT0_T1_T2_jT3_P12ihipStream_tbPNSt15iterator_traitsISL_E10value_typeEPNSR_ISM_E10value_typeEPSN_NS1_7vsmem_tEENKUlT_SL_SM_SN_E_clIS8_S8_S9_S9_EESK_S10_SL_SM_SN_EUlS10_E_NS1_11comp_targetILNS1_3genE9ELNS1_11target_archE1100ELNS1_3gpuE3ELNS1_3repE0EEENS1_48merge_mergepath_partition_config_static_selectorELNS0_4arch9wavefront6targetE0EEEvSM_,@function
_ZN7rocprim17ROCPRIM_400000_NS6detail17trampoline_kernelINS0_14default_configENS1_38merge_sort_block_merge_config_selectorIlNS0_10empty_typeEEEZZNS1_27merge_sort_block_merge_implIS3_PlPS5_mZN2at6native12_GLOBAL__N_124unique_dim_cuda_templateIhEESt5tupleIJNSA_6TensorESF_SF_EERKSF_lbbbEUlllE_EE10hipError_tT0_T1_T2_jT3_P12ihipStream_tbPNSt15iterator_traitsISL_E10value_typeEPNSR_ISM_E10value_typeEPSN_NS1_7vsmem_tEENKUlT_SL_SM_SN_E_clIS8_S8_S9_S9_EESK_S10_SL_SM_SN_EUlS10_E_NS1_11comp_targetILNS1_3genE9ELNS1_11target_archE1100ELNS1_3gpuE3ELNS1_3repE0EEENS1_48merge_mergepath_partition_config_static_selectorELNS0_4arch9wavefront6targetE0EEEvSM_: ; @_ZN7rocprim17ROCPRIM_400000_NS6detail17trampoline_kernelINS0_14default_configENS1_38merge_sort_block_merge_config_selectorIlNS0_10empty_typeEEEZZNS1_27merge_sort_block_merge_implIS3_PlPS5_mZN2at6native12_GLOBAL__N_124unique_dim_cuda_templateIhEESt5tupleIJNSA_6TensorESF_SF_EERKSF_lbbbEUlllE_EE10hipError_tT0_T1_T2_jT3_P12ihipStream_tbPNSt15iterator_traitsISL_E10value_typeEPNSR_ISM_E10value_typeEPSN_NS1_7vsmem_tEENKUlT_SL_SM_SN_E_clIS8_S8_S9_S9_EESK_S10_SL_SM_SN_EUlS10_E_NS1_11comp_targetILNS1_3genE9ELNS1_11target_archE1100ELNS1_3gpuE3ELNS1_3repE0EEENS1_48merge_mergepath_partition_config_static_selectorELNS0_4arch9wavefront6targetE0EEEvSM_
; %bb.0:
	s_load_b32 s2, s[0:1], 0x0
	v_lshl_or_b32 v0, s15, 7, v0
	s_waitcnt lgkmcnt(0)
	s_delay_alu instid0(VALU_DEP_1)
	v_cmp_gt_u32_e32 vcc_lo, s2, v0
	s_and_saveexec_b32 s2, vcc_lo
	s_cbranch_execz .LBB24_13
; %bb.1:
	s_load_b128 s[4:7], s[0:1], 0x8
	s_mov_b32 s12, 0
	v_mov_b32_e32 v2, 0
	s_waitcnt lgkmcnt(0)
	v_alignbit_b32 v1, s5, s4, 9
	s_delay_alu instid0(VALU_DEP_1) | instskip(NEXT) | instid1(VALU_DEP_1)
	v_and_b32_e32 v3, -2, v1
	v_sub_nc_u32_e32 v1, 0, v3
	s_delay_alu instid0(VALU_DEP_1) | instskip(NEXT) | instid1(VALU_DEP_1)
	v_and_b32_e32 v1, v0, v1
	v_lshlrev_b64 v[4:5], 10, v[1:2]
	v_add_nc_u32_e32 v1, -1, v3
	s_delay_alu instid0(VALU_DEP_1) | instskip(NEXT) | instid1(VALU_DEP_3)
	v_dual_mov_b32 v11, v2 :: v_dual_and_b32 v10, v1, v0
	v_add_co_u32 v6, vcc_lo, v4, s4
	s_delay_alu instid0(VALU_DEP_4) | instskip(NEXT) | instid1(VALU_DEP_1)
	v_add_co_ci_u32_e32 v7, vcc_lo, s5, v5, vcc_lo
	v_cmp_lt_u64_e32 vcc_lo, s[6:7], v[6:7]
	v_cndmask_b32_e64 v8, v6, s6, vcc_lo
	v_cndmask_b32_e64 v9, v7, s7, vcc_lo
	s_delay_alu instid0(VALU_DEP_2) | instskip(NEXT) | instid1(VALU_DEP_2)
	v_add_co_u32 v6, vcc_lo, v8, s4
	v_add_co_ci_u32_e32 v7, vcc_lo, s5, v9, vcc_lo
	v_cmp_lt_u64_e32 vcc_lo, s[6:7], v[4:5]
	s_delay_alu instid0(VALU_DEP_2) | instskip(SKIP_3) | instid1(VALU_DEP_4)
	v_cmp_lt_u64_e64 s2, s[6:7], v[6:7]
	v_cndmask_b32_e64 v2, v4, s6, vcc_lo
	v_cndmask_b32_e64 v3, v5, s7, vcc_lo
	v_lshlrev_b64 v[4:5], 10, v[10:11]
	v_cndmask_b32_e64 v12, v6, s6, s2
	v_cndmask_b32_e64 v1, v7, s7, s2
	s_load_b256 s[4:11], s[0:1], 0x18
	s_mov_b32 s1, exec_lo
	s_delay_alu instid0(VALU_DEP_2) | instskip(NEXT) | instid1(VALU_DEP_2)
	v_sub_co_u32 v6, vcc_lo, v12, v2
	v_sub_co_ci_u32_e32 v7, vcc_lo, v1, v3, vcc_lo
	s_delay_alu instid0(VALU_DEP_1) | instskip(SKIP_3) | instid1(VALU_DEP_2)
	v_cmp_lt_u64_e32 vcc_lo, v[6:7], v[4:5]
	v_dual_cndmask_b32 v11, v5, v7 :: v_dual_cndmask_b32 v10, v4, v6
	v_sub_co_u32 v4, vcc_lo, v8, v12
	v_sub_co_ci_u32_e32 v1, vcc_lo, v9, v1, vcc_lo
	v_add_co_u32 v4, vcc_lo, v10, v4
	s_delay_alu instid0(VALU_DEP_2) | instskip(SKIP_2) | instid1(VALU_DEP_3)
	v_add_co_ci_u32_e32 v5, vcc_lo, v11, v1, vcc_lo
	v_sub_co_u32 v6, vcc_lo, v8, v2
	v_sub_co_ci_u32_e32 v7, vcc_lo, v9, v3, vcc_lo
	v_cmp_gt_u64_e32 vcc_lo, v[4:5], v[10:11]
	s_delay_alu instid0(VALU_DEP_2) | instskip(SKIP_2) | instid1(VALU_DEP_3)
	v_cmp_lt_u64_e64 s0, v[10:11], v[6:7]
	v_cndmask_b32_e64 v5, v5, 0, vcc_lo
	v_cndmask_b32_e64 v4, v4, 0, vcc_lo
	v_cndmask_b32_e64 v7, v7, v11, s0
	v_cndmask_b32_e64 v6, v6, v10, s0
	s_delay_alu instid0(VALU_DEP_1)
	v_cmpx_lt_u64_e64 v[4:5], v[6:7]
	s_cbranch_execz .LBB24_12
; %bb.2:
	v_lshlrev_b64 v[8:9], 3, v[8:9]
	v_lshlrev_b64 v[12:13], 3, v[2:3]
	;; [unrolled: 1-line block ×3, first 2 shown]
	s_waitcnt lgkmcnt(0)
	s_delay_alu instid0(VALU_DEP_3) | instskip(NEXT) | instid1(VALU_DEP_4)
	v_add_co_u32 v8, vcc_lo, s4, v8
	v_add_co_ci_u32_e32 v9, vcc_lo, s5, v9, vcc_lo
	s_delay_alu instid0(VALU_DEP_4) | instskip(SKIP_1) | instid1(VALU_DEP_4)
	v_add_co_u32 v1, vcc_lo, s4, v12
	v_add_co_ci_u32_e32 v14, vcc_lo, s5, v13, vcc_lo
	v_add_co_u32 v15, vcc_lo, v8, v10
	v_cmp_gt_i64_e64 s4, s[6:7], 0
	v_add_co_ci_u32_e32 v16, vcc_lo, v9, v11, vcc_lo
	s_branch .LBB24_5
.LBB24_3:                               ;   in Loop: Header=BB24_5 Depth=1
	s_or_b32 exec_lo, exec_lo, s13
.LBB24_4:                               ;   in Loop: Header=BB24_5 Depth=1
	s_delay_alu instid0(VALU_DEP_1) | instskip(NEXT) | instid1(VALU_DEP_2)
	v_add_co_u32 v10, vcc_lo, v8, 1
	v_add_co_ci_u32_e32 v11, vcc_lo, 0, v9, vcc_lo
	v_cndmask_b32_e64 v7, v7, v9, s5
	v_cndmask_b32_e64 v6, v6, v8, s5
	s_delay_alu instid0(VALU_DEP_4) | instskip(NEXT) | instid1(VALU_DEP_4)
	v_cndmask_b32_e64 v4, v10, v4, s5
	v_cndmask_b32_e64 v5, v11, v5, s5
	s_delay_alu instid0(VALU_DEP_1) | instskip(SKIP_1) | instid1(SALU_CYCLE_1)
	v_cmp_ge_u64_e32 vcc_lo, v[4:5], v[6:7]
	s_or_b32 s12, vcc_lo, s12
	s_and_not1_b32 exec_lo, exec_lo, s12
	s_cbranch_execz .LBB24_11
.LBB24_5:                               ; =>This Loop Header: Depth=1
                                        ;     Child Loop BB24_8 Depth 2
	v_add_co_u32 v8, vcc_lo, v6, v4
	v_add_co_ci_u32_e32 v9, vcc_lo, v7, v5, vcc_lo
	s_delay_alu instid0(VALU_DEP_4) | instskip(NEXT) | instid1(VALU_DEP_1)
	s_and_not1_b32 vcc_lo, exec_lo, s4
	v_lshrrev_b64 v[8:9], 1, v[8:9]
	s_cbranch_vccnz .LBB24_10
; %bb.6:                                ;   in Loop: Header=BB24_5 Depth=1
	s_delay_alu instid0(VALU_DEP_1) | instskip(NEXT) | instid1(VALU_DEP_2)
	v_not_b32_e32 v11, v9
	v_not_b32_e32 v10, v8
	v_lshlrev_b64 v[12:13], 3, v[8:9]
	s_mov_b32 s13, 0
	s_mov_b64 s[2:3], s[6:7]
                                        ; implicit-def: $sgpr5
                                        ; implicit-def: $sgpr14
                                        ; implicit-def: $sgpr15
                                        ; implicit-def: $sgpr16
                                        ; implicit-def: $sgpr17
	s_delay_alu instid0(VALU_DEP_2) | instskip(NEXT) | instid1(VALU_DEP_1)
	v_lshlrev_b64 v[10:11], 3, v[10:11]
	v_add_co_u32 v10, vcc_lo, v15, v10
	s_delay_alu instid0(VALU_DEP_2)
	v_add_co_ci_u32_e32 v11, vcc_lo, v16, v11, vcc_lo
	v_add_co_u32 v12, vcc_lo, v1, v12
	v_add_co_ci_u32_e32 v13, vcc_lo, v14, v13, vcc_lo
	s_clause 0x1
	global_load_b64 v[17:18], v[10:11], off
	global_load_b64 v[19:20], v[12:13], off
	s_waitcnt vmcnt(1)
	v_mul_lo_u32 v21, v17, s7
	v_mul_lo_u32 v18, v18, s6
	v_mad_u64_u32 v[10:11], null, v17, s6, s[8:9]
	s_waitcnt vmcnt(0)
	v_mul_lo_u32 v17, v19, s7
	v_mul_lo_u32 v20, v20, s6
	v_mad_u64_u32 v[12:13], null, v19, s6, s[8:9]
	s_delay_alu instid0(VALU_DEP_4) | instskip(NEXT) | instid1(VALU_DEP_2)
	v_add3_u32 v11, v18, v11, v21
	v_add3_u32 v13, v20, v13, v17
	s_branch .LBB24_8
.LBB24_7:                               ;   in Loop: Header=BB24_8 Depth=2
	s_or_b32 exec_lo, exec_lo, s0
	s_delay_alu instid0(SALU_CYCLE_1) | instskip(NEXT) | instid1(SALU_CYCLE_1)
	s_and_b32 s0, exec_lo, s14
	s_or_b32 s13, s0, s13
	s_and_not1_b32 s0, s17, exec_lo
	s_and_b32 s17, s15, exec_lo
	s_and_not1_b32 s5, s5, exec_lo
	s_and_b32 s18, s16, exec_lo
	s_or_b32 s17, s0, s17
	s_or_b32 s5, s5, s18
	s_and_not1_b32 exec_lo, exec_lo, s13
	s_cbranch_execz .LBB24_3
.LBB24_8:                               ;   Parent Loop BB24_5 Depth=1
                                        ; =>  This Inner Loop Header: Depth=2
	global_load_u8 v17, v[10:11], off
	global_load_u8 v18, v[12:13], off
	s_and_not1_b32 s16, s16, exec_lo
	s_and_not1_b32 s15, s15, exec_lo
	s_or_b32 s14, s14, exec_lo
	s_waitcnt vmcnt(1)
	v_and_b32_e32 v17, 0xff, v17
	s_waitcnt vmcnt(0)
	v_and_b32_e32 v18, 0xff, v18
	s_delay_alu instid0(VALU_DEP_1)
	v_cmp_le_u16_e32 vcc_lo, v17, v18
	v_cmp_lt_u16_e64 s0, v17, v18
	s_and_b32 s18, vcc_lo, s17
	s_delay_alu instid0(VALU_DEP_1) | instid1(SALU_CYCLE_1)
	s_or_b32 s18, s0, s18
	s_delay_alu instid0(SALU_CYCLE_1) | instskip(NEXT) | instid1(SALU_CYCLE_1)
	s_and_b32 s0, s18, exec_lo
	s_or_b32 s16, s16, s0
	s_mov_b32 s0, exec_lo
	v_cmpx_eq_u16_e64 v17, v18
	s_cbranch_execz .LBB24_7
; %bb.9:                                ;   in Loop: Header=BB24_8 Depth=2
	s_add_u32 s2, s2, -1
	s_addc_u32 s3, s3, -1
	v_add_co_u32 v10, vcc_lo, v10, 1
	s_cmp_eq_u64 s[2:3], 0
	v_add_co_ci_u32_e32 v11, vcc_lo, 0, v11, vcc_lo
	s_cselect_b32 s17, -1, 0
	v_add_co_u32 v12, vcc_lo, v12, 1
	s_and_not1_b32 s15, s15, exec_lo
	s_and_b32 s18, s18, exec_lo
	s_and_not1_b32 s14, s14, exec_lo
	s_and_b32 s17, s17, exec_lo
	v_add_co_ci_u32_e32 v13, vcc_lo, 0, v13, vcc_lo
	s_and_not1_b32 s16, s16, exec_lo
	s_or_b32 s15, s15, s18
	s_or_b32 s14, s14, s17
                                        ; implicit-def: $sgpr17
	s_branch .LBB24_7
.LBB24_10:                              ;   in Loop: Header=BB24_5 Depth=1
	s_mov_b32 s5, 0
	s_branch .LBB24_4
.LBB24_11:
	s_or_b32 exec_lo, exec_lo, s12
.LBB24_12:
	s_delay_alu instid0(SALU_CYCLE_1) | instskip(SKIP_3) | instid1(VALU_DEP_3)
	s_or_b32 exec_lo, exec_lo, s1
	v_mov_b32_e32 v1, 0
	v_add_co_u32 v2, vcc_lo, v4, v2
	v_add_co_ci_u32_e32 v3, vcc_lo, v5, v3, vcc_lo
	v_lshlrev_b64 v[0:1], 3, v[0:1]
	s_waitcnt lgkmcnt(0)
	s_delay_alu instid0(VALU_DEP_1) | instskip(NEXT) | instid1(VALU_DEP_2)
	v_add_co_u32 v0, vcc_lo, s10, v0
	v_add_co_ci_u32_e32 v1, vcc_lo, s11, v1, vcc_lo
	global_store_b64 v[0:1], v[2:3], off
.LBB24_13:
	s_nop 0
	s_sendmsg sendmsg(MSG_DEALLOC_VGPRS)
	s_endpgm
	.section	.rodata,"a",@progbits
	.p2align	6, 0x0
	.amdhsa_kernel _ZN7rocprim17ROCPRIM_400000_NS6detail17trampoline_kernelINS0_14default_configENS1_38merge_sort_block_merge_config_selectorIlNS0_10empty_typeEEEZZNS1_27merge_sort_block_merge_implIS3_PlPS5_mZN2at6native12_GLOBAL__N_124unique_dim_cuda_templateIhEESt5tupleIJNSA_6TensorESF_SF_EERKSF_lbbbEUlllE_EE10hipError_tT0_T1_T2_jT3_P12ihipStream_tbPNSt15iterator_traitsISL_E10value_typeEPNSR_ISM_E10value_typeEPSN_NS1_7vsmem_tEENKUlT_SL_SM_SN_E_clIS8_S8_S9_S9_EESK_S10_SL_SM_SN_EUlS10_E_NS1_11comp_targetILNS1_3genE9ELNS1_11target_archE1100ELNS1_3gpuE3ELNS1_3repE0EEENS1_48merge_mergepath_partition_config_static_selectorELNS0_4arch9wavefront6targetE0EEEvSM_
		.amdhsa_group_segment_fixed_size 0
		.amdhsa_private_segment_fixed_size 0
		.amdhsa_kernarg_size 56
		.amdhsa_user_sgpr_count 15
		.amdhsa_user_sgpr_dispatch_ptr 0
		.amdhsa_user_sgpr_queue_ptr 0
		.amdhsa_user_sgpr_kernarg_segment_ptr 1
		.amdhsa_user_sgpr_dispatch_id 0
		.amdhsa_user_sgpr_private_segment_size 0
		.amdhsa_wavefront_size32 1
		.amdhsa_uses_dynamic_stack 0
		.amdhsa_enable_private_segment 0
		.amdhsa_system_sgpr_workgroup_id_x 1
		.amdhsa_system_sgpr_workgroup_id_y 0
		.amdhsa_system_sgpr_workgroup_id_z 0
		.amdhsa_system_sgpr_workgroup_info 0
		.amdhsa_system_vgpr_workitem_id 0
		.amdhsa_next_free_vgpr 22
		.amdhsa_next_free_sgpr 19
		.amdhsa_reserve_vcc 1
		.amdhsa_float_round_mode_32 0
		.amdhsa_float_round_mode_16_64 0
		.amdhsa_float_denorm_mode_32 3
		.amdhsa_float_denorm_mode_16_64 3
		.amdhsa_dx10_clamp 1
		.amdhsa_ieee_mode 1
		.amdhsa_fp16_overflow 0
		.amdhsa_workgroup_processor_mode 1
		.amdhsa_memory_ordered 1
		.amdhsa_forward_progress 0
		.amdhsa_shared_vgpr_count 0
		.amdhsa_exception_fp_ieee_invalid_op 0
		.amdhsa_exception_fp_denorm_src 0
		.amdhsa_exception_fp_ieee_div_zero 0
		.amdhsa_exception_fp_ieee_overflow 0
		.amdhsa_exception_fp_ieee_underflow 0
		.amdhsa_exception_fp_ieee_inexact 0
		.amdhsa_exception_int_div_zero 0
	.end_amdhsa_kernel
	.section	.text._ZN7rocprim17ROCPRIM_400000_NS6detail17trampoline_kernelINS0_14default_configENS1_38merge_sort_block_merge_config_selectorIlNS0_10empty_typeEEEZZNS1_27merge_sort_block_merge_implIS3_PlPS5_mZN2at6native12_GLOBAL__N_124unique_dim_cuda_templateIhEESt5tupleIJNSA_6TensorESF_SF_EERKSF_lbbbEUlllE_EE10hipError_tT0_T1_T2_jT3_P12ihipStream_tbPNSt15iterator_traitsISL_E10value_typeEPNSR_ISM_E10value_typeEPSN_NS1_7vsmem_tEENKUlT_SL_SM_SN_E_clIS8_S8_S9_S9_EESK_S10_SL_SM_SN_EUlS10_E_NS1_11comp_targetILNS1_3genE9ELNS1_11target_archE1100ELNS1_3gpuE3ELNS1_3repE0EEENS1_48merge_mergepath_partition_config_static_selectorELNS0_4arch9wavefront6targetE0EEEvSM_,"axG",@progbits,_ZN7rocprim17ROCPRIM_400000_NS6detail17trampoline_kernelINS0_14default_configENS1_38merge_sort_block_merge_config_selectorIlNS0_10empty_typeEEEZZNS1_27merge_sort_block_merge_implIS3_PlPS5_mZN2at6native12_GLOBAL__N_124unique_dim_cuda_templateIhEESt5tupleIJNSA_6TensorESF_SF_EERKSF_lbbbEUlllE_EE10hipError_tT0_T1_T2_jT3_P12ihipStream_tbPNSt15iterator_traitsISL_E10value_typeEPNSR_ISM_E10value_typeEPSN_NS1_7vsmem_tEENKUlT_SL_SM_SN_E_clIS8_S8_S9_S9_EESK_S10_SL_SM_SN_EUlS10_E_NS1_11comp_targetILNS1_3genE9ELNS1_11target_archE1100ELNS1_3gpuE3ELNS1_3repE0EEENS1_48merge_mergepath_partition_config_static_selectorELNS0_4arch9wavefront6targetE0EEEvSM_,comdat
.Lfunc_end24:
	.size	_ZN7rocprim17ROCPRIM_400000_NS6detail17trampoline_kernelINS0_14default_configENS1_38merge_sort_block_merge_config_selectorIlNS0_10empty_typeEEEZZNS1_27merge_sort_block_merge_implIS3_PlPS5_mZN2at6native12_GLOBAL__N_124unique_dim_cuda_templateIhEESt5tupleIJNSA_6TensorESF_SF_EERKSF_lbbbEUlllE_EE10hipError_tT0_T1_T2_jT3_P12ihipStream_tbPNSt15iterator_traitsISL_E10value_typeEPNSR_ISM_E10value_typeEPSN_NS1_7vsmem_tEENKUlT_SL_SM_SN_E_clIS8_S8_S9_S9_EESK_S10_SL_SM_SN_EUlS10_E_NS1_11comp_targetILNS1_3genE9ELNS1_11target_archE1100ELNS1_3gpuE3ELNS1_3repE0EEENS1_48merge_mergepath_partition_config_static_selectorELNS0_4arch9wavefront6targetE0EEEvSM_, .Lfunc_end24-_ZN7rocprim17ROCPRIM_400000_NS6detail17trampoline_kernelINS0_14default_configENS1_38merge_sort_block_merge_config_selectorIlNS0_10empty_typeEEEZZNS1_27merge_sort_block_merge_implIS3_PlPS5_mZN2at6native12_GLOBAL__N_124unique_dim_cuda_templateIhEESt5tupleIJNSA_6TensorESF_SF_EERKSF_lbbbEUlllE_EE10hipError_tT0_T1_T2_jT3_P12ihipStream_tbPNSt15iterator_traitsISL_E10value_typeEPNSR_ISM_E10value_typeEPSN_NS1_7vsmem_tEENKUlT_SL_SM_SN_E_clIS8_S8_S9_S9_EESK_S10_SL_SM_SN_EUlS10_E_NS1_11comp_targetILNS1_3genE9ELNS1_11target_archE1100ELNS1_3gpuE3ELNS1_3repE0EEENS1_48merge_mergepath_partition_config_static_selectorELNS0_4arch9wavefront6targetE0EEEvSM_
                                        ; -- End function
	.section	.AMDGPU.csdata,"",@progbits
; Kernel info:
; codeLenInByte = 1036
; NumSgprs: 21
; NumVgprs: 22
; ScratchSize: 0
; MemoryBound: 0
; FloatMode: 240
; IeeeMode: 1
; LDSByteSize: 0 bytes/workgroup (compile time only)
; SGPRBlocks: 2
; VGPRBlocks: 2
; NumSGPRsForWavesPerEU: 21
; NumVGPRsForWavesPerEU: 22
; Occupancy: 16
; WaveLimiterHint : 0
; COMPUTE_PGM_RSRC2:SCRATCH_EN: 0
; COMPUTE_PGM_RSRC2:USER_SGPR: 15
; COMPUTE_PGM_RSRC2:TRAP_HANDLER: 0
; COMPUTE_PGM_RSRC2:TGID_X_EN: 1
; COMPUTE_PGM_RSRC2:TGID_Y_EN: 0
; COMPUTE_PGM_RSRC2:TGID_Z_EN: 0
; COMPUTE_PGM_RSRC2:TIDIG_COMP_CNT: 0
	.section	.text._ZN7rocprim17ROCPRIM_400000_NS6detail17trampoline_kernelINS0_14default_configENS1_38merge_sort_block_merge_config_selectorIlNS0_10empty_typeEEEZZNS1_27merge_sort_block_merge_implIS3_PlPS5_mZN2at6native12_GLOBAL__N_124unique_dim_cuda_templateIhEESt5tupleIJNSA_6TensorESF_SF_EERKSF_lbbbEUlllE_EE10hipError_tT0_T1_T2_jT3_P12ihipStream_tbPNSt15iterator_traitsISL_E10value_typeEPNSR_ISM_E10value_typeEPSN_NS1_7vsmem_tEENKUlT_SL_SM_SN_E_clIS8_S8_S9_S9_EESK_S10_SL_SM_SN_EUlS10_E_NS1_11comp_targetILNS1_3genE8ELNS1_11target_archE1030ELNS1_3gpuE2ELNS1_3repE0EEENS1_48merge_mergepath_partition_config_static_selectorELNS0_4arch9wavefront6targetE0EEEvSM_,"axG",@progbits,_ZN7rocprim17ROCPRIM_400000_NS6detail17trampoline_kernelINS0_14default_configENS1_38merge_sort_block_merge_config_selectorIlNS0_10empty_typeEEEZZNS1_27merge_sort_block_merge_implIS3_PlPS5_mZN2at6native12_GLOBAL__N_124unique_dim_cuda_templateIhEESt5tupleIJNSA_6TensorESF_SF_EERKSF_lbbbEUlllE_EE10hipError_tT0_T1_T2_jT3_P12ihipStream_tbPNSt15iterator_traitsISL_E10value_typeEPNSR_ISM_E10value_typeEPSN_NS1_7vsmem_tEENKUlT_SL_SM_SN_E_clIS8_S8_S9_S9_EESK_S10_SL_SM_SN_EUlS10_E_NS1_11comp_targetILNS1_3genE8ELNS1_11target_archE1030ELNS1_3gpuE2ELNS1_3repE0EEENS1_48merge_mergepath_partition_config_static_selectorELNS0_4arch9wavefront6targetE0EEEvSM_,comdat
	.globl	_ZN7rocprim17ROCPRIM_400000_NS6detail17trampoline_kernelINS0_14default_configENS1_38merge_sort_block_merge_config_selectorIlNS0_10empty_typeEEEZZNS1_27merge_sort_block_merge_implIS3_PlPS5_mZN2at6native12_GLOBAL__N_124unique_dim_cuda_templateIhEESt5tupleIJNSA_6TensorESF_SF_EERKSF_lbbbEUlllE_EE10hipError_tT0_T1_T2_jT3_P12ihipStream_tbPNSt15iterator_traitsISL_E10value_typeEPNSR_ISM_E10value_typeEPSN_NS1_7vsmem_tEENKUlT_SL_SM_SN_E_clIS8_S8_S9_S9_EESK_S10_SL_SM_SN_EUlS10_E_NS1_11comp_targetILNS1_3genE8ELNS1_11target_archE1030ELNS1_3gpuE2ELNS1_3repE0EEENS1_48merge_mergepath_partition_config_static_selectorELNS0_4arch9wavefront6targetE0EEEvSM_ ; -- Begin function _ZN7rocprim17ROCPRIM_400000_NS6detail17trampoline_kernelINS0_14default_configENS1_38merge_sort_block_merge_config_selectorIlNS0_10empty_typeEEEZZNS1_27merge_sort_block_merge_implIS3_PlPS5_mZN2at6native12_GLOBAL__N_124unique_dim_cuda_templateIhEESt5tupleIJNSA_6TensorESF_SF_EERKSF_lbbbEUlllE_EE10hipError_tT0_T1_T2_jT3_P12ihipStream_tbPNSt15iterator_traitsISL_E10value_typeEPNSR_ISM_E10value_typeEPSN_NS1_7vsmem_tEENKUlT_SL_SM_SN_E_clIS8_S8_S9_S9_EESK_S10_SL_SM_SN_EUlS10_E_NS1_11comp_targetILNS1_3genE8ELNS1_11target_archE1030ELNS1_3gpuE2ELNS1_3repE0EEENS1_48merge_mergepath_partition_config_static_selectorELNS0_4arch9wavefront6targetE0EEEvSM_
	.p2align	8
	.type	_ZN7rocprim17ROCPRIM_400000_NS6detail17trampoline_kernelINS0_14default_configENS1_38merge_sort_block_merge_config_selectorIlNS0_10empty_typeEEEZZNS1_27merge_sort_block_merge_implIS3_PlPS5_mZN2at6native12_GLOBAL__N_124unique_dim_cuda_templateIhEESt5tupleIJNSA_6TensorESF_SF_EERKSF_lbbbEUlllE_EE10hipError_tT0_T1_T2_jT3_P12ihipStream_tbPNSt15iterator_traitsISL_E10value_typeEPNSR_ISM_E10value_typeEPSN_NS1_7vsmem_tEENKUlT_SL_SM_SN_E_clIS8_S8_S9_S9_EESK_S10_SL_SM_SN_EUlS10_E_NS1_11comp_targetILNS1_3genE8ELNS1_11target_archE1030ELNS1_3gpuE2ELNS1_3repE0EEENS1_48merge_mergepath_partition_config_static_selectorELNS0_4arch9wavefront6targetE0EEEvSM_,@function
_ZN7rocprim17ROCPRIM_400000_NS6detail17trampoline_kernelINS0_14default_configENS1_38merge_sort_block_merge_config_selectorIlNS0_10empty_typeEEEZZNS1_27merge_sort_block_merge_implIS3_PlPS5_mZN2at6native12_GLOBAL__N_124unique_dim_cuda_templateIhEESt5tupleIJNSA_6TensorESF_SF_EERKSF_lbbbEUlllE_EE10hipError_tT0_T1_T2_jT3_P12ihipStream_tbPNSt15iterator_traitsISL_E10value_typeEPNSR_ISM_E10value_typeEPSN_NS1_7vsmem_tEENKUlT_SL_SM_SN_E_clIS8_S8_S9_S9_EESK_S10_SL_SM_SN_EUlS10_E_NS1_11comp_targetILNS1_3genE8ELNS1_11target_archE1030ELNS1_3gpuE2ELNS1_3repE0EEENS1_48merge_mergepath_partition_config_static_selectorELNS0_4arch9wavefront6targetE0EEEvSM_: ; @_ZN7rocprim17ROCPRIM_400000_NS6detail17trampoline_kernelINS0_14default_configENS1_38merge_sort_block_merge_config_selectorIlNS0_10empty_typeEEEZZNS1_27merge_sort_block_merge_implIS3_PlPS5_mZN2at6native12_GLOBAL__N_124unique_dim_cuda_templateIhEESt5tupleIJNSA_6TensorESF_SF_EERKSF_lbbbEUlllE_EE10hipError_tT0_T1_T2_jT3_P12ihipStream_tbPNSt15iterator_traitsISL_E10value_typeEPNSR_ISM_E10value_typeEPSN_NS1_7vsmem_tEENKUlT_SL_SM_SN_E_clIS8_S8_S9_S9_EESK_S10_SL_SM_SN_EUlS10_E_NS1_11comp_targetILNS1_3genE8ELNS1_11target_archE1030ELNS1_3gpuE2ELNS1_3repE0EEENS1_48merge_mergepath_partition_config_static_selectorELNS0_4arch9wavefront6targetE0EEEvSM_
; %bb.0:
	.section	.rodata,"a",@progbits
	.p2align	6, 0x0
	.amdhsa_kernel _ZN7rocprim17ROCPRIM_400000_NS6detail17trampoline_kernelINS0_14default_configENS1_38merge_sort_block_merge_config_selectorIlNS0_10empty_typeEEEZZNS1_27merge_sort_block_merge_implIS3_PlPS5_mZN2at6native12_GLOBAL__N_124unique_dim_cuda_templateIhEESt5tupleIJNSA_6TensorESF_SF_EERKSF_lbbbEUlllE_EE10hipError_tT0_T1_T2_jT3_P12ihipStream_tbPNSt15iterator_traitsISL_E10value_typeEPNSR_ISM_E10value_typeEPSN_NS1_7vsmem_tEENKUlT_SL_SM_SN_E_clIS8_S8_S9_S9_EESK_S10_SL_SM_SN_EUlS10_E_NS1_11comp_targetILNS1_3genE8ELNS1_11target_archE1030ELNS1_3gpuE2ELNS1_3repE0EEENS1_48merge_mergepath_partition_config_static_selectorELNS0_4arch9wavefront6targetE0EEEvSM_
		.amdhsa_group_segment_fixed_size 0
		.amdhsa_private_segment_fixed_size 0
		.amdhsa_kernarg_size 56
		.amdhsa_user_sgpr_count 15
		.amdhsa_user_sgpr_dispatch_ptr 0
		.amdhsa_user_sgpr_queue_ptr 0
		.amdhsa_user_sgpr_kernarg_segment_ptr 1
		.amdhsa_user_sgpr_dispatch_id 0
		.amdhsa_user_sgpr_private_segment_size 0
		.amdhsa_wavefront_size32 1
		.amdhsa_uses_dynamic_stack 0
		.amdhsa_enable_private_segment 0
		.amdhsa_system_sgpr_workgroup_id_x 1
		.amdhsa_system_sgpr_workgroup_id_y 0
		.amdhsa_system_sgpr_workgroup_id_z 0
		.amdhsa_system_sgpr_workgroup_info 0
		.amdhsa_system_vgpr_workitem_id 0
		.amdhsa_next_free_vgpr 1
		.amdhsa_next_free_sgpr 1
		.amdhsa_reserve_vcc 0
		.amdhsa_float_round_mode_32 0
		.amdhsa_float_round_mode_16_64 0
		.amdhsa_float_denorm_mode_32 3
		.amdhsa_float_denorm_mode_16_64 3
		.amdhsa_dx10_clamp 1
		.amdhsa_ieee_mode 1
		.amdhsa_fp16_overflow 0
		.amdhsa_workgroup_processor_mode 1
		.amdhsa_memory_ordered 1
		.amdhsa_forward_progress 0
		.amdhsa_shared_vgpr_count 0
		.amdhsa_exception_fp_ieee_invalid_op 0
		.amdhsa_exception_fp_denorm_src 0
		.amdhsa_exception_fp_ieee_div_zero 0
		.amdhsa_exception_fp_ieee_overflow 0
		.amdhsa_exception_fp_ieee_underflow 0
		.amdhsa_exception_fp_ieee_inexact 0
		.amdhsa_exception_int_div_zero 0
	.end_amdhsa_kernel
	.section	.text._ZN7rocprim17ROCPRIM_400000_NS6detail17trampoline_kernelINS0_14default_configENS1_38merge_sort_block_merge_config_selectorIlNS0_10empty_typeEEEZZNS1_27merge_sort_block_merge_implIS3_PlPS5_mZN2at6native12_GLOBAL__N_124unique_dim_cuda_templateIhEESt5tupleIJNSA_6TensorESF_SF_EERKSF_lbbbEUlllE_EE10hipError_tT0_T1_T2_jT3_P12ihipStream_tbPNSt15iterator_traitsISL_E10value_typeEPNSR_ISM_E10value_typeEPSN_NS1_7vsmem_tEENKUlT_SL_SM_SN_E_clIS8_S8_S9_S9_EESK_S10_SL_SM_SN_EUlS10_E_NS1_11comp_targetILNS1_3genE8ELNS1_11target_archE1030ELNS1_3gpuE2ELNS1_3repE0EEENS1_48merge_mergepath_partition_config_static_selectorELNS0_4arch9wavefront6targetE0EEEvSM_,"axG",@progbits,_ZN7rocprim17ROCPRIM_400000_NS6detail17trampoline_kernelINS0_14default_configENS1_38merge_sort_block_merge_config_selectorIlNS0_10empty_typeEEEZZNS1_27merge_sort_block_merge_implIS3_PlPS5_mZN2at6native12_GLOBAL__N_124unique_dim_cuda_templateIhEESt5tupleIJNSA_6TensorESF_SF_EERKSF_lbbbEUlllE_EE10hipError_tT0_T1_T2_jT3_P12ihipStream_tbPNSt15iterator_traitsISL_E10value_typeEPNSR_ISM_E10value_typeEPSN_NS1_7vsmem_tEENKUlT_SL_SM_SN_E_clIS8_S8_S9_S9_EESK_S10_SL_SM_SN_EUlS10_E_NS1_11comp_targetILNS1_3genE8ELNS1_11target_archE1030ELNS1_3gpuE2ELNS1_3repE0EEENS1_48merge_mergepath_partition_config_static_selectorELNS0_4arch9wavefront6targetE0EEEvSM_,comdat
.Lfunc_end25:
	.size	_ZN7rocprim17ROCPRIM_400000_NS6detail17trampoline_kernelINS0_14default_configENS1_38merge_sort_block_merge_config_selectorIlNS0_10empty_typeEEEZZNS1_27merge_sort_block_merge_implIS3_PlPS5_mZN2at6native12_GLOBAL__N_124unique_dim_cuda_templateIhEESt5tupleIJNSA_6TensorESF_SF_EERKSF_lbbbEUlllE_EE10hipError_tT0_T1_T2_jT3_P12ihipStream_tbPNSt15iterator_traitsISL_E10value_typeEPNSR_ISM_E10value_typeEPSN_NS1_7vsmem_tEENKUlT_SL_SM_SN_E_clIS8_S8_S9_S9_EESK_S10_SL_SM_SN_EUlS10_E_NS1_11comp_targetILNS1_3genE8ELNS1_11target_archE1030ELNS1_3gpuE2ELNS1_3repE0EEENS1_48merge_mergepath_partition_config_static_selectorELNS0_4arch9wavefront6targetE0EEEvSM_, .Lfunc_end25-_ZN7rocprim17ROCPRIM_400000_NS6detail17trampoline_kernelINS0_14default_configENS1_38merge_sort_block_merge_config_selectorIlNS0_10empty_typeEEEZZNS1_27merge_sort_block_merge_implIS3_PlPS5_mZN2at6native12_GLOBAL__N_124unique_dim_cuda_templateIhEESt5tupleIJNSA_6TensorESF_SF_EERKSF_lbbbEUlllE_EE10hipError_tT0_T1_T2_jT3_P12ihipStream_tbPNSt15iterator_traitsISL_E10value_typeEPNSR_ISM_E10value_typeEPSN_NS1_7vsmem_tEENKUlT_SL_SM_SN_E_clIS8_S8_S9_S9_EESK_S10_SL_SM_SN_EUlS10_E_NS1_11comp_targetILNS1_3genE8ELNS1_11target_archE1030ELNS1_3gpuE2ELNS1_3repE0EEENS1_48merge_mergepath_partition_config_static_selectorELNS0_4arch9wavefront6targetE0EEEvSM_
                                        ; -- End function
	.section	.AMDGPU.csdata,"",@progbits
; Kernel info:
; codeLenInByte = 0
; NumSgprs: 0
; NumVgprs: 0
; ScratchSize: 0
; MemoryBound: 0
; FloatMode: 240
; IeeeMode: 1
; LDSByteSize: 0 bytes/workgroup (compile time only)
; SGPRBlocks: 0
; VGPRBlocks: 0
; NumSGPRsForWavesPerEU: 1
; NumVGPRsForWavesPerEU: 1
; Occupancy: 16
; WaveLimiterHint : 0
; COMPUTE_PGM_RSRC2:SCRATCH_EN: 0
; COMPUTE_PGM_RSRC2:USER_SGPR: 15
; COMPUTE_PGM_RSRC2:TRAP_HANDLER: 0
; COMPUTE_PGM_RSRC2:TGID_X_EN: 1
; COMPUTE_PGM_RSRC2:TGID_Y_EN: 0
; COMPUTE_PGM_RSRC2:TGID_Z_EN: 0
; COMPUTE_PGM_RSRC2:TIDIG_COMP_CNT: 0
	.section	.text._ZN7rocprim17ROCPRIM_400000_NS6detail17trampoline_kernelINS0_14default_configENS1_38merge_sort_block_merge_config_selectorIlNS0_10empty_typeEEEZZNS1_27merge_sort_block_merge_implIS3_PlPS5_mZN2at6native12_GLOBAL__N_124unique_dim_cuda_templateIhEESt5tupleIJNSA_6TensorESF_SF_EERKSF_lbbbEUlllE_EE10hipError_tT0_T1_T2_jT3_P12ihipStream_tbPNSt15iterator_traitsISL_E10value_typeEPNSR_ISM_E10value_typeEPSN_NS1_7vsmem_tEENKUlT_SL_SM_SN_E_clIS8_S8_S9_S9_EESK_S10_SL_SM_SN_EUlS10_E0_NS1_11comp_targetILNS1_3genE0ELNS1_11target_archE4294967295ELNS1_3gpuE0ELNS1_3repE0EEENS1_38merge_mergepath_config_static_selectorELNS0_4arch9wavefront6targetE0EEEvSM_,"axG",@progbits,_ZN7rocprim17ROCPRIM_400000_NS6detail17trampoline_kernelINS0_14default_configENS1_38merge_sort_block_merge_config_selectorIlNS0_10empty_typeEEEZZNS1_27merge_sort_block_merge_implIS3_PlPS5_mZN2at6native12_GLOBAL__N_124unique_dim_cuda_templateIhEESt5tupleIJNSA_6TensorESF_SF_EERKSF_lbbbEUlllE_EE10hipError_tT0_T1_T2_jT3_P12ihipStream_tbPNSt15iterator_traitsISL_E10value_typeEPNSR_ISM_E10value_typeEPSN_NS1_7vsmem_tEENKUlT_SL_SM_SN_E_clIS8_S8_S9_S9_EESK_S10_SL_SM_SN_EUlS10_E0_NS1_11comp_targetILNS1_3genE0ELNS1_11target_archE4294967295ELNS1_3gpuE0ELNS1_3repE0EEENS1_38merge_mergepath_config_static_selectorELNS0_4arch9wavefront6targetE0EEEvSM_,comdat
	.globl	_ZN7rocprim17ROCPRIM_400000_NS6detail17trampoline_kernelINS0_14default_configENS1_38merge_sort_block_merge_config_selectorIlNS0_10empty_typeEEEZZNS1_27merge_sort_block_merge_implIS3_PlPS5_mZN2at6native12_GLOBAL__N_124unique_dim_cuda_templateIhEESt5tupleIJNSA_6TensorESF_SF_EERKSF_lbbbEUlllE_EE10hipError_tT0_T1_T2_jT3_P12ihipStream_tbPNSt15iterator_traitsISL_E10value_typeEPNSR_ISM_E10value_typeEPSN_NS1_7vsmem_tEENKUlT_SL_SM_SN_E_clIS8_S8_S9_S9_EESK_S10_SL_SM_SN_EUlS10_E0_NS1_11comp_targetILNS1_3genE0ELNS1_11target_archE4294967295ELNS1_3gpuE0ELNS1_3repE0EEENS1_38merge_mergepath_config_static_selectorELNS0_4arch9wavefront6targetE0EEEvSM_ ; -- Begin function _ZN7rocprim17ROCPRIM_400000_NS6detail17trampoline_kernelINS0_14default_configENS1_38merge_sort_block_merge_config_selectorIlNS0_10empty_typeEEEZZNS1_27merge_sort_block_merge_implIS3_PlPS5_mZN2at6native12_GLOBAL__N_124unique_dim_cuda_templateIhEESt5tupleIJNSA_6TensorESF_SF_EERKSF_lbbbEUlllE_EE10hipError_tT0_T1_T2_jT3_P12ihipStream_tbPNSt15iterator_traitsISL_E10value_typeEPNSR_ISM_E10value_typeEPSN_NS1_7vsmem_tEENKUlT_SL_SM_SN_E_clIS8_S8_S9_S9_EESK_S10_SL_SM_SN_EUlS10_E0_NS1_11comp_targetILNS1_3genE0ELNS1_11target_archE4294967295ELNS1_3gpuE0ELNS1_3repE0EEENS1_38merge_mergepath_config_static_selectorELNS0_4arch9wavefront6targetE0EEEvSM_
	.p2align	8
	.type	_ZN7rocprim17ROCPRIM_400000_NS6detail17trampoline_kernelINS0_14default_configENS1_38merge_sort_block_merge_config_selectorIlNS0_10empty_typeEEEZZNS1_27merge_sort_block_merge_implIS3_PlPS5_mZN2at6native12_GLOBAL__N_124unique_dim_cuda_templateIhEESt5tupleIJNSA_6TensorESF_SF_EERKSF_lbbbEUlllE_EE10hipError_tT0_T1_T2_jT3_P12ihipStream_tbPNSt15iterator_traitsISL_E10value_typeEPNSR_ISM_E10value_typeEPSN_NS1_7vsmem_tEENKUlT_SL_SM_SN_E_clIS8_S8_S9_S9_EESK_S10_SL_SM_SN_EUlS10_E0_NS1_11comp_targetILNS1_3genE0ELNS1_11target_archE4294967295ELNS1_3gpuE0ELNS1_3repE0EEENS1_38merge_mergepath_config_static_selectorELNS0_4arch9wavefront6targetE0EEEvSM_,@function
_ZN7rocprim17ROCPRIM_400000_NS6detail17trampoline_kernelINS0_14default_configENS1_38merge_sort_block_merge_config_selectorIlNS0_10empty_typeEEEZZNS1_27merge_sort_block_merge_implIS3_PlPS5_mZN2at6native12_GLOBAL__N_124unique_dim_cuda_templateIhEESt5tupleIJNSA_6TensorESF_SF_EERKSF_lbbbEUlllE_EE10hipError_tT0_T1_T2_jT3_P12ihipStream_tbPNSt15iterator_traitsISL_E10value_typeEPNSR_ISM_E10value_typeEPSN_NS1_7vsmem_tEENKUlT_SL_SM_SN_E_clIS8_S8_S9_S9_EESK_S10_SL_SM_SN_EUlS10_E0_NS1_11comp_targetILNS1_3genE0ELNS1_11target_archE4294967295ELNS1_3gpuE0ELNS1_3repE0EEENS1_38merge_mergepath_config_static_selectorELNS0_4arch9wavefront6targetE0EEEvSM_: ; @_ZN7rocprim17ROCPRIM_400000_NS6detail17trampoline_kernelINS0_14default_configENS1_38merge_sort_block_merge_config_selectorIlNS0_10empty_typeEEEZZNS1_27merge_sort_block_merge_implIS3_PlPS5_mZN2at6native12_GLOBAL__N_124unique_dim_cuda_templateIhEESt5tupleIJNSA_6TensorESF_SF_EERKSF_lbbbEUlllE_EE10hipError_tT0_T1_T2_jT3_P12ihipStream_tbPNSt15iterator_traitsISL_E10value_typeEPNSR_ISM_E10value_typeEPSN_NS1_7vsmem_tEENKUlT_SL_SM_SN_E_clIS8_S8_S9_S9_EESK_S10_SL_SM_SN_EUlS10_E0_NS1_11comp_targetILNS1_3genE0ELNS1_11target_archE4294967295ELNS1_3gpuE0ELNS1_3repE0EEENS1_38merge_mergepath_config_static_selectorELNS0_4arch9wavefront6targetE0EEEvSM_
; %bb.0:
	.section	.rodata,"a",@progbits
	.p2align	6, 0x0
	.amdhsa_kernel _ZN7rocprim17ROCPRIM_400000_NS6detail17trampoline_kernelINS0_14default_configENS1_38merge_sort_block_merge_config_selectorIlNS0_10empty_typeEEEZZNS1_27merge_sort_block_merge_implIS3_PlPS5_mZN2at6native12_GLOBAL__N_124unique_dim_cuda_templateIhEESt5tupleIJNSA_6TensorESF_SF_EERKSF_lbbbEUlllE_EE10hipError_tT0_T1_T2_jT3_P12ihipStream_tbPNSt15iterator_traitsISL_E10value_typeEPNSR_ISM_E10value_typeEPSN_NS1_7vsmem_tEENKUlT_SL_SM_SN_E_clIS8_S8_S9_S9_EESK_S10_SL_SM_SN_EUlS10_E0_NS1_11comp_targetILNS1_3genE0ELNS1_11target_archE4294967295ELNS1_3gpuE0ELNS1_3repE0EEENS1_38merge_mergepath_config_static_selectorELNS0_4arch9wavefront6targetE0EEEvSM_
		.amdhsa_group_segment_fixed_size 0
		.amdhsa_private_segment_fixed_size 0
		.amdhsa_kernarg_size 88
		.amdhsa_user_sgpr_count 15
		.amdhsa_user_sgpr_dispatch_ptr 0
		.amdhsa_user_sgpr_queue_ptr 0
		.amdhsa_user_sgpr_kernarg_segment_ptr 1
		.amdhsa_user_sgpr_dispatch_id 0
		.amdhsa_user_sgpr_private_segment_size 0
		.amdhsa_wavefront_size32 1
		.amdhsa_uses_dynamic_stack 0
		.amdhsa_enable_private_segment 0
		.amdhsa_system_sgpr_workgroup_id_x 1
		.amdhsa_system_sgpr_workgroup_id_y 0
		.amdhsa_system_sgpr_workgroup_id_z 0
		.amdhsa_system_sgpr_workgroup_info 0
		.amdhsa_system_vgpr_workitem_id 0
		.amdhsa_next_free_vgpr 1
		.amdhsa_next_free_sgpr 1
		.amdhsa_reserve_vcc 0
		.amdhsa_float_round_mode_32 0
		.amdhsa_float_round_mode_16_64 0
		.amdhsa_float_denorm_mode_32 3
		.amdhsa_float_denorm_mode_16_64 3
		.amdhsa_dx10_clamp 1
		.amdhsa_ieee_mode 1
		.amdhsa_fp16_overflow 0
		.amdhsa_workgroup_processor_mode 1
		.amdhsa_memory_ordered 1
		.amdhsa_forward_progress 0
		.amdhsa_shared_vgpr_count 0
		.amdhsa_exception_fp_ieee_invalid_op 0
		.amdhsa_exception_fp_denorm_src 0
		.amdhsa_exception_fp_ieee_div_zero 0
		.amdhsa_exception_fp_ieee_overflow 0
		.amdhsa_exception_fp_ieee_underflow 0
		.amdhsa_exception_fp_ieee_inexact 0
		.amdhsa_exception_int_div_zero 0
	.end_amdhsa_kernel
	.section	.text._ZN7rocprim17ROCPRIM_400000_NS6detail17trampoline_kernelINS0_14default_configENS1_38merge_sort_block_merge_config_selectorIlNS0_10empty_typeEEEZZNS1_27merge_sort_block_merge_implIS3_PlPS5_mZN2at6native12_GLOBAL__N_124unique_dim_cuda_templateIhEESt5tupleIJNSA_6TensorESF_SF_EERKSF_lbbbEUlllE_EE10hipError_tT0_T1_T2_jT3_P12ihipStream_tbPNSt15iterator_traitsISL_E10value_typeEPNSR_ISM_E10value_typeEPSN_NS1_7vsmem_tEENKUlT_SL_SM_SN_E_clIS8_S8_S9_S9_EESK_S10_SL_SM_SN_EUlS10_E0_NS1_11comp_targetILNS1_3genE0ELNS1_11target_archE4294967295ELNS1_3gpuE0ELNS1_3repE0EEENS1_38merge_mergepath_config_static_selectorELNS0_4arch9wavefront6targetE0EEEvSM_,"axG",@progbits,_ZN7rocprim17ROCPRIM_400000_NS6detail17trampoline_kernelINS0_14default_configENS1_38merge_sort_block_merge_config_selectorIlNS0_10empty_typeEEEZZNS1_27merge_sort_block_merge_implIS3_PlPS5_mZN2at6native12_GLOBAL__N_124unique_dim_cuda_templateIhEESt5tupleIJNSA_6TensorESF_SF_EERKSF_lbbbEUlllE_EE10hipError_tT0_T1_T2_jT3_P12ihipStream_tbPNSt15iterator_traitsISL_E10value_typeEPNSR_ISM_E10value_typeEPSN_NS1_7vsmem_tEENKUlT_SL_SM_SN_E_clIS8_S8_S9_S9_EESK_S10_SL_SM_SN_EUlS10_E0_NS1_11comp_targetILNS1_3genE0ELNS1_11target_archE4294967295ELNS1_3gpuE0ELNS1_3repE0EEENS1_38merge_mergepath_config_static_selectorELNS0_4arch9wavefront6targetE0EEEvSM_,comdat
.Lfunc_end26:
	.size	_ZN7rocprim17ROCPRIM_400000_NS6detail17trampoline_kernelINS0_14default_configENS1_38merge_sort_block_merge_config_selectorIlNS0_10empty_typeEEEZZNS1_27merge_sort_block_merge_implIS3_PlPS5_mZN2at6native12_GLOBAL__N_124unique_dim_cuda_templateIhEESt5tupleIJNSA_6TensorESF_SF_EERKSF_lbbbEUlllE_EE10hipError_tT0_T1_T2_jT3_P12ihipStream_tbPNSt15iterator_traitsISL_E10value_typeEPNSR_ISM_E10value_typeEPSN_NS1_7vsmem_tEENKUlT_SL_SM_SN_E_clIS8_S8_S9_S9_EESK_S10_SL_SM_SN_EUlS10_E0_NS1_11comp_targetILNS1_3genE0ELNS1_11target_archE4294967295ELNS1_3gpuE0ELNS1_3repE0EEENS1_38merge_mergepath_config_static_selectorELNS0_4arch9wavefront6targetE0EEEvSM_, .Lfunc_end26-_ZN7rocprim17ROCPRIM_400000_NS6detail17trampoline_kernelINS0_14default_configENS1_38merge_sort_block_merge_config_selectorIlNS0_10empty_typeEEEZZNS1_27merge_sort_block_merge_implIS3_PlPS5_mZN2at6native12_GLOBAL__N_124unique_dim_cuda_templateIhEESt5tupleIJNSA_6TensorESF_SF_EERKSF_lbbbEUlllE_EE10hipError_tT0_T1_T2_jT3_P12ihipStream_tbPNSt15iterator_traitsISL_E10value_typeEPNSR_ISM_E10value_typeEPSN_NS1_7vsmem_tEENKUlT_SL_SM_SN_E_clIS8_S8_S9_S9_EESK_S10_SL_SM_SN_EUlS10_E0_NS1_11comp_targetILNS1_3genE0ELNS1_11target_archE4294967295ELNS1_3gpuE0ELNS1_3repE0EEENS1_38merge_mergepath_config_static_selectorELNS0_4arch9wavefront6targetE0EEEvSM_
                                        ; -- End function
	.section	.AMDGPU.csdata,"",@progbits
; Kernel info:
; codeLenInByte = 0
; NumSgprs: 0
; NumVgprs: 0
; ScratchSize: 0
; MemoryBound: 0
; FloatMode: 240
; IeeeMode: 1
; LDSByteSize: 0 bytes/workgroup (compile time only)
; SGPRBlocks: 0
; VGPRBlocks: 0
; NumSGPRsForWavesPerEU: 1
; NumVGPRsForWavesPerEU: 1
; Occupancy: 16
; WaveLimiterHint : 0
; COMPUTE_PGM_RSRC2:SCRATCH_EN: 0
; COMPUTE_PGM_RSRC2:USER_SGPR: 15
; COMPUTE_PGM_RSRC2:TRAP_HANDLER: 0
; COMPUTE_PGM_RSRC2:TGID_X_EN: 1
; COMPUTE_PGM_RSRC2:TGID_Y_EN: 0
; COMPUTE_PGM_RSRC2:TGID_Z_EN: 0
; COMPUTE_PGM_RSRC2:TIDIG_COMP_CNT: 0
	.section	.text._ZN7rocprim17ROCPRIM_400000_NS6detail17trampoline_kernelINS0_14default_configENS1_38merge_sort_block_merge_config_selectorIlNS0_10empty_typeEEEZZNS1_27merge_sort_block_merge_implIS3_PlPS5_mZN2at6native12_GLOBAL__N_124unique_dim_cuda_templateIhEESt5tupleIJNSA_6TensorESF_SF_EERKSF_lbbbEUlllE_EE10hipError_tT0_T1_T2_jT3_P12ihipStream_tbPNSt15iterator_traitsISL_E10value_typeEPNSR_ISM_E10value_typeEPSN_NS1_7vsmem_tEENKUlT_SL_SM_SN_E_clIS8_S8_S9_S9_EESK_S10_SL_SM_SN_EUlS10_E0_NS1_11comp_targetILNS1_3genE10ELNS1_11target_archE1201ELNS1_3gpuE5ELNS1_3repE0EEENS1_38merge_mergepath_config_static_selectorELNS0_4arch9wavefront6targetE0EEEvSM_,"axG",@progbits,_ZN7rocprim17ROCPRIM_400000_NS6detail17trampoline_kernelINS0_14default_configENS1_38merge_sort_block_merge_config_selectorIlNS0_10empty_typeEEEZZNS1_27merge_sort_block_merge_implIS3_PlPS5_mZN2at6native12_GLOBAL__N_124unique_dim_cuda_templateIhEESt5tupleIJNSA_6TensorESF_SF_EERKSF_lbbbEUlllE_EE10hipError_tT0_T1_T2_jT3_P12ihipStream_tbPNSt15iterator_traitsISL_E10value_typeEPNSR_ISM_E10value_typeEPSN_NS1_7vsmem_tEENKUlT_SL_SM_SN_E_clIS8_S8_S9_S9_EESK_S10_SL_SM_SN_EUlS10_E0_NS1_11comp_targetILNS1_3genE10ELNS1_11target_archE1201ELNS1_3gpuE5ELNS1_3repE0EEENS1_38merge_mergepath_config_static_selectorELNS0_4arch9wavefront6targetE0EEEvSM_,comdat
	.globl	_ZN7rocprim17ROCPRIM_400000_NS6detail17trampoline_kernelINS0_14default_configENS1_38merge_sort_block_merge_config_selectorIlNS0_10empty_typeEEEZZNS1_27merge_sort_block_merge_implIS3_PlPS5_mZN2at6native12_GLOBAL__N_124unique_dim_cuda_templateIhEESt5tupleIJNSA_6TensorESF_SF_EERKSF_lbbbEUlllE_EE10hipError_tT0_T1_T2_jT3_P12ihipStream_tbPNSt15iterator_traitsISL_E10value_typeEPNSR_ISM_E10value_typeEPSN_NS1_7vsmem_tEENKUlT_SL_SM_SN_E_clIS8_S8_S9_S9_EESK_S10_SL_SM_SN_EUlS10_E0_NS1_11comp_targetILNS1_3genE10ELNS1_11target_archE1201ELNS1_3gpuE5ELNS1_3repE0EEENS1_38merge_mergepath_config_static_selectorELNS0_4arch9wavefront6targetE0EEEvSM_ ; -- Begin function _ZN7rocprim17ROCPRIM_400000_NS6detail17trampoline_kernelINS0_14default_configENS1_38merge_sort_block_merge_config_selectorIlNS0_10empty_typeEEEZZNS1_27merge_sort_block_merge_implIS3_PlPS5_mZN2at6native12_GLOBAL__N_124unique_dim_cuda_templateIhEESt5tupleIJNSA_6TensorESF_SF_EERKSF_lbbbEUlllE_EE10hipError_tT0_T1_T2_jT3_P12ihipStream_tbPNSt15iterator_traitsISL_E10value_typeEPNSR_ISM_E10value_typeEPSN_NS1_7vsmem_tEENKUlT_SL_SM_SN_E_clIS8_S8_S9_S9_EESK_S10_SL_SM_SN_EUlS10_E0_NS1_11comp_targetILNS1_3genE10ELNS1_11target_archE1201ELNS1_3gpuE5ELNS1_3repE0EEENS1_38merge_mergepath_config_static_selectorELNS0_4arch9wavefront6targetE0EEEvSM_
	.p2align	8
	.type	_ZN7rocprim17ROCPRIM_400000_NS6detail17trampoline_kernelINS0_14default_configENS1_38merge_sort_block_merge_config_selectorIlNS0_10empty_typeEEEZZNS1_27merge_sort_block_merge_implIS3_PlPS5_mZN2at6native12_GLOBAL__N_124unique_dim_cuda_templateIhEESt5tupleIJNSA_6TensorESF_SF_EERKSF_lbbbEUlllE_EE10hipError_tT0_T1_T2_jT3_P12ihipStream_tbPNSt15iterator_traitsISL_E10value_typeEPNSR_ISM_E10value_typeEPSN_NS1_7vsmem_tEENKUlT_SL_SM_SN_E_clIS8_S8_S9_S9_EESK_S10_SL_SM_SN_EUlS10_E0_NS1_11comp_targetILNS1_3genE10ELNS1_11target_archE1201ELNS1_3gpuE5ELNS1_3repE0EEENS1_38merge_mergepath_config_static_selectorELNS0_4arch9wavefront6targetE0EEEvSM_,@function
_ZN7rocprim17ROCPRIM_400000_NS6detail17trampoline_kernelINS0_14default_configENS1_38merge_sort_block_merge_config_selectorIlNS0_10empty_typeEEEZZNS1_27merge_sort_block_merge_implIS3_PlPS5_mZN2at6native12_GLOBAL__N_124unique_dim_cuda_templateIhEESt5tupleIJNSA_6TensorESF_SF_EERKSF_lbbbEUlllE_EE10hipError_tT0_T1_T2_jT3_P12ihipStream_tbPNSt15iterator_traitsISL_E10value_typeEPNSR_ISM_E10value_typeEPSN_NS1_7vsmem_tEENKUlT_SL_SM_SN_E_clIS8_S8_S9_S9_EESK_S10_SL_SM_SN_EUlS10_E0_NS1_11comp_targetILNS1_3genE10ELNS1_11target_archE1201ELNS1_3gpuE5ELNS1_3repE0EEENS1_38merge_mergepath_config_static_selectorELNS0_4arch9wavefront6targetE0EEEvSM_: ; @_ZN7rocprim17ROCPRIM_400000_NS6detail17trampoline_kernelINS0_14default_configENS1_38merge_sort_block_merge_config_selectorIlNS0_10empty_typeEEEZZNS1_27merge_sort_block_merge_implIS3_PlPS5_mZN2at6native12_GLOBAL__N_124unique_dim_cuda_templateIhEESt5tupleIJNSA_6TensorESF_SF_EERKSF_lbbbEUlllE_EE10hipError_tT0_T1_T2_jT3_P12ihipStream_tbPNSt15iterator_traitsISL_E10value_typeEPNSR_ISM_E10value_typeEPSN_NS1_7vsmem_tEENKUlT_SL_SM_SN_E_clIS8_S8_S9_S9_EESK_S10_SL_SM_SN_EUlS10_E0_NS1_11comp_targetILNS1_3genE10ELNS1_11target_archE1201ELNS1_3gpuE5ELNS1_3repE0EEENS1_38merge_mergepath_config_static_selectorELNS0_4arch9wavefront6targetE0EEEvSM_
; %bb.0:
	.section	.rodata,"a",@progbits
	.p2align	6, 0x0
	.amdhsa_kernel _ZN7rocprim17ROCPRIM_400000_NS6detail17trampoline_kernelINS0_14default_configENS1_38merge_sort_block_merge_config_selectorIlNS0_10empty_typeEEEZZNS1_27merge_sort_block_merge_implIS3_PlPS5_mZN2at6native12_GLOBAL__N_124unique_dim_cuda_templateIhEESt5tupleIJNSA_6TensorESF_SF_EERKSF_lbbbEUlllE_EE10hipError_tT0_T1_T2_jT3_P12ihipStream_tbPNSt15iterator_traitsISL_E10value_typeEPNSR_ISM_E10value_typeEPSN_NS1_7vsmem_tEENKUlT_SL_SM_SN_E_clIS8_S8_S9_S9_EESK_S10_SL_SM_SN_EUlS10_E0_NS1_11comp_targetILNS1_3genE10ELNS1_11target_archE1201ELNS1_3gpuE5ELNS1_3repE0EEENS1_38merge_mergepath_config_static_selectorELNS0_4arch9wavefront6targetE0EEEvSM_
		.amdhsa_group_segment_fixed_size 0
		.amdhsa_private_segment_fixed_size 0
		.amdhsa_kernarg_size 88
		.amdhsa_user_sgpr_count 15
		.amdhsa_user_sgpr_dispatch_ptr 0
		.amdhsa_user_sgpr_queue_ptr 0
		.amdhsa_user_sgpr_kernarg_segment_ptr 1
		.amdhsa_user_sgpr_dispatch_id 0
		.amdhsa_user_sgpr_private_segment_size 0
		.amdhsa_wavefront_size32 1
		.amdhsa_uses_dynamic_stack 0
		.amdhsa_enable_private_segment 0
		.amdhsa_system_sgpr_workgroup_id_x 1
		.amdhsa_system_sgpr_workgroup_id_y 0
		.amdhsa_system_sgpr_workgroup_id_z 0
		.amdhsa_system_sgpr_workgroup_info 0
		.amdhsa_system_vgpr_workitem_id 0
		.amdhsa_next_free_vgpr 1
		.amdhsa_next_free_sgpr 1
		.amdhsa_reserve_vcc 0
		.amdhsa_float_round_mode_32 0
		.amdhsa_float_round_mode_16_64 0
		.amdhsa_float_denorm_mode_32 3
		.amdhsa_float_denorm_mode_16_64 3
		.amdhsa_dx10_clamp 1
		.amdhsa_ieee_mode 1
		.amdhsa_fp16_overflow 0
		.amdhsa_workgroup_processor_mode 1
		.amdhsa_memory_ordered 1
		.amdhsa_forward_progress 0
		.amdhsa_shared_vgpr_count 0
		.amdhsa_exception_fp_ieee_invalid_op 0
		.amdhsa_exception_fp_denorm_src 0
		.amdhsa_exception_fp_ieee_div_zero 0
		.amdhsa_exception_fp_ieee_overflow 0
		.amdhsa_exception_fp_ieee_underflow 0
		.amdhsa_exception_fp_ieee_inexact 0
		.amdhsa_exception_int_div_zero 0
	.end_amdhsa_kernel
	.section	.text._ZN7rocprim17ROCPRIM_400000_NS6detail17trampoline_kernelINS0_14default_configENS1_38merge_sort_block_merge_config_selectorIlNS0_10empty_typeEEEZZNS1_27merge_sort_block_merge_implIS3_PlPS5_mZN2at6native12_GLOBAL__N_124unique_dim_cuda_templateIhEESt5tupleIJNSA_6TensorESF_SF_EERKSF_lbbbEUlllE_EE10hipError_tT0_T1_T2_jT3_P12ihipStream_tbPNSt15iterator_traitsISL_E10value_typeEPNSR_ISM_E10value_typeEPSN_NS1_7vsmem_tEENKUlT_SL_SM_SN_E_clIS8_S8_S9_S9_EESK_S10_SL_SM_SN_EUlS10_E0_NS1_11comp_targetILNS1_3genE10ELNS1_11target_archE1201ELNS1_3gpuE5ELNS1_3repE0EEENS1_38merge_mergepath_config_static_selectorELNS0_4arch9wavefront6targetE0EEEvSM_,"axG",@progbits,_ZN7rocprim17ROCPRIM_400000_NS6detail17trampoline_kernelINS0_14default_configENS1_38merge_sort_block_merge_config_selectorIlNS0_10empty_typeEEEZZNS1_27merge_sort_block_merge_implIS3_PlPS5_mZN2at6native12_GLOBAL__N_124unique_dim_cuda_templateIhEESt5tupleIJNSA_6TensorESF_SF_EERKSF_lbbbEUlllE_EE10hipError_tT0_T1_T2_jT3_P12ihipStream_tbPNSt15iterator_traitsISL_E10value_typeEPNSR_ISM_E10value_typeEPSN_NS1_7vsmem_tEENKUlT_SL_SM_SN_E_clIS8_S8_S9_S9_EESK_S10_SL_SM_SN_EUlS10_E0_NS1_11comp_targetILNS1_3genE10ELNS1_11target_archE1201ELNS1_3gpuE5ELNS1_3repE0EEENS1_38merge_mergepath_config_static_selectorELNS0_4arch9wavefront6targetE0EEEvSM_,comdat
.Lfunc_end27:
	.size	_ZN7rocprim17ROCPRIM_400000_NS6detail17trampoline_kernelINS0_14default_configENS1_38merge_sort_block_merge_config_selectorIlNS0_10empty_typeEEEZZNS1_27merge_sort_block_merge_implIS3_PlPS5_mZN2at6native12_GLOBAL__N_124unique_dim_cuda_templateIhEESt5tupleIJNSA_6TensorESF_SF_EERKSF_lbbbEUlllE_EE10hipError_tT0_T1_T2_jT3_P12ihipStream_tbPNSt15iterator_traitsISL_E10value_typeEPNSR_ISM_E10value_typeEPSN_NS1_7vsmem_tEENKUlT_SL_SM_SN_E_clIS8_S8_S9_S9_EESK_S10_SL_SM_SN_EUlS10_E0_NS1_11comp_targetILNS1_3genE10ELNS1_11target_archE1201ELNS1_3gpuE5ELNS1_3repE0EEENS1_38merge_mergepath_config_static_selectorELNS0_4arch9wavefront6targetE0EEEvSM_, .Lfunc_end27-_ZN7rocprim17ROCPRIM_400000_NS6detail17trampoline_kernelINS0_14default_configENS1_38merge_sort_block_merge_config_selectorIlNS0_10empty_typeEEEZZNS1_27merge_sort_block_merge_implIS3_PlPS5_mZN2at6native12_GLOBAL__N_124unique_dim_cuda_templateIhEESt5tupleIJNSA_6TensorESF_SF_EERKSF_lbbbEUlllE_EE10hipError_tT0_T1_T2_jT3_P12ihipStream_tbPNSt15iterator_traitsISL_E10value_typeEPNSR_ISM_E10value_typeEPSN_NS1_7vsmem_tEENKUlT_SL_SM_SN_E_clIS8_S8_S9_S9_EESK_S10_SL_SM_SN_EUlS10_E0_NS1_11comp_targetILNS1_3genE10ELNS1_11target_archE1201ELNS1_3gpuE5ELNS1_3repE0EEENS1_38merge_mergepath_config_static_selectorELNS0_4arch9wavefront6targetE0EEEvSM_
                                        ; -- End function
	.section	.AMDGPU.csdata,"",@progbits
; Kernel info:
; codeLenInByte = 0
; NumSgprs: 0
; NumVgprs: 0
; ScratchSize: 0
; MemoryBound: 0
; FloatMode: 240
; IeeeMode: 1
; LDSByteSize: 0 bytes/workgroup (compile time only)
; SGPRBlocks: 0
; VGPRBlocks: 0
; NumSGPRsForWavesPerEU: 1
; NumVGPRsForWavesPerEU: 1
; Occupancy: 16
; WaveLimiterHint : 0
; COMPUTE_PGM_RSRC2:SCRATCH_EN: 0
; COMPUTE_PGM_RSRC2:USER_SGPR: 15
; COMPUTE_PGM_RSRC2:TRAP_HANDLER: 0
; COMPUTE_PGM_RSRC2:TGID_X_EN: 1
; COMPUTE_PGM_RSRC2:TGID_Y_EN: 0
; COMPUTE_PGM_RSRC2:TGID_Z_EN: 0
; COMPUTE_PGM_RSRC2:TIDIG_COMP_CNT: 0
	.section	.text._ZN7rocprim17ROCPRIM_400000_NS6detail17trampoline_kernelINS0_14default_configENS1_38merge_sort_block_merge_config_selectorIlNS0_10empty_typeEEEZZNS1_27merge_sort_block_merge_implIS3_PlPS5_mZN2at6native12_GLOBAL__N_124unique_dim_cuda_templateIhEESt5tupleIJNSA_6TensorESF_SF_EERKSF_lbbbEUlllE_EE10hipError_tT0_T1_T2_jT3_P12ihipStream_tbPNSt15iterator_traitsISL_E10value_typeEPNSR_ISM_E10value_typeEPSN_NS1_7vsmem_tEENKUlT_SL_SM_SN_E_clIS8_S8_S9_S9_EESK_S10_SL_SM_SN_EUlS10_E0_NS1_11comp_targetILNS1_3genE5ELNS1_11target_archE942ELNS1_3gpuE9ELNS1_3repE0EEENS1_38merge_mergepath_config_static_selectorELNS0_4arch9wavefront6targetE0EEEvSM_,"axG",@progbits,_ZN7rocprim17ROCPRIM_400000_NS6detail17trampoline_kernelINS0_14default_configENS1_38merge_sort_block_merge_config_selectorIlNS0_10empty_typeEEEZZNS1_27merge_sort_block_merge_implIS3_PlPS5_mZN2at6native12_GLOBAL__N_124unique_dim_cuda_templateIhEESt5tupleIJNSA_6TensorESF_SF_EERKSF_lbbbEUlllE_EE10hipError_tT0_T1_T2_jT3_P12ihipStream_tbPNSt15iterator_traitsISL_E10value_typeEPNSR_ISM_E10value_typeEPSN_NS1_7vsmem_tEENKUlT_SL_SM_SN_E_clIS8_S8_S9_S9_EESK_S10_SL_SM_SN_EUlS10_E0_NS1_11comp_targetILNS1_3genE5ELNS1_11target_archE942ELNS1_3gpuE9ELNS1_3repE0EEENS1_38merge_mergepath_config_static_selectorELNS0_4arch9wavefront6targetE0EEEvSM_,comdat
	.globl	_ZN7rocprim17ROCPRIM_400000_NS6detail17trampoline_kernelINS0_14default_configENS1_38merge_sort_block_merge_config_selectorIlNS0_10empty_typeEEEZZNS1_27merge_sort_block_merge_implIS3_PlPS5_mZN2at6native12_GLOBAL__N_124unique_dim_cuda_templateIhEESt5tupleIJNSA_6TensorESF_SF_EERKSF_lbbbEUlllE_EE10hipError_tT0_T1_T2_jT3_P12ihipStream_tbPNSt15iterator_traitsISL_E10value_typeEPNSR_ISM_E10value_typeEPSN_NS1_7vsmem_tEENKUlT_SL_SM_SN_E_clIS8_S8_S9_S9_EESK_S10_SL_SM_SN_EUlS10_E0_NS1_11comp_targetILNS1_3genE5ELNS1_11target_archE942ELNS1_3gpuE9ELNS1_3repE0EEENS1_38merge_mergepath_config_static_selectorELNS0_4arch9wavefront6targetE0EEEvSM_ ; -- Begin function _ZN7rocprim17ROCPRIM_400000_NS6detail17trampoline_kernelINS0_14default_configENS1_38merge_sort_block_merge_config_selectorIlNS0_10empty_typeEEEZZNS1_27merge_sort_block_merge_implIS3_PlPS5_mZN2at6native12_GLOBAL__N_124unique_dim_cuda_templateIhEESt5tupleIJNSA_6TensorESF_SF_EERKSF_lbbbEUlllE_EE10hipError_tT0_T1_T2_jT3_P12ihipStream_tbPNSt15iterator_traitsISL_E10value_typeEPNSR_ISM_E10value_typeEPSN_NS1_7vsmem_tEENKUlT_SL_SM_SN_E_clIS8_S8_S9_S9_EESK_S10_SL_SM_SN_EUlS10_E0_NS1_11comp_targetILNS1_3genE5ELNS1_11target_archE942ELNS1_3gpuE9ELNS1_3repE0EEENS1_38merge_mergepath_config_static_selectorELNS0_4arch9wavefront6targetE0EEEvSM_
	.p2align	8
	.type	_ZN7rocprim17ROCPRIM_400000_NS6detail17trampoline_kernelINS0_14default_configENS1_38merge_sort_block_merge_config_selectorIlNS0_10empty_typeEEEZZNS1_27merge_sort_block_merge_implIS3_PlPS5_mZN2at6native12_GLOBAL__N_124unique_dim_cuda_templateIhEESt5tupleIJNSA_6TensorESF_SF_EERKSF_lbbbEUlllE_EE10hipError_tT0_T1_T2_jT3_P12ihipStream_tbPNSt15iterator_traitsISL_E10value_typeEPNSR_ISM_E10value_typeEPSN_NS1_7vsmem_tEENKUlT_SL_SM_SN_E_clIS8_S8_S9_S9_EESK_S10_SL_SM_SN_EUlS10_E0_NS1_11comp_targetILNS1_3genE5ELNS1_11target_archE942ELNS1_3gpuE9ELNS1_3repE0EEENS1_38merge_mergepath_config_static_selectorELNS0_4arch9wavefront6targetE0EEEvSM_,@function
_ZN7rocprim17ROCPRIM_400000_NS6detail17trampoline_kernelINS0_14default_configENS1_38merge_sort_block_merge_config_selectorIlNS0_10empty_typeEEEZZNS1_27merge_sort_block_merge_implIS3_PlPS5_mZN2at6native12_GLOBAL__N_124unique_dim_cuda_templateIhEESt5tupleIJNSA_6TensorESF_SF_EERKSF_lbbbEUlllE_EE10hipError_tT0_T1_T2_jT3_P12ihipStream_tbPNSt15iterator_traitsISL_E10value_typeEPNSR_ISM_E10value_typeEPSN_NS1_7vsmem_tEENKUlT_SL_SM_SN_E_clIS8_S8_S9_S9_EESK_S10_SL_SM_SN_EUlS10_E0_NS1_11comp_targetILNS1_3genE5ELNS1_11target_archE942ELNS1_3gpuE9ELNS1_3repE0EEENS1_38merge_mergepath_config_static_selectorELNS0_4arch9wavefront6targetE0EEEvSM_: ; @_ZN7rocprim17ROCPRIM_400000_NS6detail17trampoline_kernelINS0_14default_configENS1_38merge_sort_block_merge_config_selectorIlNS0_10empty_typeEEEZZNS1_27merge_sort_block_merge_implIS3_PlPS5_mZN2at6native12_GLOBAL__N_124unique_dim_cuda_templateIhEESt5tupleIJNSA_6TensorESF_SF_EERKSF_lbbbEUlllE_EE10hipError_tT0_T1_T2_jT3_P12ihipStream_tbPNSt15iterator_traitsISL_E10value_typeEPNSR_ISM_E10value_typeEPSN_NS1_7vsmem_tEENKUlT_SL_SM_SN_E_clIS8_S8_S9_S9_EESK_S10_SL_SM_SN_EUlS10_E0_NS1_11comp_targetILNS1_3genE5ELNS1_11target_archE942ELNS1_3gpuE9ELNS1_3repE0EEENS1_38merge_mergepath_config_static_selectorELNS0_4arch9wavefront6targetE0EEEvSM_
; %bb.0:
	.section	.rodata,"a",@progbits
	.p2align	6, 0x0
	.amdhsa_kernel _ZN7rocprim17ROCPRIM_400000_NS6detail17trampoline_kernelINS0_14default_configENS1_38merge_sort_block_merge_config_selectorIlNS0_10empty_typeEEEZZNS1_27merge_sort_block_merge_implIS3_PlPS5_mZN2at6native12_GLOBAL__N_124unique_dim_cuda_templateIhEESt5tupleIJNSA_6TensorESF_SF_EERKSF_lbbbEUlllE_EE10hipError_tT0_T1_T2_jT3_P12ihipStream_tbPNSt15iterator_traitsISL_E10value_typeEPNSR_ISM_E10value_typeEPSN_NS1_7vsmem_tEENKUlT_SL_SM_SN_E_clIS8_S8_S9_S9_EESK_S10_SL_SM_SN_EUlS10_E0_NS1_11comp_targetILNS1_3genE5ELNS1_11target_archE942ELNS1_3gpuE9ELNS1_3repE0EEENS1_38merge_mergepath_config_static_selectorELNS0_4arch9wavefront6targetE0EEEvSM_
		.amdhsa_group_segment_fixed_size 0
		.amdhsa_private_segment_fixed_size 0
		.amdhsa_kernarg_size 88
		.amdhsa_user_sgpr_count 15
		.amdhsa_user_sgpr_dispatch_ptr 0
		.amdhsa_user_sgpr_queue_ptr 0
		.amdhsa_user_sgpr_kernarg_segment_ptr 1
		.amdhsa_user_sgpr_dispatch_id 0
		.amdhsa_user_sgpr_private_segment_size 0
		.amdhsa_wavefront_size32 1
		.amdhsa_uses_dynamic_stack 0
		.amdhsa_enable_private_segment 0
		.amdhsa_system_sgpr_workgroup_id_x 1
		.amdhsa_system_sgpr_workgroup_id_y 0
		.amdhsa_system_sgpr_workgroup_id_z 0
		.amdhsa_system_sgpr_workgroup_info 0
		.amdhsa_system_vgpr_workitem_id 0
		.amdhsa_next_free_vgpr 1
		.amdhsa_next_free_sgpr 1
		.amdhsa_reserve_vcc 0
		.amdhsa_float_round_mode_32 0
		.amdhsa_float_round_mode_16_64 0
		.amdhsa_float_denorm_mode_32 3
		.amdhsa_float_denorm_mode_16_64 3
		.amdhsa_dx10_clamp 1
		.amdhsa_ieee_mode 1
		.amdhsa_fp16_overflow 0
		.amdhsa_workgroup_processor_mode 1
		.amdhsa_memory_ordered 1
		.amdhsa_forward_progress 0
		.amdhsa_shared_vgpr_count 0
		.amdhsa_exception_fp_ieee_invalid_op 0
		.amdhsa_exception_fp_denorm_src 0
		.amdhsa_exception_fp_ieee_div_zero 0
		.amdhsa_exception_fp_ieee_overflow 0
		.amdhsa_exception_fp_ieee_underflow 0
		.amdhsa_exception_fp_ieee_inexact 0
		.amdhsa_exception_int_div_zero 0
	.end_amdhsa_kernel
	.section	.text._ZN7rocprim17ROCPRIM_400000_NS6detail17trampoline_kernelINS0_14default_configENS1_38merge_sort_block_merge_config_selectorIlNS0_10empty_typeEEEZZNS1_27merge_sort_block_merge_implIS3_PlPS5_mZN2at6native12_GLOBAL__N_124unique_dim_cuda_templateIhEESt5tupleIJNSA_6TensorESF_SF_EERKSF_lbbbEUlllE_EE10hipError_tT0_T1_T2_jT3_P12ihipStream_tbPNSt15iterator_traitsISL_E10value_typeEPNSR_ISM_E10value_typeEPSN_NS1_7vsmem_tEENKUlT_SL_SM_SN_E_clIS8_S8_S9_S9_EESK_S10_SL_SM_SN_EUlS10_E0_NS1_11comp_targetILNS1_3genE5ELNS1_11target_archE942ELNS1_3gpuE9ELNS1_3repE0EEENS1_38merge_mergepath_config_static_selectorELNS0_4arch9wavefront6targetE0EEEvSM_,"axG",@progbits,_ZN7rocprim17ROCPRIM_400000_NS6detail17trampoline_kernelINS0_14default_configENS1_38merge_sort_block_merge_config_selectorIlNS0_10empty_typeEEEZZNS1_27merge_sort_block_merge_implIS3_PlPS5_mZN2at6native12_GLOBAL__N_124unique_dim_cuda_templateIhEESt5tupleIJNSA_6TensorESF_SF_EERKSF_lbbbEUlllE_EE10hipError_tT0_T1_T2_jT3_P12ihipStream_tbPNSt15iterator_traitsISL_E10value_typeEPNSR_ISM_E10value_typeEPSN_NS1_7vsmem_tEENKUlT_SL_SM_SN_E_clIS8_S8_S9_S9_EESK_S10_SL_SM_SN_EUlS10_E0_NS1_11comp_targetILNS1_3genE5ELNS1_11target_archE942ELNS1_3gpuE9ELNS1_3repE0EEENS1_38merge_mergepath_config_static_selectorELNS0_4arch9wavefront6targetE0EEEvSM_,comdat
.Lfunc_end28:
	.size	_ZN7rocprim17ROCPRIM_400000_NS6detail17trampoline_kernelINS0_14default_configENS1_38merge_sort_block_merge_config_selectorIlNS0_10empty_typeEEEZZNS1_27merge_sort_block_merge_implIS3_PlPS5_mZN2at6native12_GLOBAL__N_124unique_dim_cuda_templateIhEESt5tupleIJNSA_6TensorESF_SF_EERKSF_lbbbEUlllE_EE10hipError_tT0_T1_T2_jT3_P12ihipStream_tbPNSt15iterator_traitsISL_E10value_typeEPNSR_ISM_E10value_typeEPSN_NS1_7vsmem_tEENKUlT_SL_SM_SN_E_clIS8_S8_S9_S9_EESK_S10_SL_SM_SN_EUlS10_E0_NS1_11comp_targetILNS1_3genE5ELNS1_11target_archE942ELNS1_3gpuE9ELNS1_3repE0EEENS1_38merge_mergepath_config_static_selectorELNS0_4arch9wavefront6targetE0EEEvSM_, .Lfunc_end28-_ZN7rocprim17ROCPRIM_400000_NS6detail17trampoline_kernelINS0_14default_configENS1_38merge_sort_block_merge_config_selectorIlNS0_10empty_typeEEEZZNS1_27merge_sort_block_merge_implIS3_PlPS5_mZN2at6native12_GLOBAL__N_124unique_dim_cuda_templateIhEESt5tupleIJNSA_6TensorESF_SF_EERKSF_lbbbEUlllE_EE10hipError_tT0_T1_T2_jT3_P12ihipStream_tbPNSt15iterator_traitsISL_E10value_typeEPNSR_ISM_E10value_typeEPSN_NS1_7vsmem_tEENKUlT_SL_SM_SN_E_clIS8_S8_S9_S9_EESK_S10_SL_SM_SN_EUlS10_E0_NS1_11comp_targetILNS1_3genE5ELNS1_11target_archE942ELNS1_3gpuE9ELNS1_3repE0EEENS1_38merge_mergepath_config_static_selectorELNS0_4arch9wavefront6targetE0EEEvSM_
                                        ; -- End function
	.section	.AMDGPU.csdata,"",@progbits
; Kernel info:
; codeLenInByte = 0
; NumSgprs: 0
; NumVgprs: 0
; ScratchSize: 0
; MemoryBound: 0
; FloatMode: 240
; IeeeMode: 1
; LDSByteSize: 0 bytes/workgroup (compile time only)
; SGPRBlocks: 0
; VGPRBlocks: 0
; NumSGPRsForWavesPerEU: 1
; NumVGPRsForWavesPerEU: 1
; Occupancy: 16
; WaveLimiterHint : 0
; COMPUTE_PGM_RSRC2:SCRATCH_EN: 0
; COMPUTE_PGM_RSRC2:USER_SGPR: 15
; COMPUTE_PGM_RSRC2:TRAP_HANDLER: 0
; COMPUTE_PGM_RSRC2:TGID_X_EN: 1
; COMPUTE_PGM_RSRC2:TGID_Y_EN: 0
; COMPUTE_PGM_RSRC2:TGID_Z_EN: 0
; COMPUTE_PGM_RSRC2:TIDIG_COMP_CNT: 0
	.section	.text._ZN7rocprim17ROCPRIM_400000_NS6detail17trampoline_kernelINS0_14default_configENS1_38merge_sort_block_merge_config_selectorIlNS0_10empty_typeEEEZZNS1_27merge_sort_block_merge_implIS3_PlPS5_mZN2at6native12_GLOBAL__N_124unique_dim_cuda_templateIhEESt5tupleIJNSA_6TensorESF_SF_EERKSF_lbbbEUlllE_EE10hipError_tT0_T1_T2_jT3_P12ihipStream_tbPNSt15iterator_traitsISL_E10value_typeEPNSR_ISM_E10value_typeEPSN_NS1_7vsmem_tEENKUlT_SL_SM_SN_E_clIS8_S8_S9_S9_EESK_S10_SL_SM_SN_EUlS10_E0_NS1_11comp_targetILNS1_3genE4ELNS1_11target_archE910ELNS1_3gpuE8ELNS1_3repE0EEENS1_38merge_mergepath_config_static_selectorELNS0_4arch9wavefront6targetE0EEEvSM_,"axG",@progbits,_ZN7rocprim17ROCPRIM_400000_NS6detail17trampoline_kernelINS0_14default_configENS1_38merge_sort_block_merge_config_selectorIlNS0_10empty_typeEEEZZNS1_27merge_sort_block_merge_implIS3_PlPS5_mZN2at6native12_GLOBAL__N_124unique_dim_cuda_templateIhEESt5tupleIJNSA_6TensorESF_SF_EERKSF_lbbbEUlllE_EE10hipError_tT0_T1_T2_jT3_P12ihipStream_tbPNSt15iterator_traitsISL_E10value_typeEPNSR_ISM_E10value_typeEPSN_NS1_7vsmem_tEENKUlT_SL_SM_SN_E_clIS8_S8_S9_S9_EESK_S10_SL_SM_SN_EUlS10_E0_NS1_11comp_targetILNS1_3genE4ELNS1_11target_archE910ELNS1_3gpuE8ELNS1_3repE0EEENS1_38merge_mergepath_config_static_selectorELNS0_4arch9wavefront6targetE0EEEvSM_,comdat
	.globl	_ZN7rocprim17ROCPRIM_400000_NS6detail17trampoline_kernelINS0_14default_configENS1_38merge_sort_block_merge_config_selectorIlNS0_10empty_typeEEEZZNS1_27merge_sort_block_merge_implIS3_PlPS5_mZN2at6native12_GLOBAL__N_124unique_dim_cuda_templateIhEESt5tupleIJNSA_6TensorESF_SF_EERKSF_lbbbEUlllE_EE10hipError_tT0_T1_T2_jT3_P12ihipStream_tbPNSt15iterator_traitsISL_E10value_typeEPNSR_ISM_E10value_typeEPSN_NS1_7vsmem_tEENKUlT_SL_SM_SN_E_clIS8_S8_S9_S9_EESK_S10_SL_SM_SN_EUlS10_E0_NS1_11comp_targetILNS1_3genE4ELNS1_11target_archE910ELNS1_3gpuE8ELNS1_3repE0EEENS1_38merge_mergepath_config_static_selectorELNS0_4arch9wavefront6targetE0EEEvSM_ ; -- Begin function _ZN7rocprim17ROCPRIM_400000_NS6detail17trampoline_kernelINS0_14default_configENS1_38merge_sort_block_merge_config_selectorIlNS0_10empty_typeEEEZZNS1_27merge_sort_block_merge_implIS3_PlPS5_mZN2at6native12_GLOBAL__N_124unique_dim_cuda_templateIhEESt5tupleIJNSA_6TensorESF_SF_EERKSF_lbbbEUlllE_EE10hipError_tT0_T1_T2_jT3_P12ihipStream_tbPNSt15iterator_traitsISL_E10value_typeEPNSR_ISM_E10value_typeEPSN_NS1_7vsmem_tEENKUlT_SL_SM_SN_E_clIS8_S8_S9_S9_EESK_S10_SL_SM_SN_EUlS10_E0_NS1_11comp_targetILNS1_3genE4ELNS1_11target_archE910ELNS1_3gpuE8ELNS1_3repE0EEENS1_38merge_mergepath_config_static_selectorELNS0_4arch9wavefront6targetE0EEEvSM_
	.p2align	8
	.type	_ZN7rocprim17ROCPRIM_400000_NS6detail17trampoline_kernelINS0_14default_configENS1_38merge_sort_block_merge_config_selectorIlNS0_10empty_typeEEEZZNS1_27merge_sort_block_merge_implIS3_PlPS5_mZN2at6native12_GLOBAL__N_124unique_dim_cuda_templateIhEESt5tupleIJNSA_6TensorESF_SF_EERKSF_lbbbEUlllE_EE10hipError_tT0_T1_T2_jT3_P12ihipStream_tbPNSt15iterator_traitsISL_E10value_typeEPNSR_ISM_E10value_typeEPSN_NS1_7vsmem_tEENKUlT_SL_SM_SN_E_clIS8_S8_S9_S9_EESK_S10_SL_SM_SN_EUlS10_E0_NS1_11comp_targetILNS1_3genE4ELNS1_11target_archE910ELNS1_3gpuE8ELNS1_3repE0EEENS1_38merge_mergepath_config_static_selectorELNS0_4arch9wavefront6targetE0EEEvSM_,@function
_ZN7rocprim17ROCPRIM_400000_NS6detail17trampoline_kernelINS0_14default_configENS1_38merge_sort_block_merge_config_selectorIlNS0_10empty_typeEEEZZNS1_27merge_sort_block_merge_implIS3_PlPS5_mZN2at6native12_GLOBAL__N_124unique_dim_cuda_templateIhEESt5tupleIJNSA_6TensorESF_SF_EERKSF_lbbbEUlllE_EE10hipError_tT0_T1_T2_jT3_P12ihipStream_tbPNSt15iterator_traitsISL_E10value_typeEPNSR_ISM_E10value_typeEPSN_NS1_7vsmem_tEENKUlT_SL_SM_SN_E_clIS8_S8_S9_S9_EESK_S10_SL_SM_SN_EUlS10_E0_NS1_11comp_targetILNS1_3genE4ELNS1_11target_archE910ELNS1_3gpuE8ELNS1_3repE0EEENS1_38merge_mergepath_config_static_selectorELNS0_4arch9wavefront6targetE0EEEvSM_: ; @_ZN7rocprim17ROCPRIM_400000_NS6detail17trampoline_kernelINS0_14default_configENS1_38merge_sort_block_merge_config_selectorIlNS0_10empty_typeEEEZZNS1_27merge_sort_block_merge_implIS3_PlPS5_mZN2at6native12_GLOBAL__N_124unique_dim_cuda_templateIhEESt5tupleIJNSA_6TensorESF_SF_EERKSF_lbbbEUlllE_EE10hipError_tT0_T1_T2_jT3_P12ihipStream_tbPNSt15iterator_traitsISL_E10value_typeEPNSR_ISM_E10value_typeEPSN_NS1_7vsmem_tEENKUlT_SL_SM_SN_E_clIS8_S8_S9_S9_EESK_S10_SL_SM_SN_EUlS10_E0_NS1_11comp_targetILNS1_3genE4ELNS1_11target_archE910ELNS1_3gpuE8ELNS1_3repE0EEENS1_38merge_mergepath_config_static_selectorELNS0_4arch9wavefront6targetE0EEEvSM_
; %bb.0:
	.section	.rodata,"a",@progbits
	.p2align	6, 0x0
	.amdhsa_kernel _ZN7rocprim17ROCPRIM_400000_NS6detail17trampoline_kernelINS0_14default_configENS1_38merge_sort_block_merge_config_selectorIlNS0_10empty_typeEEEZZNS1_27merge_sort_block_merge_implIS3_PlPS5_mZN2at6native12_GLOBAL__N_124unique_dim_cuda_templateIhEESt5tupleIJNSA_6TensorESF_SF_EERKSF_lbbbEUlllE_EE10hipError_tT0_T1_T2_jT3_P12ihipStream_tbPNSt15iterator_traitsISL_E10value_typeEPNSR_ISM_E10value_typeEPSN_NS1_7vsmem_tEENKUlT_SL_SM_SN_E_clIS8_S8_S9_S9_EESK_S10_SL_SM_SN_EUlS10_E0_NS1_11comp_targetILNS1_3genE4ELNS1_11target_archE910ELNS1_3gpuE8ELNS1_3repE0EEENS1_38merge_mergepath_config_static_selectorELNS0_4arch9wavefront6targetE0EEEvSM_
		.amdhsa_group_segment_fixed_size 0
		.amdhsa_private_segment_fixed_size 0
		.amdhsa_kernarg_size 88
		.amdhsa_user_sgpr_count 15
		.amdhsa_user_sgpr_dispatch_ptr 0
		.amdhsa_user_sgpr_queue_ptr 0
		.amdhsa_user_sgpr_kernarg_segment_ptr 1
		.amdhsa_user_sgpr_dispatch_id 0
		.amdhsa_user_sgpr_private_segment_size 0
		.amdhsa_wavefront_size32 1
		.amdhsa_uses_dynamic_stack 0
		.amdhsa_enable_private_segment 0
		.amdhsa_system_sgpr_workgroup_id_x 1
		.amdhsa_system_sgpr_workgroup_id_y 0
		.amdhsa_system_sgpr_workgroup_id_z 0
		.amdhsa_system_sgpr_workgroup_info 0
		.amdhsa_system_vgpr_workitem_id 0
		.amdhsa_next_free_vgpr 1
		.amdhsa_next_free_sgpr 1
		.amdhsa_reserve_vcc 0
		.amdhsa_float_round_mode_32 0
		.amdhsa_float_round_mode_16_64 0
		.amdhsa_float_denorm_mode_32 3
		.amdhsa_float_denorm_mode_16_64 3
		.amdhsa_dx10_clamp 1
		.amdhsa_ieee_mode 1
		.amdhsa_fp16_overflow 0
		.amdhsa_workgroup_processor_mode 1
		.amdhsa_memory_ordered 1
		.amdhsa_forward_progress 0
		.amdhsa_shared_vgpr_count 0
		.amdhsa_exception_fp_ieee_invalid_op 0
		.amdhsa_exception_fp_denorm_src 0
		.amdhsa_exception_fp_ieee_div_zero 0
		.amdhsa_exception_fp_ieee_overflow 0
		.amdhsa_exception_fp_ieee_underflow 0
		.amdhsa_exception_fp_ieee_inexact 0
		.amdhsa_exception_int_div_zero 0
	.end_amdhsa_kernel
	.section	.text._ZN7rocprim17ROCPRIM_400000_NS6detail17trampoline_kernelINS0_14default_configENS1_38merge_sort_block_merge_config_selectorIlNS0_10empty_typeEEEZZNS1_27merge_sort_block_merge_implIS3_PlPS5_mZN2at6native12_GLOBAL__N_124unique_dim_cuda_templateIhEESt5tupleIJNSA_6TensorESF_SF_EERKSF_lbbbEUlllE_EE10hipError_tT0_T1_T2_jT3_P12ihipStream_tbPNSt15iterator_traitsISL_E10value_typeEPNSR_ISM_E10value_typeEPSN_NS1_7vsmem_tEENKUlT_SL_SM_SN_E_clIS8_S8_S9_S9_EESK_S10_SL_SM_SN_EUlS10_E0_NS1_11comp_targetILNS1_3genE4ELNS1_11target_archE910ELNS1_3gpuE8ELNS1_3repE0EEENS1_38merge_mergepath_config_static_selectorELNS0_4arch9wavefront6targetE0EEEvSM_,"axG",@progbits,_ZN7rocprim17ROCPRIM_400000_NS6detail17trampoline_kernelINS0_14default_configENS1_38merge_sort_block_merge_config_selectorIlNS0_10empty_typeEEEZZNS1_27merge_sort_block_merge_implIS3_PlPS5_mZN2at6native12_GLOBAL__N_124unique_dim_cuda_templateIhEESt5tupleIJNSA_6TensorESF_SF_EERKSF_lbbbEUlllE_EE10hipError_tT0_T1_T2_jT3_P12ihipStream_tbPNSt15iterator_traitsISL_E10value_typeEPNSR_ISM_E10value_typeEPSN_NS1_7vsmem_tEENKUlT_SL_SM_SN_E_clIS8_S8_S9_S9_EESK_S10_SL_SM_SN_EUlS10_E0_NS1_11comp_targetILNS1_3genE4ELNS1_11target_archE910ELNS1_3gpuE8ELNS1_3repE0EEENS1_38merge_mergepath_config_static_selectorELNS0_4arch9wavefront6targetE0EEEvSM_,comdat
.Lfunc_end29:
	.size	_ZN7rocprim17ROCPRIM_400000_NS6detail17trampoline_kernelINS0_14default_configENS1_38merge_sort_block_merge_config_selectorIlNS0_10empty_typeEEEZZNS1_27merge_sort_block_merge_implIS3_PlPS5_mZN2at6native12_GLOBAL__N_124unique_dim_cuda_templateIhEESt5tupleIJNSA_6TensorESF_SF_EERKSF_lbbbEUlllE_EE10hipError_tT0_T1_T2_jT3_P12ihipStream_tbPNSt15iterator_traitsISL_E10value_typeEPNSR_ISM_E10value_typeEPSN_NS1_7vsmem_tEENKUlT_SL_SM_SN_E_clIS8_S8_S9_S9_EESK_S10_SL_SM_SN_EUlS10_E0_NS1_11comp_targetILNS1_3genE4ELNS1_11target_archE910ELNS1_3gpuE8ELNS1_3repE0EEENS1_38merge_mergepath_config_static_selectorELNS0_4arch9wavefront6targetE0EEEvSM_, .Lfunc_end29-_ZN7rocprim17ROCPRIM_400000_NS6detail17trampoline_kernelINS0_14default_configENS1_38merge_sort_block_merge_config_selectorIlNS0_10empty_typeEEEZZNS1_27merge_sort_block_merge_implIS3_PlPS5_mZN2at6native12_GLOBAL__N_124unique_dim_cuda_templateIhEESt5tupleIJNSA_6TensorESF_SF_EERKSF_lbbbEUlllE_EE10hipError_tT0_T1_T2_jT3_P12ihipStream_tbPNSt15iterator_traitsISL_E10value_typeEPNSR_ISM_E10value_typeEPSN_NS1_7vsmem_tEENKUlT_SL_SM_SN_E_clIS8_S8_S9_S9_EESK_S10_SL_SM_SN_EUlS10_E0_NS1_11comp_targetILNS1_3genE4ELNS1_11target_archE910ELNS1_3gpuE8ELNS1_3repE0EEENS1_38merge_mergepath_config_static_selectorELNS0_4arch9wavefront6targetE0EEEvSM_
                                        ; -- End function
	.section	.AMDGPU.csdata,"",@progbits
; Kernel info:
; codeLenInByte = 0
; NumSgprs: 0
; NumVgprs: 0
; ScratchSize: 0
; MemoryBound: 0
; FloatMode: 240
; IeeeMode: 1
; LDSByteSize: 0 bytes/workgroup (compile time only)
; SGPRBlocks: 0
; VGPRBlocks: 0
; NumSGPRsForWavesPerEU: 1
; NumVGPRsForWavesPerEU: 1
; Occupancy: 16
; WaveLimiterHint : 0
; COMPUTE_PGM_RSRC2:SCRATCH_EN: 0
; COMPUTE_PGM_RSRC2:USER_SGPR: 15
; COMPUTE_PGM_RSRC2:TRAP_HANDLER: 0
; COMPUTE_PGM_RSRC2:TGID_X_EN: 1
; COMPUTE_PGM_RSRC2:TGID_Y_EN: 0
; COMPUTE_PGM_RSRC2:TGID_Z_EN: 0
; COMPUTE_PGM_RSRC2:TIDIG_COMP_CNT: 0
	.section	.text._ZN7rocprim17ROCPRIM_400000_NS6detail17trampoline_kernelINS0_14default_configENS1_38merge_sort_block_merge_config_selectorIlNS0_10empty_typeEEEZZNS1_27merge_sort_block_merge_implIS3_PlPS5_mZN2at6native12_GLOBAL__N_124unique_dim_cuda_templateIhEESt5tupleIJNSA_6TensorESF_SF_EERKSF_lbbbEUlllE_EE10hipError_tT0_T1_T2_jT3_P12ihipStream_tbPNSt15iterator_traitsISL_E10value_typeEPNSR_ISM_E10value_typeEPSN_NS1_7vsmem_tEENKUlT_SL_SM_SN_E_clIS8_S8_S9_S9_EESK_S10_SL_SM_SN_EUlS10_E0_NS1_11comp_targetILNS1_3genE3ELNS1_11target_archE908ELNS1_3gpuE7ELNS1_3repE0EEENS1_38merge_mergepath_config_static_selectorELNS0_4arch9wavefront6targetE0EEEvSM_,"axG",@progbits,_ZN7rocprim17ROCPRIM_400000_NS6detail17trampoline_kernelINS0_14default_configENS1_38merge_sort_block_merge_config_selectorIlNS0_10empty_typeEEEZZNS1_27merge_sort_block_merge_implIS3_PlPS5_mZN2at6native12_GLOBAL__N_124unique_dim_cuda_templateIhEESt5tupleIJNSA_6TensorESF_SF_EERKSF_lbbbEUlllE_EE10hipError_tT0_T1_T2_jT3_P12ihipStream_tbPNSt15iterator_traitsISL_E10value_typeEPNSR_ISM_E10value_typeEPSN_NS1_7vsmem_tEENKUlT_SL_SM_SN_E_clIS8_S8_S9_S9_EESK_S10_SL_SM_SN_EUlS10_E0_NS1_11comp_targetILNS1_3genE3ELNS1_11target_archE908ELNS1_3gpuE7ELNS1_3repE0EEENS1_38merge_mergepath_config_static_selectorELNS0_4arch9wavefront6targetE0EEEvSM_,comdat
	.globl	_ZN7rocprim17ROCPRIM_400000_NS6detail17trampoline_kernelINS0_14default_configENS1_38merge_sort_block_merge_config_selectorIlNS0_10empty_typeEEEZZNS1_27merge_sort_block_merge_implIS3_PlPS5_mZN2at6native12_GLOBAL__N_124unique_dim_cuda_templateIhEESt5tupleIJNSA_6TensorESF_SF_EERKSF_lbbbEUlllE_EE10hipError_tT0_T1_T2_jT3_P12ihipStream_tbPNSt15iterator_traitsISL_E10value_typeEPNSR_ISM_E10value_typeEPSN_NS1_7vsmem_tEENKUlT_SL_SM_SN_E_clIS8_S8_S9_S9_EESK_S10_SL_SM_SN_EUlS10_E0_NS1_11comp_targetILNS1_3genE3ELNS1_11target_archE908ELNS1_3gpuE7ELNS1_3repE0EEENS1_38merge_mergepath_config_static_selectorELNS0_4arch9wavefront6targetE0EEEvSM_ ; -- Begin function _ZN7rocprim17ROCPRIM_400000_NS6detail17trampoline_kernelINS0_14default_configENS1_38merge_sort_block_merge_config_selectorIlNS0_10empty_typeEEEZZNS1_27merge_sort_block_merge_implIS3_PlPS5_mZN2at6native12_GLOBAL__N_124unique_dim_cuda_templateIhEESt5tupleIJNSA_6TensorESF_SF_EERKSF_lbbbEUlllE_EE10hipError_tT0_T1_T2_jT3_P12ihipStream_tbPNSt15iterator_traitsISL_E10value_typeEPNSR_ISM_E10value_typeEPSN_NS1_7vsmem_tEENKUlT_SL_SM_SN_E_clIS8_S8_S9_S9_EESK_S10_SL_SM_SN_EUlS10_E0_NS1_11comp_targetILNS1_3genE3ELNS1_11target_archE908ELNS1_3gpuE7ELNS1_3repE0EEENS1_38merge_mergepath_config_static_selectorELNS0_4arch9wavefront6targetE0EEEvSM_
	.p2align	8
	.type	_ZN7rocprim17ROCPRIM_400000_NS6detail17trampoline_kernelINS0_14default_configENS1_38merge_sort_block_merge_config_selectorIlNS0_10empty_typeEEEZZNS1_27merge_sort_block_merge_implIS3_PlPS5_mZN2at6native12_GLOBAL__N_124unique_dim_cuda_templateIhEESt5tupleIJNSA_6TensorESF_SF_EERKSF_lbbbEUlllE_EE10hipError_tT0_T1_T2_jT3_P12ihipStream_tbPNSt15iterator_traitsISL_E10value_typeEPNSR_ISM_E10value_typeEPSN_NS1_7vsmem_tEENKUlT_SL_SM_SN_E_clIS8_S8_S9_S9_EESK_S10_SL_SM_SN_EUlS10_E0_NS1_11comp_targetILNS1_3genE3ELNS1_11target_archE908ELNS1_3gpuE7ELNS1_3repE0EEENS1_38merge_mergepath_config_static_selectorELNS0_4arch9wavefront6targetE0EEEvSM_,@function
_ZN7rocprim17ROCPRIM_400000_NS6detail17trampoline_kernelINS0_14default_configENS1_38merge_sort_block_merge_config_selectorIlNS0_10empty_typeEEEZZNS1_27merge_sort_block_merge_implIS3_PlPS5_mZN2at6native12_GLOBAL__N_124unique_dim_cuda_templateIhEESt5tupleIJNSA_6TensorESF_SF_EERKSF_lbbbEUlllE_EE10hipError_tT0_T1_T2_jT3_P12ihipStream_tbPNSt15iterator_traitsISL_E10value_typeEPNSR_ISM_E10value_typeEPSN_NS1_7vsmem_tEENKUlT_SL_SM_SN_E_clIS8_S8_S9_S9_EESK_S10_SL_SM_SN_EUlS10_E0_NS1_11comp_targetILNS1_3genE3ELNS1_11target_archE908ELNS1_3gpuE7ELNS1_3repE0EEENS1_38merge_mergepath_config_static_selectorELNS0_4arch9wavefront6targetE0EEEvSM_: ; @_ZN7rocprim17ROCPRIM_400000_NS6detail17trampoline_kernelINS0_14default_configENS1_38merge_sort_block_merge_config_selectorIlNS0_10empty_typeEEEZZNS1_27merge_sort_block_merge_implIS3_PlPS5_mZN2at6native12_GLOBAL__N_124unique_dim_cuda_templateIhEESt5tupleIJNSA_6TensorESF_SF_EERKSF_lbbbEUlllE_EE10hipError_tT0_T1_T2_jT3_P12ihipStream_tbPNSt15iterator_traitsISL_E10value_typeEPNSR_ISM_E10value_typeEPSN_NS1_7vsmem_tEENKUlT_SL_SM_SN_E_clIS8_S8_S9_S9_EESK_S10_SL_SM_SN_EUlS10_E0_NS1_11comp_targetILNS1_3genE3ELNS1_11target_archE908ELNS1_3gpuE7ELNS1_3repE0EEENS1_38merge_mergepath_config_static_selectorELNS0_4arch9wavefront6targetE0EEEvSM_
; %bb.0:
	.section	.rodata,"a",@progbits
	.p2align	6, 0x0
	.amdhsa_kernel _ZN7rocprim17ROCPRIM_400000_NS6detail17trampoline_kernelINS0_14default_configENS1_38merge_sort_block_merge_config_selectorIlNS0_10empty_typeEEEZZNS1_27merge_sort_block_merge_implIS3_PlPS5_mZN2at6native12_GLOBAL__N_124unique_dim_cuda_templateIhEESt5tupleIJNSA_6TensorESF_SF_EERKSF_lbbbEUlllE_EE10hipError_tT0_T1_T2_jT3_P12ihipStream_tbPNSt15iterator_traitsISL_E10value_typeEPNSR_ISM_E10value_typeEPSN_NS1_7vsmem_tEENKUlT_SL_SM_SN_E_clIS8_S8_S9_S9_EESK_S10_SL_SM_SN_EUlS10_E0_NS1_11comp_targetILNS1_3genE3ELNS1_11target_archE908ELNS1_3gpuE7ELNS1_3repE0EEENS1_38merge_mergepath_config_static_selectorELNS0_4arch9wavefront6targetE0EEEvSM_
		.amdhsa_group_segment_fixed_size 0
		.amdhsa_private_segment_fixed_size 0
		.amdhsa_kernarg_size 88
		.amdhsa_user_sgpr_count 15
		.amdhsa_user_sgpr_dispatch_ptr 0
		.amdhsa_user_sgpr_queue_ptr 0
		.amdhsa_user_sgpr_kernarg_segment_ptr 1
		.amdhsa_user_sgpr_dispatch_id 0
		.amdhsa_user_sgpr_private_segment_size 0
		.amdhsa_wavefront_size32 1
		.amdhsa_uses_dynamic_stack 0
		.amdhsa_enable_private_segment 0
		.amdhsa_system_sgpr_workgroup_id_x 1
		.amdhsa_system_sgpr_workgroup_id_y 0
		.amdhsa_system_sgpr_workgroup_id_z 0
		.amdhsa_system_sgpr_workgroup_info 0
		.amdhsa_system_vgpr_workitem_id 0
		.amdhsa_next_free_vgpr 1
		.amdhsa_next_free_sgpr 1
		.amdhsa_reserve_vcc 0
		.amdhsa_float_round_mode_32 0
		.amdhsa_float_round_mode_16_64 0
		.amdhsa_float_denorm_mode_32 3
		.amdhsa_float_denorm_mode_16_64 3
		.amdhsa_dx10_clamp 1
		.amdhsa_ieee_mode 1
		.amdhsa_fp16_overflow 0
		.amdhsa_workgroup_processor_mode 1
		.amdhsa_memory_ordered 1
		.amdhsa_forward_progress 0
		.amdhsa_shared_vgpr_count 0
		.amdhsa_exception_fp_ieee_invalid_op 0
		.amdhsa_exception_fp_denorm_src 0
		.amdhsa_exception_fp_ieee_div_zero 0
		.amdhsa_exception_fp_ieee_overflow 0
		.amdhsa_exception_fp_ieee_underflow 0
		.amdhsa_exception_fp_ieee_inexact 0
		.amdhsa_exception_int_div_zero 0
	.end_amdhsa_kernel
	.section	.text._ZN7rocprim17ROCPRIM_400000_NS6detail17trampoline_kernelINS0_14default_configENS1_38merge_sort_block_merge_config_selectorIlNS0_10empty_typeEEEZZNS1_27merge_sort_block_merge_implIS3_PlPS5_mZN2at6native12_GLOBAL__N_124unique_dim_cuda_templateIhEESt5tupleIJNSA_6TensorESF_SF_EERKSF_lbbbEUlllE_EE10hipError_tT0_T1_T2_jT3_P12ihipStream_tbPNSt15iterator_traitsISL_E10value_typeEPNSR_ISM_E10value_typeEPSN_NS1_7vsmem_tEENKUlT_SL_SM_SN_E_clIS8_S8_S9_S9_EESK_S10_SL_SM_SN_EUlS10_E0_NS1_11comp_targetILNS1_3genE3ELNS1_11target_archE908ELNS1_3gpuE7ELNS1_3repE0EEENS1_38merge_mergepath_config_static_selectorELNS0_4arch9wavefront6targetE0EEEvSM_,"axG",@progbits,_ZN7rocprim17ROCPRIM_400000_NS6detail17trampoline_kernelINS0_14default_configENS1_38merge_sort_block_merge_config_selectorIlNS0_10empty_typeEEEZZNS1_27merge_sort_block_merge_implIS3_PlPS5_mZN2at6native12_GLOBAL__N_124unique_dim_cuda_templateIhEESt5tupleIJNSA_6TensorESF_SF_EERKSF_lbbbEUlllE_EE10hipError_tT0_T1_T2_jT3_P12ihipStream_tbPNSt15iterator_traitsISL_E10value_typeEPNSR_ISM_E10value_typeEPSN_NS1_7vsmem_tEENKUlT_SL_SM_SN_E_clIS8_S8_S9_S9_EESK_S10_SL_SM_SN_EUlS10_E0_NS1_11comp_targetILNS1_3genE3ELNS1_11target_archE908ELNS1_3gpuE7ELNS1_3repE0EEENS1_38merge_mergepath_config_static_selectorELNS0_4arch9wavefront6targetE0EEEvSM_,comdat
.Lfunc_end30:
	.size	_ZN7rocprim17ROCPRIM_400000_NS6detail17trampoline_kernelINS0_14default_configENS1_38merge_sort_block_merge_config_selectorIlNS0_10empty_typeEEEZZNS1_27merge_sort_block_merge_implIS3_PlPS5_mZN2at6native12_GLOBAL__N_124unique_dim_cuda_templateIhEESt5tupleIJNSA_6TensorESF_SF_EERKSF_lbbbEUlllE_EE10hipError_tT0_T1_T2_jT3_P12ihipStream_tbPNSt15iterator_traitsISL_E10value_typeEPNSR_ISM_E10value_typeEPSN_NS1_7vsmem_tEENKUlT_SL_SM_SN_E_clIS8_S8_S9_S9_EESK_S10_SL_SM_SN_EUlS10_E0_NS1_11comp_targetILNS1_3genE3ELNS1_11target_archE908ELNS1_3gpuE7ELNS1_3repE0EEENS1_38merge_mergepath_config_static_selectorELNS0_4arch9wavefront6targetE0EEEvSM_, .Lfunc_end30-_ZN7rocprim17ROCPRIM_400000_NS6detail17trampoline_kernelINS0_14default_configENS1_38merge_sort_block_merge_config_selectorIlNS0_10empty_typeEEEZZNS1_27merge_sort_block_merge_implIS3_PlPS5_mZN2at6native12_GLOBAL__N_124unique_dim_cuda_templateIhEESt5tupleIJNSA_6TensorESF_SF_EERKSF_lbbbEUlllE_EE10hipError_tT0_T1_T2_jT3_P12ihipStream_tbPNSt15iterator_traitsISL_E10value_typeEPNSR_ISM_E10value_typeEPSN_NS1_7vsmem_tEENKUlT_SL_SM_SN_E_clIS8_S8_S9_S9_EESK_S10_SL_SM_SN_EUlS10_E0_NS1_11comp_targetILNS1_3genE3ELNS1_11target_archE908ELNS1_3gpuE7ELNS1_3repE0EEENS1_38merge_mergepath_config_static_selectorELNS0_4arch9wavefront6targetE0EEEvSM_
                                        ; -- End function
	.section	.AMDGPU.csdata,"",@progbits
; Kernel info:
; codeLenInByte = 0
; NumSgprs: 0
; NumVgprs: 0
; ScratchSize: 0
; MemoryBound: 0
; FloatMode: 240
; IeeeMode: 1
; LDSByteSize: 0 bytes/workgroup (compile time only)
; SGPRBlocks: 0
; VGPRBlocks: 0
; NumSGPRsForWavesPerEU: 1
; NumVGPRsForWavesPerEU: 1
; Occupancy: 16
; WaveLimiterHint : 0
; COMPUTE_PGM_RSRC2:SCRATCH_EN: 0
; COMPUTE_PGM_RSRC2:USER_SGPR: 15
; COMPUTE_PGM_RSRC2:TRAP_HANDLER: 0
; COMPUTE_PGM_RSRC2:TGID_X_EN: 1
; COMPUTE_PGM_RSRC2:TGID_Y_EN: 0
; COMPUTE_PGM_RSRC2:TGID_Z_EN: 0
; COMPUTE_PGM_RSRC2:TIDIG_COMP_CNT: 0
	.section	.text._ZN7rocprim17ROCPRIM_400000_NS6detail17trampoline_kernelINS0_14default_configENS1_38merge_sort_block_merge_config_selectorIlNS0_10empty_typeEEEZZNS1_27merge_sort_block_merge_implIS3_PlPS5_mZN2at6native12_GLOBAL__N_124unique_dim_cuda_templateIhEESt5tupleIJNSA_6TensorESF_SF_EERKSF_lbbbEUlllE_EE10hipError_tT0_T1_T2_jT3_P12ihipStream_tbPNSt15iterator_traitsISL_E10value_typeEPNSR_ISM_E10value_typeEPSN_NS1_7vsmem_tEENKUlT_SL_SM_SN_E_clIS8_S8_S9_S9_EESK_S10_SL_SM_SN_EUlS10_E0_NS1_11comp_targetILNS1_3genE2ELNS1_11target_archE906ELNS1_3gpuE6ELNS1_3repE0EEENS1_38merge_mergepath_config_static_selectorELNS0_4arch9wavefront6targetE0EEEvSM_,"axG",@progbits,_ZN7rocprim17ROCPRIM_400000_NS6detail17trampoline_kernelINS0_14default_configENS1_38merge_sort_block_merge_config_selectorIlNS0_10empty_typeEEEZZNS1_27merge_sort_block_merge_implIS3_PlPS5_mZN2at6native12_GLOBAL__N_124unique_dim_cuda_templateIhEESt5tupleIJNSA_6TensorESF_SF_EERKSF_lbbbEUlllE_EE10hipError_tT0_T1_T2_jT3_P12ihipStream_tbPNSt15iterator_traitsISL_E10value_typeEPNSR_ISM_E10value_typeEPSN_NS1_7vsmem_tEENKUlT_SL_SM_SN_E_clIS8_S8_S9_S9_EESK_S10_SL_SM_SN_EUlS10_E0_NS1_11comp_targetILNS1_3genE2ELNS1_11target_archE906ELNS1_3gpuE6ELNS1_3repE0EEENS1_38merge_mergepath_config_static_selectorELNS0_4arch9wavefront6targetE0EEEvSM_,comdat
	.globl	_ZN7rocprim17ROCPRIM_400000_NS6detail17trampoline_kernelINS0_14default_configENS1_38merge_sort_block_merge_config_selectorIlNS0_10empty_typeEEEZZNS1_27merge_sort_block_merge_implIS3_PlPS5_mZN2at6native12_GLOBAL__N_124unique_dim_cuda_templateIhEESt5tupleIJNSA_6TensorESF_SF_EERKSF_lbbbEUlllE_EE10hipError_tT0_T1_T2_jT3_P12ihipStream_tbPNSt15iterator_traitsISL_E10value_typeEPNSR_ISM_E10value_typeEPSN_NS1_7vsmem_tEENKUlT_SL_SM_SN_E_clIS8_S8_S9_S9_EESK_S10_SL_SM_SN_EUlS10_E0_NS1_11comp_targetILNS1_3genE2ELNS1_11target_archE906ELNS1_3gpuE6ELNS1_3repE0EEENS1_38merge_mergepath_config_static_selectorELNS0_4arch9wavefront6targetE0EEEvSM_ ; -- Begin function _ZN7rocprim17ROCPRIM_400000_NS6detail17trampoline_kernelINS0_14default_configENS1_38merge_sort_block_merge_config_selectorIlNS0_10empty_typeEEEZZNS1_27merge_sort_block_merge_implIS3_PlPS5_mZN2at6native12_GLOBAL__N_124unique_dim_cuda_templateIhEESt5tupleIJNSA_6TensorESF_SF_EERKSF_lbbbEUlllE_EE10hipError_tT0_T1_T2_jT3_P12ihipStream_tbPNSt15iterator_traitsISL_E10value_typeEPNSR_ISM_E10value_typeEPSN_NS1_7vsmem_tEENKUlT_SL_SM_SN_E_clIS8_S8_S9_S9_EESK_S10_SL_SM_SN_EUlS10_E0_NS1_11comp_targetILNS1_3genE2ELNS1_11target_archE906ELNS1_3gpuE6ELNS1_3repE0EEENS1_38merge_mergepath_config_static_selectorELNS0_4arch9wavefront6targetE0EEEvSM_
	.p2align	8
	.type	_ZN7rocprim17ROCPRIM_400000_NS6detail17trampoline_kernelINS0_14default_configENS1_38merge_sort_block_merge_config_selectorIlNS0_10empty_typeEEEZZNS1_27merge_sort_block_merge_implIS3_PlPS5_mZN2at6native12_GLOBAL__N_124unique_dim_cuda_templateIhEESt5tupleIJNSA_6TensorESF_SF_EERKSF_lbbbEUlllE_EE10hipError_tT0_T1_T2_jT3_P12ihipStream_tbPNSt15iterator_traitsISL_E10value_typeEPNSR_ISM_E10value_typeEPSN_NS1_7vsmem_tEENKUlT_SL_SM_SN_E_clIS8_S8_S9_S9_EESK_S10_SL_SM_SN_EUlS10_E0_NS1_11comp_targetILNS1_3genE2ELNS1_11target_archE906ELNS1_3gpuE6ELNS1_3repE0EEENS1_38merge_mergepath_config_static_selectorELNS0_4arch9wavefront6targetE0EEEvSM_,@function
_ZN7rocprim17ROCPRIM_400000_NS6detail17trampoline_kernelINS0_14default_configENS1_38merge_sort_block_merge_config_selectorIlNS0_10empty_typeEEEZZNS1_27merge_sort_block_merge_implIS3_PlPS5_mZN2at6native12_GLOBAL__N_124unique_dim_cuda_templateIhEESt5tupleIJNSA_6TensorESF_SF_EERKSF_lbbbEUlllE_EE10hipError_tT0_T1_T2_jT3_P12ihipStream_tbPNSt15iterator_traitsISL_E10value_typeEPNSR_ISM_E10value_typeEPSN_NS1_7vsmem_tEENKUlT_SL_SM_SN_E_clIS8_S8_S9_S9_EESK_S10_SL_SM_SN_EUlS10_E0_NS1_11comp_targetILNS1_3genE2ELNS1_11target_archE906ELNS1_3gpuE6ELNS1_3repE0EEENS1_38merge_mergepath_config_static_selectorELNS0_4arch9wavefront6targetE0EEEvSM_: ; @_ZN7rocprim17ROCPRIM_400000_NS6detail17trampoline_kernelINS0_14default_configENS1_38merge_sort_block_merge_config_selectorIlNS0_10empty_typeEEEZZNS1_27merge_sort_block_merge_implIS3_PlPS5_mZN2at6native12_GLOBAL__N_124unique_dim_cuda_templateIhEESt5tupleIJNSA_6TensorESF_SF_EERKSF_lbbbEUlllE_EE10hipError_tT0_T1_T2_jT3_P12ihipStream_tbPNSt15iterator_traitsISL_E10value_typeEPNSR_ISM_E10value_typeEPSN_NS1_7vsmem_tEENKUlT_SL_SM_SN_E_clIS8_S8_S9_S9_EESK_S10_SL_SM_SN_EUlS10_E0_NS1_11comp_targetILNS1_3genE2ELNS1_11target_archE906ELNS1_3gpuE6ELNS1_3repE0EEENS1_38merge_mergepath_config_static_selectorELNS0_4arch9wavefront6targetE0EEEvSM_
; %bb.0:
	.section	.rodata,"a",@progbits
	.p2align	6, 0x0
	.amdhsa_kernel _ZN7rocprim17ROCPRIM_400000_NS6detail17trampoline_kernelINS0_14default_configENS1_38merge_sort_block_merge_config_selectorIlNS0_10empty_typeEEEZZNS1_27merge_sort_block_merge_implIS3_PlPS5_mZN2at6native12_GLOBAL__N_124unique_dim_cuda_templateIhEESt5tupleIJNSA_6TensorESF_SF_EERKSF_lbbbEUlllE_EE10hipError_tT0_T1_T2_jT3_P12ihipStream_tbPNSt15iterator_traitsISL_E10value_typeEPNSR_ISM_E10value_typeEPSN_NS1_7vsmem_tEENKUlT_SL_SM_SN_E_clIS8_S8_S9_S9_EESK_S10_SL_SM_SN_EUlS10_E0_NS1_11comp_targetILNS1_3genE2ELNS1_11target_archE906ELNS1_3gpuE6ELNS1_3repE0EEENS1_38merge_mergepath_config_static_selectorELNS0_4arch9wavefront6targetE0EEEvSM_
		.amdhsa_group_segment_fixed_size 0
		.amdhsa_private_segment_fixed_size 0
		.amdhsa_kernarg_size 88
		.amdhsa_user_sgpr_count 15
		.amdhsa_user_sgpr_dispatch_ptr 0
		.amdhsa_user_sgpr_queue_ptr 0
		.amdhsa_user_sgpr_kernarg_segment_ptr 1
		.amdhsa_user_sgpr_dispatch_id 0
		.amdhsa_user_sgpr_private_segment_size 0
		.amdhsa_wavefront_size32 1
		.amdhsa_uses_dynamic_stack 0
		.amdhsa_enable_private_segment 0
		.amdhsa_system_sgpr_workgroup_id_x 1
		.amdhsa_system_sgpr_workgroup_id_y 0
		.amdhsa_system_sgpr_workgroup_id_z 0
		.amdhsa_system_sgpr_workgroup_info 0
		.amdhsa_system_vgpr_workitem_id 0
		.amdhsa_next_free_vgpr 1
		.amdhsa_next_free_sgpr 1
		.amdhsa_reserve_vcc 0
		.amdhsa_float_round_mode_32 0
		.amdhsa_float_round_mode_16_64 0
		.amdhsa_float_denorm_mode_32 3
		.amdhsa_float_denorm_mode_16_64 3
		.amdhsa_dx10_clamp 1
		.amdhsa_ieee_mode 1
		.amdhsa_fp16_overflow 0
		.amdhsa_workgroup_processor_mode 1
		.amdhsa_memory_ordered 1
		.amdhsa_forward_progress 0
		.amdhsa_shared_vgpr_count 0
		.amdhsa_exception_fp_ieee_invalid_op 0
		.amdhsa_exception_fp_denorm_src 0
		.amdhsa_exception_fp_ieee_div_zero 0
		.amdhsa_exception_fp_ieee_overflow 0
		.amdhsa_exception_fp_ieee_underflow 0
		.amdhsa_exception_fp_ieee_inexact 0
		.amdhsa_exception_int_div_zero 0
	.end_amdhsa_kernel
	.section	.text._ZN7rocprim17ROCPRIM_400000_NS6detail17trampoline_kernelINS0_14default_configENS1_38merge_sort_block_merge_config_selectorIlNS0_10empty_typeEEEZZNS1_27merge_sort_block_merge_implIS3_PlPS5_mZN2at6native12_GLOBAL__N_124unique_dim_cuda_templateIhEESt5tupleIJNSA_6TensorESF_SF_EERKSF_lbbbEUlllE_EE10hipError_tT0_T1_T2_jT3_P12ihipStream_tbPNSt15iterator_traitsISL_E10value_typeEPNSR_ISM_E10value_typeEPSN_NS1_7vsmem_tEENKUlT_SL_SM_SN_E_clIS8_S8_S9_S9_EESK_S10_SL_SM_SN_EUlS10_E0_NS1_11comp_targetILNS1_3genE2ELNS1_11target_archE906ELNS1_3gpuE6ELNS1_3repE0EEENS1_38merge_mergepath_config_static_selectorELNS0_4arch9wavefront6targetE0EEEvSM_,"axG",@progbits,_ZN7rocprim17ROCPRIM_400000_NS6detail17trampoline_kernelINS0_14default_configENS1_38merge_sort_block_merge_config_selectorIlNS0_10empty_typeEEEZZNS1_27merge_sort_block_merge_implIS3_PlPS5_mZN2at6native12_GLOBAL__N_124unique_dim_cuda_templateIhEESt5tupleIJNSA_6TensorESF_SF_EERKSF_lbbbEUlllE_EE10hipError_tT0_T1_T2_jT3_P12ihipStream_tbPNSt15iterator_traitsISL_E10value_typeEPNSR_ISM_E10value_typeEPSN_NS1_7vsmem_tEENKUlT_SL_SM_SN_E_clIS8_S8_S9_S9_EESK_S10_SL_SM_SN_EUlS10_E0_NS1_11comp_targetILNS1_3genE2ELNS1_11target_archE906ELNS1_3gpuE6ELNS1_3repE0EEENS1_38merge_mergepath_config_static_selectorELNS0_4arch9wavefront6targetE0EEEvSM_,comdat
.Lfunc_end31:
	.size	_ZN7rocprim17ROCPRIM_400000_NS6detail17trampoline_kernelINS0_14default_configENS1_38merge_sort_block_merge_config_selectorIlNS0_10empty_typeEEEZZNS1_27merge_sort_block_merge_implIS3_PlPS5_mZN2at6native12_GLOBAL__N_124unique_dim_cuda_templateIhEESt5tupleIJNSA_6TensorESF_SF_EERKSF_lbbbEUlllE_EE10hipError_tT0_T1_T2_jT3_P12ihipStream_tbPNSt15iterator_traitsISL_E10value_typeEPNSR_ISM_E10value_typeEPSN_NS1_7vsmem_tEENKUlT_SL_SM_SN_E_clIS8_S8_S9_S9_EESK_S10_SL_SM_SN_EUlS10_E0_NS1_11comp_targetILNS1_3genE2ELNS1_11target_archE906ELNS1_3gpuE6ELNS1_3repE0EEENS1_38merge_mergepath_config_static_selectorELNS0_4arch9wavefront6targetE0EEEvSM_, .Lfunc_end31-_ZN7rocprim17ROCPRIM_400000_NS6detail17trampoline_kernelINS0_14default_configENS1_38merge_sort_block_merge_config_selectorIlNS0_10empty_typeEEEZZNS1_27merge_sort_block_merge_implIS3_PlPS5_mZN2at6native12_GLOBAL__N_124unique_dim_cuda_templateIhEESt5tupleIJNSA_6TensorESF_SF_EERKSF_lbbbEUlllE_EE10hipError_tT0_T1_T2_jT3_P12ihipStream_tbPNSt15iterator_traitsISL_E10value_typeEPNSR_ISM_E10value_typeEPSN_NS1_7vsmem_tEENKUlT_SL_SM_SN_E_clIS8_S8_S9_S9_EESK_S10_SL_SM_SN_EUlS10_E0_NS1_11comp_targetILNS1_3genE2ELNS1_11target_archE906ELNS1_3gpuE6ELNS1_3repE0EEENS1_38merge_mergepath_config_static_selectorELNS0_4arch9wavefront6targetE0EEEvSM_
                                        ; -- End function
	.section	.AMDGPU.csdata,"",@progbits
; Kernel info:
; codeLenInByte = 0
; NumSgprs: 0
; NumVgprs: 0
; ScratchSize: 0
; MemoryBound: 0
; FloatMode: 240
; IeeeMode: 1
; LDSByteSize: 0 bytes/workgroup (compile time only)
; SGPRBlocks: 0
; VGPRBlocks: 0
; NumSGPRsForWavesPerEU: 1
; NumVGPRsForWavesPerEU: 1
; Occupancy: 16
; WaveLimiterHint : 0
; COMPUTE_PGM_RSRC2:SCRATCH_EN: 0
; COMPUTE_PGM_RSRC2:USER_SGPR: 15
; COMPUTE_PGM_RSRC2:TRAP_HANDLER: 0
; COMPUTE_PGM_RSRC2:TGID_X_EN: 1
; COMPUTE_PGM_RSRC2:TGID_Y_EN: 0
; COMPUTE_PGM_RSRC2:TGID_Z_EN: 0
; COMPUTE_PGM_RSRC2:TIDIG_COMP_CNT: 0
	.section	.text._ZN7rocprim17ROCPRIM_400000_NS6detail17trampoline_kernelINS0_14default_configENS1_38merge_sort_block_merge_config_selectorIlNS0_10empty_typeEEEZZNS1_27merge_sort_block_merge_implIS3_PlPS5_mZN2at6native12_GLOBAL__N_124unique_dim_cuda_templateIhEESt5tupleIJNSA_6TensorESF_SF_EERKSF_lbbbEUlllE_EE10hipError_tT0_T1_T2_jT3_P12ihipStream_tbPNSt15iterator_traitsISL_E10value_typeEPNSR_ISM_E10value_typeEPSN_NS1_7vsmem_tEENKUlT_SL_SM_SN_E_clIS8_S8_S9_S9_EESK_S10_SL_SM_SN_EUlS10_E0_NS1_11comp_targetILNS1_3genE9ELNS1_11target_archE1100ELNS1_3gpuE3ELNS1_3repE0EEENS1_38merge_mergepath_config_static_selectorELNS0_4arch9wavefront6targetE0EEEvSM_,"axG",@progbits,_ZN7rocprim17ROCPRIM_400000_NS6detail17trampoline_kernelINS0_14default_configENS1_38merge_sort_block_merge_config_selectorIlNS0_10empty_typeEEEZZNS1_27merge_sort_block_merge_implIS3_PlPS5_mZN2at6native12_GLOBAL__N_124unique_dim_cuda_templateIhEESt5tupleIJNSA_6TensorESF_SF_EERKSF_lbbbEUlllE_EE10hipError_tT0_T1_T2_jT3_P12ihipStream_tbPNSt15iterator_traitsISL_E10value_typeEPNSR_ISM_E10value_typeEPSN_NS1_7vsmem_tEENKUlT_SL_SM_SN_E_clIS8_S8_S9_S9_EESK_S10_SL_SM_SN_EUlS10_E0_NS1_11comp_targetILNS1_3genE9ELNS1_11target_archE1100ELNS1_3gpuE3ELNS1_3repE0EEENS1_38merge_mergepath_config_static_selectorELNS0_4arch9wavefront6targetE0EEEvSM_,comdat
	.globl	_ZN7rocprim17ROCPRIM_400000_NS6detail17trampoline_kernelINS0_14default_configENS1_38merge_sort_block_merge_config_selectorIlNS0_10empty_typeEEEZZNS1_27merge_sort_block_merge_implIS3_PlPS5_mZN2at6native12_GLOBAL__N_124unique_dim_cuda_templateIhEESt5tupleIJNSA_6TensorESF_SF_EERKSF_lbbbEUlllE_EE10hipError_tT0_T1_T2_jT3_P12ihipStream_tbPNSt15iterator_traitsISL_E10value_typeEPNSR_ISM_E10value_typeEPSN_NS1_7vsmem_tEENKUlT_SL_SM_SN_E_clIS8_S8_S9_S9_EESK_S10_SL_SM_SN_EUlS10_E0_NS1_11comp_targetILNS1_3genE9ELNS1_11target_archE1100ELNS1_3gpuE3ELNS1_3repE0EEENS1_38merge_mergepath_config_static_selectorELNS0_4arch9wavefront6targetE0EEEvSM_ ; -- Begin function _ZN7rocprim17ROCPRIM_400000_NS6detail17trampoline_kernelINS0_14default_configENS1_38merge_sort_block_merge_config_selectorIlNS0_10empty_typeEEEZZNS1_27merge_sort_block_merge_implIS3_PlPS5_mZN2at6native12_GLOBAL__N_124unique_dim_cuda_templateIhEESt5tupleIJNSA_6TensorESF_SF_EERKSF_lbbbEUlllE_EE10hipError_tT0_T1_T2_jT3_P12ihipStream_tbPNSt15iterator_traitsISL_E10value_typeEPNSR_ISM_E10value_typeEPSN_NS1_7vsmem_tEENKUlT_SL_SM_SN_E_clIS8_S8_S9_S9_EESK_S10_SL_SM_SN_EUlS10_E0_NS1_11comp_targetILNS1_3genE9ELNS1_11target_archE1100ELNS1_3gpuE3ELNS1_3repE0EEENS1_38merge_mergepath_config_static_selectorELNS0_4arch9wavefront6targetE0EEEvSM_
	.p2align	8
	.type	_ZN7rocprim17ROCPRIM_400000_NS6detail17trampoline_kernelINS0_14default_configENS1_38merge_sort_block_merge_config_selectorIlNS0_10empty_typeEEEZZNS1_27merge_sort_block_merge_implIS3_PlPS5_mZN2at6native12_GLOBAL__N_124unique_dim_cuda_templateIhEESt5tupleIJNSA_6TensorESF_SF_EERKSF_lbbbEUlllE_EE10hipError_tT0_T1_T2_jT3_P12ihipStream_tbPNSt15iterator_traitsISL_E10value_typeEPNSR_ISM_E10value_typeEPSN_NS1_7vsmem_tEENKUlT_SL_SM_SN_E_clIS8_S8_S9_S9_EESK_S10_SL_SM_SN_EUlS10_E0_NS1_11comp_targetILNS1_3genE9ELNS1_11target_archE1100ELNS1_3gpuE3ELNS1_3repE0EEENS1_38merge_mergepath_config_static_selectorELNS0_4arch9wavefront6targetE0EEEvSM_,@function
_ZN7rocprim17ROCPRIM_400000_NS6detail17trampoline_kernelINS0_14default_configENS1_38merge_sort_block_merge_config_selectorIlNS0_10empty_typeEEEZZNS1_27merge_sort_block_merge_implIS3_PlPS5_mZN2at6native12_GLOBAL__N_124unique_dim_cuda_templateIhEESt5tupleIJNSA_6TensorESF_SF_EERKSF_lbbbEUlllE_EE10hipError_tT0_T1_T2_jT3_P12ihipStream_tbPNSt15iterator_traitsISL_E10value_typeEPNSR_ISM_E10value_typeEPSN_NS1_7vsmem_tEENKUlT_SL_SM_SN_E_clIS8_S8_S9_S9_EESK_S10_SL_SM_SN_EUlS10_E0_NS1_11comp_targetILNS1_3genE9ELNS1_11target_archE1100ELNS1_3gpuE3ELNS1_3repE0EEENS1_38merge_mergepath_config_static_selectorELNS0_4arch9wavefront6targetE0EEEvSM_: ; @_ZN7rocprim17ROCPRIM_400000_NS6detail17trampoline_kernelINS0_14default_configENS1_38merge_sort_block_merge_config_selectorIlNS0_10empty_typeEEEZZNS1_27merge_sort_block_merge_implIS3_PlPS5_mZN2at6native12_GLOBAL__N_124unique_dim_cuda_templateIhEESt5tupleIJNSA_6TensorESF_SF_EERKSF_lbbbEUlllE_EE10hipError_tT0_T1_T2_jT3_P12ihipStream_tbPNSt15iterator_traitsISL_E10value_typeEPNSR_ISM_E10value_typeEPSN_NS1_7vsmem_tEENKUlT_SL_SM_SN_E_clIS8_S8_S9_S9_EESK_S10_SL_SM_SN_EUlS10_E0_NS1_11comp_targetILNS1_3genE9ELNS1_11target_archE1100ELNS1_3gpuE3ELNS1_3repE0EEENS1_38merge_mergepath_config_static_selectorELNS0_4arch9wavefront6targetE0EEEvSM_
; %bb.0:
	s_clause 0x1
	s_load_b64 s[24:25], s[0:1], 0x58
	s_load_b32 s3, s[0:1], 0x38
	s_add_u32 s22, s0, 0x58
	s_addc_u32 s23, s1, 0
	s_waitcnt lgkmcnt(0)
	s_mul_i32 s2, s25, s15
	s_delay_alu instid0(SALU_CYCLE_1) | instskip(NEXT) | instid1(SALU_CYCLE_1)
	s_add_i32 s2, s2, s14
	s_mul_i32 s2, s2, s24
	s_delay_alu instid0(SALU_CYCLE_1) | instskip(NEXT) | instid1(SALU_CYCLE_1)
	s_add_i32 s2, s2, s13
	s_cmp_ge_u32 s2, s3
	s_cbranch_scc1 .LBB32_53
; %bb.1:
	s_clause 0x1
	s_load_b128 s[4:7], s[0:1], 0x28
	s_load_b64 s[8:9], s[0:1], 0x50
	s_mov_b32 s3, 0
	s_delay_alu instid0(SALU_CYCLE_1)
	s_lshl_b64 s[10:11], s[2:3], 3
	s_waitcnt lgkmcnt(0)
	v_alignbit_b32 v1, s7, s6, 9
	s_add_u32 s8, s8, s10
	s_addc_u32 s9, s9, s11
	s_lshl_b64 s[20:21], s[2:3], 10
	s_load_b128 s[16:19], s[8:9], 0x0
	v_readfirstlane_b32 s10, v1
	s_mov_b32 s9, s3
	s_delay_alu instid0(VALU_DEP_1) | instskip(NEXT) | instid1(SALU_CYCLE_1)
	s_and_b32 s8, s10, -2
	s_sub_i32 s33, 0, s8
	s_delay_alu instid0(SALU_CYCLE_1) | instskip(NEXT) | instid1(SALU_CYCLE_1)
	s_and_b32 s8, s2, s33
	s_lshl_b64 s[14:15], s[8:9], 10
	s_delay_alu instid0(SALU_CYCLE_1)
	s_sub_u32 s12, s20, s14
	s_subb_u32 s25, s21, s15
	s_lshl_b64 s[28:29], s[8:9], 11
	s_load_b128 s[8:11], s[0:1], 0x8
	s_add_u32 s27, s28, s6
	s_addc_u32 s28, s29, s7
	s_add_u32 s12, s27, s12
	s_addc_u32 s25, s28, s25
	s_waitcnt lgkmcnt(0)
	s_sub_u32 s26, s12, s18
	s_subb_u32 s19, s25, s19
	s_add_u32 s30, s26, 0x400
	s_addc_u32 s31, s19, 0
	s_delay_alu instid0(SALU_CYCLE_1) | instskip(NEXT) | instid1(VALU_DEP_1)
	v_cmp_lt_u64_e64 s19, s[4:5], s[30:31]
	s_and_b32 s19, s19, exec_lo
	s_cselect_b32 s26, s4, s30
	s_or_b32 s19, s2, s33
	s_delay_alu instid0(SALU_CYCLE_1)
	s_cmp_lg_u32 s19, -1
	s_mov_b32 s19, -1
	s_cbranch_scc1 .LBB32_3
; %bb.2:
	s_sub_u32 s14, s27, s14
	s_subb_u32 s15, s28, s15
	s_delay_alu instid0(SALU_CYCLE_1) | instskip(NEXT) | instid1(VALU_DEP_1)
	v_cmp_lt_u64_e64 s18, s[4:5], s[14:15]
	s_and_b32 s18, s18, exec_lo
	s_cselect_b32 s18, s4, s14
	s_add_u32 s6, s14, s6
	s_addc_u32 s7, s15, s7
	s_delay_alu instid0(SALU_CYCLE_1) | instskip(NEXT) | instid1(VALU_DEP_1)
	v_cmp_lt_u64_e64 s7, s[4:5], s[6:7]
	s_and_b32 s7, s7, exec_lo
	s_cselect_b32 s26, s4, s6
.LBB32_3:
	v_mov_b32_e32 v2, 0
	s_lshr_b64 s[28:29], s[4:5], 10
	v_lshlrev_b32_e32 v11, 3, v0
	s_cmp_lg_u64 s[28:29], s[2:3]
	s_cselect_b32 s6, -1, 0
	global_load_b32 v1, v2, s[22:23] offset:14
	s_sub_u32 s14, s12, s16
	s_subb_u32 s15, s25, s17
	s_delay_alu instid0(SALU_CYCLE_1) | instskip(NEXT) | instid1(VALU_DEP_1)
	v_cmp_lt_u64_e64 s7, s[4:5], s[14:15]
	s_and_b32 s7, s7, exec_lo
	s_cselect_b32 s30, s4, s14
	s_cselect_b32 s31, s5, s15
	s_lshl_b64 s[14:15], s[16:17], 3
	s_sub_i32 s5, s18, s16
	s_sub_i32 s16, s26, s30
	s_add_u32 s12, s8, s14
	s_addc_u32 s14, s9, s15
	s_lshl_b64 s[26:27], s[30:31], 3
	s_delay_alu instid0(SALU_CYCLE_1) | instskip(SKIP_3) | instid1(SALU_CYCLE_1)
	s_add_u32 s8, s8, s26
	s_addc_u32 s9, s9, s27
	s_cmp_lt_u32 s13, s24
	s_cselect_b32 s7, 12, 18
	s_add_u32 s22, s22, s7
	s_addc_u32 s23, s23, 0
	s_cmp_eq_u64 s[28:29], s[2:3]
	s_waitcnt vmcnt(0)
	v_lshrrev_b32_e32 v4, 16, v1
	v_and_b32_e32 v1, 0xffff, v1
	global_load_u16 v3, v2, s[22:23]
	v_mul_lo_u32 v1, v1, v4
	s_waitcnt vmcnt(0)
	s_delay_alu instid0(VALU_DEP_1)
	v_mul_lo_u32 v7, v1, v3
	s_cbranch_scc1 .LBB32_5
; %bb.4:
	v_subrev_nc_u32_e32 v1, s5, v0
	v_add_co_u32 v8, s2, s12, v11
	s_delay_alu instid0(VALU_DEP_1) | instskip(NEXT) | instid1(VALU_DEP_3)
	v_add_co_ci_u32_e64 v9, null, s14, 0, s2
	v_lshlrev_b64 v[3:4], 3, v[1:2]
	v_add_nc_u32_e32 v1, v7, v0
	s_add_i32 s7, s5, s16
	s_delay_alu instid0(VALU_DEP_1) | instskip(NEXT) | instid1(VALU_DEP_3)
	v_lshlrev_b64 v[5:6], 3, v[1:2]
	v_add_co_u32 v3, s2, s8, v3
	s_delay_alu instid0(VALU_DEP_1) | instskip(SKIP_1) | instid1(VALU_DEP_4)
	v_add_co_ci_u32_e64 v4, s2, s9, v4, s2
	v_cmp_gt_u32_e64 s2, s5, v0
	v_add_co_u32 v5, vcc_lo, s12, v5
	v_add_co_ci_u32_e32 v6, vcc_lo, s14, v6, vcc_lo
	v_cmp_gt_u32_e32 vcc_lo, s5, v1
	v_subrev_nc_u32_e32 v1, s5, v1
	s_delay_alu instid0(VALU_DEP_1) | instskip(NEXT) | instid1(VALU_DEP_1)
	v_lshlrev_b64 v[1:2], 3, v[1:2]
	v_add_co_u32 v10, s3, s8, v1
	s_delay_alu instid0(VALU_DEP_1) | instskip(SKIP_2) | instid1(VALU_DEP_3)
	v_add_co_ci_u32_e64 v12, s3, s9, v2, s3
	v_cndmask_b32_e64 v2, v4, v9, s2
	v_cndmask_b32_e64 v1, v3, v8, s2
	v_dual_cndmask_b32 v3, v10, v5 :: v_dual_cndmask_b32 v4, v12, v6
	global_load_b64 v[1:2], v[1:2], off
	global_load_b64 v[5:6], v[3:4], off
	s_cbranch_execz .LBB32_6
	s_branch .LBB32_11
.LBB32_5:
                                        ; implicit-def: $vgpr5_vgpr6
                                        ; implicit-def: $sgpr7
                                        ; implicit-def: $vgpr1_vgpr2_vgpr3_vgpr4
	s_and_not1_b32 vcc_lo, exec_lo, s19
	s_cbranch_vccnz .LBB32_11
.LBB32_6:
	s_add_i32 s7, s5, s16
	s_mov_b32 s2, exec_lo
                                        ; implicit-def: $vgpr1_vgpr2
	v_cmpx_gt_u32_e64 s7, v0
	s_cbranch_execz .LBB32_8
; %bb.7:
	s_waitcnt vmcnt(1)
	v_subrev_nc_u32_e32 v1, s5, v0
	v_add_co_u32 v3, s3, s12, v11
	v_mov_b32_e32 v2, 0
	v_add_co_ci_u32_e64 v4, null, s14, 0, s3
	s_delay_alu instid0(VALU_DEP_2) | instskip(NEXT) | instid1(VALU_DEP_1)
	v_lshlrev_b64 v[1:2], 3, v[1:2]
	v_add_co_u32 v1, vcc_lo, s8, v1
	s_delay_alu instid0(VALU_DEP_2) | instskip(SKIP_1) | instid1(VALU_DEP_2)
	v_add_co_ci_u32_e32 v2, vcc_lo, s9, v2, vcc_lo
	v_cmp_gt_u32_e32 vcc_lo, s5, v0
	v_dual_cndmask_b32 v1, v1, v3 :: v_dual_cndmask_b32 v2, v2, v4
	global_load_b64 v[1:2], v[1:2], off
.LBB32_8:
	s_or_b32 exec_lo, exec_lo, s2
	v_add_nc_u32_e32 v7, v7, v0
	s_mov_b32 s3, exec_lo
	s_delay_alu instid0(VALU_DEP_1)
	v_cmpx_gt_u32_e64 s7, v7
                                        ; implicit-def: $vgpr3_vgpr4_vgpr5_vgpr6
	s_cbranch_execz .LBB32_10
; %bb.9:
	v_mov_b32_e32 v8, 0
	s_delay_alu instid0(VALU_DEP_1) | instskip(SKIP_1) | instid1(VALU_DEP_1)
	v_lshlrev_b64 v[3:4], 3, v[7:8]
	s_waitcnt vmcnt(0)
	v_add_co_u32 v5, vcc_lo, s12, v3
	s_delay_alu instid0(VALU_DEP_2) | instskip(SKIP_2) | instid1(VALU_DEP_1)
	v_add_co_ci_u32_e32 v6, vcc_lo, s14, v4, vcc_lo
	v_cmp_gt_u32_e32 vcc_lo, s5, v7
	v_subrev_nc_u32_e32 v7, s5, v7
	v_lshlrev_b64 v[3:4], 3, v[7:8]
	s_delay_alu instid0(VALU_DEP_1) | instskip(NEXT) | instid1(VALU_DEP_1)
	v_add_co_u32 v3, s2, s8, v3
	v_add_co_ci_u32_e64 v4, s2, s9, v4, s2
	s_delay_alu instid0(VALU_DEP_1)
	v_dual_cndmask_b32 v3, v3, v5 :: v_dual_cndmask_b32 v4, v4, v6
	global_load_b64 v[5:6], v[3:4], off
.LBB32_10:
	s_or_b32 exec_lo, exec_lo, s3
.LBB32_11:
	s_load_b128 s[12:15], s[0:1], 0x40
	v_lshlrev_b32_e32 v12, 1, v0
	s_mov_b32 s1, exec_lo
	s_waitcnt vmcnt(0)
	ds_store_2addr_stride64_b64 v11, v[1:2], v[5:6] offset1:8
	s_waitcnt lgkmcnt(0)
	s_barrier
	v_min_u32_e32 v9, s7, v12
	buffer_gl0_inv
	v_sub_nc_u32_e64 v13, v9, s16 clamp
	v_min_u32_e32 v10, s5, v9
	s_delay_alu instid0(VALU_DEP_1)
	v_cmpx_lt_u32_e64 v13, v10
	s_cbranch_execz .LBB32_21
; %bb.12:
	v_lshlrev_b32_e32 v3, 3, v9
	v_cmp_gt_i64_e64 s8, s[12:13], 0
	s_mov_b32 s9, 0
	s_delay_alu instid0(VALU_DEP_2)
	v_lshl_add_u32 v14, s5, 3, v3
	s_branch .LBB32_15
.LBB32_13:                              ;   in Loop: Header=BB32_15 Depth=1
	s_or_b32 exec_lo, exec_lo, s16
.LBB32_14:                              ;   in Loop: Header=BB32_15 Depth=1
	s_delay_alu instid0(VALU_DEP_1) | instskip(SKIP_1) | instid1(VALU_DEP_2)
	v_add_nc_u32_e32 v3, 1, v15
	v_cndmask_b32_e64 v10, v10, v15, s17
	v_cndmask_b32_e64 v13, v3, v13, s17
	s_delay_alu instid0(VALU_DEP_1) | instskip(SKIP_1) | instid1(SALU_CYCLE_1)
	v_cmp_ge_u32_e32 vcc_lo, v13, v10
	s_or_b32 s9, vcc_lo, s9
	s_and_not1_b32 exec_lo, exec_lo, s9
	s_cbranch_execz .LBB32_20
.LBB32_15:                              ; =>This Loop Header: Depth=1
                                        ;     Child Loop BB32_18 Depth 2
	v_add_nc_u32_e32 v3, v10, v13
	s_delay_alu instid0(VALU_DEP_3) | instskip(SKIP_1) | instid1(VALU_DEP_1)
	s_and_not1_b32 vcc_lo, exec_lo, s8
	s_mov_b32 s17, 0
	v_lshrrev_b32_e32 v15, 1, v3
	s_cbranch_vccnz .LBB32_14
; %bb.16:                               ;   in Loop: Header=BB32_15 Depth=1
	s_delay_alu instid0(VALU_DEP_1) | instskip(SKIP_3) | instid1(VALU_DEP_2)
	v_not_b32_e32 v3, v15
	v_lshlrev_b32_e32 v4, 3, v15
	s_mov_b32 s16, 0
	s_mov_b64 s[2:3], s[12:13]
                                        ; implicit-def: $sgpr17
                                        ; implicit-def: $sgpr18
                                        ; implicit-def: $sgpr19
                                        ; implicit-def: $sgpr22
                                        ; implicit-def: $sgpr23
	v_lshl_add_u32 v3, v3, 3, v14
	ds_load_b64 v[7:8], v3
	ds_load_b64 v[16:17], v4
	s_waitcnt lgkmcnt(1)
	v_mul_lo_u32 v18, v7, s13
	v_mul_lo_u32 v19, v8, s12
	v_mad_u64_u32 v[3:4], null, v7, s12, s[14:15]
	s_waitcnt lgkmcnt(0)
	v_mul_lo_u32 v20, v16, s13
	v_mul_lo_u32 v17, v17, s12
	v_mad_u64_u32 v[7:8], null, v16, s12, s[14:15]
	s_delay_alu instid0(VALU_DEP_4) | instskip(NEXT) | instid1(VALU_DEP_2)
	v_add3_u32 v4, v19, v4, v18
	v_add3_u32 v8, v17, v8, v20
	s_branch .LBB32_18
.LBB32_17:                              ;   in Loop: Header=BB32_18 Depth=2
	s_or_b32 exec_lo, exec_lo, s0
	s_delay_alu instid0(SALU_CYCLE_1) | instskip(NEXT) | instid1(SALU_CYCLE_1)
	s_and_b32 s0, exec_lo, s18
	s_or_b32 s16, s0, s16
	s_and_not1_b32 s0, s23, exec_lo
	s_and_b32 s23, s19, exec_lo
	s_and_not1_b32 s17, s17, exec_lo
	s_and_b32 s24, s22, exec_lo
	s_or_b32 s23, s0, s23
	s_or_b32 s17, s17, s24
	s_and_not1_b32 exec_lo, exec_lo, s16
	s_cbranch_execz .LBB32_13
.LBB32_18:                              ;   Parent Loop BB32_15 Depth=1
                                        ; =>  This Inner Loop Header: Depth=2
	global_load_u8 v16, v[3:4], off
	global_load_u8 v17, v[7:8], off
	s_and_not1_b32 s22, s22, exec_lo
	s_and_not1_b32 s19, s19, exec_lo
	s_or_b32 s18, s18, exec_lo
	s_waitcnt vmcnt(1)
	v_and_b32_e32 v16, 0xff, v16
	s_waitcnt vmcnt(0)
	v_and_b32_e32 v17, 0xff, v17
	s_delay_alu instid0(VALU_DEP_1)
	v_cmp_le_u16_e32 vcc_lo, v16, v17
	v_cmp_lt_u16_e64 s0, v16, v17
	s_and_b32 s24, vcc_lo, s23
	s_delay_alu instid0(VALU_DEP_1) | instid1(SALU_CYCLE_1)
	s_or_b32 s24, s0, s24
	s_delay_alu instid0(SALU_CYCLE_1) | instskip(NEXT) | instid1(SALU_CYCLE_1)
	s_and_b32 s0, s24, exec_lo
	s_or_b32 s22, s22, s0
	s_mov_b32 s0, exec_lo
	v_cmpx_eq_u16_e64 v16, v17
	s_cbranch_execz .LBB32_17
; %bb.19:                               ;   in Loop: Header=BB32_18 Depth=2
	s_add_u32 s2, s2, -1
	s_addc_u32 s3, s3, -1
	v_add_co_u32 v3, vcc_lo, v3, 1
	v_add_co_ci_u32_e32 v4, vcc_lo, 0, v4, vcc_lo
	s_cmp_eq_u64 s[2:3], 0
	v_add_co_u32 v7, vcc_lo, v7, 1
	s_cselect_b32 s23, -1, 0
	v_add_co_ci_u32_e32 v8, vcc_lo, 0, v8, vcc_lo
	s_and_not1_b32 s19, s19, exec_lo
	s_and_b32 s24, s24, exec_lo
	s_and_not1_b32 s18, s18, exec_lo
	s_and_b32 s23, s23, exec_lo
	s_and_not1_b32 s22, s22, exec_lo
	s_or_b32 s19, s19, s24
	s_or_b32 s18, s18, s23
                                        ; implicit-def: $sgpr23
	s_branch .LBB32_17
.LBB32_20:
	s_or_b32 exec_lo, exec_lo, s9
.LBB32_21:
	s_delay_alu instid0(SALU_CYCLE_1) | instskip(SKIP_2) | instid1(VALU_DEP_2)
	s_or_b32 exec_lo, exec_lo, s1
	v_sub_nc_u32_e32 v3, v9, v13
	v_cmp_ge_u32_e32 vcc_lo, s5, v13
	v_add_nc_u32_e32 v14, s5, v3
	s_delay_alu instid0(VALU_DEP_1) | instskip(NEXT) | instid1(VALU_DEP_1)
	v_cmp_ge_u32_e64 s0, s7, v14
	s_or_b32 s0, vcc_lo, s0
	s_delay_alu instid0(SALU_CYCLE_1)
	s_and_saveexec_b32 s1, s0
	s_cbranch_execz .LBB32_45
; %bb.22:
	v_cmp_le_u32_e32 vcc_lo, s5, v13
	s_mov_b32 s2, exec_lo
                                        ; implicit-def: $vgpr3_vgpr4
	v_cmpx_gt_u32_e64 s5, v13
	s_cbranch_execz .LBB32_24
; %bb.23:
	v_lshlrev_b32_e32 v1, 3, v13
	ds_load_b64 v[3:4], v1
.LBB32_24:
	s_or_b32 exec_lo, exec_lo, s2
	v_cmp_le_u32_e64 s8, s7, v14
	s_mov_b32 s2, exec_lo
                                        ; implicit-def: $vgpr7_vgpr8
	v_cmpx_gt_u32_e64 s7, v14
	s_cbranch_execz .LBB32_26
; %bb.25:
	v_lshlrev_b32_e32 v1, 3, v14
	ds_load_b64 v[7:8], v1
.LBB32_26:
	s_or_b32 exec_lo, exec_lo, s2
	v_cmp_gt_i64_e64 s9, s[12:13], 0
	s_or_b32 s2, vcc_lo, s8
	s_mov_b32 s0, -1
	s_xor_b32 s2, s2, -1
	s_delay_alu instid0(SALU_CYCLE_1)
	s_and_saveexec_b32 s16, s2
	s_cbranch_execz .LBB32_34
; %bb.27:
	s_and_not1_b32 vcc_lo, exec_lo, s9
	s_cbranch_vccnz .LBB32_33
; %bb.28:
	s_waitcnt lgkmcnt(0)
	v_mad_u64_u32 v[1:2], null, v7, s12, s[14:15]
	v_mul_lo_u32 v9, v7, s13
	v_mul_lo_u32 v10, v8, s12
	v_mad_u64_u32 v[5:6], null, v3, s12, s[14:15]
	v_mul_lo_u32 v15, v3, s13
	v_mul_lo_u32 v16, v4, s12
	s_mov_b32 s17, 0
	s_mov_b64 s[2:3], s[12:13]
                                        ; implicit-def: $sgpr18
                                        ; implicit-def: $sgpr19
                                        ; implicit-def: $sgpr22
                                        ; implicit-def: $sgpr23
                                        ; implicit-def: $sgpr24
	s_delay_alu instid0(VALU_DEP_4) | instskip(NEXT) | instid1(VALU_DEP_2)
	v_add3_u32 v2, v10, v2, v9
	v_add3_u32 v6, v16, v6, v15
	s_branch .LBB32_30
.LBB32_29:                              ;   in Loop: Header=BB32_30 Depth=1
	s_or_b32 exec_lo, exec_lo, s0
	s_delay_alu instid0(SALU_CYCLE_1) | instskip(NEXT) | instid1(SALU_CYCLE_1)
	s_and_b32 s0, exec_lo, s19
	s_or_b32 s17, s0, s17
	s_and_not1_b32 s0, s24, exec_lo
	s_and_b32 s24, s23, exec_lo
	s_and_not1_b32 s18, s18, exec_lo
	s_and_b32 s25, s22, exec_lo
	s_or_b32 s24, s0, s24
	s_or_b32 s18, s18, s25
	s_and_not1_b32 exec_lo, exec_lo, s17
	s_cbranch_execz .LBB32_32
.LBB32_30:                              ; =>This Inner Loop Header: Depth=1
	global_load_u8 v9, v[1:2], off
	global_load_u8 v10, v[5:6], off
	s_and_not1_b32 s22, s22, exec_lo
	s_and_not1_b32 s23, s23, exec_lo
	s_or_b32 s19, s19, exec_lo
	s_waitcnt vmcnt(1)
	v_and_b32_e32 v9, 0xff, v9
	s_waitcnt vmcnt(0)
	v_and_b32_e32 v10, 0xff, v10
	s_delay_alu instid0(VALU_DEP_1)
	v_cmp_le_u16_e32 vcc_lo, v9, v10
	v_cmp_lt_u16_e64 s0, v9, v10
	s_and_b32 s25, vcc_lo, s24
	s_delay_alu instid0(VALU_DEP_1) | instid1(SALU_CYCLE_1)
	s_or_b32 s25, s0, s25
	s_delay_alu instid0(SALU_CYCLE_1) | instskip(NEXT) | instid1(SALU_CYCLE_1)
	s_and_b32 s0, s25, exec_lo
	s_or_b32 s22, s22, s0
	s_mov_b32 s0, exec_lo
	v_cmpx_eq_u16_e64 v9, v10
	s_cbranch_execz .LBB32_29
; %bb.31:                               ;   in Loop: Header=BB32_30 Depth=1
	s_add_u32 s2, s2, -1
	s_addc_u32 s3, s3, -1
	v_add_co_u32 v1, vcc_lo, v1, 1
	s_cmp_eq_u64 s[2:3], 0
	v_add_co_ci_u32_e32 v2, vcc_lo, 0, v2, vcc_lo
	v_add_co_u32 v5, vcc_lo, v5, 1
	s_cselect_b32 s24, -1, 0
	v_add_co_ci_u32_e32 v6, vcc_lo, 0, v6, vcc_lo
	s_and_not1_b32 s23, s23, exec_lo
	s_and_b32 s25, s25, exec_lo
	s_and_not1_b32 s19, s19, exec_lo
	s_and_b32 s24, s24, exec_lo
	s_or_b32 s23, s23, s25
	s_and_not1_b32 s22, s22, exec_lo
	s_or_b32 s19, s19, s24
                                        ; implicit-def: $sgpr24
	s_branch .LBB32_29
.LBB32_32:
	s_or_b32 exec_lo, exec_lo, s17
	s_xor_b32 s0, s18, -1
.LBB32_33:
	s_and_not1_b32 s2, s8, exec_lo
	s_and_b32 s0, s0, exec_lo
	s_delay_alu instid0(SALU_CYCLE_1)
	s_or_b32 s8, s2, s0
.LBB32_34:
	s_or_b32 exec_lo, exec_lo, s16
	v_mov_b32_e32 v1, s5
	v_cndmask_b32_e64 v2, v14, v13, s8
	s_mov_b32 s2, exec_lo
	s_delay_alu instid0(VALU_DEP_2) | instskip(NEXT) | instid1(VALU_DEP_2)
	v_cndmask_b32_e64 v1, s7, v1, s8
	v_add_nc_u32_e32 v15, 1, v2
	s_waitcnt lgkmcnt(0)
	v_cndmask_b32_e64 v2, v8, v4, s8
	s_delay_alu instid0(VALU_DEP_3) | instskip(NEXT) | instid1(VALU_DEP_3)
	v_add_nc_u32_e32 v1, -1, v1
	v_cndmask_b32_e64 v14, v15, v14, s8
	s_delay_alu instid0(VALU_DEP_2) | instskip(NEXT) | instid1(VALU_DEP_1)
	v_min_u32_e32 v1, v15, v1
	v_lshlrev_b32_e32 v1, 3, v1
	ds_load_b64 v[9:10], v1
	v_cndmask_b32_e64 v1, v7, v3, s8
	s_waitcnt lgkmcnt(0)
	v_cndmask_b32_e64 v6, v4, v10, s8
	v_cndmask_b32_e64 v5, v3, v9, s8
	v_cmpx_gt_u32_e64 s7, v14
	s_cbranch_execz .LBB32_44
; %bb.35:
	v_cndmask_b32_e64 v13, v13, v15, s8
	v_cndmask_b32_e64 v4, v10, v8, s8
	;; [unrolled: 1-line block ×3, first 2 shown]
	s_mov_b32 s3, exec_lo
	s_delay_alu instid0(VALU_DEP_3)
	v_cmpx_gt_u32_e64 s5, v13
	s_cbranch_execz .LBB32_43
; %bb.36:
	s_and_not1_b32 vcc_lo, exec_lo, s9
	s_cbranch_vccnz .LBB32_42
; %bb.37:
	v_mad_u64_u32 v[7:8], null, v3, s12, s[14:15]
	v_mul_lo_u32 v13, v3, s13
	v_mul_lo_u32 v14, v4, s12
	v_mad_u64_u32 v[9:10], null, v5, s12, s[14:15]
	v_mul_lo_u32 v15, v5, s13
	v_mul_lo_u32 v16, v6, s12
	s_mov_b32 s5, 0
                                        ; implicit-def: $sgpr7
                                        ; implicit-def: $sgpr8
                                        ; implicit-def: $sgpr9
                                        ; implicit-def: $sgpr14
                                        ; implicit-def: $sgpr15
	s_delay_alu instid0(VALU_DEP_4) | instskip(NEXT) | instid1(VALU_DEP_2)
	v_add3_u32 v8, v14, v8, v13
	v_add3_u32 v10, v16, v10, v15
	s_branch .LBB32_39
.LBB32_38:                              ;   in Loop: Header=BB32_39 Depth=1
	s_or_b32 exec_lo, exec_lo, s0
	s_delay_alu instid0(SALU_CYCLE_1) | instskip(NEXT) | instid1(SALU_CYCLE_1)
	s_and_b32 s0, exec_lo, s8
	s_or_b32 s5, s0, s5
	s_and_not1_b32 s0, s15, exec_lo
	s_and_b32 s15, s14, exec_lo
	s_and_not1_b32 s7, s7, exec_lo
	s_and_b32 s16, s9, exec_lo
	s_or_b32 s15, s0, s15
	s_or_b32 s7, s7, s16
	s_and_not1_b32 exec_lo, exec_lo, s5
	s_cbranch_execz .LBB32_41
.LBB32_39:                              ; =>This Inner Loop Header: Depth=1
	global_load_u8 v13, v[7:8], off
	global_load_u8 v14, v[9:10], off
	s_and_not1_b32 s9, s9, exec_lo
	s_and_not1_b32 s14, s14, exec_lo
	s_or_b32 s8, s8, exec_lo
	s_waitcnt vmcnt(1)
	v_and_b32_e32 v13, 0xff, v13
	s_waitcnt vmcnt(0)
	v_and_b32_e32 v14, 0xff, v14
	s_delay_alu instid0(VALU_DEP_1)
	v_cmp_le_u16_e32 vcc_lo, v13, v14
	v_cmp_lt_u16_e64 s0, v13, v14
	s_and_b32 s16, vcc_lo, s15
	s_delay_alu instid0(VALU_DEP_1) | instid1(SALU_CYCLE_1)
	s_or_b32 s16, s0, s16
	s_delay_alu instid0(SALU_CYCLE_1) | instskip(NEXT) | instid1(SALU_CYCLE_1)
	s_and_b32 s0, s16, exec_lo
	s_or_b32 s9, s9, s0
	s_mov_b32 s0, exec_lo
	v_cmpx_eq_u16_e64 v13, v14
	s_cbranch_execz .LBB32_38
; %bb.40:                               ;   in Loop: Header=BB32_39 Depth=1
	s_add_u32 s12, s12, -1
	s_addc_u32 s13, s13, -1
	v_add_co_u32 v7, vcc_lo, v7, 1
	s_cmp_eq_u64 s[12:13], 0
	v_add_co_ci_u32_e32 v8, vcc_lo, 0, v8, vcc_lo
	v_add_co_u32 v9, vcc_lo, v9, 1
	s_cselect_b32 s15, -1, 0
	v_add_co_ci_u32_e32 v10, vcc_lo, 0, v10, vcc_lo
	s_and_not1_b32 s14, s14, exec_lo
	s_and_b32 s16, s16, exec_lo
	s_and_not1_b32 s8, s8, exec_lo
	s_and_b32 s15, s15, exec_lo
	s_or_b32 s14, s14, s16
	s_and_not1_b32 s9, s9, exec_lo
	s_or_b32 s8, s8, s15
                                        ; implicit-def: $sgpr15
	s_branch .LBB32_38
.LBB32_41:
	s_or_b32 exec_lo, exec_lo, s5
	v_cndmask_b32_e64 v6, v6, v4, s7
	v_cndmask_b32_e64 v5, v5, v3, s7
.LBB32_42:
	s_delay_alu instid0(VALU_DEP_1)
	v_dual_mov_b32 v3, v5 :: v_dual_mov_b32 v4, v6
.LBB32_43:
	s_or_b32 exec_lo, exec_lo, s3
	s_delay_alu instid0(VALU_DEP_1)
	v_dual_mov_b32 v6, v4 :: v_dual_mov_b32 v5, v3
.LBB32_44:
	s_or_b32 exec_lo, exec_lo, s2
.LBB32_45:
	s_delay_alu instid0(SALU_CYCLE_1) | instskip(SKIP_4) | instid1(VALU_DEP_3)
	s_or_b32 exec_lo, exec_lo, s1
	v_lshrrev_b32_e32 v3, 1, v0
	v_or_b32_e32 v7, 0x200, v0
	v_lshrrev_b32_e32 v4, 2, v0
	s_lshl_b64 s[0:1], s[20:21], 3
	v_and_b32_e32 v3, 0xf8, v3
	s_delay_alu instid0(VALU_DEP_3) | instskip(NEXT) | instid1(VALU_DEP_3)
	v_lshrrev_b32_e32 v8, 2, v7
	v_and_b32_e32 v4, 0x78, v4
	s_add_u32 s0, s10, s0
	s_barrier
	v_lshl_add_u32 v3, v12, 3, v3
	v_and_b32_e32 v8, 0xf8, v8
	buffer_gl0_inv
	s_barrier
	buffer_gl0_inv
	s_addc_u32 s1, s11, s1
	ds_store_2addr_b64 v3, v[1:2], v[5:6] offset1:1
	v_add_co_u32 v1, s0, s0, v11
	v_add_nc_u32_e32 v5, v11, v4
	v_add_nc_u32_e32 v6, v11, v8
	v_add_co_ci_u32_e64 v2, null, s1, 0, s0
	s_and_b32 vcc_lo, exec_lo, s6
	s_mov_b32 s0, 0
	s_waitcnt lgkmcnt(0)
	s_cbranch_vccz .LBB32_47
; %bb.46:
	s_barrier
	buffer_gl0_inv
	ds_load_b64 v[8:9], v5
	ds_load_b64 v[3:4], v6 offset:4096
	s_mov_b32 s0, -1
	s_waitcnt lgkmcnt(1)
	global_store_b64 v[1:2], v[8:9], off
	s_cbranch_execz .LBB32_48
	s_branch .LBB32_51
.LBB32_47:
                                        ; implicit-def: $vgpr3_vgpr4
.LBB32_48:
	s_waitcnt lgkmcnt(0)
	s_waitcnt_vscnt null, 0x0
	s_barrier
	buffer_gl0_inv
	ds_load_b64 v[3:4], v6 offset:4096
	s_sub_i32 s0, s4, s20
	s_mov_b32 s1, exec_lo
	v_cmpx_gt_u32_e64 s0, v0
	s_cbranch_execz .LBB32_50
; %bb.49:
	ds_load_b64 v[5:6], v5
	s_waitcnt lgkmcnt(0)
	global_store_b64 v[1:2], v[5:6], off
.LBB32_50:
	s_or_b32 exec_lo, exec_lo, s1
	v_cmp_gt_u32_e64 s0, s0, v7
.LBB32_51:
	s_delay_alu instid0(VALU_DEP_1)
	s_and_saveexec_b32 s1, s0
	s_cbranch_execz .LBB32_53
; %bb.52:
	v_add_co_u32 v0, vcc_lo, 0x1000, v1
	v_add_co_ci_u32_e32 v1, vcc_lo, 0, v2, vcc_lo
	s_waitcnt lgkmcnt(0)
	global_store_b64 v[0:1], v[3:4], off
.LBB32_53:
	s_nop 0
	s_sendmsg sendmsg(MSG_DEALLOC_VGPRS)
	s_endpgm
	.section	.rodata,"a",@progbits
	.p2align	6, 0x0
	.amdhsa_kernel _ZN7rocprim17ROCPRIM_400000_NS6detail17trampoline_kernelINS0_14default_configENS1_38merge_sort_block_merge_config_selectorIlNS0_10empty_typeEEEZZNS1_27merge_sort_block_merge_implIS3_PlPS5_mZN2at6native12_GLOBAL__N_124unique_dim_cuda_templateIhEESt5tupleIJNSA_6TensorESF_SF_EERKSF_lbbbEUlllE_EE10hipError_tT0_T1_T2_jT3_P12ihipStream_tbPNSt15iterator_traitsISL_E10value_typeEPNSR_ISM_E10value_typeEPSN_NS1_7vsmem_tEENKUlT_SL_SM_SN_E_clIS8_S8_S9_S9_EESK_S10_SL_SM_SN_EUlS10_E0_NS1_11comp_targetILNS1_3genE9ELNS1_11target_archE1100ELNS1_3gpuE3ELNS1_3repE0EEENS1_38merge_mergepath_config_static_selectorELNS0_4arch9wavefront6targetE0EEEvSM_
		.amdhsa_group_segment_fixed_size 8448
		.amdhsa_private_segment_fixed_size 0
		.amdhsa_kernarg_size 344
		.amdhsa_user_sgpr_count 13
		.amdhsa_user_sgpr_dispatch_ptr 0
		.amdhsa_user_sgpr_queue_ptr 0
		.amdhsa_user_sgpr_kernarg_segment_ptr 1
		.amdhsa_user_sgpr_dispatch_id 0
		.amdhsa_user_sgpr_private_segment_size 0
		.amdhsa_wavefront_size32 1
		.amdhsa_uses_dynamic_stack 0
		.amdhsa_enable_private_segment 0
		.amdhsa_system_sgpr_workgroup_id_x 1
		.amdhsa_system_sgpr_workgroup_id_y 1
		.amdhsa_system_sgpr_workgroup_id_z 1
		.amdhsa_system_sgpr_workgroup_info 0
		.amdhsa_system_vgpr_workitem_id 0
		.amdhsa_next_free_vgpr 21
		.amdhsa_next_free_sgpr 34
		.amdhsa_reserve_vcc 1
		.amdhsa_float_round_mode_32 0
		.amdhsa_float_round_mode_16_64 0
		.amdhsa_float_denorm_mode_32 3
		.amdhsa_float_denorm_mode_16_64 3
		.amdhsa_dx10_clamp 1
		.amdhsa_ieee_mode 1
		.amdhsa_fp16_overflow 0
		.amdhsa_workgroup_processor_mode 1
		.amdhsa_memory_ordered 1
		.amdhsa_forward_progress 0
		.amdhsa_shared_vgpr_count 0
		.amdhsa_exception_fp_ieee_invalid_op 0
		.amdhsa_exception_fp_denorm_src 0
		.amdhsa_exception_fp_ieee_div_zero 0
		.amdhsa_exception_fp_ieee_overflow 0
		.amdhsa_exception_fp_ieee_underflow 0
		.amdhsa_exception_fp_ieee_inexact 0
		.amdhsa_exception_int_div_zero 0
	.end_amdhsa_kernel
	.section	.text._ZN7rocprim17ROCPRIM_400000_NS6detail17trampoline_kernelINS0_14default_configENS1_38merge_sort_block_merge_config_selectorIlNS0_10empty_typeEEEZZNS1_27merge_sort_block_merge_implIS3_PlPS5_mZN2at6native12_GLOBAL__N_124unique_dim_cuda_templateIhEESt5tupleIJNSA_6TensorESF_SF_EERKSF_lbbbEUlllE_EE10hipError_tT0_T1_T2_jT3_P12ihipStream_tbPNSt15iterator_traitsISL_E10value_typeEPNSR_ISM_E10value_typeEPSN_NS1_7vsmem_tEENKUlT_SL_SM_SN_E_clIS8_S8_S9_S9_EESK_S10_SL_SM_SN_EUlS10_E0_NS1_11comp_targetILNS1_3genE9ELNS1_11target_archE1100ELNS1_3gpuE3ELNS1_3repE0EEENS1_38merge_mergepath_config_static_selectorELNS0_4arch9wavefront6targetE0EEEvSM_,"axG",@progbits,_ZN7rocprim17ROCPRIM_400000_NS6detail17trampoline_kernelINS0_14default_configENS1_38merge_sort_block_merge_config_selectorIlNS0_10empty_typeEEEZZNS1_27merge_sort_block_merge_implIS3_PlPS5_mZN2at6native12_GLOBAL__N_124unique_dim_cuda_templateIhEESt5tupleIJNSA_6TensorESF_SF_EERKSF_lbbbEUlllE_EE10hipError_tT0_T1_T2_jT3_P12ihipStream_tbPNSt15iterator_traitsISL_E10value_typeEPNSR_ISM_E10value_typeEPSN_NS1_7vsmem_tEENKUlT_SL_SM_SN_E_clIS8_S8_S9_S9_EESK_S10_SL_SM_SN_EUlS10_E0_NS1_11comp_targetILNS1_3genE9ELNS1_11target_archE1100ELNS1_3gpuE3ELNS1_3repE0EEENS1_38merge_mergepath_config_static_selectorELNS0_4arch9wavefront6targetE0EEEvSM_,comdat
.Lfunc_end32:
	.size	_ZN7rocprim17ROCPRIM_400000_NS6detail17trampoline_kernelINS0_14default_configENS1_38merge_sort_block_merge_config_selectorIlNS0_10empty_typeEEEZZNS1_27merge_sort_block_merge_implIS3_PlPS5_mZN2at6native12_GLOBAL__N_124unique_dim_cuda_templateIhEESt5tupleIJNSA_6TensorESF_SF_EERKSF_lbbbEUlllE_EE10hipError_tT0_T1_T2_jT3_P12ihipStream_tbPNSt15iterator_traitsISL_E10value_typeEPNSR_ISM_E10value_typeEPSN_NS1_7vsmem_tEENKUlT_SL_SM_SN_E_clIS8_S8_S9_S9_EESK_S10_SL_SM_SN_EUlS10_E0_NS1_11comp_targetILNS1_3genE9ELNS1_11target_archE1100ELNS1_3gpuE3ELNS1_3repE0EEENS1_38merge_mergepath_config_static_selectorELNS0_4arch9wavefront6targetE0EEEvSM_, .Lfunc_end32-_ZN7rocprim17ROCPRIM_400000_NS6detail17trampoline_kernelINS0_14default_configENS1_38merge_sort_block_merge_config_selectorIlNS0_10empty_typeEEEZZNS1_27merge_sort_block_merge_implIS3_PlPS5_mZN2at6native12_GLOBAL__N_124unique_dim_cuda_templateIhEESt5tupleIJNSA_6TensorESF_SF_EERKSF_lbbbEUlllE_EE10hipError_tT0_T1_T2_jT3_P12ihipStream_tbPNSt15iterator_traitsISL_E10value_typeEPNSR_ISM_E10value_typeEPSN_NS1_7vsmem_tEENKUlT_SL_SM_SN_E_clIS8_S8_S9_S9_EESK_S10_SL_SM_SN_EUlS10_E0_NS1_11comp_targetILNS1_3genE9ELNS1_11target_archE1100ELNS1_3gpuE3ELNS1_3repE0EEENS1_38merge_mergepath_config_static_selectorELNS0_4arch9wavefront6targetE0EEEvSM_
                                        ; -- End function
	.section	.AMDGPU.csdata,"",@progbits
; Kernel info:
; codeLenInByte = 2800
; NumSgprs: 36
; NumVgprs: 21
; ScratchSize: 0
; MemoryBound: 0
; FloatMode: 240
; IeeeMode: 1
; LDSByteSize: 8448 bytes/workgroup (compile time only)
; SGPRBlocks: 4
; VGPRBlocks: 2
; NumSGPRsForWavesPerEU: 36
; NumVGPRsForWavesPerEU: 21
; Occupancy: 16
; WaveLimiterHint : 1
; COMPUTE_PGM_RSRC2:SCRATCH_EN: 0
; COMPUTE_PGM_RSRC2:USER_SGPR: 13
; COMPUTE_PGM_RSRC2:TRAP_HANDLER: 0
; COMPUTE_PGM_RSRC2:TGID_X_EN: 1
; COMPUTE_PGM_RSRC2:TGID_Y_EN: 1
; COMPUTE_PGM_RSRC2:TGID_Z_EN: 1
; COMPUTE_PGM_RSRC2:TIDIG_COMP_CNT: 0
	.section	.text._ZN7rocprim17ROCPRIM_400000_NS6detail17trampoline_kernelINS0_14default_configENS1_38merge_sort_block_merge_config_selectorIlNS0_10empty_typeEEEZZNS1_27merge_sort_block_merge_implIS3_PlPS5_mZN2at6native12_GLOBAL__N_124unique_dim_cuda_templateIhEESt5tupleIJNSA_6TensorESF_SF_EERKSF_lbbbEUlllE_EE10hipError_tT0_T1_T2_jT3_P12ihipStream_tbPNSt15iterator_traitsISL_E10value_typeEPNSR_ISM_E10value_typeEPSN_NS1_7vsmem_tEENKUlT_SL_SM_SN_E_clIS8_S8_S9_S9_EESK_S10_SL_SM_SN_EUlS10_E0_NS1_11comp_targetILNS1_3genE8ELNS1_11target_archE1030ELNS1_3gpuE2ELNS1_3repE0EEENS1_38merge_mergepath_config_static_selectorELNS0_4arch9wavefront6targetE0EEEvSM_,"axG",@progbits,_ZN7rocprim17ROCPRIM_400000_NS6detail17trampoline_kernelINS0_14default_configENS1_38merge_sort_block_merge_config_selectorIlNS0_10empty_typeEEEZZNS1_27merge_sort_block_merge_implIS3_PlPS5_mZN2at6native12_GLOBAL__N_124unique_dim_cuda_templateIhEESt5tupleIJNSA_6TensorESF_SF_EERKSF_lbbbEUlllE_EE10hipError_tT0_T1_T2_jT3_P12ihipStream_tbPNSt15iterator_traitsISL_E10value_typeEPNSR_ISM_E10value_typeEPSN_NS1_7vsmem_tEENKUlT_SL_SM_SN_E_clIS8_S8_S9_S9_EESK_S10_SL_SM_SN_EUlS10_E0_NS1_11comp_targetILNS1_3genE8ELNS1_11target_archE1030ELNS1_3gpuE2ELNS1_3repE0EEENS1_38merge_mergepath_config_static_selectorELNS0_4arch9wavefront6targetE0EEEvSM_,comdat
	.globl	_ZN7rocprim17ROCPRIM_400000_NS6detail17trampoline_kernelINS0_14default_configENS1_38merge_sort_block_merge_config_selectorIlNS0_10empty_typeEEEZZNS1_27merge_sort_block_merge_implIS3_PlPS5_mZN2at6native12_GLOBAL__N_124unique_dim_cuda_templateIhEESt5tupleIJNSA_6TensorESF_SF_EERKSF_lbbbEUlllE_EE10hipError_tT0_T1_T2_jT3_P12ihipStream_tbPNSt15iterator_traitsISL_E10value_typeEPNSR_ISM_E10value_typeEPSN_NS1_7vsmem_tEENKUlT_SL_SM_SN_E_clIS8_S8_S9_S9_EESK_S10_SL_SM_SN_EUlS10_E0_NS1_11comp_targetILNS1_3genE8ELNS1_11target_archE1030ELNS1_3gpuE2ELNS1_3repE0EEENS1_38merge_mergepath_config_static_selectorELNS0_4arch9wavefront6targetE0EEEvSM_ ; -- Begin function _ZN7rocprim17ROCPRIM_400000_NS6detail17trampoline_kernelINS0_14default_configENS1_38merge_sort_block_merge_config_selectorIlNS0_10empty_typeEEEZZNS1_27merge_sort_block_merge_implIS3_PlPS5_mZN2at6native12_GLOBAL__N_124unique_dim_cuda_templateIhEESt5tupleIJNSA_6TensorESF_SF_EERKSF_lbbbEUlllE_EE10hipError_tT0_T1_T2_jT3_P12ihipStream_tbPNSt15iterator_traitsISL_E10value_typeEPNSR_ISM_E10value_typeEPSN_NS1_7vsmem_tEENKUlT_SL_SM_SN_E_clIS8_S8_S9_S9_EESK_S10_SL_SM_SN_EUlS10_E0_NS1_11comp_targetILNS1_3genE8ELNS1_11target_archE1030ELNS1_3gpuE2ELNS1_3repE0EEENS1_38merge_mergepath_config_static_selectorELNS0_4arch9wavefront6targetE0EEEvSM_
	.p2align	8
	.type	_ZN7rocprim17ROCPRIM_400000_NS6detail17trampoline_kernelINS0_14default_configENS1_38merge_sort_block_merge_config_selectorIlNS0_10empty_typeEEEZZNS1_27merge_sort_block_merge_implIS3_PlPS5_mZN2at6native12_GLOBAL__N_124unique_dim_cuda_templateIhEESt5tupleIJNSA_6TensorESF_SF_EERKSF_lbbbEUlllE_EE10hipError_tT0_T1_T2_jT3_P12ihipStream_tbPNSt15iterator_traitsISL_E10value_typeEPNSR_ISM_E10value_typeEPSN_NS1_7vsmem_tEENKUlT_SL_SM_SN_E_clIS8_S8_S9_S9_EESK_S10_SL_SM_SN_EUlS10_E0_NS1_11comp_targetILNS1_3genE8ELNS1_11target_archE1030ELNS1_3gpuE2ELNS1_3repE0EEENS1_38merge_mergepath_config_static_selectorELNS0_4arch9wavefront6targetE0EEEvSM_,@function
_ZN7rocprim17ROCPRIM_400000_NS6detail17trampoline_kernelINS0_14default_configENS1_38merge_sort_block_merge_config_selectorIlNS0_10empty_typeEEEZZNS1_27merge_sort_block_merge_implIS3_PlPS5_mZN2at6native12_GLOBAL__N_124unique_dim_cuda_templateIhEESt5tupleIJNSA_6TensorESF_SF_EERKSF_lbbbEUlllE_EE10hipError_tT0_T1_T2_jT3_P12ihipStream_tbPNSt15iterator_traitsISL_E10value_typeEPNSR_ISM_E10value_typeEPSN_NS1_7vsmem_tEENKUlT_SL_SM_SN_E_clIS8_S8_S9_S9_EESK_S10_SL_SM_SN_EUlS10_E0_NS1_11comp_targetILNS1_3genE8ELNS1_11target_archE1030ELNS1_3gpuE2ELNS1_3repE0EEENS1_38merge_mergepath_config_static_selectorELNS0_4arch9wavefront6targetE0EEEvSM_: ; @_ZN7rocprim17ROCPRIM_400000_NS6detail17trampoline_kernelINS0_14default_configENS1_38merge_sort_block_merge_config_selectorIlNS0_10empty_typeEEEZZNS1_27merge_sort_block_merge_implIS3_PlPS5_mZN2at6native12_GLOBAL__N_124unique_dim_cuda_templateIhEESt5tupleIJNSA_6TensorESF_SF_EERKSF_lbbbEUlllE_EE10hipError_tT0_T1_T2_jT3_P12ihipStream_tbPNSt15iterator_traitsISL_E10value_typeEPNSR_ISM_E10value_typeEPSN_NS1_7vsmem_tEENKUlT_SL_SM_SN_E_clIS8_S8_S9_S9_EESK_S10_SL_SM_SN_EUlS10_E0_NS1_11comp_targetILNS1_3genE8ELNS1_11target_archE1030ELNS1_3gpuE2ELNS1_3repE0EEENS1_38merge_mergepath_config_static_selectorELNS0_4arch9wavefront6targetE0EEEvSM_
; %bb.0:
	.section	.rodata,"a",@progbits
	.p2align	6, 0x0
	.amdhsa_kernel _ZN7rocprim17ROCPRIM_400000_NS6detail17trampoline_kernelINS0_14default_configENS1_38merge_sort_block_merge_config_selectorIlNS0_10empty_typeEEEZZNS1_27merge_sort_block_merge_implIS3_PlPS5_mZN2at6native12_GLOBAL__N_124unique_dim_cuda_templateIhEESt5tupleIJNSA_6TensorESF_SF_EERKSF_lbbbEUlllE_EE10hipError_tT0_T1_T2_jT3_P12ihipStream_tbPNSt15iterator_traitsISL_E10value_typeEPNSR_ISM_E10value_typeEPSN_NS1_7vsmem_tEENKUlT_SL_SM_SN_E_clIS8_S8_S9_S9_EESK_S10_SL_SM_SN_EUlS10_E0_NS1_11comp_targetILNS1_3genE8ELNS1_11target_archE1030ELNS1_3gpuE2ELNS1_3repE0EEENS1_38merge_mergepath_config_static_selectorELNS0_4arch9wavefront6targetE0EEEvSM_
		.amdhsa_group_segment_fixed_size 0
		.amdhsa_private_segment_fixed_size 0
		.amdhsa_kernarg_size 88
		.amdhsa_user_sgpr_count 15
		.amdhsa_user_sgpr_dispatch_ptr 0
		.amdhsa_user_sgpr_queue_ptr 0
		.amdhsa_user_sgpr_kernarg_segment_ptr 1
		.amdhsa_user_sgpr_dispatch_id 0
		.amdhsa_user_sgpr_private_segment_size 0
		.amdhsa_wavefront_size32 1
		.amdhsa_uses_dynamic_stack 0
		.amdhsa_enable_private_segment 0
		.amdhsa_system_sgpr_workgroup_id_x 1
		.amdhsa_system_sgpr_workgroup_id_y 0
		.amdhsa_system_sgpr_workgroup_id_z 0
		.amdhsa_system_sgpr_workgroup_info 0
		.amdhsa_system_vgpr_workitem_id 0
		.amdhsa_next_free_vgpr 1
		.amdhsa_next_free_sgpr 1
		.amdhsa_reserve_vcc 0
		.amdhsa_float_round_mode_32 0
		.amdhsa_float_round_mode_16_64 0
		.amdhsa_float_denorm_mode_32 3
		.amdhsa_float_denorm_mode_16_64 3
		.amdhsa_dx10_clamp 1
		.amdhsa_ieee_mode 1
		.amdhsa_fp16_overflow 0
		.amdhsa_workgroup_processor_mode 1
		.amdhsa_memory_ordered 1
		.amdhsa_forward_progress 0
		.amdhsa_shared_vgpr_count 0
		.amdhsa_exception_fp_ieee_invalid_op 0
		.amdhsa_exception_fp_denorm_src 0
		.amdhsa_exception_fp_ieee_div_zero 0
		.amdhsa_exception_fp_ieee_overflow 0
		.amdhsa_exception_fp_ieee_underflow 0
		.amdhsa_exception_fp_ieee_inexact 0
		.amdhsa_exception_int_div_zero 0
	.end_amdhsa_kernel
	.section	.text._ZN7rocprim17ROCPRIM_400000_NS6detail17trampoline_kernelINS0_14default_configENS1_38merge_sort_block_merge_config_selectorIlNS0_10empty_typeEEEZZNS1_27merge_sort_block_merge_implIS3_PlPS5_mZN2at6native12_GLOBAL__N_124unique_dim_cuda_templateIhEESt5tupleIJNSA_6TensorESF_SF_EERKSF_lbbbEUlllE_EE10hipError_tT0_T1_T2_jT3_P12ihipStream_tbPNSt15iterator_traitsISL_E10value_typeEPNSR_ISM_E10value_typeEPSN_NS1_7vsmem_tEENKUlT_SL_SM_SN_E_clIS8_S8_S9_S9_EESK_S10_SL_SM_SN_EUlS10_E0_NS1_11comp_targetILNS1_3genE8ELNS1_11target_archE1030ELNS1_3gpuE2ELNS1_3repE0EEENS1_38merge_mergepath_config_static_selectorELNS0_4arch9wavefront6targetE0EEEvSM_,"axG",@progbits,_ZN7rocprim17ROCPRIM_400000_NS6detail17trampoline_kernelINS0_14default_configENS1_38merge_sort_block_merge_config_selectorIlNS0_10empty_typeEEEZZNS1_27merge_sort_block_merge_implIS3_PlPS5_mZN2at6native12_GLOBAL__N_124unique_dim_cuda_templateIhEESt5tupleIJNSA_6TensorESF_SF_EERKSF_lbbbEUlllE_EE10hipError_tT0_T1_T2_jT3_P12ihipStream_tbPNSt15iterator_traitsISL_E10value_typeEPNSR_ISM_E10value_typeEPSN_NS1_7vsmem_tEENKUlT_SL_SM_SN_E_clIS8_S8_S9_S9_EESK_S10_SL_SM_SN_EUlS10_E0_NS1_11comp_targetILNS1_3genE8ELNS1_11target_archE1030ELNS1_3gpuE2ELNS1_3repE0EEENS1_38merge_mergepath_config_static_selectorELNS0_4arch9wavefront6targetE0EEEvSM_,comdat
.Lfunc_end33:
	.size	_ZN7rocprim17ROCPRIM_400000_NS6detail17trampoline_kernelINS0_14default_configENS1_38merge_sort_block_merge_config_selectorIlNS0_10empty_typeEEEZZNS1_27merge_sort_block_merge_implIS3_PlPS5_mZN2at6native12_GLOBAL__N_124unique_dim_cuda_templateIhEESt5tupleIJNSA_6TensorESF_SF_EERKSF_lbbbEUlllE_EE10hipError_tT0_T1_T2_jT3_P12ihipStream_tbPNSt15iterator_traitsISL_E10value_typeEPNSR_ISM_E10value_typeEPSN_NS1_7vsmem_tEENKUlT_SL_SM_SN_E_clIS8_S8_S9_S9_EESK_S10_SL_SM_SN_EUlS10_E0_NS1_11comp_targetILNS1_3genE8ELNS1_11target_archE1030ELNS1_3gpuE2ELNS1_3repE0EEENS1_38merge_mergepath_config_static_selectorELNS0_4arch9wavefront6targetE0EEEvSM_, .Lfunc_end33-_ZN7rocprim17ROCPRIM_400000_NS6detail17trampoline_kernelINS0_14default_configENS1_38merge_sort_block_merge_config_selectorIlNS0_10empty_typeEEEZZNS1_27merge_sort_block_merge_implIS3_PlPS5_mZN2at6native12_GLOBAL__N_124unique_dim_cuda_templateIhEESt5tupleIJNSA_6TensorESF_SF_EERKSF_lbbbEUlllE_EE10hipError_tT0_T1_T2_jT3_P12ihipStream_tbPNSt15iterator_traitsISL_E10value_typeEPNSR_ISM_E10value_typeEPSN_NS1_7vsmem_tEENKUlT_SL_SM_SN_E_clIS8_S8_S9_S9_EESK_S10_SL_SM_SN_EUlS10_E0_NS1_11comp_targetILNS1_3genE8ELNS1_11target_archE1030ELNS1_3gpuE2ELNS1_3repE0EEENS1_38merge_mergepath_config_static_selectorELNS0_4arch9wavefront6targetE0EEEvSM_
                                        ; -- End function
	.section	.AMDGPU.csdata,"",@progbits
; Kernel info:
; codeLenInByte = 0
; NumSgprs: 0
; NumVgprs: 0
; ScratchSize: 0
; MemoryBound: 0
; FloatMode: 240
; IeeeMode: 1
; LDSByteSize: 0 bytes/workgroup (compile time only)
; SGPRBlocks: 0
; VGPRBlocks: 0
; NumSGPRsForWavesPerEU: 1
; NumVGPRsForWavesPerEU: 1
; Occupancy: 16
; WaveLimiterHint : 0
; COMPUTE_PGM_RSRC2:SCRATCH_EN: 0
; COMPUTE_PGM_RSRC2:USER_SGPR: 15
; COMPUTE_PGM_RSRC2:TRAP_HANDLER: 0
; COMPUTE_PGM_RSRC2:TGID_X_EN: 1
; COMPUTE_PGM_RSRC2:TGID_Y_EN: 0
; COMPUTE_PGM_RSRC2:TGID_Z_EN: 0
; COMPUTE_PGM_RSRC2:TIDIG_COMP_CNT: 0
	.section	.text._ZN7rocprim17ROCPRIM_400000_NS6detail17trampoline_kernelINS0_14default_configENS1_38merge_sort_block_merge_config_selectorIlNS0_10empty_typeEEEZZNS1_27merge_sort_block_merge_implIS3_PlPS5_mZN2at6native12_GLOBAL__N_124unique_dim_cuda_templateIhEESt5tupleIJNSA_6TensorESF_SF_EERKSF_lbbbEUlllE_EE10hipError_tT0_T1_T2_jT3_P12ihipStream_tbPNSt15iterator_traitsISL_E10value_typeEPNSR_ISM_E10value_typeEPSN_NS1_7vsmem_tEENKUlT_SL_SM_SN_E_clIS8_S8_S9_S9_EESK_S10_SL_SM_SN_EUlS10_E1_NS1_11comp_targetILNS1_3genE0ELNS1_11target_archE4294967295ELNS1_3gpuE0ELNS1_3repE0EEENS1_36merge_oddeven_config_static_selectorELNS0_4arch9wavefront6targetE0EEEvSM_,"axG",@progbits,_ZN7rocprim17ROCPRIM_400000_NS6detail17trampoline_kernelINS0_14default_configENS1_38merge_sort_block_merge_config_selectorIlNS0_10empty_typeEEEZZNS1_27merge_sort_block_merge_implIS3_PlPS5_mZN2at6native12_GLOBAL__N_124unique_dim_cuda_templateIhEESt5tupleIJNSA_6TensorESF_SF_EERKSF_lbbbEUlllE_EE10hipError_tT0_T1_T2_jT3_P12ihipStream_tbPNSt15iterator_traitsISL_E10value_typeEPNSR_ISM_E10value_typeEPSN_NS1_7vsmem_tEENKUlT_SL_SM_SN_E_clIS8_S8_S9_S9_EESK_S10_SL_SM_SN_EUlS10_E1_NS1_11comp_targetILNS1_3genE0ELNS1_11target_archE4294967295ELNS1_3gpuE0ELNS1_3repE0EEENS1_36merge_oddeven_config_static_selectorELNS0_4arch9wavefront6targetE0EEEvSM_,comdat
	.globl	_ZN7rocprim17ROCPRIM_400000_NS6detail17trampoline_kernelINS0_14default_configENS1_38merge_sort_block_merge_config_selectorIlNS0_10empty_typeEEEZZNS1_27merge_sort_block_merge_implIS3_PlPS5_mZN2at6native12_GLOBAL__N_124unique_dim_cuda_templateIhEESt5tupleIJNSA_6TensorESF_SF_EERKSF_lbbbEUlllE_EE10hipError_tT0_T1_T2_jT3_P12ihipStream_tbPNSt15iterator_traitsISL_E10value_typeEPNSR_ISM_E10value_typeEPSN_NS1_7vsmem_tEENKUlT_SL_SM_SN_E_clIS8_S8_S9_S9_EESK_S10_SL_SM_SN_EUlS10_E1_NS1_11comp_targetILNS1_3genE0ELNS1_11target_archE4294967295ELNS1_3gpuE0ELNS1_3repE0EEENS1_36merge_oddeven_config_static_selectorELNS0_4arch9wavefront6targetE0EEEvSM_ ; -- Begin function _ZN7rocprim17ROCPRIM_400000_NS6detail17trampoline_kernelINS0_14default_configENS1_38merge_sort_block_merge_config_selectorIlNS0_10empty_typeEEEZZNS1_27merge_sort_block_merge_implIS3_PlPS5_mZN2at6native12_GLOBAL__N_124unique_dim_cuda_templateIhEESt5tupleIJNSA_6TensorESF_SF_EERKSF_lbbbEUlllE_EE10hipError_tT0_T1_T2_jT3_P12ihipStream_tbPNSt15iterator_traitsISL_E10value_typeEPNSR_ISM_E10value_typeEPSN_NS1_7vsmem_tEENKUlT_SL_SM_SN_E_clIS8_S8_S9_S9_EESK_S10_SL_SM_SN_EUlS10_E1_NS1_11comp_targetILNS1_3genE0ELNS1_11target_archE4294967295ELNS1_3gpuE0ELNS1_3repE0EEENS1_36merge_oddeven_config_static_selectorELNS0_4arch9wavefront6targetE0EEEvSM_
	.p2align	8
	.type	_ZN7rocprim17ROCPRIM_400000_NS6detail17trampoline_kernelINS0_14default_configENS1_38merge_sort_block_merge_config_selectorIlNS0_10empty_typeEEEZZNS1_27merge_sort_block_merge_implIS3_PlPS5_mZN2at6native12_GLOBAL__N_124unique_dim_cuda_templateIhEESt5tupleIJNSA_6TensorESF_SF_EERKSF_lbbbEUlllE_EE10hipError_tT0_T1_T2_jT3_P12ihipStream_tbPNSt15iterator_traitsISL_E10value_typeEPNSR_ISM_E10value_typeEPSN_NS1_7vsmem_tEENKUlT_SL_SM_SN_E_clIS8_S8_S9_S9_EESK_S10_SL_SM_SN_EUlS10_E1_NS1_11comp_targetILNS1_3genE0ELNS1_11target_archE4294967295ELNS1_3gpuE0ELNS1_3repE0EEENS1_36merge_oddeven_config_static_selectorELNS0_4arch9wavefront6targetE0EEEvSM_,@function
_ZN7rocprim17ROCPRIM_400000_NS6detail17trampoline_kernelINS0_14default_configENS1_38merge_sort_block_merge_config_selectorIlNS0_10empty_typeEEEZZNS1_27merge_sort_block_merge_implIS3_PlPS5_mZN2at6native12_GLOBAL__N_124unique_dim_cuda_templateIhEESt5tupleIJNSA_6TensorESF_SF_EERKSF_lbbbEUlllE_EE10hipError_tT0_T1_T2_jT3_P12ihipStream_tbPNSt15iterator_traitsISL_E10value_typeEPNSR_ISM_E10value_typeEPSN_NS1_7vsmem_tEENKUlT_SL_SM_SN_E_clIS8_S8_S9_S9_EESK_S10_SL_SM_SN_EUlS10_E1_NS1_11comp_targetILNS1_3genE0ELNS1_11target_archE4294967295ELNS1_3gpuE0ELNS1_3repE0EEENS1_36merge_oddeven_config_static_selectorELNS0_4arch9wavefront6targetE0EEEvSM_: ; @_ZN7rocprim17ROCPRIM_400000_NS6detail17trampoline_kernelINS0_14default_configENS1_38merge_sort_block_merge_config_selectorIlNS0_10empty_typeEEEZZNS1_27merge_sort_block_merge_implIS3_PlPS5_mZN2at6native12_GLOBAL__N_124unique_dim_cuda_templateIhEESt5tupleIJNSA_6TensorESF_SF_EERKSF_lbbbEUlllE_EE10hipError_tT0_T1_T2_jT3_P12ihipStream_tbPNSt15iterator_traitsISL_E10value_typeEPNSR_ISM_E10value_typeEPSN_NS1_7vsmem_tEENKUlT_SL_SM_SN_E_clIS8_S8_S9_S9_EESK_S10_SL_SM_SN_EUlS10_E1_NS1_11comp_targetILNS1_3genE0ELNS1_11target_archE4294967295ELNS1_3gpuE0ELNS1_3repE0EEENS1_36merge_oddeven_config_static_selectorELNS0_4arch9wavefront6targetE0EEEvSM_
; %bb.0:
	.section	.rodata,"a",@progbits
	.p2align	6, 0x0
	.amdhsa_kernel _ZN7rocprim17ROCPRIM_400000_NS6detail17trampoline_kernelINS0_14default_configENS1_38merge_sort_block_merge_config_selectorIlNS0_10empty_typeEEEZZNS1_27merge_sort_block_merge_implIS3_PlPS5_mZN2at6native12_GLOBAL__N_124unique_dim_cuda_templateIhEESt5tupleIJNSA_6TensorESF_SF_EERKSF_lbbbEUlllE_EE10hipError_tT0_T1_T2_jT3_P12ihipStream_tbPNSt15iterator_traitsISL_E10value_typeEPNSR_ISM_E10value_typeEPSN_NS1_7vsmem_tEENKUlT_SL_SM_SN_E_clIS8_S8_S9_S9_EESK_S10_SL_SM_SN_EUlS10_E1_NS1_11comp_targetILNS1_3genE0ELNS1_11target_archE4294967295ELNS1_3gpuE0ELNS1_3repE0EEENS1_36merge_oddeven_config_static_selectorELNS0_4arch9wavefront6targetE0EEEvSM_
		.amdhsa_group_segment_fixed_size 0
		.amdhsa_private_segment_fixed_size 0
		.amdhsa_kernarg_size 64
		.amdhsa_user_sgpr_count 15
		.amdhsa_user_sgpr_dispatch_ptr 0
		.amdhsa_user_sgpr_queue_ptr 0
		.amdhsa_user_sgpr_kernarg_segment_ptr 1
		.amdhsa_user_sgpr_dispatch_id 0
		.amdhsa_user_sgpr_private_segment_size 0
		.amdhsa_wavefront_size32 1
		.amdhsa_uses_dynamic_stack 0
		.amdhsa_enable_private_segment 0
		.amdhsa_system_sgpr_workgroup_id_x 1
		.amdhsa_system_sgpr_workgroup_id_y 0
		.amdhsa_system_sgpr_workgroup_id_z 0
		.amdhsa_system_sgpr_workgroup_info 0
		.amdhsa_system_vgpr_workitem_id 0
		.amdhsa_next_free_vgpr 1
		.amdhsa_next_free_sgpr 1
		.amdhsa_reserve_vcc 0
		.amdhsa_float_round_mode_32 0
		.amdhsa_float_round_mode_16_64 0
		.amdhsa_float_denorm_mode_32 3
		.amdhsa_float_denorm_mode_16_64 3
		.amdhsa_dx10_clamp 1
		.amdhsa_ieee_mode 1
		.amdhsa_fp16_overflow 0
		.amdhsa_workgroup_processor_mode 1
		.amdhsa_memory_ordered 1
		.amdhsa_forward_progress 0
		.amdhsa_shared_vgpr_count 0
		.amdhsa_exception_fp_ieee_invalid_op 0
		.amdhsa_exception_fp_denorm_src 0
		.amdhsa_exception_fp_ieee_div_zero 0
		.amdhsa_exception_fp_ieee_overflow 0
		.amdhsa_exception_fp_ieee_underflow 0
		.amdhsa_exception_fp_ieee_inexact 0
		.amdhsa_exception_int_div_zero 0
	.end_amdhsa_kernel
	.section	.text._ZN7rocprim17ROCPRIM_400000_NS6detail17trampoline_kernelINS0_14default_configENS1_38merge_sort_block_merge_config_selectorIlNS0_10empty_typeEEEZZNS1_27merge_sort_block_merge_implIS3_PlPS5_mZN2at6native12_GLOBAL__N_124unique_dim_cuda_templateIhEESt5tupleIJNSA_6TensorESF_SF_EERKSF_lbbbEUlllE_EE10hipError_tT0_T1_T2_jT3_P12ihipStream_tbPNSt15iterator_traitsISL_E10value_typeEPNSR_ISM_E10value_typeEPSN_NS1_7vsmem_tEENKUlT_SL_SM_SN_E_clIS8_S8_S9_S9_EESK_S10_SL_SM_SN_EUlS10_E1_NS1_11comp_targetILNS1_3genE0ELNS1_11target_archE4294967295ELNS1_3gpuE0ELNS1_3repE0EEENS1_36merge_oddeven_config_static_selectorELNS0_4arch9wavefront6targetE0EEEvSM_,"axG",@progbits,_ZN7rocprim17ROCPRIM_400000_NS6detail17trampoline_kernelINS0_14default_configENS1_38merge_sort_block_merge_config_selectorIlNS0_10empty_typeEEEZZNS1_27merge_sort_block_merge_implIS3_PlPS5_mZN2at6native12_GLOBAL__N_124unique_dim_cuda_templateIhEESt5tupleIJNSA_6TensorESF_SF_EERKSF_lbbbEUlllE_EE10hipError_tT0_T1_T2_jT3_P12ihipStream_tbPNSt15iterator_traitsISL_E10value_typeEPNSR_ISM_E10value_typeEPSN_NS1_7vsmem_tEENKUlT_SL_SM_SN_E_clIS8_S8_S9_S9_EESK_S10_SL_SM_SN_EUlS10_E1_NS1_11comp_targetILNS1_3genE0ELNS1_11target_archE4294967295ELNS1_3gpuE0ELNS1_3repE0EEENS1_36merge_oddeven_config_static_selectorELNS0_4arch9wavefront6targetE0EEEvSM_,comdat
.Lfunc_end34:
	.size	_ZN7rocprim17ROCPRIM_400000_NS6detail17trampoline_kernelINS0_14default_configENS1_38merge_sort_block_merge_config_selectorIlNS0_10empty_typeEEEZZNS1_27merge_sort_block_merge_implIS3_PlPS5_mZN2at6native12_GLOBAL__N_124unique_dim_cuda_templateIhEESt5tupleIJNSA_6TensorESF_SF_EERKSF_lbbbEUlllE_EE10hipError_tT0_T1_T2_jT3_P12ihipStream_tbPNSt15iterator_traitsISL_E10value_typeEPNSR_ISM_E10value_typeEPSN_NS1_7vsmem_tEENKUlT_SL_SM_SN_E_clIS8_S8_S9_S9_EESK_S10_SL_SM_SN_EUlS10_E1_NS1_11comp_targetILNS1_3genE0ELNS1_11target_archE4294967295ELNS1_3gpuE0ELNS1_3repE0EEENS1_36merge_oddeven_config_static_selectorELNS0_4arch9wavefront6targetE0EEEvSM_, .Lfunc_end34-_ZN7rocprim17ROCPRIM_400000_NS6detail17trampoline_kernelINS0_14default_configENS1_38merge_sort_block_merge_config_selectorIlNS0_10empty_typeEEEZZNS1_27merge_sort_block_merge_implIS3_PlPS5_mZN2at6native12_GLOBAL__N_124unique_dim_cuda_templateIhEESt5tupleIJNSA_6TensorESF_SF_EERKSF_lbbbEUlllE_EE10hipError_tT0_T1_T2_jT3_P12ihipStream_tbPNSt15iterator_traitsISL_E10value_typeEPNSR_ISM_E10value_typeEPSN_NS1_7vsmem_tEENKUlT_SL_SM_SN_E_clIS8_S8_S9_S9_EESK_S10_SL_SM_SN_EUlS10_E1_NS1_11comp_targetILNS1_3genE0ELNS1_11target_archE4294967295ELNS1_3gpuE0ELNS1_3repE0EEENS1_36merge_oddeven_config_static_selectorELNS0_4arch9wavefront6targetE0EEEvSM_
                                        ; -- End function
	.section	.AMDGPU.csdata,"",@progbits
; Kernel info:
; codeLenInByte = 0
; NumSgprs: 0
; NumVgprs: 0
; ScratchSize: 0
; MemoryBound: 0
; FloatMode: 240
; IeeeMode: 1
; LDSByteSize: 0 bytes/workgroup (compile time only)
; SGPRBlocks: 0
; VGPRBlocks: 0
; NumSGPRsForWavesPerEU: 1
; NumVGPRsForWavesPerEU: 1
; Occupancy: 16
; WaveLimiterHint : 0
; COMPUTE_PGM_RSRC2:SCRATCH_EN: 0
; COMPUTE_PGM_RSRC2:USER_SGPR: 15
; COMPUTE_PGM_RSRC2:TRAP_HANDLER: 0
; COMPUTE_PGM_RSRC2:TGID_X_EN: 1
; COMPUTE_PGM_RSRC2:TGID_Y_EN: 0
; COMPUTE_PGM_RSRC2:TGID_Z_EN: 0
; COMPUTE_PGM_RSRC2:TIDIG_COMP_CNT: 0
	.section	.text._ZN7rocprim17ROCPRIM_400000_NS6detail17trampoline_kernelINS0_14default_configENS1_38merge_sort_block_merge_config_selectorIlNS0_10empty_typeEEEZZNS1_27merge_sort_block_merge_implIS3_PlPS5_mZN2at6native12_GLOBAL__N_124unique_dim_cuda_templateIhEESt5tupleIJNSA_6TensorESF_SF_EERKSF_lbbbEUlllE_EE10hipError_tT0_T1_T2_jT3_P12ihipStream_tbPNSt15iterator_traitsISL_E10value_typeEPNSR_ISM_E10value_typeEPSN_NS1_7vsmem_tEENKUlT_SL_SM_SN_E_clIS8_S8_S9_S9_EESK_S10_SL_SM_SN_EUlS10_E1_NS1_11comp_targetILNS1_3genE10ELNS1_11target_archE1201ELNS1_3gpuE5ELNS1_3repE0EEENS1_36merge_oddeven_config_static_selectorELNS0_4arch9wavefront6targetE0EEEvSM_,"axG",@progbits,_ZN7rocprim17ROCPRIM_400000_NS6detail17trampoline_kernelINS0_14default_configENS1_38merge_sort_block_merge_config_selectorIlNS0_10empty_typeEEEZZNS1_27merge_sort_block_merge_implIS3_PlPS5_mZN2at6native12_GLOBAL__N_124unique_dim_cuda_templateIhEESt5tupleIJNSA_6TensorESF_SF_EERKSF_lbbbEUlllE_EE10hipError_tT0_T1_T2_jT3_P12ihipStream_tbPNSt15iterator_traitsISL_E10value_typeEPNSR_ISM_E10value_typeEPSN_NS1_7vsmem_tEENKUlT_SL_SM_SN_E_clIS8_S8_S9_S9_EESK_S10_SL_SM_SN_EUlS10_E1_NS1_11comp_targetILNS1_3genE10ELNS1_11target_archE1201ELNS1_3gpuE5ELNS1_3repE0EEENS1_36merge_oddeven_config_static_selectorELNS0_4arch9wavefront6targetE0EEEvSM_,comdat
	.globl	_ZN7rocprim17ROCPRIM_400000_NS6detail17trampoline_kernelINS0_14default_configENS1_38merge_sort_block_merge_config_selectorIlNS0_10empty_typeEEEZZNS1_27merge_sort_block_merge_implIS3_PlPS5_mZN2at6native12_GLOBAL__N_124unique_dim_cuda_templateIhEESt5tupleIJNSA_6TensorESF_SF_EERKSF_lbbbEUlllE_EE10hipError_tT0_T1_T2_jT3_P12ihipStream_tbPNSt15iterator_traitsISL_E10value_typeEPNSR_ISM_E10value_typeEPSN_NS1_7vsmem_tEENKUlT_SL_SM_SN_E_clIS8_S8_S9_S9_EESK_S10_SL_SM_SN_EUlS10_E1_NS1_11comp_targetILNS1_3genE10ELNS1_11target_archE1201ELNS1_3gpuE5ELNS1_3repE0EEENS1_36merge_oddeven_config_static_selectorELNS0_4arch9wavefront6targetE0EEEvSM_ ; -- Begin function _ZN7rocprim17ROCPRIM_400000_NS6detail17trampoline_kernelINS0_14default_configENS1_38merge_sort_block_merge_config_selectorIlNS0_10empty_typeEEEZZNS1_27merge_sort_block_merge_implIS3_PlPS5_mZN2at6native12_GLOBAL__N_124unique_dim_cuda_templateIhEESt5tupleIJNSA_6TensorESF_SF_EERKSF_lbbbEUlllE_EE10hipError_tT0_T1_T2_jT3_P12ihipStream_tbPNSt15iterator_traitsISL_E10value_typeEPNSR_ISM_E10value_typeEPSN_NS1_7vsmem_tEENKUlT_SL_SM_SN_E_clIS8_S8_S9_S9_EESK_S10_SL_SM_SN_EUlS10_E1_NS1_11comp_targetILNS1_3genE10ELNS1_11target_archE1201ELNS1_3gpuE5ELNS1_3repE0EEENS1_36merge_oddeven_config_static_selectorELNS0_4arch9wavefront6targetE0EEEvSM_
	.p2align	8
	.type	_ZN7rocprim17ROCPRIM_400000_NS6detail17trampoline_kernelINS0_14default_configENS1_38merge_sort_block_merge_config_selectorIlNS0_10empty_typeEEEZZNS1_27merge_sort_block_merge_implIS3_PlPS5_mZN2at6native12_GLOBAL__N_124unique_dim_cuda_templateIhEESt5tupleIJNSA_6TensorESF_SF_EERKSF_lbbbEUlllE_EE10hipError_tT0_T1_T2_jT3_P12ihipStream_tbPNSt15iterator_traitsISL_E10value_typeEPNSR_ISM_E10value_typeEPSN_NS1_7vsmem_tEENKUlT_SL_SM_SN_E_clIS8_S8_S9_S9_EESK_S10_SL_SM_SN_EUlS10_E1_NS1_11comp_targetILNS1_3genE10ELNS1_11target_archE1201ELNS1_3gpuE5ELNS1_3repE0EEENS1_36merge_oddeven_config_static_selectorELNS0_4arch9wavefront6targetE0EEEvSM_,@function
_ZN7rocprim17ROCPRIM_400000_NS6detail17trampoline_kernelINS0_14default_configENS1_38merge_sort_block_merge_config_selectorIlNS0_10empty_typeEEEZZNS1_27merge_sort_block_merge_implIS3_PlPS5_mZN2at6native12_GLOBAL__N_124unique_dim_cuda_templateIhEESt5tupleIJNSA_6TensorESF_SF_EERKSF_lbbbEUlllE_EE10hipError_tT0_T1_T2_jT3_P12ihipStream_tbPNSt15iterator_traitsISL_E10value_typeEPNSR_ISM_E10value_typeEPSN_NS1_7vsmem_tEENKUlT_SL_SM_SN_E_clIS8_S8_S9_S9_EESK_S10_SL_SM_SN_EUlS10_E1_NS1_11comp_targetILNS1_3genE10ELNS1_11target_archE1201ELNS1_3gpuE5ELNS1_3repE0EEENS1_36merge_oddeven_config_static_selectorELNS0_4arch9wavefront6targetE0EEEvSM_: ; @_ZN7rocprim17ROCPRIM_400000_NS6detail17trampoline_kernelINS0_14default_configENS1_38merge_sort_block_merge_config_selectorIlNS0_10empty_typeEEEZZNS1_27merge_sort_block_merge_implIS3_PlPS5_mZN2at6native12_GLOBAL__N_124unique_dim_cuda_templateIhEESt5tupleIJNSA_6TensorESF_SF_EERKSF_lbbbEUlllE_EE10hipError_tT0_T1_T2_jT3_P12ihipStream_tbPNSt15iterator_traitsISL_E10value_typeEPNSR_ISM_E10value_typeEPSN_NS1_7vsmem_tEENKUlT_SL_SM_SN_E_clIS8_S8_S9_S9_EESK_S10_SL_SM_SN_EUlS10_E1_NS1_11comp_targetILNS1_3genE10ELNS1_11target_archE1201ELNS1_3gpuE5ELNS1_3repE0EEENS1_36merge_oddeven_config_static_selectorELNS0_4arch9wavefront6targetE0EEEvSM_
; %bb.0:
	.section	.rodata,"a",@progbits
	.p2align	6, 0x0
	.amdhsa_kernel _ZN7rocprim17ROCPRIM_400000_NS6detail17trampoline_kernelINS0_14default_configENS1_38merge_sort_block_merge_config_selectorIlNS0_10empty_typeEEEZZNS1_27merge_sort_block_merge_implIS3_PlPS5_mZN2at6native12_GLOBAL__N_124unique_dim_cuda_templateIhEESt5tupleIJNSA_6TensorESF_SF_EERKSF_lbbbEUlllE_EE10hipError_tT0_T1_T2_jT3_P12ihipStream_tbPNSt15iterator_traitsISL_E10value_typeEPNSR_ISM_E10value_typeEPSN_NS1_7vsmem_tEENKUlT_SL_SM_SN_E_clIS8_S8_S9_S9_EESK_S10_SL_SM_SN_EUlS10_E1_NS1_11comp_targetILNS1_3genE10ELNS1_11target_archE1201ELNS1_3gpuE5ELNS1_3repE0EEENS1_36merge_oddeven_config_static_selectorELNS0_4arch9wavefront6targetE0EEEvSM_
		.amdhsa_group_segment_fixed_size 0
		.amdhsa_private_segment_fixed_size 0
		.amdhsa_kernarg_size 64
		.amdhsa_user_sgpr_count 15
		.amdhsa_user_sgpr_dispatch_ptr 0
		.amdhsa_user_sgpr_queue_ptr 0
		.amdhsa_user_sgpr_kernarg_segment_ptr 1
		.amdhsa_user_sgpr_dispatch_id 0
		.amdhsa_user_sgpr_private_segment_size 0
		.amdhsa_wavefront_size32 1
		.amdhsa_uses_dynamic_stack 0
		.amdhsa_enable_private_segment 0
		.amdhsa_system_sgpr_workgroup_id_x 1
		.amdhsa_system_sgpr_workgroup_id_y 0
		.amdhsa_system_sgpr_workgroup_id_z 0
		.amdhsa_system_sgpr_workgroup_info 0
		.amdhsa_system_vgpr_workitem_id 0
		.amdhsa_next_free_vgpr 1
		.amdhsa_next_free_sgpr 1
		.amdhsa_reserve_vcc 0
		.amdhsa_float_round_mode_32 0
		.amdhsa_float_round_mode_16_64 0
		.amdhsa_float_denorm_mode_32 3
		.amdhsa_float_denorm_mode_16_64 3
		.amdhsa_dx10_clamp 1
		.amdhsa_ieee_mode 1
		.amdhsa_fp16_overflow 0
		.amdhsa_workgroup_processor_mode 1
		.amdhsa_memory_ordered 1
		.amdhsa_forward_progress 0
		.amdhsa_shared_vgpr_count 0
		.amdhsa_exception_fp_ieee_invalid_op 0
		.amdhsa_exception_fp_denorm_src 0
		.amdhsa_exception_fp_ieee_div_zero 0
		.amdhsa_exception_fp_ieee_overflow 0
		.amdhsa_exception_fp_ieee_underflow 0
		.amdhsa_exception_fp_ieee_inexact 0
		.amdhsa_exception_int_div_zero 0
	.end_amdhsa_kernel
	.section	.text._ZN7rocprim17ROCPRIM_400000_NS6detail17trampoline_kernelINS0_14default_configENS1_38merge_sort_block_merge_config_selectorIlNS0_10empty_typeEEEZZNS1_27merge_sort_block_merge_implIS3_PlPS5_mZN2at6native12_GLOBAL__N_124unique_dim_cuda_templateIhEESt5tupleIJNSA_6TensorESF_SF_EERKSF_lbbbEUlllE_EE10hipError_tT0_T1_T2_jT3_P12ihipStream_tbPNSt15iterator_traitsISL_E10value_typeEPNSR_ISM_E10value_typeEPSN_NS1_7vsmem_tEENKUlT_SL_SM_SN_E_clIS8_S8_S9_S9_EESK_S10_SL_SM_SN_EUlS10_E1_NS1_11comp_targetILNS1_3genE10ELNS1_11target_archE1201ELNS1_3gpuE5ELNS1_3repE0EEENS1_36merge_oddeven_config_static_selectorELNS0_4arch9wavefront6targetE0EEEvSM_,"axG",@progbits,_ZN7rocprim17ROCPRIM_400000_NS6detail17trampoline_kernelINS0_14default_configENS1_38merge_sort_block_merge_config_selectorIlNS0_10empty_typeEEEZZNS1_27merge_sort_block_merge_implIS3_PlPS5_mZN2at6native12_GLOBAL__N_124unique_dim_cuda_templateIhEESt5tupleIJNSA_6TensorESF_SF_EERKSF_lbbbEUlllE_EE10hipError_tT0_T1_T2_jT3_P12ihipStream_tbPNSt15iterator_traitsISL_E10value_typeEPNSR_ISM_E10value_typeEPSN_NS1_7vsmem_tEENKUlT_SL_SM_SN_E_clIS8_S8_S9_S9_EESK_S10_SL_SM_SN_EUlS10_E1_NS1_11comp_targetILNS1_3genE10ELNS1_11target_archE1201ELNS1_3gpuE5ELNS1_3repE0EEENS1_36merge_oddeven_config_static_selectorELNS0_4arch9wavefront6targetE0EEEvSM_,comdat
.Lfunc_end35:
	.size	_ZN7rocprim17ROCPRIM_400000_NS6detail17trampoline_kernelINS0_14default_configENS1_38merge_sort_block_merge_config_selectorIlNS0_10empty_typeEEEZZNS1_27merge_sort_block_merge_implIS3_PlPS5_mZN2at6native12_GLOBAL__N_124unique_dim_cuda_templateIhEESt5tupleIJNSA_6TensorESF_SF_EERKSF_lbbbEUlllE_EE10hipError_tT0_T1_T2_jT3_P12ihipStream_tbPNSt15iterator_traitsISL_E10value_typeEPNSR_ISM_E10value_typeEPSN_NS1_7vsmem_tEENKUlT_SL_SM_SN_E_clIS8_S8_S9_S9_EESK_S10_SL_SM_SN_EUlS10_E1_NS1_11comp_targetILNS1_3genE10ELNS1_11target_archE1201ELNS1_3gpuE5ELNS1_3repE0EEENS1_36merge_oddeven_config_static_selectorELNS0_4arch9wavefront6targetE0EEEvSM_, .Lfunc_end35-_ZN7rocprim17ROCPRIM_400000_NS6detail17trampoline_kernelINS0_14default_configENS1_38merge_sort_block_merge_config_selectorIlNS0_10empty_typeEEEZZNS1_27merge_sort_block_merge_implIS3_PlPS5_mZN2at6native12_GLOBAL__N_124unique_dim_cuda_templateIhEESt5tupleIJNSA_6TensorESF_SF_EERKSF_lbbbEUlllE_EE10hipError_tT0_T1_T2_jT3_P12ihipStream_tbPNSt15iterator_traitsISL_E10value_typeEPNSR_ISM_E10value_typeEPSN_NS1_7vsmem_tEENKUlT_SL_SM_SN_E_clIS8_S8_S9_S9_EESK_S10_SL_SM_SN_EUlS10_E1_NS1_11comp_targetILNS1_3genE10ELNS1_11target_archE1201ELNS1_3gpuE5ELNS1_3repE0EEENS1_36merge_oddeven_config_static_selectorELNS0_4arch9wavefront6targetE0EEEvSM_
                                        ; -- End function
	.section	.AMDGPU.csdata,"",@progbits
; Kernel info:
; codeLenInByte = 0
; NumSgprs: 0
; NumVgprs: 0
; ScratchSize: 0
; MemoryBound: 0
; FloatMode: 240
; IeeeMode: 1
; LDSByteSize: 0 bytes/workgroup (compile time only)
; SGPRBlocks: 0
; VGPRBlocks: 0
; NumSGPRsForWavesPerEU: 1
; NumVGPRsForWavesPerEU: 1
; Occupancy: 16
; WaveLimiterHint : 0
; COMPUTE_PGM_RSRC2:SCRATCH_EN: 0
; COMPUTE_PGM_RSRC2:USER_SGPR: 15
; COMPUTE_PGM_RSRC2:TRAP_HANDLER: 0
; COMPUTE_PGM_RSRC2:TGID_X_EN: 1
; COMPUTE_PGM_RSRC2:TGID_Y_EN: 0
; COMPUTE_PGM_RSRC2:TGID_Z_EN: 0
; COMPUTE_PGM_RSRC2:TIDIG_COMP_CNT: 0
	.section	.text._ZN7rocprim17ROCPRIM_400000_NS6detail17trampoline_kernelINS0_14default_configENS1_38merge_sort_block_merge_config_selectorIlNS0_10empty_typeEEEZZNS1_27merge_sort_block_merge_implIS3_PlPS5_mZN2at6native12_GLOBAL__N_124unique_dim_cuda_templateIhEESt5tupleIJNSA_6TensorESF_SF_EERKSF_lbbbEUlllE_EE10hipError_tT0_T1_T2_jT3_P12ihipStream_tbPNSt15iterator_traitsISL_E10value_typeEPNSR_ISM_E10value_typeEPSN_NS1_7vsmem_tEENKUlT_SL_SM_SN_E_clIS8_S8_S9_S9_EESK_S10_SL_SM_SN_EUlS10_E1_NS1_11comp_targetILNS1_3genE5ELNS1_11target_archE942ELNS1_3gpuE9ELNS1_3repE0EEENS1_36merge_oddeven_config_static_selectorELNS0_4arch9wavefront6targetE0EEEvSM_,"axG",@progbits,_ZN7rocprim17ROCPRIM_400000_NS6detail17trampoline_kernelINS0_14default_configENS1_38merge_sort_block_merge_config_selectorIlNS0_10empty_typeEEEZZNS1_27merge_sort_block_merge_implIS3_PlPS5_mZN2at6native12_GLOBAL__N_124unique_dim_cuda_templateIhEESt5tupleIJNSA_6TensorESF_SF_EERKSF_lbbbEUlllE_EE10hipError_tT0_T1_T2_jT3_P12ihipStream_tbPNSt15iterator_traitsISL_E10value_typeEPNSR_ISM_E10value_typeEPSN_NS1_7vsmem_tEENKUlT_SL_SM_SN_E_clIS8_S8_S9_S9_EESK_S10_SL_SM_SN_EUlS10_E1_NS1_11comp_targetILNS1_3genE5ELNS1_11target_archE942ELNS1_3gpuE9ELNS1_3repE0EEENS1_36merge_oddeven_config_static_selectorELNS0_4arch9wavefront6targetE0EEEvSM_,comdat
	.globl	_ZN7rocprim17ROCPRIM_400000_NS6detail17trampoline_kernelINS0_14default_configENS1_38merge_sort_block_merge_config_selectorIlNS0_10empty_typeEEEZZNS1_27merge_sort_block_merge_implIS3_PlPS5_mZN2at6native12_GLOBAL__N_124unique_dim_cuda_templateIhEESt5tupleIJNSA_6TensorESF_SF_EERKSF_lbbbEUlllE_EE10hipError_tT0_T1_T2_jT3_P12ihipStream_tbPNSt15iterator_traitsISL_E10value_typeEPNSR_ISM_E10value_typeEPSN_NS1_7vsmem_tEENKUlT_SL_SM_SN_E_clIS8_S8_S9_S9_EESK_S10_SL_SM_SN_EUlS10_E1_NS1_11comp_targetILNS1_3genE5ELNS1_11target_archE942ELNS1_3gpuE9ELNS1_3repE0EEENS1_36merge_oddeven_config_static_selectorELNS0_4arch9wavefront6targetE0EEEvSM_ ; -- Begin function _ZN7rocprim17ROCPRIM_400000_NS6detail17trampoline_kernelINS0_14default_configENS1_38merge_sort_block_merge_config_selectorIlNS0_10empty_typeEEEZZNS1_27merge_sort_block_merge_implIS3_PlPS5_mZN2at6native12_GLOBAL__N_124unique_dim_cuda_templateIhEESt5tupleIJNSA_6TensorESF_SF_EERKSF_lbbbEUlllE_EE10hipError_tT0_T1_T2_jT3_P12ihipStream_tbPNSt15iterator_traitsISL_E10value_typeEPNSR_ISM_E10value_typeEPSN_NS1_7vsmem_tEENKUlT_SL_SM_SN_E_clIS8_S8_S9_S9_EESK_S10_SL_SM_SN_EUlS10_E1_NS1_11comp_targetILNS1_3genE5ELNS1_11target_archE942ELNS1_3gpuE9ELNS1_3repE0EEENS1_36merge_oddeven_config_static_selectorELNS0_4arch9wavefront6targetE0EEEvSM_
	.p2align	8
	.type	_ZN7rocprim17ROCPRIM_400000_NS6detail17trampoline_kernelINS0_14default_configENS1_38merge_sort_block_merge_config_selectorIlNS0_10empty_typeEEEZZNS1_27merge_sort_block_merge_implIS3_PlPS5_mZN2at6native12_GLOBAL__N_124unique_dim_cuda_templateIhEESt5tupleIJNSA_6TensorESF_SF_EERKSF_lbbbEUlllE_EE10hipError_tT0_T1_T2_jT3_P12ihipStream_tbPNSt15iterator_traitsISL_E10value_typeEPNSR_ISM_E10value_typeEPSN_NS1_7vsmem_tEENKUlT_SL_SM_SN_E_clIS8_S8_S9_S9_EESK_S10_SL_SM_SN_EUlS10_E1_NS1_11comp_targetILNS1_3genE5ELNS1_11target_archE942ELNS1_3gpuE9ELNS1_3repE0EEENS1_36merge_oddeven_config_static_selectorELNS0_4arch9wavefront6targetE0EEEvSM_,@function
_ZN7rocprim17ROCPRIM_400000_NS6detail17trampoline_kernelINS0_14default_configENS1_38merge_sort_block_merge_config_selectorIlNS0_10empty_typeEEEZZNS1_27merge_sort_block_merge_implIS3_PlPS5_mZN2at6native12_GLOBAL__N_124unique_dim_cuda_templateIhEESt5tupleIJNSA_6TensorESF_SF_EERKSF_lbbbEUlllE_EE10hipError_tT0_T1_T2_jT3_P12ihipStream_tbPNSt15iterator_traitsISL_E10value_typeEPNSR_ISM_E10value_typeEPSN_NS1_7vsmem_tEENKUlT_SL_SM_SN_E_clIS8_S8_S9_S9_EESK_S10_SL_SM_SN_EUlS10_E1_NS1_11comp_targetILNS1_3genE5ELNS1_11target_archE942ELNS1_3gpuE9ELNS1_3repE0EEENS1_36merge_oddeven_config_static_selectorELNS0_4arch9wavefront6targetE0EEEvSM_: ; @_ZN7rocprim17ROCPRIM_400000_NS6detail17trampoline_kernelINS0_14default_configENS1_38merge_sort_block_merge_config_selectorIlNS0_10empty_typeEEEZZNS1_27merge_sort_block_merge_implIS3_PlPS5_mZN2at6native12_GLOBAL__N_124unique_dim_cuda_templateIhEESt5tupleIJNSA_6TensorESF_SF_EERKSF_lbbbEUlllE_EE10hipError_tT0_T1_T2_jT3_P12ihipStream_tbPNSt15iterator_traitsISL_E10value_typeEPNSR_ISM_E10value_typeEPSN_NS1_7vsmem_tEENKUlT_SL_SM_SN_E_clIS8_S8_S9_S9_EESK_S10_SL_SM_SN_EUlS10_E1_NS1_11comp_targetILNS1_3genE5ELNS1_11target_archE942ELNS1_3gpuE9ELNS1_3repE0EEENS1_36merge_oddeven_config_static_selectorELNS0_4arch9wavefront6targetE0EEEvSM_
; %bb.0:
	.section	.rodata,"a",@progbits
	.p2align	6, 0x0
	.amdhsa_kernel _ZN7rocprim17ROCPRIM_400000_NS6detail17trampoline_kernelINS0_14default_configENS1_38merge_sort_block_merge_config_selectorIlNS0_10empty_typeEEEZZNS1_27merge_sort_block_merge_implIS3_PlPS5_mZN2at6native12_GLOBAL__N_124unique_dim_cuda_templateIhEESt5tupleIJNSA_6TensorESF_SF_EERKSF_lbbbEUlllE_EE10hipError_tT0_T1_T2_jT3_P12ihipStream_tbPNSt15iterator_traitsISL_E10value_typeEPNSR_ISM_E10value_typeEPSN_NS1_7vsmem_tEENKUlT_SL_SM_SN_E_clIS8_S8_S9_S9_EESK_S10_SL_SM_SN_EUlS10_E1_NS1_11comp_targetILNS1_3genE5ELNS1_11target_archE942ELNS1_3gpuE9ELNS1_3repE0EEENS1_36merge_oddeven_config_static_selectorELNS0_4arch9wavefront6targetE0EEEvSM_
		.amdhsa_group_segment_fixed_size 0
		.amdhsa_private_segment_fixed_size 0
		.amdhsa_kernarg_size 64
		.amdhsa_user_sgpr_count 15
		.amdhsa_user_sgpr_dispatch_ptr 0
		.amdhsa_user_sgpr_queue_ptr 0
		.amdhsa_user_sgpr_kernarg_segment_ptr 1
		.amdhsa_user_sgpr_dispatch_id 0
		.amdhsa_user_sgpr_private_segment_size 0
		.amdhsa_wavefront_size32 1
		.amdhsa_uses_dynamic_stack 0
		.amdhsa_enable_private_segment 0
		.amdhsa_system_sgpr_workgroup_id_x 1
		.amdhsa_system_sgpr_workgroup_id_y 0
		.amdhsa_system_sgpr_workgroup_id_z 0
		.amdhsa_system_sgpr_workgroup_info 0
		.amdhsa_system_vgpr_workitem_id 0
		.amdhsa_next_free_vgpr 1
		.amdhsa_next_free_sgpr 1
		.amdhsa_reserve_vcc 0
		.amdhsa_float_round_mode_32 0
		.amdhsa_float_round_mode_16_64 0
		.amdhsa_float_denorm_mode_32 3
		.amdhsa_float_denorm_mode_16_64 3
		.amdhsa_dx10_clamp 1
		.amdhsa_ieee_mode 1
		.amdhsa_fp16_overflow 0
		.amdhsa_workgroup_processor_mode 1
		.amdhsa_memory_ordered 1
		.amdhsa_forward_progress 0
		.amdhsa_shared_vgpr_count 0
		.amdhsa_exception_fp_ieee_invalid_op 0
		.amdhsa_exception_fp_denorm_src 0
		.amdhsa_exception_fp_ieee_div_zero 0
		.amdhsa_exception_fp_ieee_overflow 0
		.amdhsa_exception_fp_ieee_underflow 0
		.amdhsa_exception_fp_ieee_inexact 0
		.amdhsa_exception_int_div_zero 0
	.end_amdhsa_kernel
	.section	.text._ZN7rocprim17ROCPRIM_400000_NS6detail17trampoline_kernelINS0_14default_configENS1_38merge_sort_block_merge_config_selectorIlNS0_10empty_typeEEEZZNS1_27merge_sort_block_merge_implIS3_PlPS5_mZN2at6native12_GLOBAL__N_124unique_dim_cuda_templateIhEESt5tupleIJNSA_6TensorESF_SF_EERKSF_lbbbEUlllE_EE10hipError_tT0_T1_T2_jT3_P12ihipStream_tbPNSt15iterator_traitsISL_E10value_typeEPNSR_ISM_E10value_typeEPSN_NS1_7vsmem_tEENKUlT_SL_SM_SN_E_clIS8_S8_S9_S9_EESK_S10_SL_SM_SN_EUlS10_E1_NS1_11comp_targetILNS1_3genE5ELNS1_11target_archE942ELNS1_3gpuE9ELNS1_3repE0EEENS1_36merge_oddeven_config_static_selectorELNS0_4arch9wavefront6targetE0EEEvSM_,"axG",@progbits,_ZN7rocprim17ROCPRIM_400000_NS6detail17trampoline_kernelINS0_14default_configENS1_38merge_sort_block_merge_config_selectorIlNS0_10empty_typeEEEZZNS1_27merge_sort_block_merge_implIS3_PlPS5_mZN2at6native12_GLOBAL__N_124unique_dim_cuda_templateIhEESt5tupleIJNSA_6TensorESF_SF_EERKSF_lbbbEUlllE_EE10hipError_tT0_T1_T2_jT3_P12ihipStream_tbPNSt15iterator_traitsISL_E10value_typeEPNSR_ISM_E10value_typeEPSN_NS1_7vsmem_tEENKUlT_SL_SM_SN_E_clIS8_S8_S9_S9_EESK_S10_SL_SM_SN_EUlS10_E1_NS1_11comp_targetILNS1_3genE5ELNS1_11target_archE942ELNS1_3gpuE9ELNS1_3repE0EEENS1_36merge_oddeven_config_static_selectorELNS0_4arch9wavefront6targetE0EEEvSM_,comdat
.Lfunc_end36:
	.size	_ZN7rocprim17ROCPRIM_400000_NS6detail17trampoline_kernelINS0_14default_configENS1_38merge_sort_block_merge_config_selectorIlNS0_10empty_typeEEEZZNS1_27merge_sort_block_merge_implIS3_PlPS5_mZN2at6native12_GLOBAL__N_124unique_dim_cuda_templateIhEESt5tupleIJNSA_6TensorESF_SF_EERKSF_lbbbEUlllE_EE10hipError_tT0_T1_T2_jT3_P12ihipStream_tbPNSt15iterator_traitsISL_E10value_typeEPNSR_ISM_E10value_typeEPSN_NS1_7vsmem_tEENKUlT_SL_SM_SN_E_clIS8_S8_S9_S9_EESK_S10_SL_SM_SN_EUlS10_E1_NS1_11comp_targetILNS1_3genE5ELNS1_11target_archE942ELNS1_3gpuE9ELNS1_3repE0EEENS1_36merge_oddeven_config_static_selectorELNS0_4arch9wavefront6targetE0EEEvSM_, .Lfunc_end36-_ZN7rocprim17ROCPRIM_400000_NS6detail17trampoline_kernelINS0_14default_configENS1_38merge_sort_block_merge_config_selectorIlNS0_10empty_typeEEEZZNS1_27merge_sort_block_merge_implIS3_PlPS5_mZN2at6native12_GLOBAL__N_124unique_dim_cuda_templateIhEESt5tupleIJNSA_6TensorESF_SF_EERKSF_lbbbEUlllE_EE10hipError_tT0_T1_T2_jT3_P12ihipStream_tbPNSt15iterator_traitsISL_E10value_typeEPNSR_ISM_E10value_typeEPSN_NS1_7vsmem_tEENKUlT_SL_SM_SN_E_clIS8_S8_S9_S9_EESK_S10_SL_SM_SN_EUlS10_E1_NS1_11comp_targetILNS1_3genE5ELNS1_11target_archE942ELNS1_3gpuE9ELNS1_3repE0EEENS1_36merge_oddeven_config_static_selectorELNS0_4arch9wavefront6targetE0EEEvSM_
                                        ; -- End function
	.section	.AMDGPU.csdata,"",@progbits
; Kernel info:
; codeLenInByte = 0
; NumSgprs: 0
; NumVgprs: 0
; ScratchSize: 0
; MemoryBound: 0
; FloatMode: 240
; IeeeMode: 1
; LDSByteSize: 0 bytes/workgroup (compile time only)
; SGPRBlocks: 0
; VGPRBlocks: 0
; NumSGPRsForWavesPerEU: 1
; NumVGPRsForWavesPerEU: 1
; Occupancy: 16
; WaveLimiterHint : 0
; COMPUTE_PGM_RSRC2:SCRATCH_EN: 0
; COMPUTE_PGM_RSRC2:USER_SGPR: 15
; COMPUTE_PGM_RSRC2:TRAP_HANDLER: 0
; COMPUTE_PGM_RSRC2:TGID_X_EN: 1
; COMPUTE_PGM_RSRC2:TGID_Y_EN: 0
; COMPUTE_PGM_RSRC2:TGID_Z_EN: 0
; COMPUTE_PGM_RSRC2:TIDIG_COMP_CNT: 0
	.section	.text._ZN7rocprim17ROCPRIM_400000_NS6detail17trampoline_kernelINS0_14default_configENS1_38merge_sort_block_merge_config_selectorIlNS0_10empty_typeEEEZZNS1_27merge_sort_block_merge_implIS3_PlPS5_mZN2at6native12_GLOBAL__N_124unique_dim_cuda_templateIhEESt5tupleIJNSA_6TensorESF_SF_EERKSF_lbbbEUlllE_EE10hipError_tT0_T1_T2_jT3_P12ihipStream_tbPNSt15iterator_traitsISL_E10value_typeEPNSR_ISM_E10value_typeEPSN_NS1_7vsmem_tEENKUlT_SL_SM_SN_E_clIS8_S8_S9_S9_EESK_S10_SL_SM_SN_EUlS10_E1_NS1_11comp_targetILNS1_3genE4ELNS1_11target_archE910ELNS1_3gpuE8ELNS1_3repE0EEENS1_36merge_oddeven_config_static_selectorELNS0_4arch9wavefront6targetE0EEEvSM_,"axG",@progbits,_ZN7rocprim17ROCPRIM_400000_NS6detail17trampoline_kernelINS0_14default_configENS1_38merge_sort_block_merge_config_selectorIlNS0_10empty_typeEEEZZNS1_27merge_sort_block_merge_implIS3_PlPS5_mZN2at6native12_GLOBAL__N_124unique_dim_cuda_templateIhEESt5tupleIJNSA_6TensorESF_SF_EERKSF_lbbbEUlllE_EE10hipError_tT0_T1_T2_jT3_P12ihipStream_tbPNSt15iterator_traitsISL_E10value_typeEPNSR_ISM_E10value_typeEPSN_NS1_7vsmem_tEENKUlT_SL_SM_SN_E_clIS8_S8_S9_S9_EESK_S10_SL_SM_SN_EUlS10_E1_NS1_11comp_targetILNS1_3genE4ELNS1_11target_archE910ELNS1_3gpuE8ELNS1_3repE0EEENS1_36merge_oddeven_config_static_selectorELNS0_4arch9wavefront6targetE0EEEvSM_,comdat
	.globl	_ZN7rocprim17ROCPRIM_400000_NS6detail17trampoline_kernelINS0_14default_configENS1_38merge_sort_block_merge_config_selectorIlNS0_10empty_typeEEEZZNS1_27merge_sort_block_merge_implIS3_PlPS5_mZN2at6native12_GLOBAL__N_124unique_dim_cuda_templateIhEESt5tupleIJNSA_6TensorESF_SF_EERKSF_lbbbEUlllE_EE10hipError_tT0_T1_T2_jT3_P12ihipStream_tbPNSt15iterator_traitsISL_E10value_typeEPNSR_ISM_E10value_typeEPSN_NS1_7vsmem_tEENKUlT_SL_SM_SN_E_clIS8_S8_S9_S9_EESK_S10_SL_SM_SN_EUlS10_E1_NS1_11comp_targetILNS1_3genE4ELNS1_11target_archE910ELNS1_3gpuE8ELNS1_3repE0EEENS1_36merge_oddeven_config_static_selectorELNS0_4arch9wavefront6targetE0EEEvSM_ ; -- Begin function _ZN7rocprim17ROCPRIM_400000_NS6detail17trampoline_kernelINS0_14default_configENS1_38merge_sort_block_merge_config_selectorIlNS0_10empty_typeEEEZZNS1_27merge_sort_block_merge_implIS3_PlPS5_mZN2at6native12_GLOBAL__N_124unique_dim_cuda_templateIhEESt5tupleIJNSA_6TensorESF_SF_EERKSF_lbbbEUlllE_EE10hipError_tT0_T1_T2_jT3_P12ihipStream_tbPNSt15iterator_traitsISL_E10value_typeEPNSR_ISM_E10value_typeEPSN_NS1_7vsmem_tEENKUlT_SL_SM_SN_E_clIS8_S8_S9_S9_EESK_S10_SL_SM_SN_EUlS10_E1_NS1_11comp_targetILNS1_3genE4ELNS1_11target_archE910ELNS1_3gpuE8ELNS1_3repE0EEENS1_36merge_oddeven_config_static_selectorELNS0_4arch9wavefront6targetE0EEEvSM_
	.p2align	8
	.type	_ZN7rocprim17ROCPRIM_400000_NS6detail17trampoline_kernelINS0_14default_configENS1_38merge_sort_block_merge_config_selectorIlNS0_10empty_typeEEEZZNS1_27merge_sort_block_merge_implIS3_PlPS5_mZN2at6native12_GLOBAL__N_124unique_dim_cuda_templateIhEESt5tupleIJNSA_6TensorESF_SF_EERKSF_lbbbEUlllE_EE10hipError_tT0_T1_T2_jT3_P12ihipStream_tbPNSt15iterator_traitsISL_E10value_typeEPNSR_ISM_E10value_typeEPSN_NS1_7vsmem_tEENKUlT_SL_SM_SN_E_clIS8_S8_S9_S9_EESK_S10_SL_SM_SN_EUlS10_E1_NS1_11comp_targetILNS1_3genE4ELNS1_11target_archE910ELNS1_3gpuE8ELNS1_3repE0EEENS1_36merge_oddeven_config_static_selectorELNS0_4arch9wavefront6targetE0EEEvSM_,@function
_ZN7rocprim17ROCPRIM_400000_NS6detail17trampoline_kernelINS0_14default_configENS1_38merge_sort_block_merge_config_selectorIlNS0_10empty_typeEEEZZNS1_27merge_sort_block_merge_implIS3_PlPS5_mZN2at6native12_GLOBAL__N_124unique_dim_cuda_templateIhEESt5tupleIJNSA_6TensorESF_SF_EERKSF_lbbbEUlllE_EE10hipError_tT0_T1_T2_jT3_P12ihipStream_tbPNSt15iterator_traitsISL_E10value_typeEPNSR_ISM_E10value_typeEPSN_NS1_7vsmem_tEENKUlT_SL_SM_SN_E_clIS8_S8_S9_S9_EESK_S10_SL_SM_SN_EUlS10_E1_NS1_11comp_targetILNS1_3genE4ELNS1_11target_archE910ELNS1_3gpuE8ELNS1_3repE0EEENS1_36merge_oddeven_config_static_selectorELNS0_4arch9wavefront6targetE0EEEvSM_: ; @_ZN7rocprim17ROCPRIM_400000_NS6detail17trampoline_kernelINS0_14default_configENS1_38merge_sort_block_merge_config_selectorIlNS0_10empty_typeEEEZZNS1_27merge_sort_block_merge_implIS3_PlPS5_mZN2at6native12_GLOBAL__N_124unique_dim_cuda_templateIhEESt5tupleIJNSA_6TensorESF_SF_EERKSF_lbbbEUlllE_EE10hipError_tT0_T1_T2_jT3_P12ihipStream_tbPNSt15iterator_traitsISL_E10value_typeEPNSR_ISM_E10value_typeEPSN_NS1_7vsmem_tEENKUlT_SL_SM_SN_E_clIS8_S8_S9_S9_EESK_S10_SL_SM_SN_EUlS10_E1_NS1_11comp_targetILNS1_3genE4ELNS1_11target_archE910ELNS1_3gpuE8ELNS1_3repE0EEENS1_36merge_oddeven_config_static_selectorELNS0_4arch9wavefront6targetE0EEEvSM_
; %bb.0:
	.section	.rodata,"a",@progbits
	.p2align	6, 0x0
	.amdhsa_kernel _ZN7rocprim17ROCPRIM_400000_NS6detail17trampoline_kernelINS0_14default_configENS1_38merge_sort_block_merge_config_selectorIlNS0_10empty_typeEEEZZNS1_27merge_sort_block_merge_implIS3_PlPS5_mZN2at6native12_GLOBAL__N_124unique_dim_cuda_templateIhEESt5tupleIJNSA_6TensorESF_SF_EERKSF_lbbbEUlllE_EE10hipError_tT0_T1_T2_jT3_P12ihipStream_tbPNSt15iterator_traitsISL_E10value_typeEPNSR_ISM_E10value_typeEPSN_NS1_7vsmem_tEENKUlT_SL_SM_SN_E_clIS8_S8_S9_S9_EESK_S10_SL_SM_SN_EUlS10_E1_NS1_11comp_targetILNS1_3genE4ELNS1_11target_archE910ELNS1_3gpuE8ELNS1_3repE0EEENS1_36merge_oddeven_config_static_selectorELNS0_4arch9wavefront6targetE0EEEvSM_
		.amdhsa_group_segment_fixed_size 0
		.amdhsa_private_segment_fixed_size 0
		.amdhsa_kernarg_size 64
		.amdhsa_user_sgpr_count 15
		.amdhsa_user_sgpr_dispatch_ptr 0
		.amdhsa_user_sgpr_queue_ptr 0
		.amdhsa_user_sgpr_kernarg_segment_ptr 1
		.amdhsa_user_sgpr_dispatch_id 0
		.amdhsa_user_sgpr_private_segment_size 0
		.amdhsa_wavefront_size32 1
		.amdhsa_uses_dynamic_stack 0
		.amdhsa_enable_private_segment 0
		.amdhsa_system_sgpr_workgroup_id_x 1
		.amdhsa_system_sgpr_workgroup_id_y 0
		.amdhsa_system_sgpr_workgroup_id_z 0
		.amdhsa_system_sgpr_workgroup_info 0
		.amdhsa_system_vgpr_workitem_id 0
		.amdhsa_next_free_vgpr 1
		.amdhsa_next_free_sgpr 1
		.amdhsa_reserve_vcc 0
		.amdhsa_float_round_mode_32 0
		.amdhsa_float_round_mode_16_64 0
		.amdhsa_float_denorm_mode_32 3
		.amdhsa_float_denorm_mode_16_64 3
		.amdhsa_dx10_clamp 1
		.amdhsa_ieee_mode 1
		.amdhsa_fp16_overflow 0
		.amdhsa_workgroup_processor_mode 1
		.amdhsa_memory_ordered 1
		.amdhsa_forward_progress 0
		.amdhsa_shared_vgpr_count 0
		.amdhsa_exception_fp_ieee_invalid_op 0
		.amdhsa_exception_fp_denorm_src 0
		.amdhsa_exception_fp_ieee_div_zero 0
		.amdhsa_exception_fp_ieee_overflow 0
		.amdhsa_exception_fp_ieee_underflow 0
		.amdhsa_exception_fp_ieee_inexact 0
		.amdhsa_exception_int_div_zero 0
	.end_amdhsa_kernel
	.section	.text._ZN7rocprim17ROCPRIM_400000_NS6detail17trampoline_kernelINS0_14default_configENS1_38merge_sort_block_merge_config_selectorIlNS0_10empty_typeEEEZZNS1_27merge_sort_block_merge_implIS3_PlPS5_mZN2at6native12_GLOBAL__N_124unique_dim_cuda_templateIhEESt5tupleIJNSA_6TensorESF_SF_EERKSF_lbbbEUlllE_EE10hipError_tT0_T1_T2_jT3_P12ihipStream_tbPNSt15iterator_traitsISL_E10value_typeEPNSR_ISM_E10value_typeEPSN_NS1_7vsmem_tEENKUlT_SL_SM_SN_E_clIS8_S8_S9_S9_EESK_S10_SL_SM_SN_EUlS10_E1_NS1_11comp_targetILNS1_3genE4ELNS1_11target_archE910ELNS1_3gpuE8ELNS1_3repE0EEENS1_36merge_oddeven_config_static_selectorELNS0_4arch9wavefront6targetE0EEEvSM_,"axG",@progbits,_ZN7rocprim17ROCPRIM_400000_NS6detail17trampoline_kernelINS0_14default_configENS1_38merge_sort_block_merge_config_selectorIlNS0_10empty_typeEEEZZNS1_27merge_sort_block_merge_implIS3_PlPS5_mZN2at6native12_GLOBAL__N_124unique_dim_cuda_templateIhEESt5tupleIJNSA_6TensorESF_SF_EERKSF_lbbbEUlllE_EE10hipError_tT0_T1_T2_jT3_P12ihipStream_tbPNSt15iterator_traitsISL_E10value_typeEPNSR_ISM_E10value_typeEPSN_NS1_7vsmem_tEENKUlT_SL_SM_SN_E_clIS8_S8_S9_S9_EESK_S10_SL_SM_SN_EUlS10_E1_NS1_11comp_targetILNS1_3genE4ELNS1_11target_archE910ELNS1_3gpuE8ELNS1_3repE0EEENS1_36merge_oddeven_config_static_selectorELNS0_4arch9wavefront6targetE0EEEvSM_,comdat
.Lfunc_end37:
	.size	_ZN7rocprim17ROCPRIM_400000_NS6detail17trampoline_kernelINS0_14default_configENS1_38merge_sort_block_merge_config_selectorIlNS0_10empty_typeEEEZZNS1_27merge_sort_block_merge_implIS3_PlPS5_mZN2at6native12_GLOBAL__N_124unique_dim_cuda_templateIhEESt5tupleIJNSA_6TensorESF_SF_EERKSF_lbbbEUlllE_EE10hipError_tT0_T1_T2_jT3_P12ihipStream_tbPNSt15iterator_traitsISL_E10value_typeEPNSR_ISM_E10value_typeEPSN_NS1_7vsmem_tEENKUlT_SL_SM_SN_E_clIS8_S8_S9_S9_EESK_S10_SL_SM_SN_EUlS10_E1_NS1_11comp_targetILNS1_3genE4ELNS1_11target_archE910ELNS1_3gpuE8ELNS1_3repE0EEENS1_36merge_oddeven_config_static_selectorELNS0_4arch9wavefront6targetE0EEEvSM_, .Lfunc_end37-_ZN7rocprim17ROCPRIM_400000_NS6detail17trampoline_kernelINS0_14default_configENS1_38merge_sort_block_merge_config_selectorIlNS0_10empty_typeEEEZZNS1_27merge_sort_block_merge_implIS3_PlPS5_mZN2at6native12_GLOBAL__N_124unique_dim_cuda_templateIhEESt5tupleIJNSA_6TensorESF_SF_EERKSF_lbbbEUlllE_EE10hipError_tT0_T1_T2_jT3_P12ihipStream_tbPNSt15iterator_traitsISL_E10value_typeEPNSR_ISM_E10value_typeEPSN_NS1_7vsmem_tEENKUlT_SL_SM_SN_E_clIS8_S8_S9_S9_EESK_S10_SL_SM_SN_EUlS10_E1_NS1_11comp_targetILNS1_3genE4ELNS1_11target_archE910ELNS1_3gpuE8ELNS1_3repE0EEENS1_36merge_oddeven_config_static_selectorELNS0_4arch9wavefront6targetE0EEEvSM_
                                        ; -- End function
	.section	.AMDGPU.csdata,"",@progbits
; Kernel info:
; codeLenInByte = 0
; NumSgprs: 0
; NumVgprs: 0
; ScratchSize: 0
; MemoryBound: 0
; FloatMode: 240
; IeeeMode: 1
; LDSByteSize: 0 bytes/workgroup (compile time only)
; SGPRBlocks: 0
; VGPRBlocks: 0
; NumSGPRsForWavesPerEU: 1
; NumVGPRsForWavesPerEU: 1
; Occupancy: 16
; WaveLimiterHint : 0
; COMPUTE_PGM_RSRC2:SCRATCH_EN: 0
; COMPUTE_PGM_RSRC2:USER_SGPR: 15
; COMPUTE_PGM_RSRC2:TRAP_HANDLER: 0
; COMPUTE_PGM_RSRC2:TGID_X_EN: 1
; COMPUTE_PGM_RSRC2:TGID_Y_EN: 0
; COMPUTE_PGM_RSRC2:TGID_Z_EN: 0
; COMPUTE_PGM_RSRC2:TIDIG_COMP_CNT: 0
	.section	.text._ZN7rocprim17ROCPRIM_400000_NS6detail17trampoline_kernelINS0_14default_configENS1_38merge_sort_block_merge_config_selectorIlNS0_10empty_typeEEEZZNS1_27merge_sort_block_merge_implIS3_PlPS5_mZN2at6native12_GLOBAL__N_124unique_dim_cuda_templateIhEESt5tupleIJNSA_6TensorESF_SF_EERKSF_lbbbEUlllE_EE10hipError_tT0_T1_T2_jT3_P12ihipStream_tbPNSt15iterator_traitsISL_E10value_typeEPNSR_ISM_E10value_typeEPSN_NS1_7vsmem_tEENKUlT_SL_SM_SN_E_clIS8_S8_S9_S9_EESK_S10_SL_SM_SN_EUlS10_E1_NS1_11comp_targetILNS1_3genE3ELNS1_11target_archE908ELNS1_3gpuE7ELNS1_3repE0EEENS1_36merge_oddeven_config_static_selectorELNS0_4arch9wavefront6targetE0EEEvSM_,"axG",@progbits,_ZN7rocprim17ROCPRIM_400000_NS6detail17trampoline_kernelINS0_14default_configENS1_38merge_sort_block_merge_config_selectorIlNS0_10empty_typeEEEZZNS1_27merge_sort_block_merge_implIS3_PlPS5_mZN2at6native12_GLOBAL__N_124unique_dim_cuda_templateIhEESt5tupleIJNSA_6TensorESF_SF_EERKSF_lbbbEUlllE_EE10hipError_tT0_T1_T2_jT3_P12ihipStream_tbPNSt15iterator_traitsISL_E10value_typeEPNSR_ISM_E10value_typeEPSN_NS1_7vsmem_tEENKUlT_SL_SM_SN_E_clIS8_S8_S9_S9_EESK_S10_SL_SM_SN_EUlS10_E1_NS1_11comp_targetILNS1_3genE3ELNS1_11target_archE908ELNS1_3gpuE7ELNS1_3repE0EEENS1_36merge_oddeven_config_static_selectorELNS0_4arch9wavefront6targetE0EEEvSM_,comdat
	.globl	_ZN7rocprim17ROCPRIM_400000_NS6detail17trampoline_kernelINS0_14default_configENS1_38merge_sort_block_merge_config_selectorIlNS0_10empty_typeEEEZZNS1_27merge_sort_block_merge_implIS3_PlPS5_mZN2at6native12_GLOBAL__N_124unique_dim_cuda_templateIhEESt5tupleIJNSA_6TensorESF_SF_EERKSF_lbbbEUlllE_EE10hipError_tT0_T1_T2_jT3_P12ihipStream_tbPNSt15iterator_traitsISL_E10value_typeEPNSR_ISM_E10value_typeEPSN_NS1_7vsmem_tEENKUlT_SL_SM_SN_E_clIS8_S8_S9_S9_EESK_S10_SL_SM_SN_EUlS10_E1_NS1_11comp_targetILNS1_3genE3ELNS1_11target_archE908ELNS1_3gpuE7ELNS1_3repE0EEENS1_36merge_oddeven_config_static_selectorELNS0_4arch9wavefront6targetE0EEEvSM_ ; -- Begin function _ZN7rocprim17ROCPRIM_400000_NS6detail17trampoline_kernelINS0_14default_configENS1_38merge_sort_block_merge_config_selectorIlNS0_10empty_typeEEEZZNS1_27merge_sort_block_merge_implIS3_PlPS5_mZN2at6native12_GLOBAL__N_124unique_dim_cuda_templateIhEESt5tupleIJNSA_6TensorESF_SF_EERKSF_lbbbEUlllE_EE10hipError_tT0_T1_T2_jT3_P12ihipStream_tbPNSt15iterator_traitsISL_E10value_typeEPNSR_ISM_E10value_typeEPSN_NS1_7vsmem_tEENKUlT_SL_SM_SN_E_clIS8_S8_S9_S9_EESK_S10_SL_SM_SN_EUlS10_E1_NS1_11comp_targetILNS1_3genE3ELNS1_11target_archE908ELNS1_3gpuE7ELNS1_3repE0EEENS1_36merge_oddeven_config_static_selectorELNS0_4arch9wavefront6targetE0EEEvSM_
	.p2align	8
	.type	_ZN7rocprim17ROCPRIM_400000_NS6detail17trampoline_kernelINS0_14default_configENS1_38merge_sort_block_merge_config_selectorIlNS0_10empty_typeEEEZZNS1_27merge_sort_block_merge_implIS3_PlPS5_mZN2at6native12_GLOBAL__N_124unique_dim_cuda_templateIhEESt5tupleIJNSA_6TensorESF_SF_EERKSF_lbbbEUlllE_EE10hipError_tT0_T1_T2_jT3_P12ihipStream_tbPNSt15iterator_traitsISL_E10value_typeEPNSR_ISM_E10value_typeEPSN_NS1_7vsmem_tEENKUlT_SL_SM_SN_E_clIS8_S8_S9_S9_EESK_S10_SL_SM_SN_EUlS10_E1_NS1_11comp_targetILNS1_3genE3ELNS1_11target_archE908ELNS1_3gpuE7ELNS1_3repE0EEENS1_36merge_oddeven_config_static_selectorELNS0_4arch9wavefront6targetE0EEEvSM_,@function
_ZN7rocprim17ROCPRIM_400000_NS6detail17trampoline_kernelINS0_14default_configENS1_38merge_sort_block_merge_config_selectorIlNS0_10empty_typeEEEZZNS1_27merge_sort_block_merge_implIS3_PlPS5_mZN2at6native12_GLOBAL__N_124unique_dim_cuda_templateIhEESt5tupleIJNSA_6TensorESF_SF_EERKSF_lbbbEUlllE_EE10hipError_tT0_T1_T2_jT3_P12ihipStream_tbPNSt15iterator_traitsISL_E10value_typeEPNSR_ISM_E10value_typeEPSN_NS1_7vsmem_tEENKUlT_SL_SM_SN_E_clIS8_S8_S9_S9_EESK_S10_SL_SM_SN_EUlS10_E1_NS1_11comp_targetILNS1_3genE3ELNS1_11target_archE908ELNS1_3gpuE7ELNS1_3repE0EEENS1_36merge_oddeven_config_static_selectorELNS0_4arch9wavefront6targetE0EEEvSM_: ; @_ZN7rocprim17ROCPRIM_400000_NS6detail17trampoline_kernelINS0_14default_configENS1_38merge_sort_block_merge_config_selectorIlNS0_10empty_typeEEEZZNS1_27merge_sort_block_merge_implIS3_PlPS5_mZN2at6native12_GLOBAL__N_124unique_dim_cuda_templateIhEESt5tupleIJNSA_6TensorESF_SF_EERKSF_lbbbEUlllE_EE10hipError_tT0_T1_T2_jT3_P12ihipStream_tbPNSt15iterator_traitsISL_E10value_typeEPNSR_ISM_E10value_typeEPSN_NS1_7vsmem_tEENKUlT_SL_SM_SN_E_clIS8_S8_S9_S9_EESK_S10_SL_SM_SN_EUlS10_E1_NS1_11comp_targetILNS1_3genE3ELNS1_11target_archE908ELNS1_3gpuE7ELNS1_3repE0EEENS1_36merge_oddeven_config_static_selectorELNS0_4arch9wavefront6targetE0EEEvSM_
; %bb.0:
	.section	.rodata,"a",@progbits
	.p2align	6, 0x0
	.amdhsa_kernel _ZN7rocprim17ROCPRIM_400000_NS6detail17trampoline_kernelINS0_14default_configENS1_38merge_sort_block_merge_config_selectorIlNS0_10empty_typeEEEZZNS1_27merge_sort_block_merge_implIS3_PlPS5_mZN2at6native12_GLOBAL__N_124unique_dim_cuda_templateIhEESt5tupleIJNSA_6TensorESF_SF_EERKSF_lbbbEUlllE_EE10hipError_tT0_T1_T2_jT3_P12ihipStream_tbPNSt15iterator_traitsISL_E10value_typeEPNSR_ISM_E10value_typeEPSN_NS1_7vsmem_tEENKUlT_SL_SM_SN_E_clIS8_S8_S9_S9_EESK_S10_SL_SM_SN_EUlS10_E1_NS1_11comp_targetILNS1_3genE3ELNS1_11target_archE908ELNS1_3gpuE7ELNS1_3repE0EEENS1_36merge_oddeven_config_static_selectorELNS0_4arch9wavefront6targetE0EEEvSM_
		.amdhsa_group_segment_fixed_size 0
		.amdhsa_private_segment_fixed_size 0
		.amdhsa_kernarg_size 64
		.amdhsa_user_sgpr_count 15
		.amdhsa_user_sgpr_dispatch_ptr 0
		.amdhsa_user_sgpr_queue_ptr 0
		.amdhsa_user_sgpr_kernarg_segment_ptr 1
		.amdhsa_user_sgpr_dispatch_id 0
		.amdhsa_user_sgpr_private_segment_size 0
		.amdhsa_wavefront_size32 1
		.amdhsa_uses_dynamic_stack 0
		.amdhsa_enable_private_segment 0
		.amdhsa_system_sgpr_workgroup_id_x 1
		.amdhsa_system_sgpr_workgroup_id_y 0
		.amdhsa_system_sgpr_workgroup_id_z 0
		.amdhsa_system_sgpr_workgroup_info 0
		.amdhsa_system_vgpr_workitem_id 0
		.amdhsa_next_free_vgpr 1
		.amdhsa_next_free_sgpr 1
		.amdhsa_reserve_vcc 0
		.amdhsa_float_round_mode_32 0
		.amdhsa_float_round_mode_16_64 0
		.amdhsa_float_denorm_mode_32 3
		.amdhsa_float_denorm_mode_16_64 3
		.amdhsa_dx10_clamp 1
		.amdhsa_ieee_mode 1
		.amdhsa_fp16_overflow 0
		.amdhsa_workgroup_processor_mode 1
		.amdhsa_memory_ordered 1
		.amdhsa_forward_progress 0
		.amdhsa_shared_vgpr_count 0
		.amdhsa_exception_fp_ieee_invalid_op 0
		.amdhsa_exception_fp_denorm_src 0
		.amdhsa_exception_fp_ieee_div_zero 0
		.amdhsa_exception_fp_ieee_overflow 0
		.amdhsa_exception_fp_ieee_underflow 0
		.amdhsa_exception_fp_ieee_inexact 0
		.amdhsa_exception_int_div_zero 0
	.end_amdhsa_kernel
	.section	.text._ZN7rocprim17ROCPRIM_400000_NS6detail17trampoline_kernelINS0_14default_configENS1_38merge_sort_block_merge_config_selectorIlNS0_10empty_typeEEEZZNS1_27merge_sort_block_merge_implIS3_PlPS5_mZN2at6native12_GLOBAL__N_124unique_dim_cuda_templateIhEESt5tupleIJNSA_6TensorESF_SF_EERKSF_lbbbEUlllE_EE10hipError_tT0_T1_T2_jT3_P12ihipStream_tbPNSt15iterator_traitsISL_E10value_typeEPNSR_ISM_E10value_typeEPSN_NS1_7vsmem_tEENKUlT_SL_SM_SN_E_clIS8_S8_S9_S9_EESK_S10_SL_SM_SN_EUlS10_E1_NS1_11comp_targetILNS1_3genE3ELNS1_11target_archE908ELNS1_3gpuE7ELNS1_3repE0EEENS1_36merge_oddeven_config_static_selectorELNS0_4arch9wavefront6targetE0EEEvSM_,"axG",@progbits,_ZN7rocprim17ROCPRIM_400000_NS6detail17trampoline_kernelINS0_14default_configENS1_38merge_sort_block_merge_config_selectorIlNS0_10empty_typeEEEZZNS1_27merge_sort_block_merge_implIS3_PlPS5_mZN2at6native12_GLOBAL__N_124unique_dim_cuda_templateIhEESt5tupleIJNSA_6TensorESF_SF_EERKSF_lbbbEUlllE_EE10hipError_tT0_T1_T2_jT3_P12ihipStream_tbPNSt15iterator_traitsISL_E10value_typeEPNSR_ISM_E10value_typeEPSN_NS1_7vsmem_tEENKUlT_SL_SM_SN_E_clIS8_S8_S9_S9_EESK_S10_SL_SM_SN_EUlS10_E1_NS1_11comp_targetILNS1_3genE3ELNS1_11target_archE908ELNS1_3gpuE7ELNS1_3repE0EEENS1_36merge_oddeven_config_static_selectorELNS0_4arch9wavefront6targetE0EEEvSM_,comdat
.Lfunc_end38:
	.size	_ZN7rocprim17ROCPRIM_400000_NS6detail17trampoline_kernelINS0_14default_configENS1_38merge_sort_block_merge_config_selectorIlNS0_10empty_typeEEEZZNS1_27merge_sort_block_merge_implIS3_PlPS5_mZN2at6native12_GLOBAL__N_124unique_dim_cuda_templateIhEESt5tupleIJNSA_6TensorESF_SF_EERKSF_lbbbEUlllE_EE10hipError_tT0_T1_T2_jT3_P12ihipStream_tbPNSt15iterator_traitsISL_E10value_typeEPNSR_ISM_E10value_typeEPSN_NS1_7vsmem_tEENKUlT_SL_SM_SN_E_clIS8_S8_S9_S9_EESK_S10_SL_SM_SN_EUlS10_E1_NS1_11comp_targetILNS1_3genE3ELNS1_11target_archE908ELNS1_3gpuE7ELNS1_3repE0EEENS1_36merge_oddeven_config_static_selectorELNS0_4arch9wavefront6targetE0EEEvSM_, .Lfunc_end38-_ZN7rocprim17ROCPRIM_400000_NS6detail17trampoline_kernelINS0_14default_configENS1_38merge_sort_block_merge_config_selectorIlNS0_10empty_typeEEEZZNS1_27merge_sort_block_merge_implIS3_PlPS5_mZN2at6native12_GLOBAL__N_124unique_dim_cuda_templateIhEESt5tupleIJNSA_6TensorESF_SF_EERKSF_lbbbEUlllE_EE10hipError_tT0_T1_T2_jT3_P12ihipStream_tbPNSt15iterator_traitsISL_E10value_typeEPNSR_ISM_E10value_typeEPSN_NS1_7vsmem_tEENKUlT_SL_SM_SN_E_clIS8_S8_S9_S9_EESK_S10_SL_SM_SN_EUlS10_E1_NS1_11comp_targetILNS1_3genE3ELNS1_11target_archE908ELNS1_3gpuE7ELNS1_3repE0EEENS1_36merge_oddeven_config_static_selectorELNS0_4arch9wavefront6targetE0EEEvSM_
                                        ; -- End function
	.section	.AMDGPU.csdata,"",@progbits
; Kernel info:
; codeLenInByte = 0
; NumSgprs: 0
; NumVgprs: 0
; ScratchSize: 0
; MemoryBound: 0
; FloatMode: 240
; IeeeMode: 1
; LDSByteSize: 0 bytes/workgroup (compile time only)
; SGPRBlocks: 0
; VGPRBlocks: 0
; NumSGPRsForWavesPerEU: 1
; NumVGPRsForWavesPerEU: 1
; Occupancy: 16
; WaveLimiterHint : 0
; COMPUTE_PGM_RSRC2:SCRATCH_EN: 0
; COMPUTE_PGM_RSRC2:USER_SGPR: 15
; COMPUTE_PGM_RSRC2:TRAP_HANDLER: 0
; COMPUTE_PGM_RSRC2:TGID_X_EN: 1
; COMPUTE_PGM_RSRC2:TGID_Y_EN: 0
; COMPUTE_PGM_RSRC2:TGID_Z_EN: 0
; COMPUTE_PGM_RSRC2:TIDIG_COMP_CNT: 0
	.section	.text._ZN7rocprim17ROCPRIM_400000_NS6detail17trampoline_kernelINS0_14default_configENS1_38merge_sort_block_merge_config_selectorIlNS0_10empty_typeEEEZZNS1_27merge_sort_block_merge_implIS3_PlPS5_mZN2at6native12_GLOBAL__N_124unique_dim_cuda_templateIhEESt5tupleIJNSA_6TensorESF_SF_EERKSF_lbbbEUlllE_EE10hipError_tT0_T1_T2_jT3_P12ihipStream_tbPNSt15iterator_traitsISL_E10value_typeEPNSR_ISM_E10value_typeEPSN_NS1_7vsmem_tEENKUlT_SL_SM_SN_E_clIS8_S8_S9_S9_EESK_S10_SL_SM_SN_EUlS10_E1_NS1_11comp_targetILNS1_3genE2ELNS1_11target_archE906ELNS1_3gpuE6ELNS1_3repE0EEENS1_36merge_oddeven_config_static_selectorELNS0_4arch9wavefront6targetE0EEEvSM_,"axG",@progbits,_ZN7rocprim17ROCPRIM_400000_NS6detail17trampoline_kernelINS0_14default_configENS1_38merge_sort_block_merge_config_selectorIlNS0_10empty_typeEEEZZNS1_27merge_sort_block_merge_implIS3_PlPS5_mZN2at6native12_GLOBAL__N_124unique_dim_cuda_templateIhEESt5tupleIJNSA_6TensorESF_SF_EERKSF_lbbbEUlllE_EE10hipError_tT0_T1_T2_jT3_P12ihipStream_tbPNSt15iterator_traitsISL_E10value_typeEPNSR_ISM_E10value_typeEPSN_NS1_7vsmem_tEENKUlT_SL_SM_SN_E_clIS8_S8_S9_S9_EESK_S10_SL_SM_SN_EUlS10_E1_NS1_11comp_targetILNS1_3genE2ELNS1_11target_archE906ELNS1_3gpuE6ELNS1_3repE0EEENS1_36merge_oddeven_config_static_selectorELNS0_4arch9wavefront6targetE0EEEvSM_,comdat
	.globl	_ZN7rocprim17ROCPRIM_400000_NS6detail17trampoline_kernelINS0_14default_configENS1_38merge_sort_block_merge_config_selectorIlNS0_10empty_typeEEEZZNS1_27merge_sort_block_merge_implIS3_PlPS5_mZN2at6native12_GLOBAL__N_124unique_dim_cuda_templateIhEESt5tupleIJNSA_6TensorESF_SF_EERKSF_lbbbEUlllE_EE10hipError_tT0_T1_T2_jT3_P12ihipStream_tbPNSt15iterator_traitsISL_E10value_typeEPNSR_ISM_E10value_typeEPSN_NS1_7vsmem_tEENKUlT_SL_SM_SN_E_clIS8_S8_S9_S9_EESK_S10_SL_SM_SN_EUlS10_E1_NS1_11comp_targetILNS1_3genE2ELNS1_11target_archE906ELNS1_3gpuE6ELNS1_3repE0EEENS1_36merge_oddeven_config_static_selectorELNS0_4arch9wavefront6targetE0EEEvSM_ ; -- Begin function _ZN7rocprim17ROCPRIM_400000_NS6detail17trampoline_kernelINS0_14default_configENS1_38merge_sort_block_merge_config_selectorIlNS0_10empty_typeEEEZZNS1_27merge_sort_block_merge_implIS3_PlPS5_mZN2at6native12_GLOBAL__N_124unique_dim_cuda_templateIhEESt5tupleIJNSA_6TensorESF_SF_EERKSF_lbbbEUlllE_EE10hipError_tT0_T1_T2_jT3_P12ihipStream_tbPNSt15iterator_traitsISL_E10value_typeEPNSR_ISM_E10value_typeEPSN_NS1_7vsmem_tEENKUlT_SL_SM_SN_E_clIS8_S8_S9_S9_EESK_S10_SL_SM_SN_EUlS10_E1_NS1_11comp_targetILNS1_3genE2ELNS1_11target_archE906ELNS1_3gpuE6ELNS1_3repE0EEENS1_36merge_oddeven_config_static_selectorELNS0_4arch9wavefront6targetE0EEEvSM_
	.p2align	8
	.type	_ZN7rocprim17ROCPRIM_400000_NS6detail17trampoline_kernelINS0_14default_configENS1_38merge_sort_block_merge_config_selectorIlNS0_10empty_typeEEEZZNS1_27merge_sort_block_merge_implIS3_PlPS5_mZN2at6native12_GLOBAL__N_124unique_dim_cuda_templateIhEESt5tupleIJNSA_6TensorESF_SF_EERKSF_lbbbEUlllE_EE10hipError_tT0_T1_T2_jT3_P12ihipStream_tbPNSt15iterator_traitsISL_E10value_typeEPNSR_ISM_E10value_typeEPSN_NS1_7vsmem_tEENKUlT_SL_SM_SN_E_clIS8_S8_S9_S9_EESK_S10_SL_SM_SN_EUlS10_E1_NS1_11comp_targetILNS1_3genE2ELNS1_11target_archE906ELNS1_3gpuE6ELNS1_3repE0EEENS1_36merge_oddeven_config_static_selectorELNS0_4arch9wavefront6targetE0EEEvSM_,@function
_ZN7rocprim17ROCPRIM_400000_NS6detail17trampoline_kernelINS0_14default_configENS1_38merge_sort_block_merge_config_selectorIlNS0_10empty_typeEEEZZNS1_27merge_sort_block_merge_implIS3_PlPS5_mZN2at6native12_GLOBAL__N_124unique_dim_cuda_templateIhEESt5tupleIJNSA_6TensorESF_SF_EERKSF_lbbbEUlllE_EE10hipError_tT0_T1_T2_jT3_P12ihipStream_tbPNSt15iterator_traitsISL_E10value_typeEPNSR_ISM_E10value_typeEPSN_NS1_7vsmem_tEENKUlT_SL_SM_SN_E_clIS8_S8_S9_S9_EESK_S10_SL_SM_SN_EUlS10_E1_NS1_11comp_targetILNS1_3genE2ELNS1_11target_archE906ELNS1_3gpuE6ELNS1_3repE0EEENS1_36merge_oddeven_config_static_selectorELNS0_4arch9wavefront6targetE0EEEvSM_: ; @_ZN7rocprim17ROCPRIM_400000_NS6detail17trampoline_kernelINS0_14default_configENS1_38merge_sort_block_merge_config_selectorIlNS0_10empty_typeEEEZZNS1_27merge_sort_block_merge_implIS3_PlPS5_mZN2at6native12_GLOBAL__N_124unique_dim_cuda_templateIhEESt5tupleIJNSA_6TensorESF_SF_EERKSF_lbbbEUlllE_EE10hipError_tT0_T1_T2_jT3_P12ihipStream_tbPNSt15iterator_traitsISL_E10value_typeEPNSR_ISM_E10value_typeEPSN_NS1_7vsmem_tEENKUlT_SL_SM_SN_E_clIS8_S8_S9_S9_EESK_S10_SL_SM_SN_EUlS10_E1_NS1_11comp_targetILNS1_3genE2ELNS1_11target_archE906ELNS1_3gpuE6ELNS1_3repE0EEENS1_36merge_oddeven_config_static_selectorELNS0_4arch9wavefront6targetE0EEEvSM_
; %bb.0:
	.section	.rodata,"a",@progbits
	.p2align	6, 0x0
	.amdhsa_kernel _ZN7rocprim17ROCPRIM_400000_NS6detail17trampoline_kernelINS0_14default_configENS1_38merge_sort_block_merge_config_selectorIlNS0_10empty_typeEEEZZNS1_27merge_sort_block_merge_implIS3_PlPS5_mZN2at6native12_GLOBAL__N_124unique_dim_cuda_templateIhEESt5tupleIJNSA_6TensorESF_SF_EERKSF_lbbbEUlllE_EE10hipError_tT0_T1_T2_jT3_P12ihipStream_tbPNSt15iterator_traitsISL_E10value_typeEPNSR_ISM_E10value_typeEPSN_NS1_7vsmem_tEENKUlT_SL_SM_SN_E_clIS8_S8_S9_S9_EESK_S10_SL_SM_SN_EUlS10_E1_NS1_11comp_targetILNS1_3genE2ELNS1_11target_archE906ELNS1_3gpuE6ELNS1_3repE0EEENS1_36merge_oddeven_config_static_selectorELNS0_4arch9wavefront6targetE0EEEvSM_
		.amdhsa_group_segment_fixed_size 0
		.amdhsa_private_segment_fixed_size 0
		.amdhsa_kernarg_size 64
		.amdhsa_user_sgpr_count 15
		.amdhsa_user_sgpr_dispatch_ptr 0
		.amdhsa_user_sgpr_queue_ptr 0
		.amdhsa_user_sgpr_kernarg_segment_ptr 1
		.amdhsa_user_sgpr_dispatch_id 0
		.amdhsa_user_sgpr_private_segment_size 0
		.amdhsa_wavefront_size32 1
		.amdhsa_uses_dynamic_stack 0
		.amdhsa_enable_private_segment 0
		.amdhsa_system_sgpr_workgroup_id_x 1
		.amdhsa_system_sgpr_workgroup_id_y 0
		.amdhsa_system_sgpr_workgroup_id_z 0
		.amdhsa_system_sgpr_workgroup_info 0
		.amdhsa_system_vgpr_workitem_id 0
		.amdhsa_next_free_vgpr 1
		.amdhsa_next_free_sgpr 1
		.amdhsa_reserve_vcc 0
		.amdhsa_float_round_mode_32 0
		.amdhsa_float_round_mode_16_64 0
		.amdhsa_float_denorm_mode_32 3
		.amdhsa_float_denorm_mode_16_64 3
		.amdhsa_dx10_clamp 1
		.amdhsa_ieee_mode 1
		.amdhsa_fp16_overflow 0
		.amdhsa_workgroup_processor_mode 1
		.amdhsa_memory_ordered 1
		.amdhsa_forward_progress 0
		.amdhsa_shared_vgpr_count 0
		.amdhsa_exception_fp_ieee_invalid_op 0
		.amdhsa_exception_fp_denorm_src 0
		.amdhsa_exception_fp_ieee_div_zero 0
		.amdhsa_exception_fp_ieee_overflow 0
		.amdhsa_exception_fp_ieee_underflow 0
		.amdhsa_exception_fp_ieee_inexact 0
		.amdhsa_exception_int_div_zero 0
	.end_amdhsa_kernel
	.section	.text._ZN7rocprim17ROCPRIM_400000_NS6detail17trampoline_kernelINS0_14default_configENS1_38merge_sort_block_merge_config_selectorIlNS0_10empty_typeEEEZZNS1_27merge_sort_block_merge_implIS3_PlPS5_mZN2at6native12_GLOBAL__N_124unique_dim_cuda_templateIhEESt5tupleIJNSA_6TensorESF_SF_EERKSF_lbbbEUlllE_EE10hipError_tT0_T1_T2_jT3_P12ihipStream_tbPNSt15iterator_traitsISL_E10value_typeEPNSR_ISM_E10value_typeEPSN_NS1_7vsmem_tEENKUlT_SL_SM_SN_E_clIS8_S8_S9_S9_EESK_S10_SL_SM_SN_EUlS10_E1_NS1_11comp_targetILNS1_3genE2ELNS1_11target_archE906ELNS1_3gpuE6ELNS1_3repE0EEENS1_36merge_oddeven_config_static_selectorELNS0_4arch9wavefront6targetE0EEEvSM_,"axG",@progbits,_ZN7rocprim17ROCPRIM_400000_NS6detail17trampoline_kernelINS0_14default_configENS1_38merge_sort_block_merge_config_selectorIlNS0_10empty_typeEEEZZNS1_27merge_sort_block_merge_implIS3_PlPS5_mZN2at6native12_GLOBAL__N_124unique_dim_cuda_templateIhEESt5tupleIJNSA_6TensorESF_SF_EERKSF_lbbbEUlllE_EE10hipError_tT0_T1_T2_jT3_P12ihipStream_tbPNSt15iterator_traitsISL_E10value_typeEPNSR_ISM_E10value_typeEPSN_NS1_7vsmem_tEENKUlT_SL_SM_SN_E_clIS8_S8_S9_S9_EESK_S10_SL_SM_SN_EUlS10_E1_NS1_11comp_targetILNS1_3genE2ELNS1_11target_archE906ELNS1_3gpuE6ELNS1_3repE0EEENS1_36merge_oddeven_config_static_selectorELNS0_4arch9wavefront6targetE0EEEvSM_,comdat
.Lfunc_end39:
	.size	_ZN7rocprim17ROCPRIM_400000_NS6detail17trampoline_kernelINS0_14default_configENS1_38merge_sort_block_merge_config_selectorIlNS0_10empty_typeEEEZZNS1_27merge_sort_block_merge_implIS3_PlPS5_mZN2at6native12_GLOBAL__N_124unique_dim_cuda_templateIhEESt5tupleIJNSA_6TensorESF_SF_EERKSF_lbbbEUlllE_EE10hipError_tT0_T1_T2_jT3_P12ihipStream_tbPNSt15iterator_traitsISL_E10value_typeEPNSR_ISM_E10value_typeEPSN_NS1_7vsmem_tEENKUlT_SL_SM_SN_E_clIS8_S8_S9_S9_EESK_S10_SL_SM_SN_EUlS10_E1_NS1_11comp_targetILNS1_3genE2ELNS1_11target_archE906ELNS1_3gpuE6ELNS1_3repE0EEENS1_36merge_oddeven_config_static_selectorELNS0_4arch9wavefront6targetE0EEEvSM_, .Lfunc_end39-_ZN7rocprim17ROCPRIM_400000_NS6detail17trampoline_kernelINS0_14default_configENS1_38merge_sort_block_merge_config_selectorIlNS0_10empty_typeEEEZZNS1_27merge_sort_block_merge_implIS3_PlPS5_mZN2at6native12_GLOBAL__N_124unique_dim_cuda_templateIhEESt5tupleIJNSA_6TensorESF_SF_EERKSF_lbbbEUlllE_EE10hipError_tT0_T1_T2_jT3_P12ihipStream_tbPNSt15iterator_traitsISL_E10value_typeEPNSR_ISM_E10value_typeEPSN_NS1_7vsmem_tEENKUlT_SL_SM_SN_E_clIS8_S8_S9_S9_EESK_S10_SL_SM_SN_EUlS10_E1_NS1_11comp_targetILNS1_3genE2ELNS1_11target_archE906ELNS1_3gpuE6ELNS1_3repE0EEENS1_36merge_oddeven_config_static_selectorELNS0_4arch9wavefront6targetE0EEEvSM_
                                        ; -- End function
	.section	.AMDGPU.csdata,"",@progbits
; Kernel info:
; codeLenInByte = 0
; NumSgprs: 0
; NumVgprs: 0
; ScratchSize: 0
; MemoryBound: 0
; FloatMode: 240
; IeeeMode: 1
; LDSByteSize: 0 bytes/workgroup (compile time only)
; SGPRBlocks: 0
; VGPRBlocks: 0
; NumSGPRsForWavesPerEU: 1
; NumVGPRsForWavesPerEU: 1
; Occupancy: 16
; WaveLimiterHint : 0
; COMPUTE_PGM_RSRC2:SCRATCH_EN: 0
; COMPUTE_PGM_RSRC2:USER_SGPR: 15
; COMPUTE_PGM_RSRC2:TRAP_HANDLER: 0
; COMPUTE_PGM_RSRC2:TGID_X_EN: 1
; COMPUTE_PGM_RSRC2:TGID_Y_EN: 0
; COMPUTE_PGM_RSRC2:TGID_Z_EN: 0
; COMPUTE_PGM_RSRC2:TIDIG_COMP_CNT: 0
	.section	.text._ZN7rocprim17ROCPRIM_400000_NS6detail17trampoline_kernelINS0_14default_configENS1_38merge_sort_block_merge_config_selectorIlNS0_10empty_typeEEEZZNS1_27merge_sort_block_merge_implIS3_PlPS5_mZN2at6native12_GLOBAL__N_124unique_dim_cuda_templateIhEESt5tupleIJNSA_6TensorESF_SF_EERKSF_lbbbEUlllE_EE10hipError_tT0_T1_T2_jT3_P12ihipStream_tbPNSt15iterator_traitsISL_E10value_typeEPNSR_ISM_E10value_typeEPSN_NS1_7vsmem_tEENKUlT_SL_SM_SN_E_clIS8_S8_S9_S9_EESK_S10_SL_SM_SN_EUlS10_E1_NS1_11comp_targetILNS1_3genE9ELNS1_11target_archE1100ELNS1_3gpuE3ELNS1_3repE0EEENS1_36merge_oddeven_config_static_selectorELNS0_4arch9wavefront6targetE0EEEvSM_,"axG",@progbits,_ZN7rocprim17ROCPRIM_400000_NS6detail17trampoline_kernelINS0_14default_configENS1_38merge_sort_block_merge_config_selectorIlNS0_10empty_typeEEEZZNS1_27merge_sort_block_merge_implIS3_PlPS5_mZN2at6native12_GLOBAL__N_124unique_dim_cuda_templateIhEESt5tupleIJNSA_6TensorESF_SF_EERKSF_lbbbEUlllE_EE10hipError_tT0_T1_T2_jT3_P12ihipStream_tbPNSt15iterator_traitsISL_E10value_typeEPNSR_ISM_E10value_typeEPSN_NS1_7vsmem_tEENKUlT_SL_SM_SN_E_clIS8_S8_S9_S9_EESK_S10_SL_SM_SN_EUlS10_E1_NS1_11comp_targetILNS1_3genE9ELNS1_11target_archE1100ELNS1_3gpuE3ELNS1_3repE0EEENS1_36merge_oddeven_config_static_selectorELNS0_4arch9wavefront6targetE0EEEvSM_,comdat
	.globl	_ZN7rocprim17ROCPRIM_400000_NS6detail17trampoline_kernelINS0_14default_configENS1_38merge_sort_block_merge_config_selectorIlNS0_10empty_typeEEEZZNS1_27merge_sort_block_merge_implIS3_PlPS5_mZN2at6native12_GLOBAL__N_124unique_dim_cuda_templateIhEESt5tupleIJNSA_6TensorESF_SF_EERKSF_lbbbEUlllE_EE10hipError_tT0_T1_T2_jT3_P12ihipStream_tbPNSt15iterator_traitsISL_E10value_typeEPNSR_ISM_E10value_typeEPSN_NS1_7vsmem_tEENKUlT_SL_SM_SN_E_clIS8_S8_S9_S9_EESK_S10_SL_SM_SN_EUlS10_E1_NS1_11comp_targetILNS1_3genE9ELNS1_11target_archE1100ELNS1_3gpuE3ELNS1_3repE0EEENS1_36merge_oddeven_config_static_selectorELNS0_4arch9wavefront6targetE0EEEvSM_ ; -- Begin function _ZN7rocprim17ROCPRIM_400000_NS6detail17trampoline_kernelINS0_14default_configENS1_38merge_sort_block_merge_config_selectorIlNS0_10empty_typeEEEZZNS1_27merge_sort_block_merge_implIS3_PlPS5_mZN2at6native12_GLOBAL__N_124unique_dim_cuda_templateIhEESt5tupleIJNSA_6TensorESF_SF_EERKSF_lbbbEUlllE_EE10hipError_tT0_T1_T2_jT3_P12ihipStream_tbPNSt15iterator_traitsISL_E10value_typeEPNSR_ISM_E10value_typeEPSN_NS1_7vsmem_tEENKUlT_SL_SM_SN_E_clIS8_S8_S9_S9_EESK_S10_SL_SM_SN_EUlS10_E1_NS1_11comp_targetILNS1_3genE9ELNS1_11target_archE1100ELNS1_3gpuE3ELNS1_3repE0EEENS1_36merge_oddeven_config_static_selectorELNS0_4arch9wavefront6targetE0EEEvSM_
	.p2align	8
	.type	_ZN7rocprim17ROCPRIM_400000_NS6detail17trampoline_kernelINS0_14default_configENS1_38merge_sort_block_merge_config_selectorIlNS0_10empty_typeEEEZZNS1_27merge_sort_block_merge_implIS3_PlPS5_mZN2at6native12_GLOBAL__N_124unique_dim_cuda_templateIhEESt5tupleIJNSA_6TensorESF_SF_EERKSF_lbbbEUlllE_EE10hipError_tT0_T1_T2_jT3_P12ihipStream_tbPNSt15iterator_traitsISL_E10value_typeEPNSR_ISM_E10value_typeEPSN_NS1_7vsmem_tEENKUlT_SL_SM_SN_E_clIS8_S8_S9_S9_EESK_S10_SL_SM_SN_EUlS10_E1_NS1_11comp_targetILNS1_3genE9ELNS1_11target_archE1100ELNS1_3gpuE3ELNS1_3repE0EEENS1_36merge_oddeven_config_static_selectorELNS0_4arch9wavefront6targetE0EEEvSM_,@function
_ZN7rocprim17ROCPRIM_400000_NS6detail17trampoline_kernelINS0_14default_configENS1_38merge_sort_block_merge_config_selectorIlNS0_10empty_typeEEEZZNS1_27merge_sort_block_merge_implIS3_PlPS5_mZN2at6native12_GLOBAL__N_124unique_dim_cuda_templateIhEESt5tupleIJNSA_6TensorESF_SF_EERKSF_lbbbEUlllE_EE10hipError_tT0_T1_T2_jT3_P12ihipStream_tbPNSt15iterator_traitsISL_E10value_typeEPNSR_ISM_E10value_typeEPSN_NS1_7vsmem_tEENKUlT_SL_SM_SN_E_clIS8_S8_S9_S9_EESK_S10_SL_SM_SN_EUlS10_E1_NS1_11comp_targetILNS1_3genE9ELNS1_11target_archE1100ELNS1_3gpuE3ELNS1_3repE0EEENS1_36merge_oddeven_config_static_selectorELNS0_4arch9wavefront6targetE0EEEvSM_: ; @_ZN7rocprim17ROCPRIM_400000_NS6detail17trampoline_kernelINS0_14default_configENS1_38merge_sort_block_merge_config_selectorIlNS0_10empty_typeEEEZZNS1_27merge_sort_block_merge_implIS3_PlPS5_mZN2at6native12_GLOBAL__N_124unique_dim_cuda_templateIhEESt5tupleIJNSA_6TensorESF_SF_EERKSF_lbbbEUlllE_EE10hipError_tT0_T1_T2_jT3_P12ihipStream_tbPNSt15iterator_traitsISL_E10value_typeEPNSR_ISM_E10value_typeEPSN_NS1_7vsmem_tEENKUlT_SL_SM_SN_E_clIS8_S8_S9_S9_EESK_S10_SL_SM_SN_EUlS10_E1_NS1_11comp_targetILNS1_3genE9ELNS1_11target_archE1100ELNS1_3gpuE3ELNS1_3repE0EEENS1_36merge_oddeven_config_static_selectorELNS0_4arch9wavefront6targetE0EEEvSM_
; %bb.0:
	s_load_b32 s3, s[0:1], 0x20
	s_waitcnt lgkmcnt(0)
	s_lshr_b32 s2, s3, 8
	s_delay_alu instid0(SALU_CYCLE_1) | instskip(SKIP_4) | instid1(SALU_CYCLE_1)
	s_cmp_lg_u32 s15, s2
	s_cselect_b32 s8, -1, 0
	s_cmp_eq_u32 s15, s2
	s_cselect_b32 s16, -1, 0
	s_lshl_b32 s12, s15, 8
	s_sub_i32 s2, s3, s12
	s_delay_alu instid0(SALU_CYCLE_1) | instskip(NEXT) | instid1(VALU_DEP_1)
	v_cmp_gt_u32_e64 s2, s2, v0
	s_or_b32 s4, s8, s2
	s_delay_alu instid0(SALU_CYCLE_1)
	s_and_saveexec_b32 s5, s4
	s_cbranch_execz .LBB40_54
; %bb.1:
	s_clause 0x1
	s_load_b128 s[4:7], s[0:1], 0x0
	s_load_b32 s17, s[0:1], 0x28
	s_mov_b32 s13, 0
	v_lshlrev_b32_e32 v1, 3, v0
	s_lshl_b64 s[10:11], s[12:13], 3
	s_waitcnt lgkmcnt(0)
	s_add_u32 s10, s4, s10
	s_addc_u32 s11, s5, s11
	s_lshr_b32 s9, s17, 8
	global_load_b64 v[1:2], v1, s[10:11]
	s_sub_i32 s10, 0, s9
	s_delay_alu instid0(SALU_CYCLE_1) | instskip(NEXT) | instid1(SALU_CYCLE_1)
	s_and_b32 s10, s15, s10
	s_and_b32 s9, s10, s9
	s_delay_alu instid0(SALU_CYCLE_1)
	s_cmp_lg_u32 s9, 0
	s_cselect_b32 s14, -1, 0
	s_lshl_b32 s18, s10, 8
	s_sub_i32 s10, 0, s17
	s_cmp_eq_u32 s9, 0
	s_cselect_b32 s15, s17, s10
	s_delay_alu instid0(SALU_CYCLE_1) | instskip(NEXT) | instid1(SALU_CYCLE_1)
	s_add_i32 s15, s15, s18
	s_cmp_lt_u32 s15, s3
	s_cbranch_scc1 .LBB40_3
; %bb.2:
	v_add_nc_u32_e32 v3, s12, v0
	s_delay_alu instid0(VALU_DEP_1) | instskip(SKIP_1) | instid1(SALU_CYCLE_1)
	v_cmp_gt_u32_e32 vcc_lo, s3, v3
	s_or_b32 s9, vcc_lo, s8
	s_and_b32 s13, s9, exec_lo
	s_cbranch_execz .LBB40_4
	s_branch .LBB40_52
.LBB40_3:
                                        ; implicit-def: $vgpr3
.LBB40_4:
	s_load_b128 s[8:11], s[0:1], 0x30
	v_add_nc_u32_e32 v0, s12, v0
	s_min_u32 s1, s15, s3
	s_and_b32 vcc_lo, exec_lo, s16
	s_add_i32 s0, s18, s1
	s_add_i32 s12, s1, s17
	v_subrev_nc_u32_e32 v0, s0, v0
	s_min_u32 s0, s18, s1
	s_min_u32 s12, s12, s3
	s_delay_alu instid0(VALU_DEP_1)
	v_add_nc_u32_e32 v0, s0, v0
	s_cbranch_vccz .LBB40_26
; %bb.5:
                                        ; implicit-def: $vgpr3
	s_and_saveexec_b32 s16, s2
	s_cbranch_execz .LBB40_29
; %bb.6:
	v_mov_b32_e32 v13, s1
	s_cmp_ge_u32 s15, s12
	s_cbranch_scc1 .LBB40_28
; %bb.7:
	s_waitcnt vmcnt(0) lgkmcnt(0)
	v_mad_u64_u32 v[3:4], null, v1, s8, s[10:11]
	v_mul_lo_u32 v5, v1, s9
	v_mul_lo_u32 v7, v2, s8
	v_cmp_gt_i64_e64 s17, s[8:9], 0
	v_dual_mov_b32 v14, s12 :: v_dual_mov_b32 v13, s1
	v_mov_b32_e32 v6, 0
	s_mov_b32 s18, 0
	s_delay_alu instid0(VALU_DEP_4)
	v_add3_u32 v4, v7, v4, v5
	s_branch .LBB40_10
.LBB40_8:                               ;   in Loop: Header=BB40_10 Depth=1
	s_or_b32 exec_lo, exec_lo, s20
.LBB40_9:                               ;   in Loop: Header=BB40_10 Depth=1
	s_waitcnt vmcnt(0)
	v_add_nc_u32_e32 v7, 1, v5
	v_cndmask_b32_e64 v14, v5, v14, s19
	s_delay_alu instid0(VALU_DEP_2) | instskip(NEXT) | instid1(VALU_DEP_1)
	v_cndmask_b32_e64 v13, v13, v7, s19
	v_cmp_ge_u32_e32 vcc_lo, v13, v14
	s_or_b32 s18, vcc_lo, s18
	s_delay_alu instid0(SALU_CYCLE_1)
	s_and_not1_b32 exec_lo, exec_lo, s18
	s_cbranch_execz .LBB40_27
.LBB40_10:                              ; =>This Loop Header: Depth=1
                                        ;     Child Loop BB40_14 Depth 2
                                        ;     Child Loop BB40_23 Depth 2
	v_add_nc_u32_e32 v5, v13, v14
	s_mov_b32 s0, -1
                                        ; implicit-def: $sgpr19
	s_delay_alu instid0(VALU_DEP_1) | instskip(NEXT) | instid1(VALU_DEP_1)
	v_lshrrev_b32_e32 v5, 1, v5
	v_lshlrev_b64 v[7:8], 3, v[5:6]
	s_delay_alu instid0(VALU_DEP_1) | instskip(NEXT) | instid1(VALU_DEP_2)
	v_add_co_u32 v7, vcc_lo, s4, v7
	v_add_co_ci_u32_e32 v8, vcc_lo, s5, v8, vcc_lo
	s_and_not1_b32 vcc_lo, exec_lo, s14
	global_load_b64 v[7:8], v[7:8], off
	s_cbranch_vccnz .LBB40_19
; %bb.11:                               ;   in Loop: Header=BB40_10 Depth=1
	s_and_not1_b32 vcc_lo, exec_lo, s17
	s_cbranch_vccnz .LBB40_17
; %bb.12:                               ;   in Loop: Header=BB40_10 Depth=1
	s_waitcnt vmcnt(0)
	v_mad_u64_u32 v[9:10], null, v7, s8, s[10:11]
	v_mul_lo_u32 v11, v7, s9
	v_mul_lo_u32 v12, v8, s8
	s_mov_b32 s20, 0
	s_mov_b64 s[2:3], s[8:9]
                                        ; implicit-def: $sgpr19
                                        ; implicit-def: $sgpr21
                                        ; implicit-def: $sgpr22
                                        ; implicit-def: $sgpr23
                                        ; implicit-def: $sgpr24
	s_delay_alu instid0(VALU_DEP_1)
	v_add3_u32 v10, v12, v10, v11
	v_dual_mov_b32 v12, v4 :: v_dual_mov_b32 v11, v3
	s_branch .LBB40_14
.LBB40_13:                              ;   in Loop: Header=BB40_14 Depth=2
	s_or_b32 exec_lo, exec_lo, s0
	s_delay_alu instid0(SALU_CYCLE_1) | instskip(NEXT) | instid1(SALU_CYCLE_1)
	s_and_b32 s0, exec_lo, s21
	s_or_b32 s20, s0, s20
	s_and_not1_b32 s0, s24, exec_lo
	s_and_b32 s24, s22, exec_lo
	s_and_not1_b32 s19, s19, exec_lo
	s_and_b32 s25, s23, exec_lo
	s_or_b32 s24, s0, s24
	s_or_b32 s19, s19, s25
	s_and_not1_b32 exec_lo, exec_lo, s20
	s_cbranch_execz .LBB40_16
.LBB40_14:                              ;   Parent Loop BB40_10 Depth=1
                                        ; =>  This Inner Loop Header: Depth=2
	global_load_u8 v15, v[11:12], off
	global_load_u8 v16, v[9:10], off
	s_and_not1_b32 s23, s23, exec_lo
	s_and_not1_b32 s22, s22, exec_lo
	s_or_b32 s21, s21, exec_lo
	s_waitcnt vmcnt(1)
	v_and_b32_e32 v15, 0xff, v15
	s_waitcnt vmcnt(0)
	v_and_b32_e32 v16, 0xff, v16
	s_delay_alu instid0(VALU_DEP_1)
	v_cmp_le_u16_e32 vcc_lo, v15, v16
	v_cmp_lt_u16_e64 s0, v15, v16
	s_and_b32 s25, vcc_lo, s24
	s_delay_alu instid0(VALU_DEP_1) | instid1(SALU_CYCLE_1)
	s_or_b32 s25, s0, s25
	s_delay_alu instid0(SALU_CYCLE_1) | instskip(NEXT) | instid1(SALU_CYCLE_1)
	s_and_b32 s0, s25, exec_lo
	s_or_b32 s23, s23, s0
	s_mov_b32 s0, exec_lo
	v_cmpx_eq_u16_e64 v15, v16
	s_cbranch_execz .LBB40_13
; %bb.15:                               ;   in Loop: Header=BB40_14 Depth=2
	s_add_u32 s2, s2, -1
	s_addc_u32 s3, s3, -1
	v_add_co_u32 v11, vcc_lo, v11, 1
	s_cmp_eq_u64 s[2:3], 0
	v_add_co_ci_u32_e32 v12, vcc_lo, 0, v12, vcc_lo
	s_cselect_b32 s24, -1, 0
	v_add_co_u32 v9, vcc_lo, v9, 1
	s_and_not1_b32 s22, s22, exec_lo
	s_and_b32 s25, s25, exec_lo
	s_and_not1_b32 s21, s21, exec_lo
	s_and_b32 s24, s24, exec_lo
	v_add_co_ci_u32_e32 v10, vcc_lo, 0, v10, vcc_lo
	s_and_not1_b32 s23, s23, exec_lo
	s_or_b32 s22, s22, s25
	s_or_b32 s21, s21, s24
                                        ; implicit-def: $sgpr24
	s_branch .LBB40_13
.LBB40_16:                              ;   in Loop: Header=BB40_10 Depth=1
	s_or_b32 exec_lo, exec_lo, s20
	s_branch .LBB40_18
.LBB40_17:                              ;   in Loop: Header=BB40_10 Depth=1
	s_mov_b32 s19, 0
.LBB40_18:                              ;   in Loop: Header=BB40_10 Depth=1
	s_delay_alu instid0(SALU_CYCLE_1)
	s_xor_b32 s19, s19, -1
	s_mov_b32 s0, 0
.LBB40_19:                              ;   in Loop: Header=BB40_10 Depth=1
	s_delay_alu instid0(SALU_CYCLE_1)
	s_and_b32 vcc_lo, exec_lo, s0
	s_cbranch_vccz .LBB40_9
; %bb.20:                               ;   in Loop: Header=BB40_10 Depth=1
	s_and_not1_b32 vcc_lo, exec_lo, s17
	s_cbranch_vccnz .LBB40_25
; %bb.21:                               ;   in Loop: Header=BB40_10 Depth=1
	s_waitcnt vmcnt(0)
	v_mad_u64_u32 v[9:10], null, v7, s8, s[10:11]
	v_mul_lo_u32 v7, v7, s9
	v_mul_lo_u32 v8, v8, s8
	s_mov_b32 s20, 0
	s_mov_b64 s[2:3], s[8:9]
                                        ; implicit-def: $sgpr19
                                        ; implicit-def: $sgpr21
                                        ; implicit-def: $sgpr22
                                        ; implicit-def: $sgpr23
                                        ; implicit-def: $sgpr24
	s_delay_alu instid0(VALU_DEP_1)
	v_add3_u32 v10, v8, v10, v7
	v_dual_mov_b32 v8, v4 :: v_dual_mov_b32 v7, v3
	s_branch .LBB40_23
.LBB40_22:                              ;   in Loop: Header=BB40_23 Depth=2
	s_or_b32 exec_lo, exec_lo, s0
	s_delay_alu instid0(SALU_CYCLE_1) | instskip(NEXT) | instid1(SALU_CYCLE_1)
	s_and_b32 s0, exec_lo, s21
	s_or_b32 s20, s0, s20
	s_and_not1_b32 s0, s24, exec_lo
	s_and_b32 s24, s22, exec_lo
	s_and_not1_b32 s19, s19, exec_lo
	s_and_b32 s25, s23, exec_lo
	s_or_b32 s24, s0, s24
	s_or_b32 s19, s19, s25
	s_and_not1_b32 exec_lo, exec_lo, s20
	s_cbranch_execz .LBB40_8
.LBB40_23:                              ;   Parent Loop BB40_10 Depth=1
                                        ; =>  This Inner Loop Header: Depth=2
	global_load_u8 v11, v[9:10], off
	global_load_u8 v12, v[7:8], off
	s_and_not1_b32 s23, s23, exec_lo
	s_and_not1_b32 s22, s22, exec_lo
	s_or_b32 s21, s21, exec_lo
	s_waitcnt vmcnt(1)
	v_and_b32_e32 v11, 0xff, v11
	s_waitcnt vmcnt(0)
	v_and_b32_e32 v12, 0xff, v12
	s_delay_alu instid0(VALU_DEP_1)
	v_cmp_le_u16_e32 vcc_lo, v11, v12
	v_cmp_lt_u16_e64 s0, v11, v12
	s_and_b32 s25, vcc_lo, s24
	s_delay_alu instid0(VALU_DEP_1) | instid1(SALU_CYCLE_1)
	s_or_b32 s25, s0, s25
	s_delay_alu instid0(SALU_CYCLE_1) | instskip(NEXT) | instid1(SALU_CYCLE_1)
	s_and_b32 s0, s25, exec_lo
	s_or_b32 s23, s23, s0
	s_mov_b32 s0, exec_lo
	v_cmpx_eq_u16_e64 v11, v12
	s_cbranch_execz .LBB40_22
; %bb.24:                               ;   in Loop: Header=BB40_23 Depth=2
	s_add_u32 s2, s2, -1
	s_addc_u32 s3, s3, -1
	v_add_co_u32 v9, vcc_lo, v9, 1
	s_cmp_eq_u64 s[2:3], 0
	v_add_co_ci_u32_e32 v10, vcc_lo, 0, v10, vcc_lo
	s_cselect_b32 s24, -1, 0
	v_add_co_u32 v7, vcc_lo, v7, 1
	s_and_not1_b32 s22, s22, exec_lo
	s_and_b32 s25, s25, exec_lo
	s_and_not1_b32 s21, s21, exec_lo
	s_and_b32 s24, s24, exec_lo
	v_add_co_ci_u32_e32 v8, vcc_lo, 0, v8, vcc_lo
	s_and_not1_b32 s23, s23, exec_lo
	s_or_b32 s22, s22, s25
	s_or_b32 s21, s21, s24
                                        ; implicit-def: $sgpr24
	s_branch .LBB40_22
.LBB40_25:                              ;   in Loop: Header=BB40_10 Depth=1
	s_mov_b32 s19, 0
	s_branch .LBB40_9
.LBB40_26:
                                        ; implicit-def: $vgpr3
	s_cbranch_execnz .LBB40_30
	s_branch .LBB40_52
.LBB40_27:
	s_or_b32 exec_lo, exec_lo, s18
.LBB40_28:
	s_delay_alu instid0(VALU_DEP_1)
	v_add_nc_u32_e32 v3, v13, v0
	s_or_b32 s13, s13, exec_lo
.LBB40_29:
	s_or_b32 exec_lo, exec_lo, s16
	s_branch .LBB40_52
.LBB40_30:
	v_mov_b32_e32 v13, s1
	s_cmp_ge_u32 s15, s12
	s_cbranch_scc1 .LBB40_51
; %bb.31:
	s_waitcnt vmcnt(0) lgkmcnt(0)
	v_mad_u64_u32 v[3:4], null, v1, s8, s[10:11]
	v_mul_lo_u32 v5, v1, s9
	v_mul_lo_u32 v7, v2, s8
	v_dual_mov_b32 v14, s12 :: v_dual_mov_b32 v13, s1
	v_cmp_gt_i64_e64 s1, s[8:9], 0
	v_mov_b32_e32 v6, 0
	s_mov_b32 s12, 0
	s_delay_alu instid0(VALU_DEP_4) | instskip(NEXT) | instid1(VALU_DEP_3)
	v_add3_u32 v4, v7, v4, v5
	v_cndmask_b32_e64 v15, 0, 1, s1
	s_branch .LBB40_34
.LBB40_32:                              ;   in Loop: Header=BB40_34 Depth=1
	s_or_b32 exec_lo, exec_lo, s15
.LBB40_33:                              ;   in Loop: Header=BB40_34 Depth=1
	s_waitcnt vmcnt(0)
	v_add_nc_u32_e32 v7, 1, v5
	v_cndmask_b32_e64 v14, v5, v14, s13
	s_delay_alu instid0(VALU_DEP_2) | instskip(NEXT) | instid1(VALU_DEP_1)
	v_cndmask_b32_e64 v13, v13, v7, s13
	v_cmp_ge_u32_e32 vcc_lo, v13, v14
	s_or_b32 s12, vcc_lo, s12
	s_delay_alu instid0(SALU_CYCLE_1)
	s_and_not1_b32 exec_lo, exec_lo, s12
	s_cbranch_execz .LBB40_50
.LBB40_34:                              ; =>This Loop Header: Depth=1
                                        ;     Child Loop BB40_38 Depth 2
                                        ;     Child Loop BB40_47 Depth 2
	v_add_nc_u32_e32 v5, v13, v14
	s_delay_alu instid0(VALU_DEP_2) | instskip(SKIP_1) | instid1(VALU_DEP_2)
	v_cmp_ne_u32_e64 s0, 1, v15
	s_mov_b32 s2, -1
                                        ; implicit-def: $sgpr13
	v_lshrrev_b32_e32 v5, 1, v5
	s_delay_alu instid0(VALU_DEP_1) | instskip(NEXT) | instid1(VALU_DEP_1)
	v_lshlrev_b64 v[7:8], 3, v[5:6]
	v_add_co_u32 v7, vcc_lo, s4, v7
	s_delay_alu instid0(VALU_DEP_2)
	v_add_co_ci_u32_e32 v8, vcc_lo, s5, v8, vcc_lo
	s_and_not1_b32 vcc_lo, exec_lo, s14
	global_load_b64 v[7:8], v[7:8], off
	s_cbranch_vccnz .LBB40_43
; %bb.35:                               ;   in Loop: Header=BB40_34 Depth=1
	s_and_b32 vcc_lo, exec_lo, s0
	s_cbranch_vccnz .LBB40_41
; %bb.36:                               ;   in Loop: Header=BB40_34 Depth=1
	s_waitcnt vmcnt(0)
	v_mad_u64_u32 v[9:10], null, v7, s8, s[10:11]
	v_mul_lo_u32 v11, v7, s9
	v_mul_lo_u32 v12, v8, s8
	s_mov_b32 s15, 0
	s_mov_b64 s[2:3], s[8:9]
                                        ; implicit-def: $sgpr13
                                        ; implicit-def: $sgpr16
                                        ; implicit-def: $sgpr17
                                        ; implicit-def: $sgpr18
                                        ; implicit-def: $sgpr19
	s_delay_alu instid0(VALU_DEP_1)
	v_add3_u32 v10, v12, v10, v11
	v_dual_mov_b32 v12, v4 :: v_dual_mov_b32 v11, v3
	s_branch .LBB40_38
.LBB40_37:                              ;   in Loop: Header=BB40_38 Depth=2
	s_or_b32 exec_lo, exec_lo, s0
	s_delay_alu instid0(SALU_CYCLE_1) | instskip(NEXT) | instid1(SALU_CYCLE_1)
	s_and_b32 s0, exec_lo, s16
	s_or_b32 s15, s0, s15
	s_and_not1_b32 s0, s19, exec_lo
	s_and_b32 s19, s17, exec_lo
	s_and_not1_b32 s13, s13, exec_lo
	s_and_b32 s20, s18, exec_lo
	s_or_b32 s19, s0, s19
	s_or_b32 s13, s13, s20
	s_and_not1_b32 exec_lo, exec_lo, s15
	s_cbranch_execz .LBB40_40
.LBB40_38:                              ;   Parent Loop BB40_34 Depth=1
                                        ; =>  This Inner Loop Header: Depth=2
	global_load_u8 v16, v[11:12], off
	global_load_u8 v17, v[9:10], off
	s_and_not1_b32 s18, s18, exec_lo
	s_and_not1_b32 s17, s17, exec_lo
	s_or_b32 s16, s16, exec_lo
	s_waitcnt vmcnt(1)
	v_and_b32_e32 v16, 0xff, v16
	s_waitcnt vmcnt(0)
	v_and_b32_e32 v17, 0xff, v17
	s_delay_alu instid0(VALU_DEP_1)
	v_cmp_le_u16_e32 vcc_lo, v16, v17
	v_cmp_lt_u16_e64 s0, v16, v17
	s_and_b32 s20, vcc_lo, s19
	s_delay_alu instid0(VALU_DEP_1) | instid1(SALU_CYCLE_1)
	s_or_b32 s20, s0, s20
	s_delay_alu instid0(SALU_CYCLE_1) | instskip(NEXT) | instid1(SALU_CYCLE_1)
	s_and_b32 s0, s20, exec_lo
	s_or_b32 s18, s18, s0
	s_mov_b32 s0, exec_lo
	v_cmpx_eq_u16_e64 v16, v17
	s_cbranch_execz .LBB40_37
; %bb.39:                               ;   in Loop: Header=BB40_38 Depth=2
	s_add_u32 s2, s2, -1
	s_addc_u32 s3, s3, -1
	v_add_co_u32 v11, vcc_lo, v11, 1
	s_cmp_eq_u64 s[2:3], 0
	v_add_co_ci_u32_e32 v12, vcc_lo, 0, v12, vcc_lo
	s_cselect_b32 s19, -1, 0
	v_add_co_u32 v9, vcc_lo, v9, 1
	s_and_not1_b32 s17, s17, exec_lo
	s_and_b32 s20, s20, exec_lo
	s_and_not1_b32 s16, s16, exec_lo
	s_and_b32 s19, s19, exec_lo
	v_add_co_ci_u32_e32 v10, vcc_lo, 0, v10, vcc_lo
	s_and_not1_b32 s18, s18, exec_lo
	s_or_b32 s17, s17, s20
	s_or_b32 s16, s16, s19
                                        ; implicit-def: $sgpr19
	s_branch .LBB40_37
.LBB40_40:                              ;   in Loop: Header=BB40_34 Depth=1
	s_or_b32 exec_lo, exec_lo, s15
	s_branch .LBB40_42
.LBB40_41:                              ;   in Loop: Header=BB40_34 Depth=1
	s_mov_b32 s13, 0
.LBB40_42:                              ;   in Loop: Header=BB40_34 Depth=1
	s_delay_alu instid0(SALU_CYCLE_1)
	s_xor_b32 s13, s13, -1
	s_mov_b32 s2, 0
.LBB40_43:                              ;   in Loop: Header=BB40_34 Depth=1
	s_delay_alu instid0(SALU_CYCLE_1)
	s_and_b32 vcc_lo, exec_lo, s2
	s_cbranch_vccz .LBB40_33
; %bb.44:                               ;   in Loop: Header=BB40_34 Depth=1
	s_and_not1_b32 vcc_lo, exec_lo, s1
	s_cbranch_vccnz .LBB40_49
; %bb.45:                               ;   in Loop: Header=BB40_34 Depth=1
	s_waitcnt vmcnt(0)
	v_mad_u64_u32 v[9:10], null, v7, s8, s[10:11]
	v_mul_lo_u32 v7, v7, s9
	v_mul_lo_u32 v8, v8, s8
	s_mov_b32 s15, 0
	s_mov_b64 s[2:3], s[8:9]
                                        ; implicit-def: $sgpr13
                                        ; implicit-def: $sgpr16
                                        ; implicit-def: $sgpr17
                                        ; implicit-def: $sgpr18
                                        ; implicit-def: $sgpr19
	s_delay_alu instid0(VALU_DEP_1)
	v_add3_u32 v10, v8, v10, v7
	v_dual_mov_b32 v8, v4 :: v_dual_mov_b32 v7, v3
	s_branch .LBB40_47
.LBB40_46:                              ;   in Loop: Header=BB40_47 Depth=2
	s_or_b32 exec_lo, exec_lo, s0
	s_delay_alu instid0(SALU_CYCLE_1) | instskip(NEXT) | instid1(SALU_CYCLE_1)
	s_and_b32 s0, exec_lo, s16
	s_or_b32 s15, s0, s15
	s_and_not1_b32 s0, s19, exec_lo
	s_and_b32 s19, s17, exec_lo
	s_and_not1_b32 s13, s13, exec_lo
	s_and_b32 s20, s18, exec_lo
	s_or_b32 s19, s0, s19
	s_or_b32 s13, s13, s20
	s_and_not1_b32 exec_lo, exec_lo, s15
	s_cbranch_execz .LBB40_32
.LBB40_47:                              ;   Parent Loop BB40_34 Depth=1
                                        ; =>  This Inner Loop Header: Depth=2
	global_load_u8 v11, v[9:10], off
	global_load_u8 v12, v[7:8], off
	s_and_not1_b32 s18, s18, exec_lo
	s_and_not1_b32 s17, s17, exec_lo
	s_or_b32 s16, s16, exec_lo
	s_waitcnt vmcnt(1)
	v_and_b32_e32 v11, 0xff, v11
	s_waitcnt vmcnt(0)
	v_and_b32_e32 v12, 0xff, v12
	s_delay_alu instid0(VALU_DEP_1)
	v_cmp_le_u16_e32 vcc_lo, v11, v12
	v_cmp_lt_u16_e64 s0, v11, v12
	s_and_b32 s20, vcc_lo, s19
	s_delay_alu instid0(VALU_DEP_1) | instid1(SALU_CYCLE_1)
	s_or_b32 s20, s0, s20
	s_delay_alu instid0(SALU_CYCLE_1) | instskip(NEXT) | instid1(SALU_CYCLE_1)
	s_and_b32 s0, s20, exec_lo
	s_or_b32 s18, s18, s0
	s_mov_b32 s0, exec_lo
	v_cmpx_eq_u16_e64 v11, v12
	s_cbranch_execz .LBB40_46
; %bb.48:                               ;   in Loop: Header=BB40_47 Depth=2
	s_add_u32 s2, s2, -1
	s_addc_u32 s3, s3, -1
	v_add_co_u32 v9, vcc_lo, v9, 1
	s_cmp_eq_u64 s[2:3], 0
	v_add_co_ci_u32_e32 v10, vcc_lo, 0, v10, vcc_lo
	s_cselect_b32 s19, -1, 0
	v_add_co_u32 v7, vcc_lo, v7, 1
	s_and_not1_b32 s17, s17, exec_lo
	s_and_b32 s20, s20, exec_lo
	s_and_not1_b32 s16, s16, exec_lo
	s_and_b32 s19, s19, exec_lo
	v_add_co_ci_u32_e32 v8, vcc_lo, 0, v8, vcc_lo
	s_and_not1_b32 s18, s18, exec_lo
	s_or_b32 s17, s17, s20
	s_or_b32 s16, s16, s19
                                        ; implicit-def: $sgpr19
	s_branch .LBB40_46
.LBB40_49:                              ;   in Loop: Header=BB40_34 Depth=1
	s_mov_b32 s13, 0
	s_branch .LBB40_33
.LBB40_50:
	s_or_b32 exec_lo, exec_lo, s12
.LBB40_51:
	s_delay_alu instid0(VALU_DEP_1)
	v_add_nc_u32_e32 v3, v13, v0
	s_mov_b32 s13, -1
.LBB40_52:
	s_delay_alu instid0(SALU_CYCLE_1)
	s_and_b32 exec_lo, exec_lo, s13
	s_cbranch_execz .LBB40_54
; %bb.53:
	v_mov_b32_e32 v4, 0
	s_delay_alu instid0(VALU_DEP_1) | instskip(NEXT) | instid1(VALU_DEP_1)
	v_lshlrev_b64 v[3:4], 3, v[3:4]
	v_add_co_u32 v3, vcc_lo, s6, v3
	s_delay_alu instid0(VALU_DEP_2)
	v_add_co_ci_u32_e32 v4, vcc_lo, s7, v4, vcc_lo
	s_waitcnt vmcnt(0)
	global_store_b64 v[3:4], v[1:2], off
.LBB40_54:
	s_nop 0
	s_sendmsg sendmsg(MSG_DEALLOC_VGPRS)
	s_endpgm
	.section	.rodata,"a",@progbits
	.p2align	6, 0x0
	.amdhsa_kernel _ZN7rocprim17ROCPRIM_400000_NS6detail17trampoline_kernelINS0_14default_configENS1_38merge_sort_block_merge_config_selectorIlNS0_10empty_typeEEEZZNS1_27merge_sort_block_merge_implIS3_PlPS5_mZN2at6native12_GLOBAL__N_124unique_dim_cuda_templateIhEESt5tupleIJNSA_6TensorESF_SF_EERKSF_lbbbEUlllE_EE10hipError_tT0_T1_T2_jT3_P12ihipStream_tbPNSt15iterator_traitsISL_E10value_typeEPNSR_ISM_E10value_typeEPSN_NS1_7vsmem_tEENKUlT_SL_SM_SN_E_clIS8_S8_S9_S9_EESK_S10_SL_SM_SN_EUlS10_E1_NS1_11comp_targetILNS1_3genE9ELNS1_11target_archE1100ELNS1_3gpuE3ELNS1_3repE0EEENS1_36merge_oddeven_config_static_selectorELNS0_4arch9wavefront6targetE0EEEvSM_
		.amdhsa_group_segment_fixed_size 0
		.amdhsa_private_segment_fixed_size 0
		.amdhsa_kernarg_size 64
		.amdhsa_user_sgpr_count 15
		.amdhsa_user_sgpr_dispatch_ptr 0
		.amdhsa_user_sgpr_queue_ptr 0
		.amdhsa_user_sgpr_kernarg_segment_ptr 1
		.amdhsa_user_sgpr_dispatch_id 0
		.amdhsa_user_sgpr_private_segment_size 0
		.amdhsa_wavefront_size32 1
		.amdhsa_uses_dynamic_stack 0
		.amdhsa_enable_private_segment 0
		.amdhsa_system_sgpr_workgroup_id_x 1
		.amdhsa_system_sgpr_workgroup_id_y 0
		.amdhsa_system_sgpr_workgroup_id_z 0
		.amdhsa_system_sgpr_workgroup_info 0
		.amdhsa_system_vgpr_workitem_id 0
		.amdhsa_next_free_vgpr 18
		.amdhsa_next_free_sgpr 26
		.amdhsa_reserve_vcc 1
		.amdhsa_float_round_mode_32 0
		.amdhsa_float_round_mode_16_64 0
		.amdhsa_float_denorm_mode_32 3
		.amdhsa_float_denorm_mode_16_64 3
		.amdhsa_dx10_clamp 1
		.amdhsa_ieee_mode 1
		.amdhsa_fp16_overflow 0
		.amdhsa_workgroup_processor_mode 1
		.amdhsa_memory_ordered 1
		.amdhsa_forward_progress 0
		.amdhsa_shared_vgpr_count 0
		.amdhsa_exception_fp_ieee_invalid_op 0
		.amdhsa_exception_fp_denorm_src 0
		.amdhsa_exception_fp_ieee_div_zero 0
		.amdhsa_exception_fp_ieee_overflow 0
		.amdhsa_exception_fp_ieee_underflow 0
		.amdhsa_exception_fp_ieee_inexact 0
		.amdhsa_exception_int_div_zero 0
	.end_amdhsa_kernel
	.section	.text._ZN7rocprim17ROCPRIM_400000_NS6detail17trampoline_kernelINS0_14default_configENS1_38merge_sort_block_merge_config_selectorIlNS0_10empty_typeEEEZZNS1_27merge_sort_block_merge_implIS3_PlPS5_mZN2at6native12_GLOBAL__N_124unique_dim_cuda_templateIhEESt5tupleIJNSA_6TensorESF_SF_EERKSF_lbbbEUlllE_EE10hipError_tT0_T1_T2_jT3_P12ihipStream_tbPNSt15iterator_traitsISL_E10value_typeEPNSR_ISM_E10value_typeEPSN_NS1_7vsmem_tEENKUlT_SL_SM_SN_E_clIS8_S8_S9_S9_EESK_S10_SL_SM_SN_EUlS10_E1_NS1_11comp_targetILNS1_3genE9ELNS1_11target_archE1100ELNS1_3gpuE3ELNS1_3repE0EEENS1_36merge_oddeven_config_static_selectorELNS0_4arch9wavefront6targetE0EEEvSM_,"axG",@progbits,_ZN7rocprim17ROCPRIM_400000_NS6detail17trampoline_kernelINS0_14default_configENS1_38merge_sort_block_merge_config_selectorIlNS0_10empty_typeEEEZZNS1_27merge_sort_block_merge_implIS3_PlPS5_mZN2at6native12_GLOBAL__N_124unique_dim_cuda_templateIhEESt5tupleIJNSA_6TensorESF_SF_EERKSF_lbbbEUlllE_EE10hipError_tT0_T1_T2_jT3_P12ihipStream_tbPNSt15iterator_traitsISL_E10value_typeEPNSR_ISM_E10value_typeEPSN_NS1_7vsmem_tEENKUlT_SL_SM_SN_E_clIS8_S8_S9_S9_EESK_S10_SL_SM_SN_EUlS10_E1_NS1_11comp_targetILNS1_3genE9ELNS1_11target_archE1100ELNS1_3gpuE3ELNS1_3repE0EEENS1_36merge_oddeven_config_static_selectorELNS0_4arch9wavefront6targetE0EEEvSM_,comdat
.Lfunc_end40:
	.size	_ZN7rocprim17ROCPRIM_400000_NS6detail17trampoline_kernelINS0_14default_configENS1_38merge_sort_block_merge_config_selectorIlNS0_10empty_typeEEEZZNS1_27merge_sort_block_merge_implIS3_PlPS5_mZN2at6native12_GLOBAL__N_124unique_dim_cuda_templateIhEESt5tupleIJNSA_6TensorESF_SF_EERKSF_lbbbEUlllE_EE10hipError_tT0_T1_T2_jT3_P12ihipStream_tbPNSt15iterator_traitsISL_E10value_typeEPNSR_ISM_E10value_typeEPSN_NS1_7vsmem_tEENKUlT_SL_SM_SN_E_clIS8_S8_S9_S9_EESK_S10_SL_SM_SN_EUlS10_E1_NS1_11comp_targetILNS1_3genE9ELNS1_11target_archE1100ELNS1_3gpuE3ELNS1_3repE0EEENS1_36merge_oddeven_config_static_selectorELNS0_4arch9wavefront6targetE0EEEvSM_, .Lfunc_end40-_ZN7rocprim17ROCPRIM_400000_NS6detail17trampoline_kernelINS0_14default_configENS1_38merge_sort_block_merge_config_selectorIlNS0_10empty_typeEEEZZNS1_27merge_sort_block_merge_implIS3_PlPS5_mZN2at6native12_GLOBAL__N_124unique_dim_cuda_templateIhEESt5tupleIJNSA_6TensorESF_SF_EERKSF_lbbbEUlllE_EE10hipError_tT0_T1_T2_jT3_P12ihipStream_tbPNSt15iterator_traitsISL_E10value_typeEPNSR_ISM_E10value_typeEPSN_NS1_7vsmem_tEENKUlT_SL_SM_SN_E_clIS8_S8_S9_S9_EESK_S10_SL_SM_SN_EUlS10_E1_NS1_11comp_targetILNS1_3genE9ELNS1_11target_archE1100ELNS1_3gpuE3ELNS1_3repE0EEENS1_36merge_oddeven_config_static_selectorELNS0_4arch9wavefront6targetE0EEEvSM_
                                        ; -- End function
	.section	.AMDGPU.csdata,"",@progbits
; Kernel info:
; codeLenInByte = 2060
; NumSgprs: 28
; NumVgprs: 18
; ScratchSize: 0
; MemoryBound: 0
; FloatMode: 240
; IeeeMode: 1
; LDSByteSize: 0 bytes/workgroup (compile time only)
; SGPRBlocks: 3
; VGPRBlocks: 2
; NumSGPRsForWavesPerEU: 28
; NumVGPRsForWavesPerEU: 18
; Occupancy: 16
; WaveLimiterHint : 0
; COMPUTE_PGM_RSRC2:SCRATCH_EN: 0
; COMPUTE_PGM_RSRC2:USER_SGPR: 15
; COMPUTE_PGM_RSRC2:TRAP_HANDLER: 0
; COMPUTE_PGM_RSRC2:TGID_X_EN: 1
; COMPUTE_PGM_RSRC2:TGID_Y_EN: 0
; COMPUTE_PGM_RSRC2:TGID_Z_EN: 0
; COMPUTE_PGM_RSRC2:TIDIG_COMP_CNT: 0
	.section	.text._ZN7rocprim17ROCPRIM_400000_NS6detail17trampoline_kernelINS0_14default_configENS1_38merge_sort_block_merge_config_selectorIlNS0_10empty_typeEEEZZNS1_27merge_sort_block_merge_implIS3_PlPS5_mZN2at6native12_GLOBAL__N_124unique_dim_cuda_templateIhEESt5tupleIJNSA_6TensorESF_SF_EERKSF_lbbbEUlllE_EE10hipError_tT0_T1_T2_jT3_P12ihipStream_tbPNSt15iterator_traitsISL_E10value_typeEPNSR_ISM_E10value_typeEPSN_NS1_7vsmem_tEENKUlT_SL_SM_SN_E_clIS8_S8_S9_S9_EESK_S10_SL_SM_SN_EUlS10_E1_NS1_11comp_targetILNS1_3genE8ELNS1_11target_archE1030ELNS1_3gpuE2ELNS1_3repE0EEENS1_36merge_oddeven_config_static_selectorELNS0_4arch9wavefront6targetE0EEEvSM_,"axG",@progbits,_ZN7rocprim17ROCPRIM_400000_NS6detail17trampoline_kernelINS0_14default_configENS1_38merge_sort_block_merge_config_selectorIlNS0_10empty_typeEEEZZNS1_27merge_sort_block_merge_implIS3_PlPS5_mZN2at6native12_GLOBAL__N_124unique_dim_cuda_templateIhEESt5tupleIJNSA_6TensorESF_SF_EERKSF_lbbbEUlllE_EE10hipError_tT0_T1_T2_jT3_P12ihipStream_tbPNSt15iterator_traitsISL_E10value_typeEPNSR_ISM_E10value_typeEPSN_NS1_7vsmem_tEENKUlT_SL_SM_SN_E_clIS8_S8_S9_S9_EESK_S10_SL_SM_SN_EUlS10_E1_NS1_11comp_targetILNS1_3genE8ELNS1_11target_archE1030ELNS1_3gpuE2ELNS1_3repE0EEENS1_36merge_oddeven_config_static_selectorELNS0_4arch9wavefront6targetE0EEEvSM_,comdat
	.globl	_ZN7rocprim17ROCPRIM_400000_NS6detail17trampoline_kernelINS0_14default_configENS1_38merge_sort_block_merge_config_selectorIlNS0_10empty_typeEEEZZNS1_27merge_sort_block_merge_implIS3_PlPS5_mZN2at6native12_GLOBAL__N_124unique_dim_cuda_templateIhEESt5tupleIJNSA_6TensorESF_SF_EERKSF_lbbbEUlllE_EE10hipError_tT0_T1_T2_jT3_P12ihipStream_tbPNSt15iterator_traitsISL_E10value_typeEPNSR_ISM_E10value_typeEPSN_NS1_7vsmem_tEENKUlT_SL_SM_SN_E_clIS8_S8_S9_S9_EESK_S10_SL_SM_SN_EUlS10_E1_NS1_11comp_targetILNS1_3genE8ELNS1_11target_archE1030ELNS1_3gpuE2ELNS1_3repE0EEENS1_36merge_oddeven_config_static_selectorELNS0_4arch9wavefront6targetE0EEEvSM_ ; -- Begin function _ZN7rocprim17ROCPRIM_400000_NS6detail17trampoline_kernelINS0_14default_configENS1_38merge_sort_block_merge_config_selectorIlNS0_10empty_typeEEEZZNS1_27merge_sort_block_merge_implIS3_PlPS5_mZN2at6native12_GLOBAL__N_124unique_dim_cuda_templateIhEESt5tupleIJNSA_6TensorESF_SF_EERKSF_lbbbEUlllE_EE10hipError_tT0_T1_T2_jT3_P12ihipStream_tbPNSt15iterator_traitsISL_E10value_typeEPNSR_ISM_E10value_typeEPSN_NS1_7vsmem_tEENKUlT_SL_SM_SN_E_clIS8_S8_S9_S9_EESK_S10_SL_SM_SN_EUlS10_E1_NS1_11comp_targetILNS1_3genE8ELNS1_11target_archE1030ELNS1_3gpuE2ELNS1_3repE0EEENS1_36merge_oddeven_config_static_selectorELNS0_4arch9wavefront6targetE0EEEvSM_
	.p2align	8
	.type	_ZN7rocprim17ROCPRIM_400000_NS6detail17trampoline_kernelINS0_14default_configENS1_38merge_sort_block_merge_config_selectorIlNS0_10empty_typeEEEZZNS1_27merge_sort_block_merge_implIS3_PlPS5_mZN2at6native12_GLOBAL__N_124unique_dim_cuda_templateIhEESt5tupleIJNSA_6TensorESF_SF_EERKSF_lbbbEUlllE_EE10hipError_tT0_T1_T2_jT3_P12ihipStream_tbPNSt15iterator_traitsISL_E10value_typeEPNSR_ISM_E10value_typeEPSN_NS1_7vsmem_tEENKUlT_SL_SM_SN_E_clIS8_S8_S9_S9_EESK_S10_SL_SM_SN_EUlS10_E1_NS1_11comp_targetILNS1_3genE8ELNS1_11target_archE1030ELNS1_3gpuE2ELNS1_3repE0EEENS1_36merge_oddeven_config_static_selectorELNS0_4arch9wavefront6targetE0EEEvSM_,@function
_ZN7rocprim17ROCPRIM_400000_NS6detail17trampoline_kernelINS0_14default_configENS1_38merge_sort_block_merge_config_selectorIlNS0_10empty_typeEEEZZNS1_27merge_sort_block_merge_implIS3_PlPS5_mZN2at6native12_GLOBAL__N_124unique_dim_cuda_templateIhEESt5tupleIJNSA_6TensorESF_SF_EERKSF_lbbbEUlllE_EE10hipError_tT0_T1_T2_jT3_P12ihipStream_tbPNSt15iterator_traitsISL_E10value_typeEPNSR_ISM_E10value_typeEPSN_NS1_7vsmem_tEENKUlT_SL_SM_SN_E_clIS8_S8_S9_S9_EESK_S10_SL_SM_SN_EUlS10_E1_NS1_11comp_targetILNS1_3genE8ELNS1_11target_archE1030ELNS1_3gpuE2ELNS1_3repE0EEENS1_36merge_oddeven_config_static_selectorELNS0_4arch9wavefront6targetE0EEEvSM_: ; @_ZN7rocprim17ROCPRIM_400000_NS6detail17trampoline_kernelINS0_14default_configENS1_38merge_sort_block_merge_config_selectorIlNS0_10empty_typeEEEZZNS1_27merge_sort_block_merge_implIS3_PlPS5_mZN2at6native12_GLOBAL__N_124unique_dim_cuda_templateIhEESt5tupleIJNSA_6TensorESF_SF_EERKSF_lbbbEUlllE_EE10hipError_tT0_T1_T2_jT3_P12ihipStream_tbPNSt15iterator_traitsISL_E10value_typeEPNSR_ISM_E10value_typeEPSN_NS1_7vsmem_tEENKUlT_SL_SM_SN_E_clIS8_S8_S9_S9_EESK_S10_SL_SM_SN_EUlS10_E1_NS1_11comp_targetILNS1_3genE8ELNS1_11target_archE1030ELNS1_3gpuE2ELNS1_3repE0EEENS1_36merge_oddeven_config_static_selectorELNS0_4arch9wavefront6targetE0EEEvSM_
; %bb.0:
	.section	.rodata,"a",@progbits
	.p2align	6, 0x0
	.amdhsa_kernel _ZN7rocprim17ROCPRIM_400000_NS6detail17trampoline_kernelINS0_14default_configENS1_38merge_sort_block_merge_config_selectorIlNS0_10empty_typeEEEZZNS1_27merge_sort_block_merge_implIS3_PlPS5_mZN2at6native12_GLOBAL__N_124unique_dim_cuda_templateIhEESt5tupleIJNSA_6TensorESF_SF_EERKSF_lbbbEUlllE_EE10hipError_tT0_T1_T2_jT3_P12ihipStream_tbPNSt15iterator_traitsISL_E10value_typeEPNSR_ISM_E10value_typeEPSN_NS1_7vsmem_tEENKUlT_SL_SM_SN_E_clIS8_S8_S9_S9_EESK_S10_SL_SM_SN_EUlS10_E1_NS1_11comp_targetILNS1_3genE8ELNS1_11target_archE1030ELNS1_3gpuE2ELNS1_3repE0EEENS1_36merge_oddeven_config_static_selectorELNS0_4arch9wavefront6targetE0EEEvSM_
		.amdhsa_group_segment_fixed_size 0
		.amdhsa_private_segment_fixed_size 0
		.amdhsa_kernarg_size 64
		.amdhsa_user_sgpr_count 15
		.amdhsa_user_sgpr_dispatch_ptr 0
		.amdhsa_user_sgpr_queue_ptr 0
		.amdhsa_user_sgpr_kernarg_segment_ptr 1
		.amdhsa_user_sgpr_dispatch_id 0
		.amdhsa_user_sgpr_private_segment_size 0
		.amdhsa_wavefront_size32 1
		.amdhsa_uses_dynamic_stack 0
		.amdhsa_enable_private_segment 0
		.amdhsa_system_sgpr_workgroup_id_x 1
		.amdhsa_system_sgpr_workgroup_id_y 0
		.amdhsa_system_sgpr_workgroup_id_z 0
		.amdhsa_system_sgpr_workgroup_info 0
		.amdhsa_system_vgpr_workitem_id 0
		.amdhsa_next_free_vgpr 1
		.amdhsa_next_free_sgpr 1
		.amdhsa_reserve_vcc 0
		.amdhsa_float_round_mode_32 0
		.amdhsa_float_round_mode_16_64 0
		.amdhsa_float_denorm_mode_32 3
		.amdhsa_float_denorm_mode_16_64 3
		.amdhsa_dx10_clamp 1
		.amdhsa_ieee_mode 1
		.amdhsa_fp16_overflow 0
		.amdhsa_workgroup_processor_mode 1
		.amdhsa_memory_ordered 1
		.amdhsa_forward_progress 0
		.amdhsa_shared_vgpr_count 0
		.amdhsa_exception_fp_ieee_invalid_op 0
		.amdhsa_exception_fp_denorm_src 0
		.amdhsa_exception_fp_ieee_div_zero 0
		.amdhsa_exception_fp_ieee_overflow 0
		.amdhsa_exception_fp_ieee_underflow 0
		.amdhsa_exception_fp_ieee_inexact 0
		.amdhsa_exception_int_div_zero 0
	.end_amdhsa_kernel
	.section	.text._ZN7rocprim17ROCPRIM_400000_NS6detail17trampoline_kernelINS0_14default_configENS1_38merge_sort_block_merge_config_selectorIlNS0_10empty_typeEEEZZNS1_27merge_sort_block_merge_implIS3_PlPS5_mZN2at6native12_GLOBAL__N_124unique_dim_cuda_templateIhEESt5tupleIJNSA_6TensorESF_SF_EERKSF_lbbbEUlllE_EE10hipError_tT0_T1_T2_jT3_P12ihipStream_tbPNSt15iterator_traitsISL_E10value_typeEPNSR_ISM_E10value_typeEPSN_NS1_7vsmem_tEENKUlT_SL_SM_SN_E_clIS8_S8_S9_S9_EESK_S10_SL_SM_SN_EUlS10_E1_NS1_11comp_targetILNS1_3genE8ELNS1_11target_archE1030ELNS1_3gpuE2ELNS1_3repE0EEENS1_36merge_oddeven_config_static_selectorELNS0_4arch9wavefront6targetE0EEEvSM_,"axG",@progbits,_ZN7rocprim17ROCPRIM_400000_NS6detail17trampoline_kernelINS0_14default_configENS1_38merge_sort_block_merge_config_selectorIlNS0_10empty_typeEEEZZNS1_27merge_sort_block_merge_implIS3_PlPS5_mZN2at6native12_GLOBAL__N_124unique_dim_cuda_templateIhEESt5tupleIJNSA_6TensorESF_SF_EERKSF_lbbbEUlllE_EE10hipError_tT0_T1_T2_jT3_P12ihipStream_tbPNSt15iterator_traitsISL_E10value_typeEPNSR_ISM_E10value_typeEPSN_NS1_7vsmem_tEENKUlT_SL_SM_SN_E_clIS8_S8_S9_S9_EESK_S10_SL_SM_SN_EUlS10_E1_NS1_11comp_targetILNS1_3genE8ELNS1_11target_archE1030ELNS1_3gpuE2ELNS1_3repE0EEENS1_36merge_oddeven_config_static_selectorELNS0_4arch9wavefront6targetE0EEEvSM_,comdat
.Lfunc_end41:
	.size	_ZN7rocprim17ROCPRIM_400000_NS6detail17trampoline_kernelINS0_14default_configENS1_38merge_sort_block_merge_config_selectorIlNS0_10empty_typeEEEZZNS1_27merge_sort_block_merge_implIS3_PlPS5_mZN2at6native12_GLOBAL__N_124unique_dim_cuda_templateIhEESt5tupleIJNSA_6TensorESF_SF_EERKSF_lbbbEUlllE_EE10hipError_tT0_T1_T2_jT3_P12ihipStream_tbPNSt15iterator_traitsISL_E10value_typeEPNSR_ISM_E10value_typeEPSN_NS1_7vsmem_tEENKUlT_SL_SM_SN_E_clIS8_S8_S9_S9_EESK_S10_SL_SM_SN_EUlS10_E1_NS1_11comp_targetILNS1_3genE8ELNS1_11target_archE1030ELNS1_3gpuE2ELNS1_3repE0EEENS1_36merge_oddeven_config_static_selectorELNS0_4arch9wavefront6targetE0EEEvSM_, .Lfunc_end41-_ZN7rocprim17ROCPRIM_400000_NS6detail17trampoline_kernelINS0_14default_configENS1_38merge_sort_block_merge_config_selectorIlNS0_10empty_typeEEEZZNS1_27merge_sort_block_merge_implIS3_PlPS5_mZN2at6native12_GLOBAL__N_124unique_dim_cuda_templateIhEESt5tupleIJNSA_6TensorESF_SF_EERKSF_lbbbEUlllE_EE10hipError_tT0_T1_T2_jT3_P12ihipStream_tbPNSt15iterator_traitsISL_E10value_typeEPNSR_ISM_E10value_typeEPSN_NS1_7vsmem_tEENKUlT_SL_SM_SN_E_clIS8_S8_S9_S9_EESK_S10_SL_SM_SN_EUlS10_E1_NS1_11comp_targetILNS1_3genE8ELNS1_11target_archE1030ELNS1_3gpuE2ELNS1_3repE0EEENS1_36merge_oddeven_config_static_selectorELNS0_4arch9wavefront6targetE0EEEvSM_
                                        ; -- End function
	.section	.AMDGPU.csdata,"",@progbits
; Kernel info:
; codeLenInByte = 0
; NumSgprs: 0
; NumVgprs: 0
; ScratchSize: 0
; MemoryBound: 0
; FloatMode: 240
; IeeeMode: 1
; LDSByteSize: 0 bytes/workgroup (compile time only)
; SGPRBlocks: 0
; VGPRBlocks: 0
; NumSGPRsForWavesPerEU: 1
; NumVGPRsForWavesPerEU: 1
; Occupancy: 16
; WaveLimiterHint : 0
; COMPUTE_PGM_RSRC2:SCRATCH_EN: 0
; COMPUTE_PGM_RSRC2:USER_SGPR: 15
; COMPUTE_PGM_RSRC2:TRAP_HANDLER: 0
; COMPUTE_PGM_RSRC2:TGID_X_EN: 1
; COMPUTE_PGM_RSRC2:TGID_Y_EN: 0
; COMPUTE_PGM_RSRC2:TGID_Z_EN: 0
; COMPUTE_PGM_RSRC2:TIDIG_COMP_CNT: 0
	.section	.text._ZN7rocprim17ROCPRIM_400000_NS6detail17trampoline_kernelINS0_14default_configENS1_25transform_config_selectorIlLb1EEEZNS1_14transform_implILb1ES3_S5_PlS7_NS0_8identityIlEEEE10hipError_tT2_T3_mT4_P12ihipStream_tbEUlT_E_NS1_11comp_targetILNS1_3genE0ELNS1_11target_archE4294967295ELNS1_3gpuE0ELNS1_3repE0EEENS1_30default_config_static_selectorELNS0_4arch9wavefront6targetE0EEEvT1_,"axG",@progbits,_ZN7rocprim17ROCPRIM_400000_NS6detail17trampoline_kernelINS0_14default_configENS1_25transform_config_selectorIlLb1EEEZNS1_14transform_implILb1ES3_S5_PlS7_NS0_8identityIlEEEE10hipError_tT2_T3_mT4_P12ihipStream_tbEUlT_E_NS1_11comp_targetILNS1_3genE0ELNS1_11target_archE4294967295ELNS1_3gpuE0ELNS1_3repE0EEENS1_30default_config_static_selectorELNS0_4arch9wavefront6targetE0EEEvT1_,comdat
	.protected	_ZN7rocprim17ROCPRIM_400000_NS6detail17trampoline_kernelINS0_14default_configENS1_25transform_config_selectorIlLb1EEEZNS1_14transform_implILb1ES3_S5_PlS7_NS0_8identityIlEEEE10hipError_tT2_T3_mT4_P12ihipStream_tbEUlT_E_NS1_11comp_targetILNS1_3genE0ELNS1_11target_archE4294967295ELNS1_3gpuE0ELNS1_3repE0EEENS1_30default_config_static_selectorELNS0_4arch9wavefront6targetE0EEEvT1_ ; -- Begin function _ZN7rocprim17ROCPRIM_400000_NS6detail17trampoline_kernelINS0_14default_configENS1_25transform_config_selectorIlLb1EEEZNS1_14transform_implILb1ES3_S5_PlS7_NS0_8identityIlEEEE10hipError_tT2_T3_mT4_P12ihipStream_tbEUlT_E_NS1_11comp_targetILNS1_3genE0ELNS1_11target_archE4294967295ELNS1_3gpuE0ELNS1_3repE0EEENS1_30default_config_static_selectorELNS0_4arch9wavefront6targetE0EEEvT1_
	.globl	_ZN7rocprim17ROCPRIM_400000_NS6detail17trampoline_kernelINS0_14default_configENS1_25transform_config_selectorIlLb1EEEZNS1_14transform_implILb1ES3_S5_PlS7_NS0_8identityIlEEEE10hipError_tT2_T3_mT4_P12ihipStream_tbEUlT_E_NS1_11comp_targetILNS1_3genE0ELNS1_11target_archE4294967295ELNS1_3gpuE0ELNS1_3repE0EEENS1_30default_config_static_selectorELNS0_4arch9wavefront6targetE0EEEvT1_
	.p2align	8
	.type	_ZN7rocprim17ROCPRIM_400000_NS6detail17trampoline_kernelINS0_14default_configENS1_25transform_config_selectorIlLb1EEEZNS1_14transform_implILb1ES3_S5_PlS7_NS0_8identityIlEEEE10hipError_tT2_T3_mT4_P12ihipStream_tbEUlT_E_NS1_11comp_targetILNS1_3genE0ELNS1_11target_archE4294967295ELNS1_3gpuE0ELNS1_3repE0EEENS1_30default_config_static_selectorELNS0_4arch9wavefront6targetE0EEEvT1_,@function
_ZN7rocprim17ROCPRIM_400000_NS6detail17trampoline_kernelINS0_14default_configENS1_25transform_config_selectorIlLb1EEEZNS1_14transform_implILb1ES3_S5_PlS7_NS0_8identityIlEEEE10hipError_tT2_T3_mT4_P12ihipStream_tbEUlT_E_NS1_11comp_targetILNS1_3genE0ELNS1_11target_archE4294967295ELNS1_3gpuE0ELNS1_3repE0EEENS1_30default_config_static_selectorELNS0_4arch9wavefront6targetE0EEEvT1_: ; @_ZN7rocprim17ROCPRIM_400000_NS6detail17trampoline_kernelINS0_14default_configENS1_25transform_config_selectorIlLb1EEEZNS1_14transform_implILb1ES3_S5_PlS7_NS0_8identityIlEEEE10hipError_tT2_T3_mT4_P12ihipStream_tbEUlT_E_NS1_11comp_targetILNS1_3genE0ELNS1_11target_archE4294967295ELNS1_3gpuE0ELNS1_3repE0EEENS1_30default_config_static_selectorELNS0_4arch9wavefront6targetE0EEEvT1_
; %bb.0:
	.section	.rodata,"a",@progbits
	.p2align	6, 0x0
	.amdhsa_kernel _ZN7rocprim17ROCPRIM_400000_NS6detail17trampoline_kernelINS0_14default_configENS1_25transform_config_selectorIlLb1EEEZNS1_14transform_implILb1ES3_S5_PlS7_NS0_8identityIlEEEE10hipError_tT2_T3_mT4_P12ihipStream_tbEUlT_E_NS1_11comp_targetILNS1_3genE0ELNS1_11target_archE4294967295ELNS1_3gpuE0ELNS1_3repE0EEENS1_30default_config_static_selectorELNS0_4arch9wavefront6targetE0EEEvT1_
		.amdhsa_group_segment_fixed_size 0
		.amdhsa_private_segment_fixed_size 0
		.amdhsa_kernarg_size 40
		.amdhsa_user_sgpr_count 15
		.amdhsa_user_sgpr_dispatch_ptr 0
		.amdhsa_user_sgpr_queue_ptr 0
		.amdhsa_user_sgpr_kernarg_segment_ptr 1
		.amdhsa_user_sgpr_dispatch_id 0
		.amdhsa_user_sgpr_private_segment_size 0
		.amdhsa_wavefront_size32 1
		.amdhsa_uses_dynamic_stack 0
		.amdhsa_enable_private_segment 0
		.amdhsa_system_sgpr_workgroup_id_x 1
		.amdhsa_system_sgpr_workgroup_id_y 0
		.amdhsa_system_sgpr_workgroup_id_z 0
		.amdhsa_system_sgpr_workgroup_info 0
		.amdhsa_system_vgpr_workitem_id 0
		.amdhsa_next_free_vgpr 1
		.amdhsa_next_free_sgpr 1
		.amdhsa_reserve_vcc 0
		.amdhsa_float_round_mode_32 0
		.amdhsa_float_round_mode_16_64 0
		.amdhsa_float_denorm_mode_32 3
		.amdhsa_float_denorm_mode_16_64 3
		.amdhsa_dx10_clamp 1
		.amdhsa_ieee_mode 1
		.amdhsa_fp16_overflow 0
		.amdhsa_workgroup_processor_mode 1
		.amdhsa_memory_ordered 1
		.amdhsa_forward_progress 0
		.amdhsa_shared_vgpr_count 0
		.amdhsa_exception_fp_ieee_invalid_op 0
		.amdhsa_exception_fp_denorm_src 0
		.amdhsa_exception_fp_ieee_div_zero 0
		.amdhsa_exception_fp_ieee_overflow 0
		.amdhsa_exception_fp_ieee_underflow 0
		.amdhsa_exception_fp_ieee_inexact 0
		.amdhsa_exception_int_div_zero 0
	.end_amdhsa_kernel
	.section	.text._ZN7rocprim17ROCPRIM_400000_NS6detail17trampoline_kernelINS0_14default_configENS1_25transform_config_selectorIlLb1EEEZNS1_14transform_implILb1ES3_S5_PlS7_NS0_8identityIlEEEE10hipError_tT2_T3_mT4_P12ihipStream_tbEUlT_E_NS1_11comp_targetILNS1_3genE0ELNS1_11target_archE4294967295ELNS1_3gpuE0ELNS1_3repE0EEENS1_30default_config_static_selectorELNS0_4arch9wavefront6targetE0EEEvT1_,"axG",@progbits,_ZN7rocprim17ROCPRIM_400000_NS6detail17trampoline_kernelINS0_14default_configENS1_25transform_config_selectorIlLb1EEEZNS1_14transform_implILb1ES3_S5_PlS7_NS0_8identityIlEEEE10hipError_tT2_T3_mT4_P12ihipStream_tbEUlT_E_NS1_11comp_targetILNS1_3genE0ELNS1_11target_archE4294967295ELNS1_3gpuE0ELNS1_3repE0EEENS1_30default_config_static_selectorELNS0_4arch9wavefront6targetE0EEEvT1_,comdat
.Lfunc_end42:
	.size	_ZN7rocprim17ROCPRIM_400000_NS6detail17trampoline_kernelINS0_14default_configENS1_25transform_config_selectorIlLb1EEEZNS1_14transform_implILb1ES3_S5_PlS7_NS0_8identityIlEEEE10hipError_tT2_T3_mT4_P12ihipStream_tbEUlT_E_NS1_11comp_targetILNS1_3genE0ELNS1_11target_archE4294967295ELNS1_3gpuE0ELNS1_3repE0EEENS1_30default_config_static_selectorELNS0_4arch9wavefront6targetE0EEEvT1_, .Lfunc_end42-_ZN7rocprim17ROCPRIM_400000_NS6detail17trampoline_kernelINS0_14default_configENS1_25transform_config_selectorIlLb1EEEZNS1_14transform_implILb1ES3_S5_PlS7_NS0_8identityIlEEEE10hipError_tT2_T3_mT4_P12ihipStream_tbEUlT_E_NS1_11comp_targetILNS1_3genE0ELNS1_11target_archE4294967295ELNS1_3gpuE0ELNS1_3repE0EEENS1_30default_config_static_selectorELNS0_4arch9wavefront6targetE0EEEvT1_
                                        ; -- End function
	.section	.AMDGPU.csdata,"",@progbits
; Kernel info:
; codeLenInByte = 0
; NumSgprs: 0
; NumVgprs: 0
; ScratchSize: 0
; MemoryBound: 0
; FloatMode: 240
; IeeeMode: 1
; LDSByteSize: 0 bytes/workgroup (compile time only)
; SGPRBlocks: 0
; VGPRBlocks: 0
; NumSGPRsForWavesPerEU: 1
; NumVGPRsForWavesPerEU: 1
; Occupancy: 16
; WaveLimiterHint : 0
; COMPUTE_PGM_RSRC2:SCRATCH_EN: 0
; COMPUTE_PGM_RSRC2:USER_SGPR: 15
; COMPUTE_PGM_RSRC2:TRAP_HANDLER: 0
; COMPUTE_PGM_RSRC2:TGID_X_EN: 1
; COMPUTE_PGM_RSRC2:TGID_Y_EN: 0
; COMPUTE_PGM_RSRC2:TGID_Z_EN: 0
; COMPUTE_PGM_RSRC2:TIDIG_COMP_CNT: 0
	.section	.text._ZN7rocprim17ROCPRIM_400000_NS6detail17trampoline_kernelINS0_14default_configENS1_25transform_config_selectorIlLb1EEEZNS1_14transform_implILb1ES3_S5_PlS7_NS0_8identityIlEEEE10hipError_tT2_T3_mT4_P12ihipStream_tbEUlT_E_NS1_11comp_targetILNS1_3genE10ELNS1_11target_archE1201ELNS1_3gpuE5ELNS1_3repE0EEENS1_30default_config_static_selectorELNS0_4arch9wavefront6targetE0EEEvT1_,"axG",@progbits,_ZN7rocprim17ROCPRIM_400000_NS6detail17trampoline_kernelINS0_14default_configENS1_25transform_config_selectorIlLb1EEEZNS1_14transform_implILb1ES3_S5_PlS7_NS0_8identityIlEEEE10hipError_tT2_T3_mT4_P12ihipStream_tbEUlT_E_NS1_11comp_targetILNS1_3genE10ELNS1_11target_archE1201ELNS1_3gpuE5ELNS1_3repE0EEENS1_30default_config_static_selectorELNS0_4arch9wavefront6targetE0EEEvT1_,comdat
	.protected	_ZN7rocprim17ROCPRIM_400000_NS6detail17trampoline_kernelINS0_14default_configENS1_25transform_config_selectorIlLb1EEEZNS1_14transform_implILb1ES3_S5_PlS7_NS0_8identityIlEEEE10hipError_tT2_T3_mT4_P12ihipStream_tbEUlT_E_NS1_11comp_targetILNS1_3genE10ELNS1_11target_archE1201ELNS1_3gpuE5ELNS1_3repE0EEENS1_30default_config_static_selectorELNS0_4arch9wavefront6targetE0EEEvT1_ ; -- Begin function _ZN7rocprim17ROCPRIM_400000_NS6detail17trampoline_kernelINS0_14default_configENS1_25transform_config_selectorIlLb1EEEZNS1_14transform_implILb1ES3_S5_PlS7_NS0_8identityIlEEEE10hipError_tT2_T3_mT4_P12ihipStream_tbEUlT_E_NS1_11comp_targetILNS1_3genE10ELNS1_11target_archE1201ELNS1_3gpuE5ELNS1_3repE0EEENS1_30default_config_static_selectorELNS0_4arch9wavefront6targetE0EEEvT1_
	.globl	_ZN7rocprim17ROCPRIM_400000_NS6detail17trampoline_kernelINS0_14default_configENS1_25transform_config_selectorIlLb1EEEZNS1_14transform_implILb1ES3_S5_PlS7_NS0_8identityIlEEEE10hipError_tT2_T3_mT4_P12ihipStream_tbEUlT_E_NS1_11comp_targetILNS1_3genE10ELNS1_11target_archE1201ELNS1_3gpuE5ELNS1_3repE0EEENS1_30default_config_static_selectorELNS0_4arch9wavefront6targetE0EEEvT1_
	.p2align	8
	.type	_ZN7rocprim17ROCPRIM_400000_NS6detail17trampoline_kernelINS0_14default_configENS1_25transform_config_selectorIlLb1EEEZNS1_14transform_implILb1ES3_S5_PlS7_NS0_8identityIlEEEE10hipError_tT2_T3_mT4_P12ihipStream_tbEUlT_E_NS1_11comp_targetILNS1_3genE10ELNS1_11target_archE1201ELNS1_3gpuE5ELNS1_3repE0EEENS1_30default_config_static_selectorELNS0_4arch9wavefront6targetE0EEEvT1_,@function
_ZN7rocprim17ROCPRIM_400000_NS6detail17trampoline_kernelINS0_14default_configENS1_25transform_config_selectorIlLb1EEEZNS1_14transform_implILb1ES3_S5_PlS7_NS0_8identityIlEEEE10hipError_tT2_T3_mT4_P12ihipStream_tbEUlT_E_NS1_11comp_targetILNS1_3genE10ELNS1_11target_archE1201ELNS1_3gpuE5ELNS1_3repE0EEENS1_30default_config_static_selectorELNS0_4arch9wavefront6targetE0EEEvT1_: ; @_ZN7rocprim17ROCPRIM_400000_NS6detail17trampoline_kernelINS0_14default_configENS1_25transform_config_selectorIlLb1EEEZNS1_14transform_implILb1ES3_S5_PlS7_NS0_8identityIlEEEE10hipError_tT2_T3_mT4_P12ihipStream_tbEUlT_E_NS1_11comp_targetILNS1_3genE10ELNS1_11target_archE1201ELNS1_3gpuE5ELNS1_3repE0EEENS1_30default_config_static_selectorELNS0_4arch9wavefront6targetE0EEEvT1_
; %bb.0:
	.section	.rodata,"a",@progbits
	.p2align	6, 0x0
	.amdhsa_kernel _ZN7rocprim17ROCPRIM_400000_NS6detail17trampoline_kernelINS0_14default_configENS1_25transform_config_selectorIlLb1EEEZNS1_14transform_implILb1ES3_S5_PlS7_NS0_8identityIlEEEE10hipError_tT2_T3_mT4_P12ihipStream_tbEUlT_E_NS1_11comp_targetILNS1_3genE10ELNS1_11target_archE1201ELNS1_3gpuE5ELNS1_3repE0EEENS1_30default_config_static_selectorELNS0_4arch9wavefront6targetE0EEEvT1_
		.amdhsa_group_segment_fixed_size 0
		.amdhsa_private_segment_fixed_size 0
		.amdhsa_kernarg_size 40
		.amdhsa_user_sgpr_count 15
		.amdhsa_user_sgpr_dispatch_ptr 0
		.amdhsa_user_sgpr_queue_ptr 0
		.amdhsa_user_sgpr_kernarg_segment_ptr 1
		.amdhsa_user_sgpr_dispatch_id 0
		.amdhsa_user_sgpr_private_segment_size 0
		.amdhsa_wavefront_size32 1
		.amdhsa_uses_dynamic_stack 0
		.amdhsa_enable_private_segment 0
		.amdhsa_system_sgpr_workgroup_id_x 1
		.amdhsa_system_sgpr_workgroup_id_y 0
		.amdhsa_system_sgpr_workgroup_id_z 0
		.amdhsa_system_sgpr_workgroup_info 0
		.amdhsa_system_vgpr_workitem_id 0
		.amdhsa_next_free_vgpr 1
		.amdhsa_next_free_sgpr 1
		.amdhsa_reserve_vcc 0
		.amdhsa_float_round_mode_32 0
		.amdhsa_float_round_mode_16_64 0
		.amdhsa_float_denorm_mode_32 3
		.amdhsa_float_denorm_mode_16_64 3
		.amdhsa_dx10_clamp 1
		.amdhsa_ieee_mode 1
		.amdhsa_fp16_overflow 0
		.amdhsa_workgroup_processor_mode 1
		.amdhsa_memory_ordered 1
		.amdhsa_forward_progress 0
		.amdhsa_shared_vgpr_count 0
		.amdhsa_exception_fp_ieee_invalid_op 0
		.amdhsa_exception_fp_denorm_src 0
		.amdhsa_exception_fp_ieee_div_zero 0
		.amdhsa_exception_fp_ieee_overflow 0
		.amdhsa_exception_fp_ieee_underflow 0
		.amdhsa_exception_fp_ieee_inexact 0
		.amdhsa_exception_int_div_zero 0
	.end_amdhsa_kernel
	.section	.text._ZN7rocprim17ROCPRIM_400000_NS6detail17trampoline_kernelINS0_14default_configENS1_25transform_config_selectorIlLb1EEEZNS1_14transform_implILb1ES3_S5_PlS7_NS0_8identityIlEEEE10hipError_tT2_T3_mT4_P12ihipStream_tbEUlT_E_NS1_11comp_targetILNS1_3genE10ELNS1_11target_archE1201ELNS1_3gpuE5ELNS1_3repE0EEENS1_30default_config_static_selectorELNS0_4arch9wavefront6targetE0EEEvT1_,"axG",@progbits,_ZN7rocprim17ROCPRIM_400000_NS6detail17trampoline_kernelINS0_14default_configENS1_25transform_config_selectorIlLb1EEEZNS1_14transform_implILb1ES3_S5_PlS7_NS0_8identityIlEEEE10hipError_tT2_T3_mT4_P12ihipStream_tbEUlT_E_NS1_11comp_targetILNS1_3genE10ELNS1_11target_archE1201ELNS1_3gpuE5ELNS1_3repE0EEENS1_30default_config_static_selectorELNS0_4arch9wavefront6targetE0EEEvT1_,comdat
.Lfunc_end43:
	.size	_ZN7rocprim17ROCPRIM_400000_NS6detail17trampoline_kernelINS0_14default_configENS1_25transform_config_selectorIlLb1EEEZNS1_14transform_implILb1ES3_S5_PlS7_NS0_8identityIlEEEE10hipError_tT2_T3_mT4_P12ihipStream_tbEUlT_E_NS1_11comp_targetILNS1_3genE10ELNS1_11target_archE1201ELNS1_3gpuE5ELNS1_3repE0EEENS1_30default_config_static_selectorELNS0_4arch9wavefront6targetE0EEEvT1_, .Lfunc_end43-_ZN7rocprim17ROCPRIM_400000_NS6detail17trampoline_kernelINS0_14default_configENS1_25transform_config_selectorIlLb1EEEZNS1_14transform_implILb1ES3_S5_PlS7_NS0_8identityIlEEEE10hipError_tT2_T3_mT4_P12ihipStream_tbEUlT_E_NS1_11comp_targetILNS1_3genE10ELNS1_11target_archE1201ELNS1_3gpuE5ELNS1_3repE0EEENS1_30default_config_static_selectorELNS0_4arch9wavefront6targetE0EEEvT1_
                                        ; -- End function
	.section	.AMDGPU.csdata,"",@progbits
; Kernel info:
; codeLenInByte = 0
; NumSgprs: 0
; NumVgprs: 0
; ScratchSize: 0
; MemoryBound: 0
; FloatMode: 240
; IeeeMode: 1
; LDSByteSize: 0 bytes/workgroup (compile time only)
; SGPRBlocks: 0
; VGPRBlocks: 0
; NumSGPRsForWavesPerEU: 1
; NumVGPRsForWavesPerEU: 1
; Occupancy: 16
; WaveLimiterHint : 0
; COMPUTE_PGM_RSRC2:SCRATCH_EN: 0
; COMPUTE_PGM_RSRC2:USER_SGPR: 15
; COMPUTE_PGM_RSRC2:TRAP_HANDLER: 0
; COMPUTE_PGM_RSRC2:TGID_X_EN: 1
; COMPUTE_PGM_RSRC2:TGID_Y_EN: 0
; COMPUTE_PGM_RSRC2:TGID_Z_EN: 0
; COMPUTE_PGM_RSRC2:TIDIG_COMP_CNT: 0
	.section	.text._ZN7rocprim17ROCPRIM_400000_NS6detail17trampoline_kernelINS0_14default_configENS1_25transform_config_selectorIlLb1EEEZNS1_14transform_implILb1ES3_S5_PlS7_NS0_8identityIlEEEE10hipError_tT2_T3_mT4_P12ihipStream_tbEUlT_E_NS1_11comp_targetILNS1_3genE5ELNS1_11target_archE942ELNS1_3gpuE9ELNS1_3repE0EEENS1_30default_config_static_selectorELNS0_4arch9wavefront6targetE0EEEvT1_,"axG",@progbits,_ZN7rocprim17ROCPRIM_400000_NS6detail17trampoline_kernelINS0_14default_configENS1_25transform_config_selectorIlLb1EEEZNS1_14transform_implILb1ES3_S5_PlS7_NS0_8identityIlEEEE10hipError_tT2_T3_mT4_P12ihipStream_tbEUlT_E_NS1_11comp_targetILNS1_3genE5ELNS1_11target_archE942ELNS1_3gpuE9ELNS1_3repE0EEENS1_30default_config_static_selectorELNS0_4arch9wavefront6targetE0EEEvT1_,comdat
	.protected	_ZN7rocprim17ROCPRIM_400000_NS6detail17trampoline_kernelINS0_14default_configENS1_25transform_config_selectorIlLb1EEEZNS1_14transform_implILb1ES3_S5_PlS7_NS0_8identityIlEEEE10hipError_tT2_T3_mT4_P12ihipStream_tbEUlT_E_NS1_11comp_targetILNS1_3genE5ELNS1_11target_archE942ELNS1_3gpuE9ELNS1_3repE0EEENS1_30default_config_static_selectorELNS0_4arch9wavefront6targetE0EEEvT1_ ; -- Begin function _ZN7rocprim17ROCPRIM_400000_NS6detail17trampoline_kernelINS0_14default_configENS1_25transform_config_selectorIlLb1EEEZNS1_14transform_implILb1ES3_S5_PlS7_NS0_8identityIlEEEE10hipError_tT2_T3_mT4_P12ihipStream_tbEUlT_E_NS1_11comp_targetILNS1_3genE5ELNS1_11target_archE942ELNS1_3gpuE9ELNS1_3repE0EEENS1_30default_config_static_selectorELNS0_4arch9wavefront6targetE0EEEvT1_
	.globl	_ZN7rocprim17ROCPRIM_400000_NS6detail17trampoline_kernelINS0_14default_configENS1_25transform_config_selectorIlLb1EEEZNS1_14transform_implILb1ES3_S5_PlS7_NS0_8identityIlEEEE10hipError_tT2_T3_mT4_P12ihipStream_tbEUlT_E_NS1_11comp_targetILNS1_3genE5ELNS1_11target_archE942ELNS1_3gpuE9ELNS1_3repE0EEENS1_30default_config_static_selectorELNS0_4arch9wavefront6targetE0EEEvT1_
	.p2align	8
	.type	_ZN7rocprim17ROCPRIM_400000_NS6detail17trampoline_kernelINS0_14default_configENS1_25transform_config_selectorIlLb1EEEZNS1_14transform_implILb1ES3_S5_PlS7_NS0_8identityIlEEEE10hipError_tT2_T3_mT4_P12ihipStream_tbEUlT_E_NS1_11comp_targetILNS1_3genE5ELNS1_11target_archE942ELNS1_3gpuE9ELNS1_3repE0EEENS1_30default_config_static_selectorELNS0_4arch9wavefront6targetE0EEEvT1_,@function
_ZN7rocprim17ROCPRIM_400000_NS6detail17trampoline_kernelINS0_14default_configENS1_25transform_config_selectorIlLb1EEEZNS1_14transform_implILb1ES3_S5_PlS7_NS0_8identityIlEEEE10hipError_tT2_T3_mT4_P12ihipStream_tbEUlT_E_NS1_11comp_targetILNS1_3genE5ELNS1_11target_archE942ELNS1_3gpuE9ELNS1_3repE0EEENS1_30default_config_static_selectorELNS0_4arch9wavefront6targetE0EEEvT1_: ; @_ZN7rocprim17ROCPRIM_400000_NS6detail17trampoline_kernelINS0_14default_configENS1_25transform_config_selectorIlLb1EEEZNS1_14transform_implILb1ES3_S5_PlS7_NS0_8identityIlEEEE10hipError_tT2_T3_mT4_P12ihipStream_tbEUlT_E_NS1_11comp_targetILNS1_3genE5ELNS1_11target_archE942ELNS1_3gpuE9ELNS1_3repE0EEENS1_30default_config_static_selectorELNS0_4arch9wavefront6targetE0EEEvT1_
; %bb.0:
	.section	.rodata,"a",@progbits
	.p2align	6, 0x0
	.amdhsa_kernel _ZN7rocprim17ROCPRIM_400000_NS6detail17trampoline_kernelINS0_14default_configENS1_25transform_config_selectorIlLb1EEEZNS1_14transform_implILb1ES3_S5_PlS7_NS0_8identityIlEEEE10hipError_tT2_T3_mT4_P12ihipStream_tbEUlT_E_NS1_11comp_targetILNS1_3genE5ELNS1_11target_archE942ELNS1_3gpuE9ELNS1_3repE0EEENS1_30default_config_static_selectorELNS0_4arch9wavefront6targetE0EEEvT1_
		.amdhsa_group_segment_fixed_size 0
		.amdhsa_private_segment_fixed_size 0
		.amdhsa_kernarg_size 40
		.amdhsa_user_sgpr_count 15
		.amdhsa_user_sgpr_dispatch_ptr 0
		.amdhsa_user_sgpr_queue_ptr 0
		.amdhsa_user_sgpr_kernarg_segment_ptr 1
		.amdhsa_user_sgpr_dispatch_id 0
		.amdhsa_user_sgpr_private_segment_size 0
		.amdhsa_wavefront_size32 1
		.amdhsa_uses_dynamic_stack 0
		.amdhsa_enable_private_segment 0
		.amdhsa_system_sgpr_workgroup_id_x 1
		.amdhsa_system_sgpr_workgroup_id_y 0
		.amdhsa_system_sgpr_workgroup_id_z 0
		.amdhsa_system_sgpr_workgroup_info 0
		.amdhsa_system_vgpr_workitem_id 0
		.amdhsa_next_free_vgpr 1
		.amdhsa_next_free_sgpr 1
		.amdhsa_reserve_vcc 0
		.amdhsa_float_round_mode_32 0
		.amdhsa_float_round_mode_16_64 0
		.amdhsa_float_denorm_mode_32 3
		.amdhsa_float_denorm_mode_16_64 3
		.amdhsa_dx10_clamp 1
		.amdhsa_ieee_mode 1
		.amdhsa_fp16_overflow 0
		.amdhsa_workgroup_processor_mode 1
		.amdhsa_memory_ordered 1
		.amdhsa_forward_progress 0
		.amdhsa_shared_vgpr_count 0
		.amdhsa_exception_fp_ieee_invalid_op 0
		.amdhsa_exception_fp_denorm_src 0
		.amdhsa_exception_fp_ieee_div_zero 0
		.amdhsa_exception_fp_ieee_overflow 0
		.amdhsa_exception_fp_ieee_underflow 0
		.amdhsa_exception_fp_ieee_inexact 0
		.amdhsa_exception_int_div_zero 0
	.end_amdhsa_kernel
	.section	.text._ZN7rocprim17ROCPRIM_400000_NS6detail17trampoline_kernelINS0_14default_configENS1_25transform_config_selectorIlLb1EEEZNS1_14transform_implILb1ES3_S5_PlS7_NS0_8identityIlEEEE10hipError_tT2_T3_mT4_P12ihipStream_tbEUlT_E_NS1_11comp_targetILNS1_3genE5ELNS1_11target_archE942ELNS1_3gpuE9ELNS1_3repE0EEENS1_30default_config_static_selectorELNS0_4arch9wavefront6targetE0EEEvT1_,"axG",@progbits,_ZN7rocprim17ROCPRIM_400000_NS6detail17trampoline_kernelINS0_14default_configENS1_25transform_config_selectorIlLb1EEEZNS1_14transform_implILb1ES3_S5_PlS7_NS0_8identityIlEEEE10hipError_tT2_T3_mT4_P12ihipStream_tbEUlT_E_NS1_11comp_targetILNS1_3genE5ELNS1_11target_archE942ELNS1_3gpuE9ELNS1_3repE0EEENS1_30default_config_static_selectorELNS0_4arch9wavefront6targetE0EEEvT1_,comdat
.Lfunc_end44:
	.size	_ZN7rocprim17ROCPRIM_400000_NS6detail17trampoline_kernelINS0_14default_configENS1_25transform_config_selectorIlLb1EEEZNS1_14transform_implILb1ES3_S5_PlS7_NS0_8identityIlEEEE10hipError_tT2_T3_mT4_P12ihipStream_tbEUlT_E_NS1_11comp_targetILNS1_3genE5ELNS1_11target_archE942ELNS1_3gpuE9ELNS1_3repE0EEENS1_30default_config_static_selectorELNS0_4arch9wavefront6targetE0EEEvT1_, .Lfunc_end44-_ZN7rocprim17ROCPRIM_400000_NS6detail17trampoline_kernelINS0_14default_configENS1_25transform_config_selectorIlLb1EEEZNS1_14transform_implILb1ES3_S5_PlS7_NS0_8identityIlEEEE10hipError_tT2_T3_mT4_P12ihipStream_tbEUlT_E_NS1_11comp_targetILNS1_3genE5ELNS1_11target_archE942ELNS1_3gpuE9ELNS1_3repE0EEENS1_30default_config_static_selectorELNS0_4arch9wavefront6targetE0EEEvT1_
                                        ; -- End function
	.section	.AMDGPU.csdata,"",@progbits
; Kernel info:
; codeLenInByte = 0
; NumSgprs: 0
; NumVgprs: 0
; ScratchSize: 0
; MemoryBound: 0
; FloatMode: 240
; IeeeMode: 1
; LDSByteSize: 0 bytes/workgroup (compile time only)
; SGPRBlocks: 0
; VGPRBlocks: 0
; NumSGPRsForWavesPerEU: 1
; NumVGPRsForWavesPerEU: 1
; Occupancy: 16
; WaveLimiterHint : 0
; COMPUTE_PGM_RSRC2:SCRATCH_EN: 0
; COMPUTE_PGM_RSRC2:USER_SGPR: 15
; COMPUTE_PGM_RSRC2:TRAP_HANDLER: 0
; COMPUTE_PGM_RSRC2:TGID_X_EN: 1
; COMPUTE_PGM_RSRC2:TGID_Y_EN: 0
; COMPUTE_PGM_RSRC2:TGID_Z_EN: 0
; COMPUTE_PGM_RSRC2:TIDIG_COMP_CNT: 0
	.section	.text._ZN7rocprim17ROCPRIM_400000_NS6detail17trampoline_kernelINS0_14default_configENS1_25transform_config_selectorIlLb1EEEZNS1_14transform_implILb1ES3_S5_PlS7_NS0_8identityIlEEEE10hipError_tT2_T3_mT4_P12ihipStream_tbEUlT_E_NS1_11comp_targetILNS1_3genE4ELNS1_11target_archE910ELNS1_3gpuE8ELNS1_3repE0EEENS1_30default_config_static_selectorELNS0_4arch9wavefront6targetE0EEEvT1_,"axG",@progbits,_ZN7rocprim17ROCPRIM_400000_NS6detail17trampoline_kernelINS0_14default_configENS1_25transform_config_selectorIlLb1EEEZNS1_14transform_implILb1ES3_S5_PlS7_NS0_8identityIlEEEE10hipError_tT2_T3_mT4_P12ihipStream_tbEUlT_E_NS1_11comp_targetILNS1_3genE4ELNS1_11target_archE910ELNS1_3gpuE8ELNS1_3repE0EEENS1_30default_config_static_selectorELNS0_4arch9wavefront6targetE0EEEvT1_,comdat
	.protected	_ZN7rocprim17ROCPRIM_400000_NS6detail17trampoline_kernelINS0_14default_configENS1_25transform_config_selectorIlLb1EEEZNS1_14transform_implILb1ES3_S5_PlS7_NS0_8identityIlEEEE10hipError_tT2_T3_mT4_P12ihipStream_tbEUlT_E_NS1_11comp_targetILNS1_3genE4ELNS1_11target_archE910ELNS1_3gpuE8ELNS1_3repE0EEENS1_30default_config_static_selectorELNS0_4arch9wavefront6targetE0EEEvT1_ ; -- Begin function _ZN7rocprim17ROCPRIM_400000_NS6detail17trampoline_kernelINS0_14default_configENS1_25transform_config_selectorIlLb1EEEZNS1_14transform_implILb1ES3_S5_PlS7_NS0_8identityIlEEEE10hipError_tT2_T3_mT4_P12ihipStream_tbEUlT_E_NS1_11comp_targetILNS1_3genE4ELNS1_11target_archE910ELNS1_3gpuE8ELNS1_3repE0EEENS1_30default_config_static_selectorELNS0_4arch9wavefront6targetE0EEEvT1_
	.globl	_ZN7rocprim17ROCPRIM_400000_NS6detail17trampoline_kernelINS0_14default_configENS1_25transform_config_selectorIlLb1EEEZNS1_14transform_implILb1ES3_S5_PlS7_NS0_8identityIlEEEE10hipError_tT2_T3_mT4_P12ihipStream_tbEUlT_E_NS1_11comp_targetILNS1_3genE4ELNS1_11target_archE910ELNS1_3gpuE8ELNS1_3repE0EEENS1_30default_config_static_selectorELNS0_4arch9wavefront6targetE0EEEvT1_
	.p2align	8
	.type	_ZN7rocprim17ROCPRIM_400000_NS6detail17trampoline_kernelINS0_14default_configENS1_25transform_config_selectorIlLb1EEEZNS1_14transform_implILb1ES3_S5_PlS7_NS0_8identityIlEEEE10hipError_tT2_T3_mT4_P12ihipStream_tbEUlT_E_NS1_11comp_targetILNS1_3genE4ELNS1_11target_archE910ELNS1_3gpuE8ELNS1_3repE0EEENS1_30default_config_static_selectorELNS0_4arch9wavefront6targetE0EEEvT1_,@function
_ZN7rocprim17ROCPRIM_400000_NS6detail17trampoline_kernelINS0_14default_configENS1_25transform_config_selectorIlLb1EEEZNS1_14transform_implILb1ES3_S5_PlS7_NS0_8identityIlEEEE10hipError_tT2_T3_mT4_P12ihipStream_tbEUlT_E_NS1_11comp_targetILNS1_3genE4ELNS1_11target_archE910ELNS1_3gpuE8ELNS1_3repE0EEENS1_30default_config_static_selectorELNS0_4arch9wavefront6targetE0EEEvT1_: ; @_ZN7rocprim17ROCPRIM_400000_NS6detail17trampoline_kernelINS0_14default_configENS1_25transform_config_selectorIlLb1EEEZNS1_14transform_implILb1ES3_S5_PlS7_NS0_8identityIlEEEE10hipError_tT2_T3_mT4_P12ihipStream_tbEUlT_E_NS1_11comp_targetILNS1_3genE4ELNS1_11target_archE910ELNS1_3gpuE8ELNS1_3repE0EEENS1_30default_config_static_selectorELNS0_4arch9wavefront6targetE0EEEvT1_
; %bb.0:
	.section	.rodata,"a",@progbits
	.p2align	6, 0x0
	.amdhsa_kernel _ZN7rocprim17ROCPRIM_400000_NS6detail17trampoline_kernelINS0_14default_configENS1_25transform_config_selectorIlLb1EEEZNS1_14transform_implILb1ES3_S5_PlS7_NS0_8identityIlEEEE10hipError_tT2_T3_mT4_P12ihipStream_tbEUlT_E_NS1_11comp_targetILNS1_3genE4ELNS1_11target_archE910ELNS1_3gpuE8ELNS1_3repE0EEENS1_30default_config_static_selectorELNS0_4arch9wavefront6targetE0EEEvT1_
		.amdhsa_group_segment_fixed_size 0
		.amdhsa_private_segment_fixed_size 0
		.amdhsa_kernarg_size 40
		.amdhsa_user_sgpr_count 15
		.amdhsa_user_sgpr_dispatch_ptr 0
		.amdhsa_user_sgpr_queue_ptr 0
		.amdhsa_user_sgpr_kernarg_segment_ptr 1
		.amdhsa_user_sgpr_dispatch_id 0
		.amdhsa_user_sgpr_private_segment_size 0
		.amdhsa_wavefront_size32 1
		.amdhsa_uses_dynamic_stack 0
		.amdhsa_enable_private_segment 0
		.amdhsa_system_sgpr_workgroup_id_x 1
		.amdhsa_system_sgpr_workgroup_id_y 0
		.amdhsa_system_sgpr_workgroup_id_z 0
		.amdhsa_system_sgpr_workgroup_info 0
		.amdhsa_system_vgpr_workitem_id 0
		.amdhsa_next_free_vgpr 1
		.amdhsa_next_free_sgpr 1
		.amdhsa_reserve_vcc 0
		.amdhsa_float_round_mode_32 0
		.amdhsa_float_round_mode_16_64 0
		.amdhsa_float_denorm_mode_32 3
		.amdhsa_float_denorm_mode_16_64 3
		.amdhsa_dx10_clamp 1
		.amdhsa_ieee_mode 1
		.amdhsa_fp16_overflow 0
		.amdhsa_workgroup_processor_mode 1
		.amdhsa_memory_ordered 1
		.amdhsa_forward_progress 0
		.amdhsa_shared_vgpr_count 0
		.amdhsa_exception_fp_ieee_invalid_op 0
		.amdhsa_exception_fp_denorm_src 0
		.amdhsa_exception_fp_ieee_div_zero 0
		.amdhsa_exception_fp_ieee_overflow 0
		.amdhsa_exception_fp_ieee_underflow 0
		.amdhsa_exception_fp_ieee_inexact 0
		.amdhsa_exception_int_div_zero 0
	.end_amdhsa_kernel
	.section	.text._ZN7rocprim17ROCPRIM_400000_NS6detail17trampoline_kernelINS0_14default_configENS1_25transform_config_selectorIlLb1EEEZNS1_14transform_implILb1ES3_S5_PlS7_NS0_8identityIlEEEE10hipError_tT2_T3_mT4_P12ihipStream_tbEUlT_E_NS1_11comp_targetILNS1_3genE4ELNS1_11target_archE910ELNS1_3gpuE8ELNS1_3repE0EEENS1_30default_config_static_selectorELNS0_4arch9wavefront6targetE0EEEvT1_,"axG",@progbits,_ZN7rocprim17ROCPRIM_400000_NS6detail17trampoline_kernelINS0_14default_configENS1_25transform_config_selectorIlLb1EEEZNS1_14transform_implILb1ES3_S5_PlS7_NS0_8identityIlEEEE10hipError_tT2_T3_mT4_P12ihipStream_tbEUlT_E_NS1_11comp_targetILNS1_3genE4ELNS1_11target_archE910ELNS1_3gpuE8ELNS1_3repE0EEENS1_30default_config_static_selectorELNS0_4arch9wavefront6targetE0EEEvT1_,comdat
.Lfunc_end45:
	.size	_ZN7rocprim17ROCPRIM_400000_NS6detail17trampoline_kernelINS0_14default_configENS1_25transform_config_selectorIlLb1EEEZNS1_14transform_implILb1ES3_S5_PlS7_NS0_8identityIlEEEE10hipError_tT2_T3_mT4_P12ihipStream_tbEUlT_E_NS1_11comp_targetILNS1_3genE4ELNS1_11target_archE910ELNS1_3gpuE8ELNS1_3repE0EEENS1_30default_config_static_selectorELNS0_4arch9wavefront6targetE0EEEvT1_, .Lfunc_end45-_ZN7rocprim17ROCPRIM_400000_NS6detail17trampoline_kernelINS0_14default_configENS1_25transform_config_selectorIlLb1EEEZNS1_14transform_implILb1ES3_S5_PlS7_NS0_8identityIlEEEE10hipError_tT2_T3_mT4_P12ihipStream_tbEUlT_E_NS1_11comp_targetILNS1_3genE4ELNS1_11target_archE910ELNS1_3gpuE8ELNS1_3repE0EEENS1_30default_config_static_selectorELNS0_4arch9wavefront6targetE0EEEvT1_
                                        ; -- End function
	.section	.AMDGPU.csdata,"",@progbits
; Kernel info:
; codeLenInByte = 0
; NumSgprs: 0
; NumVgprs: 0
; ScratchSize: 0
; MemoryBound: 0
; FloatMode: 240
; IeeeMode: 1
; LDSByteSize: 0 bytes/workgroup (compile time only)
; SGPRBlocks: 0
; VGPRBlocks: 0
; NumSGPRsForWavesPerEU: 1
; NumVGPRsForWavesPerEU: 1
; Occupancy: 16
; WaveLimiterHint : 0
; COMPUTE_PGM_RSRC2:SCRATCH_EN: 0
; COMPUTE_PGM_RSRC2:USER_SGPR: 15
; COMPUTE_PGM_RSRC2:TRAP_HANDLER: 0
; COMPUTE_PGM_RSRC2:TGID_X_EN: 1
; COMPUTE_PGM_RSRC2:TGID_Y_EN: 0
; COMPUTE_PGM_RSRC2:TGID_Z_EN: 0
; COMPUTE_PGM_RSRC2:TIDIG_COMP_CNT: 0
	.section	.text._ZN7rocprim17ROCPRIM_400000_NS6detail17trampoline_kernelINS0_14default_configENS1_25transform_config_selectorIlLb1EEEZNS1_14transform_implILb1ES3_S5_PlS7_NS0_8identityIlEEEE10hipError_tT2_T3_mT4_P12ihipStream_tbEUlT_E_NS1_11comp_targetILNS1_3genE3ELNS1_11target_archE908ELNS1_3gpuE7ELNS1_3repE0EEENS1_30default_config_static_selectorELNS0_4arch9wavefront6targetE0EEEvT1_,"axG",@progbits,_ZN7rocprim17ROCPRIM_400000_NS6detail17trampoline_kernelINS0_14default_configENS1_25transform_config_selectorIlLb1EEEZNS1_14transform_implILb1ES3_S5_PlS7_NS0_8identityIlEEEE10hipError_tT2_T3_mT4_P12ihipStream_tbEUlT_E_NS1_11comp_targetILNS1_3genE3ELNS1_11target_archE908ELNS1_3gpuE7ELNS1_3repE0EEENS1_30default_config_static_selectorELNS0_4arch9wavefront6targetE0EEEvT1_,comdat
	.protected	_ZN7rocprim17ROCPRIM_400000_NS6detail17trampoline_kernelINS0_14default_configENS1_25transform_config_selectorIlLb1EEEZNS1_14transform_implILb1ES3_S5_PlS7_NS0_8identityIlEEEE10hipError_tT2_T3_mT4_P12ihipStream_tbEUlT_E_NS1_11comp_targetILNS1_3genE3ELNS1_11target_archE908ELNS1_3gpuE7ELNS1_3repE0EEENS1_30default_config_static_selectorELNS0_4arch9wavefront6targetE0EEEvT1_ ; -- Begin function _ZN7rocprim17ROCPRIM_400000_NS6detail17trampoline_kernelINS0_14default_configENS1_25transform_config_selectorIlLb1EEEZNS1_14transform_implILb1ES3_S5_PlS7_NS0_8identityIlEEEE10hipError_tT2_T3_mT4_P12ihipStream_tbEUlT_E_NS1_11comp_targetILNS1_3genE3ELNS1_11target_archE908ELNS1_3gpuE7ELNS1_3repE0EEENS1_30default_config_static_selectorELNS0_4arch9wavefront6targetE0EEEvT1_
	.globl	_ZN7rocprim17ROCPRIM_400000_NS6detail17trampoline_kernelINS0_14default_configENS1_25transform_config_selectorIlLb1EEEZNS1_14transform_implILb1ES3_S5_PlS7_NS0_8identityIlEEEE10hipError_tT2_T3_mT4_P12ihipStream_tbEUlT_E_NS1_11comp_targetILNS1_3genE3ELNS1_11target_archE908ELNS1_3gpuE7ELNS1_3repE0EEENS1_30default_config_static_selectorELNS0_4arch9wavefront6targetE0EEEvT1_
	.p2align	8
	.type	_ZN7rocprim17ROCPRIM_400000_NS6detail17trampoline_kernelINS0_14default_configENS1_25transform_config_selectorIlLb1EEEZNS1_14transform_implILb1ES3_S5_PlS7_NS0_8identityIlEEEE10hipError_tT2_T3_mT4_P12ihipStream_tbEUlT_E_NS1_11comp_targetILNS1_3genE3ELNS1_11target_archE908ELNS1_3gpuE7ELNS1_3repE0EEENS1_30default_config_static_selectorELNS0_4arch9wavefront6targetE0EEEvT1_,@function
_ZN7rocprim17ROCPRIM_400000_NS6detail17trampoline_kernelINS0_14default_configENS1_25transform_config_selectorIlLb1EEEZNS1_14transform_implILb1ES3_S5_PlS7_NS0_8identityIlEEEE10hipError_tT2_T3_mT4_P12ihipStream_tbEUlT_E_NS1_11comp_targetILNS1_3genE3ELNS1_11target_archE908ELNS1_3gpuE7ELNS1_3repE0EEENS1_30default_config_static_selectorELNS0_4arch9wavefront6targetE0EEEvT1_: ; @_ZN7rocprim17ROCPRIM_400000_NS6detail17trampoline_kernelINS0_14default_configENS1_25transform_config_selectorIlLb1EEEZNS1_14transform_implILb1ES3_S5_PlS7_NS0_8identityIlEEEE10hipError_tT2_T3_mT4_P12ihipStream_tbEUlT_E_NS1_11comp_targetILNS1_3genE3ELNS1_11target_archE908ELNS1_3gpuE7ELNS1_3repE0EEENS1_30default_config_static_selectorELNS0_4arch9wavefront6targetE0EEEvT1_
; %bb.0:
	.section	.rodata,"a",@progbits
	.p2align	6, 0x0
	.amdhsa_kernel _ZN7rocprim17ROCPRIM_400000_NS6detail17trampoline_kernelINS0_14default_configENS1_25transform_config_selectorIlLb1EEEZNS1_14transform_implILb1ES3_S5_PlS7_NS0_8identityIlEEEE10hipError_tT2_T3_mT4_P12ihipStream_tbEUlT_E_NS1_11comp_targetILNS1_3genE3ELNS1_11target_archE908ELNS1_3gpuE7ELNS1_3repE0EEENS1_30default_config_static_selectorELNS0_4arch9wavefront6targetE0EEEvT1_
		.amdhsa_group_segment_fixed_size 0
		.amdhsa_private_segment_fixed_size 0
		.amdhsa_kernarg_size 40
		.amdhsa_user_sgpr_count 15
		.amdhsa_user_sgpr_dispatch_ptr 0
		.amdhsa_user_sgpr_queue_ptr 0
		.amdhsa_user_sgpr_kernarg_segment_ptr 1
		.amdhsa_user_sgpr_dispatch_id 0
		.amdhsa_user_sgpr_private_segment_size 0
		.amdhsa_wavefront_size32 1
		.amdhsa_uses_dynamic_stack 0
		.amdhsa_enable_private_segment 0
		.amdhsa_system_sgpr_workgroup_id_x 1
		.amdhsa_system_sgpr_workgroup_id_y 0
		.amdhsa_system_sgpr_workgroup_id_z 0
		.amdhsa_system_sgpr_workgroup_info 0
		.amdhsa_system_vgpr_workitem_id 0
		.amdhsa_next_free_vgpr 1
		.amdhsa_next_free_sgpr 1
		.amdhsa_reserve_vcc 0
		.amdhsa_float_round_mode_32 0
		.amdhsa_float_round_mode_16_64 0
		.amdhsa_float_denorm_mode_32 3
		.amdhsa_float_denorm_mode_16_64 3
		.amdhsa_dx10_clamp 1
		.amdhsa_ieee_mode 1
		.amdhsa_fp16_overflow 0
		.amdhsa_workgroup_processor_mode 1
		.amdhsa_memory_ordered 1
		.amdhsa_forward_progress 0
		.amdhsa_shared_vgpr_count 0
		.amdhsa_exception_fp_ieee_invalid_op 0
		.amdhsa_exception_fp_denorm_src 0
		.amdhsa_exception_fp_ieee_div_zero 0
		.amdhsa_exception_fp_ieee_overflow 0
		.amdhsa_exception_fp_ieee_underflow 0
		.amdhsa_exception_fp_ieee_inexact 0
		.amdhsa_exception_int_div_zero 0
	.end_amdhsa_kernel
	.section	.text._ZN7rocprim17ROCPRIM_400000_NS6detail17trampoline_kernelINS0_14default_configENS1_25transform_config_selectorIlLb1EEEZNS1_14transform_implILb1ES3_S5_PlS7_NS0_8identityIlEEEE10hipError_tT2_T3_mT4_P12ihipStream_tbEUlT_E_NS1_11comp_targetILNS1_3genE3ELNS1_11target_archE908ELNS1_3gpuE7ELNS1_3repE0EEENS1_30default_config_static_selectorELNS0_4arch9wavefront6targetE0EEEvT1_,"axG",@progbits,_ZN7rocprim17ROCPRIM_400000_NS6detail17trampoline_kernelINS0_14default_configENS1_25transform_config_selectorIlLb1EEEZNS1_14transform_implILb1ES3_S5_PlS7_NS0_8identityIlEEEE10hipError_tT2_T3_mT4_P12ihipStream_tbEUlT_E_NS1_11comp_targetILNS1_3genE3ELNS1_11target_archE908ELNS1_3gpuE7ELNS1_3repE0EEENS1_30default_config_static_selectorELNS0_4arch9wavefront6targetE0EEEvT1_,comdat
.Lfunc_end46:
	.size	_ZN7rocprim17ROCPRIM_400000_NS6detail17trampoline_kernelINS0_14default_configENS1_25transform_config_selectorIlLb1EEEZNS1_14transform_implILb1ES3_S5_PlS7_NS0_8identityIlEEEE10hipError_tT2_T3_mT4_P12ihipStream_tbEUlT_E_NS1_11comp_targetILNS1_3genE3ELNS1_11target_archE908ELNS1_3gpuE7ELNS1_3repE0EEENS1_30default_config_static_selectorELNS0_4arch9wavefront6targetE0EEEvT1_, .Lfunc_end46-_ZN7rocprim17ROCPRIM_400000_NS6detail17trampoline_kernelINS0_14default_configENS1_25transform_config_selectorIlLb1EEEZNS1_14transform_implILb1ES3_S5_PlS7_NS0_8identityIlEEEE10hipError_tT2_T3_mT4_P12ihipStream_tbEUlT_E_NS1_11comp_targetILNS1_3genE3ELNS1_11target_archE908ELNS1_3gpuE7ELNS1_3repE0EEENS1_30default_config_static_selectorELNS0_4arch9wavefront6targetE0EEEvT1_
                                        ; -- End function
	.section	.AMDGPU.csdata,"",@progbits
; Kernel info:
; codeLenInByte = 0
; NumSgprs: 0
; NumVgprs: 0
; ScratchSize: 0
; MemoryBound: 0
; FloatMode: 240
; IeeeMode: 1
; LDSByteSize: 0 bytes/workgroup (compile time only)
; SGPRBlocks: 0
; VGPRBlocks: 0
; NumSGPRsForWavesPerEU: 1
; NumVGPRsForWavesPerEU: 1
; Occupancy: 16
; WaveLimiterHint : 0
; COMPUTE_PGM_RSRC2:SCRATCH_EN: 0
; COMPUTE_PGM_RSRC2:USER_SGPR: 15
; COMPUTE_PGM_RSRC2:TRAP_HANDLER: 0
; COMPUTE_PGM_RSRC2:TGID_X_EN: 1
; COMPUTE_PGM_RSRC2:TGID_Y_EN: 0
; COMPUTE_PGM_RSRC2:TGID_Z_EN: 0
; COMPUTE_PGM_RSRC2:TIDIG_COMP_CNT: 0
	.section	.text._ZN7rocprim17ROCPRIM_400000_NS6detail17trampoline_kernelINS0_14default_configENS1_25transform_config_selectorIlLb1EEEZNS1_14transform_implILb1ES3_S5_PlS7_NS0_8identityIlEEEE10hipError_tT2_T3_mT4_P12ihipStream_tbEUlT_E_NS1_11comp_targetILNS1_3genE2ELNS1_11target_archE906ELNS1_3gpuE6ELNS1_3repE0EEENS1_30default_config_static_selectorELNS0_4arch9wavefront6targetE0EEEvT1_,"axG",@progbits,_ZN7rocprim17ROCPRIM_400000_NS6detail17trampoline_kernelINS0_14default_configENS1_25transform_config_selectorIlLb1EEEZNS1_14transform_implILb1ES3_S5_PlS7_NS0_8identityIlEEEE10hipError_tT2_T3_mT4_P12ihipStream_tbEUlT_E_NS1_11comp_targetILNS1_3genE2ELNS1_11target_archE906ELNS1_3gpuE6ELNS1_3repE0EEENS1_30default_config_static_selectorELNS0_4arch9wavefront6targetE0EEEvT1_,comdat
	.protected	_ZN7rocprim17ROCPRIM_400000_NS6detail17trampoline_kernelINS0_14default_configENS1_25transform_config_selectorIlLb1EEEZNS1_14transform_implILb1ES3_S5_PlS7_NS0_8identityIlEEEE10hipError_tT2_T3_mT4_P12ihipStream_tbEUlT_E_NS1_11comp_targetILNS1_3genE2ELNS1_11target_archE906ELNS1_3gpuE6ELNS1_3repE0EEENS1_30default_config_static_selectorELNS0_4arch9wavefront6targetE0EEEvT1_ ; -- Begin function _ZN7rocprim17ROCPRIM_400000_NS6detail17trampoline_kernelINS0_14default_configENS1_25transform_config_selectorIlLb1EEEZNS1_14transform_implILb1ES3_S5_PlS7_NS0_8identityIlEEEE10hipError_tT2_T3_mT4_P12ihipStream_tbEUlT_E_NS1_11comp_targetILNS1_3genE2ELNS1_11target_archE906ELNS1_3gpuE6ELNS1_3repE0EEENS1_30default_config_static_selectorELNS0_4arch9wavefront6targetE0EEEvT1_
	.globl	_ZN7rocprim17ROCPRIM_400000_NS6detail17trampoline_kernelINS0_14default_configENS1_25transform_config_selectorIlLb1EEEZNS1_14transform_implILb1ES3_S5_PlS7_NS0_8identityIlEEEE10hipError_tT2_T3_mT4_P12ihipStream_tbEUlT_E_NS1_11comp_targetILNS1_3genE2ELNS1_11target_archE906ELNS1_3gpuE6ELNS1_3repE0EEENS1_30default_config_static_selectorELNS0_4arch9wavefront6targetE0EEEvT1_
	.p2align	8
	.type	_ZN7rocprim17ROCPRIM_400000_NS6detail17trampoline_kernelINS0_14default_configENS1_25transform_config_selectorIlLb1EEEZNS1_14transform_implILb1ES3_S5_PlS7_NS0_8identityIlEEEE10hipError_tT2_T3_mT4_P12ihipStream_tbEUlT_E_NS1_11comp_targetILNS1_3genE2ELNS1_11target_archE906ELNS1_3gpuE6ELNS1_3repE0EEENS1_30default_config_static_selectorELNS0_4arch9wavefront6targetE0EEEvT1_,@function
_ZN7rocprim17ROCPRIM_400000_NS6detail17trampoline_kernelINS0_14default_configENS1_25transform_config_selectorIlLb1EEEZNS1_14transform_implILb1ES3_S5_PlS7_NS0_8identityIlEEEE10hipError_tT2_T3_mT4_P12ihipStream_tbEUlT_E_NS1_11comp_targetILNS1_3genE2ELNS1_11target_archE906ELNS1_3gpuE6ELNS1_3repE0EEENS1_30default_config_static_selectorELNS0_4arch9wavefront6targetE0EEEvT1_: ; @_ZN7rocprim17ROCPRIM_400000_NS6detail17trampoline_kernelINS0_14default_configENS1_25transform_config_selectorIlLb1EEEZNS1_14transform_implILb1ES3_S5_PlS7_NS0_8identityIlEEEE10hipError_tT2_T3_mT4_P12ihipStream_tbEUlT_E_NS1_11comp_targetILNS1_3genE2ELNS1_11target_archE906ELNS1_3gpuE6ELNS1_3repE0EEENS1_30default_config_static_selectorELNS0_4arch9wavefront6targetE0EEEvT1_
; %bb.0:
	.section	.rodata,"a",@progbits
	.p2align	6, 0x0
	.amdhsa_kernel _ZN7rocprim17ROCPRIM_400000_NS6detail17trampoline_kernelINS0_14default_configENS1_25transform_config_selectorIlLb1EEEZNS1_14transform_implILb1ES3_S5_PlS7_NS0_8identityIlEEEE10hipError_tT2_T3_mT4_P12ihipStream_tbEUlT_E_NS1_11comp_targetILNS1_3genE2ELNS1_11target_archE906ELNS1_3gpuE6ELNS1_3repE0EEENS1_30default_config_static_selectorELNS0_4arch9wavefront6targetE0EEEvT1_
		.amdhsa_group_segment_fixed_size 0
		.amdhsa_private_segment_fixed_size 0
		.amdhsa_kernarg_size 40
		.amdhsa_user_sgpr_count 15
		.amdhsa_user_sgpr_dispatch_ptr 0
		.amdhsa_user_sgpr_queue_ptr 0
		.amdhsa_user_sgpr_kernarg_segment_ptr 1
		.amdhsa_user_sgpr_dispatch_id 0
		.amdhsa_user_sgpr_private_segment_size 0
		.amdhsa_wavefront_size32 1
		.amdhsa_uses_dynamic_stack 0
		.amdhsa_enable_private_segment 0
		.amdhsa_system_sgpr_workgroup_id_x 1
		.amdhsa_system_sgpr_workgroup_id_y 0
		.amdhsa_system_sgpr_workgroup_id_z 0
		.amdhsa_system_sgpr_workgroup_info 0
		.amdhsa_system_vgpr_workitem_id 0
		.amdhsa_next_free_vgpr 1
		.amdhsa_next_free_sgpr 1
		.amdhsa_reserve_vcc 0
		.amdhsa_float_round_mode_32 0
		.amdhsa_float_round_mode_16_64 0
		.amdhsa_float_denorm_mode_32 3
		.amdhsa_float_denorm_mode_16_64 3
		.amdhsa_dx10_clamp 1
		.amdhsa_ieee_mode 1
		.amdhsa_fp16_overflow 0
		.amdhsa_workgroup_processor_mode 1
		.amdhsa_memory_ordered 1
		.amdhsa_forward_progress 0
		.amdhsa_shared_vgpr_count 0
		.amdhsa_exception_fp_ieee_invalid_op 0
		.amdhsa_exception_fp_denorm_src 0
		.amdhsa_exception_fp_ieee_div_zero 0
		.amdhsa_exception_fp_ieee_overflow 0
		.amdhsa_exception_fp_ieee_underflow 0
		.amdhsa_exception_fp_ieee_inexact 0
		.amdhsa_exception_int_div_zero 0
	.end_amdhsa_kernel
	.section	.text._ZN7rocprim17ROCPRIM_400000_NS6detail17trampoline_kernelINS0_14default_configENS1_25transform_config_selectorIlLb1EEEZNS1_14transform_implILb1ES3_S5_PlS7_NS0_8identityIlEEEE10hipError_tT2_T3_mT4_P12ihipStream_tbEUlT_E_NS1_11comp_targetILNS1_3genE2ELNS1_11target_archE906ELNS1_3gpuE6ELNS1_3repE0EEENS1_30default_config_static_selectorELNS0_4arch9wavefront6targetE0EEEvT1_,"axG",@progbits,_ZN7rocprim17ROCPRIM_400000_NS6detail17trampoline_kernelINS0_14default_configENS1_25transform_config_selectorIlLb1EEEZNS1_14transform_implILb1ES3_S5_PlS7_NS0_8identityIlEEEE10hipError_tT2_T3_mT4_P12ihipStream_tbEUlT_E_NS1_11comp_targetILNS1_3genE2ELNS1_11target_archE906ELNS1_3gpuE6ELNS1_3repE0EEENS1_30default_config_static_selectorELNS0_4arch9wavefront6targetE0EEEvT1_,comdat
.Lfunc_end47:
	.size	_ZN7rocprim17ROCPRIM_400000_NS6detail17trampoline_kernelINS0_14default_configENS1_25transform_config_selectorIlLb1EEEZNS1_14transform_implILb1ES3_S5_PlS7_NS0_8identityIlEEEE10hipError_tT2_T3_mT4_P12ihipStream_tbEUlT_E_NS1_11comp_targetILNS1_3genE2ELNS1_11target_archE906ELNS1_3gpuE6ELNS1_3repE0EEENS1_30default_config_static_selectorELNS0_4arch9wavefront6targetE0EEEvT1_, .Lfunc_end47-_ZN7rocprim17ROCPRIM_400000_NS6detail17trampoline_kernelINS0_14default_configENS1_25transform_config_selectorIlLb1EEEZNS1_14transform_implILb1ES3_S5_PlS7_NS0_8identityIlEEEE10hipError_tT2_T3_mT4_P12ihipStream_tbEUlT_E_NS1_11comp_targetILNS1_3genE2ELNS1_11target_archE906ELNS1_3gpuE6ELNS1_3repE0EEENS1_30default_config_static_selectorELNS0_4arch9wavefront6targetE0EEEvT1_
                                        ; -- End function
	.section	.AMDGPU.csdata,"",@progbits
; Kernel info:
; codeLenInByte = 0
; NumSgprs: 0
; NumVgprs: 0
; ScratchSize: 0
; MemoryBound: 0
; FloatMode: 240
; IeeeMode: 1
; LDSByteSize: 0 bytes/workgroup (compile time only)
; SGPRBlocks: 0
; VGPRBlocks: 0
; NumSGPRsForWavesPerEU: 1
; NumVGPRsForWavesPerEU: 1
; Occupancy: 16
; WaveLimiterHint : 0
; COMPUTE_PGM_RSRC2:SCRATCH_EN: 0
; COMPUTE_PGM_RSRC2:USER_SGPR: 15
; COMPUTE_PGM_RSRC2:TRAP_HANDLER: 0
; COMPUTE_PGM_RSRC2:TGID_X_EN: 1
; COMPUTE_PGM_RSRC2:TGID_Y_EN: 0
; COMPUTE_PGM_RSRC2:TGID_Z_EN: 0
; COMPUTE_PGM_RSRC2:TIDIG_COMP_CNT: 0
	.section	.text._ZN7rocprim17ROCPRIM_400000_NS6detail17trampoline_kernelINS0_14default_configENS1_25transform_config_selectorIlLb1EEEZNS1_14transform_implILb1ES3_S5_PlS7_NS0_8identityIlEEEE10hipError_tT2_T3_mT4_P12ihipStream_tbEUlT_E_NS1_11comp_targetILNS1_3genE9ELNS1_11target_archE1100ELNS1_3gpuE3ELNS1_3repE0EEENS1_30default_config_static_selectorELNS0_4arch9wavefront6targetE0EEEvT1_,"axG",@progbits,_ZN7rocprim17ROCPRIM_400000_NS6detail17trampoline_kernelINS0_14default_configENS1_25transform_config_selectorIlLb1EEEZNS1_14transform_implILb1ES3_S5_PlS7_NS0_8identityIlEEEE10hipError_tT2_T3_mT4_P12ihipStream_tbEUlT_E_NS1_11comp_targetILNS1_3genE9ELNS1_11target_archE1100ELNS1_3gpuE3ELNS1_3repE0EEENS1_30default_config_static_selectorELNS0_4arch9wavefront6targetE0EEEvT1_,comdat
	.protected	_ZN7rocprim17ROCPRIM_400000_NS6detail17trampoline_kernelINS0_14default_configENS1_25transform_config_selectorIlLb1EEEZNS1_14transform_implILb1ES3_S5_PlS7_NS0_8identityIlEEEE10hipError_tT2_T3_mT4_P12ihipStream_tbEUlT_E_NS1_11comp_targetILNS1_3genE9ELNS1_11target_archE1100ELNS1_3gpuE3ELNS1_3repE0EEENS1_30default_config_static_selectorELNS0_4arch9wavefront6targetE0EEEvT1_ ; -- Begin function _ZN7rocprim17ROCPRIM_400000_NS6detail17trampoline_kernelINS0_14default_configENS1_25transform_config_selectorIlLb1EEEZNS1_14transform_implILb1ES3_S5_PlS7_NS0_8identityIlEEEE10hipError_tT2_T3_mT4_P12ihipStream_tbEUlT_E_NS1_11comp_targetILNS1_3genE9ELNS1_11target_archE1100ELNS1_3gpuE3ELNS1_3repE0EEENS1_30default_config_static_selectorELNS0_4arch9wavefront6targetE0EEEvT1_
	.globl	_ZN7rocprim17ROCPRIM_400000_NS6detail17trampoline_kernelINS0_14default_configENS1_25transform_config_selectorIlLb1EEEZNS1_14transform_implILb1ES3_S5_PlS7_NS0_8identityIlEEEE10hipError_tT2_T3_mT4_P12ihipStream_tbEUlT_E_NS1_11comp_targetILNS1_3genE9ELNS1_11target_archE1100ELNS1_3gpuE3ELNS1_3repE0EEENS1_30default_config_static_selectorELNS0_4arch9wavefront6targetE0EEEvT1_
	.p2align	8
	.type	_ZN7rocprim17ROCPRIM_400000_NS6detail17trampoline_kernelINS0_14default_configENS1_25transform_config_selectorIlLb1EEEZNS1_14transform_implILb1ES3_S5_PlS7_NS0_8identityIlEEEE10hipError_tT2_T3_mT4_P12ihipStream_tbEUlT_E_NS1_11comp_targetILNS1_3genE9ELNS1_11target_archE1100ELNS1_3gpuE3ELNS1_3repE0EEENS1_30default_config_static_selectorELNS0_4arch9wavefront6targetE0EEEvT1_,@function
_ZN7rocprim17ROCPRIM_400000_NS6detail17trampoline_kernelINS0_14default_configENS1_25transform_config_selectorIlLb1EEEZNS1_14transform_implILb1ES3_S5_PlS7_NS0_8identityIlEEEE10hipError_tT2_T3_mT4_P12ihipStream_tbEUlT_E_NS1_11comp_targetILNS1_3genE9ELNS1_11target_archE1100ELNS1_3gpuE3ELNS1_3repE0EEENS1_30default_config_static_selectorELNS0_4arch9wavefront6targetE0EEEvT1_: ; @_ZN7rocprim17ROCPRIM_400000_NS6detail17trampoline_kernelINS0_14default_configENS1_25transform_config_selectorIlLb1EEEZNS1_14transform_implILb1ES3_S5_PlS7_NS0_8identityIlEEEE10hipError_tT2_T3_mT4_P12ihipStream_tbEUlT_E_NS1_11comp_targetILNS1_3genE9ELNS1_11target_archE1100ELNS1_3gpuE3ELNS1_3repE0EEENS1_30default_config_static_selectorELNS0_4arch9wavefront6targetE0EEEvT1_
; %bb.0:
	s_load_b256 s[4:11], s[0:1], 0x0
	s_waitcnt lgkmcnt(0)
	s_load_b32 s9, s[0:1], 0x28
	s_lshl_b64 s[0:1], s[6:7], 3
	s_delay_alu instid0(SALU_CYCLE_1)
	s_add_u32 s4, s4, s0
	s_addc_u32 s5, s5, s1
	s_add_u32 s6, s10, s0
	s_addc_u32 s7, s11, s1
	s_lshl_b32 s0, s15, 11
	s_mov_b32 s1, 0
	s_waitcnt lgkmcnt(0)
	s_add_i32 s9, s9, -1
	s_lshl_b64 s[2:3], s[0:1], 3
	s_mov_b32 s1, -1
	s_add_u32 s4, s4, s2
	s_addc_u32 s5, s5, s3
	s_cmp_lg_u32 s15, s9
	s_cbranch_scc0 .LBB48_2
; %bb.1:
	v_lshlrev_b32_e32 v5, 4, v0
	s_add_u32 s10, s6, s2
	s_addc_u32 s11, s7, s3
	s_mov_b32 s1, 0
	global_load_b128 v[1:4], v5, s[4:5] slc dlc
	s_waitcnt vmcnt(0)
	global_store_b128 v5, v[1:4], s[10:11]
.LBB48_2:
	s_and_not1_b32 vcc_lo, exec_lo, s1
	s_cbranch_vccnz .LBB48_11
; %bb.3:
	s_sub_i32 s0, s8, s0
	v_lshlrev_b32_e32 v5, 3, v0
	v_cmp_gt_u32_e32 vcc_lo, s0, v0
                                        ; implicit-def: $vgpr1_vgpr2_vgpr3_vgpr4
	s_and_saveexec_b32 s1, vcc_lo
	s_cbranch_execz .LBB48_5
; %bb.4:
	global_load_b64 v[1:2], v5, s[4:5]
.LBB48_5:
	s_or_b32 exec_lo, exec_lo, s1
	v_or_b32_e32 v0, 0x400, v0
	s_delay_alu instid0(VALU_DEP_1) | instskip(NEXT) | instid1(VALU_DEP_1)
	v_cmp_gt_u32_e64 s0, s0, v0
	s_and_saveexec_b32 s1, s0
	s_cbranch_execz .LBB48_7
; %bb.6:
	v_lshlrev_b32_e32 v0, 3, v0
	global_load_b64 v[3:4], v0, s[4:5]
.LBB48_7:
	s_or_b32 exec_lo, exec_lo, s1
	s_add_u32 s1, s6, s2
	s_addc_u32 s2, s7, s3
	v_add_co_u32 v5, s1, s1, v5
	s_delay_alu instid0(VALU_DEP_1)
	v_add_co_ci_u32_e64 v6, null, s2, 0, s1
	s_and_saveexec_b32 s1, vcc_lo
	s_cbranch_execz .LBB48_9
; %bb.8:
	s_waitcnt vmcnt(0)
	global_store_b64 v[5:6], v[1:2], off
.LBB48_9:
	s_or_b32 exec_lo, exec_lo, s1
	s_and_saveexec_b32 s1, s0
	s_cbranch_execz .LBB48_11
; %bb.10:
	v_add_co_u32 v0, vcc_lo, 0x2000, v5
	s_waitcnt vmcnt(0)
	v_add_co_ci_u32_e32 v1, vcc_lo, 0, v6, vcc_lo
	global_store_b64 v[0:1], v[3:4], off
.LBB48_11:
	s_nop 0
	s_sendmsg sendmsg(MSG_DEALLOC_VGPRS)
	s_endpgm
	.section	.rodata,"a",@progbits
	.p2align	6, 0x0
	.amdhsa_kernel _ZN7rocprim17ROCPRIM_400000_NS6detail17trampoline_kernelINS0_14default_configENS1_25transform_config_selectorIlLb1EEEZNS1_14transform_implILb1ES3_S5_PlS7_NS0_8identityIlEEEE10hipError_tT2_T3_mT4_P12ihipStream_tbEUlT_E_NS1_11comp_targetILNS1_3genE9ELNS1_11target_archE1100ELNS1_3gpuE3ELNS1_3repE0EEENS1_30default_config_static_selectorELNS0_4arch9wavefront6targetE0EEEvT1_
		.amdhsa_group_segment_fixed_size 0
		.amdhsa_private_segment_fixed_size 0
		.amdhsa_kernarg_size 296
		.amdhsa_user_sgpr_count 15
		.amdhsa_user_sgpr_dispatch_ptr 0
		.amdhsa_user_sgpr_queue_ptr 0
		.amdhsa_user_sgpr_kernarg_segment_ptr 1
		.amdhsa_user_sgpr_dispatch_id 0
		.amdhsa_user_sgpr_private_segment_size 0
		.amdhsa_wavefront_size32 1
		.amdhsa_uses_dynamic_stack 0
		.amdhsa_enable_private_segment 0
		.amdhsa_system_sgpr_workgroup_id_x 1
		.amdhsa_system_sgpr_workgroup_id_y 0
		.amdhsa_system_sgpr_workgroup_id_z 0
		.amdhsa_system_sgpr_workgroup_info 0
		.amdhsa_system_vgpr_workitem_id 0
		.amdhsa_next_free_vgpr 7
		.amdhsa_next_free_sgpr 16
		.amdhsa_reserve_vcc 1
		.amdhsa_float_round_mode_32 0
		.amdhsa_float_round_mode_16_64 0
		.amdhsa_float_denorm_mode_32 3
		.amdhsa_float_denorm_mode_16_64 3
		.amdhsa_dx10_clamp 1
		.amdhsa_ieee_mode 1
		.amdhsa_fp16_overflow 0
		.amdhsa_workgroup_processor_mode 1
		.amdhsa_memory_ordered 1
		.amdhsa_forward_progress 0
		.amdhsa_shared_vgpr_count 0
		.amdhsa_exception_fp_ieee_invalid_op 0
		.amdhsa_exception_fp_denorm_src 0
		.amdhsa_exception_fp_ieee_div_zero 0
		.amdhsa_exception_fp_ieee_overflow 0
		.amdhsa_exception_fp_ieee_underflow 0
		.amdhsa_exception_fp_ieee_inexact 0
		.amdhsa_exception_int_div_zero 0
	.end_amdhsa_kernel
	.section	.text._ZN7rocprim17ROCPRIM_400000_NS6detail17trampoline_kernelINS0_14default_configENS1_25transform_config_selectorIlLb1EEEZNS1_14transform_implILb1ES3_S5_PlS7_NS0_8identityIlEEEE10hipError_tT2_T3_mT4_P12ihipStream_tbEUlT_E_NS1_11comp_targetILNS1_3genE9ELNS1_11target_archE1100ELNS1_3gpuE3ELNS1_3repE0EEENS1_30default_config_static_selectorELNS0_4arch9wavefront6targetE0EEEvT1_,"axG",@progbits,_ZN7rocprim17ROCPRIM_400000_NS6detail17trampoline_kernelINS0_14default_configENS1_25transform_config_selectorIlLb1EEEZNS1_14transform_implILb1ES3_S5_PlS7_NS0_8identityIlEEEE10hipError_tT2_T3_mT4_P12ihipStream_tbEUlT_E_NS1_11comp_targetILNS1_3genE9ELNS1_11target_archE1100ELNS1_3gpuE3ELNS1_3repE0EEENS1_30default_config_static_selectorELNS0_4arch9wavefront6targetE0EEEvT1_,comdat
.Lfunc_end48:
	.size	_ZN7rocprim17ROCPRIM_400000_NS6detail17trampoline_kernelINS0_14default_configENS1_25transform_config_selectorIlLb1EEEZNS1_14transform_implILb1ES3_S5_PlS7_NS0_8identityIlEEEE10hipError_tT2_T3_mT4_P12ihipStream_tbEUlT_E_NS1_11comp_targetILNS1_3genE9ELNS1_11target_archE1100ELNS1_3gpuE3ELNS1_3repE0EEENS1_30default_config_static_selectorELNS0_4arch9wavefront6targetE0EEEvT1_, .Lfunc_end48-_ZN7rocprim17ROCPRIM_400000_NS6detail17trampoline_kernelINS0_14default_configENS1_25transform_config_selectorIlLb1EEEZNS1_14transform_implILb1ES3_S5_PlS7_NS0_8identityIlEEEE10hipError_tT2_T3_mT4_P12ihipStream_tbEUlT_E_NS1_11comp_targetILNS1_3genE9ELNS1_11target_archE1100ELNS1_3gpuE3ELNS1_3repE0EEENS1_30default_config_static_selectorELNS0_4arch9wavefront6targetE0EEEvT1_
                                        ; -- End function
	.section	.AMDGPU.csdata,"",@progbits
; Kernel info:
; codeLenInByte = 304
; NumSgprs: 18
; NumVgprs: 7
; ScratchSize: 0
; MemoryBound: 1
; FloatMode: 240
; IeeeMode: 1
; LDSByteSize: 0 bytes/workgroup (compile time only)
; SGPRBlocks: 2
; VGPRBlocks: 0
; NumSGPRsForWavesPerEU: 18
; NumVGPRsForWavesPerEU: 7
; Occupancy: 16
; WaveLimiterHint : 0
; COMPUTE_PGM_RSRC2:SCRATCH_EN: 0
; COMPUTE_PGM_RSRC2:USER_SGPR: 15
; COMPUTE_PGM_RSRC2:TRAP_HANDLER: 0
; COMPUTE_PGM_RSRC2:TGID_X_EN: 1
; COMPUTE_PGM_RSRC2:TGID_Y_EN: 0
; COMPUTE_PGM_RSRC2:TGID_Z_EN: 0
; COMPUTE_PGM_RSRC2:TIDIG_COMP_CNT: 0
	.section	.text._ZN7rocprim17ROCPRIM_400000_NS6detail17trampoline_kernelINS0_14default_configENS1_25transform_config_selectorIlLb1EEEZNS1_14transform_implILb1ES3_S5_PlS7_NS0_8identityIlEEEE10hipError_tT2_T3_mT4_P12ihipStream_tbEUlT_E_NS1_11comp_targetILNS1_3genE8ELNS1_11target_archE1030ELNS1_3gpuE2ELNS1_3repE0EEENS1_30default_config_static_selectorELNS0_4arch9wavefront6targetE0EEEvT1_,"axG",@progbits,_ZN7rocprim17ROCPRIM_400000_NS6detail17trampoline_kernelINS0_14default_configENS1_25transform_config_selectorIlLb1EEEZNS1_14transform_implILb1ES3_S5_PlS7_NS0_8identityIlEEEE10hipError_tT2_T3_mT4_P12ihipStream_tbEUlT_E_NS1_11comp_targetILNS1_3genE8ELNS1_11target_archE1030ELNS1_3gpuE2ELNS1_3repE0EEENS1_30default_config_static_selectorELNS0_4arch9wavefront6targetE0EEEvT1_,comdat
	.protected	_ZN7rocprim17ROCPRIM_400000_NS6detail17trampoline_kernelINS0_14default_configENS1_25transform_config_selectorIlLb1EEEZNS1_14transform_implILb1ES3_S5_PlS7_NS0_8identityIlEEEE10hipError_tT2_T3_mT4_P12ihipStream_tbEUlT_E_NS1_11comp_targetILNS1_3genE8ELNS1_11target_archE1030ELNS1_3gpuE2ELNS1_3repE0EEENS1_30default_config_static_selectorELNS0_4arch9wavefront6targetE0EEEvT1_ ; -- Begin function _ZN7rocprim17ROCPRIM_400000_NS6detail17trampoline_kernelINS0_14default_configENS1_25transform_config_selectorIlLb1EEEZNS1_14transform_implILb1ES3_S5_PlS7_NS0_8identityIlEEEE10hipError_tT2_T3_mT4_P12ihipStream_tbEUlT_E_NS1_11comp_targetILNS1_3genE8ELNS1_11target_archE1030ELNS1_3gpuE2ELNS1_3repE0EEENS1_30default_config_static_selectorELNS0_4arch9wavefront6targetE0EEEvT1_
	.globl	_ZN7rocprim17ROCPRIM_400000_NS6detail17trampoline_kernelINS0_14default_configENS1_25transform_config_selectorIlLb1EEEZNS1_14transform_implILb1ES3_S5_PlS7_NS0_8identityIlEEEE10hipError_tT2_T3_mT4_P12ihipStream_tbEUlT_E_NS1_11comp_targetILNS1_3genE8ELNS1_11target_archE1030ELNS1_3gpuE2ELNS1_3repE0EEENS1_30default_config_static_selectorELNS0_4arch9wavefront6targetE0EEEvT1_
	.p2align	8
	.type	_ZN7rocprim17ROCPRIM_400000_NS6detail17trampoline_kernelINS0_14default_configENS1_25transform_config_selectorIlLb1EEEZNS1_14transform_implILb1ES3_S5_PlS7_NS0_8identityIlEEEE10hipError_tT2_T3_mT4_P12ihipStream_tbEUlT_E_NS1_11comp_targetILNS1_3genE8ELNS1_11target_archE1030ELNS1_3gpuE2ELNS1_3repE0EEENS1_30default_config_static_selectorELNS0_4arch9wavefront6targetE0EEEvT1_,@function
_ZN7rocprim17ROCPRIM_400000_NS6detail17trampoline_kernelINS0_14default_configENS1_25transform_config_selectorIlLb1EEEZNS1_14transform_implILb1ES3_S5_PlS7_NS0_8identityIlEEEE10hipError_tT2_T3_mT4_P12ihipStream_tbEUlT_E_NS1_11comp_targetILNS1_3genE8ELNS1_11target_archE1030ELNS1_3gpuE2ELNS1_3repE0EEENS1_30default_config_static_selectorELNS0_4arch9wavefront6targetE0EEEvT1_: ; @_ZN7rocprim17ROCPRIM_400000_NS6detail17trampoline_kernelINS0_14default_configENS1_25transform_config_selectorIlLb1EEEZNS1_14transform_implILb1ES3_S5_PlS7_NS0_8identityIlEEEE10hipError_tT2_T3_mT4_P12ihipStream_tbEUlT_E_NS1_11comp_targetILNS1_3genE8ELNS1_11target_archE1030ELNS1_3gpuE2ELNS1_3repE0EEENS1_30default_config_static_selectorELNS0_4arch9wavefront6targetE0EEEvT1_
; %bb.0:
	.section	.rodata,"a",@progbits
	.p2align	6, 0x0
	.amdhsa_kernel _ZN7rocprim17ROCPRIM_400000_NS6detail17trampoline_kernelINS0_14default_configENS1_25transform_config_selectorIlLb1EEEZNS1_14transform_implILb1ES3_S5_PlS7_NS0_8identityIlEEEE10hipError_tT2_T3_mT4_P12ihipStream_tbEUlT_E_NS1_11comp_targetILNS1_3genE8ELNS1_11target_archE1030ELNS1_3gpuE2ELNS1_3repE0EEENS1_30default_config_static_selectorELNS0_4arch9wavefront6targetE0EEEvT1_
		.amdhsa_group_segment_fixed_size 0
		.amdhsa_private_segment_fixed_size 0
		.amdhsa_kernarg_size 40
		.amdhsa_user_sgpr_count 15
		.amdhsa_user_sgpr_dispatch_ptr 0
		.amdhsa_user_sgpr_queue_ptr 0
		.amdhsa_user_sgpr_kernarg_segment_ptr 1
		.amdhsa_user_sgpr_dispatch_id 0
		.amdhsa_user_sgpr_private_segment_size 0
		.amdhsa_wavefront_size32 1
		.amdhsa_uses_dynamic_stack 0
		.amdhsa_enable_private_segment 0
		.amdhsa_system_sgpr_workgroup_id_x 1
		.amdhsa_system_sgpr_workgroup_id_y 0
		.amdhsa_system_sgpr_workgroup_id_z 0
		.amdhsa_system_sgpr_workgroup_info 0
		.amdhsa_system_vgpr_workitem_id 0
		.amdhsa_next_free_vgpr 1
		.amdhsa_next_free_sgpr 1
		.amdhsa_reserve_vcc 0
		.amdhsa_float_round_mode_32 0
		.amdhsa_float_round_mode_16_64 0
		.amdhsa_float_denorm_mode_32 3
		.amdhsa_float_denorm_mode_16_64 3
		.amdhsa_dx10_clamp 1
		.amdhsa_ieee_mode 1
		.amdhsa_fp16_overflow 0
		.amdhsa_workgroup_processor_mode 1
		.amdhsa_memory_ordered 1
		.amdhsa_forward_progress 0
		.amdhsa_shared_vgpr_count 0
		.amdhsa_exception_fp_ieee_invalid_op 0
		.amdhsa_exception_fp_denorm_src 0
		.amdhsa_exception_fp_ieee_div_zero 0
		.amdhsa_exception_fp_ieee_overflow 0
		.amdhsa_exception_fp_ieee_underflow 0
		.amdhsa_exception_fp_ieee_inexact 0
		.amdhsa_exception_int_div_zero 0
	.end_amdhsa_kernel
	.section	.text._ZN7rocprim17ROCPRIM_400000_NS6detail17trampoline_kernelINS0_14default_configENS1_25transform_config_selectorIlLb1EEEZNS1_14transform_implILb1ES3_S5_PlS7_NS0_8identityIlEEEE10hipError_tT2_T3_mT4_P12ihipStream_tbEUlT_E_NS1_11comp_targetILNS1_3genE8ELNS1_11target_archE1030ELNS1_3gpuE2ELNS1_3repE0EEENS1_30default_config_static_selectorELNS0_4arch9wavefront6targetE0EEEvT1_,"axG",@progbits,_ZN7rocprim17ROCPRIM_400000_NS6detail17trampoline_kernelINS0_14default_configENS1_25transform_config_selectorIlLb1EEEZNS1_14transform_implILb1ES3_S5_PlS7_NS0_8identityIlEEEE10hipError_tT2_T3_mT4_P12ihipStream_tbEUlT_E_NS1_11comp_targetILNS1_3genE8ELNS1_11target_archE1030ELNS1_3gpuE2ELNS1_3repE0EEENS1_30default_config_static_selectorELNS0_4arch9wavefront6targetE0EEEvT1_,comdat
.Lfunc_end49:
	.size	_ZN7rocprim17ROCPRIM_400000_NS6detail17trampoline_kernelINS0_14default_configENS1_25transform_config_selectorIlLb1EEEZNS1_14transform_implILb1ES3_S5_PlS7_NS0_8identityIlEEEE10hipError_tT2_T3_mT4_P12ihipStream_tbEUlT_E_NS1_11comp_targetILNS1_3genE8ELNS1_11target_archE1030ELNS1_3gpuE2ELNS1_3repE0EEENS1_30default_config_static_selectorELNS0_4arch9wavefront6targetE0EEEvT1_, .Lfunc_end49-_ZN7rocprim17ROCPRIM_400000_NS6detail17trampoline_kernelINS0_14default_configENS1_25transform_config_selectorIlLb1EEEZNS1_14transform_implILb1ES3_S5_PlS7_NS0_8identityIlEEEE10hipError_tT2_T3_mT4_P12ihipStream_tbEUlT_E_NS1_11comp_targetILNS1_3genE8ELNS1_11target_archE1030ELNS1_3gpuE2ELNS1_3repE0EEENS1_30default_config_static_selectorELNS0_4arch9wavefront6targetE0EEEvT1_
                                        ; -- End function
	.section	.AMDGPU.csdata,"",@progbits
; Kernel info:
; codeLenInByte = 0
; NumSgprs: 0
; NumVgprs: 0
; ScratchSize: 0
; MemoryBound: 0
; FloatMode: 240
; IeeeMode: 1
; LDSByteSize: 0 bytes/workgroup (compile time only)
; SGPRBlocks: 0
; VGPRBlocks: 0
; NumSGPRsForWavesPerEU: 1
; NumVGPRsForWavesPerEU: 1
; Occupancy: 16
; WaveLimiterHint : 0
; COMPUTE_PGM_RSRC2:SCRATCH_EN: 0
; COMPUTE_PGM_RSRC2:USER_SGPR: 15
; COMPUTE_PGM_RSRC2:TRAP_HANDLER: 0
; COMPUTE_PGM_RSRC2:TGID_X_EN: 1
; COMPUTE_PGM_RSRC2:TGID_Y_EN: 0
; COMPUTE_PGM_RSRC2:TGID_Z_EN: 0
; COMPUTE_PGM_RSRC2:TIDIG_COMP_CNT: 0
	.section	.text._ZN7rocprim17ROCPRIM_400000_NS6detail17trampoline_kernelINS0_14default_configENS1_25transform_config_selectorINS0_10empty_typeELb1EEEZNS1_14transform_implILb1ES3_S6_PS5_S8_NS0_8identityIS5_EEEE10hipError_tT2_T3_mT4_P12ihipStream_tbEUlT_E_NS1_11comp_targetILNS1_3genE0ELNS1_11target_archE4294967295ELNS1_3gpuE0ELNS1_3repE0EEENS1_30default_config_static_selectorELNS0_4arch9wavefront6targetE0EEEvT1_,"axG",@progbits,_ZN7rocprim17ROCPRIM_400000_NS6detail17trampoline_kernelINS0_14default_configENS1_25transform_config_selectorINS0_10empty_typeELb1EEEZNS1_14transform_implILb1ES3_S6_PS5_S8_NS0_8identityIS5_EEEE10hipError_tT2_T3_mT4_P12ihipStream_tbEUlT_E_NS1_11comp_targetILNS1_3genE0ELNS1_11target_archE4294967295ELNS1_3gpuE0ELNS1_3repE0EEENS1_30default_config_static_selectorELNS0_4arch9wavefront6targetE0EEEvT1_,comdat
	.protected	_ZN7rocprim17ROCPRIM_400000_NS6detail17trampoline_kernelINS0_14default_configENS1_25transform_config_selectorINS0_10empty_typeELb1EEEZNS1_14transform_implILb1ES3_S6_PS5_S8_NS0_8identityIS5_EEEE10hipError_tT2_T3_mT4_P12ihipStream_tbEUlT_E_NS1_11comp_targetILNS1_3genE0ELNS1_11target_archE4294967295ELNS1_3gpuE0ELNS1_3repE0EEENS1_30default_config_static_selectorELNS0_4arch9wavefront6targetE0EEEvT1_ ; -- Begin function _ZN7rocprim17ROCPRIM_400000_NS6detail17trampoline_kernelINS0_14default_configENS1_25transform_config_selectorINS0_10empty_typeELb1EEEZNS1_14transform_implILb1ES3_S6_PS5_S8_NS0_8identityIS5_EEEE10hipError_tT2_T3_mT4_P12ihipStream_tbEUlT_E_NS1_11comp_targetILNS1_3genE0ELNS1_11target_archE4294967295ELNS1_3gpuE0ELNS1_3repE0EEENS1_30default_config_static_selectorELNS0_4arch9wavefront6targetE0EEEvT1_
	.globl	_ZN7rocprim17ROCPRIM_400000_NS6detail17trampoline_kernelINS0_14default_configENS1_25transform_config_selectorINS0_10empty_typeELb1EEEZNS1_14transform_implILb1ES3_S6_PS5_S8_NS0_8identityIS5_EEEE10hipError_tT2_T3_mT4_P12ihipStream_tbEUlT_E_NS1_11comp_targetILNS1_3genE0ELNS1_11target_archE4294967295ELNS1_3gpuE0ELNS1_3repE0EEENS1_30default_config_static_selectorELNS0_4arch9wavefront6targetE0EEEvT1_
	.p2align	8
	.type	_ZN7rocprim17ROCPRIM_400000_NS6detail17trampoline_kernelINS0_14default_configENS1_25transform_config_selectorINS0_10empty_typeELb1EEEZNS1_14transform_implILb1ES3_S6_PS5_S8_NS0_8identityIS5_EEEE10hipError_tT2_T3_mT4_P12ihipStream_tbEUlT_E_NS1_11comp_targetILNS1_3genE0ELNS1_11target_archE4294967295ELNS1_3gpuE0ELNS1_3repE0EEENS1_30default_config_static_selectorELNS0_4arch9wavefront6targetE0EEEvT1_,@function
_ZN7rocprim17ROCPRIM_400000_NS6detail17trampoline_kernelINS0_14default_configENS1_25transform_config_selectorINS0_10empty_typeELb1EEEZNS1_14transform_implILb1ES3_S6_PS5_S8_NS0_8identityIS5_EEEE10hipError_tT2_T3_mT4_P12ihipStream_tbEUlT_E_NS1_11comp_targetILNS1_3genE0ELNS1_11target_archE4294967295ELNS1_3gpuE0ELNS1_3repE0EEENS1_30default_config_static_selectorELNS0_4arch9wavefront6targetE0EEEvT1_: ; @_ZN7rocprim17ROCPRIM_400000_NS6detail17trampoline_kernelINS0_14default_configENS1_25transform_config_selectorINS0_10empty_typeELb1EEEZNS1_14transform_implILb1ES3_S6_PS5_S8_NS0_8identityIS5_EEEE10hipError_tT2_T3_mT4_P12ihipStream_tbEUlT_E_NS1_11comp_targetILNS1_3genE0ELNS1_11target_archE4294967295ELNS1_3gpuE0ELNS1_3repE0EEENS1_30default_config_static_selectorELNS0_4arch9wavefront6targetE0EEEvT1_
; %bb.0:
	.section	.rodata,"a",@progbits
	.p2align	6, 0x0
	.amdhsa_kernel _ZN7rocprim17ROCPRIM_400000_NS6detail17trampoline_kernelINS0_14default_configENS1_25transform_config_selectorINS0_10empty_typeELb1EEEZNS1_14transform_implILb1ES3_S6_PS5_S8_NS0_8identityIS5_EEEE10hipError_tT2_T3_mT4_P12ihipStream_tbEUlT_E_NS1_11comp_targetILNS1_3genE0ELNS1_11target_archE4294967295ELNS1_3gpuE0ELNS1_3repE0EEENS1_30default_config_static_selectorELNS0_4arch9wavefront6targetE0EEEvT1_
		.amdhsa_group_segment_fixed_size 0
		.amdhsa_private_segment_fixed_size 0
		.amdhsa_kernarg_size 40
		.amdhsa_user_sgpr_count 15
		.amdhsa_user_sgpr_dispatch_ptr 0
		.amdhsa_user_sgpr_queue_ptr 0
		.amdhsa_user_sgpr_kernarg_segment_ptr 1
		.amdhsa_user_sgpr_dispatch_id 0
		.amdhsa_user_sgpr_private_segment_size 0
		.amdhsa_wavefront_size32 1
		.amdhsa_uses_dynamic_stack 0
		.amdhsa_enable_private_segment 0
		.amdhsa_system_sgpr_workgroup_id_x 1
		.amdhsa_system_sgpr_workgroup_id_y 0
		.amdhsa_system_sgpr_workgroup_id_z 0
		.amdhsa_system_sgpr_workgroup_info 0
		.amdhsa_system_vgpr_workitem_id 0
		.amdhsa_next_free_vgpr 1
		.amdhsa_next_free_sgpr 1
		.amdhsa_reserve_vcc 0
		.amdhsa_float_round_mode_32 0
		.amdhsa_float_round_mode_16_64 0
		.amdhsa_float_denorm_mode_32 3
		.amdhsa_float_denorm_mode_16_64 3
		.amdhsa_dx10_clamp 1
		.amdhsa_ieee_mode 1
		.amdhsa_fp16_overflow 0
		.amdhsa_workgroup_processor_mode 1
		.amdhsa_memory_ordered 1
		.amdhsa_forward_progress 0
		.amdhsa_shared_vgpr_count 0
		.amdhsa_exception_fp_ieee_invalid_op 0
		.amdhsa_exception_fp_denorm_src 0
		.amdhsa_exception_fp_ieee_div_zero 0
		.amdhsa_exception_fp_ieee_overflow 0
		.amdhsa_exception_fp_ieee_underflow 0
		.amdhsa_exception_fp_ieee_inexact 0
		.amdhsa_exception_int_div_zero 0
	.end_amdhsa_kernel
	.section	.text._ZN7rocprim17ROCPRIM_400000_NS6detail17trampoline_kernelINS0_14default_configENS1_25transform_config_selectorINS0_10empty_typeELb1EEEZNS1_14transform_implILb1ES3_S6_PS5_S8_NS0_8identityIS5_EEEE10hipError_tT2_T3_mT4_P12ihipStream_tbEUlT_E_NS1_11comp_targetILNS1_3genE0ELNS1_11target_archE4294967295ELNS1_3gpuE0ELNS1_3repE0EEENS1_30default_config_static_selectorELNS0_4arch9wavefront6targetE0EEEvT1_,"axG",@progbits,_ZN7rocprim17ROCPRIM_400000_NS6detail17trampoline_kernelINS0_14default_configENS1_25transform_config_selectorINS0_10empty_typeELb1EEEZNS1_14transform_implILb1ES3_S6_PS5_S8_NS0_8identityIS5_EEEE10hipError_tT2_T3_mT4_P12ihipStream_tbEUlT_E_NS1_11comp_targetILNS1_3genE0ELNS1_11target_archE4294967295ELNS1_3gpuE0ELNS1_3repE0EEENS1_30default_config_static_selectorELNS0_4arch9wavefront6targetE0EEEvT1_,comdat
.Lfunc_end50:
	.size	_ZN7rocprim17ROCPRIM_400000_NS6detail17trampoline_kernelINS0_14default_configENS1_25transform_config_selectorINS0_10empty_typeELb1EEEZNS1_14transform_implILb1ES3_S6_PS5_S8_NS0_8identityIS5_EEEE10hipError_tT2_T3_mT4_P12ihipStream_tbEUlT_E_NS1_11comp_targetILNS1_3genE0ELNS1_11target_archE4294967295ELNS1_3gpuE0ELNS1_3repE0EEENS1_30default_config_static_selectorELNS0_4arch9wavefront6targetE0EEEvT1_, .Lfunc_end50-_ZN7rocprim17ROCPRIM_400000_NS6detail17trampoline_kernelINS0_14default_configENS1_25transform_config_selectorINS0_10empty_typeELb1EEEZNS1_14transform_implILb1ES3_S6_PS5_S8_NS0_8identityIS5_EEEE10hipError_tT2_T3_mT4_P12ihipStream_tbEUlT_E_NS1_11comp_targetILNS1_3genE0ELNS1_11target_archE4294967295ELNS1_3gpuE0ELNS1_3repE0EEENS1_30default_config_static_selectorELNS0_4arch9wavefront6targetE0EEEvT1_
                                        ; -- End function
	.section	.AMDGPU.csdata,"",@progbits
; Kernel info:
; codeLenInByte = 0
; NumSgprs: 0
; NumVgprs: 0
; ScratchSize: 0
; MemoryBound: 0
; FloatMode: 240
; IeeeMode: 1
; LDSByteSize: 0 bytes/workgroup (compile time only)
; SGPRBlocks: 0
; VGPRBlocks: 0
; NumSGPRsForWavesPerEU: 1
; NumVGPRsForWavesPerEU: 1
; Occupancy: 16
; WaveLimiterHint : 0
; COMPUTE_PGM_RSRC2:SCRATCH_EN: 0
; COMPUTE_PGM_RSRC2:USER_SGPR: 15
; COMPUTE_PGM_RSRC2:TRAP_HANDLER: 0
; COMPUTE_PGM_RSRC2:TGID_X_EN: 1
; COMPUTE_PGM_RSRC2:TGID_Y_EN: 0
; COMPUTE_PGM_RSRC2:TGID_Z_EN: 0
; COMPUTE_PGM_RSRC2:TIDIG_COMP_CNT: 0
	.section	.text._ZN7rocprim17ROCPRIM_400000_NS6detail17trampoline_kernelINS0_14default_configENS1_25transform_config_selectorINS0_10empty_typeELb1EEEZNS1_14transform_implILb1ES3_S6_PS5_S8_NS0_8identityIS5_EEEE10hipError_tT2_T3_mT4_P12ihipStream_tbEUlT_E_NS1_11comp_targetILNS1_3genE10ELNS1_11target_archE1201ELNS1_3gpuE5ELNS1_3repE0EEENS1_30default_config_static_selectorELNS0_4arch9wavefront6targetE0EEEvT1_,"axG",@progbits,_ZN7rocprim17ROCPRIM_400000_NS6detail17trampoline_kernelINS0_14default_configENS1_25transform_config_selectorINS0_10empty_typeELb1EEEZNS1_14transform_implILb1ES3_S6_PS5_S8_NS0_8identityIS5_EEEE10hipError_tT2_T3_mT4_P12ihipStream_tbEUlT_E_NS1_11comp_targetILNS1_3genE10ELNS1_11target_archE1201ELNS1_3gpuE5ELNS1_3repE0EEENS1_30default_config_static_selectorELNS0_4arch9wavefront6targetE0EEEvT1_,comdat
	.protected	_ZN7rocprim17ROCPRIM_400000_NS6detail17trampoline_kernelINS0_14default_configENS1_25transform_config_selectorINS0_10empty_typeELb1EEEZNS1_14transform_implILb1ES3_S6_PS5_S8_NS0_8identityIS5_EEEE10hipError_tT2_T3_mT4_P12ihipStream_tbEUlT_E_NS1_11comp_targetILNS1_3genE10ELNS1_11target_archE1201ELNS1_3gpuE5ELNS1_3repE0EEENS1_30default_config_static_selectorELNS0_4arch9wavefront6targetE0EEEvT1_ ; -- Begin function _ZN7rocprim17ROCPRIM_400000_NS6detail17trampoline_kernelINS0_14default_configENS1_25transform_config_selectorINS0_10empty_typeELb1EEEZNS1_14transform_implILb1ES3_S6_PS5_S8_NS0_8identityIS5_EEEE10hipError_tT2_T3_mT4_P12ihipStream_tbEUlT_E_NS1_11comp_targetILNS1_3genE10ELNS1_11target_archE1201ELNS1_3gpuE5ELNS1_3repE0EEENS1_30default_config_static_selectorELNS0_4arch9wavefront6targetE0EEEvT1_
	.globl	_ZN7rocprim17ROCPRIM_400000_NS6detail17trampoline_kernelINS0_14default_configENS1_25transform_config_selectorINS0_10empty_typeELb1EEEZNS1_14transform_implILb1ES3_S6_PS5_S8_NS0_8identityIS5_EEEE10hipError_tT2_T3_mT4_P12ihipStream_tbEUlT_E_NS1_11comp_targetILNS1_3genE10ELNS1_11target_archE1201ELNS1_3gpuE5ELNS1_3repE0EEENS1_30default_config_static_selectorELNS0_4arch9wavefront6targetE0EEEvT1_
	.p2align	8
	.type	_ZN7rocprim17ROCPRIM_400000_NS6detail17trampoline_kernelINS0_14default_configENS1_25transform_config_selectorINS0_10empty_typeELb1EEEZNS1_14transform_implILb1ES3_S6_PS5_S8_NS0_8identityIS5_EEEE10hipError_tT2_T3_mT4_P12ihipStream_tbEUlT_E_NS1_11comp_targetILNS1_3genE10ELNS1_11target_archE1201ELNS1_3gpuE5ELNS1_3repE0EEENS1_30default_config_static_selectorELNS0_4arch9wavefront6targetE0EEEvT1_,@function
_ZN7rocprim17ROCPRIM_400000_NS6detail17trampoline_kernelINS0_14default_configENS1_25transform_config_selectorINS0_10empty_typeELb1EEEZNS1_14transform_implILb1ES3_S6_PS5_S8_NS0_8identityIS5_EEEE10hipError_tT2_T3_mT4_P12ihipStream_tbEUlT_E_NS1_11comp_targetILNS1_3genE10ELNS1_11target_archE1201ELNS1_3gpuE5ELNS1_3repE0EEENS1_30default_config_static_selectorELNS0_4arch9wavefront6targetE0EEEvT1_: ; @_ZN7rocprim17ROCPRIM_400000_NS6detail17trampoline_kernelINS0_14default_configENS1_25transform_config_selectorINS0_10empty_typeELb1EEEZNS1_14transform_implILb1ES3_S6_PS5_S8_NS0_8identityIS5_EEEE10hipError_tT2_T3_mT4_P12ihipStream_tbEUlT_E_NS1_11comp_targetILNS1_3genE10ELNS1_11target_archE1201ELNS1_3gpuE5ELNS1_3repE0EEENS1_30default_config_static_selectorELNS0_4arch9wavefront6targetE0EEEvT1_
; %bb.0:
	.section	.rodata,"a",@progbits
	.p2align	6, 0x0
	.amdhsa_kernel _ZN7rocprim17ROCPRIM_400000_NS6detail17trampoline_kernelINS0_14default_configENS1_25transform_config_selectorINS0_10empty_typeELb1EEEZNS1_14transform_implILb1ES3_S6_PS5_S8_NS0_8identityIS5_EEEE10hipError_tT2_T3_mT4_P12ihipStream_tbEUlT_E_NS1_11comp_targetILNS1_3genE10ELNS1_11target_archE1201ELNS1_3gpuE5ELNS1_3repE0EEENS1_30default_config_static_selectorELNS0_4arch9wavefront6targetE0EEEvT1_
		.amdhsa_group_segment_fixed_size 0
		.amdhsa_private_segment_fixed_size 0
		.amdhsa_kernarg_size 40
		.amdhsa_user_sgpr_count 15
		.amdhsa_user_sgpr_dispatch_ptr 0
		.amdhsa_user_sgpr_queue_ptr 0
		.amdhsa_user_sgpr_kernarg_segment_ptr 1
		.amdhsa_user_sgpr_dispatch_id 0
		.amdhsa_user_sgpr_private_segment_size 0
		.amdhsa_wavefront_size32 1
		.amdhsa_uses_dynamic_stack 0
		.amdhsa_enable_private_segment 0
		.amdhsa_system_sgpr_workgroup_id_x 1
		.amdhsa_system_sgpr_workgroup_id_y 0
		.amdhsa_system_sgpr_workgroup_id_z 0
		.amdhsa_system_sgpr_workgroup_info 0
		.amdhsa_system_vgpr_workitem_id 0
		.amdhsa_next_free_vgpr 1
		.amdhsa_next_free_sgpr 1
		.amdhsa_reserve_vcc 0
		.amdhsa_float_round_mode_32 0
		.amdhsa_float_round_mode_16_64 0
		.amdhsa_float_denorm_mode_32 3
		.amdhsa_float_denorm_mode_16_64 3
		.amdhsa_dx10_clamp 1
		.amdhsa_ieee_mode 1
		.amdhsa_fp16_overflow 0
		.amdhsa_workgroup_processor_mode 1
		.amdhsa_memory_ordered 1
		.amdhsa_forward_progress 0
		.amdhsa_shared_vgpr_count 0
		.amdhsa_exception_fp_ieee_invalid_op 0
		.amdhsa_exception_fp_denorm_src 0
		.amdhsa_exception_fp_ieee_div_zero 0
		.amdhsa_exception_fp_ieee_overflow 0
		.amdhsa_exception_fp_ieee_underflow 0
		.amdhsa_exception_fp_ieee_inexact 0
		.amdhsa_exception_int_div_zero 0
	.end_amdhsa_kernel
	.section	.text._ZN7rocprim17ROCPRIM_400000_NS6detail17trampoline_kernelINS0_14default_configENS1_25transform_config_selectorINS0_10empty_typeELb1EEEZNS1_14transform_implILb1ES3_S6_PS5_S8_NS0_8identityIS5_EEEE10hipError_tT2_T3_mT4_P12ihipStream_tbEUlT_E_NS1_11comp_targetILNS1_3genE10ELNS1_11target_archE1201ELNS1_3gpuE5ELNS1_3repE0EEENS1_30default_config_static_selectorELNS0_4arch9wavefront6targetE0EEEvT1_,"axG",@progbits,_ZN7rocprim17ROCPRIM_400000_NS6detail17trampoline_kernelINS0_14default_configENS1_25transform_config_selectorINS0_10empty_typeELb1EEEZNS1_14transform_implILb1ES3_S6_PS5_S8_NS0_8identityIS5_EEEE10hipError_tT2_T3_mT4_P12ihipStream_tbEUlT_E_NS1_11comp_targetILNS1_3genE10ELNS1_11target_archE1201ELNS1_3gpuE5ELNS1_3repE0EEENS1_30default_config_static_selectorELNS0_4arch9wavefront6targetE0EEEvT1_,comdat
.Lfunc_end51:
	.size	_ZN7rocprim17ROCPRIM_400000_NS6detail17trampoline_kernelINS0_14default_configENS1_25transform_config_selectorINS0_10empty_typeELb1EEEZNS1_14transform_implILb1ES3_S6_PS5_S8_NS0_8identityIS5_EEEE10hipError_tT2_T3_mT4_P12ihipStream_tbEUlT_E_NS1_11comp_targetILNS1_3genE10ELNS1_11target_archE1201ELNS1_3gpuE5ELNS1_3repE0EEENS1_30default_config_static_selectorELNS0_4arch9wavefront6targetE0EEEvT1_, .Lfunc_end51-_ZN7rocprim17ROCPRIM_400000_NS6detail17trampoline_kernelINS0_14default_configENS1_25transform_config_selectorINS0_10empty_typeELb1EEEZNS1_14transform_implILb1ES3_S6_PS5_S8_NS0_8identityIS5_EEEE10hipError_tT2_T3_mT4_P12ihipStream_tbEUlT_E_NS1_11comp_targetILNS1_3genE10ELNS1_11target_archE1201ELNS1_3gpuE5ELNS1_3repE0EEENS1_30default_config_static_selectorELNS0_4arch9wavefront6targetE0EEEvT1_
                                        ; -- End function
	.section	.AMDGPU.csdata,"",@progbits
; Kernel info:
; codeLenInByte = 0
; NumSgprs: 0
; NumVgprs: 0
; ScratchSize: 0
; MemoryBound: 0
; FloatMode: 240
; IeeeMode: 1
; LDSByteSize: 0 bytes/workgroup (compile time only)
; SGPRBlocks: 0
; VGPRBlocks: 0
; NumSGPRsForWavesPerEU: 1
; NumVGPRsForWavesPerEU: 1
; Occupancy: 16
; WaveLimiterHint : 0
; COMPUTE_PGM_RSRC2:SCRATCH_EN: 0
; COMPUTE_PGM_RSRC2:USER_SGPR: 15
; COMPUTE_PGM_RSRC2:TRAP_HANDLER: 0
; COMPUTE_PGM_RSRC2:TGID_X_EN: 1
; COMPUTE_PGM_RSRC2:TGID_Y_EN: 0
; COMPUTE_PGM_RSRC2:TGID_Z_EN: 0
; COMPUTE_PGM_RSRC2:TIDIG_COMP_CNT: 0
	.section	.text._ZN7rocprim17ROCPRIM_400000_NS6detail17trampoline_kernelINS0_14default_configENS1_25transform_config_selectorINS0_10empty_typeELb1EEEZNS1_14transform_implILb1ES3_S6_PS5_S8_NS0_8identityIS5_EEEE10hipError_tT2_T3_mT4_P12ihipStream_tbEUlT_E_NS1_11comp_targetILNS1_3genE5ELNS1_11target_archE942ELNS1_3gpuE9ELNS1_3repE0EEENS1_30default_config_static_selectorELNS0_4arch9wavefront6targetE0EEEvT1_,"axG",@progbits,_ZN7rocprim17ROCPRIM_400000_NS6detail17trampoline_kernelINS0_14default_configENS1_25transform_config_selectorINS0_10empty_typeELb1EEEZNS1_14transform_implILb1ES3_S6_PS5_S8_NS0_8identityIS5_EEEE10hipError_tT2_T3_mT4_P12ihipStream_tbEUlT_E_NS1_11comp_targetILNS1_3genE5ELNS1_11target_archE942ELNS1_3gpuE9ELNS1_3repE0EEENS1_30default_config_static_selectorELNS0_4arch9wavefront6targetE0EEEvT1_,comdat
	.protected	_ZN7rocprim17ROCPRIM_400000_NS6detail17trampoline_kernelINS0_14default_configENS1_25transform_config_selectorINS0_10empty_typeELb1EEEZNS1_14transform_implILb1ES3_S6_PS5_S8_NS0_8identityIS5_EEEE10hipError_tT2_T3_mT4_P12ihipStream_tbEUlT_E_NS1_11comp_targetILNS1_3genE5ELNS1_11target_archE942ELNS1_3gpuE9ELNS1_3repE0EEENS1_30default_config_static_selectorELNS0_4arch9wavefront6targetE0EEEvT1_ ; -- Begin function _ZN7rocprim17ROCPRIM_400000_NS6detail17trampoline_kernelINS0_14default_configENS1_25transform_config_selectorINS0_10empty_typeELb1EEEZNS1_14transform_implILb1ES3_S6_PS5_S8_NS0_8identityIS5_EEEE10hipError_tT2_T3_mT4_P12ihipStream_tbEUlT_E_NS1_11comp_targetILNS1_3genE5ELNS1_11target_archE942ELNS1_3gpuE9ELNS1_3repE0EEENS1_30default_config_static_selectorELNS0_4arch9wavefront6targetE0EEEvT1_
	.globl	_ZN7rocprim17ROCPRIM_400000_NS6detail17trampoline_kernelINS0_14default_configENS1_25transform_config_selectorINS0_10empty_typeELb1EEEZNS1_14transform_implILb1ES3_S6_PS5_S8_NS0_8identityIS5_EEEE10hipError_tT2_T3_mT4_P12ihipStream_tbEUlT_E_NS1_11comp_targetILNS1_3genE5ELNS1_11target_archE942ELNS1_3gpuE9ELNS1_3repE0EEENS1_30default_config_static_selectorELNS0_4arch9wavefront6targetE0EEEvT1_
	.p2align	8
	.type	_ZN7rocprim17ROCPRIM_400000_NS6detail17trampoline_kernelINS0_14default_configENS1_25transform_config_selectorINS0_10empty_typeELb1EEEZNS1_14transform_implILb1ES3_S6_PS5_S8_NS0_8identityIS5_EEEE10hipError_tT2_T3_mT4_P12ihipStream_tbEUlT_E_NS1_11comp_targetILNS1_3genE5ELNS1_11target_archE942ELNS1_3gpuE9ELNS1_3repE0EEENS1_30default_config_static_selectorELNS0_4arch9wavefront6targetE0EEEvT1_,@function
_ZN7rocprim17ROCPRIM_400000_NS6detail17trampoline_kernelINS0_14default_configENS1_25transform_config_selectorINS0_10empty_typeELb1EEEZNS1_14transform_implILb1ES3_S6_PS5_S8_NS0_8identityIS5_EEEE10hipError_tT2_T3_mT4_P12ihipStream_tbEUlT_E_NS1_11comp_targetILNS1_3genE5ELNS1_11target_archE942ELNS1_3gpuE9ELNS1_3repE0EEENS1_30default_config_static_selectorELNS0_4arch9wavefront6targetE0EEEvT1_: ; @_ZN7rocprim17ROCPRIM_400000_NS6detail17trampoline_kernelINS0_14default_configENS1_25transform_config_selectorINS0_10empty_typeELb1EEEZNS1_14transform_implILb1ES3_S6_PS5_S8_NS0_8identityIS5_EEEE10hipError_tT2_T3_mT4_P12ihipStream_tbEUlT_E_NS1_11comp_targetILNS1_3genE5ELNS1_11target_archE942ELNS1_3gpuE9ELNS1_3repE0EEENS1_30default_config_static_selectorELNS0_4arch9wavefront6targetE0EEEvT1_
; %bb.0:
	.section	.rodata,"a",@progbits
	.p2align	6, 0x0
	.amdhsa_kernel _ZN7rocprim17ROCPRIM_400000_NS6detail17trampoline_kernelINS0_14default_configENS1_25transform_config_selectorINS0_10empty_typeELb1EEEZNS1_14transform_implILb1ES3_S6_PS5_S8_NS0_8identityIS5_EEEE10hipError_tT2_T3_mT4_P12ihipStream_tbEUlT_E_NS1_11comp_targetILNS1_3genE5ELNS1_11target_archE942ELNS1_3gpuE9ELNS1_3repE0EEENS1_30default_config_static_selectorELNS0_4arch9wavefront6targetE0EEEvT1_
		.amdhsa_group_segment_fixed_size 0
		.amdhsa_private_segment_fixed_size 0
		.amdhsa_kernarg_size 40
		.amdhsa_user_sgpr_count 15
		.amdhsa_user_sgpr_dispatch_ptr 0
		.amdhsa_user_sgpr_queue_ptr 0
		.amdhsa_user_sgpr_kernarg_segment_ptr 1
		.amdhsa_user_sgpr_dispatch_id 0
		.amdhsa_user_sgpr_private_segment_size 0
		.amdhsa_wavefront_size32 1
		.amdhsa_uses_dynamic_stack 0
		.amdhsa_enable_private_segment 0
		.amdhsa_system_sgpr_workgroup_id_x 1
		.amdhsa_system_sgpr_workgroup_id_y 0
		.amdhsa_system_sgpr_workgroup_id_z 0
		.amdhsa_system_sgpr_workgroup_info 0
		.amdhsa_system_vgpr_workitem_id 0
		.amdhsa_next_free_vgpr 1
		.amdhsa_next_free_sgpr 1
		.amdhsa_reserve_vcc 0
		.amdhsa_float_round_mode_32 0
		.amdhsa_float_round_mode_16_64 0
		.amdhsa_float_denorm_mode_32 3
		.amdhsa_float_denorm_mode_16_64 3
		.amdhsa_dx10_clamp 1
		.amdhsa_ieee_mode 1
		.amdhsa_fp16_overflow 0
		.amdhsa_workgroup_processor_mode 1
		.amdhsa_memory_ordered 1
		.amdhsa_forward_progress 0
		.amdhsa_shared_vgpr_count 0
		.amdhsa_exception_fp_ieee_invalid_op 0
		.amdhsa_exception_fp_denorm_src 0
		.amdhsa_exception_fp_ieee_div_zero 0
		.amdhsa_exception_fp_ieee_overflow 0
		.amdhsa_exception_fp_ieee_underflow 0
		.amdhsa_exception_fp_ieee_inexact 0
		.amdhsa_exception_int_div_zero 0
	.end_amdhsa_kernel
	.section	.text._ZN7rocprim17ROCPRIM_400000_NS6detail17trampoline_kernelINS0_14default_configENS1_25transform_config_selectorINS0_10empty_typeELb1EEEZNS1_14transform_implILb1ES3_S6_PS5_S8_NS0_8identityIS5_EEEE10hipError_tT2_T3_mT4_P12ihipStream_tbEUlT_E_NS1_11comp_targetILNS1_3genE5ELNS1_11target_archE942ELNS1_3gpuE9ELNS1_3repE0EEENS1_30default_config_static_selectorELNS0_4arch9wavefront6targetE0EEEvT1_,"axG",@progbits,_ZN7rocprim17ROCPRIM_400000_NS6detail17trampoline_kernelINS0_14default_configENS1_25transform_config_selectorINS0_10empty_typeELb1EEEZNS1_14transform_implILb1ES3_S6_PS5_S8_NS0_8identityIS5_EEEE10hipError_tT2_T3_mT4_P12ihipStream_tbEUlT_E_NS1_11comp_targetILNS1_3genE5ELNS1_11target_archE942ELNS1_3gpuE9ELNS1_3repE0EEENS1_30default_config_static_selectorELNS0_4arch9wavefront6targetE0EEEvT1_,comdat
.Lfunc_end52:
	.size	_ZN7rocprim17ROCPRIM_400000_NS6detail17trampoline_kernelINS0_14default_configENS1_25transform_config_selectorINS0_10empty_typeELb1EEEZNS1_14transform_implILb1ES3_S6_PS5_S8_NS0_8identityIS5_EEEE10hipError_tT2_T3_mT4_P12ihipStream_tbEUlT_E_NS1_11comp_targetILNS1_3genE5ELNS1_11target_archE942ELNS1_3gpuE9ELNS1_3repE0EEENS1_30default_config_static_selectorELNS0_4arch9wavefront6targetE0EEEvT1_, .Lfunc_end52-_ZN7rocprim17ROCPRIM_400000_NS6detail17trampoline_kernelINS0_14default_configENS1_25transform_config_selectorINS0_10empty_typeELb1EEEZNS1_14transform_implILb1ES3_S6_PS5_S8_NS0_8identityIS5_EEEE10hipError_tT2_T3_mT4_P12ihipStream_tbEUlT_E_NS1_11comp_targetILNS1_3genE5ELNS1_11target_archE942ELNS1_3gpuE9ELNS1_3repE0EEENS1_30default_config_static_selectorELNS0_4arch9wavefront6targetE0EEEvT1_
                                        ; -- End function
	.section	.AMDGPU.csdata,"",@progbits
; Kernel info:
; codeLenInByte = 0
; NumSgprs: 0
; NumVgprs: 0
; ScratchSize: 0
; MemoryBound: 0
; FloatMode: 240
; IeeeMode: 1
; LDSByteSize: 0 bytes/workgroup (compile time only)
; SGPRBlocks: 0
; VGPRBlocks: 0
; NumSGPRsForWavesPerEU: 1
; NumVGPRsForWavesPerEU: 1
; Occupancy: 16
; WaveLimiterHint : 0
; COMPUTE_PGM_RSRC2:SCRATCH_EN: 0
; COMPUTE_PGM_RSRC2:USER_SGPR: 15
; COMPUTE_PGM_RSRC2:TRAP_HANDLER: 0
; COMPUTE_PGM_RSRC2:TGID_X_EN: 1
; COMPUTE_PGM_RSRC2:TGID_Y_EN: 0
; COMPUTE_PGM_RSRC2:TGID_Z_EN: 0
; COMPUTE_PGM_RSRC2:TIDIG_COMP_CNT: 0
	.section	.text._ZN7rocprim17ROCPRIM_400000_NS6detail17trampoline_kernelINS0_14default_configENS1_25transform_config_selectorINS0_10empty_typeELb1EEEZNS1_14transform_implILb1ES3_S6_PS5_S8_NS0_8identityIS5_EEEE10hipError_tT2_T3_mT4_P12ihipStream_tbEUlT_E_NS1_11comp_targetILNS1_3genE4ELNS1_11target_archE910ELNS1_3gpuE8ELNS1_3repE0EEENS1_30default_config_static_selectorELNS0_4arch9wavefront6targetE0EEEvT1_,"axG",@progbits,_ZN7rocprim17ROCPRIM_400000_NS6detail17trampoline_kernelINS0_14default_configENS1_25transform_config_selectorINS0_10empty_typeELb1EEEZNS1_14transform_implILb1ES3_S6_PS5_S8_NS0_8identityIS5_EEEE10hipError_tT2_T3_mT4_P12ihipStream_tbEUlT_E_NS1_11comp_targetILNS1_3genE4ELNS1_11target_archE910ELNS1_3gpuE8ELNS1_3repE0EEENS1_30default_config_static_selectorELNS0_4arch9wavefront6targetE0EEEvT1_,comdat
	.protected	_ZN7rocprim17ROCPRIM_400000_NS6detail17trampoline_kernelINS0_14default_configENS1_25transform_config_selectorINS0_10empty_typeELb1EEEZNS1_14transform_implILb1ES3_S6_PS5_S8_NS0_8identityIS5_EEEE10hipError_tT2_T3_mT4_P12ihipStream_tbEUlT_E_NS1_11comp_targetILNS1_3genE4ELNS1_11target_archE910ELNS1_3gpuE8ELNS1_3repE0EEENS1_30default_config_static_selectorELNS0_4arch9wavefront6targetE0EEEvT1_ ; -- Begin function _ZN7rocprim17ROCPRIM_400000_NS6detail17trampoline_kernelINS0_14default_configENS1_25transform_config_selectorINS0_10empty_typeELb1EEEZNS1_14transform_implILb1ES3_S6_PS5_S8_NS0_8identityIS5_EEEE10hipError_tT2_T3_mT4_P12ihipStream_tbEUlT_E_NS1_11comp_targetILNS1_3genE4ELNS1_11target_archE910ELNS1_3gpuE8ELNS1_3repE0EEENS1_30default_config_static_selectorELNS0_4arch9wavefront6targetE0EEEvT1_
	.globl	_ZN7rocprim17ROCPRIM_400000_NS6detail17trampoline_kernelINS0_14default_configENS1_25transform_config_selectorINS0_10empty_typeELb1EEEZNS1_14transform_implILb1ES3_S6_PS5_S8_NS0_8identityIS5_EEEE10hipError_tT2_T3_mT4_P12ihipStream_tbEUlT_E_NS1_11comp_targetILNS1_3genE4ELNS1_11target_archE910ELNS1_3gpuE8ELNS1_3repE0EEENS1_30default_config_static_selectorELNS0_4arch9wavefront6targetE0EEEvT1_
	.p2align	8
	.type	_ZN7rocprim17ROCPRIM_400000_NS6detail17trampoline_kernelINS0_14default_configENS1_25transform_config_selectorINS0_10empty_typeELb1EEEZNS1_14transform_implILb1ES3_S6_PS5_S8_NS0_8identityIS5_EEEE10hipError_tT2_T3_mT4_P12ihipStream_tbEUlT_E_NS1_11comp_targetILNS1_3genE4ELNS1_11target_archE910ELNS1_3gpuE8ELNS1_3repE0EEENS1_30default_config_static_selectorELNS0_4arch9wavefront6targetE0EEEvT1_,@function
_ZN7rocprim17ROCPRIM_400000_NS6detail17trampoline_kernelINS0_14default_configENS1_25transform_config_selectorINS0_10empty_typeELb1EEEZNS1_14transform_implILb1ES3_S6_PS5_S8_NS0_8identityIS5_EEEE10hipError_tT2_T3_mT4_P12ihipStream_tbEUlT_E_NS1_11comp_targetILNS1_3genE4ELNS1_11target_archE910ELNS1_3gpuE8ELNS1_3repE0EEENS1_30default_config_static_selectorELNS0_4arch9wavefront6targetE0EEEvT1_: ; @_ZN7rocprim17ROCPRIM_400000_NS6detail17trampoline_kernelINS0_14default_configENS1_25transform_config_selectorINS0_10empty_typeELb1EEEZNS1_14transform_implILb1ES3_S6_PS5_S8_NS0_8identityIS5_EEEE10hipError_tT2_T3_mT4_P12ihipStream_tbEUlT_E_NS1_11comp_targetILNS1_3genE4ELNS1_11target_archE910ELNS1_3gpuE8ELNS1_3repE0EEENS1_30default_config_static_selectorELNS0_4arch9wavefront6targetE0EEEvT1_
; %bb.0:
	.section	.rodata,"a",@progbits
	.p2align	6, 0x0
	.amdhsa_kernel _ZN7rocprim17ROCPRIM_400000_NS6detail17trampoline_kernelINS0_14default_configENS1_25transform_config_selectorINS0_10empty_typeELb1EEEZNS1_14transform_implILb1ES3_S6_PS5_S8_NS0_8identityIS5_EEEE10hipError_tT2_T3_mT4_P12ihipStream_tbEUlT_E_NS1_11comp_targetILNS1_3genE4ELNS1_11target_archE910ELNS1_3gpuE8ELNS1_3repE0EEENS1_30default_config_static_selectorELNS0_4arch9wavefront6targetE0EEEvT1_
		.amdhsa_group_segment_fixed_size 0
		.amdhsa_private_segment_fixed_size 0
		.amdhsa_kernarg_size 40
		.amdhsa_user_sgpr_count 15
		.amdhsa_user_sgpr_dispatch_ptr 0
		.amdhsa_user_sgpr_queue_ptr 0
		.amdhsa_user_sgpr_kernarg_segment_ptr 1
		.amdhsa_user_sgpr_dispatch_id 0
		.amdhsa_user_sgpr_private_segment_size 0
		.amdhsa_wavefront_size32 1
		.amdhsa_uses_dynamic_stack 0
		.amdhsa_enable_private_segment 0
		.amdhsa_system_sgpr_workgroup_id_x 1
		.amdhsa_system_sgpr_workgroup_id_y 0
		.amdhsa_system_sgpr_workgroup_id_z 0
		.amdhsa_system_sgpr_workgroup_info 0
		.amdhsa_system_vgpr_workitem_id 0
		.amdhsa_next_free_vgpr 1
		.amdhsa_next_free_sgpr 1
		.amdhsa_reserve_vcc 0
		.amdhsa_float_round_mode_32 0
		.amdhsa_float_round_mode_16_64 0
		.amdhsa_float_denorm_mode_32 3
		.amdhsa_float_denorm_mode_16_64 3
		.amdhsa_dx10_clamp 1
		.amdhsa_ieee_mode 1
		.amdhsa_fp16_overflow 0
		.amdhsa_workgroup_processor_mode 1
		.amdhsa_memory_ordered 1
		.amdhsa_forward_progress 0
		.amdhsa_shared_vgpr_count 0
		.amdhsa_exception_fp_ieee_invalid_op 0
		.amdhsa_exception_fp_denorm_src 0
		.amdhsa_exception_fp_ieee_div_zero 0
		.amdhsa_exception_fp_ieee_overflow 0
		.amdhsa_exception_fp_ieee_underflow 0
		.amdhsa_exception_fp_ieee_inexact 0
		.amdhsa_exception_int_div_zero 0
	.end_amdhsa_kernel
	.section	.text._ZN7rocprim17ROCPRIM_400000_NS6detail17trampoline_kernelINS0_14default_configENS1_25transform_config_selectorINS0_10empty_typeELb1EEEZNS1_14transform_implILb1ES3_S6_PS5_S8_NS0_8identityIS5_EEEE10hipError_tT2_T3_mT4_P12ihipStream_tbEUlT_E_NS1_11comp_targetILNS1_3genE4ELNS1_11target_archE910ELNS1_3gpuE8ELNS1_3repE0EEENS1_30default_config_static_selectorELNS0_4arch9wavefront6targetE0EEEvT1_,"axG",@progbits,_ZN7rocprim17ROCPRIM_400000_NS6detail17trampoline_kernelINS0_14default_configENS1_25transform_config_selectorINS0_10empty_typeELb1EEEZNS1_14transform_implILb1ES3_S6_PS5_S8_NS0_8identityIS5_EEEE10hipError_tT2_T3_mT4_P12ihipStream_tbEUlT_E_NS1_11comp_targetILNS1_3genE4ELNS1_11target_archE910ELNS1_3gpuE8ELNS1_3repE0EEENS1_30default_config_static_selectorELNS0_4arch9wavefront6targetE0EEEvT1_,comdat
.Lfunc_end53:
	.size	_ZN7rocprim17ROCPRIM_400000_NS6detail17trampoline_kernelINS0_14default_configENS1_25transform_config_selectorINS0_10empty_typeELb1EEEZNS1_14transform_implILb1ES3_S6_PS5_S8_NS0_8identityIS5_EEEE10hipError_tT2_T3_mT4_P12ihipStream_tbEUlT_E_NS1_11comp_targetILNS1_3genE4ELNS1_11target_archE910ELNS1_3gpuE8ELNS1_3repE0EEENS1_30default_config_static_selectorELNS0_4arch9wavefront6targetE0EEEvT1_, .Lfunc_end53-_ZN7rocprim17ROCPRIM_400000_NS6detail17trampoline_kernelINS0_14default_configENS1_25transform_config_selectorINS0_10empty_typeELb1EEEZNS1_14transform_implILb1ES3_S6_PS5_S8_NS0_8identityIS5_EEEE10hipError_tT2_T3_mT4_P12ihipStream_tbEUlT_E_NS1_11comp_targetILNS1_3genE4ELNS1_11target_archE910ELNS1_3gpuE8ELNS1_3repE0EEENS1_30default_config_static_selectorELNS0_4arch9wavefront6targetE0EEEvT1_
                                        ; -- End function
	.section	.AMDGPU.csdata,"",@progbits
; Kernel info:
; codeLenInByte = 0
; NumSgprs: 0
; NumVgprs: 0
; ScratchSize: 0
; MemoryBound: 0
; FloatMode: 240
; IeeeMode: 1
; LDSByteSize: 0 bytes/workgroup (compile time only)
; SGPRBlocks: 0
; VGPRBlocks: 0
; NumSGPRsForWavesPerEU: 1
; NumVGPRsForWavesPerEU: 1
; Occupancy: 16
; WaveLimiterHint : 0
; COMPUTE_PGM_RSRC2:SCRATCH_EN: 0
; COMPUTE_PGM_RSRC2:USER_SGPR: 15
; COMPUTE_PGM_RSRC2:TRAP_HANDLER: 0
; COMPUTE_PGM_RSRC2:TGID_X_EN: 1
; COMPUTE_PGM_RSRC2:TGID_Y_EN: 0
; COMPUTE_PGM_RSRC2:TGID_Z_EN: 0
; COMPUTE_PGM_RSRC2:TIDIG_COMP_CNT: 0
	.section	.text._ZN7rocprim17ROCPRIM_400000_NS6detail17trampoline_kernelINS0_14default_configENS1_25transform_config_selectorINS0_10empty_typeELb1EEEZNS1_14transform_implILb1ES3_S6_PS5_S8_NS0_8identityIS5_EEEE10hipError_tT2_T3_mT4_P12ihipStream_tbEUlT_E_NS1_11comp_targetILNS1_3genE3ELNS1_11target_archE908ELNS1_3gpuE7ELNS1_3repE0EEENS1_30default_config_static_selectorELNS0_4arch9wavefront6targetE0EEEvT1_,"axG",@progbits,_ZN7rocprim17ROCPRIM_400000_NS6detail17trampoline_kernelINS0_14default_configENS1_25transform_config_selectorINS0_10empty_typeELb1EEEZNS1_14transform_implILb1ES3_S6_PS5_S8_NS0_8identityIS5_EEEE10hipError_tT2_T3_mT4_P12ihipStream_tbEUlT_E_NS1_11comp_targetILNS1_3genE3ELNS1_11target_archE908ELNS1_3gpuE7ELNS1_3repE0EEENS1_30default_config_static_selectorELNS0_4arch9wavefront6targetE0EEEvT1_,comdat
	.protected	_ZN7rocprim17ROCPRIM_400000_NS6detail17trampoline_kernelINS0_14default_configENS1_25transform_config_selectorINS0_10empty_typeELb1EEEZNS1_14transform_implILb1ES3_S6_PS5_S8_NS0_8identityIS5_EEEE10hipError_tT2_T3_mT4_P12ihipStream_tbEUlT_E_NS1_11comp_targetILNS1_3genE3ELNS1_11target_archE908ELNS1_3gpuE7ELNS1_3repE0EEENS1_30default_config_static_selectorELNS0_4arch9wavefront6targetE0EEEvT1_ ; -- Begin function _ZN7rocprim17ROCPRIM_400000_NS6detail17trampoline_kernelINS0_14default_configENS1_25transform_config_selectorINS0_10empty_typeELb1EEEZNS1_14transform_implILb1ES3_S6_PS5_S8_NS0_8identityIS5_EEEE10hipError_tT2_T3_mT4_P12ihipStream_tbEUlT_E_NS1_11comp_targetILNS1_3genE3ELNS1_11target_archE908ELNS1_3gpuE7ELNS1_3repE0EEENS1_30default_config_static_selectorELNS0_4arch9wavefront6targetE0EEEvT1_
	.globl	_ZN7rocprim17ROCPRIM_400000_NS6detail17trampoline_kernelINS0_14default_configENS1_25transform_config_selectorINS0_10empty_typeELb1EEEZNS1_14transform_implILb1ES3_S6_PS5_S8_NS0_8identityIS5_EEEE10hipError_tT2_T3_mT4_P12ihipStream_tbEUlT_E_NS1_11comp_targetILNS1_3genE3ELNS1_11target_archE908ELNS1_3gpuE7ELNS1_3repE0EEENS1_30default_config_static_selectorELNS0_4arch9wavefront6targetE0EEEvT1_
	.p2align	8
	.type	_ZN7rocprim17ROCPRIM_400000_NS6detail17trampoline_kernelINS0_14default_configENS1_25transform_config_selectorINS0_10empty_typeELb1EEEZNS1_14transform_implILb1ES3_S6_PS5_S8_NS0_8identityIS5_EEEE10hipError_tT2_T3_mT4_P12ihipStream_tbEUlT_E_NS1_11comp_targetILNS1_3genE3ELNS1_11target_archE908ELNS1_3gpuE7ELNS1_3repE0EEENS1_30default_config_static_selectorELNS0_4arch9wavefront6targetE0EEEvT1_,@function
_ZN7rocprim17ROCPRIM_400000_NS6detail17trampoline_kernelINS0_14default_configENS1_25transform_config_selectorINS0_10empty_typeELb1EEEZNS1_14transform_implILb1ES3_S6_PS5_S8_NS0_8identityIS5_EEEE10hipError_tT2_T3_mT4_P12ihipStream_tbEUlT_E_NS1_11comp_targetILNS1_3genE3ELNS1_11target_archE908ELNS1_3gpuE7ELNS1_3repE0EEENS1_30default_config_static_selectorELNS0_4arch9wavefront6targetE0EEEvT1_: ; @_ZN7rocprim17ROCPRIM_400000_NS6detail17trampoline_kernelINS0_14default_configENS1_25transform_config_selectorINS0_10empty_typeELb1EEEZNS1_14transform_implILb1ES3_S6_PS5_S8_NS0_8identityIS5_EEEE10hipError_tT2_T3_mT4_P12ihipStream_tbEUlT_E_NS1_11comp_targetILNS1_3genE3ELNS1_11target_archE908ELNS1_3gpuE7ELNS1_3repE0EEENS1_30default_config_static_selectorELNS0_4arch9wavefront6targetE0EEEvT1_
; %bb.0:
	.section	.rodata,"a",@progbits
	.p2align	6, 0x0
	.amdhsa_kernel _ZN7rocprim17ROCPRIM_400000_NS6detail17trampoline_kernelINS0_14default_configENS1_25transform_config_selectorINS0_10empty_typeELb1EEEZNS1_14transform_implILb1ES3_S6_PS5_S8_NS0_8identityIS5_EEEE10hipError_tT2_T3_mT4_P12ihipStream_tbEUlT_E_NS1_11comp_targetILNS1_3genE3ELNS1_11target_archE908ELNS1_3gpuE7ELNS1_3repE0EEENS1_30default_config_static_selectorELNS0_4arch9wavefront6targetE0EEEvT1_
		.amdhsa_group_segment_fixed_size 0
		.amdhsa_private_segment_fixed_size 0
		.amdhsa_kernarg_size 40
		.amdhsa_user_sgpr_count 15
		.amdhsa_user_sgpr_dispatch_ptr 0
		.amdhsa_user_sgpr_queue_ptr 0
		.amdhsa_user_sgpr_kernarg_segment_ptr 1
		.amdhsa_user_sgpr_dispatch_id 0
		.amdhsa_user_sgpr_private_segment_size 0
		.amdhsa_wavefront_size32 1
		.amdhsa_uses_dynamic_stack 0
		.amdhsa_enable_private_segment 0
		.amdhsa_system_sgpr_workgroup_id_x 1
		.amdhsa_system_sgpr_workgroup_id_y 0
		.amdhsa_system_sgpr_workgroup_id_z 0
		.amdhsa_system_sgpr_workgroup_info 0
		.amdhsa_system_vgpr_workitem_id 0
		.amdhsa_next_free_vgpr 1
		.amdhsa_next_free_sgpr 1
		.amdhsa_reserve_vcc 0
		.amdhsa_float_round_mode_32 0
		.amdhsa_float_round_mode_16_64 0
		.amdhsa_float_denorm_mode_32 3
		.amdhsa_float_denorm_mode_16_64 3
		.amdhsa_dx10_clamp 1
		.amdhsa_ieee_mode 1
		.amdhsa_fp16_overflow 0
		.amdhsa_workgroup_processor_mode 1
		.amdhsa_memory_ordered 1
		.amdhsa_forward_progress 0
		.amdhsa_shared_vgpr_count 0
		.amdhsa_exception_fp_ieee_invalid_op 0
		.amdhsa_exception_fp_denorm_src 0
		.amdhsa_exception_fp_ieee_div_zero 0
		.amdhsa_exception_fp_ieee_overflow 0
		.amdhsa_exception_fp_ieee_underflow 0
		.amdhsa_exception_fp_ieee_inexact 0
		.amdhsa_exception_int_div_zero 0
	.end_amdhsa_kernel
	.section	.text._ZN7rocprim17ROCPRIM_400000_NS6detail17trampoline_kernelINS0_14default_configENS1_25transform_config_selectorINS0_10empty_typeELb1EEEZNS1_14transform_implILb1ES3_S6_PS5_S8_NS0_8identityIS5_EEEE10hipError_tT2_T3_mT4_P12ihipStream_tbEUlT_E_NS1_11comp_targetILNS1_3genE3ELNS1_11target_archE908ELNS1_3gpuE7ELNS1_3repE0EEENS1_30default_config_static_selectorELNS0_4arch9wavefront6targetE0EEEvT1_,"axG",@progbits,_ZN7rocprim17ROCPRIM_400000_NS6detail17trampoline_kernelINS0_14default_configENS1_25transform_config_selectorINS0_10empty_typeELb1EEEZNS1_14transform_implILb1ES3_S6_PS5_S8_NS0_8identityIS5_EEEE10hipError_tT2_T3_mT4_P12ihipStream_tbEUlT_E_NS1_11comp_targetILNS1_3genE3ELNS1_11target_archE908ELNS1_3gpuE7ELNS1_3repE0EEENS1_30default_config_static_selectorELNS0_4arch9wavefront6targetE0EEEvT1_,comdat
.Lfunc_end54:
	.size	_ZN7rocprim17ROCPRIM_400000_NS6detail17trampoline_kernelINS0_14default_configENS1_25transform_config_selectorINS0_10empty_typeELb1EEEZNS1_14transform_implILb1ES3_S6_PS5_S8_NS0_8identityIS5_EEEE10hipError_tT2_T3_mT4_P12ihipStream_tbEUlT_E_NS1_11comp_targetILNS1_3genE3ELNS1_11target_archE908ELNS1_3gpuE7ELNS1_3repE0EEENS1_30default_config_static_selectorELNS0_4arch9wavefront6targetE0EEEvT1_, .Lfunc_end54-_ZN7rocprim17ROCPRIM_400000_NS6detail17trampoline_kernelINS0_14default_configENS1_25transform_config_selectorINS0_10empty_typeELb1EEEZNS1_14transform_implILb1ES3_S6_PS5_S8_NS0_8identityIS5_EEEE10hipError_tT2_T3_mT4_P12ihipStream_tbEUlT_E_NS1_11comp_targetILNS1_3genE3ELNS1_11target_archE908ELNS1_3gpuE7ELNS1_3repE0EEENS1_30default_config_static_selectorELNS0_4arch9wavefront6targetE0EEEvT1_
                                        ; -- End function
	.section	.AMDGPU.csdata,"",@progbits
; Kernel info:
; codeLenInByte = 0
; NumSgprs: 0
; NumVgprs: 0
; ScratchSize: 0
; MemoryBound: 0
; FloatMode: 240
; IeeeMode: 1
; LDSByteSize: 0 bytes/workgroup (compile time only)
; SGPRBlocks: 0
; VGPRBlocks: 0
; NumSGPRsForWavesPerEU: 1
; NumVGPRsForWavesPerEU: 1
; Occupancy: 16
; WaveLimiterHint : 0
; COMPUTE_PGM_RSRC2:SCRATCH_EN: 0
; COMPUTE_PGM_RSRC2:USER_SGPR: 15
; COMPUTE_PGM_RSRC2:TRAP_HANDLER: 0
; COMPUTE_PGM_RSRC2:TGID_X_EN: 1
; COMPUTE_PGM_RSRC2:TGID_Y_EN: 0
; COMPUTE_PGM_RSRC2:TGID_Z_EN: 0
; COMPUTE_PGM_RSRC2:TIDIG_COMP_CNT: 0
	.section	.text._ZN7rocprim17ROCPRIM_400000_NS6detail17trampoline_kernelINS0_14default_configENS1_25transform_config_selectorINS0_10empty_typeELb1EEEZNS1_14transform_implILb1ES3_S6_PS5_S8_NS0_8identityIS5_EEEE10hipError_tT2_T3_mT4_P12ihipStream_tbEUlT_E_NS1_11comp_targetILNS1_3genE2ELNS1_11target_archE906ELNS1_3gpuE6ELNS1_3repE0EEENS1_30default_config_static_selectorELNS0_4arch9wavefront6targetE0EEEvT1_,"axG",@progbits,_ZN7rocprim17ROCPRIM_400000_NS6detail17trampoline_kernelINS0_14default_configENS1_25transform_config_selectorINS0_10empty_typeELb1EEEZNS1_14transform_implILb1ES3_S6_PS5_S8_NS0_8identityIS5_EEEE10hipError_tT2_T3_mT4_P12ihipStream_tbEUlT_E_NS1_11comp_targetILNS1_3genE2ELNS1_11target_archE906ELNS1_3gpuE6ELNS1_3repE0EEENS1_30default_config_static_selectorELNS0_4arch9wavefront6targetE0EEEvT1_,comdat
	.protected	_ZN7rocprim17ROCPRIM_400000_NS6detail17trampoline_kernelINS0_14default_configENS1_25transform_config_selectorINS0_10empty_typeELb1EEEZNS1_14transform_implILb1ES3_S6_PS5_S8_NS0_8identityIS5_EEEE10hipError_tT2_T3_mT4_P12ihipStream_tbEUlT_E_NS1_11comp_targetILNS1_3genE2ELNS1_11target_archE906ELNS1_3gpuE6ELNS1_3repE0EEENS1_30default_config_static_selectorELNS0_4arch9wavefront6targetE0EEEvT1_ ; -- Begin function _ZN7rocprim17ROCPRIM_400000_NS6detail17trampoline_kernelINS0_14default_configENS1_25transform_config_selectorINS0_10empty_typeELb1EEEZNS1_14transform_implILb1ES3_S6_PS5_S8_NS0_8identityIS5_EEEE10hipError_tT2_T3_mT4_P12ihipStream_tbEUlT_E_NS1_11comp_targetILNS1_3genE2ELNS1_11target_archE906ELNS1_3gpuE6ELNS1_3repE0EEENS1_30default_config_static_selectorELNS0_4arch9wavefront6targetE0EEEvT1_
	.globl	_ZN7rocprim17ROCPRIM_400000_NS6detail17trampoline_kernelINS0_14default_configENS1_25transform_config_selectorINS0_10empty_typeELb1EEEZNS1_14transform_implILb1ES3_S6_PS5_S8_NS0_8identityIS5_EEEE10hipError_tT2_T3_mT4_P12ihipStream_tbEUlT_E_NS1_11comp_targetILNS1_3genE2ELNS1_11target_archE906ELNS1_3gpuE6ELNS1_3repE0EEENS1_30default_config_static_selectorELNS0_4arch9wavefront6targetE0EEEvT1_
	.p2align	8
	.type	_ZN7rocprim17ROCPRIM_400000_NS6detail17trampoline_kernelINS0_14default_configENS1_25transform_config_selectorINS0_10empty_typeELb1EEEZNS1_14transform_implILb1ES3_S6_PS5_S8_NS0_8identityIS5_EEEE10hipError_tT2_T3_mT4_P12ihipStream_tbEUlT_E_NS1_11comp_targetILNS1_3genE2ELNS1_11target_archE906ELNS1_3gpuE6ELNS1_3repE0EEENS1_30default_config_static_selectorELNS0_4arch9wavefront6targetE0EEEvT1_,@function
_ZN7rocprim17ROCPRIM_400000_NS6detail17trampoline_kernelINS0_14default_configENS1_25transform_config_selectorINS0_10empty_typeELb1EEEZNS1_14transform_implILb1ES3_S6_PS5_S8_NS0_8identityIS5_EEEE10hipError_tT2_T3_mT4_P12ihipStream_tbEUlT_E_NS1_11comp_targetILNS1_3genE2ELNS1_11target_archE906ELNS1_3gpuE6ELNS1_3repE0EEENS1_30default_config_static_selectorELNS0_4arch9wavefront6targetE0EEEvT1_: ; @_ZN7rocprim17ROCPRIM_400000_NS6detail17trampoline_kernelINS0_14default_configENS1_25transform_config_selectorINS0_10empty_typeELb1EEEZNS1_14transform_implILb1ES3_S6_PS5_S8_NS0_8identityIS5_EEEE10hipError_tT2_T3_mT4_P12ihipStream_tbEUlT_E_NS1_11comp_targetILNS1_3genE2ELNS1_11target_archE906ELNS1_3gpuE6ELNS1_3repE0EEENS1_30default_config_static_selectorELNS0_4arch9wavefront6targetE0EEEvT1_
; %bb.0:
	.section	.rodata,"a",@progbits
	.p2align	6, 0x0
	.amdhsa_kernel _ZN7rocprim17ROCPRIM_400000_NS6detail17trampoline_kernelINS0_14default_configENS1_25transform_config_selectorINS0_10empty_typeELb1EEEZNS1_14transform_implILb1ES3_S6_PS5_S8_NS0_8identityIS5_EEEE10hipError_tT2_T3_mT4_P12ihipStream_tbEUlT_E_NS1_11comp_targetILNS1_3genE2ELNS1_11target_archE906ELNS1_3gpuE6ELNS1_3repE0EEENS1_30default_config_static_selectorELNS0_4arch9wavefront6targetE0EEEvT1_
		.amdhsa_group_segment_fixed_size 0
		.amdhsa_private_segment_fixed_size 0
		.amdhsa_kernarg_size 40
		.amdhsa_user_sgpr_count 15
		.amdhsa_user_sgpr_dispatch_ptr 0
		.amdhsa_user_sgpr_queue_ptr 0
		.amdhsa_user_sgpr_kernarg_segment_ptr 1
		.amdhsa_user_sgpr_dispatch_id 0
		.amdhsa_user_sgpr_private_segment_size 0
		.amdhsa_wavefront_size32 1
		.amdhsa_uses_dynamic_stack 0
		.amdhsa_enable_private_segment 0
		.amdhsa_system_sgpr_workgroup_id_x 1
		.amdhsa_system_sgpr_workgroup_id_y 0
		.amdhsa_system_sgpr_workgroup_id_z 0
		.amdhsa_system_sgpr_workgroup_info 0
		.amdhsa_system_vgpr_workitem_id 0
		.amdhsa_next_free_vgpr 1
		.amdhsa_next_free_sgpr 1
		.amdhsa_reserve_vcc 0
		.amdhsa_float_round_mode_32 0
		.amdhsa_float_round_mode_16_64 0
		.amdhsa_float_denorm_mode_32 3
		.amdhsa_float_denorm_mode_16_64 3
		.amdhsa_dx10_clamp 1
		.amdhsa_ieee_mode 1
		.amdhsa_fp16_overflow 0
		.amdhsa_workgroup_processor_mode 1
		.amdhsa_memory_ordered 1
		.amdhsa_forward_progress 0
		.amdhsa_shared_vgpr_count 0
		.amdhsa_exception_fp_ieee_invalid_op 0
		.amdhsa_exception_fp_denorm_src 0
		.amdhsa_exception_fp_ieee_div_zero 0
		.amdhsa_exception_fp_ieee_overflow 0
		.amdhsa_exception_fp_ieee_underflow 0
		.amdhsa_exception_fp_ieee_inexact 0
		.amdhsa_exception_int_div_zero 0
	.end_amdhsa_kernel
	.section	.text._ZN7rocprim17ROCPRIM_400000_NS6detail17trampoline_kernelINS0_14default_configENS1_25transform_config_selectorINS0_10empty_typeELb1EEEZNS1_14transform_implILb1ES3_S6_PS5_S8_NS0_8identityIS5_EEEE10hipError_tT2_T3_mT4_P12ihipStream_tbEUlT_E_NS1_11comp_targetILNS1_3genE2ELNS1_11target_archE906ELNS1_3gpuE6ELNS1_3repE0EEENS1_30default_config_static_selectorELNS0_4arch9wavefront6targetE0EEEvT1_,"axG",@progbits,_ZN7rocprim17ROCPRIM_400000_NS6detail17trampoline_kernelINS0_14default_configENS1_25transform_config_selectorINS0_10empty_typeELb1EEEZNS1_14transform_implILb1ES3_S6_PS5_S8_NS0_8identityIS5_EEEE10hipError_tT2_T3_mT4_P12ihipStream_tbEUlT_E_NS1_11comp_targetILNS1_3genE2ELNS1_11target_archE906ELNS1_3gpuE6ELNS1_3repE0EEENS1_30default_config_static_selectorELNS0_4arch9wavefront6targetE0EEEvT1_,comdat
.Lfunc_end55:
	.size	_ZN7rocprim17ROCPRIM_400000_NS6detail17trampoline_kernelINS0_14default_configENS1_25transform_config_selectorINS0_10empty_typeELb1EEEZNS1_14transform_implILb1ES3_S6_PS5_S8_NS0_8identityIS5_EEEE10hipError_tT2_T3_mT4_P12ihipStream_tbEUlT_E_NS1_11comp_targetILNS1_3genE2ELNS1_11target_archE906ELNS1_3gpuE6ELNS1_3repE0EEENS1_30default_config_static_selectorELNS0_4arch9wavefront6targetE0EEEvT1_, .Lfunc_end55-_ZN7rocprim17ROCPRIM_400000_NS6detail17trampoline_kernelINS0_14default_configENS1_25transform_config_selectorINS0_10empty_typeELb1EEEZNS1_14transform_implILb1ES3_S6_PS5_S8_NS0_8identityIS5_EEEE10hipError_tT2_T3_mT4_P12ihipStream_tbEUlT_E_NS1_11comp_targetILNS1_3genE2ELNS1_11target_archE906ELNS1_3gpuE6ELNS1_3repE0EEENS1_30default_config_static_selectorELNS0_4arch9wavefront6targetE0EEEvT1_
                                        ; -- End function
	.section	.AMDGPU.csdata,"",@progbits
; Kernel info:
; codeLenInByte = 0
; NumSgprs: 0
; NumVgprs: 0
; ScratchSize: 0
; MemoryBound: 0
; FloatMode: 240
; IeeeMode: 1
; LDSByteSize: 0 bytes/workgroup (compile time only)
; SGPRBlocks: 0
; VGPRBlocks: 0
; NumSGPRsForWavesPerEU: 1
; NumVGPRsForWavesPerEU: 1
; Occupancy: 16
; WaveLimiterHint : 0
; COMPUTE_PGM_RSRC2:SCRATCH_EN: 0
; COMPUTE_PGM_RSRC2:USER_SGPR: 15
; COMPUTE_PGM_RSRC2:TRAP_HANDLER: 0
; COMPUTE_PGM_RSRC2:TGID_X_EN: 1
; COMPUTE_PGM_RSRC2:TGID_Y_EN: 0
; COMPUTE_PGM_RSRC2:TGID_Z_EN: 0
; COMPUTE_PGM_RSRC2:TIDIG_COMP_CNT: 0
	.section	.text._ZN7rocprim17ROCPRIM_400000_NS6detail17trampoline_kernelINS0_14default_configENS1_25transform_config_selectorINS0_10empty_typeELb1EEEZNS1_14transform_implILb1ES3_S6_PS5_S8_NS0_8identityIS5_EEEE10hipError_tT2_T3_mT4_P12ihipStream_tbEUlT_E_NS1_11comp_targetILNS1_3genE9ELNS1_11target_archE1100ELNS1_3gpuE3ELNS1_3repE0EEENS1_30default_config_static_selectorELNS0_4arch9wavefront6targetE0EEEvT1_,"axG",@progbits,_ZN7rocprim17ROCPRIM_400000_NS6detail17trampoline_kernelINS0_14default_configENS1_25transform_config_selectorINS0_10empty_typeELb1EEEZNS1_14transform_implILb1ES3_S6_PS5_S8_NS0_8identityIS5_EEEE10hipError_tT2_T3_mT4_P12ihipStream_tbEUlT_E_NS1_11comp_targetILNS1_3genE9ELNS1_11target_archE1100ELNS1_3gpuE3ELNS1_3repE0EEENS1_30default_config_static_selectorELNS0_4arch9wavefront6targetE0EEEvT1_,comdat
	.protected	_ZN7rocprim17ROCPRIM_400000_NS6detail17trampoline_kernelINS0_14default_configENS1_25transform_config_selectorINS0_10empty_typeELb1EEEZNS1_14transform_implILb1ES3_S6_PS5_S8_NS0_8identityIS5_EEEE10hipError_tT2_T3_mT4_P12ihipStream_tbEUlT_E_NS1_11comp_targetILNS1_3genE9ELNS1_11target_archE1100ELNS1_3gpuE3ELNS1_3repE0EEENS1_30default_config_static_selectorELNS0_4arch9wavefront6targetE0EEEvT1_ ; -- Begin function _ZN7rocprim17ROCPRIM_400000_NS6detail17trampoline_kernelINS0_14default_configENS1_25transform_config_selectorINS0_10empty_typeELb1EEEZNS1_14transform_implILb1ES3_S6_PS5_S8_NS0_8identityIS5_EEEE10hipError_tT2_T3_mT4_P12ihipStream_tbEUlT_E_NS1_11comp_targetILNS1_3genE9ELNS1_11target_archE1100ELNS1_3gpuE3ELNS1_3repE0EEENS1_30default_config_static_selectorELNS0_4arch9wavefront6targetE0EEEvT1_
	.globl	_ZN7rocprim17ROCPRIM_400000_NS6detail17trampoline_kernelINS0_14default_configENS1_25transform_config_selectorINS0_10empty_typeELb1EEEZNS1_14transform_implILb1ES3_S6_PS5_S8_NS0_8identityIS5_EEEE10hipError_tT2_T3_mT4_P12ihipStream_tbEUlT_E_NS1_11comp_targetILNS1_3genE9ELNS1_11target_archE1100ELNS1_3gpuE3ELNS1_3repE0EEENS1_30default_config_static_selectorELNS0_4arch9wavefront6targetE0EEEvT1_
	.p2align	8
	.type	_ZN7rocprim17ROCPRIM_400000_NS6detail17trampoline_kernelINS0_14default_configENS1_25transform_config_selectorINS0_10empty_typeELb1EEEZNS1_14transform_implILb1ES3_S6_PS5_S8_NS0_8identityIS5_EEEE10hipError_tT2_T3_mT4_P12ihipStream_tbEUlT_E_NS1_11comp_targetILNS1_3genE9ELNS1_11target_archE1100ELNS1_3gpuE3ELNS1_3repE0EEENS1_30default_config_static_selectorELNS0_4arch9wavefront6targetE0EEEvT1_,@function
_ZN7rocprim17ROCPRIM_400000_NS6detail17trampoline_kernelINS0_14default_configENS1_25transform_config_selectorINS0_10empty_typeELb1EEEZNS1_14transform_implILb1ES3_S6_PS5_S8_NS0_8identityIS5_EEEE10hipError_tT2_T3_mT4_P12ihipStream_tbEUlT_E_NS1_11comp_targetILNS1_3genE9ELNS1_11target_archE1100ELNS1_3gpuE3ELNS1_3repE0EEENS1_30default_config_static_selectorELNS0_4arch9wavefront6targetE0EEEvT1_: ; @_ZN7rocprim17ROCPRIM_400000_NS6detail17trampoline_kernelINS0_14default_configENS1_25transform_config_selectorINS0_10empty_typeELb1EEEZNS1_14transform_implILb1ES3_S6_PS5_S8_NS0_8identityIS5_EEEE10hipError_tT2_T3_mT4_P12ihipStream_tbEUlT_E_NS1_11comp_targetILNS1_3genE9ELNS1_11target_archE1100ELNS1_3gpuE3ELNS1_3repE0EEENS1_30default_config_static_selectorELNS0_4arch9wavefront6targetE0EEEvT1_
; %bb.0:
	s_endpgm
	.section	.rodata,"a",@progbits
	.p2align	6, 0x0
	.amdhsa_kernel _ZN7rocprim17ROCPRIM_400000_NS6detail17trampoline_kernelINS0_14default_configENS1_25transform_config_selectorINS0_10empty_typeELb1EEEZNS1_14transform_implILb1ES3_S6_PS5_S8_NS0_8identityIS5_EEEE10hipError_tT2_T3_mT4_P12ihipStream_tbEUlT_E_NS1_11comp_targetILNS1_3genE9ELNS1_11target_archE1100ELNS1_3gpuE3ELNS1_3repE0EEENS1_30default_config_static_selectorELNS0_4arch9wavefront6targetE0EEEvT1_
		.amdhsa_group_segment_fixed_size 0
		.amdhsa_private_segment_fixed_size 0
		.amdhsa_kernarg_size 40
		.amdhsa_user_sgpr_count 15
		.amdhsa_user_sgpr_dispatch_ptr 0
		.amdhsa_user_sgpr_queue_ptr 0
		.amdhsa_user_sgpr_kernarg_segment_ptr 1
		.amdhsa_user_sgpr_dispatch_id 0
		.amdhsa_user_sgpr_private_segment_size 0
		.amdhsa_wavefront_size32 1
		.amdhsa_uses_dynamic_stack 0
		.amdhsa_enable_private_segment 0
		.amdhsa_system_sgpr_workgroup_id_x 1
		.amdhsa_system_sgpr_workgroup_id_y 0
		.amdhsa_system_sgpr_workgroup_id_z 0
		.amdhsa_system_sgpr_workgroup_info 0
		.amdhsa_system_vgpr_workitem_id 0
		.amdhsa_next_free_vgpr 1
		.amdhsa_next_free_sgpr 1
		.amdhsa_reserve_vcc 0
		.amdhsa_float_round_mode_32 0
		.amdhsa_float_round_mode_16_64 0
		.amdhsa_float_denorm_mode_32 3
		.amdhsa_float_denorm_mode_16_64 3
		.amdhsa_dx10_clamp 1
		.amdhsa_ieee_mode 1
		.amdhsa_fp16_overflow 0
		.amdhsa_workgroup_processor_mode 1
		.amdhsa_memory_ordered 1
		.amdhsa_forward_progress 0
		.amdhsa_shared_vgpr_count 0
		.amdhsa_exception_fp_ieee_invalid_op 0
		.amdhsa_exception_fp_denorm_src 0
		.amdhsa_exception_fp_ieee_div_zero 0
		.amdhsa_exception_fp_ieee_overflow 0
		.amdhsa_exception_fp_ieee_underflow 0
		.amdhsa_exception_fp_ieee_inexact 0
		.amdhsa_exception_int_div_zero 0
	.end_amdhsa_kernel
	.section	.text._ZN7rocprim17ROCPRIM_400000_NS6detail17trampoline_kernelINS0_14default_configENS1_25transform_config_selectorINS0_10empty_typeELb1EEEZNS1_14transform_implILb1ES3_S6_PS5_S8_NS0_8identityIS5_EEEE10hipError_tT2_T3_mT4_P12ihipStream_tbEUlT_E_NS1_11comp_targetILNS1_3genE9ELNS1_11target_archE1100ELNS1_3gpuE3ELNS1_3repE0EEENS1_30default_config_static_selectorELNS0_4arch9wavefront6targetE0EEEvT1_,"axG",@progbits,_ZN7rocprim17ROCPRIM_400000_NS6detail17trampoline_kernelINS0_14default_configENS1_25transform_config_selectorINS0_10empty_typeELb1EEEZNS1_14transform_implILb1ES3_S6_PS5_S8_NS0_8identityIS5_EEEE10hipError_tT2_T3_mT4_P12ihipStream_tbEUlT_E_NS1_11comp_targetILNS1_3genE9ELNS1_11target_archE1100ELNS1_3gpuE3ELNS1_3repE0EEENS1_30default_config_static_selectorELNS0_4arch9wavefront6targetE0EEEvT1_,comdat
.Lfunc_end56:
	.size	_ZN7rocprim17ROCPRIM_400000_NS6detail17trampoline_kernelINS0_14default_configENS1_25transform_config_selectorINS0_10empty_typeELb1EEEZNS1_14transform_implILb1ES3_S6_PS5_S8_NS0_8identityIS5_EEEE10hipError_tT2_T3_mT4_P12ihipStream_tbEUlT_E_NS1_11comp_targetILNS1_3genE9ELNS1_11target_archE1100ELNS1_3gpuE3ELNS1_3repE0EEENS1_30default_config_static_selectorELNS0_4arch9wavefront6targetE0EEEvT1_, .Lfunc_end56-_ZN7rocprim17ROCPRIM_400000_NS6detail17trampoline_kernelINS0_14default_configENS1_25transform_config_selectorINS0_10empty_typeELb1EEEZNS1_14transform_implILb1ES3_S6_PS5_S8_NS0_8identityIS5_EEEE10hipError_tT2_T3_mT4_P12ihipStream_tbEUlT_E_NS1_11comp_targetILNS1_3genE9ELNS1_11target_archE1100ELNS1_3gpuE3ELNS1_3repE0EEENS1_30default_config_static_selectorELNS0_4arch9wavefront6targetE0EEEvT1_
                                        ; -- End function
	.section	.AMDGPU.csdata,"",@progbits
; Kernel info:
; codeLenInByte = 4
; NumSgprs: 0
; NumVgprs: 0
; ScratchSize: 0
; MemoryBound: 0
; FloatMode: 240
; IeeeMode: 1
; LDSByteSize: 0 bytes/workgroup (compile time only)
; SGPRBlocks: 0
; VGPRBlocks: 0
; NumSGPRsForWavesPerEU: 1
; NumVGPRsForWavesPerEU: 1
; Occupancy: 16
; WaveLimiterHint : 0
; COMPUTE_PGM_RSRC2:SCRATCH_EN: 0
; COMPUTE_PGM_RSRC2:USER_SGPR: 15
; COMPUTE_PGM_RSRC2:TRAP_HANDLER: 0
; COMPUTE_PGM_RSRC2:TGID_X_EN: 1
; COMPUTE_PGM_RSRC2:TGID_Y_EN: 0
; COMPUTE_PGM_RSRC2:TGID_Z_EN: 0
; COMPUTE_PGM_RSRC2:TIDIG_COMP_CNT: 0
	.section	.text._ZN7rocprim17ROCPRIM_400000_NS6detail17trampoline_kernelINS0_14default_configENS1_25transform_config_selectorINS0_10empty_typeELb1EEEZNS1_14transform_implILb1ES3_S6_PS5_S8_NS0_8identityIS5_EEEE10hipError_tT2_T3_mT4_P12ihipStream_tbEUlT_E_NS1_11comp_targetILNS1_3genE8ELNS1_11target_archE1030ELNS1_3gpuE2ELNS1_3repE0EEENS1_30default_config_static_selectorELNS0_4arch9wavefront6targetE0EEEvT1_,"axG",@progbits,_ZN7rocprim17ROCPRIM_400000_NS6detail17trampoline_kernelINS0_14default_configENS1_25transform_config_selectorINS0_10empty_typeELb1EEEZNS1_14transform_implILb1ES3_S6_PS5_S8_NS0_8identityIS5_EEEE10hipError_tT2_T3_mT4_P12ihipStream_tbEUlT_E_NS1_11comp_targetILNS1_3genE8ELNS1_11target_archE1030ELNS1_3gpuE2ELNS1_3repE0EEENS1_30default_config_static_selectorELNS0_4arch9wavefront6targetE0EEEvT1_,comdat
	.protected	_ZN7rocprim17ROCPRIM_400000_NS6detail17trampoline_kernelINS0_14default_configENS1_25transform_config_selectorINS0_10empty_typeELb1EEEZNS1_14transform_implILb1ES3_S6_PS5_S8_NS0_8identityIS5_EEEE10hipError_tT2_T3_mT4_P12ihipStream_tbEUlT_E_NS1_11comp_targetILNS1_3genE8ELNS1_11target_archE1030ELNS1_3gpuE2ELNS1_3repE0EEENS1_30default_config_static_selectorELNS0_4arch9wavefront6targetE0EEEvT1_ ; -- Begin function _ZN7rocprim17ROCPRIM_400000_NS6detail17trampoline_kernelINS0_14default_configENS1_25transform_config_selectorINS0_10empty_typeELb1EEEZNS1_14transform_implILb1ES3_S6_PS5_S8_NS0_8identityIS5_EEEE10hipError_tT2_T3_mT4_P12ihipStream_tbEUlT_E_NS1_11comp_targetILNS1_3genE8ELNS1_11target_archE1030ELNS1_3gpuE2ELNS1_3repE0EEENS1_30default_config_static_selectorELNS0_4arch9wavefront6targetE0EEEvT1_
	.globl	_ZN7rocprim17ROCPRIM_400000_NS6detail17trampoline_kernelINS0_14default_configENS1_25transform_config_selectorINS0_10empty_typeELb1EEEZNS1_14transform_implILb1ES3_S6_PS5_S8_NS0_8identityIS5_EEEE10hipError_tT2_T3_mT4_P12ihipStream_tbEUlT_E_NS1_11comp_targetILNS1_3genE8ELNS1_11target_archE1030ELNS1_3gpuE2ELNS1_3repE0EEENS1_30default_config_static_selectorELNS0_4arch9wavefront6targetE0EEEvT1_
	.p2align	8
	.type	_ZN7rocprim17ROCPRIM_400000_NS6detail17trampoline_kernelINS0_14default_configENS1_25transform_config_selectorINS0_10empty_typeELb1EEEZNS1_14transform_implILb1ES3_S6_PS5_S8_NS0_8identityIS5_EEEE10hipError_tT2_T3_mT4_P12ihipStream_tbEUlT_E_NS1_11comp_targetILNS1_3genE8ELNS1_11target_archE1030ELNS1_3gpuE2ELNS1_3repE0EEENS1_30default_config_static_selectorELNS0_4arch9wavefront6targetE0EEEvT1_,@function
_ZN7rocprim17ROCPRIM_400000_NS6detail17trampoline_kernelINS0_14default_configENS1_25transform_config_selectorINS0_10empty_typeELb1EEEZNS1_14transform_implILb1ES3_S6_PS5_S8_NS0_8identityIS5_EEEE10hipError_tT2_T3_mT4_P12ihipStream_tbEUlT_E_NS1_11comp_targetILNS1_3genE8ELNS1_11target_archE1030ELNS1_3gpuE2ELNS1_3repE0EEENS1_30default_config_static_selectorELNS0_4arch9wavefront6targetE0EEEvT1_: ; @_ZN7rocprim17ROCPRIM_400000_NS6detail17trampoline_kernelINS0_14default_configENS1_25transform_config_selectorINS0_10empty_typeELb1EEEZNS1_14transform_implILb1ES3_S6_PS5_S8_NS0_8identityIS5_EEEE10hipError_tT2_T3_mT4_P12ihipStream_tbEUlT_E_NS1_11comp_targetILNS1_3genE8ELNS1_11target_archE1030ELNS1_3gpuE2ELNS1_3repE0EEENS1_30default_config_static_selectorELNS0_4arch9wavefront6targetE0EEEvT1_
; %bb.0:
	.section	.rodata,"a",@progbits
	.p2align	6, 0x0
	.amdhsa_kernel _ZN7rocprim17ROCPRIM_400000_NS6detail17trampoline_kernelINS0_14default_configENS1_25transform_config_selectorINS0_10empty_typeELb1EEEZNS1_14transform_implILb1ES3_S6_PS5_S8_NS0_8identityIS5_EEEE10hipError_tT2_T3_mT4_P12ihipStream_tbEUlT_E_NS1_11comp_targetILNS1_3genE8ELNS1_11target_archE1030ELNS1_3gpuE2ELNS1_3repE0EEENS1_30default_config_static_selectorELNS0_4arch9wavefront6targetE0EEEvT1_
		.amdhsa_group_segment_fixed_size 0
		.amdhsa_private_segment_fixed_size 0
		.amdhsa_kernarg_size 40
		.amdhsa_user_sgpr_count 15
		.amdhsa_user_sgpr_dispatch_ptr 0
		.amdhsa_user_sgpr_queue_ptr 0
		.amdhsa_user_sgpr_kernarg_segment_ptr 1
		.amdhsa_user_sgpr_dispatch_id 0
		.amdhsa_user_sgpr_private_segment_size 0
		.amdhsa_wavefront_size32 1
		.amdhsa_uses_dynamic_stack 0
		.amdhsa_enable_private_segment 0
		.amdhsa_system_sgpr_workgroup_id_x 1
		.amdhsa_system_sgpr_workgroup_id_y 0
		.amdhsa_system_sgpr_workgroup_id_z 0
		.amdhsa_system_sgpr_workgroup_info 0
		.amdhsa_system_vgpr_workitem_id 0
		.amdhsa_next_free_vgpr 1
		.amdhsa_next_free_sgpr 1
		.amdhsa_reserve_vcc 0
		.amdhsa_float_round_mode_32 0
		.amdhsa_float_round_mode_16_64 0
		.amdhsa_float_denorm_mode_32 3
		.amdhsa_float_denorm_mode_16_64 3
		.amdhsa_dx10_clamp 1
		.amdhsa_ieee_mode 1
		.amdhsa_fp16_overflow 0
		.amdhsa_workgroup_processor_mode 1
		.amdhsa_memory_ordered 1
		.amdhsa_forward_progress 0
		.amdhsa_shared_vgpr_count 0
		.amdhsa_exception_fp_ieee_invalid_op 0
		.amdhsa_exception_fp_denorm_src 0
		.amdhsa_exception_fp_ieee_div_zero 0
		.amdhsa_exception_fp_ieee_overflow 0
		.amdhsa_exception_fp_ieee_underflow 0
		.amdhsa_exception_fp_ieee_inexact 0
		.amdhsa_exception_int_div_zero 0
	.end_amdhsa_kernel
	.section	.text._ZN7rocprim17ROCPRIM_400000_NS6detail17trampoline_kernelINS0_14default_configENS1_25transform_config_selectorINS0_10empty_typeELb1EEEZNS1_14transform_implILb1ES3_S6_PS5_S8_NS0_8identityIS5_EEEE10hipError_tT2_T3_mT4_P12ihipStream_tbEUlT_E_NS1_11comp_targetILNS1_3genE8ELNS1_11target_archE1030ELNS1_3gpuE2ELNS1_3repE0EEENS1_30default_config_static_selectorELNS0_4arch9wavefront6targetE0EEEvT1_,"axG",@progbits,_ZN7rocprim17ROCPRIM_400000_NS6detail17trampoline_kernelINS0_14default_configENS1_25transform_config_selectorINS0_10empty_typeELb1EEEZNS1_14transform_implILb1ES3_S6_PS5_S8_NS0_8identityIS5_EEEE10hipError_tT2_T3_mT4_P12ihipStream_tbEUlT_E_NS1_11comp_targetILNS1_3genE8ELNS1_11target_archE1030ELNS1_3gpuE2ELNS1_3repE0EEENS1_30default_config_static_selectorELNS0_4arch9wavefront6targetE0EEEvT1_,comdat
.Lfunc_end57:
	.size	_ZN7rocprim17ROCPRIM_400000_NS6detail17trampoline_kernelINS0_14default_configENS1_25transform_config_selectorINS0_10empty_typeELb1EEEZNS1_14transform_implILb1ES3_S6_PS5_S8_NS0_8identityIS5_EEEE10hipError_tT2_T3_mT4_P12ihipStream_tbEUlT_E_NS1_11comp_targetILNS1_3genE8ELNS1_11target_archE1030ELNS1_3gpuE2ELNS1_3repE0EEENS1_30default_config_static_selectorELNS0_4arch9wavefront6targetE0EEEvT1_, .Lfunc_end57-_ZN7rocprim17ROCPRIM_400000_NS6detail17trampoline_kernelINS0_14default_configENS1_25transform_config_selectorINS0_10empty_typeELb1EEEZNS1_14transform_implILb1ES3_S6_PS5_S8_NS0_8identityIS5_EEEE10hipError_tT2_T3_mT4_P12ihipStream_tbEUlT_E_NS1_11comp_targetILNS1_3genE8ELNS1_11target_archE1030ELNS1_3gpuE2ELNS1_3repE0EEENS1_30default_config_static_selectorELNS0_4arch9wavefront6targetE0EEEvT1_
                                        ; -- End function
	.section	.AMDGPU.csdata,"",@progbits
; Kernel info:
; codeLenInByte = 0
; NumSgprs: 0
; NumVgprs: 0
; ScratchSize: 0
; MemoryBound: 0
; FloatMode: 240
; IeeeMode: 1
; LDSByteSize: 0 bytes/workgroup (compile time only)
; SGPRBlocks: 0
; VGPRBlocks: 0
; NumSGPRsForWavesPerEU: 1
; NumVGPRsForWavesPerEU: 1
; Occupancy: 16
; WaveLimiterHint : 0
; COMPUTE_PGM_RSRC2:SCRATCH_EN: 0
; COMPUTE_PGM_RSRC2:USER_SGPR: 15
; COMPUTE_PGM_RSRC2:TRAP_HANDLER: 0
; COMPUTE_PGM_RSRC2:TGID_X_EN: 1
; COMPUTE_PGM_RSRC2:TGID_Y_EN: 0
; COMPUTE_PGM_RSRC2:TGID_Z_EN: 0
; COMPUTE_PGM_RSRC2:TIDIG_COMP_CNT: 0
	.section	.text._ZN7rocprim17ROCPRIM_400000_NS6detail17trampoline_kernelINS0_14default_configENS1_35adjacent_difference_config_selectorILb0ElEEZNS1_24adjacent_difference_implIS3_Lb0ELb0EPlS7_ZN2at6native12_GLOBAL__N_124unique_dim_cuda_templateIhEESt5tupleIJNS8_6TensorESD_SD_EERKSD_lbbbEUlllE1_EE10hipError_tPvRmT2_T3_mT4_P12ihipStream_tbEUlT_E_NS1_11comp_targetILNS1_3genE0ELNS1_11target_archE4294967295ELNS1_3gpuE0ELNS1_3repE0EEENS1_30default_config_static_selectorELNS0_4arch9wavefront6targetE0EEEvT1_,"axG",@progbits,_ZN7rocprim17ROCPRIM_400000_NS6detail17trampoline_kernelINS0_14default_configENS1_35adjacent_difference_config_selectorILb0ElEEZNS1_24adjacent_difference_implIS3_Lb0ELb0EPlS7_ZN2at6native12_GLOBAL__N_124unique_dim_cuda_templateIhEESt5tupleIJNS8_6TensorESD_SD_EERKSD_lbbbEUlllE1_EE10hipError_tPvRmT2_T3_mT4_P12ihipStream_tbEUlT_E_NS1_11comp_targetILNS1_3genE0ELNS1_11target_archE4294967295ELNS1_3gpuE0ELNS1_3repE0EEENS1_30default_config_static_selectorELNS0_4arch9wavefront6targetE0EEEvT1_,comdat
	.globl	_ZN7rocprim17ROCPRIM_400000_NS6detail17trampoline_kernelINS0_14default_configENS1_35adjacent_difference_config_selectorILb0ElEEZNS1_24adjacent_difference_implIS3_Lb0ELb0EPlS7_ZN2at6native12_GLOBAL__N_124unique_dim_cuda_templateIhEESt5tupleIJNS8_6TensorESD_SD_EERKSD_lbbbEUlllE1_EE10hipError_tPvRmT2_T3_mT4_P12ihipStream_tbEUlT_E_NS1_11comp_targetILNS1_3genE0ELNS1_11target_archE4294967295ELNS1_3gpuE0ELNS1_3repE0EEENS1_30default_config_static_selectorELNS0_4arch9wavefront6targetE0EEEvT1_ ; -- Begin function _ZN7rocprim17ROCPRIM_400000_NS6detail17trampoline_kernelINS0_14default_configENS1_35adjacent_difference_config_selectorILb0ElEEZNS1_24adjacent_difference_implIS3_Lb0ELb0EPlS7_ZN2at6native12_GLOBAL__N_124unique_dim_cuda_templateIhEESt5tupleIJNS8_6TensorESD_SD_EERKSD_lbbbEUlllE1_EE10hipError_tPvRmT2_T3_mT4_P12ihipStream_tbEUlT_E_NS1_11comp_targetILNS1_3genE0ELNS1_11target_archE4294967295ELNS1_3gpuE0ELNS1_3repE0EEENS1_30default_config_static_selectorELNS0_4arch9wavefront6targetE0EEEvT1_
	.p2align	8
	.type	_ZN7rocprim17ROCPRIM_400000_NS6detail17trampoline_kernelINS0_14default_configENS1_35adjacent_difference_config_selectorILb0ElEEZNS1_24adjacent_difference_implIS3_Lb0ELb0EPlS7_ZN2at6native12_GLOBAL__N_124unique_dim_cuda_templateIhEESt5tupleIJNS8_6TensorESD_SD_EERKSD_lbbbEUlllE1_EE10hipError_tPvRmT2_T3_mT4_P12ihipStream_tbEUlT_E_NS1_11comp_targetILNS1_3genE0ELNS1_11target_archE4294967295ELNS1_3gpuE0ELNS1_3repE0EEENS1_30default_config_static_selectorELNS0_4arch9wavefront6targetE0EEEvT1_,@function
_ZN7rocprim17ROCPRIM_400000_NS6detail17trampoline_kernelINS0_14default_configENS1_35adjacent_difference_config_selectorILb0ElEEZNS1_24adjacent_difference_implIS3_Lb0ELb0EPlS7_ZN2at6native12_GLOBAL__N_124unique_dim_cuda_templateIhEESt5tupleIJNS8_6TensorESD_SD_EERKSD_lbbbEUlllE1_EE10hipError_tPvRmT2_T3_mT4_P12ihipStream_tbEUlT_E_NS1_11comp_targetILNS1_3genE0ELNS1_11target_archE4294967295ELNS1_3gpuE0ELNS1_3repE0EEENS1_30default_config_static_selectorELNS0_4arch9wavefront6targetE0EEEvT1_: ; @_ZN7rocprim17ROCPRIM_400000_NS6detail17trampoline_kernelINS0_14default_configENS1_35adjacent_difference_config_selectorILb0ElEEZNS1_24adjacent_difference_implIS3_Lb0ELb0EPlS7_ZN2at6native12_GLOBAL__N_124unique_dim_cuda_templateIhEESt5tupleIJNS8_6TensorESD_SD_EERKSD_lbbbEUlllE1_EE10hipError_tPvRmT2_T3_mT4_P12ihipStream_tbEUlT_E_NS1_11comp_targetILNS1_3genE0ELNS1_11target_archE4294967295ELNS1_3gpuE0ELNS1_3repE0EEENS1_30default_config_static_selectorELNS0_4arch9wavefront6targetE0EEEvT1_
; %bb.0:
	.section	.rodata,"a",@progbits
	.p2align	6, 0x0
	.amdhsa_kernel _ZN7rocprim17ROCPRIM_400000_NS6detail17trampoline_kernelINS0_14default_configENS1_35adjacent_difference_config_selectorILb0ElEEZNS1_24adjacent_difference_implIS3_Lb0ELb0EPlS7_ZN2at6native12_GLOBAL__N_124unique_dim_cuda_templateIhEESt5tupleIJNS8_6TensorESD_SD_EERKSD_lbbbEUlllE1_EE10hipError_tPvRmT2_T3_mT4_P12ihipStream_tbEUlT_E_NS1_11comp_targetILNS1_3genE0ELNS1_11target_archE4294967295ELNS1_3gpuE0ELNS1_3repE0EEENS1_30default_config_static_selectorELNS0_4arch9wavefront6targetE0EEEvT1_
		.amdhsa_group_segment_fixed_size 0
		.amdhsa_private_segment_fixed_size 0
		.amdhsa_kernarg_size 64
		.amdhsa_user_sgpr_count 15
		.amdhsa_user_sgpr_dispatch_ptr 0
		.amdhsa_user_sgpr_queue_ptr 0
		.amdhsa_user_sgpr_kernarg_segment_ptr 1
		.amdhsa_user_sgpr_dispatch_id 0
		.amdhsa_user_sgpr_private_segment_size 0
		.amdhsa_wavefront_size32 1
		.amdhsa_uses_dynamic_stack 0
		.amdhsa_enable_private_segment 0
		.amdhsa_system_sgpr_workgroup_id_x 1
		.amdhsa_system_sgpr_workgroup_id_y 0
		.amdhsa_system_sgpr_workgroup_id_z 0
		.amdhsa_system_sgpr_workgroup_info 0
		.amdhsa_system_vgpr_workitem_id 0
		.amdhsa_next_free_vgpr 1
		.amdhsa_next_free_sgpr 1
		.amdhsa_reserve_vcc 0
		.amdhsa_float_round_mode_32 0
		.amdhsa_float_round_mode_16_64 0
		.amdhsa_float_denorm_mode_32 3
		.amdhsa_float_denorm_mode_16_64 3
		.amdhsa_dx10_clamp 1
		.amdhsa_ieee_mode 1
		.amdhsa_fp16_overflow 0
		.amdhsa_workgroup_processor_mode 1
		.amdhsa_memory_ordered 1
		.amdhsa_forward_progress 0
		.amdhsa_shared_vgpr_count 0
		.amdhsa_exception_fp_ieee_invalid_op 0
		.amdhsa_exception_fp_denorm_src 0
		.amdhsa_exception_fp_ieee_div_zero 0
		.amdhsa_exception_fp_ieee_overflow 0
		.amdhsa_exception_fp_ieee_underflow 0
		.amdhsa_exception_fp_ieee_inexact 0
		.amdhsa_exception_int_div_zero 0
	.end_amdhsa_kernel
	.section	.text._ZN7rocprim17ROCPRIM_400000_NS6detail17trampoline_kernelINS0_14default_configENS1_35adjacent_difference_config_selectorILb0ElEEZNS1_24adjacent_difference_implIS3_Lb0ELb0EPlS7_ZN2at6native12_GLOBAL__N_124unique_dim_cuda_templateIhEESt5tupleIJNS8_6TensorESD_SD_EERKSD_lbbbEUlllE1_EE10hipError_tPvRmT2_T3_mT4_P12ihipStream_tbEUlT_E_NS1_11comp_targetILNS1_3genE0ELNS1_11target_archE4294967295ELNS1_3gpuE0ELNS1_3repE0EEENS1_30default_config_static_selectorELNS0_4arch9wavefront6targetE0EEEvT1_,"axG",@progbits,_ZN7rocprim17ROCPRIM_400000_NS6detail17trampoline_kernelINS0_14default_configENS1_35adjacent_difference_config_selectorILb0ElEEZNS1_24adjacent_difference_implIS3_Lb0ELb0EPlS7_ZN2at6native12_GLOBAL__N_124unique_dim_cuda_templateIhEESt5tupleIJNS8_6TensorESD_SD_EERKSD_lbbbEUlllE1_EE10hipError_tPvRmT2_T3_mT4_P12ihipStream_tbEUlT_E_NS1_11comp_targetILNS1_3genE0ELNS1_11target_archE4294967295ELNS1_3gpuE0ELNS1_3repE0EEENS1_30default_config_static_selectorELNS0_4arch9wavefront6targetE0EEEvT1_,comdat
.Lfunc_end58:
	.size	_ZN7rocprim17ROCPRIM_400000_NS6detail17trampoline_kernelINS0_14default_configENS1_35adjacent_difference_config_selectorILb0ElEEZNS1_24adjacent_difference_implIS3_Lb0ELb0EPlS7_ZN2at6native12_GLOBAL__N_124unique_dim_cuda_templateIhEESt5tupleIJNS8_6TensorESD_SD_EERKSD_lbbbEUlllE1_EE10hipError_tPvRmT2_T3_mT4_P12ihipStream_tbEUlT_E_NS1_11comp_targetILNS1_3genE0ELNS1_11target_archE4294967295ELNS1_3gpuE0ELNS1_3repE0EEENS1_30default_config_static_selectorELNS0_4arch9wavefront6targetE0EEEvT1_, .Lfunc_end58-_ZN7rocprim17ROCPRIM_400000_NS6detail17trampoline_kernelINS0_14default_configENS1_35adjacent_difference_config_selectorILb0ElEEZNS1_24adjacent_difference_implIS3_Lb0ELb0EPlS7_ZN2at6native12_GLOBAL__N_124unique_dim_cuda_templateIhEESt5tupleIJNS8_6TensorESD_SD_EERKSD_lbbbEUlllE1_EE10hipError_tPvRmT2_T3_mT4_P12ihipStream_tbEUlT_E_NS1_11comp_targetILNS1_3genE0ELNS1_11target_archE4294967295ELNS1_3gpuE0ELNS1_3repE0EEENS1_30default_config_static_selectorELNS0_4arch9wavefront6targetE0EEEvT1_
                                        ; -- End function
	.section	.AMDGPU.csdata,"",@progbits
; Kernel info:
; codeLenInByte = 0
; NumSgprs: 0
; NumVgprs: 0
; ScratchSize: 0
; MemoryBound: 0
; FloatMode: 240
; IeeeMode: 1
; LDSByteSize: 0 bytes/workgroup (compile time only)
; SGPRBlocks: 0
; VGPRBlocks: 0
; NumSGPRsForWavesPerEU: 1
; NumVGPRsForWavesPerEU: 1
; Occupancy: 16
; WaveLimiterHint : 0
; COMPUTE_PGM_RSRC2:SCRATCH_EN: 0
; COMPUTE_PGM_RSRC2:USER_SGPR: 15
; COMPUTE_PGM_RSRC2:TRAP_HANDLER: 0
; COMPUTE_PGM_RSRC2:TGID_X_EN: 1
; COMPUTE_PGM_RSRC2:TGID_Y_EN: 0
; COMPUTE_PGM_RSRC2:TGID_Z_EN: 0
; COMPUTE_PGM_RSRC2:TIDIG_COMP_CNT: 0
	.section	.text._ZN7rocprim17ROCPRIM_400000_NS6detail17trampoline_kernelINS0_14default_configENS1_35adjacent_difference_config_selectorILb0ElEEZNS1_24adjacent_difference_implIS3_Lb0ELb0EPlS7_ZN2at6native12_GLOBAL__N_124unique_dim_cuda_templateIhEESt5tupleIJNS8_6TensorESD_SD_EERKSD_lbbbEUlllE1_EE10hipError_tPvRmT2_T3_mT4_P12ihipStream_tbEUlT_E_NS1_11comp_targetILNS1_3genE10ELNS1_11target_archE1201ELNS1_3gpuE5ELNS1_3repE0EEENS1_30default_config_static_selectorELNS0_4arch9wavefront6targetE0EEEvT1_,"axG",@progbits,_ZN7rocprim17ROCPRIM_400000_NS6detail17trampoline_kernelINS0_14default_configENS1_35adjacent_difference_config_selectorILb0ElEEZNS1_24adjacent_difference_implIS3_Lb0ELb0EPlS7_ZN2at6native12_GLOBAL__N_124unique_dim_cuda_templateIhEESt5tupleIJNS8_6TensorESD_SD_EERKSD_lbbbEUlllE1_EE10hipError_tPvRmT2_T3_mT4_P12ihipStream_tbEUlT_E_NS1_11comp_targetILNS1_3genE10ELNS1_11target_archE1201ELNS1_3gpuE5ELNS1_3repE0EEENS1_30default_config_static_selectorELNS0_4arch9wavefront6targetE0EEEvT1_,comdat
	.globl	_ZN7rocprim17ROCPRIM_400000_NS6detail17trampoline_kernelINS0_14default_configENS1_35adjacent_difference_config_selectorILb0ElEEZNS1_24adjacent_difference_implIS3_Lb0ELb0EPlS7_ZN2at6native12_GLOBAL__N_124unique_dim_cuda_templateIhEESt5tupleIJNS8_6TensorESD_SD_EERKSD_lbbbEUlllE1_EE10hipError_tPvRmT2_T3_mT4_P12ihipStream_tbEUlT_E_NS1_11comp_targetILNS1_3genE10ELNS1_11target_archE1201ELNS1_3gpuE5ELNS1_3repE0EEENS1_30default_config_static_selectorELNS0_4arch9wavefront6targetE0EEEvT1_ ; -- Begin function _ZN7rocprim17ROCPRIM_400000_NS6detail17trampoline_kernelINS0_14default_configENS1_35adjacent_difference_config_selectorILb0ElEEZNS1_24adjacent_difference_implIS3_Lb0ELb0EPlS7_ZN2at6native12_GLOBAL__N_124unique_dim_cuda_templateIhEESt5tupleIJNS8_6TensorESD_SD_EERKSD_lbbbEUlllE1_EE10hipError_tPvRmT2_T3_mT4_P12ihipStream_tbEUlT_E_NS1_11comp_targetILNS1_3genE10ELNS1_11target_archE1201ELNS1_3gpuE5ELNS1_3repE0EEENS1_30default_config_static_selectorELNS0_4arch9wavefront6targetE0EEEvT1_
	.p2align	8
	.type	_ZN7rocprim17ROCPRIM_400000_NS6detail17trampoline_kernelINS0_14default_configENS1_35adjacent_difference_config_selectorILb0ElEEZNS1_24adjacent_difference_implIS3_Lb0ELb0EPlS7_ZN2at6native12_GLOBAL__N_124unique_dim_cuda_templateIhEESt5tupleIJNS8_6TensorESD_SD_EERKSD_lbbbEUlllE1_EE10hipError_tPvRmT2_T3_mT4_P12ihipStream_tbEUlT_E_NS1_11comp_targetILNS1_3genE10ELNS1_11target_archE1201ELNS1_3gpuE5ELNS1_3repE0EEENS1_30default_config_static_selectorELNS0_4arch9wavefront6targetE0EEEvT1_,@function
_ZN7rocprim17ROCPRIM_400000_NS6detail17trampoline_kernelINS0_14default_configENS1_35adjacent_difference_config_selectorILb0ElEEZNS1_24adjacent_difference_implIS3_Lb0ELb0EPlS7_ZN2at6native12_GLOBAL__N_124unique_dim_cuda_templateIhEESt5tupleIJNS8_6TensorESD_SD_EERKSD_lbbbEUlllE1_EE10hipError_tPvRmT2_T3_mT4_P12ihipStream_tbEUlT_E_NS1_11comp_targetILNS1_3genE10ELNS1_11target_archE1201ELNS1_3gpuE5ELNS1_3repE0EEENS1_30default_config_static_selectorELNS0_4arch9wavefront6targetE0EEEvT1_: ; @_ZN7rocprim17ROCPRIM_400000_NS6detail17trampoline_kernelINS0_14default_configENS1_35adjacent_difference_config_selectorILb0ElEEZNS1_24adjacent_difference_implIS3_Lb0ELb0EPlS7_ZN2at6native12_GLOBAL__N_124unique_dim_cuda_templateIhEESt5tupleIJNS8_6TensorESD_SD_EERKSD_lbbbEUlllE1_EE10hipError_tPvRmT2_T3_mT4_P12ihipStream_tbEUlT_E_NS1_11comp_targetILNS1_3genE10ELNS1_11target_archE1201ELNS1_3gpuE5ELNS1_3repE0EEENS1_30default_config_static_selectorELNS0_4arch9wavefront6targetE0EEEvT1_
; %bb.0:
	.section	.rodata,"a",@progbits
	.p2align	6, 0x0
	.amdhsa_kernel _ZN7rocprim17ROCPRIM_400000_NS6detail17trampoline_kernelINS0_14default_configENS1_35adjacent_difference_config_selectorILb0ElEEZNS1_24adjacent_difference_implIS3_Lb0ELb0EPlS7_ZN2at6native12_GLOBAL__N_124unique_dim_cuda_templateIhEESt5tupleIJNS8_6TensorESD_SD_EERKSD_lbbbEUlllE1_EE10hipError_tPvRmT2_T3_mT4_P12ihipStream_tbEUlT_E_NS1_11comp_targetILNS1_3genE10ELNS1_11target_archE1201ELNS1_3gpuE5ELNS1_3repE0EEENS1_30default_config_static_selectorELNS0_4arch9wavefront6targetE0EEEvT1_
		.amdhsa_group_segment_fixed_size 0
		.amdhsa_private_segment_fixed_size 0
		.amdhsa_kernarg_size 64
		.amdhsa_user_sgpr_count 15
		.amdhsa_user_sgpr_dispatch_ptr 0
		.amdhsa_user_sgpr_queue_ptr 0
		.amdhsa_user_sgpr_kernarg_segment_ptr 1
		.amdhsa_user_sgpr_dispatch_id 0
		.amdhsa_user_sgpr_private_segment_size 0
		.amdhsa_wavefront_size32 1
		.amdhsa_uses_dynamic_stack 0
		.amdhsa_enable_private_segment 0
		.amdhsa_system_sgpr_workgroup_id_x 1
		.amdhsa_system_sgpr_workgroup_id_y 0
		.amdhsa_system_sgpr_workgroup_id_z 0
		.amdhsa_system_sgpr_workgroup_info 0
		.amdhsa_system_vgpr_workitem_id 0
		.amdhsa_next_free_vgpr 1
		.amdhsa_next_free_sgpr 1
		.amdhsa_reserve_vcc 0
		.amdhsa_float_round_mode_32 0
		.amdhsa_float_round_mode_16_64 0
		.amdhsa_float_denorm_mode_32 3
		.amdhsa_float_denorm_mode_16_64 3
		.amdhsa_dx10_clamp 1
		.amdhsa_ieee_mode 1
		.amdhsa_fp16_overflow 0
		.amdhsa_workgroup_processor_mode 1
		.amdhsa_memory_ordered 1
		.amdhsa_forward_progress 0
		.amdhsa_shared_vgpr_count 0
		.amdhsa_exception_fp_ieee_invalid_op 0
		.amdhsa_exception_fp_denorm_src 0
		.amdhsa_exception_fp_ieee_div_zero 0
		.amdhsa_exception_fp_ieee_overflow 0
		.amdhsa_exception_fp_ieee_underflow 0
		.amdhsa_exception_fp_ieee_inexact 0
		.amdhsa_exception_int_div_zero 0
	.end_amdhsa_kernel
	.section	.text._ZN7rocprim17ROCPRIM_400000_NS6detail17trampoline_kernelINS0_14default_configENS1_35adjacent_difference_config_selectorILb0ElEEZNS1_24adjacent_difference_implIS3_Lb0ELb0EPlS7_ZN2at6native12_GLOBAL__N_124unique_dim_cuda_templateIhEESt5tupleIJNS8_6TensorESD_SD_EERKSD_lbbbEUlllE1_EE10hipError_tPvRmT2_T3_mT4_P12ihipStream_tbEUlT_E_NS1_11comp_targetILNS1_3genE10ELNS1_11target_archE1201ELNS1_3gpuE5ELNS1_3repE0EEENS1_30default_config_static_selectorELNS0_4arch9wavefront6targetE0EEEvT1_,"axG",@progbits,_ZN7rocprim17ROCPRIM_400000_NS6detail17trampoline_kernelINS0_14default_configENS1_35adjacent_difference_config_selectorILb0ElEEZNS1_24adjacent_difference_implIS3_Lb0ELb0EPlS7_ZN2at6native12_GLOBAL__N_124unique_dim_cuda_templateIhEESt5tupleIJNS8_6TensorESD_SD_EERKSD_lbbbEUlllE1_EE10hipError_tPvRmT2_T3_mT4_P12ihipStream_tbEUlT_E_NS1_11comp_targetILNS1_3genE10ELNS1_11target_archE1201ELNS1_3gpuE5ELNS1_3repE0EEENS1_30default_config_static_selectorELNS0_4arch9wavefront6targetE0EEEvT1_,comdat
.Lfunc_end59:
	.size	_ZN7rocprim17ROCPRIM_400000_NS6detail17trampoline_kernelINS0_14default_configENS1_35adjacent_difference_config_selectorILb0ElEEZNS1_24adjacent_difference_implIS3_Lb0ELb0EPlS7_ZN2at6native12_GLOBAL__N_124unique_dim_cuda_templateIhEESt5tupleIJNS8_6TensorESD_SD_EERKSD_lbbbEUlllE1_EE10hipError_tPvRmT2_T3_mT4_P12ihipStream_tbEUlT_E_NS1_11comp_targetILNS1_3genE10ELNS1_11target_archE1201ELNS1_3gpuE5ELNS1_3repE0EEENS1_30default_config_static_selectorELNS0_4arch9wavefront6targetE0EEEvT1_, .Lfunc_end59-_ZN7rocprim17ROCPRIM_400000_NS6detail17trampoline_kernelINS0_14default_configENS1_35adjacent_difference_config_selectorILb0ElEEZNS1_24adjacent_difference_implIS3_Lb0ELb0EPlS7_ZN2at6native12_GLOBAL__N_124unique_dim_cuda_templateIhEESt5tupleIJNS8_6TensorESD_SD_EERKSD_lbbbEUlllE1_EE10hipError_tPvRmT2_T3_mT4_P12ihipStream_tbEUlT_E_NS1_11comp_targetILNS1_3genE10ELNS1_11target_archE1201ELNS1_3gpuE5ELNS1_3repE0EEENS1_30default_config_static_selectorELNS0_4arch9wavefront6targetE0EEEvT1_
                                        ; -- End function
	.section	.AMDGPU.csdata,"",@progbits
; Kernel info:
; codeLenInByte = 0
; NumSgprs: 0
; NumVgprs: 0
; ScratchSize: 0
; MemoryBound: 0
; FloatMode: 240
; IeeeMode: 1
; LDSByteSize: 0 bytes/workgroup (compile time only)
; SGPRBlocks: 0
; VGPRBlocks: 0
; NumSGPRsForWavesPerEU: 1
; NumVGPRsForWavesPerEU: 1
; Occupancy: 16
; WaveLimiterHint : 0
; COMPUTE_PGM_RSRC2:SCRATCH_EN: 0
; COMPUTE_PGM_RSRC2:USER_SGPR: 15
; COMPUTE_PGM_RSRC2:TRAP_HANDLER: 0
; COMPUTE_PGM_RSRC2:TGID_X_EN: 1
; COMPUTE_PGM_RSRC2:TGID_Y_EN: 0
; COMPUTE_PGM_RSRC2:TGID_Z_EN: 0
; COMPUTE_PGM_RSRC2:TIDIG_COMP_CNT: 0
	.section	.text._ZN7rocprim17ROCPRIM_400000_NS6detail17trampoline_kernelINS0_14default_configENS1_35adjacent_difference_config_selectorILb0ElEEZNS1_24adjacent_difference_implIS3_Lb0ELb0EPlS7_ZN2at6native12_GLOBAL__N_124unique_dim_cuda_templateIhEESt5tupleIJNS8_6TensorESD_SD_EERKSD_lbbbEUlllE1_EE10hipError_tPvRmT2_T3_mT4_P12ihipStream_tbEUlT_E_NS1_11comp_targetILNS1_3genE5ELNS1_11target_archE942ELNS1_3gpuE9ELNS1_3repE0EEENS1_30default_config_static_selectorELNS0_4arch9wavefront6targetE0EEEvT1_,"axG",@progbits,_ZN7rocprim17ROCPRIM_400000_NS6detail17trampoline_kernelINS0_14default_configENS1_35adjacent_difference_config_selectorILb0ElEEZNS1_24adjacent_difference_implIS3_Lb0ELb0EPlS7_ZN2at6native12_GLOBAL__N_124unique_dim_cuda_templateIhEESt5tupleIJNS8_6TensorESD_SD_EERKSD_lbbbEUlllE1_EE10hipError_tPvRmT2_T3_mT4_P12ihipStream_tbEUlT_E_NS1_11comp_targetILNS1_3genE5ELNS1_11target_archE942ELNS1_3gpuE9ELNS1_3repE0EEENS1_30default_config_static_selectorELNS0_4arch9wavefront6targetE0EEEvT1_,comdat
	.globl	_ZN7rocprim17ROCPRIM_400000_NS6detail17trampoline_kernelINS0_14default_configENS1_35adjacent_difference_config_selectorILb0ElEEZNS1_24adjacent_difference_implIS3_Lb0ELb0EPlS7_ZN2at6native12_GLOBAL__N_124unique_dim_cuda_templateIhEESt5tupleIJNS8_6TensorESD_SD_EERKSD_lbbbEUlllE1_EE10hipError_tPvRmT2_T3_mT4_P12ihipStream_tbEUlT_E_NS1_11comp_targetILNS1_3genE5ELNS1_11target_archE942ELNS1_3gpuE9ELNS1_3repE0EEENS1_30default_config_static_selectorELNS0_4arch9wavefront6targetE0EEEvT1_ ; -- Begin function _ZN7rocprim17ROCPRIM_400000_NS6detail17trampoline_kernelINS0_14default_configENS1_35adjacent_difference_config_selectorILb0ElEEZNS1_24adjacent_difference_implIS3_Lb0ELb0EPlS7_ZN2at6native12_GLOBAL__N_124unique_dim_cuda_templateIhEESt5tupleIJNS8_6TensorESD_SD_EERKSD_lbbbEUlllE1_EE10hipError_tPvRmT2_T3_mT4_P12ihipStream_tbEUlT_E_NS1_11comp_targetILNS1_3genE5ELNS1_11target_archE942ELNS1_3gpuE9ELNS1_3repE0EEENS1_30default_config_static_selectorELNS0_4arch9wavefront6targetE0EEEvT1_
	.p2align	8
	.type	_ZN7rocprim17ROCPRIM_400000_NS6detail17trampoline_kernelINS0_14default_configENS1_35adjacent_difference_config_selectorILb0ElEEZNS1_24adjacent_difference_implIS3_Lb0ELb0EPlS7_ZN2at6native12_GLOBAL__N_124unique_dim_cuda_templateIhEESt5tupleIJNS8_6TensorESD_SD_EERKSD_lbbbEUlllE1_EE10hipError_tPvRmT2_T3_mT4_P12ihipStream_tbEUlT_E_NS1_11comp_targetILNS1_3genE5ELNS1_11target_archE942ELNS1_3gpuE9ELNS1_3repE0EEENS1_30default_config_static_selectorELNS0_4arch9wavefront6targetE0EEEvT1_,@function
_ZN7rocprim17ROCPRIM_400000_NS6detail17trampoline_kernelINS0_14default_configENS1_35adjacent_difference_config_selectorILb0ElEEZNS1_24adjacent_difference_implIS3_Lb0ELb0EPlS7_ZN2at6native12_GLOBAL__N_124unique_dim_cuda_templateIhEESt5tupleIJNS8_6TensorESD_SD_EERKSD_lbbbEUlllE1_EE10hipError_tPvRmT2_T3_mT4_P12ihipStream_tbEUlT_E_NS1_11comp_targetILNS1_3genE5ELNS1_11target_archE942ELNS1_3gpuE9ELNS1_3repE0EEENS1_30default_config_static_selectorELNS0_4arch9wavefront6targetE0EEEvT1_: ; @_ZN7rocprim17ROCPRIM_400000_NS6detail17trampoline_kernelINS0_14default_configENS1_35adjacent_difference_config_selectorILb0ElEEZNS1_24adjacent_difference_implIS3_Lb0ELb0EPlS7_ZN2at6native12_GLOBAL__N_124unique_dim_cuda_templateIhEESt5tupleIJNS8_6TensorESD_SD_EERKSD_lbbbEUlllE1_EE10hipError_tPvRmT2_T3_mT4_P12ihipStream_tbEUlT_E_NS1_11comp_targetILNS1_3genE5ELNS1_11target_archE942ELNS1_3gpuE9ELNS1_3repE0EEENS1_30default_config_static_selectorELNS0_4arch9wavefront6targetE0EEEvT1_
; %bb.0:
	.section	.rodata,"a",@progbits
	.p2align	6, 0x0
	.amdhsa_kernel _ZN7rocprim17ROCPRIM_400000_NS6detail17trampoline_kernelINS0_14default_configENS1_35adjacent_difference_config_selectorILb0ElEEZNS1_24adjacent_difference_implIS3_Lb0ELb0EPlS7_ZN2at6native12_GLOBAL__N_124unique_dim_cuda_templateIhEESt5tupleIJNS8_6TensorESD_SD_EERKSD_lbbbEUlllE1_EE10hipError_tPvRmT2_T3_mT4_P12ihipStream_tbEUlT_E_NS1_11comp_targetILNS1_3genE5ELNS1_11target_archE942ELNS1_3gpuE9ELNS1_3repE0EEENS1_30default_config_static_selectorELNS0_4arch9wavefront6targetE0EEEvT1_
		.amdhsa_group_segment_fixed_size 0
		.amdhsa_private_segment_fixed_size 0
		.amdhsa_kernarg_size 64
		.amdhsa_user_sgpr_count 15
		.amdhsa_user_sgpr_dispatch_ptr 0
		.amdhsa_user_sgpr_queue_ptr 0
		.amdhsa_user_sgpr_kernarg_segment_ptr 1
		.amdhsa_user_sgpr_dispatch_id 0
		.amdhsa_user_sgpr_private_segment_size 0
		.amdhsa_wavefront_size32 1
		.amdhsa_uses_dynamic_stack 0
		.amdhsa_enable_private_segment 0
		.amdhsa_system_sgpr_workgroup_id_x 1
		.amdhsa_system_sgpr_workgroup_id_y 0
		.amdhsa_system_sgpr_workgroup_id_z 0
		.amdhsa_system_sgpr_workgroup_info 0
		.amdhsa_system_vgpr_workitem_id 0
		.amdhsa_next_free_vgpr 1
		.amdhsa_next_free_sgpr 1
		.amdhsa_reserve_vcc 0
		.amdhsa_float_round_mode_32 0
		.amdhsa_float_round_mode_16_64 0
		.amdhsa_float_denorm_mode_32 3
		.amdhsa_float_denorm_mode_16_64 3
		.amdhsa_dx10_clamp 1
		.amdhsa_ieee_mode 1
		.amdhsa_fp16_overflow 0
		.amdhsa_workgroup_processor_mode 1
		.amdhsa_memory_ordered 1
		.amdhsa_forward_progress 0
		.amdhsa_shared_vgpr_count 0
		.amdhsa_exception_fp_ieee_invalid_op 0
		.amdhsa_exception_fp_denorm_src 0
		.amdhsa_exception_fp_ieee_div_zero 0
		.amdhsa_exception_fp_ieee_overflow 0
		.amdhsa_exception_fp_ieee_underflow 0
		.amdhsa_exception_fp_ieee_inexact 0
		.amdhsa_exception_int_div_zero 0
	.end_amdhsa_kernel
	.section	.text._ZN7rocprim17ROCPRIM_400000_NS6detail17trampoline_kernelINS0_14default_configENS1_35adjacent_difference_config_selectorILb0ElEEZNS1_24adjacent_difference_implIS3_Lb0ELb0EPlS7_ZN2at6native12_GLOBAL__N_124unique_dim_cuda_templateIhEESt5tupleIJNS8_6TensorESD_SD_EERKSD_lbbbEUlllE1_EE10hipError_tPvRmT2_T3_mT4_P12ihipStream_tbEUlT_E_NS1_11comp_targetILNS1_3genE5ELNS1_11target_archE942ELNS1_3gpuE9ELNS1_3repE0EEENS1_30default_config_static_selectorELNS0_4arch9wavefront6targetE0EEEvT1_,"axG",@progbits,_ZN7rocprim17ROCPRIM_400000_NS6detail17trampoline_kernelINS0_14default_configENS1_35adjacent_difference_config_selectorILb0ElEEZNS1_24adjacent_difference_implIS3_Lb0ELb0EPlS7_ZN2at6native12_GLOBAL__N_124unique_dim_cuda_templateIhEESt5tupleIJNS8_6TensorESD_SD_EERKSD_lbbbEUlllE1_EE10hipError_tPvRmT2_T3_mT4_P12ihipStream_tbEUlT_E_NS1_11comp_targetILNS1_3genE5ELNS1_11target_archE942ELNS1_3gpuE9ELNS1_3repE0EEENS1_30default_config_static_selectorELNS0_4arch9wavefront6targetE0EEEvT1_,comdat
.Lfunc_end60:
	.size	_ZN7rocprim17ROCPRIM_400000_NS6detail17trampoline_kernelINS0_14default_configENS1_35adjacent_difference_config_selectorILb0ElEEZNS1_24adjacent_difference_implIS3_Lb0ELb0EPlS7_ZN2at6native12_GLOBAL__N_124unique_dim_cuda_templateIhEESt5tupleIJNS8_6TensorESD_SD_EERKSD_lbbbEUlllE1_EE10hipError_tPvRmT2_T3_mT4_P12ihipStream_tbEUlT_E_NS1_11comp_targetILNS1_3genE5ELNS1_11target_archE942ELNS1_3gpuE9ELNS1_3repE0EEENS1_30default_config_static_selectorELNS0_4arch9wavefront6targetE0EEEvT1_, .Lfunc_end60-_ZN7rocprim17ROCPRIM_400000_NS6detail17trampoline_kernelINS0_14default_configENS1_35adjacent_difference_config_selectorILb0ElEEZNS1_24adjacent_difference_implIS3_Lb0ELb0EPlS7_ZN2at6native12_GLOBAL__N_124unique_dim_cuda_templateIhEESt5tupleIJNS8_6TensorESD_SD_EERKSD_lbbbEUlllE1_EE10hipError_tPvRmT2_T3_mT4_P12ihipStream_tbEUlT_E_NS1_11comp_targetILNS1_3genE5ELNS1_11target_archE942ELNS1_3gpuE9ELNS1_3repE0EEENS1_30default_config_static_selectorELNS0_4arch9wavefront6targetE0EEEvT1_
                                        ; -- End function
	.section	.AMDGPU.csdata,"",@progbits
; Kernel info:
; codeLenInByte = 0
; NumSgprs: 0
; NumVgprs: 0
; ScratchSize: 0
; MemoryBound: 0
; FloatMode: 240
; IeeeMode: 1
; LDSByteSize: 0 bytes/workgroup (compile time only)
; SGPRBlocks: 0
; VGPRBlocks: 0
; NumSGPRsForWavesPerEU: 1
; NumVGPRsForWavesPerEU: 1
; Occupancy: 16
; WaveLimiterHint : 0
; COMPUTE_PGM_RSRC2:SCRATCH_EN: 0
; COMPUTE_PGM_RSRC2:USER_SGPR: 15
; COMPUTE_PGM_RSRC2:TRAP_HANDLER: 0
; COMPUTE_PGM_RSRC2:TGID_X_EN: 1
; COMPUTE_PGM_RSRC2:TGID_Y_EN: 0
; COMPUTE_PGM_RSRC2:TGID_Z_EN: 0
; COMPUTE_PGM_RSRC2:TIDIG_COMP_CNT: 0
	.section	.text._ZN7rocprim17ROCPRIM_400000_NS6detail17trampoline_kernelINS0_14default_configENS1_35adjacent_difference_config_selectorILb0ElEEZNS1_24adjacent_difference_implIS3_Lb0ELb0EPlS7_ZN2at6native12_GLOBAL__N_124unique_dim_cuda_templateIhEESt5tupleIJNS8_6TensorESD_SD_EERKSD_lbbbEUlllE1_EE10hipError_tPvRmT2_T3_mT4_P12ihipStream_tbEUlT_E_NS1_11comp_targetILNS1_3genE4ELNS1_11target_archE910ELNS1_3gpuE8ELNS1_3repE0EEENS1_30default_config_static_selectorELNS0_4arch9wavefront6targetE0EEEvT1_,"axG",@progbits,_ZN7rocprim17ROCPRIM_400000_NS6detail17trampoline_kernelINS0_14default_configENS1_35adjacent_difference_config_selectorILb0ElEEZNS1_24adjacent_difference_implIS3_Lb0ELb0EPlS7_ZN2at6native12_GLOBAL__N_124unique_dim_cuda_templateIhEESt5tupleIJNS8_6TensorESD_SD_EERKSD_lbbbEUlllE1_EE10hipError_tPvRmT2_T3_mT4_P12ihipStream_tbEUlT_E_NS1_11comp_targetILNS1_3genE4ELNS1_11target_archE910ELNS1_3gpuE8ELNS1_3repE0EEENS1_30default_config_static_selectorELNS0_4arch9wavefront6targetE0EEEvT1_,comdat
	.globl	_ZN7rocprim17ROCPRIM_400000_NS6detail17trampoline_kernelINS0_14default_configENS1_35adjacent_difference_config_selectorILb0ElEEZNS1_24adjacent_difference_implIS3_Lb0ELb0EPlS7_ZN2at6native12_GLOBAL__N_124unique_dim_cuda_templateIhEESt5tupleIJNS8_6TensorESD_SD_EERKSD_lbbbEUlllE1_EE10hipError_tPvRmT2_T3_mT4_P12ihipStream_tbEUlT_E_NS1_11comp_targetILNS1_3genE4ELNS1_11target_archE910ELNS1_3gpuE8ELNS1_3repE0EEENS1_30default_config_static_selectorELNS0_4arch9wavefront6targetE0EEEvT1_ ; -- Begin function _ZN7rocprim17ROCPRIM_400000_NS6detail17trampoline_kernelINS0_14default_configENS1_35adjacent_difference_config_selectorILb0ElEEZNS1_24adjacent_difference_implIS3_Lb0ELb0EPlS7_ZN2at6native12_GLOBAL__N_124unique_dim_cuda_templateIhEESt5tupleIJNS8_6TensorESD_SD_EERKSD_lbbbEUlllE1_EE10hipError_tPvRmT2_T3_mT4_P12ihipStream_tbEUlT_E_NS1_11comp_targetILNS1_3genE4ELNS1_11target_archE910ELNS1_3gpuE8ELNS1_3repE0EEENS1_30default_config_static_selectorELNS0_4arch9wavefront6targetE0EEEvT1_
	.p2align	8
	.type	_ZN7rocprim17ROCPRIM_400000_NS6detail17trampoline_kernelINS0_14default_configENS1_35adjacent_difference_config_selectorILb0ElEEZNS1_24adjacent_difference_implIS3_Lb0ELb0EPlS7_ZN2at6native12_GLOBAL__N_124unique_dim_cuda_templateIhEESt5tupleIJNS8_6TensorESD_SD_EERKSD_lbbbEUlllE1_EE10hipError_tPvRmT2_T3_mT4_P12ihipStream_tbEUlT_E_NS1_11comp_targetILNS1_3genE4ELNS1_11target_archE910ELNS1_3gpuE8ELNS1_3repE0EEENS1_30default_config_static_selectorELNS0_4arch9wavefront6targetE0EEEvT1_,@function
_ZN7rocprim17ROCPRIM_400000_NS6detail17trampoline_kernelINS0_14default_configENS1_35adjacent_difference_config_selectorILb0ElEEZNS1_24adjacent_difference_implIS3_Lb0ELb0EPlS7_ZN2at6native12_GLOBAL__N_124unique_dim_cuda_templateIhEESt5tupleIJNS8_6TensorESD_SD_EERKSD_lbbbEUlllE1_EE10hipError_tPvRmT2_T3_mT4_P12ihipStream_tbEUlT_E_NS1_11comp_targetILNS1_3genE4ELNS1_11target_archE910ELNS1_3gpuE8ELNS1_3repE0EEENS1_30default_config_static_selectorELNS0_4arch9wavefront6targetE0EEEvT1_: ; @_ZN7rocprim17ROCPRIM_400000_NS6detail17trampoline_kernelINS0_14default_configENS1_35adjacent_difference_config_selectorILb0ElEEZNS1_24adjacent_difference_implIS3_Lb0ELb0EPlS7_ZN2at6native12_GLOBAL__N_124unique_dim_cuda_templateIhEESt5tupleIJNS8_6TensorESD_SD_EERKSD_lbbbEUlllE1_EE10hipError_tPvRmT2_T3_mT4_P12ihipStream_tbEUlT_E_NS1_11comp_targetILNS1_3genE4ELNS1_11target_archE910ELNS1_3gpuE8ELNS1_3repE0EEENS1_30default_config_static_selectorELNS0_4arch9wavefront6targetE0EEEvT1_
; %bb.0:
	.section	.rodata,"a",@progbits
	.p2align	6, 0x0
	.amdhsa_kernel _ZN7rocprim17ROCPRIM_400000_NS6detail17trampoline_kernelINS0_14default_configENS1_35adjacent_difference_config_selectorILb0ElEEZNS1_24adjacent_difference_implIS3_Lb0ELb0EPlS7_ZN2at6native12_GLOBAL__N_124unique_dim_cuda_templateIhEESt5tupleIJNS8_6TensorESD_SD_EERKSD_lbbbEUlllE1_EE10hipError_tPvRmT2_T3_mT4_P12ihipStream_tbEUlT_E_NS1_11comp_targetILNS1_3genE4ELNS1_11target_archE910ELNS1_3gpuE8ELNS1_3repE0EEENS1_30default_config_static_selectorELNS0_4arch9wavefront6targetE0EEEvT1_
		.amdhsa_group_segment_fixed_size 0
		.amdhsa_private_segment_fixed_size 0
		.amdhsa_kernarg_size 64
		.amdhsa_user_sgpr_count 15
		.amdhsa_user_sgpr_dispatch_ptr 0
		.amdhsa_user_sgpr_queue_ptr 0
		.amdhsa_user_sgpr_kernarg_segment_ptr 1
		.amdhsa_user_sgpr_dispatch_id 0
		.amdhsa_user_sgpr_private_segment_size 0
		.amdhsa_wavefront_size32 1
		.amdhsa_uses_dynamic_stack 0
		.amdhsa_enable_private_segment 0
		.amdhsa_system_sgpr_workgroup_id_x 1
		.amdhsa_system_sgpr_workgroup_id_y 0
		.amdhsa_system_sgpr_workgroup_id_z 0
		.amdhsa_system_sgpr_workgroup_info 0
		.amdhsa_system_vgpr_workitem_id 0
		.amdhsa_next_free_vgpr 1
		.amdhsa_next_free_sgpr 1
		.amdhsa_reserve_vcc 0
		.amdhsa_float_round_mode_32 0
		.amdhsa_float_round_mode_16_64 0
		.amdhsa_float_denorm_mode_32 3
		.amdhsa_float_denorm_mode_16_64 3
		.amdhsa_dx10_clamp 1
		.amdhsa_ieee_mode 1
		.amdhsa_fp16_overflow 0
		.amdhsa_workgroup_processor_mode 1
		.amdhsa_memory_ordered 1
		.amdhsa_forward_progress 0
		.amdhsa_shared_vgpr_count 0
		.amdhsa_exception_fp_ieee_invalid_op 0
		.amdhsa_exception_fp_denorm_src 0
		.amdhsa_exception_fp_ieee_div_zero 0
		.amdhsa_exception_fp_ieee_overflow 0
		.amdhsa_exception_fp_ieee_underflow 0
		.amdhsa_exception_fp_ieee_inexact 0
		.amdhsa_exception_int_div_zero 0
	.end_amdhsa_kernel
	.section	.text._ZN7rocprim17ROCPRIM_400000_NS6detail17trampoline_kernelINS0_14default_configENS1_35adjacent_difference_config_selectorILb0ElEEZNS1_24adjacent_difference_implIS3_Lb0ELb0EPlS7_ZN2at6native12_GLOBAL__N_124unique_dim_cuda_templateIhEESt5tupleIJNS8_6TensorESD_SD_EERKSD_lbbbEUlllE1_EE10hipError_tPvRmT2_T3_mT4_P12ihipStream_tbEUlT_E_NS1_11comp_targetILNS1_3genE4ELNS1_11target_archE910ELNS1_3gpuE8ELNS1_3repE0EEENS1_30default_config_static_selectorELNS0_4arch9wavefront6targetE0EEEvT1_,"axG",@progbits,_ZN7rocprim17ROCPRIM_400000_NS6detail17trampoline_kernelINS0_14default_configENS1_35adjacent_difference_config_selectorILb0ElEEZNS1_24adjacent_difference_implIS3_Lb0ELb0EPlS7_ZN2at6native12_GLOBAL__N_124unique_dim_cuda_templateIhEESt5tupleIJNS8_6TensorESD_SD_EERKSD_lbbbEUlllE1_EE10hipError_tPvRmT2_T3_mT4_P12ihipStream_tbEUlT_E_NS1_11comp_targetILNS1_3genE4ELNS1_11target_archE910ELNS1_3gpuE8ELNS1_3repE0EEENS1_30default_config_static_selectorELNS0_4arch9wavefront6targetE0EEEvT1_,comdat
.Lfunc_end61:
	.size	_ZN7rocprim17ROCPRIM_400000_NS6detail17trampoline_kernelINS0_14default_configENS1_35adjacent_difference_config_selectorILb0ElEEZNS1_24adjacent_difference_implIS3_Lb0ELb0EPlS7_ZN2at6native12_GLOBAL__N_124unique_dim_cuda_templateIhEESt5tupleIJNS8_6TensorESD_SD_EERKSD_lbbbEUlllE1_EE10hipError_tPvRmT2_T3_mT4_P12ihipStream_tbEUlT_E_NS1_11comp_targetILNS1_3genE4ELNS1_11target_archE910ELNS1_3gpuE8ELNS1_3repE0EEENS1_30default_config_static_selectorELNS0_4arch9wavefront6targetE0EEEvT1_, .Lfunc_end61-_ZN7rocprim17ROCPRIM_400000_NS6detail17trampoline_kernelINS0_14default_configENS1_35adjacent_difference_config_selectorILb0ElEEZNS1_24adjacent_difference_implIS3_Lb0ELb0EPlS7_ZN2at6native12_GLOBAL__N_124unique_dim_cuda_templateIhEESt5tupleIJNS8_6TensorESD_SD_EERKSD_lbbbEUlllE1_EE10hipError_tPvRmT2_T3_mT4_P12ihipStream_tbEUlT_E_NS1_11comp_targetILNS1_3genE4ELNS1_11target_archE910ELNS1_3gpuE8ELNS1_3repE0EEENS1_30default_config_static_selectorELNS0_4arch9wavefront6targetE0EEEvT1_
                                        ; -- End function
	.section	.AMDGPU.csdata,"",@progbits
; Kernel info:
; codeLenInByte = 0
; NumSgprs: 0
; NumVgprs: 0
; ScratchSize: 0
; MemoryBound: 0
; FloatMode: 240
; IeeeMode: 1
; LDSByteSize: 0 bytes/workgroup (compile time only)
; SGPRBlocks: 0
; VGPRBlocks: 0
; NumSGPRsForWavesPerEU: 1
; NumVGPRsForWavesPerEU: 1
; Occupancy: 16
; WaveLimiterHint : 0
; COMPUTE_PGM_RSRC2:SCRATCH_EN: 0
; COMPUTE_PGM_RSRC2:USER_SGPR: 15
; COMPUTE_PGM_RSRC2:TRAP_HANDLER: 0
; COMPUTE_PGM_RSRC2:TGID_X_EN: 1
; COMPUTE_PGM_RSRC2:TGID_Y_EN: 0
; COMPUTE_PGM_RSRC2:TGID_Z_EN: 0
; COMPUTE_PGM_RSRC2:TIDIG_COMP_CNT: 0
	.section	.text._ZN7rocprim17ROCPRIM_400000_NS6detail17trampoline_kernelINS0_14default_configENS1_35adjacent_difference_config_selectorILb0ElEEZNS1_24adjacent_difference_implIS3_Lb0ELb0EPlS7_ZN2at6native12_GLOBAL__N_124unique_dim_cuda_templateIhEESt5tupleIJNS8_6TensorESD_SD_EERKSD_lbbbEUlllE1_EE10hipError_tPvRmT2_T3_mT4_P12ihipStream_tbEUlT_E_NS1_11comp_targetILNS1_3genE3ELNS1_11target_archE908ELNS1_3gpuE7ELNS1_3repE0EEENS1_30default_config_static_selectorELNS0_4arch9wavefront6targetE0EEEvT1_,"axG",@progbits,_ZN7rocprim17ROCPRIM_400000_NS6detail17trampoline_kernelINS0_14default_configENS1_35adjacent_difference_config_selectorILb0ElEEZNS1_24adjacent_difference_implIS3_Lb0ELb0EPlS7_ZN2at6native12_GLOBAL__N_124unique_dim_cuda_templateIhEESt5tupleIJNS8_6TensorESD_SD_EERKSD_lbbbEUlllE1_EE10hipError_tPvRmT2_T3_mT4_P12ihipStream_tbEUlT_E_NS1_11comp_targetILNS1_3genE3ELNS1_11target_archE908ELNS1_3gpuE7ELNS1_3repE0EEENS1_30default_config_static_selectorELNS0_4arch9wavefront6targetE0EEEvT1_,comdat
	.globl	_ZN7rocprim17ROCPRIM_400000_NS6detail17trampoline_kernelINS0_14default_configENS1_35adjacent_difference_config_selectorILb0ElEEZNS1_24adjacent_difference_implIS3_Lb0ELb0EPlS7_ZN2at6native12_GLOBAL__N_124unique_dim_cuda_templateIhEESt5tupleIJNS8_6TensorESD_SD_EERKSD_lbbbEUlllE1_EE10hipError_tPvRmT2_T3_mT4_P12ihipStream_tbEUlT_E_NS1_11comp_targetILNS1_3genE3ELNS1_11target_archE908ELNS1_3gpuE7ELNS1_3repE0EEENS1_30default_config_static_selectorELNS0_4arch9wavefront6targetE0EEEvT1_ ; -- Begin function _ZN7rocprim17ROCPRIM_400000_NS6detail17trampoline_kernelINS0_14default_configENS1_35adjacent_difference_config_selectorILb0ElEEZNS1_24adjacent_difference_implIS3_Lb0ELb0EPlS7_ZN2at6native12_GLOBAL__N_124unique_dim_cuda_templateIhEESt5tupleIJNS8_6TensorESD_SD_EERKSD_lbbbEUlllE1_EE10hipError_tPvRmT2_T3_mT4_P12ihipStream_tbEUlT_E_NS1_11comp_targetILNS1_3genE3ELNS1_11target_archE908ELNS1_3gpuE7ELNS1_3repE0EEENS1_30default_config_static_selectorELNS0_4arch9wavefront6targetE0EEEvT1_
	.p2align	8
	.type	_ZN7rocprim17ROCPRIM_400000_NS6detail17trampoline_kernelINS0_14default_configENS1_35adjacent_difference_config_selectorILb0ElEEZNS1_24adjacent_difference_implIS3_Lb0ELb0EPlS7_ZN2at6native12_GLOBAL__N_124unique_dim_cuda_templateIhEESt5tupleIJNS8_6TensorESD_SD_EERKSD_lbbbEUlllE1_EE10hipError_tPvRmT2_T3_mT4_P12ihipStream_tbEUlT_E_NS1_11comp_targetILNS1_3genE3ELNS1_11target_archE908ELNS1_3gpuE7ELNS1_3repE0EEENS1_30default_config_static_selectorELNS0_4arch9wavefront6targetE0EEEvT1_,@function
_ZN7rocprim17ROCPRIM_400000_NS6detail17trampoline_kernelINS0_14default_configENS1_35adjacent_difference_config_selectorILb0ElEEZNS1_24adjacent_difference_implIS3_Lb0ELb0EPlS7_ZN2at6native12_GLOBAL__N_124unique_dim_cuda_templateIhEESt5tupleIJNS8_6TensorESD_SD_EERKSD_lbbbEUlllE1_EE10hipError_tPvRmT2_T3_mT4_P12ihipStream_tbEUlT_E_NS1_11comp_targetILNS1_3genE3ELNS1_11target_archE908ELNS1_3gpuE7ELNS1_3repE0EEENS1_30default_config_static_selectorELNS0_4arch9wavefront6targetE0EEEvT1_: ; @_ZN7rocprim17ROCPRIM_400000_NS6detail17trampoline_kernelINS0_14default_configENS1_35adjacent_difference_config_selectorILb0ElEEZNS1_24adjacent_difference_implIS3_Lb0ELb0EPlS7_ZN2at6native12_GLOBAL__N_124unique_dim_cuda_templateIhEESt5tupleIJNS8_6TensorESD_SD_EERKSD_lbbbEUlllE1_EE10hipError_tPvRmT2_T3_mT4_P12ihipStream_tbEUlT_E_NS1_11comp_targetILNS1_3genE3ELNS1_11target_archE908ELNS1_3gpuE7ELNS1_3repE0EEENS1_30default_config_static_selectorELNS0_4arch9wavefront6targetE0EEEvT1_
; %bb.0:
	.section	.rodata,"a",@progbits
	.p2align	6, 0x0
	.amdhsa_kernel _ZN7rocprim17ROCPRIM_400000_NS6detail17trampoline_kernelINS0_14default_configENS1_35adjacent_difference_config_selectorILb0ElEEZNS1_24adjacent_difference_implIS3_Lb0ELb0EPlS7_ZN2at6native12_GLOBAL__N_124unique_dim_cuda_templateIhEESt5tupleIJNS8_6TensorESD_SD_EERKSD_lbbbEUlllE1_EE10hipError_tPvRmT2_T3_mT4_P12ihipStream_tbEUlT_E_NS1_11comp_targetILNS1_3genE3ELNS1_11target_archE908ELNS1_3gpuE7ELNS1_3repE0EEENS1_30default_config_static_selectorELNS0_4arch9wavefront6targetE0EEEvT1_
		.amdhsa_group_segment_fixed_size 0
		.amdhsa_private_segment_fixed_size 0
		.amdhsa_kernarg_size 64
		.amdhsa_user_sgpr_count 15
		.amdhsa_user_sgpr_dispatch_ptr 0
		.amdhsa_user_sgpr_queue_ptr 0
		.amdhsa_user_sgpr_kernarg_segment_ptr 1
		.amdhsa_user_sgpr_dispatch_id 0
		.amdhsa_user_sgpr_private_segment_size 0
		.amdhsa_wavefront_size32 1
		.amdhsa_uses_dynamic_stack 0
		.amdhsa_enable_private_segment 0
		.amdhsa_system_sgpr_workgroup_id_x 1
		.amdhsa_system_sgpr_workgroup_id_y 0
		.amdhsa_system_sgpr_workgroup_id_z 0
		.amdhsa_system_sgpr_workgroup_info 0
		.amdhsa_system_vgpr_workitem_id 0
		.amdhsa_next_free_vgpr 1
		.amdhsa_next_free_sgpr 1
		.amdhsa_reserve_vcc 0
		.amdhsa_float_round_mode_32 0
		.amdhsa_float_round_mode_16_64 0
		.amdhsa_float_denorm_mode_32 3
		.amdhsa_float_denorm_mode_16_64 3
		.amdhsa_dx10_clamp 1
		.amdhsa_ieee_mode 1
		.amdhsa_fp16_overflow 0
		.amdhsa_workgroup_processor_mode 1
		.amdhsa_memory_ordered 1
		.amdhsa_forward_progress 0
		.amdhsa_shared_vgpr_count 0
		.amdhsa_exception_fp_ieee_invalid_op 0
		.amdhsa_exception_fp_denorm_src 0
		.amdhsa_exception_fp_ieee_div_zero 0
		.amdhsa_exception_fp_ieee_overflow 0
		.amdhsa_exception_fp_ieee_underflow 0
		.amdhsa_exception_fp_ieee_inexact 0
		.amdhsa_exception_int_div_zero 0
	.end_amdhsa_kernel
	.section	.text._ZN7rocprim17ROCPRIM_400000_NS6detail17trampoline_kernelINS0_14default_configENS1_35adjacent_difference_config_selectorILb0ElEEZNS1_24adjacent_difference_implIS3_Lb0ELb0EPlS7_ZN2at6native12_GLOBAL__N_124unique_dim_cuda_templateIhEESt5tupleIJNS8_6TensorESD_SD_EERKSD_lbbbEUlllE1_EE10hipError_tPvRmT2_T3_mT4_P12ihipStream_tbEUlT_E_NS1_11comp_targetILNS1_3genE3ELNS1_11target_archE908ELNS1_3gpuE7ELNS1_3repE0EEENS1_30default_config_static_selectorELNS0_4arch9wavefront6targetE0EEEvT1_,"axG",@progbits,_ZN7rocprim17ROCPRIM_400000_NS6detail17trampoline_kernelINS0_14default_configENS1_35adjacent_difference_config_selectorILb0ElEEZNS1_24adjacent_difference_implIS3_Lb0ELb0EPlS7_ZN2at6native12_GLOBAL__N_124unique_dim_cuda_templateIhEESt5tupleIJNS8_6TensorESD_SD_EERKSD_lbbbEUlllE1_EE10hipError_tPvRmT2_T3_mT4_P12ihipStream_tbEUlT_E_NS1_11comp_targetILNS1_3genE3ELNS1_11target_archE908ELNS1_3gpuE7ELNS1_3repE0EEENS1_30default_config_static_selectorELNS0_4arch9wavefront6targetE0EEEvT1_,comdat
.Lfunc_end62:
	.size	_ZN7rocprim17ROCPRIM_400000_NS6detail17trampoline_kernelINS0_14default_configENS1_35adjacent_difference_config_selectorILb0ElEEZNS1_24adjacent_difference_implIS3_Lb0ELb0EPlS7_ZN2at6native12_GLOBAL__N_124unique_dim_cuda_templateIhEESt5tupleIJNS8_6TensorESD_SD_EERKSD_lbbbEUlllE1_EE10hipError_tPvRmT2_T3_mT4_P12ihipStream_tbEUlT_E_NS1_11comp_targetILNS1_3genE3ELNS1_11target_archE908ELNS1_3gpuE7ELNS1_3repE0EEENS1_30default_config_static_selectorELNS0_4arch9wavefront6targetE0EEEvT1_, .Lfunc_end62-_ZN7rocprim17ROCPRIM_400000_NS6detail17trampoline_kernelINS0_14default_configENS1_35adjacent_difference_config_selectorILb0ElEEZNS1_24adjacent_difference_implIS3_Lb0ELb0EPlS7_ZN2at6native12_GLOBAL__N_124unique_dim_cuda_templateIhEESt5tupleIJNS8_6TensorESD_SD_EERKSD_lbbbEUlllE1_EE10hipError_tPvRmT2_T3_mT4_P12ihipStream_tbEUlT_E_NS1_11comp_targetILNS1_3genE3ELNS1_11target_archE908ELNS1_3gpuE7ELNS1_3repE0EEENS1_30default_config_static_selectorELNS0_4arch9wavefront6targetE0EEEvT1_
                                        ; -- End function
	.section	.AMDGPU.csdata,"",@progbits
; Kernel info:
; codeLenInByte = 0
; NumSgprs: 0
; NumVgprs: 0
; ScratchSize: 0
; MemoryBound: 0
; FloatMode: 240
; IeeeMode: 1
; LDSByteSize: 0 bytes/workgroup (compile time only)
; SGPRBlocks: 0
; VGPRBlocks: 0
; NumSGPRsForWavesPerEU: 1
; NumVGPRsForWavesPerEU: 1
; Occupancy: 16
; WaveLimiterHint : 0
; COMPUTE_PGM_RSRC2:SCRATCH_EN: 0
; COMPUTE_PGM_RSRC2:USER_SGPR: 15
; COMPUTE_PGM_RSRC2:TRAP_HANDLER: 0
; COMPUTE_PGM_RSRC2:TGID_X_EN: 1
; COMPUTE_PGM_RSRC2:TGID_Y_EN: 0
; COMPUTE_PGM_RSRC2:TGID_Z_EN: 0
; COMPUTE_PGM_RSRC2:TIDIG_COMP_CNT: 0
	.section	.text._ZN7rocprim17ROCPRIM_400000_NS6detail17trampoline_kernelINS0_14default_configENS1_35adjacent_difference_config_selectorILb0ElEEZNS1_24adjacent_difference_implIS3_Lb0ELb0EPlS7_ZN2at6native12_GLOBAL__N_124unique_dim_cuda_templateIhEESt5tupleIJNS8_6TensorESD_SD_EERKSD_lbbbEUlllE1_EE10hipError_tPvRmT2_T3_mT4_P12ihipStream_tbEUlT_E_NS1_11comp_targetILNS1_3genE2ELNS1_11target_archE906ELNS1_3gpuE6ELNS1_3repE0EEENS1_30default_config_static_selectorELNS0_4arch9wavefront6targetE0EEEvT1_,"axG",@progbits,_ZN7rocprim17ROCPRIM_400000_NS6detail17trampoline_kernelINS0_14default_configENS1_35adjacent_difference_config_selectorILb0ElEEZNS1_24adjacent_difference_implIS3_Lb0ELb0EPlS7_ZN2at6native12_GLOBAL__N_124unique_dim_cuda_templateIhEESt5tupleIJNS8_6TensorESD_SD_EERKSD_lbbbEUlllE1_EE10hipError_tPvRmT2_T3_mT4_P12ihipStream_tbEUlT_E_NS1_11comp_targetILNS1_3genE2ELNS1_11target_archE906ELNS1_3gpuE6ELNS1_3repE0EEENS1_30default_config_static_selectorELNS0_4arch9wavefront6targetE0EEEvT1_,comdat
	.globl	_ZN7rocprim17ROCPRIM_400000_NS6detail17trampoline_kernelINS0_14default_configENS1_35adjacent_difference_config_selectorILb0ElEEZNS1_24adjacent_difference_implIS3_Lb0ELb0EPlS7_ZN2at6native12_GLOBAL__N_124unique_dim_cuda_templateIhEESt5tupleIJNS8_6TensorESD_SD_EERKSD_lbbbEUlllE1_EE10hipError_tPvRmT2_T3_mT4_P12ihipStream_tbEUlT_E_NS1_11comp_targetILNS1_3genE2ELNS1_11target_archE906ELNS1_3gpuE6ELNS1_3repE0EEENS1_30default_config_static_selectorELNS0_4arch9wavefront6targetE0EEEvT1_ ; -- Begin function _ZN7rocprim17ROCPRIM_400000_NS6detail17trampoline_kernelINS0_14default_configENS1_35adjacent_difference_config_selectorILb0ElEEZNS1_24adjacent_difference_implIS3_Lb0ELb0EPlS7_ZN2at6native12_GLOBAL__N_124unique_dim_cuda_templateIhEESt5tupleIJNS8_6TensorESD_SD_EERKSD_lbbbEUlllE1_EE10hipError_tPvRmT2_T3_mT4_P12ihipStream_tbEUlT_E_NS1_11comp_targetILNS1_3genE2ELNS1_11target_archE906ELNS1_3gpuE6ELNS1_3repE0EEENS1_30default_config_static_selectorELNS0_4arch9wavefront6targetE0EEEvT1_
	.p2align	8
	.type	_ZN7rocprim17ROCPRIM_400000_NS6detail17trampoline_kernelINS0_14default_configENS1_35adjacent_difference_config_selectorILb0ElEEZNS1_24adjacent_difference_implIS3_Lb0ELb0EPlS7_ZN2at6native12_GLOBAL__N_124unique_dim_cuda_templateIhEESt5tupleIJNS8_6TensorESD_SD_EERKSD_lbbbEUlllE1_EE10hipError_tPvRmT2_T3_mT4_P12ihipStream_tbEUlT_E_NS1_11comp_targetILNS1_3genE2ELNS1_11target_archE906ELNS1_3gpuE6ELNS1_3repE0EEENS1_30default_config_static_selectorELNS0_4arch9wavefront6targetE0EEEvT1_,@function
_ZN7rocprim17ROCPRIM_400000_NS6detail17trampoline_kernelINS0_14default_configENS1_35adjacent_difference_config_selectorILb0ElEEZNS1_24adjacent_difference_implIS3_Lb0ELb0EPlS7_ZN2at6native12_GLOBAL__N_124unique_dim_cuda_templateIhEESt5tupleIJNS8_6TensorESD_SD_EERKSD_lbbbEUlllE1_EE10hipError_tPvRmT2_T3_mT4_P12ihipStream_tbEUlT_E_NS1_11comp_targetILNS1_3genE2ELNS1_11target_archE906ELNS1_3gpuE6ELNS1_3repE0EEENS1_30default_config_static_selectorELNS0_4arch9wavefront6targetE0EEEvT1_: ; @_ZN7rocprim17ROCPRIM_400000_NS6detail17trampoline_kernelINS0_14default_configENS1_35adjacent_difference_config_selectorILb0ElEEZNS1_24adjacent_difference_implIS3_Lb0ELb0EPlS7_ZN2at6native12_GLOBAL__N_124unique_dim_cuda_templateIhEESt5tupleIJNS8_6TensorESD_SD_EERKSD_lbbbEUlllE1_EE10hipError_tPvRmT2_T3_mT4_P12ihipStream_tbEUlT_E_NS1_11comp_targetILNS1_3genE2ELNS1_11target_archE906ELNS1_3gpuE6ELNS1_3repE0EEENS1_30default_config_static_selectorELNS0_4arch9wavefront6targetE0EEEvT1_
; %bb.0:
	.section	.rodata,"a",@progbits
	.p2align	6, 0x0
	.amdhsa_kernel _ZN7rocprim17ROCPRIM_400000_NS6detail17trampoline_kernelINS0_14default_configENS1_35adjacent_difference_config_selectorILb0ElEEZNS1_24adjacent_difference_implIS3_Lb0ELb0EPlS7_ZN2at6native12_GLOBAL__N_124unique_dim_cuda_templateIhEESt5tupleIJNS8_6TensorESD_SD_EERKSD_lbbbEUlllE1_EE10hipError_tPvRmT2_T3_mT4_P12ihipStream_tbEUlT_E_NS1_11comp_targetILNS1_3genE2ELNS1_11target_archE906ELNS1_3gpuE6ELNS1_3repE0EEENS1_30default_config_static_selectorELNS0_4arch9wavefront6targetE0EEEvT1_
		.amdhsa_group_segment_fixed_size 0
		.amdhsa_private_segment_fixed_size 0
		.amdhsa_kernarg_size 64
		.amdhsa_user_sgpr_count 15
		.amdhsa_user_sgpr_dispatch_ptr 0
		.amdhsa_user_sgpr_queue_ptr 0
		.amdhsa_user_sgpr_kernarg_segment_ptr 1
		.amdhsa_user_sgpr_dispatch_id 0
		.amdhsa_user_sgpr_private_segment_size 0
		.amdhsa_wavefront_size32 1
		.amdhsa_uses_dynamic_stack 0
		.amdhsa_enable_private_segment 0
		.amdhsa_system_sgpr_workgroup_id_x 1
		.amdhsa_system_sgpr_workgroup_id_y 0
		.amdhsa_system_sgpr_workgroup_id_z 0
		.amdhsa_system_sgpr_workgroup_info 0
		.amdhsa_system_vgpr_workitem_id 0
		.amdhsa_next_free_vgpr 1
		.amdhsa_next_free_sgpr 1
		.amdhsa_reserve_vcc 0
		.amdhsa_float_round_mode_32 0
		.amdhsa_float_round_mode_16_64 0
		.amdhsa_float_denorm_mode_32 3
		.amdhsa_float_denorm_mode_16_64 3
		.amdhsa_dx10_clamp 1
		.amdhsa_ieee_mode 1
		.amdhsa_fp16_overflow 0
		.amdhsa_workgroup_processor_mode 1
		.amdhsa_memory_ordered 1
		.amdhsa_forward_progress 0
		.amdhsa_shared_vgpr_count 0
		.amdhsa_exception_fp_ieee_invalid_op 0
		.amdhsa_exception_fp_denorm_src 0
		.amdhsa_exception_fp_ieee_div_zero 0
		.amdhsa_exception_fp_ieee_overflow 0
		.amdhsa_exception_fp_ieee_underflow 0
		.amdhsa_exception_fp_ieee_inexact 0
		.amdhsa_exception_int_div_zero 0
	.end_amdhsa_kernel
	.section	.text._ZN7rocprim17ROCPRIM_400000_NS6detail17trampoline_kernelINS0_14default_configENS1_35adjacent_difference_config_selectorILb0ElEEZNS1_24adjacent_difference_implIS3_Lb0ELb0EPlS7_ZN2at6native12_GLOBAL__N_124unique_dim_cuda_templateIhEESt5tupleIJNS8_6TensorESD_SD_EERKSD_lbbbEUlllE1_EE10hipError_tPvRmT2_T3_mT4_P12ihipStream_tbEUlT_E_NS1_11comp_targetILNS1_3genE2ELNS1_11target_archE906ELNS1_3gpuE6ELNS1_3repE0EEENS1_30default_config_static_selectorELNS0_4arch9wavefront6targetE0EEEvT1_,"axG",@progbits,_ZN7rocprim17ROCPRIM_400000_NS6detail17trampoline_kernelINS0_14default_configENS1_35adjacent_difference_config_selectorILb0ElEEZNS1_24adjacent_difference_implIS3_Lb0ELb0EPlS7_ZN2at6native12_GLOBAL__N_124unique_dim_cuda_templateIhEESt5tupleIJNS8_6TensorESD_SD_EERKSD_lbbbEUlllE1_EE10hipError_tPvRmT2_T3_mT4_P12ihipStream_tbEUlT_E_NS1_11comp_targetILNS1_3genE2ELNS1_11target_archE906ELNS1_3gpuE6ELNS1_3repE0EEENS1_30default_config_static_selectorELNS0_4arch9wavefront6targetE0EEEvT1_,comdat
.Lfunc_end63:
	.size	_ZN7rocprim17ROCPRIM_400000_NS6detail17trampoline_kernelINS0_14default_configENS1_35adjacent_difference_config_selectorILb0ElEEZNS1_24adjacent_difference_implIS3_Lb0ELb0EPlS7_ZN2at6native12_GLOBAL__N_124unique_dim_cuda_templateIhEESt5tupleIJNS8_6TensorESD_SD_EERKSD_lbbbEUlllE1_EE10hipError_tPvRmT2_T3_mT4_P12ihipStream_tbEUlT_E_NS1_11comp_targetILNS1_3genE2ELNS1_11target_archE906ELNS1_3gpuE6ELNS1_3repE0EEENS1_30default_config_static_selectorELNS0_4arch9wavefront6targetE0EEEvT1_, .Lfunc_end63-_ZN7rocprim17ROCPRIM_400000_NS6detail17trampoline_kernelINS0_14default_configENS1_35adjacent_difference_config_selectorILb0ElEEZNS1_24adjacent_difference_implIS3_Lb0ELb0EPlS7_ZN2at6native12_GLOBAL__N_124unique_dim_cuda_templateIhEESt5tupleIJNS8_6TensorESD_SD_EERKSD_lbbbEUlllE1_EE10hipError_tPvRmT2_T3_mT4_P12ihipStream_tbEUlT_E_NS1_11comp_targetILNS1_3genE2ELNS1_11target_archE906ELNS1_3gpuE6ELNS1_3repE0EEENS1_30default_config_static_selectorELNS0_4arch9wavefront6targetE0EEEvT1_
                                        ; -- End function
	.section	.AMDGPU.csdata,"",@progbits
; Kernel info:
; codeLenInByte = 0
; NumSgprs: 0
; NumVgprs: 0
; ScratchSize: 0
; MemoryBound: 0
; FloatMode: 240
; IeeeMode: 1
; LDSByteSize: 0 bytes/workgroup (compile time only)
; SGPRBlocks: 0
; VGPRBlocks: 0
; NumSGPRsForWavesPerEU: 1
; NumVGPRsForWavesPerEU: 1
; Occupancy: 16
; WaveLimiterHint : 0
; COMPUTE_PGM_RSRC2:SCRATCH_EN: 0
; COMPUTE_PGM_RSRC2:USER_SGPR: 15
; COMPUTE_PGM_RSRC2:TRAP_HANDLER: 0
; COMPUTE_PGM_RSRC2:TGID_X_EN: 1
; COMPUTE_PGM_RSRC2:TGID_Y_EN: 0
; COMPUTE_PGM_RSRC2:TGID_Z_EN: 0
; COMPUTE_PGM_RSRC2:TIDIG_COMP_CNT: 0
	.section	.text._ZN7rocprim17ROCPRIM_400000_NS6detail17trampoline_kernelINS0_14default_configENS1_35adjacent_difference_config_selectorILb0ElEEZNS1_24adjacent_difference_implIS3_Lb0ELb0EPlS7_ZN2at6native12_GLOBAL__N_124unique_dim_cuda_templateIhEESt5tupleIJNS8_6TensorESD_SD_EERKSD_lbbbEUlllE1_EE10hipError_tPvRmT2_T3_mT4_P12ihipStream_tbEUlT_E_NS1_11comp_targetILNS1_3genE9ELNS1_11target_archE1100ELNS1_3gpuE3ELNS1_3repE0EEENS1_30default_config_static_selectorELNS0_4arch9wavefront6targetE0EEEvT1_,"axG",@progbits,_ZN7rocprim17ROCPRIM_400000_NS6detail17trampoline_kernelINS0_14default_configENS1_35adjacent_difference_config_selectorILb0ElEEZNS1_24adjacent_difference_implIS3_Lb0ELb0EPlS7_ZN2at6native12_GLOBAL__N_124unique_dim_cuda_templateIhEESt5tupleIJNS8_6TensorESD_SD_EERKSD_lbbbEUlllE1_EE10hipError_tPvRmT2_T3_mT4_P12ihipStream_tbEUlT_E_NS1_11comp_targetILNS1_3genE9ELNS1_11target_archE1100ELNS1_3gpuE3ELNS1_3repE0EEENS1_30default_config_static_selectorELNS0_4arch9wavefront6targetE0EEEvT1_,comdat
	.globl	_ZN7rocprim17ROCPRIM_400000_NS6detail17trampoline_kernelINS0_14default_configENS1_35adjacent_difference_config_selectorILb0ElEEZNS1_24adjacent_difference_implIS3_Lb0ELb0EPlS7_ZN2at6native12_GLOBAL__N_124unique_dim_cuda_templateIhEESt5tupleIJNS8_6TensorESD_SD_EERKSD_lbbbEUlllE1_EE10hipError_tPvRmT2_T3_mT4_P12ihipStream_tbEUlT_E_NS1_11comp_targetILNS1_3genE9ELNS1_11target_archE1100ELNS1_3gpuE3ELNS1_3repE0EEENS1_30default_config_static_selectorELNS0_4arch9wavefront6targetE0EEEvT1_ ; -- Begin function _ZN7rocprim17ROCPRIM_400000_NS6detail17trampoline_kernelINS0_14default_configENS1_35adjacent_difference_config_selectorILb0ElEEZNS1_24adjacent_difference_implIS3_Lb0ELb0EPlS7_ZN2at6native12_GLOBAL__N_124unique_dim_cuda_templateIhEESt5tupleIJNS8_6TensorESD_SD_EERKSD_lbbbEUlllE1_EE10hipError_tPvRmT2_T3_mT4_P12ihipStream_tbEUlT_E_NS1_11comp_targetILNS1_3genE9ELNS1_11target_archE1100ELNS1_3gpuE3ELNS1_3repE0EEENS1_30default_config_static_selectorELNS0_4arch9wavefront6targetE0EEEvT1_
	.p2align	8
	.type	_ZN7rocprim17ROCPRIM_400000_NS6detail17trampoline_kernelINS0_14default_configENS1_35adjacent_difference_config_selectorILb0ElEEZNS1_24adjacent_difference_implIS3_Lb0ELb0EPlS7_ZN2at6native12_GLOBAL__N_124unique_dim_cuda_templateIhEESt5tupleIJNS8_6TensorESD_SD_EERKSD_lbbbEUlllE1_EE10hipError_tPvRmT2_T3_mT4_P12ihipStream_tbEUlT_E_NS1_11comp_targetILNS1_3genE9ELNS1_11target_archE1100ELNS1_3gpuE3ELNS1_3repE0EEENS1_30default_config_static_selectorELNS0_4arch9wavefront6targetE0EEEvT1_,@function
_ZN7rocprim17ROCPRIM_400000_NS6detail17trampoline_kernelINS0_14default_configENS1_35adjacent_difference_config_selectorILb0ElEEZNS1_24adjacent_difference_implIS3_Lb0ELb0EPlS7_ZN2at6native12_GLOBAL__N_124unique_dim_cuda_templateIhEESt5tupleIJNS8_6TensorESD_SD_EERKSD_lbbbEUlllE1_EE10hipError_tPvRmT2_T3_mT4_P12ihipStream_tbEUlT_E_NS1_11comp_targetILNS1_3genE9ELNS1_11target_archE1100ELNS1_3gpuE3ELNS1_3repE0EEENS1_30default_config_static_selectorELNS0_4arch9wavefront6targetE0EEEvT1_: ; @_ZN7rocprim17ROCPRIM_400000_NS6detail17trampoline_kernelINS0_14default_configENS1_35adjacent_difference_config_selectorILb0ElEEZNS1_24adjacent_difference_implIS3_Lb0ELb0EPlS7_ZN2at6native12_GLOBAL__N_124unique_dim_cuda_templateIhEESt5tupleIJNS8_6TensorESD_SD_EERKSD_lbbbEUlllE1_EE10hipError_tPvRmT2_T3_mT4_P12ihipStream_tbEUlT_E_NS1_11comp_targetILNS1_3genE9ELNS1_11target_archE1100ELNS1_3gpuE3ELNS1_3repE0EEENS1_30default_config_static_selectorELNS0_4arch9wavefront6targetE0EEEvT1_
; %bb.0:
	s_clause 0x1
	s_load_b256 s[4:11], s[0:1], 0x0
	s_load_b64 s[20:21], s[0:1], 0x38
	s_mov_b32 s17, 0
	s_waitcnt lgkmcnt(0)
	s_lshl_b64 s[12:13], s[6:7], 3
	s_delay_alu instid0(SALU_CYCLE_1)
	s_add_u32 s18, s4, s12
	s_addc_u32 s19, s5, s13
	s_load_b128 s[4:7], s[0:1], 0x20
	s_and_b32 s16, s10, 0x1ff
	s_lshl_b32 s2, s15, 9
	s_lshr_b64 s[22:23], s[10:11], 9
	s_cmp_lg_u64 s[16:17], 0
	s_cselect_b32 s3, -1, 0
	s_delay_alu instid0(SALU_CYCLE_1) | instskip(NEXT) | instid1(VALU_DEP_1)
	v_cndmask_b32_e64 v1, 0, 1, s3
	v_readfirstlane_b32 s3, v1
	s_delay_alu instid0(VALU_DEP_1)
	s_add_u32 s0, s22, s3
	s_addc_u32 s1, s23, 0
	s_add_u32 s16, s20, s15
	s_addc_u32 s17, s21, 0
	s_add_u32 s14, s0, -1
	s_addc_u32 s15, s1, -1
	s_delay_alu instid0(SALU_CYCLE_1) | instskip(NEXT) | instid1(VALU_DEP_1)
	v_cmp_ge_u64_e64 s11, s[16:17], s[14:15]
	s_and_b32 vcc_lo, exec_lo, s11
	s_cbranch_vccz .LBB64_4
; %bb.1:
	s_lshl_b32 s3, s14, 9
	s_mov_b32 s20, exec_lo
	s_sub_i32 s3, s10, s3
                                        ; implicit-def: $vgpr1_vgpr2
	s_delay_alu instid0(SALU_CYCLE_1)
	v_cmpx_gt_u32_e64 s3, v0
	s_cbranch_execz .LBB64_3
; %bb.2:
	s_mov_b32 s3, 0
	v_lshlrev_b32_e32 v1, 3, v0
	s_lshl_b64 s[22:23], s[2:3], 3
	s_delay_alu instid0(SALU_CYCLE_1)
	s_add_u32 s22, s18, s22
	s_addc_u32 s23, s19, s23
	global_load_b64 v[1:2], v1, s[22:23]
.LBB64_3:
	s_or_b32 exec_lo, exec_lo, s20
	v_lshlrev_b32_e32 v3, 3, v0
	s_waitcnt vmcnt(0)
	ds_store_b64 v3, v[1:2]
	s_waitcnt lgkmcnt(0)
	s_barrier
	v_lshlrev_b32_e32 v9, 3, v0
	s_branch .LBB64_6
.LBB64_4:
                                        ; implicit-def: $vgpr3
	v_lshlrev_b32_e32 v9, 3, v0
	s_cbranch_execz .LBB64_6
; %bb.5:
	s_mov_b32 s3, 0
	s_delay_alu instid0(VALU_DEP_1) | instskip(SKIP_1) | instid1(SALU_CYCLE_1)
	v_mov_b32_e32 v3, v9
	s_lshl_b64 s[20:21], s[2:3], 3
	s_add_u32 s20, s18, s20
	s_addc_u32 s21, s19, s21
	global_load_b64 v[1:2], v9, s[20:21]
	s_waitcnt vmcnt(0)
	ds_store_b64 v9, v[1:2]
	s_waitcnt lgkmcnt(0)
	s_barrier
.LBB64_6:
	s_waitcnt lgkmcnt(0)
	buffer_gl0_inv
	ds_load_b64 v[1:2], v3
	s_cmp_eq_u64 s[16:17], 0
	s_waitcnt lgkmcnt(0)
	s_barrier
	buffer_gl0_inv
	s_cbranch_scc1 .LBB64_17
; %bb.7:
	s_mov_b32 s3, 0
	s_delay_alu instid0(SALU_CYCLE_1) | instskip(NEXT) | instid1(SALU_CYCLE_1)
	s_lshl_b64 s[20:21], s[2:3], 3
	s_add_u32 s18, s18, s20
	s_addc_u32 s19, s19, s21
	s_add_u32 s18, s18, -8
	s_addc_u32 s19, s19, -1
	s_cmp_lg_u64 s[16:17], s[14:15]
	s_load_b64 s[18:19], s[18:19], 0x0
	s_cbranch_scc0 .LBB64_18
; %bb.8:
	s_waitcnt lgkmcnt(0)
	v_dual_mov_b32 v7, s18 :: v_dual_mov_b32 v8, s19
	s_mov_b32 s15, 0
	s_mov_b32 s3, exec_lo
	ds_store_b64 v9, v[1:2]
	s_waitcnt lgkmcnt(0)
	s_barrier
	buffer_gl0_inv
	v_cmpx_ne_u32_e32 0, v0
	s_cbranch_execz .LBB64_10
; %bb.9:
	v_add_nc_u32_e32 v3, -8, v9
	ds_load_b64 v[7:8], v3
.LBB64_10:
	s_or_b32 exec_lo, exec_lo, s3
	v_cmp_lt_i64_e64 s3, s[4:5], 1
	s_delay_alu instid0(VALU_DEP_1)
	s_and_b32 vcc_lo, exec_lo, s3
	s_cbranch_vccnz .LBB64_21
; %bb.11:
	v_mad_u64_u32 v[3:4], null, v1, s4, s[6:7]
	v_mul_lo_u32 v10, v1, s5
	v_mul_lo_u32 v11, v2, s4
	s_waitcnt lgkmcnt(0)
	v_mad_u64_u32 v[5:6], null, v7, s4, s[6:7]
	v_mul_lo_u32 v7, v7, s5
	v_mul_lo_u32 v8, v8, s4
	s_mov_b32 s15, -1
	s_mov_b32 s3, exec_lo
	s_delay_alu instid0(VALU_DEP_4) | instskip(NEXT) | instid1(VALU_DEP_2)
	v_add3_u32 v4, v11, v4, v10
	v_add3_u32 v6, v8, v6, v7
	s_clause 0x1
	global_load_u8 v7, v[3:4], off
	global_load_u8 v8, v[5:6], off
	s_waitcnt vmcnt(0)
	v_cmpx_eq_u16_e64 v7, v8
	s_cbranch_execz .LBB64_20
; %bb.12:
	s_mov_b64 s[20:21], 1
	s_mov_b32 s15, 0
                                        ; implicit-def: $sgpr17
	s_set_inst_prefetch_distance 0x1
	s_branch .LBB64_15
	.p2align	6
.LBB64_13:                              ;   in Loop: Header=BB64_15 Depth=1
	v_add_co_u32 v7, vcc_lo, v3, s20
	v_add_co_ci_u32_e32 v8, vcc_lo, s21, v4, vcc_lo
	v_add_co_u32 v10, vcc_lo, v5, s20
	v_add_co_ci_u32_e32 v11, vcc_lo, s21, v6, vcc_lo
	s_add_u32 s22, s20, 1
	s_clause 0x1
	global_load_u8 v7, v[7:8], off
	global_load_u8 v8, v[10:11], off
	s_addc_u32 s23, s21, 0
	s_and_not1_b32 s17, s17, exec_lo
	s_waitcnt vmcnt(0)
	v_cmp_ne_u16_e32 vcc_lo, v7, v8
	s_and_b32 s24, vcc_lo, exec_lo
	s_delay_alu instid0(SALU_CYCLE_1)
	s_or_b32 s17, s17, s24
.LBB64_14:                              ;   in Loop: Header=BB64_15 Depth=1
	v_dual_mov_b32 v7, s20 :: v_dual_mov_b32 v8, s21
	s_and_b32 s24, exec_lo, s17
	s_mov_b64 s[20:21], s[22:23]
	s_or_b32 s15, s24, s15
	s_delay_alu instid0(SALU_CYCLE_1)
	s_and_not1_b32 exec_lo, exec_lo, s15
	s_cbranch_execz .LBB64_19
.LBB64_15:                              ; =>This Inner Loop Header: Depth=1
	s_or_b32 s17, s17, exec_lo
	s_cmp_eq_u64 s[4:5], s[20:21]
	s_cbranch_scc0 .LBB64_13
; %bb.16:                               ;   in Loop: Header=BB64_15 Depth=1
	s_mov_b64 s[20:21], s[4:5]
                                        ; implicit-def: $sgpr22_sgpr23
	s_branch .LBB64_14
.LBB64_17:
	s_mov_b32 s3, 0
                                        ; implicit-def: $sgpr15
	s_cbranch_execnz .LBB64_38
	s_branch .LBB64_65
.LBB64_18:
                                        ; implicit-def: $sgpr15
	s_cbranch_execnz .LBB64_22
	s_branch .LBB64_37
.LBB64_19:
	s_set_inst_prefetch_distance 0x2
	s_or_b32 exec_lo, exec_lo, s15
	v_cmp_gt_i64_e32 vcc_lo, s[4:5], v[7:8]
	s_or_not1_b32 s15, vcc_lo, exec_lo
.LBB64_20:
	s_or_b32 exec_lo, exec_lo, s3
.LBB64_21:
	s_mov_b32 s3, -1
	s_branch .LBB64_37
.LBB64_22:
	s_waitcnt lgkmcnt(0)
	v_dual_mov_b32 v7, s18 :: v_dual_mov_b32 v8, s19
	s_mov_b32 s15, exec_lo
	ds_store_b64 v9, v[1:2]
	s_waitcnt lgkmcnt(0)
	s_barrier
	buffer_gl0_inv
	v_cmpx_ne_u32_e32 0, v0
	s_cbranch_execz .LBB64_24
; %bb.23:
	v_add_nc_u32_e32 v3, -8, v9
	ds_load_b64 v[7:8], v3
.LBB64_24:
	s_or_b32 exec_lo, exec_lo, s15
	s_lshl_b32 s15, s16, 9
	s_delay_alu instid0(SALU_CYCLE_1) | instskip(NEXT) | instid1(SALU_CYCLE_1)
	s_sub_i32 s15, s10, s15
	v_cmp_gt_u32_e32 vcc_lo, s15, v0
                                        ; implicit-def: $sgpr15
	s_and_saveexec_b32 s20, vcc_lo
	s_cbranch_execz .LBB64_36
; %bb.25:
	v_cmp_lt_i64_e64 s15, s[4:5], 1
	s_delay_alu instid0(VALU_DEP_1)
	s_and_b32 vcc_lo, exec_lo, s15
	s_cbranch_vccnz .LBB64_32
; %bb.26:
	v_mad_u64_u32 v[3:4], null, v1, s4, s[6:7]
	v_mul_lo_u32 v10, v1, s5
	v_mul_lo_u32 v11, v2, s4
	s_waitcnt lgkmcnt(0)
	v_mad_u64_u32 v[5:6], null, v7, s4, s[6:7]
	v_mul_lo_u32 v7, v7, s5
	v_mul_lo_u32 v8, v8, s4
	s_mov_b32 s16, -1
	s_mov_b32 s15, exec_lo
	s_delay_alu instid0(VALU_DEP_4) | instskip(NEXT) | instid1(VALU_DEP_2)
	v_add3_u32 v4, v11, v4, v10
	v_add3_u32 v6, v8, v6, v7
	s_clause 0x1
	global_load_u8 v7, v[3:4], off
	global_load_u8 v8, v[5:6], off
	s_waitcnt vmcnt(0)
	v_cmpx_eq_u16_e64 v7, v8
	s_cbranch_execz .LBB64_34
; %bb.27:
	s_mov_b64 s[16:17], 1
	s_mov_b32 s21, 0
                                        ; implicit-def: $sgpr22
	s_set_inst_prefetch_distance 0x1
	s_branch .LBB64_30
	.p2align	6
.LBB64_28:                              ;   in Loop: Header=BB64_30 Depth=1
	v_add_co_u32 v7, vcc_lo, v3, s16
	v_add_co_ci_u32_e32 v8, vcc_lo, s17, v4, vcc_lo
	v_add_co_u32 v10, vcc_lo, v5, s16
	v_add_co_ci_u32_e32 v11, vcc_lo, s17, v6, vcc_lo
	s_add_u32 s18, s16, 1
	s_clause 0x1
	global_load_u8 v7, v[7:8], off
	global_load_u8 v8, v[10:11], off
	s_addc_u32 s19, s17, 0
	s_and_not1_b32 s22, s22, exec_lo
	s_waitcnt vmcnt(0)
	v_cmp_ne_u16_e32 vcc_lo, v7, v8
	s_and_b32 s23, vcc_lo, exec_lo
	s_delay_alu instid0(SALU_CYCLE_1)
	s_or_b32 s22, s22, s23
.LBB64_29:                              ;   in Loop: Header=BB64_30 Depth=1
	v_dual_mov_b32 v7, s16 :: v_dual_mov_b32 v8, s17
	s_and_b32 s23, exec_lo, s22
	s_mov_b64 s[16:17], s[18:19]
	s_or_b32 s21, s23, s21
	s_delay_alu instid0(SALU_CYCLE_1)
	s_and_not1_b32 exec_lo, exec_lo, s21
	s_cbranch_execz .LBB64_33
.LBB64_30:                              ; =>This Inner Loop Header: Depth=1
	s_or_b32 s22, s22, exec_lo
	s_cmp_eq_u64 s[4:5], s[16:17]
	s_cbranch_scc0 .LBB64_28
; %bb.31:                               ;   in Loop: Header=BB64_30 Depth=1
	s_mov_b64 s[16:17], s[4:5]
                                        ; implicit-def: $sgpr18_sgpr19
	s_branch .LBB64_29
.LBB64_32:
	s_mov_b32 s16, 0
	s_branch .LBB64_35
.LBB64_33:
	s_set_inst_prefetch_distance 0x2
	s_or_b32 exec_lo, exec_lo, s21
	v_cmp_gt_i64_e32 vcc_lo, s[4:5], v[7:8]
	s_or_not1_b32 s16, vcc_lo, exec_lo
.LBB64_34:
	s_or_b32 exec_lo, exec_lo, s15
.LBB64_35:
	s_delay_alu instid0(SALU_CYCLE_1)
	s_and_b32 s15, s16, exec_lo
	s_or_b32 s3, s3, exec_lo
.LBB64_36:
	s_or_b32 exec_lo, exec_lo, s20
.LBB64_37:
	s_branch .LBB64_65
.LBB64_38:
	s_cmp_lg_u64 s[0:1], 1
	s_cbranch_scc0 .LBB64_47
; %bb.39:
	s_waitcnt lgkmcnt(0)
	s_mov_b32 s18, 0
	s_mov_b32 s19, exec_lo
	ds_store_b64 v9, v[1:2]
	s_waitcnt lgkmcnt(0)
	s_barrier
	buffer_gl0_inv
                                        ; implicit-def: $sgpr15
	v_cmpx_ne_u32_e32 0, v0
	s_cbranch_execz .LBB64_48
; %bb.40:
	v_cmp_lt_i64_e64 s0, s[4:5], 1
	s_delay_alu instid0(VALU_DEP_1)
	s_and_b32 vcc_lo, exec_lo, s0
	s_cbranch_vccnz .LBB64_49
; %bb.41:
	v_add_nc_u32_e32 v3, -8, v9
	v_mul_lo_u32 v10, v1, s5
	v_mul_lo_u32 v11, v2, s4
	s_mov_b32 s0, -1
	s_mov_b32 s15, exec_lo
	ds_load_b64 v[7:8], v3
	v_mad_u64_u32 v[3:4], null, v1, s4, s[6:7]
	s_delay_alu instid0(VALU_DEP_1) | instskip(SKIP_4) | instid1(VALU_DEP_1)
	v_add3_u32 v4, v11, v4, v10
	s_waitcnt lgkmcnt(0)
	v_mul_lo_u32 v12, v7, s5
	v_mul_lo_u32 v8, v8, s4
	v_mad_u64_u32 v[5:6], null, v7, s4, s[6:7]
	v_add3_u32 v6, v8, v6, v12
	s_clause 0x1
	global_load_u8 v7, v[3:4], off
	global_load_u8 v8, v[5:6], off
	s_waitcnt vmcnt(0)
	v_cmpx_eq_u16_e64 v7, v8
	s_cbranch_execz .LBB64_51
; %bb.42:
	s_mov_b64 s[0:1], 1
	s_mov_b32 s20, 0
                                        ; implicit-def: $sgpr21
	s_set_inst_prefetch_distance 0x1
	s_branch .LBB64_45
	.p2align	6
.LBB64_43:                              ;   in Loop: Header=BB64_45 Depth=1
	v_add_co_u32 v7, vcc_lo, v3, s0
	v_add_co_ci_u32_e32 v8, vcc_lo, s1, v4, vcc_lo
	v_add_co_u32 v10, vcc_lo, v5, s0
	v_add_co_ci_u32_e32 v11, vcc_lo, s1, v6, vcc_lo
	s_add_u32 s16, s0, 1
	s_clause 0x1
	global_load_u8 v7, v[7:8], off
	global_load_u8 v8, v[10:11], off
	s_addc_u32 s17, s1, 0
	s_and_not1_b32 s21, s21, exec_lo
	s_waitcnt vmcnt(0)
	v_cmp_ne_u16_e32 vcc_lo, v7, v8
	s_and_b32 s22, vcc_lo, exec_lo
	s_delay_alu instid0(SALU_CYCLE_1)
	s_or_b32 s21, s21, s22
.LBB64_44:                              ;   in Loop: Header=BB64_45 Depth=1
	v_dual_mov_b32 v8, s1 :: v_dual_mov_b32 v7, s0
	s_and_b32 s22, exec_lo, s21
	s_mov_b64 s[0:1], s[16:17]
	s_or_b32 s20, s22, s20
	s_delay_alu instid0(SALU_CYCLE_1)
	s_and_not1_b32 exec_lo, exec_lo, s20
	s_cbranch_execz .LBB64_50
.LBB64_45:                              ; =>This Inner Loop Header: Depth=1
	s_or_b32 s21, s21, exec_lo
	s_cmp_eq_u64 s[4:5], s[0:1]
	s_cbranch_scc0 .LBB64_43
; %bb.46:                               ;   in Loop: Header=BB64_45 Depth=1
	s_mov_b64 s[0:1], s[4:5]
                                        ; implicit-def: $sgpr16_sgpr17
	s_branch .LBB64_44
.LBB64_47:
	s_waitcnt lgkmcnt(0)
                                        ; implicit-def: $sgpr15
	s_cbranch_execnz .LBB64_53
	s_branch .LBB64_65
.LBB64_48:
	s_or_b32 exec_lo, exec_lo, s19
	s_delay_alu instid0(SALU_CYCLE_1)
	s_and_b32 vcc_lo, exec_lo, s18
	s_cbranch_vccnz .LBB64_53
	s_branch .LBB64_65
.LBB64_49:
	s_mov_b32 s0, 0
	s_branch .LBB64_52
.LBB64_50:
	s_set_inst_prefetch_distance 0x2
	s_or_b32 exec_lo, exec_lo, s20
	v_cmp_gt_i64_e32 vcc_lo, s[4:5], v[7:8]
	s_or_not1_b32 s0, vcc_lo, exec_lo
.LBB64_51:
	s_or_b32 exec_lo, exec_lo, s15
.LBB64_52:
	s_delay_alu instid0(SALU_CYCLE_1) | instskip(SKIP_2) | instid1(SALU_CYCLE_1)
	s_and_b32 s15, s0, exec_lo
	s_or_b32 s3, s3, exec_lo
	s_or_b32 exec_lo, exec_lo, s19
	s_and_b32 vcc_lo, exec_lo, s18
	s_cbranch_vccz .LBB64_65
.LBB64_53:
	v_cmp_ne_u32_e32 vcc_lo, 0, v0
	v_cmp_gt_u32_e64 s0, s10, v0
	s_mov_b32 s1, 0
	ds_store_b64 v9, v[1:2]
	s_waitcnt lgkmcnt(0)
	s_barrier
	s_and_b32 s0, vcc_lo, s0
	buffer_gl0_inv
                                        ; implicit-def: $sgpr15
	s_and_saveexec_b32 s16, s0
	s_cbranch_execz .LBB64_64
; %bb.54:
	v_cmp_lt_i64_e64 s0, s[4:5], 1
	s_delay_alu instid0(VALU_DEP_1)
	s_and_b32 vcc_lo, exec_lo, s0
	s_cbranch_vccnz .LBB64_63
; %bb.55:
	v_add_nc_u32_e32 v3, -8, v9
	v_mul_lo_u32 v7, v1, s5
	v_mul_lo_u32 v8, v2, s4
	s_mov_b32 s1, -1
	s_mov_b32 s15, exec_lo
	ds_load_b64 v[5:6], v3
	v_mad_u64_u32 v[3:4], null, v1, s4, s[6:7]
	s_delay_alu instid0(VALU_DEP_1) | instskip(SKIP_4) | instid1(VALU_DEP_1)
	v_add3_u32 v4, v8, v4, v7
	s_waitcnt lgkmcnt(0)
	v_mul_lo_u32 v10, v5, s5
	v_mul_lo_u32 v6, v6, s4
	v_mad_u64_u32 v[1:2], null, v5, s4, s[6:7]
	v_add3_u32 v2, v6, v2, v10
	s_clause 0x1
	global_load_u8 v5, v[3:4], off
	global_load_u8 v6, v[1:2], off
	s_waitcnt vmcnt(0)
	v_cmpx_eq_u16_e64 v5, v6
	s_cbranch_execz .LBB64_62
; %bb.56:
	s_mov_b64 s[0:1], 1
	s_mov_b32 s17, 0
                                        ; implicit-def: $sgpr18
	s_set_inst_prefetch_distance 0x1
	s_branch .LBB64_59
	.p2align	6
.LBB64_57:                              ;   in Loop: Header=BB64_59 Depth=1
	v_add_co_u32 v5, vcc_lo, v3, s0
	v_add_co_ci_u32_e32 v6, vcc_lo, s1, v4, vcc_lo
	v_add_co_u32 v7, vcc_lo, v1, s0
	v_add_co_ci_u32_e32 v8, vcc_lo, s1, v2, vcc_lo
	s_add_u32 s6, s0, 1
	s_clause 0x1
	global_load_u8 v5, v[5:6], off
	global_load_u8 v6, v[7:8], off
	s_addc_u32 s7, s1, 0
	s_and_not1_b32 s18, s18, exec_lo
	s_waitcnt vmcnt(0)
	v_cmp_ne_u16_e32 vcc_lo, v5, v6
	s_and_b32 s19, vcc_lo, exec_lo
	s_delay_alu instid0(SALU_CYCLE_1)
	s_or_b32 s18, s18, s19
.LBB64_58:                              ;   in Loop: Header=BB64_59 Depth=1
	v_dual_mov_b32 v6, s1 :: v_dual_mov_b32 v5, s0
	s_and_b32 s19, exec_lo, s18
	s_mov_b64 s[0:1], s[6:7]
	s_or_b32 s17, s19, s17
	s_delay_alu instid0(SALU_CYCLE_1)
	s_and_not1_b32 exec_lo, exec_lo, s17
	s_cbranch_execz .LBB64_61
.LBB64_59:                              ; =>This Inner Loop Header: Depth=1
	s_or_b32 s18, s18, exec_lo
	s_cmp_eq_u64 s[4:5], s[0:1]
	s_cbranch_scc0 .LBB64_57
; %bb.60:                               ;   in Loop: Header=BB64_59 Depth=1
	s_mov_b64 s[0:1], s[4:5]
                                        ; implicit-def: $sgpr6_sgpr7
	s_branch .LBB64_58
.LBB64_61:
	s_set_inst_prefetch_distance 0x2
	s_or_b32 exec_lo, exec_lo, s17
	v_cmp_gt_i64_e32 vcc_lo, s[4:5], v[5:6]
	s_or_not1_b32 s1, vcc_lo, exec_lo
.LBB64_62:
	s_or_b32 exec_lo, exec_lo, s15
.LBB64_63:
	s_delay_alu instid0(SALU_CYCLE_1)
	s_and_b32 s15, s1, exec_lo
	s_or_b32 s3, s3, exec_lo
                                        ; implicit-def: $vgpr1_vgpr2
.LBB64_64:
	s_or_b32 exec_lo, exec_lo, s16
.LBB64_65:
	s_and_saveexec_b32 s0, s3
; %bb.66:
	s_mov_b32 s1, 0
	v_cndmask_b32_e64 v1, 0, 1, s15
	v_mov_b32_e32 v2, s1
; %bb.67:
	s_or_b32 exec_lo, exec_lo, s0
	s_add_u32 s0, s8, s12
	s_addc_u32 s1, s9, s13
	s_and_b32 vcc_lo, exec_lo, s11
	s_mov_b32 s3, -1
	s_waitcnt lgkmcnt(0)
	s_barrier
	buffer_gl0_inv
	s_cbranch_vccnz .LBB64_70
; %bb.68:
	s_and_not1_b32 vcc_lo, exec_lo, s3
	s_cbranch_vccz .LBB64_73
.LBB64_69:
	s_nop 0
	s_sendmsg sendmsg(MSG_DEALLOC_VGPRS)
	s_endpgm
.LBB64_70:
	s_lshl_b32 s3, s14, 9
	s_mov_b32 s4, exec_lo
	s_sub_i32 s3, s10, s3
	ds_store_b64 v9, v[1:2]
	s_waitcnt lgkmcnt(0)
	s_barrier
	buffer_gl0_inv
	v_cmpx_gt_u32_e64 s3, v0
	s_cbranch_execz .LBB64_72
; %bb.71:
	ds_load_b64 v[3:4], v9
	s_mov_b32 s3, 0
	s_delay_alu instid0(SALU_CYCLE_1) | instskip(NEXT) | instid1(SALU_CYCLE_1)
	s_lshl_b64 s[6:7], s[2:3], 3
	s_add_u32 s6, s0, s6
	s_addc_u32 s7, s1, s7
	s_waitcnt lgkmcnt(0)
	global_store_b64 v9, v[3:4], s[6:7]
.LBB64_72:
	s_or_b32 exec_lo, exec_lo, s4
	s_cbranch_execnz .LBB64_69
.LBB64_73:
	ds_store_b64 v9, v[1:2]
	s_waitcnt lgkmcnt(0)
	s_waitcnt_vscnt null, 0x0
	s_barrier
	buffer_gl0_inv
	ds_load_b64 v[0:1], v9
	s_mov_b32 s3, 0
	s_delay_alu instid0(SALU_CYCLE_1) | instskip(NEXT) | instid1(SALU_CYCLE_1)
	s_lshl_b64 s[2:3], s[2:3], 3
	s_add_u32 s0, s0, s2
	s_addc_u32 s1, s1, s3
	s_waitcnt lgkmcnt(0)
	global_store_b64 v9, v[0:1], s[0:1]
	s_nop 0
	s_sendmsg sendmsg(MSG_DEALLOC_VGPRS)
	s_endpgm
	.section	.rodata,"a",@progbits
	.p2align	6, 0x0
	.amdhsa_kernel _ZN7rocprim17ROCPRIM_400000_NS6detail17trampoline_kernelINS0_14default_configENS1_35adjacent_difference_config_selectorILb0ElEEZNS1_24adjacent_difference_implIS3_Lb0ELb0EPlS7_ZN2at6native12_GLOBAL__N_124unique_dim_cuda_templateIhEESt5tupleIJNS8_6TensorESD_SD_EERKSD_lbbbEUlllE1_EE10hipError_tPvRmT2_T3_mT4_P12ihipStream_tbEUlT_E_NS1_11comp_targetILNS1_3genE9ELNS1_11target_archE1100ELNS1_3gpuE3ELNS1_3repE0EEENS1_30default_config_static_selectorELNS0_4arch9wavefront6targetE0EEEvT1_
		.amdhsa_group_segment_fixed_size 8192
		.amdhsa_private_segment_fixed_size 0
		.amdhsa_kernarg_size 64
		.amdhsa_user_sgpr_count 15
		.amdhsa_user_sgpr_dispatch_ptr 0
		.amdhsa_user_sgpr_queue_ptr 0
		.amdhsa_user_sgpr_kernarg_segment_ptr 1
		.amdhsa_user_sgpr_dispatch_id 0
		.amdhsa_user_sgpr_private_segment_size 0
		.amdhsa_wavefront_size32 1
		.amdhsa_uses_dynamic_stack 0
		.amdhsa_enable_private_segment 0
		.amdhsa_system_sgpr_workgroup_id_x 1
		.amdhsa_system_sgpr_workgroup_id_y 0
		.amdhsa_system_sgpr_workgroup_id_z 0
		.amdhsa_system_sgpr_workgroup_info 0
		.amdhsa_system_vgpr_workitem_id 0
		.amdhsa_next_free_vgpr 13
		.amdhsa_next_free_sgpr 25
		.amdhsa_reserve_vcc 1
		.amdhsa_float_round_mode_32 0
		.amdhsa_float_round_mode_16_64 0
		.amdhsa_float_denorm_mode_32 3
		.amdhsa_float_denorm_mode_16_64 3
		.amdhsa_dx10_clamp 1
		.amdhsa_ieee_mode 1
		.amdhsa_fp16_overflow 0
		.amdhsa_workgroup_processor_mode 1
		.amdhsa_memory_ordered 1
		.amdhsa_forward_progress 0
		.amdhsa_shared_vgpr_count 0
		.amdhsa_exception_fp_ieee_invalid_op 0
		.amdhsa_exception_fp_denorm_src 0
		.amdhsa_exception_fp_ieee_div_zero 0
		.amdhsa_exception_fp_ieee_overflow 0
		.amdhsa_exception_fp_ieee_underflow 0
		.amdhsa_exception_fp_ieee_inexact 0
		.amdhsa_exception_int_div_zero 0
	.end_amdhsa_kernel
	.section	.text._ZN7rocprim17ROCPRIM_400000_NS6detail17trampoline_kernelINS0_14default_configENS1_35adjacent_difference_config_selectorILb0ElEEZNS1_24adjacent_difference_implIS3_Lb0ELb0EPlS7_ZN2at6native12_GLOBAL__N_124unique_dim_cuda_templateIhEESt5tupleIJNS8_6TensorESD_SD_EERKSD_lbbbEUlllE1_EE10hipError_tPvRmT2_T3_mT4_P12ihipStream_tbEUlT_E_NS1_11comp_targetILNS1_3genE9ELNS1_11target_archE1100ELNS1_3gpuE3ELNS1_3repE0EEENS1_30default_config_static_selectorELNS0_4arch9wavefront6targetE0EEEvT1_,"axG",@progbits,_ZN7rocprim17ROCPRIM_400000_NS6detail17trampoline_kernelINS0_14default_configENS1_35adjacent_difference_config_selectorILb0ElEEZNS1_24adjacent_difference_implIS3_Lb0ELb0EPlS7_ZN2at6native12_GLOBAL__N_124unique_dim_cuda_templateIhEESt5tupleIJNS8_6TensorESD_SD_EERKSD_lbbbEUlllE1_EE10hipError_tPvRmT2_T3_mT4_P12ihipStream_tbEUlT_E_NS1_11comp_targetILNS1_3genE9ELNS1_11target_archE1100ELNS1_3gpuE3ELNS1_3repE0EEENS1_30default_config_static_selectorELNS0_4arch9wavefront6targetE0EEEvT1_,comdat
.Lfunc_end64:
	.size	_ZN7rocprim17ROCPRIM_400000_NS6detail17trampoline_kernelINS0_14default_configENS1_35adjacent_difference_config_selectorILb0ElEEZNS1_24adjacent_difference_implIS3_Lb0ELb0EPlS7_ZN2at6native12_GLOBAL__N_124unique_dim_cuda_templateIhEESt5tupleIJNS8_6TensorESD_SD_EERKSD_lbbbEUlllE1_EE10hipError_tPvRmT2_T3_mT4_P12ihipStream_tbEUlT_E_NS1_11comp_targetILNS1_3genE9ELNS1_11target_archE1100ELNS1_3gpuE3ELNS1_3repE0EEENS1_30default_config_static_selectorELNS0_4arch9wavefront6targetE0EEEvT1_, .Lfunc_end64-_ZN7rocprim17ROCPRIM_400000_NS6detail17trampoline_kernelINS0_14default_configENS1_35adjacent_difference_config_selectorILb0ElEEZNS1_24adjacent_difference_implIS3_Lb0ELb0EPlS7_ZN2at6native12_GLOBAL__N_124unique_dim_cuda_templateIhEESt5tupleIJNS8_6TensorESD_SD_EERKSD_lbbbEUlllE1_EE10hipError_tPvRmT2_T3_mT4_P12ihipStream_tbEUlT_E_NS1_11comp_targetILNS1_3genE9ELNS1_11target_archE1100ELNS1_3gpuE3ELNS1_3repE0EEENS1_30default_config_static_selectorELNS0_4arch9wavefront6targetE0EEEvT1_
                                        ; -- End function
	.section	.AMDGPU.csdata,"",@progbits
; Kernel info:
; codeLenInByte = 2260
; NumSgprs: 27
; NumVgprs: 13
; ScratchSize: 0
; MemoryBound: 0
; FloatMode: 240
; IeeeMode: 1
; LDSByteSize: 8192 bytes/workgroup (compile time only)
; SGPRBlocks: 3
; VGPRBlocks: 1
; NumSGPRsForWavesPerEU: 27
; NumVGPRsForWavesPerEU: 13
; Occupancy: 16
; WaveLimiterHint : 0
; COMPUTE_PGM_RSRC2:SCRATCH_EN: 0
; COMPUTE_PGM_RSRC2:USER_SGPR: 15
; COMPUTE_PGM_RSRC2:TRAP_HANDLER: 0
; COMPUTE_PGM_RSRC2:TGID_X_EN: 1
; COMPUTE_PGM_RSRC2:TGID_Y_EN: 0
; COMPUTE_PGM_RSRC2:TGID_Z_EN: 0
; COMPUTE_PGM_RSRC2:TIDIG_COMP_CNT: 0
	.section	.text._ZN7rocprim17ROCPRIM_400000_NS6detail17trampoline_kernelINS0_14default_configENS1_35adjacent_difference_config_selectorILb0ElEEZNS1_24adjacent_difference_implIS3_Lb0ELb0EPlS7_ZN2at6native12_GLOBAL__N_124unique_dim_cuda_templateIhEESt5tupleIJNS8_6TensorESD_SD_EERKSD_lbbbEUlllE1_EE10hipError_tPvRmT2_T3_mT4_P12ihipStream_tbEUlT_E_NS1_11comp_targetILNS1_3genE8ELNS1_11target_archE1030ELNS1_3gpuE2ELNS1_3repE0EEENS1_30default_config_static_selectorELNS0_4arch9wavefront6targetE0EEEvT1_,"axG",@progbits,_ZN7rocprim17ROCPRIM_400000_NS6detail17trampoline_kernelINS0_14default_configENS1_35adjacent_difference_config_selectorILb0ElEEZNS1_24adjacent_difference_implIS3_Lb0ELb0EPlS7_ZN2at6native12_GLOBAL__N_124unique_dim_cuda_templateIhEESt5tupleIJNS8_6TensorESD_SD_EERKSD_lbbbEUlllE1_EE10hipError_tPvRmT2_T3_mT4_P12ihipStream_tbEUlT_E_NS1_11comp_targetILNS1_3genE8ELNS1_11target_archE1030ELNS1_3gpuE2ELNS1_3repE0EEENS1_30default_config_static_selectorELNS0_4arch9wavefront6targetE0EEEvT1_,comdat
	.globl	_ZN7rocprim17ROCPRIM_400000_NS6detail17trampoline_kernelINS0_14default_configENS1_35adjacent_difference_config_selectorILb0ElEEZNS1_24adjacent_difference_implIS3_Lb0ELb0EPlS7_ZN2at6native12_GLOBAL__N_124unique_dim_cuda_templateIhEESt5tupleIJNS8_6TensorESD_SD_EERKSD_lbbbEUlllE1_EE10hipError_tPvRmT2_T3_mT4_P12ihipStream_tbEUlT_E_NS1_11comp_targetILNS1_3genE8ELNS1_11target_archE1030ELNS1_3gpuE2ELNS1_3repE0EEENS1_30default_config_static_selectorELNS0_4arch9wavefront6targetE0EEEvT1_ ; -- Begin function _ZN7rocprim17ROCPRIM_400000_NS6detail17trampoline_kernelINS0_14default_configENS1_35adjacent_difference_config_selectorILb0ElEEZNS1_24adjacent_difference_implIS3_Lb0ELb0EPlS7_ZN2at6native12_GLOBAL__N_124unique_dim_cuda_templateIhEESt5tupleIJNS8_6TensorESD_SD_EERKSD_lbbbEUlllE1_EE10hipError_tPvRmT2_T3_mT4_P12ihipStream_tbEUlT_E_NS1_11comp_targetILNS1_3genE8ELNS1_11target_archE1030ELNS1_3gpuE2ELNS1_3repE0EEENS1_30default_config_static_selectorELNS0_4arch9wavefront6targetE0EEEvT1_
	.p2align	8
	.type	_ZN7rocprim17ROCPRIM_400000_NS6detail17trampoline_kernelINS0_14default_configENS1_35adjacent_difference_config_selectorILb0ElEEZNS1_24adjacent_difference_implIS3_Lb0ELb0EPlS7_ZN2at6native12_GLOBAL__N_124unique_dim_cuda_templateIhEESt5tupleIJNS8_6TensorESD_SD_EERKSD_lbbbEUlllE1_EE10hipError_tPvRmT2_T3_mT4_P12ihipStream_tbEUlT_E_NS1_11comp_targetILNS1_3genE8ELNS1_11target_archE1030ELNS1_3gpuE2ELNS1_3repE0EEENS1_30default_config_static_selectorELNS0_4arch9wavefront6targetE0EEEvT1_,@function
_ZN7rocprim17ROCPRIM_400000_NS6detail17trampoline_kernelINS0_14default_configENS1_35adjacent_difference_config_selectorILb0ElEEZNS1_24adjacent_difference_implIS3_Lb0ELb0EPlS7_ZN2at6native12_GLOBAL__N_124unique_dim_cuda_templateIhEESt5tupleIJNS8_6TensorESD_SD_EERKSD_lbbbEUlllE1_EE10hipError_tPvRmT2_T3_mT4_P12ihipStream_tbEUlT_E_NS1_11comp_targetILNS1_3genE8ELNS1_11target_archE1030ELNS1_3gpuE2ELNS1_3repE0EEENS1_30default_config_static_selectorELNS0_4arch9wavefront6targetE0EEEvT1_: ; @_ZN7rocprim17ROCPRIM_400000_NS6detail17trampoline_kernelINS0_14default_configENS1_35adjacent_difference_config_selectorILb0ElEEZNS1_24adjacent_difference_implIS3_Lb0ELb0EPlS7_ZN2at6native12_GLOBAL__N_124unique_dim_cuda_templateIhEESt5tupleIJNS8_6TensorESD_SD_EERKSD_lbbbEUlllE1_EE10hipError_tPvRmT2_T3_mT4_P12ihipStream_tbEUlT_E_NS1_11comp_targetILNS1_3genE8ELNS1_11target_archE1030ELNS1_3gpuE2ELNS1_3repE0EEENS1_30default_config_static_selectorELNS0_4arch9wavefront6targetE0EEEvT1_
; %bb.0:
	.section	.rodata,"a",@progbits
	.p2align	6, 0x0
	.amdhsa_kernel _ZN7rocprim17ROCPRIM_400000_NS6detail17trampoline_kernelINS0_14default_configENS1_35adjacent_difference_config_selectorILb0ElEEZNS1_24adjacent_difference_implIS3_Lb0ELb0EPlS7_ZN2at6native12_GLOBAL__N_124unique_dim_cuda_templateIhEESt5tupleIJNS8_6TensorESD_SD_EERKSD_lbbbEUlllE1_EE10hipError_tPvRmT2_T3_mT4_P12ihipStream_tbEUlT_E_NS1_11comp_targetILNS1_3genE8ELNS1_11target_archE1030ELNS1_3gpuE2ELNS1_3repE0EEENS1_30default_config_static_selectorELNS0_4arch9wavefront6targetE0EEEvT1_
		.amdhsa_group_segment_fixed_size 0
		.amdhsa_private_segment_fixed_size 0
		.amdhsa_kernarg_size 64
		.amdhsa_user_sgpr_count 15
		.amdhsa_user_sgpr_dispatch_ptr 0
		.amdhsa_user_sgpr_queue_ptr 0
		.amdhsa_user_sgpr_kernarg_segment_ptr 1
		.amdhsa_user_sgpr_dispatch_id 0
		.amdhsa_user_sgpr_private_segment_size 0
		.amdhsa_wavefront_size32 1
		.amdhsa_uses_dynamic_stack 0
		.amdhsa_enable_private_segment 0
		.amdhsa_system_sgpr_workgroup_id_x 1
		.amdhsa_system_sgpr_workgroup_id_y 0
		.amdhsa_system_sgpr_workgroup_id_z 0
		.amdhsa_system_sgpr_workgroup_info 0
		.amdhsa_system_vgpr_workitem_id 0
		.amdhsa_next_free_vgpr 1
		.amdhsa_next_free_sgpr 1
		.amdhsa_reserve_vcc 0
		.amdhsa_float_round_mode_32 0
		.amdhsa_float_round_mode_16_64 0
		.amdhsa_float_denorm_mode_32 3
		.amdhsa_float_denorm_mode_16_64 3
		.amdhsa_dx10_clamp 1
		.amdhsa_ieee_mode 1
		.amdhsa_fp16_overflow 0
		.amdhsa_workgroup_processor_mode 1
		.amdhsa_memory_ordered 1
		.amdhsa_forward_progress 0
		.amdhsa_shared_vgpr_count 0
		.amdhsa_exception_fp_ieee_invalid_op 0
		.amdhsa_exception_fp_denorm_src 0
		.amdhsa_exception_fp_ieee_div_zero 0
		.amdhsa_exception_fp_ieee_overflow 0
		.amdhsa_exception_fp_ieee_underflow 0
		.amdhsa_exception_fp_ieee_inexact 0
		.amdhsa_exception_int_div_zero 0
	.end_amdhsa_kernel
	.section	.text._ZN7rocprim17ROCPRIM_400000_NS6detail17trampoline_kernelINS0_14default_configENS1_35adjacent_difference_config_selectorILb0ElEEZNS1_24adjacent_difference_implIS3_Lb0ELb0EPlS7_ZN2at6native12_GLOBAL__N_124unique_dim_cuda_templateIhEESt5tupleIJNS8_6TensorESD_SD_EERKSD_lbbbEUlllE1_EE10hipError_tPvRmT2_T3_mT4_P12ihipStream_tbEUlT_E_NS1_11comp_targetILNS1_3genE8ELNS1_11target_archE1030ELNS1_3gpuE2ELNS1_3repE0EEENS1_30default_config_static_selectorELNS0_4arch9wavefront6targetE0EEEvT1_,"axG",@progbits,_ZN7rocprim17ROCPRIM_400000_NS6detail17trampoline_kernelINS0_14default_configENS1_35adjacent_difference_config_selectorILb0ElEEZNS1_24adjacent_difference_implIS3_Lb0ELb0EPlS7_ZN2at6native12_GLOBAL__N_124unique_dim_cuda_templateIhEESt5tupleIJNS8_6TensorESD_SD_EERKSD_lbbbEUlllE1_EE10hipError_tPvRmT2_T3_mT4_P12ihipStream_tbEUlT_E_NS1_11comp_targetILNS1_3genE8ELNS1_11target_archE1030ELNS1_3gpuE2ELNS1_3repE0EEENS1_30default_config_static_selectorELNS0_4arch9wavefront6targetE0EEEvT1_,comdat
.Lfunc_end65:
	.size	_ZN7rocprim17ROCPRIM_400000_NS6detail17trampoline_kernelINS0_14default_configENS1_35adjacent_difference_config_selectorILb0ElEEZNS1_24adjacent_difference_implIS3_Lb0ELb0EPlS7_ZN2at6native12_GLOBAL__N_124unique_dim_cuda_templateIhEESt5tupleIJNS8_6TensorESD_SD_EERKSD_lbbbEUlllE1_EE10hipError_tPvRmT2_T3_mT4_P12ihipStream_tbEUlT_E_NS1_11comp_targetILNS1_3genE8ELNS1_11target_archE1030ELNS1_3gpuE2ELNS1_3repE0EEENS1_30default_config_static_selectorELNS0_4arch9wavefront6targetE0EEEvT1_, .Lfunc_end65-_ZN7rocprim17ROCPRIM_400000_NS6detail17trampoline_kernelINS0_14default_configENS1_35adjacent_difference_config_selectorILb0ElEEZNS1_24adjacent_difference_implIS3_Lb0ELb0EPlS7_ZN2at6native12_GLOBAL__N_124unique_dim_cuda_templateIhEESt5tupleIJNS8_6TensorESD_SD_EERKSD_lbbbEUlllE1_EE10hipError_tPvRmT2_T3_mT4_P12ihipStream_tbEUlT_E_NS1_11comp_targetILNS1_3genE8ELNS1_11target_archE1030ELNS1_3gpuE2ELNS1_3repE0EEENS1_30default_config_static_selectorELNS0_4arch9wavefront6targetE0EEEvT1_
                                        ; -- End function
	.section	.AMDGPU.csdata,"",@progbits
; Kernel info:
; codeLenInByte = 0
; NumSgprs: 0
; NumVgprs: 0
; ScratchSize: 0
; MemoryBound: 0
; FloatMode: 240
; IeeeMode: 1
; LDSByteSize: 0 bytes/workgroup (compile time only)
; SGPRBlocks: 0
; VGPRBlocks: 0
; NumSGPRsForWavesPerEU: 1
; NumVGPRsForWavesPerEU: 1
; Occupancy: 16
; WaveLimiterHint : 0
; COMPUTE_PGM_RSRC2:SCRATCH_EN: 0
; COMPUTE_PGM_RSRC2:USER_SGPR: 15
; COMPUTE_PGM_RSRC2:TRAP_HANDLER: 0
; COMPUTE_PGM_RSRC2:TGID_X_EN: 1
; COMPUTE_PGM_RSRC2:TGID_Y_EN: 0
; COMPUTE_PGM_RSRC2:TGID_Z_EN: 0
; COMPUTE_PGM_RSRC2:TIDIG_COMP_CNT: 0
	.section	.text._ZN7rocprim17ROCPRIM_400000_NS6detail17trampoline_kernelINS0_14default_configENS1_25transform_config_selectorIlLb0EEEZNS1_14transform_implILb0ES3_S5_NS0_18transform_iteratorINS0_17counting_iteratorImlEEZNS1_24adjacent_difference_implIS3_Lb1ELb0EPlSB_ZN2at6native12_GLOBAL__N_124unique_dim_cuda_templateIhEESt5tupleIJNSC_6TensorESH_SH_EERKSH_lbbbEUlllE1_EE10hipError_tPvRmT2_T3_mT4_P12ihipStream_tbEUlmE_lEESB_NS0_8identityIvEEEESM_SP_SQ_mSR_ST_bEUlT_E_NS1_11comp_targetILNS1_3genE0ELNS1_11target_archE4294967295ELNS1_3gpuE0ELNS1_3repE0EEENS1_30default_config_static_selectorELNS0_4arch9wavefront6targetE0EEEvT1_,"axG",@progbits,_ZN7rocprim17ROCPRIM_400000_NS6detail17trampoline_kernelINS0_14default_configENS1_25transform_config_selectorIlLb0EEEZNS1_14transform_implILb0ES3_S5_NS0_18transform_iteratorINS0_17counting_iteratorImlEEZNS1_24adjacent_difference_implIS3_Lb1ELb0EPlSB_ZN2at6native12_GLOBAL__N_124unique_dim_cuda_templateIhEESt5tupleIJNSC_6TensorESH_SH_EERKSH_lbbbEUlllE1_EE10hipError_tPvRmT2_T3_mT4_P12ihipStream_tbEUlmE_lEESB_NS0_8identityIvEEEESM_SP_SQ_mSR_ST_bEUlT_E_NS1_11comp_targetILNS1_3genE0ELNS1_11target_archE4294967295ELNS1_3gpuE0ELNS1_3repE0EEENS1_30default_config_static_selectorELNS0_4arch9wavefront6targetE0EEEvT1_,comdat
	.globl	_ZN7rocprim17ROCPRIM_400000_NS6detail17trampoline_kernelINS0_14default_configENS1_25transform_config_selectorIlLb0EEEZNS1_14transform_implILb0ES3_S5_NS0_18transform_iteratorINS0_17counting_iteratorImlEEZNS1_24adjacent_difference_implIS3_Lb1ELb0EPlSB_ZN2at6native12_GLOBAL__N_124unique_dim_cuda_templateIhEESt5tupleIJNSC_6TensorESH_SH_EERKSH_lbbbEUlllE1_EE10hipError_tPvRmT2_T3_mT4_P12ihipStream_tbEUlmE_lEESB_NS0_8identityIvEEEESM_SP_SQ_mSR_ST_bEUlT_E_NS1_11comp_targetILNS1_3genE0ELNS1_11target_archE4294967295ELNS1_3gpuE0ELNS1_3repE0EEENS1_30default_config_static_selectorELNS0_4arch9wavefront6targetE0EEEvT1_ ; -- Begin function _ZN7rocprim17ROCPRIM_400000_NS6detail17trampoline_kernelINS0_14default_configENS1_25transform_config_selectorIlLb0EEEZNS1_14transform_implILb0ES3_S5_NS0_18transform_iteratorINS0_17counting_iteratorImlEEZNS1_24adjacent_difference_implIS3_Lb1ELb0EPlSB_ZN2at6native12_GLOBAL__N_124unique_dim_cuda_templateIhEESt5tupleIJNSC_6TensorESH_SH_EERKSH_lbbbEUlllE1_EE10hipError_tPvRmT2_T3_mT4_P12ihipStream_tbEUlmE_lEESB_NS0_8identityIvEEEESM_SP_SQ_mSR_ST_bEUlT_E_NS1_11comp_targetILNS1_3genE0ELNS1_11target_archE4294967295ELNS1_3gpuE0ELNS1_3repE0EEENS1_30default_config_static_selectorELNS0_4arch9wavefront6targetE0EEEvT1_
	.p2align	8
	.type	_ZN7rocprim17ROCPRIM_400000_NS6detail17trampoline_kernelINS0_14default_configENS1_25transform_config_selectorIlLb0EEEZNS1_14transform_implILb0ES3_S5_NS0_18transform_iteratorINS0_17counting_iteratorImlEEZNS1_24adjacent_difference_implIS3_Lb1ELb0EPlSB_ZN2at6native12_GLOBAL__N_124unique_dim_cuda_templateIhEESt5tupleIJNSC_6TensorESH_SH_EERKSH_lbbbEUlllE1_EE10hipError_tPvRmT2_T3_mT4_P12ihipStream_tbEUlmE_lEESB_NS0_8identityIvEEEESM_SP_SQ_mSR_ST_bEUlT_E_NS1_11comp_targetILNS1_3genE0ELNS1_11target_archE4294967295ELNS1_3gpuE0ELNS1_3repE0EEENS1_30default_config_static_selectorELNS0_4arch9wavefront6targetE0EEEvT1_,@function
_ZN7rocprim17ROCPRIM_400000_NS6detail17trampoline_kernelINS0_14default_configENS1_25transform_config_selectorIlLb0EEEZNS1_14transform_implILb0ES3_S5_NS0_18transform_iteratorINS0_17counting_iteratorImlEEZNS1_24adjacent_difference_implIS3_Lb1ELb0EPlSB_ZN2at6native12_GLOBAL__N_124unique_dim_cuda_templateIhEESt5tupleIJNSC_6TensorESH_SH_EERKSH_lbbbEUlllE1_EE10hipError_tPvRmT2_T3_mT4_P12ihipStream_tbEUlmE_lEESB_NS0_8identityIvEEEESM_SP_SQ_mSR_ST_bEUlT_E_NS1_11comp_targetILNS1_3genE0ELNS1_11target_archE4294967295ELNS1_3gpuE0ELNS1_3repE0EEENS1_30default_config_static_selectorELNS0_4arch9wavefront6targetE0EEEvT1_: ; @_ZN7rocprim17ROCPRIM_400000_NS6detail17trampoline_kernelINS0_14default_configENS1_25transform_config_selectorIlLb0EEEZNS1_14transform_implILb0ES3_S5_NS0_18transform_iteratorINS0_17counting_iteratorImlEEZNS1_24adjacent_difference_implIS3_Lb1ELb0EPlSB_ZN2at6native12_GLOBAL__N_124unique_dim_cuda_templateIhEESt5tupleIJNSC_6TensorESH_SH_EERKSH_lbbbEUlllE1_EE10hipError_tPvRmT2_T3_mT4_P12ihipStream_tbEUlmE_lEESB_NS0_8identityIvEEEESM_SP_SQ_mSR_ST_bEUlT_E_NS1_11comp_targetILNS1_3genE0ELNS1_11target_archE4294967295ELNS1_3gpuE0ELNS1_3repE0EEENS1_30default_config_static_selectorELNS0_4arch9wavefront6targetE0EEEvT1_
; %bb.0:
	.section	.rodata,"a",@progbits
	.p2align	6, 0x0
	.amdhsa_kernel _ZN7rocprim17ROCPRIM_400000_NS6detail17trampoline_kernelINS0_14default_configENS1_25transform_config_selectorIlLb0EEEZNS1_14transform_implILb0ES3_S5_NS0_18transform_iteratorINS0_17counting_iteratorImlEEZNS1_24adjacent_difference_implIS3_Lb1ELb0EPlSB_ZN2at6native12_GLOBAL__N_124unique_dim_cuda_templateIhEESt5tupleIJNSC_6TensorESH_SH_EERKSH_lbbbEUlllE1_EE10hipError_tPvRmT2_T3_mT4_P12ihipStream_tbEUlmE_lEESB_NS0_8identityIvEEEESM_SP_SQ_mSR_ST_bEUlT_E_NS1_11comp_targetILNS1_3genE0ELNS1_11target_archE4294967295ELNS1_3gpuE0ELNS1_3repE0EEENS1_30default_config_static_selectorELNS0_4arch9wavefront6targetE0EEEvT1_
		.amdhsa_group_segment_fixed_size 0
		.amdhsa_private_segment_fixed_size 0
		.amdhsa_kernarg_size 56
		.amdhsa_user_sgpr_count 15
		.amdhsa_user_sgpr_dispatch_ptr 0
		.amdhsa_user_sgpr_queue_ptr 0
		.amdhsa_user_sgpr_kernarg_segment_ptr 1
		.amdhsa_user_sgpr_dispatch_id 0
		.amdhsa_user_sgpr_private_segment_size 0
		.amdhsa_wavefront_size32 1
		.amdhsa_uses_dynamic_stack 0
		.amdhsa_enable_private_segment 0
		.amdhsa_system_sgpr_workgroup_id_x 1
		.amdhsa_system_sgpr_workgroup_id_y 0
		.amdhsa_system_sgpr_workgroup_id_z 0
		.amdhsa_system_sgpr_workgroup_info 0
		.amdhsa_system_vgpr_workitem_id 0
		.amdhsa_next_free_vgpr 1
		.amdhsa_next_free_sgpr 1
		.amdhsa_reserve_vcc 0
		.amdhsa_float_round_mode_32 0
		.amdhsa_float_round_mode_16_64 0
		.amdhsa_float_denorm_mode_32 3
		.amdhsa_float_denorm_mode_16_64 3
		.amdhsa_dx10_clamp 1
		.amdhsa_ieee_mode 1
		.amdhsa_fp16_overflow 0
		.amdhsa_workgroup_processor_mode 1
		.amdhsa_memory_ordered 1
		.amdhsa_forward_progress 0
		.amdhsa_shared_vgpr_count 0
		.amdhsa_exception_fp_ieee_invalid_op 0
		.amdhsa_exception_fp_denorm_src 0
		.amdhsa_exception_fp_ieee_div_zero 0
		.amdhsa_exception_fp_ieee_overflow 0
		.amdhsa_exception_fp_ieee_underflow 0
		.amdhsa_exception_fp_ieee_inexact 0
		.amdhsa_exception_int_div_zero 0
	.end_amdhsa_kernel
	.section	.text._ZN7rocprim17ROCPRIM_400000_NS6detail17trampoline_kernelINS0_14default_configENS1_25transform_config_selectorIlLb0EEEZNS1_14transform_implILb0ES3_S5_NS0_18transform_iteratorINS0_17counting_iteratorImlEEZNS1_24adjacent_difference_implIS3_Lb1ELb0EPlSB_ZN2at6native12_GLOBAL__N_124unique_dim_cuda_templateIhEESt5tupleIJNSC_6TensorESH_SH_EERKSH_lbbbEUlllE1_EE10hipError_tPvRmT2_T3_mT4_P12ihipStream_tbEUlmE_lEESB_NS0_8identityIvEEEESM_SP_SQ_mSR_ST_bEUlT_E_NS1_11comp_targetILNS1_3genE0ELNS1_11target_archE4294967295ELNS1_3gpuE0ELNS1_3repE0EEENS1_30default_config_static_selectorELNS0_4arch9wavefront6targetE0EEEvT1_,"axG",@progbits,_ZN7rocprim17ROCPRIM_400000_NS6detail17trampoline_kernelINS0_14default_configENS1_25transform_config_selectorIlLb0EEEZNS1_14transform_implILb0ES3_S5_NS0_18transform_iteratorINS0_17counting_iteratorImlEEZNS1_24adjacent_difference_implIS3_Lb1ELb0EPlSB_ZN2at6native12_GLOBAL__N_124unique_dim_cuda_templateIhEESt5tupleIJNSC_6TensorESH_SH_EERKSH_lbbbEUlllE1_EE10hipError_tPvRmT2_T3_mT4_P12ihipStream_tbEUlmE_lEESB_NS0_8identityIvEEEESM_SP_SQ_mSR_ST_bEUlT_E_NS1_11comp_targetILNS1_3genE0ELNS1_11target_archE4294967295ELNS1_3gpuE0ELNS1_3repE0EEENS1_30default_config_static_selectorELNS0_4arch9wavefront6targetE0EEEvT1_,comdat
.Lfunc_end66:
	.size	_ZN7rocprim17ROCPRIM_400000_NS6detail17trampoline_kernelINS0_14default_configENS1_25transform_config_selectorIlLb0EEEZNS1_14transform_implILb0ES3_S5_NS0_18transform_iteratorINS0_17counting_iteratorImlEEZNS1_24adjacent_difference_implIS3_Lb1ELb0EPlSB_ZN2at6native12_GLOBAL__N_124unique_dim_cuda_templateIhEESt5tupleIJNSC_6TensorESH_SH_EERKSH_lbbbEUlllE1_EE10hipError_tPvRmT2_T3_mT4_P12ihipStream_tbEUlmE_lEESB_NS0_8identityIvEEEESM_SP_SQ_mSR_ST_bEUlT_E_NS1_11comp_targetILNS1_3genE0ELNS1_11target_archE4294967295ELNS1_3gpuE0ELNS1_3repE0EEENS1_30default_config_static_selectorELNS0_4arch9wavefront6targetE0EEEvT1_, .Lfunc_end66-_ZN7rocprim17ROCPRIM_400000_NS6detail17trampoline_kernelINS0_14default_configENS1_25transform_config_selectorIlLb0EEEZNS1_14transform_implILb0ES3_S5_NS0_18transform_iteratorINS0_17counting_iteratorImlEEZNS1_24adjacent_difference_implIS3_Lb1ELb0EPlSB_ZN2at6native12_GLOBAL__N_124unique_dim_cuda_templateIhEESt5tupleIJNSC_6TensorESH_SH_EERKSH_lbbbEUlllE1_EE10hipError_tPvRmT2_T3_mT4_P12ihipStream_tbEUlmE_lEESB_NS0_8identityIvEEEESM_SP_SQ_mSR_ST_bEUlT_E_NS1_11comp_targetILNS1_3genE0ELNS1_11target_archE4294967295ELNS1_3gpuE0ELNS1_3repE0EEENS1_30default_config_static_selectorELNS0_4arch9wavefront6targetE0EEEvT1_
                                        ; -- End function
	.section	.AMDGPU.csdata,"",@progbits
; Kernel info:
; codeLenInByte = 0
; NumSgprs: 0
; NumVgprs: 0
; ScratchSize: 0
; MemoryBound: 0
; FloatMode: 240
; IeeeMode: 1
; LDSByteSize: 0 bytes/workgroup (compile time only)
; SGPRBlocks: 0
; VGPRBlocks: 0
; NumSGPRsForWavesPerEU: 1
; NumVGPRsForWavesPerEU: 1
; Occupancy: 16
; WaveLimiterHint : 0
; COMPUTE_PGM_RSRC2:SCRATCH_EN: 0
; COMPUTE_PGM_RSRC2:USER_SGPR: 15
; COMPUTE_PGM_RSRC2:TRAP_HANDLER: 0
; COMPUTE_PGM_RSRC2:TGID_X_EN: 1
; COMPUTE_PGM_RSRC2:TGID_Y_EN: 0
; COMPUTE_PGM_RSRC2:TGID_Z_EN: 0
; COMPUTE_PGM_RSRC2:TIDIG_COMP_CNT: 0
	.section	.text._ZN7rocprim17ROCPRIM_400000_NS6detail17trampoline_kernelINS0_14default_configENS1_25transform_config_selectorIlLb0EEEZNS1_14transform_implILb0ES3_S5_NS0_18transform_iteratorINS0_17counting_iteratorImlEEZNS1_24adjacent_difference_implIS3_Lb1ELb0EPlSB_ZN2at6native12_GLOBAL__N_124unique_dim_cuda_templateIhEESt5tupleIJNSC_6TensorESH_SH_EERKSH_lbbbEUlllE1_EE10hipError_tPvRmT2_T3_mT4_P12ihipStream_tbEUlmE_lEESB_NS0_8identityIvEEEESM_SP_SQ_mSR_ST_bEUlT_E_NS1_11comp_targetILNS1_3genE5ELNS1_11target_archE942ELNS1_3gpuE9ELNS1_3repE0EEENS1_30default_config_static_selectorELNS0_4arch9wavefront6targetE0EEEvT1_,"axG",@progbits,_ZN7rocprim17ROCPRIM_400000_NS6detail17trampoline_kernelINS0_14default_configENS1_25transform_config_selectorIlLb0EEEZNS1_14transform_implILb0ES3_S5_NS0_18transform_iteratorINS0_17counting_iteratorImlEEZNS1_24adjacent_difference_implIS3_Lb1ELb0EPlSB_ZN2at6native12_GLOBAL__N_124unique_dim_cuda_templateIhEESt5tupleIJNSC_6TensorESH_SH_EERKSH_lbbbEUlllE1_EE10hipError_tPvRmT2_T3_mT4_P12ihipStream_tbEUlmE_lEESB_NS0_8identityIvEEEESM_SP_SQ_mSR_ST_bEUlT_E_NS1_11comp_targetILNS1_3genE5ELNS1_11target_archE942ELNS1_3gpuE9ELNS1_3repE0EEENS1_30default_config_static_selectorELNS0_4arch9wavefront6targetE0EEEvT1_,comdat
	.globl	_ZN7rocprim17ROCPRIM_400000_NS6detail17trampoline_kernelINS0_14default_configENS1_25transform_config_selectorIlLb0EEEZNS1_14transform_implILb0ES3_S5_NS0_18transform_iteratorINS0_17counting_iteratorImlEEZNS1_24adjacent_difference_implIS3_Lb1ELb0EPlSB_ZN2at6native12_GLOBAL__N_124unique_dim_cuda_templateIhEESt5tupleIJNSC_6TensorESH_SH_EERKSH_lbbbEUlllE1_EE10hipError_tPvRmT2_T3_mT4_P12ihipStream_tbEUlmE_lEESB_NS0_8identityIvEEEESM_SP_SQ_mSR_ST_bEUlT_E_NS1_11comp_targetILNS1_3genE5ELNS1_11target_archE942ELNS1_3gpuE9ELNS1_3repE0EEENS1_30default_config_static_selectorELNS0_4arch9wavefront6targetE0EEEvT1_ ; -- Begin function _ZN7rocprim17ROCPRIM_400000_NS6detail17trampoline_kernelINS0_14default_configENS1_25transform_config_selectorIlLb0EEEZNS1_14transform_implILb0ES3_S5_NS0_18transform_iteratorINS0_17counting_iteratorImlEEZNS1_24adjacent_difference_implIS3_Lb1ELb0EPlSB_ZN2at6native12_GLOBAL__N_124unique_dim_cuda_templateIhEESt5tupleIJNSC_6TensorESH_SH_EERKSH_lbbbEUlllE1_EE10hipError_tPvRmT2_T3_mT4_P12ihipStream_tbEUlmE_lEESB_NS0_8identityIvEEEESM_SP_SQ_mSR_ST_bEUlT_E_NS1_11comp_targetILNS1_3genE5ELNS1_11target_archE942ELNS1_3gpuE9ELNS1_3repE0EEENS1_30default_config_static_selectorELNS0_4arch9wavefront6targetE0EEEvT1_
	.p2align	8
	.type	_ZN7rocprim17ROCPRIM_400000_NS6detail17trampoline_kernelINS0_14default_configENS1_25transform_config_selectorIlLb0EEEZNS1_14transform_implILb0ES3_S5_NS0_18transform_iteratorINS0_17counting_iteratorImlEEZNS1_24adjacent_difference_implIS3_Lb1ELb0EPlSB_ZN2at6native12_GLOBAL__N_124unique_dim_cuda_templateIhEESt5tupleIJNSC_6TensorESH_SH_EERKSH_lbbbEUlllE1_EE10hipError_tPvRmT2_T3_mT4_P12ihipStream_tbEUlmE_lEESB_NS0_8identityIvEEEESM_SP_SQ_mSR_ST_bEUlT_E_NS1_11comp_targetILNS1_3genE5ELNS1_11target_archE942ELNS1_3gpuE9ELNS1_3repE0EEENS1_30default_config_static_selectorELNS0_4arch9wavefront6targetE0EEEvT1_,@function
_ZN7rocprim17ROCPRIM_400000_NS6detail17trampoline_kernelINS0_14default_configENS1_25transform_config_selectorIlLb0EEEZNS1_14transform_implILb0ES3_S5_NS0_18transform_iteratorINS0_17counting_iteratorImlEEZNS1_24adjacent_difference_implIS3_Lb1ELb0EPlSB_ZN2at6native12_GLOBAL__N_124unique_dim_cuda_templateIhEESt5tupleIJNSC_6TensorESH_SH_EERKSH_lbbbEUlllE1_EE10hipError_tPvRmT2_T3_mT4_P12ihipStream_tbEUlmE_lEESB_NS0_8identityIvEEEESM_SP_SQ_mSR_ST_bEUlT_E_NS1_11comp_targetILNS1_3genE5ELNS1_11target_archE942ELNS1_3gpuE9ELNS1_3repE0EEENS1_30default_config_static_selectorELNS0_4arch9wavefront6targetE0EEEvT1_: ; @_ZN7rocprim17ROCPRIM_400000_NS6detail17trampoline_kernelINS0_14default_configENS1_25transform_config_selectorIlLb0EEEZNS1_14transform_implILb0ES3_S5_NS0_18transform_iteratorINS0_17counting_iteratorImlEEZNS1_24adjacent_difference_implIS3_Lb1ELb0EPlSB_ZN2at6native12_GLOBAL__N_124unique_dim_cuda_templateIhEESt5tupleIJNSC_6TensorESH_SH_EERKSH_lbbbEUlllE1_EE10hipError_tPvRmT2_T3_mT4_P12ihipStream_tbEUlmE_lEESB_NS0_8identityIvEEEESM_SP_SQ_mSR_ST_bEUlT_E_NS1_11comp_targetILNS1_3genE5ELNS1_11target_archE942ELNS1_3gpuE9ELNS1_3repE0EEENS1_30default_config_static_selectorELNS0_4arch9wavefront6targetE0EEEvT1_
; %bb.0:
	.section	.rodata,"a",@progbits
	.p2align	6, 0x0
	.amdhsa_kernel _ZN7rocprim17ROCPRIM_400000_NS6detail17trampoline_kernelINS0_14default_configENS1_25transform_config_selectorIlLb0EEEZNS1_14transform_implILb0ES3_S5_NS0_18transform_iteratorINS0_17counting_iteratorImlEEZNS1_24adjacent_difference_implIS3_Lb1ELb0EPlSB_ZN2at6native12_GLOBAL__N_124unique_dim_cuda_templateIhEESt5tupleIJNSC_6TensorESH_SH_EERKSH_lbbbEUlllE1_EE10hipError_tPvRmT2_T3_mT4_P12ihipStream_tbEUlmE_lEESB_NS0_8identityIvEEEESM_SP_SQ_mSR_ST_bEUlT_E_NS1_11comp_targetILNS1_3genE5ELNS1_11target_archE942ELNS1_3gpuE9ELNS1_3repE0EEENS1_30default_config_static_selectorELNS0_4arch9wavefront6targetE0EEEvT1_
		.amdhsa_group_segment_fixed_size 0
		.amdhsa_private_segment_fixed_size 0
		.amdhsa_kernarg_size 56
		.amdhsa_user_sgpr_count 15
		.amdhsa_user_sgpr_dispatch_ptr 0
		.amdhsa_user_sgpr_queue_ptr 0
		.amdhsa_user_sgpr_kernarg_segment_ptr 1
		.amdhsa_user_sgpr_dispatch_id 0
		.amdhsa_user_sgpr_private_segment_size 0
		.amdhsa_wavefront_size32 1
		.amdhsa_uses_dynamic_stack 0
		.amdhsa_enable_private_segment 0
		.amdhsa_system_sgpr_workgroup_id_x 1
		.amdhsa_system_sgpr_workgroup_id_y 0
		.amdhsa_system_sgpr_workgroup_id_z 0
		.amdhsa_system_sgpr_workgroup_info 0
		.amdhsa_system_vgpr_workitem_id 0
		.amdhsa_next_free_vgpr 1
		.amdhsa_next_free_sgpr 1
		.amdhsa_reserve_vcc 0
		.amdhsa_float_round_mode_32 0
		.amdhsa_float_round_mode_16_64 0
		.amdhsa_float_denorm_mode_32 3
		.amdhsa_float_denorm_mode_16_64 3
		.amdhsa_dx10_clamp 1
		.amdhsa_ieee_mode 1
		.amdhsa_fp16_overflow 0
		.amdhsa_workgroup_processor_mode 1
		.amdhsa_memory_ordered 1
		.amdhsa_forward_progress 0
		.amdhsa_shared_vgpr_count 0
		.amdhsa_exception_fp_ieee_invalid_op 0
		.amdhsa_exception_fp_denorm_src 0
		.amdhsa_exception_fp_ieee_div_zero 0
		.amdhsa_exception_fp_ieee_overflow 0
		.amdhsa_exception_fp_ieee_underflow 0
		.amdhsa_exception_fp_ieee_inexact 0
		.amdhsa_exception_int_div_zero 0
	.end_amdhsa_kernel
	.section	.text._ZN7rocprim17ROCPRIM_400000_NS6detail17trampoline_kernelINS0_14default_configENS1_25transform_config_selectorIlLb0EEEZNS1_14transform_implILb0ES3_S5_NS0_18transform_iteratorINS0_17counting_iteratorImlEEZNS1_24adjacent_difference_implIS3_Lb1ELb0EPlSB_ZN2at6native12_GLOBAL__N_124unique_dim_cuda_templateIhEESt5tupleIJNSC_6TensorESH_SH_EERKSH_lbbbEUlllE1_EE10hipError_tPvRmT2_T3_mT4_P12ihipStream_tbEUlmE_lEESB_NS0_8identityIvEEEESM_SP_SQ_mSR_ST_bEUlT_E_NS1_11comp_targetILNS1_3genE5ELNS1_11target_archE942ELNS1_3gpuE9ELNS1_3repE0EEENS1_30default_config_static_selectorELNS0_4arch9wavefront6targetE0EEEvT1_,"axG",@progbits,_ZN7rocprim17ROCPRIM_400000_NS6detail17trampoline_kernelINS0_14default_configENS1_25transform_config_selectorIlLb0EEEZNS1_14transform_implILb0ES3_S5_NS0_18transform_iteratorINS0_17counting_iteratorImlEEZNS1_24adjacent_difference_implIS3_Lb1ELb0EPlSB_ZN2at6native12_GLOBAL__N_124unique_dim_cuda_templateIhEESt5tupleIJNSC_6TensorESH_SH_EERKSH_lbbbEUlllE1_EE10hipError_tPvRmT2_T3_mT4_P12ihipStream_tbEUlmE_lEESB_NS0_8identityIvEEEESM_SP_SQ_mSR_ST_bEUlT_E_NS1_11comp_targetILNS1_3genE5ELNS1_11target_archE942ELNS1_3gpuE9ELNS1_3repE0EEENS1_30default_config_static_selectorELNS0_4arch9wavefront6targetE0EEEvT1_,comdat
.Lfunc_end67:
	.size	_ZN7rocprim17ROCPRIM_400000_NS6detail17trampoline_kernelINS0_14default_configENS1_25transform_config_selectorIlLb0EEEZNS1_14transform_implILb0ES3_S5_NS0_18transform_iteratorINS0_17counting_iteratorImlEEZNS1_24adjacent_difference_implIS3_Lb1ELb0EPlSB_ZN2at6native12_GLOBAL__N_124unique_dim_cuda_templateIhEESt5tupleIJNSC_6TensorESH_SH_EERKSH_lbbbEUlllE1_EE10hipError_tPvRmT2_T3_mT4_P12ihipStream_tbEUlmE_lEESB_NS0_8identityIvEEEESM_SP_SQ_mSR_ST_bEUlT_E_NS1_11comp_targetILNS1_3genE5ELNS1_11target_archE942ELNS1_3gpuE9ELNS1_3repE0EEENS1_30default_config_static_selectorELNS0_4arch9wavefront6targetE0EEEvT1_, .Lfunc_end67-_ZN7rocprim17ROCPRIM_400000_NS6detail17trampoline_kernelINS0_14default_configENS1_25transform_config_selectorIlLb0EEEZNS1_14transform_implILb0ES3_S5_NS0_18transform_iteratorINS0_17counting_iteratorImlEEZNS1_24adjacent_difference_implIS3_Lb1ELb0EPlSB_ZN2at6native12_GLOBAL__N_124unique_dim_cuda_templateIhEESt5tupleIJNSC_6TensorESH_SH_EERKSH_lbbbEUlllE1_EE10hipError_tPvRmT2_T3_mT4_P12ihipStream_tbEUlmE_lEESB_NS0_8identityIvEEEESM_SP_SQ_mSR_ST_bEUlT_E_NS1_11comp_targetILNS1_3genE5ELNS1_11target_archE942ELNS1_3gpuE9ELNS1_3repE0EEENS1_30default_config_static_selectorELNS0_4arch9wavefront6targetE0EEEvT1_
                                        ; -- End function
	.section	.AMDGPU.csdata,"",@progbits
; Kernel info:
; codeLenInByte = 0
; NumSgprs: 0
; NumVgprs: 0
; ScratchSize: 0
; MemoryBound: 0
; FloatMode: 240
; IeeeMode: 1
; LDSByteSize: 0 bytes/workgroup (compile time only)
; SGPRBlocks: 0
; VGPRBlocks: 0
; NumSGPRsForWavesPerEU: 1
; NumVGPRsForWavesPerEU: 1
; Occupancy: 16
; WaveLimiterHint : 0
; COMPUTE_PGM_RSRC2:SCRATCH_EN: 0
; COMPUTE_PGM_RSRC2:USER_SGPR: 15
; COMPUTE_PGM_RSRC2:TRAP_HANDLER: 0
; COMPUTE_PGM_RSRC2:TGID_X_EN: 1
; COMPUTE_PGM_RSRC2:TGID_Y_EN: 0
; COMPUTE_PGM_RSRC2:TGID_Z_EN: 0
; COMPUTE_PGM_RSRC2:TIDIG_COMP_CNT: 0
	.section	.text._ZN7rocprim17ROCPRIM_400000_NS6detail17trampoline_kernelINS0_14default_configENS1_25transform_config_selectorIlLb0EEEZNS1_14transform_implILb0ES3_S5_NS0_18transform_iteratorINS0_17counting_iteratorImlEEZNS1_24adjacent_difference_implIS3_Lb1ELb0EPlSB_ZN2at6native12_GLOBAL__N_124unique_dim_cuda_templateIhEESt5tupleIJNSC_6TensorESH_SH_EERKSH_lbbbEUlllE1_EE10hipError_tPvRmT2_T3_mT4_P12ihipStream_tbEUlmE_lEESB_NS0_8identityIvEEEESM_SP_SQ_mSR_ST_bEUlT_E_NS1_11comp_targetILNS1_3genE4ELNS1_11target_archE910ELNS1_3gpuE8ELNS1_3repE0EEENS1_30default_config_static_selectorELNS0_4arch9wavefront6targetE0EEEvT1_,"axG",@progbits,_ZN7rocprim17ROCPRIM_400000_NS6detail17trampoline_kernelINS0_14default_configENS1_25transform_config_selectorIlLb0EEEZNS1_14transform_implILb0ES3_S5_NS0_18transform_iteratorINS0_17counting_iteratorImlEEZNS1_24adjacent_difference_implIS3_Lb1ELb0EPlSB_ZN2at6native12_GLOBAL__N_124unique_dim_cuda_templateIhEESt5tupleIJNSC_6TensorESH_SH_EERKSH_lbbbEUlllE1_EE10hipError_tPvRmT2_T3_mT4_P12ihipStream_tbEUlmE_lEESB_NS0_8identityIvEEEESM_SP_SQ_mSR_ST_bEUlT_E_NS1_11comp_targetILNS1_3genE4ELNS1_11target_archE910ELNS1_3gpuE8ELNS1_3repE0EEENS1_30default_config_static_selectorELNS0_4arch9wavefront6targetE0EEEvT1_,comdat
	.globl	_ZN7rocprim17ROCPRIM_400000_NS6detail17trampoline_kernelINS0_14default_configENS1_25transform_config_selectorIlLb0EEEZNS1_14transform_implILb0ES3_S5_NS0_18transform_iteratorINS0_17counting_iteratorImlEEZNS1_24adjacent_difference_implIS3_Lb1ELb0EPlSB_ZN2at6native12_GLOBAL__N_124unique_dim_cuda_templateIhEESt5tupleIJNSC_6TensorESH_SH_EERKSH_lbbbEUlllE1_EE10hipError_tPvRmT2_T3_mT4_P12ihipStream_tbEUlmE_lEESB_NS0_8identityIvEEEESM_SP_SQ_mSR_ST_bEUlT_E_NS1_11comp_targetILNS1_3genE4ELNS1_11target_archE910ELNS1_3gpuE8ELNS1_3repE0EEENS1_30default_config_static_selectorELNS0_4arch9wavefront6targetE0EEEvT1_ ; -- Begin function _ZN7rocprim17ROCPRIM_400000_NS6detail17trampoline_kernelINS0_14default_configENS1_25transform_config_selectorIlLb0EEEZNS1_14transform_implILb0ES3_S5_NS0_18transform_iteratorINS0_17counting_iteratorImlEEZNS1_24adjacent_difference_implIS3_Lb1ELb0EPlSB_ZN2at6native12_GLOBAL__N_124unique_dim_cuda_templateIhEESt5tupleIJNSC_6TensorESH_SH_EERKSH_lbbbEUlllE1_EE10hipError_tPvRmT2_T3_mT4_P12ihipStream_tbEUlmE_lEESB_NS0_8identityIvEEEESM_SP_SQ_mSR_ST_bEUlT_E_NS1_11comp_targetILNS1_3genE4ELNS1_11target_archE910ELNS1_3gpuE8ELNS1_3repE0EEENS1_30default_config_static_selectorELNS0_4arch9wavefront6targetE0EEEvT1_
	.p2align	8
	.type	_ZN7rocprim17ROCPRIM_400000_NS6detail17trampoline_kernelINS0_14default_configENS1_25transform_config_selectorIlLb0EEEZNS1_14transform_implILb0ES3_S5_NS0_18transform_iteratorINS0_17counting_iteratorImlEEZNS1_24adjacent_difference_implIS3_Lb1ELb0EPlSB_ZN2at6native12_GLOBAL__N_124unique_dim_cuda_templateIhEESt5tupleIJNSC_6TensorESH_SH_EERKSH_lbbbEUlllE1_EE10hipError_tPvRmT2_T3_mT4_P12ihipStream_tbEUlmE_lEESB_NS0_8identityIvEEEESM_SP_SQ_mSR_ST_bEUlT_E_NS1_11comp_targetILNS1_3genE4ELNS1_11target_archE910ELNS1_3gpuE8ELNS1_3repE0EEENS1_30default_config_static_selectorELNS0_4arch9wavefront6targetE0EEEvT1_,@function
_ZN7rocprim17ROCPRIM_400000_NS6detail17trampoline_kernelINS0_14default_configENS1_25transform_config_selectorIlLb0EEEZNS1_14transform_implILb0ES3_S5_NS0_18transform_iteratorINS0_17counting_iteratorImlEEZNS1_24adjacent_difference_implIS3_Lb1ELb0EPlSB_ZN2at6native12_GLOBAL__N_124unique_dim_cuda_templateIhEESt5tupleIJNSC_6TensorESH_SH_EERKSH_lbbbEUlllE1_EE10hipError_tPvRmT2_T3_mT4_P12ihipStream_tbEUlmE_lEESB_NS0_8identityIvEEEESM_SP_SQ_mSR_ST_bEUlT_E_NS1_11comp_targetILNS1_3genE4ELNS1_11target_archE910ELNS1_3gpuE8ELNS1_3repE0EEENS1_30default_config_static_selectorELNS0_4arch9wavefront6targetE0EEEvT1_: ; @_ZN7rocprim17ROCPRIM_400000_NS6detail17trampoline_kernelINS0_14default_configENS1_25transform_config_selectorIlLb0EEEZNS1_14transform_implILb0ES3_S5_NS0_18transform_iteratorINS0_17counting_iteratorImlEEZNS1_24adjacent_difference_implIS3_Lb1ELb0EPlSB_ZN2at6native12_GLOBAL__N_124unique_dim_cuda_templateIhEESt5tupleIJNSC_6TensorESH_SH_EERKSH_lbbbEUlllE1_EE10hipError_tPvRmT2_T3_mT4_P12ihipStream_tbEUlmE_lEESB_NS0_8identityIvEEEESM_SP_SQ_mSR_ST_bEUlT_E_NS1_11comp_targetILNS1_3genE4ELNS1_11target_archE910ELNS1_3gpuE8ELNS1_3repE0EEENS1_30default_config_static_selectorELNS0_4arch9wavefront6targetE0EEEvT1_
; %bb.0:
	.section	.rodata,"a",@progbits
	.p2align	6, 0x0
	.amdhsa_kernel _ZN7rocprim17ROCPRIM_400000_NS6detail17trampoline_kernelINS0_14default_configENS1_25transform_config_selectorIlLb0EEEZNS1_14transform_implILb0ES3_S5_NS0_18transform_iteratorINS0_17counting_iteratorImlEEZNS1_24adjacent_difference_implIS3_Lb1ELb0EPlSB_ZN2at6native12_GLOBAL__N_124unique_dim_cuda_templateIhEESt5tupleIJNSC_6TensorESH_SH_EERKSH_lbbbEUlllE1_EE10hipError_tPvRmT2_T3_mT4_P12ihipStream_tbEUlmE_lEESB_NS0_8identityIvEEEESM_SP_SQ_mSR_ST_bEUlT_E_NS1_11comp_targetILNS1_3genE4ELNS1_11target_archE910ELNS1_3gpuE8ELNS1_3repE0EEENS1_30default_config_static_selectorELNS0_4arch9wavefront6targetE0EEEvT1_
		.amdhsa_group_segment_fixed_size 0
		.amdhsa_private_segment_fixed_size 0
		.amdhsa_kernarg_size 56
		.amdhsa_user_sgpr_count 15
		.amdhsa_user_sgpr_dispatch_ptr 0
		.amdhsa_user_sgpr_queue_ptr 0
		.amdhsa_user_sgpr_kernarg_segment_ptr 1
		.amdhsa_user_sgpr_dispatch_id 0
		.amdhsa_user_sgpr_private_segment_size 0
		.amdhsa_wavefront_size32 1
		.amdhsa_uses_dynamic_stack 0
		.amdhsa_enable_private_segment 0
		.amdhsa_system_sgpr_workgroup_id_x 1
		.amdhsa_system_sgpr_workgroup_id_y 0
		.amdhsa_system_sgpr_workgroup_id_z 0
		.amdhsa_system_sgpr_workgroup_info 0
		.amdhsa_system_vgpr_workitem_id 0
		.amdhsa_next_free_vgpr 1
		.amdhsa_next_free_sgpr 1
		.amdhsa_reserve_vcc 0
		.amdhsa_float_round_mode_32 0
		.amdhsa_float_round_mode_16_64 0
		.amdhsa_float_denorm_mode_32 3
		.amdhsa_float_denorm_mode_16_64 3
		.amdhsa_dx10_clamp 1
		.amdhsa_ieee_mode 1
		.amdhsa_fp16_overflow 0
		.amdhsa_workgroup_processor_mode 1
		.amdhsa_memory_ordered 1
		.amdhsa_forward_progress 0
		.amdhsa_shared_vgpr_count 0
		.amdhsa_exception_fp_ieee_invalid_op 0
		.amdhsa_exception_fp_denorm_src 0
		.amdhsa_exception_fp_ieee_div_zero 0
		.amdhsa_exception_fp_ieee_overflow 0
		.amdhsa_exception_fp_ieee_underflow 0
		.amdhsa_exception_fp_ieee_inexact 0
		.amdhsa_exception_int_div_zero 0
	.end_amdhsa_kernel
	.section	.text._ZN7rocprim17ROCPRIM_400000_NS6detail17trampoline_kernelINS0_14default_configENS1_25transform_config_selectorIlLb0EEEZNS1_14transform_implILb0ES3_S5_NS0_18transform_iteratorINS0_17counting_iteratorImlEEZNS1_24adjacent_difference_implIS3_Lb1ELb0EPlSB_ZN2at6native12_GLOBAL__N_124unique_dim_cuda_templateIhEESt5tupleIJNSC_6TensorESH_SH_EERKSH_lbbbEUlllE1_EE10hipError_tPvRmT2_T3_mT4_P12ihipStream_tbEUlmE_lEESB_NS0_8identityIvEEEESM_SP_SQ_mSR_ST_bEUlT_E_NS1_11comp_targetILNS1_3genE4ELNS1_11target_archE910ELNS1_3gpuE8ELNS1_3repE0EEENS1_30default_config_static_selectorELNS0_4arch9wavefront6targetE0EEEvT1_,"axG",@progbits,_ZN7rocprim17ROCPRIM_400000_NS6detail17trampoline_kernelINS0_14default_configENS1_25transform_config_selectorIlLb0EEEZNS1_14transform_implILb0ES3_S5_NS0_18transform_iteratorINS0_17counting_iteratorImlEEZNS1_24adjacent_difference_implIS3_Lb1ELb0EPlSB_ZN2at6native12_GLOBAL__N_124unique_dim_cuda_templateIhEESt5tupleIJNSC_6TensorESH_SH_EERKSH_lbbbEUlllE1_EE10hipError_tPvRmT2_T3_mT4_P12ihipStream_tbEUlmE_lEESB_NS0_8identityIvEEEESM_SP_SQ_mSR_ST_bEUlT_E_NS1_11comp_targetILNS1_3genE4ELNS1_11target_archE910ELNS1_3gpuE8ELNS1_3repE0EEENS1_30default_config_static_selectorELNS0_4arch9wavefront6targetE0EEEvT1_,comdat
.Lfunc_end68:
	.size	_ZN7rocprim17ROCPRIM_400000_NS6detail17trampoline_kernelINS0_14default_configENS1_25transform_config_selectorIlLb0EEEZNS1_14transform_implILb0ES3_S5_NS0_18transform_iteratorINS0_17counting_iteratorImlEEZNS1_24adjacent_difference_implIS3_Lb1ELb0EPlSB_ZN2at6native12_GLOBAL__N_124unique_dim_cuda_templateIhEESt5tupleIJNSC_6TensorESH_SH_EERKSH_lbbbEUlllE1_EE10hipError_tPvRmT2_T3_mT4_P12ihipStream_tbEUlmE_lEESB_NS0_8identityIvEEEESM_SP_SQ_mSR_ST_bEUlT_E_NS1_11comp_targetILNS1_3genE4ELNS1_11target_archE910ELNS1_3gpuE8ELNS1_3repE0EEENS1_30default_config_static_selectorELNS0_4arch9wavefront6targetE0EEEvT1_, .Lfunc_end68-_ZN7rocprim17ROCPRIM_400000_NS6detail17trampoline_kernelINS0_14default_configENS1_25transform_config_selectorIlLb0EEEZNS1_14transform_implILb0ES3_S5_NS0_18transform_iteratorINS0_17counting_iteratorImlEEZNS1_24adjacent_difference_implIS3_Lb1ELb0EPlSB_ZN2at6native12_GLOBAL__N_124unique_dim_cuda_templateIhEESt5tupleIJNSC_6TensorESH_SH_EERKSH_lbbbEUlllE1_EE10hipError_tPvRmT2_T3_mT4_P12ihipStream_tbEUlmE_lEESB_NS0_8identityIvEEEESM_SP_SQ_mSR_ST_bEUlT_E_NS1_11comp_targetILNS1_3genE4ELNS1_11target_archE910ELNS1_3gpuE8ELNS1_3repE0EEENS1_30default_config_static_selectorELNS0_4arch9wavefront6targetE0EEEvT1_
                                        ; -- End function
	.section	.AMDGPU.csdata,"",@progbits
; Kernel info:
; codeLenInByte = 0
; NumSgprs: 0
; NumVgprs: 0
; ScratchSize: 0
; MemoryBound: 0
; FloatMode: 240
; IeeeMode: 1
; LDSByteSize: 0 bytes/workgroup (compile time only)
; SGPRBlocks: 0
; VGPRBlocks: 0
; NumSGPRsForWavesPerEU: 1
; NumVGPRsForWavesPerEU: 1
; Occupancy: 16
; WaveLimiterHint : 0
; COMPUTE_PGM_RSRC2:SCRATCH_EN: 0
; COMPUTE_PGM_RSRC2:USER_SGPR: 15
; COMPUTE_PGM_RSRC2:TRAP_HANDLER: 0
; COMPUTE_PGM_RSRC2:TGID_X_EN: 1
; COMPUTE_PGM_RSRC2:TGID_Y_EN: 0
; COMPUTE_PGM_RSRC2:TGID_Z_EN: 0
; COMPUTE_PGM_RSRC2:TIDIG_COMP_CNT: 0
	.section	.text._ZN7rocprim17ROCPRIM_400000_NS6detail17trampoline_kernelINS0_14default_configENS1_25transform_config_selectorIlLb0EEEZNS1_14transform_implILb0ES3_S5_NS0_18transform_iteratorINS0_17counting_iteratorImlEEZNS1_24adjacent_difference_implIS3_Lb1ELb0EPlSB_ZN2at6native12_GLOBAL__N_124unique_dim_cuda_templateIhEESt5tupleIJNSC_6TensorESH_SH_EERKSH_lbbbEUlllE1_EE10hipError_tPvRmT2_T3_mT4_P12ihipStream_tbEUlmE_lEESB_NS0_8identityIvEEEESM_SP_SQ_mSR_ST_bEUlT_E_NS1_11comp_targetILNS1_3genE3ELNS1_11target_archE908ELNS1_3gpuE7ELNS1_3repE0EEENS1_30default_config_static_selectorELNS0_4arch9wavefront6targetE0EEEvT1_,"axG",@progbits,_ZN7rocprim17ROCPRIM_400000_NS6detail17trampoline_kernelINS0_14default_configENS1_25transform_config_selectorIlLb0EEEZNS1_14transform_implILb0ES3_S5_NS0_18transform_iteratorINS0_17counting_iteratorImlEEZNS1_24adjacent_difference_implIS3_Lb1ELb0EPlSB_ZN2at6native12_GLOBAL__N_124unique_dim_cuda_templateIhEESt5tupleIJNSC_6TensorESH_SH_EERKSH_lbbbEUlllE1_EE10hipError_tPvRmT2_T3_mT4_P12ihipStream_tbEUlmE_lEESB_NS0_8identityIvEEEESM_SP_SQ_mSR_ST_bEUlT_E_NS1_11comp_targetILNS1_3genE3ELNS1_11target_archE908ELNS1_3gpuE7ELNS1_3repE0EEENS1_30default_config_static_selectorELNS0_4arch9wavefront6targetE0EEEvT1_,comdat
	.globl	_ZN7rocprim17ROCPRIM_400000_NS6detail17trampoline_kernelINS0_14default_configENS1_25transform_config_selectorIlLb0EEEZNS1_14transform_implILb0ES3_S5_NS0_18transform_iteratorINS0_17counting_iteratorImlEEZNS1_24adjacent_difference_implIS3_Lb1ELb0EPlSB_ZN2at6native12_GLOBAL__N_124unique_dim_cuda_templateIhEESt5tupleIJNSC_6TensorESH_SH_EERKSH_lbbbEUlllE1_EE10hipError_tPvRmT2_T3_mT4_P12ihipStream_tbEUlmE_lEESB_NS0_8identityIvEEEESM_SP_SQ_mSR_ST_bEUlT_E_NS1_11comp_targetILNS1_3genE3ELNS1_11target_archE908ELNS1_3gpuE7ELNS1_3repE0EEENS1_30default_config_static_selectorELNS0_4arch9wavefront6targetE0EEEvT1_ ; -- Begin function _ZN7rocprim17ROCPRIM_400000_NS6detail17trampoline_kernelINS0_14default_configENS1_25transform_config_selectorIlLb0EEEZNS1_14transform_implILb0ES3_S5_NS0_18transform_iteratorINS0_17counting_iteratorImlEEZNS1_24adjacent_difference_implIS3_Lb1ELb0EPlSB_ZN2at6native12_GLOBAL__N_124unique_dim_cuda_templateIhEESt5tupleIJNSC_6TensorESH_SH_EERKSH_lbbbEUlllE1_EE10hipError_tPvRmT2_T3_mT4_P12ihipStream_tbEUlmE_lEESB_NS0_8identityIvEEEESM_SP_SQ_mSR_ST_bEUlT_E_NS1_11comp_targetILNS1_3genE3ELNS1_11target_archE908ELNS1_3gpuE7ELNS1_3repE0EEENS1_30default_config_static_selectorELNS0_4arch9wavefront6targetE0EEEvT1_
	.p2align	8
	.type	_ZN7rocprim17ROCPRIM_400000_NS6detail17trampoline_kernelINS0_14default_configENS1_25transform_config_selectorIlLb0EEEZNS1_14transform_implILb0ES3_S5_NS0_18transform_iteratorINS0_17counting_iteratorImlEEZNS1_24adjacent_difference_implIS3_Lb1ELb0EPlSB_ZN2at6native12_GLOBAL__N_124unique_dim_cuda_templateIhEESt5tupleIJNSC_6TensorESH_SH_EERKSH_lbbbEUlllE1_EE10hipError_tPvRmT2_T3_mT4_P12ihipStream_tbEUlmE_lEESB_NS0_8identityIvEEEESM_SP_SQ_mSR_ST_bEUlT_E_NS1_11comp_targetILNS1_3genE3ELNS1_11target_archE908ELNS1_3gpuE7ELNS1_3repE0EEENS1_30default_config_static_selectorELNS0_4arch9wavefront6targetE0EEEvT1_,@function
_ZN7rocprim17ROCPRIM_400000_NS6detail17trampoline_kernelINS0_14default_configENS1_25transform_config_selectorIlLb0EEEZNS1_14transform_implILb0ES3_S5_NS0_18transform_iteratorINS0_17counting_iteratorImlEEZNS1_24adjacent_difference_implIS3_Lb1ELb0EPlSB_ZN2at6native12_GLOBAL__N_124unique_dim_cuda_templateIhEESt5tupleIJNSC_6TensorESH_SH_EERKSH_lbbbEUlllE1_EE10hipError_tPvRmT2_T3_mT4_P12ihipStream_tbEUlmE_lEESB_NS0_8identityIvEEEESM_SP_SQ_mSR_ST_bEUlT_E_NS1_11comp_targetILNS1_3genE3ELNS1_11target_archE908ELNS1_3gpuE7ELNS1_3repE0EEENS1_30default_config_static_selectorELNS0_4arch9wavefront6targetE0EEEvT1_: ; @_ZN7rocprim17ROCPRIM_400000_NS6detail17trampoline_kernelINS0_14default_configENS1_25transform_config_selectorIlLb0EEEZNS1_14transform_implILb0ES3_S5_NS0_18transform_iteratorINS0_17counting_iteratorImlEEZNS1_24adjacent_difference_implIS3_Lb1ELb0EPlSB_ZN2at6native12_GLOBAL__N_124unique_dim_cuda_templateIhEESt5tupleIJNSC_6TensorESH_SH_EERKSH_lbbbEUlllE1_EE10hipError_tPvRmT2_T3_mT4_P12ihipStream_tbEUlmE_lEESB_NS0_8identityIvEEEESM_SP_SQ_mSR_ST_bEUlT_E_NS1_11comp_targetILNS1_3genE3ELNS1_11target_archE908ELNS1_3gpuE7ELNS1_3repE0EEENS1_30default_config_static_selectorELNS0_4arch9wavefront6targetE0EEEvT1_
; %bb.0:
	.section	.rodata,"a",@progbits
	.p2align	6, 0x0
	.amdhsa_kernel _ZN7rocprim17ROCPRIM_400000_NS6detail17trampoline_kernelINS0_14default_configENS1_25transform_config_selectorIlLb0EEEZNS1_14transform_implILb0ES3_S5_NS0_18transform_iteratorINS0_17counting_iteratorImlEEZNS1_24adjacent_difference_implIS3_Lb1ELb0EPlSB_ZN2at6native12_GLOBAL__N_124unique_dim_cuda_templateIhEESt5tupleIJNSC_6TensorESH_SH_EERKSH_lbbbEUlllE1_EE10hipError_tPvRmT2_T3_mT4_P12ihipStream_tbEUlmE_lEESB_NS0_8identityIvEEEESM_SP_SQ_mSR_ST_bEUlT_E_NS1_11comp_targetILNS1_3genE3ELNS1_11target_archE908ELNS1_3gpuE7ELNS1_3repE0EEENS1_30default_config_static_selectorELNS0_4arch9wavefront6targetE0EEEvT1_
		.amdhsa_group_segment_fixed_size 0
		.amdhsa_private_segment_fixed_size 0
		.amdhsa_kernarg_size 56
		.amdhsa_user_sgpr_count 15
		.amdhsa_user_sgpr_dispatch_ptr 0
		.amdhsa_user_sgpr_queue_ptr 0
		.amdhsa_user_sgpr_kernarg_segment_ptr 1
		.amdhsa_user_sgpr_dispatch_id 0
		.amdhsa_user_sgpr_private_segment_size 0
		.amdhsa_wavefront_size32 1
		.amdhsa_uses_dynamic_stack 0
		.amdhsa_enable_private_segment 0
		.amdhsa_system_sgpr_workgroup_id_x 1
		.amdhsa_system_sgpr_workgroup_id_y 0
		.amdhsa_system_sgpr_workgroup_id_z 0
		.amdhsa_system_sgpr_workgroup_info 0
		.amdhsa_system_vgpr_workitem_id 0
		.amdhsa_next_free_vgpr 1
		.amdhsa_next_free_sgpr 1
		.amdhsa_reserve_vcc 0
		.amdhsa_float_round_mode_32 0
		.amdhsa_float_round_mode_16_64 0
		.amdhsa_float_denorm_mode_32 3
		.amdhsa_float_denorm_mode_16_64 3
		.amdhsa_dx10_clamp 1
		.amdhsa_ieee_mode 1
		.amdhsa_fp16_overflow 0
		.amdhsa_workgroup_processor_mode 1
		.amdhsa_memory_ordered 1
		.amdhsa_forward_progress 0
		.amdhsa_shared_vgpr_count 0
		.amdhsa_exception_fp_ieee_invalid_op 0
		.amdhsa_exception_fp_denorm_src 0
		.amdhsa_exception_fp_ieee_div_zero 0
		.amdhsa_exception_fp_ieee_overflow 0
		.amdhsa_exception_fp_ieee_underflow 0
		.amdhsa_exception_fp_ieee_inexact 0
		.amdhsa_exception_int_div_zero 0
	.end_amdhsa_kernel
	.section	.text._ZN7rocprim17ROCPRIM_400000_NS6detail17trampoline_kernelINS0_14default_configENS1_25transform_config_selectorIlLb0EEEZNS1_14transform_implILb0ES3_S5_NS0_18transform_iteratorINS0_17counting_iteratorImlEEZNS1_24adjacent_difference_implIS3_Lb1ELb0EPlSB_ZN2at6native12_GLOBAL__N_124unique_dim_cuda_templateIhEESt5tupleIJNSC_6TensorESH_SH_EERKSH_lbbbEUlllE1_EE10hipError_tPvRmT2_T3_mT4_P12ihipStream_tbEUlmE_lEESB_NS0_8identityIvEEEESM_SP_SQ_mSR_ST_bEUlT_E_NS1_11comp_targetILNS1_3genE3ELNS1_11target_archE908ELNS1_3gpuE7ELNS1_3repE0EEENS1_30default_config_static_selectorELNS0_4arch9wavefront6targetE0EEEvT1_,"axG",@progbits,_ZN7rocprim17ROCPRIM_400000_NS6detail17trampoline_kernelINS0_14default_configENS1_25transform_config_selectorIlLb0EEEZNS1_14transform_implILb0ES3_S5_NS0_18transform_iteratorINS0_17counting_iteratorImlEEZNS1_24adjacent_difference_implIS3_Lb1ELb0EPlSB_ZN2at6native12_GLOBAL__N_124unique_dim_cuda_templateIhEESt5tupleIJNSC_6TensorESH_SH_EERKSH_lbbbEUlllE1_EE10hipError_tPvRmT2_T3_mT4_P12ihipStream_tbEUlmE_lEESB_NS0_8identityIvEEEESM_SP_SQ_mSR_ST_bEUlT_E_NS1_11comp_targetILNS1_3genE3ELNS1_11target_archE908ELNS1_3gpuE7ELNS1_3repE0EEENS1_30default_config_static_selectorELNS0_4arch9wavefront6targetE0EEEvT1_,comdat
.Lfunc_end69:
	.size	_ZN7rocprim17ROCPRIM_400000_NS6detail17trampoline_kernelINS0_14default_configENS1_25transform_config_selectorIlLb0EEEZNS1_14transform_implILb0ES3_S5_NS0_18transform_iteratorINS0_17counting_iteratorImlEEZNS1_24adjacent_difference_implIS3_Lb1ELb0EPlSB_ZN2at6native12_GLOBAL__N_124unique_dim_cuda_templateIhEESt5tupleIJNSC_6TensorESH_SH_EERKSH_lbbbEUlllE1_EE10hipError_tPvRmT2_T3_mT4_P12ihipStream_tbEUlmE_lEESB_NS0_8identityIvEEEESM_SP_SQ_mSR_ST_bEUlT_E_NS1_11comp_targetILNS1_3genE3ELNS1_11target_archE908ELNS1_3gpuE7ELNS1_3repE0EEENS1_30default_config_static_selectorELNS0_4arch9wavefront6targetE0EEEvT1_, .Lfunc_end69-_ZN7rocprim17ROCPRIM_400000_NS6detail17trampoline_kernelINS0_14default_configENS1_25transform_config_selectorIlLb0EEEZNS1_14transform_implILb0ES3_S5_NS0_18transform_iteratorINS0_17counting_iteratorImlEEZNS1_24adjacent_difference_implIS3_Lb1ELb0EPlSB_ZN2at6native12_GLOBAL__N_124unique_dim_cuda_templateIhEESt5tupleIJNSC_6TensorESH_SH_EERKSH_lbbbEUlllE1_EE10hipError_tPvRmT2_T3_mT4_P12ihipStream_tbEUlmE_lEESB_NS0_8identityIvEEEESM_SP_SQ_mSR_ST_bEUlT_E_NS1_11comp_targetILNS1_3genE3ELNS1_11target_archE908ELNS1_3gpuE7ELNS1_3repE0EEENS1_30default_config_static_selectorELNS0_4arch9wavefront6targetE0EEEvT1_
                                        ; -- End function
	.section	.AMDGPU.csdata,"",@progbits
; Kernel info:
; codeLenInByte = 0
; NumSgprs: 0
; NumVgprs: 0
; ScratchSize: 0
; MemoryBound: 0
; FloatMode: 240
; IeeeMode: 1
; LDSByteSize: 0 bytes/workgroup (compile time only)
; SGPRBlocks: 0
; VGPRBlocks: 0
; NumSGPRsForWavesPerEU: 1
; NumVGPRsForWavesPerEU: 1
; Occupancy: 16
; WaveLimiterHint : 0
; COMPUTE_PGM_RSRC2:SCRATCH_EN: 0
; COMPUTE_PGM_RSRC2:USER_SGPR: 15
; COMPUTE_PGM_RSRC2:TRAP_HANDLER: 0
; COMPUTE_PGM_RSRC2:TGID_X_EN: 1
; COMPUTE_PGM_RSRC2:TGID_Y_EN: 0
; COMPUTE_PGM_RSRC2:TGID_Z_EN: 0
; COMPUTE_PGM_RSRC2:TIDIG_COMP_CNT: 0
	.section	.text._ZN7rocprim17ROCPRIM_400000_NS6detail17trampoline_kernelINS0_14default_configENS1_25transform_config_selectorIlLb0EEEZNS1_14transform_implILb0ES3_S5_NS0_18transform_iteratorINS0_17counting_iteratorImlEEZNS1_24adjacent_difference_implIS3_Lb1ELb0EPlSB_ZN2at6native12_GLOBAL__N_124unique_dim_cuda_templateIhEESt5tupleIJNSC_6TensorESH_SH_EERKSH_lbbbEUlllE1_EE10hipError_tPvRmT2_T3_mT4_P12ihipStream_tbEUlmE_lEESB_NS0_8identityIvEEEESM_SP_SQ_mSR_ST_bEUlT_E_NS1_11comp_targetILNS1_3genE2ELNS1_11target_archE906ELNS1_3gpuE6ELNS1_3repE0EEENS1_30default_config_static_selectorELNS0_4arch9wavefront6targetE0EEEvT1_,"axG",@progbits,_ZN7rocprim17ROCPRIM_400000_NS6detail17trampoline_kernelINS0_14default_configENS1_25transform_config_selectorIlLb0EEEZNS1_14transform_implILb0ES3_S5_NS0_18transform_iteratorINS0_17counting_iteratorImlEEZNS1_24adjacent_difference_implIS3_Lb1ELb0EPlSB_ZN2at6native12_GLOBAL__N_124unique_dim_cuda_templateIhEESt5tupleIJNSC_6TensorESH_SH_EERKSH_lbbbEUlllE1_EE10hipError_tPvRmT2_T3_mT4_P12ihipStream_tbEUlmE_lEESB_NS0_8identityIvEEEESM_SP_SQ_mSR_ST_bEUlT_E_NS1_11comp_targetILNS1_3genE2ELNS1_11target_archE906ELNS1_3gpuE6ELNS1_3repE0EEENS1_30default_config_static_selectorELNS0_4arch9wavefront6targetE0EEEvT1_,comdat
	.globl	_ZN7rocprim17ROCPRIM_400000_NS6detail17trampoline_kernelINS0_14default_configENS1_25transform_config_selectorIlLb0EEEZNS1_14transform_implILb0ES3_S5_NS0_18transform_iteratorINS0_17counting_iteratorImlEEZNS1_24adjacent_difference_implIS3_Lb1ELb0EPlSB_ZN2at6native12_GLOBAL__N_124unique_dim_cuda_templateIhEESt5tupleIJNSC_6TensorESH_SH_EERKSH_lbbbEUlllE1_EE10hipError_tPvRmT2_T3_mT4_P12ihipStream_tbEUlmE_lEESB_NS0_8identityIvEEEESM_SP_SQ_mSR_ST_bEUlT_E_NS1_11comp_targetILNS1_3genE2ELNS1_11target_archE906ELNS1_3gpuE6ELNS1_3repE0EEENS1_30default_config_static_selectorELNS0_4arch9wavefront6targetE0EEEvT1_ ; -- Begin function _ZN7rocprim17ROCPRIM_400000_NS6detail17trampoline_kernelINS0_14default_configENS1_25transform_config_selectorIlLb0EEEZNS1_14transform_implILb0ES3_S5_NS0_18transform_iteratorINS0_17counting_iteratorImlEEZNS1_24adjacent_difference_implIS3_Lb1ELb0EPlSB_ZN2at6native12_GLOBAL__N_124unique_dim_cuda_templateIhEESt5tupleIJNSC_6TensorESH_SH_EERKSH_lbbbEUlllE1_EE10hipError_tPvRmT2_T3_mT4_P12ihipStream_tbEUlmE_lEESB_NS0_8identityIvEEEESM_SP_SQ_mSR_ST_bEUlT_E_NS1_11comp_targetILNS1_3genE2ELNS1_11target_archE906ELNS1_3gpuE6ELNS1_3repE0EEENS1_30default_config_static_selectorELNS0_4arch9wavefront6targetE0EEEvT1_
	.p2align	8
	.type	_ZN7rocprim17ROCPRIM_400000_NS6detail17trampoline_kernelINS0_14default_configENS1_25transform_config_selectorIlLb0EEEZNS1_14transform_implILb0ES3_S5_NS0_18transform_iteratorINS0_17counting_iteratorImlEEZNS1_24adjacent_difference_implIS3_Lb1ELb0EPlSB_ZN2at6native12_GLOBAL__N_124unique_dim_cuda_templateIhEESt5tupleIJNSC_6TensorESH_SH_EERKSH_lbbbEUlllE1_EE10hipError_tPvRmT2_T3_mT4_P12ihipStream_tbEUlmE_lEESB_NS0_8identityIvEEEESM_SP_SQ_mSR_ST_bEUlT_E_NS1_11comp_targetILNS1_3genE2ELNS1_11target_archE906ELNS1_3gpuE6ELNS1_3repE0EEENS1_30default_config_static_selectorELNS0_4arch9wavefront6targetE0EEEvT1_,@function
_ZN7rocprim17ROCPRIM_400000_NS6detail17trampoline_kernelINS0_14default_configENS1_25transform_config_selectorIlLb0EEEZNS1_14transform_implILb0ES3_S5_NS0_18transform_iteratorINS0_17counting_iteratorImlEEZNS1_24adjacent_difference_implIS3_Lb1ELb0EPlSB_ZN2at6native12_GLOBAL__N_124unique_dim_cuda_templateIhEESt5tupleIJNSC_6TensorESH_SH_EERKSH_lbbbEUlllE1_EE10hipError_tPvRmT2_T3_mT4_P12ihipStream_tbEUlmE_lEESB_NS0_8identityIvEEEESM_SP_SQ_mSR_ST_bEUlT_E_NS1_11comp_targetILNS1_3genE2ELNS1_11target_archE906ELNS1_3gpuE6ELNS1_3repE0EEENS1_30default_config_static_selectorELNS0_4arch9wavefront6targetE0EEEvT1_: ; @_ZN7rocprim17ROCPRIM_400000_NS6detail17trampoline_kernelINS0_14default_configENS1_25transform_config_selectorIlLb0EEEZNS1_14transform_implILb0ES3_S5_NS0_18transform_iteratorINS0_17counting_iteratorImlEEZNS1_24adjacent_difference_implIS3_Lb1ELb0EPlSB_ZN2at6native12_GLOBAL__N_124unique_dim_cuda_templateIhEESt5tupleIJNSC_6TensorESH_SH_EERKSH_lbbbEUlllE1_EE10hipError_tPvRmT2_T3_mT4_P12ihipStream_tbEUlmE_lEESB_NS0_8identityIvEEEESM_SP_SQ_mSR_ST_bEUlT_E_NS1_11comp_targetILNS1_3genE2ELNS1_11target_archE906ELNS1_3gpuE6ELNS1_3repE0EEENS1_30default_config_static_selectorELNS0_4arch9wavefront6targetE0EEEvT1_
; %bb.0:
	.section	.rodata,"a",@progbits
	.p2align	6, 0x0
	.amdhsa_kernel _ZN7rocprim17ROCPRIM_400000_NS6detail17trampoline_kernelINS0_14default_configENS1_25transform_config_selectorIlLb0EEEZNS1_14transform_implILb0ES3_S5_NS0_18transform_iteratorINS0_17counting_iteratorImlEEZNS1_24adjacent_difference_implIS3_Lb1ELb0EPlSB_ZN2at6native12_GLOBAL__N_124unique_dim_cuda_templateIhEESt5tupleIJNSC_6TensorESH_SH_EERKSH_lbbbEUlllE1_EE10hipError_tPvRmT2_T3_mT4_P12ihipStream_tbEUlmE_lEESB_NS0_8identityIvEEEESM_SP_SQ_mSR_ST_bEUlT_E_NS1_11comp_targetILNS1_3genE2ELNS1_11target_archE906ELNS1_3gpuE6ELNS1_3repE0EEENS1_30default_config_static_selectorELNS0_4arch9wavefront6targetE0EEEvT1_
		.amdhsa_group_segment_fixed_size 0
		.amdhsa_private_segment_fixed_size 0
		.amdhsa_kernarg_size 56
		.amdhsa_user_sgpr_count 15
		.amdhsa_user_sgpr_dispatch_ptr 0
		.amdhsa_user_sgpr_queue_ptr 0
		.amdhsa_user_sgpr_kernarg_segment_ptr 1
		.amdhsa_user_sgpr_dispatch_id 0
		.amdhsa_user_sgpr_private_segment_size 0
		.amdhsa_wavefront_size32 1
		.amdhsa_uses_dynamic_stack 0
		.amdhsa_enable_private_segment 0
		.amdhsa_system_sgpr_workgroup_id_x 1
		.amdhsa_system_sgpr_workgroup_id_y 0
		.amdhsa_system_sgpr_workgroup_id_z 0
		.amdhsa_system_sgpr_workgroup_info 0
		.amdhsa_system_vgpr_workitem_id 0
		.amdhsa_next_free_vgpr 1
		.amdhsa_next_free_sgpr 1
		.amdhsa_reserve_vcc 0
		.amdhsa_float_round_mode_32 0
		.amdhsa_float_round_mode_16_64 0
		.amdhsa_float_denorm_mode_32 3
		.amdhsa_float_denorm_mode_16_64 3
		.amdhsa_dx10_clamp 1
		.amdhsa_ieee_mode 1
		.amdhsa_fp16_overflow 0
		.amdhsa_workgroup_processor_mode 1
		.amdhsa_memory_ordered 1
		.amdhsa_forward_progress 0
		.amdhsa_shared_vgpr_count 0
		.amdhsa_exception_fp_ieee_invalid_op 0
		.amdhsa_exception_fp_denorm_src 0
		.amdhsa_exception_fp_ieee_div_zero 0
		.amdhsa_exception_fp_ieee_overflow 0
		.amdhsa_exception_fp_ieee_underflow 0
		.amdhsa_exception_fp_ieee_inexact 0
		.amdhsa_exception_int_div_zero 0
	.end_amdhsa_kernel
	.section	.text._ZN7rocprim17ROCPRIM_400000_NS6detail17trampoline_kernelINS0_14default_configENS1_25transform_config_selectorIlLb0EEEZNS1_14transform_implILb0ES3_S5_NS0_18transform_iteratorINS0_17counting_iteratorImlEEZNS1_24adjacent_difference_implIS3_Lb1ELb0EPlSB_ZN2at6native12_GLOBAL__N_124unique_dim_cuda_templateIhEESt5tupleIJNSC_6TensorESH_SH_EERKSH_lbbbEUlllE1_EE10hipError_tPvRmT2_T3_mT4_P12ihipStream_tbEUlmE_lEESB_NS0_8identityIvEEEESM_SP_SQ_mSR_ST_bEUlT_E_NS1_11comp_targetILNS1_3genE2ELNS1_11target_archE906ELNS1_3gpuE6ELNS1_3repE0EEENS1_30default_config_static_selectorELNS0_4arch9wavefront6targetE0EEEvT1_,"axG",@progbits,_ZN7rocprim17ROCPRIM_400000_NS6detail17trampoline_kernelINS0_14default_configENS1_25transform_config_selectorIlLb0EEEZNS1_14transform_implILb0ES3_S5_NS0_18transform_iteratorINS0_17counting_iteratorImlEEZNS1_24adjacent_difference_implIS3_Lb1ELb0EPlSB_ZN2at6native12_GLOBAL__N_124unique_dim_cuda_templateIhEESt5tupleIJNSC_6TensorESH_SH_EERKSH_lbbbEUlllE1_EE10hipError_tPvRmT2_T3_mT4_P12ihipStream_tbEUlmE_lEESB_NS0_8identityIvEEEESM_SP_SQ_mSR_ST_bEUlT_E_NS1_11comp_targetILNS1_3genE2ELNS1_11target_archE906ELNS1_3gpuE6ELNS1_3repE0EEENS1_30default_config_static_selectorELNS0_4arch9wavefront6targetE0EEEvT1_,comdat
.Lfunc_end70:
	.size	_ZN7rocprim17ROCPRIM_400000_NS6detail17trampoline_kernelINS0_14default_configENS1_25transform_config_selectorIlLb0EEEZNS1_14transform_implILb0ES3_S5_NS0_18transform_iteratorINS0_17counting_iteratorImlEEZNS1_24adjacent_difference_implIS3_Lb1ELb0EPlSB_ZN2at6native12_GLOBAL__N_124unique_dim_cuda_templateIhEESt5tupleIJNSC_6TensorESH_SH_EERKSH_lbbbEUlllE1_EE10hipError_tPvRmT2_T3_mT4_P12ihipStream_tbEUlmE_lEESB_NS0_8identityIvEEEESM_SP_SQ_mSR_ST_bEUlT_E_NS1_11comp_targetILNS1_3genE2ELNS1_11target_archE906ELNS1_3gpuE6ELNS1_3repE0EEENS1_30default_config_static_selectorELNS0_4arch9wavefront6targetE0EEEvT1_, .Lfunc_end70-_ZN7rocprim17ROCPRIM_400000_NS6detail17trampoline_kernelINS0_14default_configENS1_25transform_config_selectorIlLb0EEEZNS1_14transform_implILb0ES3_S5_NS0_18transform_iteratorINS0_17counting_iteratorImlEEZNS1_24adjacent_difference_implIS3_Lb1ELb0EPlSB_ZN2at6native12_GLOBAL__N_124unique_dim_cuda_templateIhEESt5tupleIJNSC_6TensorESH_SH_EERKSH_lbbbEUlllE1_EE10hipError_tPvRmT2_T3_mT4_P12ihipStream_tbEUlmE_lEESB_NS0_8identityIvEEEESM_SP_SQ_mSR_ST_bEUlT_E_NS1_11comp_targetILNS1_3genE2ELNS1_11target_archE906ELNS1_3gpuE6ELNS1_3repE0EEENS1_30default_config_static_selectorELNS0_4arch9wavefront6targetE0EEEvT1_
                                        ; -- End function
	.section	.AMDGPU.csdata,"",@progbits
; Kernel info:
; codeLenInByte = 0
; NumSgprs: 0
; NumVgprs: 0
; ScratchSize: 0
; MemoryBound: 0
; FloatMode: 240
; IeeeMode: 1
; LDSByteSize: 0 bytes/workgroup (compile time only)
; SGPRBlocks: 0
; VGPRBlocks: 0
; NumSGPRsForWavesPerEU: 1
; NumVGPRsForWavesPerEU: 1
; Occupancy: 16
; WaveLimiterHint : 0
; COMPUTE_PGM_RSRC2:SCRATCH_EN: 0
; COMPUTE_PGM_RSRC2:USER_SGPR: 15
; COMPUTE_PGM_RSRC2:TRAP_HANDLER: 0
; COMPUTE_PGM_RSRC2:TGID_X_EN: 1
; COMPUTE_PGM_RSRC2:TGID_Y_EN: 0
; COMPUTE_PGM_RSRC2:TGID_Z_EN: 0
; COMPUTE_PGM_RSRC2:TIDIG_COMP_CNT: 0
	.section	.text._ZN7rocprim17ROCPRIM_400000_NS6detail17trampoline_kernelINS0_14default_configENS1_25transform_config_selectorIlLb0EEEZNS1_14transform_implILb0ES3_S5_NS0_18transform_iteratorINS0_17counting_iteratorImlEEZNS1_24adjacent_difference_implIS3_Lb1ELb0EPlSB_ZN2at6native12_GLOBAL__N_124unique_dim_cuda_templateIhEESt5tupleIJNSC_6TensorESH_SH_EERKSH_lbbbEUlllE1_EE10hipError_tPvRmT2_T3_mT4_P12ihipStream_tbEUlmE_lEESB_NS0_8identityIvEEEESM_SP_SQ_mSR_ST_bEUlT_E_NS1_11comp_targetILNS1_3genE10ELNS1_11target_archE1201ELNS1_3gpuE5ELNS1_3repE0EEENS1_30default_config_static_selectorELNS0_4arch9wavefront6targetE0EEEvT1_,"axG",@progbits,_ZN7rocprim17ROCPRIM_400000_NS6detail17trampoline_kernelINS0_14default_configENS1_25transform_config_selectorIlLb0EEEZNS1_14transform_implILb0ES3_S5_NS0_18transform_iteratorINS0_17counting_iteratorImlEEZNS1_24adjacent_difference_implIS3_Lb1ELb0EPlSB_ZN2at6native12_GLOBAL__N_124unique_dim_cuda_templateIhEESt5tupleIJNSC_6TensorESH_SH_EERKSH_lbbbEUlllE1_EE10hipError_tPvRmT2_T3_mT4_P12ihipStream_tbEUlmE_lEESB_NS0_8identityIvEEEESM_SP_SQ_mSR_ST_bEUlT_E_NS1_11comp_targetILNS1_3genE10ELNS1_11target_archE1201ELNS1_3gpuE5ELNS1_3repE0EEENS1_30default_config_static_selectorELNS0_4arch9wavefront6targetE0EEEvT1_,comdat
	.globl	_ZN7rocprim17ROCPRIM_400000_NS6detail17trampoline_kernelINS0_14default_configENS1_25transform_config_selectorIlLb0EEEZNS1_14transform_implILb0ES3_S5_NS0_18transform_iteratorINS0_17counting_iteratorImlEEZNS1_24adjacent_difference_implIS3_Lb1ELb0EPlSB_ZN2at6native12_GLOBAL__N_124unique_dim_cuda_templateIhEESt5tupleIJNSC_6TensorESH_SH_EERKSH_lbbbEUlllE1_EE10hipError_tPvRmT2_T3_mT4_P12ihipStream_tbEUlmE_lEESB_NS0_8identityIvEEEESM_SP_SQ_mSR_ST_bEUlT_E_NS1_11comp_targetILNS1_3genE10ELNS1_11target_archE1201ELNS1_3gpuE5ELNS1_3repE0EEENS1_30default_config_static_selectorELNS0_4arch9wavefront6targetE0EEEvT1_ ; -- Begin function _ZN7rocprim17ROCPRIM_400000_NS6detail17trampoline_kernelINS0_14default_configENS1_25transform_config_selectorIlLb0EEEZNS1_14transform_implILb0ES3_S5_NS0_18transform_iteratorINS0_17counting_iteratorImlEEZNS1_24adjacent_difference_implIS3_Lb1ELb0EPlSB_ZN2at6native12_GLOBAL__N_124unique_dim_cuda_templateIhEESt5tupleIJNSC_6TensorESH_SH_EERKSH_lbbbEUlllE1_EE10hipError_tPvRmT2_T3_mT4_P12ihipStream_tbEUlmE_lEESB_NS0_8identityIvEEEESM_SP_SQ_mSR_ST_bEUlT_E_NS1_11comp_targetILNS1_3genE10ELNS1_11target_archE1201ELNS1_3gpuE5ELNS1_3repE0EEENS1_30default_config_static_selectorELNS0_4arch9wavefront6targetE0EEEvT1_
	.p2align	8
	.type	_ZN7rocprim17ROCPRIM_400000_NS6detail17trampoline_kernelINS0_14default_configENS1_25transform_config_selectorIlLb0EEEZNS1_14transform_implILb0ES3_S5_NS0_18transform_iteratorINS0_17counting_iteratorImlEEZNS1_24adjacent_difference_implIS3_Lb1ELb0EPlSB_ZN2at6native12_GLOBAL__N_124unique_dim_cuda_templateIhEESt5tupleIJNSC_6TensorESH_SH_EERKSH_lbbbEUlllE1_EE10hipError_tPvRmT2_T3_mT4_P12ihipStream_tbEUlmE_lEESB_NS0_8identityIvEEEESM_SP_SQ_mSR_ST_bEUlT_E_NS1_11comp_targetILNS1_3genE10ELNS1_11target_archE1201ELNS1_3gpuE5ELNS1_3repE0EEENS1_30default_config_static_selectorELNS0_4arch9wavefront6targetE0EEEvT1_,@function
_ZN7rocprim17ROCPRIM_400000_NS6detail17trampoline_kernelINS0_14default_configENS1_25transform_config_selectorIlLb0EEEZNS1_14transform_implILb0ES3_S5_NS0_18transform_iteratorINS0_17counting_iteratorImlEEZNS1_24adjacent_difference_implIS3_Lb1ELb0EPlSB_ZN2at6native12_GLOBAL__N_124unique_dim_cuda_templateIhEESt5tupleIJNSC_6TensorESH_SH_EERKSH_lbbbEUlllE1_EE10hipError_tPvRmT2_T3_mT4_P12ihipStream_tbEUlmE_lEESB_NS0_8identityIvEEEESM_SP_SQ_mSR_ST_bEUlT_E_NS1_11comp_targetILNS1_3genE10ELNS1_11target_archE1201ELNS1_3gpuE5ELNS1_3repE0EEENS1_30default_config_static_selectorELNS0_4arch9wavefront6targetE0EEEvT1_: ; @_ZN7rocprim17ROCPRIM_400000_NS6detail17trampoline_kernelINS0_14default_configENS1_25transform_config_selectorIlLb0EEEZNS1_14transform_implILb0ES3_S5_NS0_18transform_iteratorINS0_17counting_iteratorImlEEZNS1_24adjacent_difference_implIS3_Lb1ELb0EPlSB_ZN2at6native12_GLOBAL__N_124unique_dim_cuda_templateIhEESt5tupleIJNSC_6TensorESH_SH_EERKSH_lbbbEUlllE1_EE10hipError_tPvRmT2_T3_mT4_P12ihipStream_tbEUlmE_lEESB_NS0_8identityIvEEEESM_SP_SQ_mSR_ST_bEUlT_E_NS1_11comp_targetILNS1_3genE10ELNS1_11target_archE1201ELNS1_3gpuE5ELNS1_3repE0EEENS1_30default_config_static_selectorELNS0_4arch9wavefront6targetE0EEEvT1_
; %bb.0:
	.section	.rodata,"a",@progbits
	.p2align	6, 0x0
	.amdhsa_kernel _ZN7rocprim17ROCPRIM_400000_NS6detail17trampoline_kernelINS0_14default_configENS1_25transform_config_selectorIlLb0EEEZNS1_14transform_implILb0ES3_S5_NS0_18transform_iteratorINS0_17counting_iteratorImlEEZNS1_24adjacent_difference_implIS3_Lb1ELb0EPlSB_ZN2at6native12_GLOBAL__N_124unique_dim_cuda_templateIhEESt5tupleIJNSC_6TensorESH_SH_EERKSH_lbbbEUlllE1_EE10hipError_tPvRmT2_T3_mT4_P12ihipStream_tbEUlmE_lEESB_NS0_8identityIvEEEESM_SP_SQ_mSR_ST_bEUlT_E_NS1_11comp_targetILNS1_3genE10ELNS1_11target_archE1201ELNS1_3gpuE5ELNS1_3repE0EEENS1_30default_config_static_selectorELNS0_4arch9wavefront6targetE0EEEvT1_
		.amdhsa_group_segment_fixed_size 0
		.amdhsa_private_segment_fixed_size 0
		.amdhsa_kernarg_size 56
		.amdhsa_user_sgpr_count 15
		.amdhsa_user_sgpr_dispatch_ptr 0
		.amdhsa_user_sgpr_queue_ptr 0
		.amdhsa_user_sgpr_kernarg_segment_ptr 1
		.amdhsa_user_sgpr_dispatch_id 0
		.amdhsa_user_sgpr_private_segment_size 0
		.amdhsa_wavefront_size32 1
		.amdhsa_uses_dynamic_stack 0
		.amdhsa_enable_private_segment 0
		.amdhsa_system_sgpr_workgroup_id_x 1
		.amdhsa_system_sgpr_workgroup_id_y 0
		.amdhsa_system_sgpr_workgroup_id_z 0
		.amdhsa_system_sgpr_workgroup_info 0
		.amdhsa_system_vgpr_workitem_id 0
		.amdhsa_next_free_vgpr 1
		.amdhsa_next_free_sgpr 1
		.amdhsa_reserve_vcc 0
		.amdhsa_float_round_mode_32 0
		.amdhsa_float_round_mode_16_64 0
		.amdhsa_float_denorm_mode_32 3
		.amdhsa_float_denorm_mode_16_64 3
		.amdhsa_dx10_clamp 1
		.amdhsa_ieee_mode 1
		.amdhsa_fp16_overflow 0
		.amdhsa_workgroup_processor_mode 1
		.amdhsa_memory_ordered 1
		.amdhsa_forward_progress 0
		.amdhsa_shared_vgpr_count 0
		.amdhsa_exception_fp_ieee_invalid_op 0
		.amdhsa_exception_fp_denorm_src 0
		.amdhsa_exception_fp_ieee_div_zero 0
		.amdhsa_exception_fp_ieee_overflow 0
		.amdhsa_exception_fp_ieee_underflow 0
		.amdhsa_exception_fp_ieee_inexact 0
		.amdhsa_exception_int_div_zero 0
	.end_amdhsa_kernel
	.section	.text._ZN7rocprim17ROCPRIM_400000_NS6detail17trampoline_kernelINS0_14default_configENS1_25transform_config_selectorIlLb0EEEZNS1_14transform_implILb0ES3_S5_NS0_18transform_iteratorINS0_17counting_iteratorImlEEZNS1_24adjacent_difference_implIS3_Lb1ELb0EPlSB_ZN2at6native12_GLOBAL__N_124unique_dim_cuda_templateIhEESt5tupleIJNSC_6TensorESH_SH_EERKSH_lbbbEUlllE1_EE10hipError_tPvRmT2_T3_mT4_P12ihipStream_tbEUlmE_lEESB_NS0_8identityIvEEEESM_SP_SQ_mSR_ST_bEUlT_E_NS1_11comp_targetILNS1_3genE10ELNS1_11target_archE1201ELNS1_3gpuE5ELNS1_3repE0EEENS1_30default_config_static_selectorELNS0_4arch9wavefront6targetE0EEEvT1_,"axG",@progbits,_ZN7rocprim17ROCPRIM_400000_NS6detail17trampoline_kernelINS0_14default_configENS1_25transform_config_selectorIlLb0EEEZNS1_14transform_implILb0ES3_S5_NS0_18transform_iteratorINS0_17counting_iteratorImlEEZNS1_24adjacent_difference_implIS3_Lb1ELb0EPlSB_ZN2at6native12_GLOBAL__N_124unique_dim_cuda_templateIhEESt5tupleIJNSC_6TensorESH_SH_EERKSH_lbbbEUlllE1_EE10hipError_tPvRmT2_T3_mT4_P12ihipStream_tbEUlmE_lEESB_NS0_8identityIvEEEESM_SP_SQ_mSR_ST_bEUlT_E_NS1_11comp_targetILNS1_3genE10ELNS1_11target_archE1201ELNS1_3gpuE5ELNS1_3repE0EEENS1_30default_config_static_selectorELNS0_4arch9wavefront6targetE0EEEvT1_,comdat
.Lfunc_end71:
	.size	_ZN7rocprim17ROCPRIM_400000_NS6detail17trampoline_kernelINS0_14default_configENS1_25transform_config_selectorIlLb0EEEZNS1_14transform_implILb0ES3_S5_NS0_18transform_iteratorINS0_17counting_iteratorImlEEZNS1_24adjacent_difference_implIS3_Lb1ELb0EPlSB_ZN2at6native12_GLOBAL__N_124unique_dim_cuda_templateIhEESt5tupleIJNSC_6TensorESH_SH_EERKSH_lbbbEUlllE1_EE10hipError_tPvRmT2_T3_mT4_P12ihipStream_tbEUlmE_lEESB_NS0_8identityIvEEEESM_SP_SQ_mSR_ST_bEUlT_E_NS1_11comp_targetILNS1_3genE10ELNS1_11target_archE1201ELNS1_3gpuE5ELNS1_3repE0EEENS1_30default_config_static_selectorELNS0_4arch9wavefront6targetE0EEEvT1_, .Lfunc_end71-_ZN7rocprim17ROCPRIM_400000_NS6detail17trampoline_kernelINS0_14default_configENS1_25transform_config_selectorIlLb0EEEZNS1_14transform_implILb0ES3_S5_NS0_18transform_iteratorINS0_17counting_iteratorImlEEZNS1_24adjacent_difference_implIS3_Lb1ELb0EPlSB_ZN2at6native12_GLOBAL__N_124unique_dim_cuda_templateIhEESt5tupleIJNSC_6TensorESH_SH_EERKSH_lbbbEUlllE1_EE10hipError_tPvRmT2_T3_mT4_P12ihipStream_tbEUlmE_lEESB_NS0_8identityIvEEEESM_SP_SQ_mSR_ST_bEUlT_E_NS1_11comp_targetILNS1_3genE10ELNS1_11target_archE1201ELNS1_3gpuE5ELNS1_3repE0EEENS1_30default_config_static_selectorELNS0_4arch9wavefront6targetE0EEEvT1_
                                        ; -- End function
	.section	.AMDGPU.csdata,"",@progbits
; Kernel info:
; codeLenInByte = 0
; NumSgprs: 0
; NumVgprs: 0
; ScratchSize: 0
; MemoryBound: 0
; FloatMode: 240
; IeeeMode: 1
; LDSByteSize: 0 bytes/workgroup (compile time only)
; SGPRBlocks: 0
; VGPRBlocks: 0
; NumSGPRsForWavesPerEU: 1
; NumVGPRsForWavesPerEU: 1
; Occupancy: 16
; WaveLimiterHint : 0
; COMPUTE_PGM_RSRC2:SCRATCH_EN: 0
; COMPUTE_PGM_RSRC2:USER_SGPR: 15
; COMPUTE_PGM_RSRC2:TRAP_HANDLER: 0
; COMPUTE_PGM_RSRC2:TGID_X_EN: 1
; COMPUTE_PGM_RSRC2:TGID_Y_EN: 0
; COMPUTE_PGM_RSRC2:TGID_Z_EN: 0
; COMPUTE_PGM_RSRC2:TIDIG_COMP_CNT: 0
	.section	.text._ZN7rocprim17ROCPRIM_400000_NS6detail17trampoline_kernelINS0_14default_configENS1_25transform_config_selectorIlLb0EEEZNS1_14transform_implILb0ES3_S5_NS0_18transform_iteratorINS0_17counting_iteratorImlEEZNS1_24adjacent_difference_implIS3_Lb1ELb0EPlSB_ZN2at6native12_GLOBAL__N_124unique_dim_cuda_templateIhEESt5tupleIJNSC_6TensorESH_SH_EERKSH_lbbbEUlllE1_EE10hipError_tPvRmT2_T3_mT4_P12ihipStream_tbEUlmE_lEESB_NS0_8identityIvEEEESM_SP_SQ_mSR_ST_bEUlT_E_NS1_11comp_targetILNS1_3genE10ELNS1_11target_archE1200ELNS1_3gpuE4ELNS1_3repE0EEENS1_30default_config_static_selectorELNS0_4arch9wavefront6targetE0EEEvT1_,"axG",@progbits,_ZN7rocprim17ROCPRIM_400000_NS6detail17trampoline_kernelINS0_14default_configENS1_25transform_config_selectorIlLb0EEEZNS1_14transform_implILb0ES3_S5_NS0_18transform_iteratorINS0_17counting_iteratorImlEEZNS1_24adjacent_difference_implIS3_Lb1ELb0EPlSB_ZN2at6native12_GLOBAL__N_124unique_dim_cuda_templateIhEESt5tupleIJNSC_6TensorESH_SH_EERKSH_lbbbEUlllE1_EE10hipError_tPvRmT2_T3_mT4_P12ihipStream_tbEUlmE_lEESB_NS0_8identityIvEEEESM_SP_SQ_mSR_ST_bEUlT_E_NS1_11comp_targetILNS1_3genE10ELNS1_11target_archE1200ELNS1_3gpuE4ELNS1_3repE0EEENS1_30default_config_static_selectorELNS0_4arch9wavefront6targetE0EEEvT1_,comdat
	.globl	_ZN7rocprim17ROCPRIM_400000_NS6detail17trampoline_kernelINS0_14default_configENS1_25transform_config_selectorIlLb0EEEZNS1_14transform_implILb0ES3_S5_NS0_18transform_iteratorINS0_17counting_iteratorImlEEZNS1_24adjacent_difference_implIS3_Lb1ELb0EPlSB_ZN2at6native12_GLOBAL__N_124unique_dim_cuda_templateIhEESt5tupleIJNSC_6TensorESH_SH_EERKSH_lbbbEUlllE1_EE10hipError_tPvRmT2_T3_mT4_P12ihipStream_tbEUlmE_lEESB_NS0_8identityIvEEEESM_SP_SQ_mSR_ST_bEUlT_E_NS1_11comp_targetILNS1_3genE10ELNS1_11target_archE1200ELNS1_3gpuE4ELNS1_3repE0EEENS1_30default_config_static_selectorELNS0_4arch9wavefront6targetE0EEEvT1_ ; -- Begin function _ZN7rocprim17ROCPRIM_400000_NS6detail17trampoline_kernelINS0_14default_configENS1_25transform_config_selectorIlLb0EEEZNS1_14transform_implILb0ES3_S5_NS0_18transform_iteratorINS0_17counting_iteratorImlEEZNS1_24adjacent_difference_implIS3_Lb1ELb0EPlSB_ZN2at6native12_GLOBAL__N_124unique_dim_cuda_templateIhEESt5tupleIJNSC_6TensorESH_SH_EERKSH_lbbbEUlllE1_EE10hipError_tPvRmT2_T3_mT4_P12ihipStream_tbEUlmE_lEESB_NS0_8identityIvEEEESM_SP_SQ_mSR_ST_bEUlT_E_NS1_11comp_targetILNS1_3genE10ELNS1_11target_archE1200ELNS1_3gpuE4ELNS1_3repE0EEENS1_30default_config_static_selectorELNS0_4arch9wavefront6targetE0EEEvT1_
	.p2align	8
	.type	_ZN7rocprim17ROCPRIM_400000_NS6detail17trampoline_kernelINS0_14default_configENS1_25transform_config_selectorIlLb0EEEZNS1_14transform_implILb0ES3_S5_NS0_18transform_iteratorINS0_17counting_iteratorImlEEZNS1_24adjacent_difference_implIS3_Lb1ELb0EPlSB_ZN2at6native12_GLOBAL__N_124unique_dim_cuda_templateIhEESt5tupleIJNSC_6TensorESH_SH_EERKSH_lbbbEUlllE1_EE10hipError_tPvRmT2_T3_mT4_P12ihipStream_tbEUlmE_lEESB_NS0_8identityIvEEEESM_SP_SQ_mSR_ST_bEUlT_E_NS1_11comp_targetILNS1_3genE10ELNS1_11target_archE1200ELNS1_3gpuE4ELNS1_3repE0EEENS1_30default_config_static_selectorELNS0_4arch9wavefront6targetE0EEEvT1_,@function
_ZN7rocprim17ROCPRIM_400000_NS6detail17trampoline_kernelINS0_14default_configENS1_25transform_config_selectorIlLb0EEEZNS1_14transform_implILb0ES3_S5_NS0_18transform_iteratorINS0_17counting_iteratorImlEEZNS1_24adjacent_difference_implIS3_Lb1ELb0EPlSB_ZN2at6native12_GLOBAL__N_124unique_dim_cuda_templateIhEESt5tupleIJNSC_6TensorESH_SH_EERKSH_lbbbEUlllE1_EE10hipError_tPvRmT2_T3_mT4_P12ihipStream_tbEUlmE_lEESB_NS0_8identityIvEEEESM_SP_SQ_mSR_ST_bEUlT_E_NS1_11comp_targetILNS1_3genE10ELNS1_11target_archE1200ELNS1_3gpuE4ELNS1_3repE0EEENS1_30default_config_static_selectorELNS0_4arch9wavefront6targetE0EEEvT1_: ; @_ZN7rocprim17ROCPRIM_400000_NS6detail17trampoline_kernelINS0_14default_configENS1_25transform_config_selectorIlLb0EEEZNS1_14transform_implILb0ES3_S5_NS0_18transform_iteratorINS0_17counting_iteratorImlEEZNS1_24adjacent_difference_implIS3_Lb1ELb0EPlSB_ZN2at6native12_GLOBAL__N_124unique_dim_cuda_templateIhEESt5tupleIJNSC_6TensorESH_SH_EERKSH_lbbbEUlllE1_EE10hipError_tPvRmT2_T3_mT4_P12ihipStream_tbEUlmE_lEESB_NS0_8identityIvEEEESM_SP_SQ_mSR_ST_bEUlT_E_NS1_11comp_targetILNS1_3genE10ELNS1_11target_archE1200ELNS1_3gpuE4ELNS1_3repE0EEENS1_30default_config_static_selectorELNS0_4arch9wavefront6targetE0EEEvT1_
; %bb.0:
	.section	.rodata,"a",@progbits
	.p2align	6, 0x0
	.amdhsa_kernel _ZN7rocprim17ROCPRIM_400000_NS6detail17trampoline_kernelINS0_14default_configENS1_25transform_config_selectorIlLb0EEEZNS1_14transform_implILb0ES3_S5_NS0_18transform_iteratorINS0_17counting_iteratorImlEEZNS1_24adjacent_difference_implIS3_Lb1ELb0EPlSB_ZN2at6native12_GLOBAL__N_124unique_dim_cuda_templateIhEESt5tupleIJNSC_6TensorESH_SH_EERKSH_lbbbEUlllE1_EE10hipError_tPvRmT2_T3_mT4_P12ihipStream_tbEUlmE_lEESB_NS0_8identityIvEEEESM_SP_SQ_mSR_ST_bEUlT_E_NS1_11comp_targetILNS1_3genE10ELNS1_11target_archE1200ELNS1_3gpuE4ELNS1_3repE0EEENS1_30default_config_static_selectorELNS0_4arch9wavefront6targetE0EEEvT1_
		.amdhsa_group_segment_fixed_size 0
		.amdhsa_private_segment_fixed_size 0
		.amdhsa_kernarg_size 56
		.amdhsa_user_sgpr_count 15
		.amdhsa_user_sgpr_dispatch_ptr 0
		.amdhsa_user_sgpr_queue_ptr 0
		.amdhsa_user_sgpr_kernarg_segment_ptr 1
		.amdhsa_user_sgpr_dispatch_id 0
		.amdhsa_user_sgpr_private_segment_size 0
		.amdhsa_wavefront_size32 1
		.amdhsa_uses_dynamic_stack 0
		.amdhsa_enable_private_segment 0
		.amdhsa_system_sgpr_workgroup_id_x 1
		.amdhsa_system_sgpr_workgroup_id_y 0
		.amdhsa_system_sgpr_workgroup_id_z 0
		.amdhsa_system_sgpr_workgroup_info 0
		.amdhsa_system_vgpr_workitem_id 0
		.amdhsa_next_free_vgpr 1
		.amdhsa_next_free_sgpr 1
		.amdhsa_reserve_vcc 0
		.amdhsa_float_round_mode_32 0
		.amdhsa_float_round_mode_16_64 0
		.amdhsa_float_denorm_mode_32 3
		.amdhsa_float_denorm_mode_16_64 3
		.amdhsa_dx10_clamp 1
		.amdhsa_ieee_mode 1
		.amdhsa_fp16_overflow 0
		.amdhsa_workgroup_processor_mode 1
		.amdhsa_memory_ordered 1
		.amdhsa_forward_progress 0
		.amdhsa_shared_vgpr_count 0
		.amdhsa_exception_fp_ieee_invalid_op 0
		.amdhsa_exception_fp_denorm_src 0
		.amdhsa_exception_fp_ieee_div_zero 0
		.amdhsa_exception_fp_ieee_overflow 0
		.amdhsa_exception_fp_ieee_underflow 0
		.amdhsa_exception_fp_ieee_inexact 0
		.amdhsa_exception_int_div_zero 0
	.end_amdhsa_kernel
	.section	.text._ZN7rocprim17ROCPRIM_400000_NS6detail17trampoline_kernelINS0_14default_configENS1_25transform_config_selectorIlLb0EEEZNS1_14transform_implILb0ES3_S5_NS0_18transform_iteratorINS0_17counting_iteratorImlEEZNS1_24adjacent_difference_implIS3_Lb1ELb0EPlSB_ZN2at6native12_GLOBAL__N_124unique_dim_cuda_templateIhEESt5tupleIJNSC_6TensorESH_SH_EERKSH_lbbbEUlllE1_EE10hipError_tPvRmT2_T3_mT4_P12ihipStream_tbEUlmE_lEESB_NS0_8identityIvEEEESM_SP_SQ_mSR_ST_bEUlT_E_NS1_11comp_targetILNS1_3genE10ELNS1_11target_archE1200ELNS1_3gpuE4ELNS1_3repE0EEENS1_30default_config_static_selectorELNS0_4arch9wavefront6targetE0EEEvT1_,"axG",@progbits,_ZN7rocprim17ROCPRIM_400000_NS6detail17trampoline_kernelINS0_14default_configENS1_25transform_config_selectorIlLb0EEEZNS1_14transform_implILb0ES3_S5_NS0_18transform_iteratorINS0_17counting_iteratorImlEEZNS1_24adjacent_difference_implIS3_Lb1ELb0EPlSB_ZN2at6native12_GLOBAL__N_124unique_dim_cuda_templateIhEESt5tupleIJNSC_6TensorESH_SH_EERKSH_lbbbEUlllE1_EE10hipError_tPvRmT2_T3_mT4_P12ihipStream_tbEUlmE_lEESB_NS0_8identityIvEEEESM_SP_SQ_mSR_ST_bEUlT_E_NS1_11comp_targetILNS1_3genE10ELNS1_11target_archE1200ELNS1_3gpuE4ELNS1_3repE0EEENS1_30default_config_static_selectorELNS0_4arch9wavefront6targetE0EEEvT1_,comdat
.Lfunc_end72:
	.size	_ZN7rocprim17ROCPRIM_400000_NS6detail17trampoline_kernelINS0_14default_configENS1_25transform_config_selectorIlLb0EEEZNS1_14transform_implILb0ES3_S5_NS0_18transform_iteratorINS0_17counting_iteratorImlEEZNS1_24adjacent_difference_implIS3_Lb1ELb0EPlSB_ZN2at6native12_GLOBAL__N_124unique_dim_cuda_templateIhEESt5tupleIJNSC_6TensorESH_SH_EERKSH_lbbbEUlllE1_EE10hipError_tPvRmT2_T3_mT4_P12ihipStream_tbEUlmE_lEESB_NS0_8identityIvEEEESM_SP_SQ_mSR_ST_bEUlT_E_NS1_11comp_targetILNS1_3genE10ELNS1_11target_archE1200ELNS1_3gpuE4ELNS1_3repE0EEENS1_30default_config_static_selectorELNS0_4arch9wavefront6targetE0EEEvT1_, .Lfunc_end72-_ZN7rocprim17ROCPRIM_400000_NS6detail17trampoline_kernelINS0_14default_configENS1_25transform_config_selectorIlLb0EEEZNS1_14transform_implILb0ES3_S5_NS0_18transform_iteratorINS0_17counting_iteratorImlEEZNS1_24adjacent_difference_implIS3_Lb1ELb0EPlSB_ZN2at6native12_GLOBAL__N_124unique_dim_cuda_templateIhEESt5tupleIJNSC_6TensorESH_SH_EERKSH_lbbbEUlllE1_EE10hipError_tPvRmT2_T3_mT4_P12ihipStream_tbEUlmE_lEESB_NS0_8identityIvEEEESM_SP_SQ_mSR_ST_bEUlT_E_NS1_11comp_targetILNS1_3genE10ELNS1_11target_archE1200ELNS1_3gpuE4ELNS1_3repE0EEENS1_30default_config_static_selectorELNS0_4arch9wavefront6targetE0EEEvT1_
                                        ; -- End function
	.section	.AMDGPU.csdata,"",@progbits
; Kernel info:
; codeLenInByte = 0
; NumSgprs: 0
; NumVgprs: 0
; ScratchSize: 0
; MemoryBound: 0
; FloatMode: 240
; IeeeMode: 1
; LDSByteSize: 0 bytes/workgroup (compile time only)
; SGPRBlocks: 0
; VGPRBlocks: 0
; NumSGPRsForWavesPerEU: 1
; NumVGPRsForWavesPerEU: 1
; Occupancy: 16
; WaveLimiterHint : 0
; COMPUTE_PGM_RSRC2:SCRATCH_EN: 0
; COMPUTE_PGM_RSRC2:USER_SGPR: 15
; COMPUTE_PGM_RSRC2:TRAP_HANDLER: 0
; COMPUTE_PGM_RSRC2:TGID_X_EN: 1
; COMPUTE_PGM_RSRC2:TGID_Y_EN: 0
; COMPUTE_PGM_RSRC2:TGID_Z_EN: 0
; COMPUTE_PGM_RSRC2:TIDIG_COMP_CNT: 0
	.section	.text._ZN7rocprim17ROCPRIM_400000_NS6detail17trampoline_kernelINS0_14default_configENS1_25transform_config_selectorIlLb0EEEZNS1_14transform_implILb0ES3_S5_NS0_18transform_iteratorINS0_17counting_iteratorImlEEZNS1_24adjacent_difference_implIS3_Lb1ELb0EPlSB_ZN2at6native12_GLOBAL__N_124unique_dim_cuda_templateIhEESt5tupleIJNSC_6TensorESH_SH_EERKSH_lbbbEUlllE1_EE10hipError_tPvRmT2_T3_mT4_P12ihipStream_tbEUlmE_lEESB_NS0_8identityIvEEEESM_SP_SQ_mSR_ST_bEUlT_E_NS1_11comp_targetILNS1_3genE9ELNS1_11target_archE1100ELNS1_3gpuE3ELNS1_3repE0EEENS1_30default_config_static_selectorELNS0_4arch9wavefront6targetE0EEEvT1_,"axG",@progbits,_ZN7rocprim17ROCPRIM_400000_NS6detail17trampoline_kernelINS0_14default_configENS1_25transform_config_selectorIlLb0EEEZNS1_14transform_implILb0ES3_S5_NS0_18transform_iteratorINS0_17counting_iteratorImlEEZNS1_24adjacent_difference_implIS3_Lb1ELb0EPlSB_ZN2at6native12_GLOBAL__N_124unique_dim_cuda_templateIhEESt5tupleIJNSC_6TensorESH_SH_EERKSH_lbbbEUlllE1_EE10hipError_tPvRmT2_T3_mT4_P12ihipStream_tbEUlmE_lEESB_NS0_8identityIvEEEESM_SP_SQ_mSR_ST_bEUlT_E_NS1_11comp_targetILNS1_3genE9ELNS1_11target_archE1100ELNS1_3gpuE3ELNS1_3repE0EEENS1_30default_config_static_selectorELNS0_4arch9wavefront6targetE0EEEvT1_,comdat
	.globl	_ZN7rocprim17ROCPRIM_400000_NS6detail17trampoline_kernelINS0_14default_configENS1_25transform_config_selectorIlLb0EEEZNS1_14transform_implILb0ES3_S5_NS0_18transform_iteratorINS0_17counting_iteratorImlEEZNS1_24adjacent_difference_implIS3_Lb1ELb0EPlSB_ZN2at6native12_GLOBAL__N_124unique_dim_cuda_templateIhEESt5tupleIJNSC_6TensorESH_SH_EERKSH_lbbbEUlllE1_EE10hipError_tPvRmT2_T3_mT4_P12ihipStream_tbEUlmE_lEESB_NS0_8identityIvEEEESM_SP_SQ_mSR_ST_bEUlT_E_NS1_11comp_targetILNS1_3genE9ELNS1_11target_archE1100ELNS1_3gpuE3ELNS1_3repE0EEENS1_30default_config_static_selectorELNS0_4arch9wavefront6targetE0EEEvT1_ ; -- Begin function _ZN7rocprim17ROCPRIM_400000_NS6detail17trampoline_kernelINS0_14default_configENS1_25transform_config_selectorIlLb0EEEZNS1_14transform_implILb0ES3_S5_NS0_18transform_iteratorINS0_17counting_iteratorImlEEZNS1_24adjacent_difference_implIS3_Lb1ELb0EPlSB_ZN2at6native12_GLOBAL__N_124unique_dim_cuda_templateIhEESt5tupleIJNSC_6TensorESH_SH_EERKSH_lbbbEUlllE1_EE10hipError_tPvRmT2_T3_mT4_P12ihipStream_tbEUlmE_lEESB_NS0_8identityIvEEEESM_SP_SQ_mSR_ST_bEUlT_E_NS1_11comp_targetILNS1_3genE9ELNS1_11target_archE1100ELNS1_3gpuE3ELNS1_3repE0EEENS1_30default_config_static_selectorELNS0_4arch9wavefront6targetE0EEEvT1_
	.p2align	8
	.type	_ZN7rocprim17ROCPRIM_400000_NS6detail17trampoline_kernelINS0_14default_configENS1_25transform_config_selectorIlLb0EEEZNS1_14transform_implILb0ES3_S5_NS0_18transform_iteratorINS0_17counting_iteratorImlEEZNS1_24adjacent_difference_implIS3_Lb1ELb0EPlSB_ZN2at6native12_GLOBAL__N_124unique_dim_cuda_templateIhEESt5tupleIJNSC_6TensorESH_SH_EERKSH_lbbbEUlllE1_EE10hipError_tPvRmT2_T3_mT4_P12ihipStream_tbEUlmE_lEESB_NS0_8identityIvEEEESM_SP_SQ_mSR_ST_bEUlT_E_NS1_11comp_targetILNS1_3genE9ELNS1_11target_archE1100ELNS1_3gpuE3ELNS1_3repE0EEENS1_30default_config_static_selectorELNS0_4arch9wavefront6targetE0EEEvT1_,@function
_ZN7rocprim17ROCPRIM_400000_NS6detail17trampoline_kernelINS0_14default_configENS1_25transform_config_selectorIlLb0EEEZNS1_14transform_implILb0ES3_S5_NS0_18transform_iteratorINS0_17counting_iteratorImlEEZNS1_24adjacent_difference_implIS3_Lb1ELb0EPlSB_ZN2at6native12_GLOBAL__N_124unique_dim_cuda_templateIhEESt5tupleIJNSC_6TensorESH_SH_EERKSH_lbbbEUlllE1_EE10hipError_tPvRmT2_T3_mT4_P12ihipStream_tbEUlmE_lEESB_NS0_8identityIvEEEESM_SP_SQ_mSR_ST_bEUlT_E_NS1_11comp_targetILNS1_3genE9ELNS1_11target_archE1100ELNS1_3gpuE3ELNS1_3repE0EEENS1_30default_config_static_selectorELNS0_4arch9wavefront6targetE0EEEvT1_: ; @_ZN7rocprim17ROCPRIM_400000_NS6detail17trampoline_kernelINS0_14default_configENS1_25transform_config_selectorIlLb0EEEZNS1_14transform_implILb0ES3_S5_NS0_18transform_iteratorINS0_17counting_iteratorImlEEZNS1_24adjacent_difference_implIS3_Lb1ELb0EPlSB_ZN2at6native12_GLOBAL__N_124unique_dim_cuda_templateIhEESt5tupleIJNSC_6TensorESH_SH_EERKSH_lbbbEUlllE1_EE10hipError_tPvRmT2_T3_mT4_P12ihipStream_tbEUlmE_lEESB_NS0_8identityIvEEEESM_SP_SQ_mSR_ST_bEUlT_E_NS1_11comp_targetILNS1_3genE9ELNS1_11target_archE1100ELNS1_3gpuE3ELNS1_3repE0EEENS1_30default_config_static_selectorELNS0_4arch9wavefront6targetE0EEEvT1_
; %bb.0:
	s_clause 0x4
	s_load_b128 s[4:7], s[0:1], 0x0
	s_load_b64 s[2:3], s[0:1], 0x18
	s_load_b64 s[12:13], s[0:1], 0x28
	s_load_b32 s11, s[0:1], 0x38
	s_load_b32 s8, s[0:1], 0x10
	s_waitcnt lgkmcnt(0)
	s_add_u32 s9, s2, s4
	s_addc_u32 s10, s3, s5
	s_lshl_b64 s[2:3], s[2:3], 3
	s_delay_alu instid0(SALU_CYCLE_1)
	s_add_u32 s4, s12, s2
	s_addc_u32 s5, s13, s3
	s_add_i32 s11, s11, -1
	s_lshl_b32 s2, s15, 9
	s_mov_b32 s3, 0
	s_cmp_lg_u32 s15, s11
	s_mov_b32 s11, -1
	s_cbranch_scc0 .LBB73_2
; %bb.1:
	s_add_u32 s11, s9, s2
	s_addc_u32 s12, s10, 0
	v_add_co_u32 v3, s11, s11, v0
	s_delay_alu instid0(VALU_DEP_1) | instskip(SKIP_1) | instid1(VALU_DEP_2)
	v_add_co_ci_u32_e64 v5, null, s12, 0, s11
	s_lshl_b64 s[12:13], s[2:3], 3
	v_mad_u64_u32 v[1:2], null, v3, s8, 0
	s_add_u32 s12, s4, s12
	s_addc_u32 s13, s5, s13
	s_mov_b32 s11, s3
	s_delay_alu instid0(VALU_DEP_1) | instskip(NEXT) | instid1(VALU_DEP_1)
	v_mad_u64_u32 v[3:4], null, v5, s8, v[2:3]
	v_dual_mov_b32 v2, v3 :: v_dual_lshlrev_b32 v3, 3, v0
	s_delay_alu instid0(VALU_DEP_1) | instskip(NEXT) | instid1(VALU_DEP_1)
	v_lshlrev_b64 v[1:2], 3, v[1:2]
	v_add_co_u32 v1, vcc_lo, s6, v1
	s_delay_alu instid0(VALU_DEP_2)
	v_add_co_ci_u32_e32 v2, vcc_lo, s7, v2, vcc_lo
	global_load_b64 v[1:2], v[1:2], off
	s_waitcnt vmcnt(0)
	global_store_b64 v3, v[1:2], s[12:13]
.LBB73_2:
	s_and_not1_b32 vcc_lo, exec_lo, s11
	s_cbranch_vccnz .LBB73_7
; %bb.3:
	s_load_b32 s0, s[0:1], 0x20
                                        ; implicit-def: $vgpr1_vgpr2
	s_waitcnt lgkmcnt(0)
	s_sub_i32 s0, s0, s2
	s_delay_alu instid0(SALU_CYCLE_1)
	v_cmp_gt_u32_e32 vcc_lo, s0, v0
	s_and_saveexec_b32 s1, vcc_lo
	s_cbranch_execz .LBB73_5
; %bb.4:
	s_add_u32 s0, s9, s2
	s_addc_u32 s9, s10, 0
	v_add_co_u32 v3, s0, s0, v0
	s_delay_alu instid0(VALU_DEP_1) | instskip(NEXT) | instid1(VALU_DEP_2)
	v_add_co_ci_u32_e64 v5, null, s9, 0, s0
	v_mad_u64_u32 v[1:2], null, v3, s8, 0
	s_delay_alu instid0(VALU_DEP_1) | instskip(NEXT) | instid1(VALU_DEP_1)
	v_mad_u64_u32 v[3:4], null, v5, s8, v[2:3]
	v_mov_b32_e32 v2, v3
	s_delay_alu instid0(VALU_DEP_1) | instskip(NEXT) | instid1(VALU_DEP_1)
	v_lshlrev_b64 v[1:2], 3, v[1:2]
	v_add_co_u32 v1, s0, s6, v1
	s_delay_alu instid0(VALU_DEP_1)
	v_add_co_ci_u32_e64 v2, s0, s7, v2, s0
	global_load_b64 v[1:2], v[1:2], off
.LBB73_5:
	s_or_b32 exec_lo, exec_lo, s1
	s_and_saveexec_b32 s0, vcc_lo
	s_cbranch_execz .LBB73_7
; %bb.6:
	s_lshl_b64 s[0:1], s[2:3], 3
	v_lshlrev_b32_e32 v0, 3, v0
	s_add_u32 s0, s4, s0
	s_addc_u32 s1, s5, s1
	s_waitcnt vmcnt(0)
	global_store_b64 v0, v[1:2], s[0:1]
.LBB73_7:
	s_nop 0
	s_sendmsg sendmsg(MSG_DEALLOC_VGPRS)
	s_endpgm
	.section	.rodata,"a",@progbits
	.p2align	6, 0x0
	.amdhsa_kernel _ZN7rocprim17ROCPRIM_400000_NS6detail17trampoline_kernelINS0_14default_configENS1_25transform_config_selectorIlLb0EEEZNS1_14transform_implILb0ES3_S5_NS0_18transform_iteratorINS0_17counting_iteratorImlEEZNS1_24adjacent_difference_implIS3_Lb1ELb0EPlSB_ZN2at6native12_GLOBAL__N_124unique_dim_cuda_templateIhEESt5tupleIJNSC_6TensorESH_SH_EERKSH_lbbbEUlllE1_EE10hipError_tPvRmT2_T3_mT4_P12ihipStream_tbEUlmE_lEESB_NS0_8identityIvEEEESM_SP_SQ_mSR_ST_bEUlT_E_NS1_11comp_targetILNS1_3genE9ELNS1_11target_archE1100ELNS1_3gpuE3ELNS1_3repE0EEENS1_30default_config_static_selectorELNS0_4arch9wavefront6targetE0EEEvT1_
		.amdhsa_group_segment_fixed_size 0
		.amdhsa_private_segment_fixed_size 0
		.amdhsa_kernarg_size 312
		.amdhsa_user_sgpr_count 15
		.amdhsa_user_sgpr_dispatch_ptr 0
		.amdhsa_user_sgpr_queue_ptr 0
		.amdhsa_user_sgpr_kernarg_segment_ptr 1
		.amdhsa_user_sgpr_dispatch_id 0
		.amdhsa_user_sgpr_private_segment_size 0
		.amdhsa_wavefront_size32 1
		.amdhsa_uses_dynamic_stack 0
		.amdhsa_enable_private_segment 0
		.amdhsa_system_sgpr_workgroup_id_x 1
		.amdhsa_system_sgpr_workgroup_id_y 0
		.amdhsa_system_sgpr_workgroup_id_z 0
		.amdhsa_system_sgpr_workgroup_info 0
		.amdhsa_system_vgpr_workitem_id 0
		.amdhsa_next_free_vgpr 6
		.amdhsa_next_free_sgpr 16
		.amdhsa_reserve_vcc 1
		.amdhsa_float_round_mode_32 0
		.amdhsa_float_round_mode_16_64 0
		.amdhsa_float_denorm_mode_32 3
		.amdhsa_float_denorm_mode_16_64 3
		.amdhsa_dx10_clamp 1
		.amdhsa_ieee_mode 1
		.amdhsa_fp16_overflow 0
		.amdhsa_workgroup_processor_mode 1
		.amdhsa_memory_ordered 1
		.amdhsa_forward_progress 0
		.amdhsa_shared_vgpr_count 0
		.amdhsa_exception_fp_ieee_invalid_op 0
		.amdhsa_exception_fp_denorm_src 0
		.amdhsa_exception_fp_ieee_div_zero 0
		.amdhsa_exception_fp_ieee_overflow 0
		.amdhsa_exception_fp_ieee_underflow 0
		.amdhsa_exception_fp_ieee_inexact 0
		.amdhsa_exception_int_div_zero 0
	.end_amdhsa_kernel
	.section	.text._ZN7rocprim17ROCPRIM_400000_NS6detail17trampoline_kernelINS0_14default_configENS1_25transform_config_selectorIlLb0EEEZNS1_14transform_implILb0ES3_S5_NS0_18transform_iteratorINS0_17counting_iteratorImlEEZNS1_24adjacent_difference_implIS3_Lb1ELb0EPlSB_ZN2at6native12_GLOBAL__N_124unique_dim_cuda_templateIhEESt5tupleIJNSC_6TensorESH_SH_EERKSH_lbbbEUlllE1_EE10hipError_tPvRmT2_T3_mT4_P12ihipStream_tbEUlmE_lEESB_NS0_8identityIvEEEESM_SP_SQ_mSR_ST_bEUlT_E_NS1_11comp_targetILNS1_3genE9ELNS1_11target_archE1100ELNS1_3gpuE3ELNS1_3repE0EEENS1_30default_config_static_selectorELNS0_4arch9wavefront6targetE0EEEvT1_,"axG",@progbits,_ZN7rocprim17ROCPRIM_400000_NS6detail17trampoline_kernelINS0_14default_configENS1_25transform_config_selectorIlLb0EEEZNS1_14transform_implILb0ES3_S5_NS0_18transform_iteratorINS0_17counting_iteratorImlEEZNS1_24adjacent_difference_implIS3_Lb1ELb0EPlSB_ZN2at6native12_GLOBAL__N_124unique_dim_cuda_templateIhEESt5tupleIJNSC_6TensorESH_SH_EERKSH_lbbbEUlllE1_EE10hipError_tPvRmT2_T3_mT4_P12ihipStream_tbEUlmE_lEESB_NS0_8identityIvEEEESM_SP_SQ_mSR_ST_bEUlT_E_NS1_11comp_targetILNS1_3genE9ELNS1_11target_archE1100ELNS1_3gpuE3ELNS1_3repE0EEENS1_30default_config_static_selectorELNS0_4arch9wavefront6targetE0EEEvT1_,comdat
.Lfunc_end73:
	.size	_ZN7rocprim17ROCPRIM_400000_NS6detail17trampoline_kernelINS0_14default_configENS1_25transform_config_selectorIlLb0EEEZNS1_14transform_implILb0ES3_S5_NS0_18transform_iteratorINS0_17counting_iteratorImlEEZNS1_24adjacent_difference_implIS3_Lb1ELb0EPlSB_ZN2at6native12_GLOBAL__N_124unique_dim_cuda_templateIhEESt5tupleIJNSC_6TensorESH_SH_EERKSH_lbbbEUlllE1_EE10hipError_tPvRmT2_T3_mT4_P12ihipStream_tbEUlmE_lEESB_NS0_8identityIvEEEESM_SP_SQ_mSR_ST_bEUlT_E_NS1_11comp_targetILNS1_3genE9ELNS1_11target_archE1100ELNS1_3gpuE3ELNS1_3repE0EEENS1_30default_config_static_selectorELNS0_4arch9wavefront6targetE0EEEvT1_, .Lfunc_end73-_ZN7rocprim17ROCPRIM_400000_NS6detail17trampoline_kernelINS0_14default_configENS1_25transform_config_selectorIlLb0EEEZNS1_14transform_implILb0ES3_S5_NS0_18transform_iteratorINS0_17counting_iteratorImlEEZNS1_24adjacent_difference_implIS3_Lb1ELb0EPlSB_ZN2at6native12_GLOBAL__N_124unique_dim_cuda_templateIhEESt5tupleIJNSC_6TensorESH_SH_EERKSH_lbbbEUlllE1_EE10hipError_tPvRmT2_T3_mT4_P12ihipStream_tbEUlmE_lEESB_NS0_8identityIvEEEESM_SP_SQ_mSR_ST_bEUlT_E_NS1_11comp_targetILNS1_3genE9ELNS1_11target_archE1100ELNS1_3gpuE3ELNS1_3repE0EEENS1_30default_config_static_selectorELNS0_4arch9wavefront6targetE0EEEvT1_
                                        ; -- End function
	.section	.AMDGPU.csdata,"",@progbits
; Kernel info:
; codeLenInByte = 400
; NumSgprs: 18
; NumVgprs: 6
; ScratchSize: 0
; MemoryBound: 0
; FloatMode: 240
; IeeeMode: 1
; LDSByteSize: 0 bytes/workgroup (compile time only)
; SGPRBlocks: 2
; VGPRBlocks: 0
; NumSGPRsForWavesPerEU: 18
; NumVGPRsForWavesPerEU: 6
; Occupancy: 16
; WaveLimiterHint : 0
; COMPUTE_PGM_RSRC2:SCRATCH_EN: 0
; COMPUTE_PGM_RSRC2:USER_SGPR: 15
; COMPUTE_PGM_RSRC2:TRAP_HANDLER: 0
; COMPUTE_PGM_RSRC2:TGID_X_EN: 1
; COMPUTE_PGM_RSRC2:TGID_Y_EN: 0
; COMPUTE_PGM_RSRC2:TGID_Z_EN: 0
; COMPUTE_PGM_RSRC2:TIDIG_COMP_CNT: 0
	.section	.text._ZN7rocprim17ROCPRIM_400000_NS6detail17trampoline_kernelINS0_14default_configENS1_25transform_config_selectorIlLb0EEEZNS1_14transform_implILb0ES3_S5_NS0_18transform_iteratorINS0_17counting_iteratorImlEEZNS1_24adjacent_difference_implIS3_Lb1ELb0EPlSB_ZN2at6native12_GLOBAL__N_124unique_dim_cuda_templateIhEESt5tupleIJNSC_6TensorESH_SH_EERKSH_lbbbEUlllE1_EE10hipError_tPvRmT2_T3_mT4_P12ihipStream_tbEUlmE_lEESB_NS0_8identityIvEEEESM_SP_SQ_mSR_ST_bEUlT_E_NS1_11comp_targetILNS1_3genE8ELNS1_11target_archE1030ELNS1_3gpuE2ELNS1_3repE0EEENS1_30default_config_static_selectorELNS0_4arch9wavefront6targetE0EEEvT1_,"axG",@progbits,_ZN7rocprim17ROCPRIM_400000_NS6detail17trampoline_kernelINS0_14default_configENS1_25transform_config_selectorIlLb0EEEZNS1_14transform_implILb0ES3_S5_NS0_18transform_iteratorINS0_17counting_iteratorImlEEZNS1_24adjacent_difference_implIS3_Lb1ELb0EPlSB_ZN2at6native12_GLOBAL__N_124unique_dim_cuda_templateIhEESt5tupleIJNSC_6TensorESH_SH_EERKSH_lbbbEUlllE1_EE10hipError_tPvRmT2_T3_mT4_P12ihipStream_tbEUlmE_lEESB_NS0_8identityIvEEEESM_SP_SQ_mSR_ST_bEUlT_E_NS1_11comp_targetILNS1_3genE8ELNS1_11target_archE1030ELNS1_3gpuE2ELNS1_3repE0EEENS1_30default_config_static_selectorELNS0_4arch9wavefront6targetE0EEEvT1_,comdat
	.globl	_ZN7rocprim17ROCPRIM_400000_NS6detail17trampoline_kernelINS0_14default_configENS1_25transform_config_selectorIlLb0EEEZNS1_14transform_implILb0ES3_S5_NS0_18transform_iteratorINS0_17counting_iteratorImlEEZNS1_24adjacent_difference_implIS3_Lb1ELb0EPlSB_ZN2at6native12_GLOBAL__N_124unique_dim_cuda_templateIhEESt5tupleIJNSC_6TensorESH_SH_EERKSH_lbbbEUlllE1_EE10hipError_tPvRmT2_T3_mT4_P12ihipStream_tbEUlmE_lEESB_NS0_8identityIvEEEESM_SP_SQ_mSR_ST_bEUlT_E_NS1_11comp_targetILNS1_3genE8ELNS1_11target_archE1030ELNS1_3gpuE2ELNS1_3repE0EEENS1_30default_config_static_selectorELNS0_4arch9wavefront6targetE0EEEvT1_ ; -- Begin function _ZN7rocprim17ROCPRIM_400000_NS6detail17trampoline_kernelINS0_14default_configENS1_25transform_config_selectorIlLb0EEEZNS1_14transform_implILb0ES3_S5_NS0_18transform_iteratorINS0_17counting_iteratorImlEEZNS1_24adjacent_difference_implIS3_Lb1ELb0EPlSB_ZN2at6native12_GLOBAL__N_124unique_dim_cuda_templateIhEESt5tupleIJNSC_6TensorESH_SH_EERKSH_lbbbEUlllE1_EE10hipError_tPvRmT2_T3_mT4_P12ihipStream_tbEUlmE_lEESB_NS0_8identityIvEEEESM_SP_SQ_mSR_ST_bEUlT_E_NS1_11comp_targetILNS1_3genE8ELNS1_11target_archE1030ELNS1_3gpuE2ELNS1_3repE0EEENS1_30default_config_static_selectorELNS0_4arch9wavefront6targetE0EEEvT1_
	.p2align	8
	.type	_ZN7rocprim17ROCPRIM_400000_NS6detail17trampoline_kernelINS0_14default_configENS1_25transform_config_selectorIlLb0EEEZNS1_14transform_implILb0ES3_S5_NS0_18transform_iteratorINS0_17counting_iteratorImlEEZNS1_24adjacent_difference_implIS3_Lb1ELb0EPlSB_ZN2at6native12_GLOBAL__N_124unique_dim_cuda_templateIhEESt5tupleIJNSC_6TensorESH_SH_EERKSH_lbbbEUlllE1_EE10hipError_tPvRmT2_T3_mT4_P12ihipStream_tbEUlmE_lEESB_NS0_8identityIvEEEESM_SP_SQ_mSR_ST_bEUlT_E_NS1_11comp_targetILNS1_3genE8ELNS1_11target_archE1030ELNS1_3gpuE2ELNS1_3repE0EEENS1_30default_config_static_selectorELNS0_4arch9wavefront6targetE0EEEvT1_,@function
_ZN7rocprim17ROCPRIM_400000_NS6detail17trampoline_kernelINS0_14default_configENS1_25transform_config_selectorIlLb0EEEZNS1_14transform_implILb0ES3_S5_NS0_18transform_iteratorINS0_17counting_iteratorImlEEZNS1_24adjacent_difference_implIS3_Lb1ELb0EPlSB_ZN2at6native12_GLOBAL__N_124unique_dim_cuda_templateIhEESt5tupleIJNSC_6TensorESH_SH_EERKSH_lbbbEUlllE1_EE10hipError_tPvRmT2_T3_mT4_P12ihipStream_tbEUlmE_lEESB_NS0_8identityIvEEEESM_SP_SQ_mSR_ST_bEUlT_E_NS1_11comp_targetILNS1_3genE8ELNS1_11target_archE1030ELNS1_3gpuE2ELNS1_3repE0EEENS1_30default_config_static_selectorELNS0_4arch9wavefront6targetE0EEEvT1_: ; @_ZN7rocprim17ROCPRIM_400000_NS6detail17trampoline_kernelINS0_14default_configENS1_25transform_config_selectorIlLb0EEEZNS1_14transform_implILb0ES3_S5_NS0_18transform_iteratorINS0_17counting_iteratorImlEEZNS1_24adjacent_difference_implIS3_Lb1ELb0EPlSB_ZN2at6native12_GLOBAL__N_124unique_dim_cuda_templateIhEESt5tupleIJNSC_6TensorESH_SH_EERKSH_lbbbEUlllE1_EE10hipError_tPvRmT2_T3_mT4_P12ihipStream_tbEUlmE_lEESB_NS0_8identityIvEEEESM_SP_SQ_mSR_ST_bEUlT_E_NS1_11comp_targetILNS1_3genE8ELNS1_11target_archE1030ELNS1_3gpuE2ELNS1_3repE0EEENS1_30default_config_static_selectorELNS0_4arch9wavefront6targetE0EEEvT1_
; %bb.0:
	.section	.rodata,"a",@progbits
	.p2align	6, 0x0
	.amdhsa_kernel _ZN7rocprim17ROCPRIM_400000_NS6detail17trampoline_kernelINS0_14default_configENS1_25transform_config_selectorIlLb0EEEZNS1_14transform_implILb0ES3_S5_NS0_18transform_iteratorINS0_17counting_iteratorImlEEZNS1_24adjacent_difference_implIS3_Lb1ELb0EPlSB_ZN2at6native12_GLOBAL__N_124unique_dim_cuda_templateIhEESt5tupleIJNSC_6TensorESH_SH_EERKSH_lbbbEUlllE1_EE10hipError_tPvRmT2_T3_mT4_P12ihipStream_tbEUlmE_lEESB_NS0_8identityIvEEEESM_SP_SQ_mSR_ST_bEUlT_E_NS1_11comp_targetILNS1_3genE8ELNS1_11target_archE1030ELNS1_3gpuE2ELNS1_3repE0EEENS1_30default_config_static_selectorELNS0_4arch9wavefront6targetE0EEEvT1_
		.amdhsa_group_segment_fixed_size 0
		.amdhsa_private_segment_fixed_size 0
		.amdhsa_kernarg_size 56
		.amdhsa_user_sgpr_count 15
		.amdhsa_user_sgpr_dispatch_ptr 0
		.amdhsa_user_sgpr_queue_ptr 0
		.amdhsa_user_sgpr_kernarg_segment_ptr 1
		.amdhsa_user_sgpr_dispatch_id 0
		.amdhsa_user_sgpr_private_segment_size 0
		.amdhsa_wavefront_size32 1
		.amdhsa_uses_dynamic_stack 0
		.amdhsa_enable_private_segment 0
		.amdhsa_system_sgpr_workgroup_id_x 1
		.amdhsa_system_sgpr_workgroup_id_y 0
		.amdhsa_system_sgpr_workgroup_id_z 0
		.amdhsa_system_sgpr_workgroup_info 0
		.amdhsa_system_vgpr_workitem_id 0
		.amdhsa_next_free_vgpr 1
		.amdhsa_next_free_sgpr 1
		.amdhsa_reserve_vcc 0
		.amdhsa_float_round_mode_32 0
		.amdhsa_float_round_mode_16_64 0
		.amdhsa_float_denorm_mode_32 3
		.amdhsa_float_denorm_mode_16_64 3
		.amdhsa_dx10_clamp 1
		.amdhsa_ieee_mode 1
		.amdhsa_fp16_overflow 0
		.amdhsa_workgroup_processor_mode 1
		.amdhsa_memory_ordered 1
		.amdhsa_forward_progress 0
		.amdhsa_shared_vgpr_count 0
		.amdhsa_exception_fp_ieee_invalid_op 0
		.amdhsa_exception_fp_denorm_src 0
		.amdhsa_exception_fp_ieee_div_zero 0
		.amdhsa_exception_fp_ieee_overflow 0
		.amdhsa_exception_fp_ieee_underflow 0
		.amdhsa_exception_fp_ieee_inexact 0
		.amdhsa_exception_int_div_zero 0
	.end_amdhsa_kernel
	.section	.text._ZN7rocprim17ROCPRIM_400000_NS6detail17trampoline_kernelINS0_14default_configENS1_25transform_config_selectorIlLb0EEEZNS1_14transform_implILb0ES3_S5_NS0_18transform_iteratorINS0_17counting_iteratorImlEEZNS1_24adjacent_difference_implIS3_Lb1ELb0EPlSB_ZN2at6native12_GLOBAL__N_124unique_dim_cuda_templateIhEESt5tupleIJNSC_6TensorESH_SH_EERKSH_lbbbEUlllE1_EE10hipError_tPvRmT2_T3_mT4_P12ihipStream_tbEUlmE_lEESB_NS0_8identityIvEEEESM_SP_SQ_mSR_ST_bEUlT_E_NS1_11comp_targetILNS1_3genE8ELNS1_11target_archE1030ELNS1_3gpuE2ELNS1_3repE0EEENS1_30default_config_static_selectorELNS0_4arch9wavefront6targetE0EEEvT1_,"axG",@progbits,_ZN7rocprim17ROCPRIM_400000_NS6detail17trampoline_kernelINS0_14default_configENS1_25transform_config_selectorIlLb0EEEZNS1_14transform_implILb0ES3_S5_NS0_18transform_iteratorINS0_17counting_iteratorImlEEZNS1_24adjacent_difference_implIS3_Lb1ELb0EPlSB_ZN2at6native12_GLOBAL__N_124unique_dim_cuda_templateIhEESt5tupleIJNSC_6TensorESH_SH_EERKSH_lbbbEUlllE1_EE10hipError_tPvRmT2_T3_mT4_P12ihipStream_tbEUlmE_lEESB_NS0_8identityIvEEEESM_SP_SQ_mSR_ST_bEUlT_E_NS1_11comp_targetILNS1_3genE8ELNS1_11target_archE1030ELNS1_3gpuE2ELNS1_3repE0EEENS1_30default_config_static_selectorELNS0_4arch9wavefront6targetE0EEEvT1_,comdat
.Lfunc_end74:
	.size	_ZN7rocprim17ROCPRIM_400000_NS6detail17trampoline_kernelINS0_14default_configENS1_25transform_config_selectorIlLb0EEEZNS1_14transform_implILb0ES3_S5_NS0_18transform_iteratorINS0_17counting_iteratorImlEEZNS1_24adjacent_difference_implIS3_Lb1ELb0EPlSB_ZN2at6native12_GLOBAL__N_124unique_dim_cuda_templateIhEESt5tupleIJNSC_6TensorESH_SH_EERKSH_lbbbEUlllE1_EE10hipError_tPvRmT2_T3_mT4_P12ihipStream_tbEUlmE_lEESB_NS0_8identityIvEEEESM_SP_SQ_mSR_ST_bEUlT_E_NS1_11comp_targetILNS1_3genE8ELNS1_11target_archE1030ELNS1_3gpuE2ELNS1_3repE0EEENS1_30default_config_static_selectorELNS0_4arch9wavefront6targetE0EEEvT1_, .Lfunc_end74-_ZN7rocprim17ROCPRIM_400000_NS6detail17trampoline_kernelINS0_14default_configENS1_25transform_config_selectorIlLb0EEEZNS1_14transform_implILb0ES3_S5_NS0_18transform_iteratorINS0_17counting_iteratorImlEEZNS1_24adjacent_difference_implIS3_Lb1ELb0EPlSB_ZN2at6native12_GLOBAL__N_124unique_dim_cuda_templateIhEESt5tupleIJNSC_6TensorESH_SH_EERKSH_lbbbEUlllE1_EE10hipError_tPvRmT2_T3_mT4_P12ihipStream_tbEUlmE_lEESB_NS0_8identityIvEEEESM_SP_SQ_mSR_ST_bEUlT_E_NS1_11comp_targetILNS1_3genE8ELNS1_11target_archE1030ELNS1_3gpuE2ELNS1_3repE0EEENS1_30default_config_static_selectorELNS0_4arch9wavefront6targetE0EEEvT1_
                                        ; -- End function
	.section	.AMDGPU.csdata,"",@progbits
; Kernel info:
; codeLenInByte = 0
; NumSgprs: 0
; NumVgprs: 0
; ScratchSize: 0
; MemoryBound: 0
; FloatMode: 240
; IeeeMode: 1
; LDSByteSize: 0 bytes/workgroup (compile time only)
; SGPRBlocks: 0
; VGPRBlocks: 0
; NumSGPRsForWavesPerEU: 1
; NumVGPRsForWavesPerEU: 1
; Occupancy: 16
; WaveLimiterHint : 0
; COMPUTE_PGM_RSRC2:SCRATCH_EN: 0
; COMPUTE_PGM_RSRC2:USER_SGPR: 15
; COMPUTE_PGM_RSRC2:TRAP_HANDLER: 0
; COMPUTE_PGM_RSRC2:TGID_X_EN: 1
; COMPUTE_PGM_RSRC2:TGID_Y_EN: 0
; COMPUTE_PGM_RSRC2:TGID_Z_EN: 0
; COMPUTE_PGM_RSRC2:TIDIG_COMP_CNT: 0
	.section	.text._ZN7rocprim17ROCPRIM_400000_NS6detail17trampoline_kernelINS0_14default_configENS1_35adjacent_difference_config_selectorILb1ElEEZNS1_24adjacent_difference_implIS3_Lb1ELb0EPlS7_ZN2at6native12_GLOBAL__N_124unique_dim_cuda_templateIhEESt5tupleIJNS8_6TensorESD_SD_EERKSD_lbbbEUlllE1_EE10hipError_tPvRmT2_T3_mT4_P12ihipStream_tbEUlT_E_NS1_11comp_targetILNS1_3genE0ELNS1_11target_archE4294967295ELNS1_3gpuE0ELNS1_3repE0EEENS1_30default_config_static_selectorELNS0_4arch9wavefront6targetE0EEEvT1_,"axG",@progbits,_ZN7rocprim17ROCPRIM_400000_NS6detail17trampoline_kernelINS0_14default_configENS1_35adjacent_difference_config_selectorILb1ElEEZNS1_24adjacent_difference_implIS3_Lb1ELb0EPlS7_ZN2at6native12_GLOBAL__N_124unique_dim_cuda_templateIhEESt5tupleIJNS8_6TensorESD_SD_EERKSD_lbbbEUlllE1_EE10hipError_tPvRmT2_T3_mT4_P12ihipStream_tbEUlT_E_NS1_11comp_targetILNS1_3genE0ELNS1_11target_archE4294967295ELNS1_3gpuE0ELNS1_3repE0EEENS1_30default_config_static_selectorELNS0_4arch9wavefront6targetE0EEEvT1_,comdat
	.globl	_ZN7rocprim17ROCPRIM_400000_NS6detail17trampoline_kernelINS0_14default_configENS1_35adjacent_difference_config_selectorILb1ElEEZNS1_24adjacent_difference_implIS3_Lb1ELb0EPlS7_ZN2at6native12_GLOBAL__N_124unique_dim_cuda_templateIhEESt5tupleIJNS8_6TensorESD_SD_EERKSD_lbbbEUlllE1_EE10hipError_tPvRmT2_T3_mT4_P12ihipStream_tbEUlT_E_NS1_11comp_targetILNS1_3genE0ELNS1_11target_archE4294967295ELNS1_3gpuE0ELNS1_3repE0EEENS1_30default_config_static_selectorELNS0_4arch9wavefront6targetE0EEEvT1_ ; -- Begin function _ZN7rocprim17ROCPRIM_400000_NS6detail17trampoline_kernelINS0_14default_configENS1_35adjacent_difference_config_selectorILb1ElEEZNS1_24adjacent_difference_implIS3_Lb1ELb0EPlS7_ZN2at6native12_GLOBAL__N_124unique_dim_cuda_templateIhEESt5tupleIJNS8_6TensorESD_SD_EERKSD_lbbbEUlllE1_EE10hipError_tPvRmT2_T3_mT4_P12ihipStream_tbEUlT_E_NS1_11comp_targetILNS1_3genE0ELNS1_11target_archE4294967295ELNS1_3gpuE0ELNS1_3repE0EEENS1_30default_config_static_selectorELNS0_4arch9wavefront6targetE0EEEvT1_
	.p2align	8
	.type	_ZN7rocprim17ROCPRIM_400000_NS6detail17trampoline_kernelINS0_14default_configENS1_35adjacent_difference_config_selectorILb1ElEEZNS1_24adjacent_difference_implIS3_Lb1ELb0EPlS7_ZN2at6native12_GLOBAL__N_124unique_dim_cuda_templateIhEESt5tupleIJNS8_6TensorESD_SD_EERKSD_lbbbEUlllE1_EE10hipError_tPvRmT2_T3_mT4_P12ihipStream_tbEUlT_E_NS1_11comp_targetILNS1_3genE0ELNS1_11target_archE4294967295ELNS1_3gpuE0ELNS1_3repE0EEENS1_30default_config_static_selectorELNS0_4arch9wavefront6targetE0EEEvT1_,@function
_ZN7rocprim17ROCPRIM_400000_NS6detail17trampoline_kernelINS0_14default_configENS1_35adjacent_difference_config_selectorILb1ElEEZNS1_24adjacent_difference_implIS3_Lb1ELb0EPlS7_ZN2at6native12_GLOBAL__N_124unique_dim_cuda_templateIhEESt5tupleIJNS8_6TensorESD_SD_EERKSD_lbbbEUlllE1_EE10hipError_tPvRmT2_T3_mT4_P12ihipStream_tbEUlT_E_NS1_11comp_targetILNS1_3genE0ELNS1_11target_archE4294967295ELNS1_3gpuE0ELNS1_3repE0EEENS1_30default_config_static_selectorELNS0_4arch9wavefront6targetE0EEEvT1_: ; @_ZN7rocprim17ROCPRIM_400000_NS6detail17trampoline_kernelINS0_14default_configENS1_35adjacent_difference_config_selectorILb1ElEEZNS1_24adjacent_difference_implIS3_Lb1ELb0EPlS7_ZN2at6native12_GLOBAL__N_124unique_dim_cuda_templateIhEESt5tupleIJNS8_6TensorESD_SD_EERKSD_lbbbEUlllE1_EE10hipError_tPvRmT2_T3_mT4_P12ihipStream_tbEUlT_E_NS1_11comp_targetILNS1_3genE0ELNS1_11target_archE4294967295ELNS1_3gpuE0ELNS1_3repE0EEENS1_30default_config_static_selectorELNS0_4arch9wavefront6targetE0EEEvT1_
; %bb.0:
	.section	.rodata,"a",@progbits
	.p2align	6, 0x0
	.amdhsa_kernel _ZN7rocprim17ROCPRIM_400000_NS6detail17trampoline_kernelINS0_14default_configENS1_35adjacent_difference_config_selectorILb1ElEEZNS1_24adjacent_difference_implIS3_Lb1ELb0EPlS7_ZN2at6native12_GLOBAL__N_124unique_dim_cuda_templateIhEESt5tupleIJNS8_6TensorESD_SD_EERKSD_lbbbEUlllE1_EE10hipError_tPvRmT2_T3_mT4_P12ihipStream_tbEUlT_E_NS1_11comp_targetILNS1_3genE0ELNS1_11target_archE4294967295ELNS1_3gpuE0ELNS1_3repE0EEENS1_30default_config_static_selectorELNS0_4arch9wavefront6targetE0EEEvT1_
		.amdhsa_group_segment_fixed_size 0
		.amdhsa_private_segment_fixed_size 0
		.amdhsa_kernarg_size 64
		.amdhsa_user_sgpr_count 15
		.amdhsa_user_sgpr_dispatch_ptr 0
		.amdhsa_user_sgpr_queue_ptr 0
		.amdhsa_user_sgpr_kernarg_segment_ptr 1
		.amdhsa_user_sgpr_dispatch_id 0
		.amdhsa_user_sgpr_private_segment_size 0
		.amdhsa_wavefront_size32 1
		.amdhsa_uses_dynamic_stack 0
		.amdhsa_enable_private_segment 0
		.amdhsa_system_sgpr_workgroup_id_x 1
		.amdhsa_system_sgpr_workgroup_id_y 0
		.amdhsa_system_sgpr_workgroup_id_z 0
		.amdhsa_system_sgpr_workgroup_info 0
		.amdhsa_system_vgpr_workitem_id 0
		.amdhsa_next_free_vgpr 1
		.amdhsa_next_free_sgpr 1
		.amdhsa_reserve_vcc 0
		.amdhsa_float_round_mode_32 0
		.amdhsa_float_round_mode_16_64 0
		.amdhsa_float_denorm_mode_32 3
		.amdhsa_float_denorm_mode_16_64 3
		.amdhsa_dx10_clamp 1
		.amdhsa_ieee_mode 1
		.amdhsa_fp16_overflow 0
		.amdhsa_workgroup_processor_mode 1
		.amdhsa_memory_ordered 1
		.amdhsa_forward_progress 0
		.amdhsa_shared_vgpr_count 0
		.amdhsa_exception_fp_ieee_invalid_op 0
		.amdhsa_exception_fp_denorm_src 0
		.amdhsa_exception_fp_ieee_div_zero 0
		.amdhsa_exception_fp_ieee_overflow 0
		.amdhsa_exception_fp_ieee_underflow 0
		.amdhsa_exception_fp_ieee_inexact 0
		.amdhsa_exception_int_div_zero 0
	.end_amdhsa_kernel
	.section	.text._ZN7rocprim17ROCPRIM_400000_NS6detail17trampoline_kernelINS0_14default_configENS1_35adjacent_difference_config_selectorILb1ElEEZNS1_24adjacent_difference_implIS3_Lb1ELb0EPlS7_ZN2at6native12_GLOBAL__N_124unique_dim_cuda_templateIhEESt5tupleIJNS8_6TensorESD_SD_EERKSD_lbbbEUlllE1_EE10hipError_tPvRmT2_T3_mT4_P12ihipStream_tbEUlT_E_NS1_11comp_targetILNS1_3genE0ELNS1_11target_archE4294967295ELNS1_3gpuE0ELNS1_3repE0EEENS1_30default_config_static_selectorELNS0_4arch9wavefront6targetE0EEEvT1_,"axG",@progbits,_ZN7rocprim17ROCPRIM_400000_NS6detail17trampoline_kernelINS0_14default_configENS1_35adjacent_difference_config_selectorILb1ElEEZNS1_24adjacent_difference_implIS3_Lb1ELb0EPlS7_ZN2at6native12_GLOBAL__N_124unique_dim_cuda_templateIhEESt5tupleIJNS8_6TensorESD_SD_EERKSD_lbbbEUlllE1_EE10hipError_tPvRmT2_T3_mT4_P12ihipStream_tbEUlT_E_NS1_11comp_targetILNS1_3genE0ELNS1_11target_archE4294967295ELNS1_3gpuE0ELNS1_3repE0EEENS1_30default_config_static_selectorELNS0_4arch9wavefront6targetE0EEEvT1_,comdat
.Lfunc_end75:
	.size	_ZN7rocprim17ROCPRIM_400000_NS6detail17trampoline_kernelINS0_14default_configENS1_35adjacent_difference_config_selectorILb1ElEEZNS1_24adjacent_difference_implIS3_Lb1ELb0EPlS7_ZN2at6native12_GLOBAL__N_124unique_dim_cuda_templateIhEESt5tupleIJNS8_6TensorESD_SD_EERKSD_lbbbEUlllE1_EE10hipError_tPvRmT2_T3_mT4_P12ihipStream_tbEUlT_E_NS1_11comp_targetILNS1_3genE0ELNS1_11target_archE4294967295ELNS1_3gpuE0ELNS1_3repE0EEENS1_30default_config_static_selectorELNS0_4arch9wavefront6targetE0EEEvT1_, .Lfunc_end75-_ZN7rocprim17ROCPRIM_400000_NS6detail17trampoline_kernelINS0_14default_configENS1_35adjacent_difference_config_selectorILb1ElEEZNS1_24adjacent_difference_implIS3_Lb1ELb0EPlS7_ZN2at6native12_GLOBAL__N_124unique_dim_cuda_templateIhEESt5tupleIJNS8_6TensorESD_SD_EERKSD_lbbbEUlllE1_EE10hipError_tPvRmT2_T3_mT4_P12ihipStream_tbEUlT_E_NS1_11comp_targetILNS1_3genE0ELNS1_11target_archE4294967295ELNS1_3gpuE0ELNS1_3repE0EEENS1_30default_config_static_selectorELNS0_4arch9wavefront6targetE0EEEvT1_
                                        ; -- End function
	.section	.AMDGPU.csdata,"",@progbits
; Kernel info:
; codeLenInByte = 0
; NumSgprs: 0
; NumVgprs: 0
; ScratchSize: 0
; MemoryBound: 0
; FloatMode: 240
; IeeeMode: 1
; LDSByteSize: 0 bytes/workgroup (compile time only)
; SGPRBlocks: 0
; VGPRBlocks: 0
; NumSGPRsForWavesPerEU: 1
; NumVGPRsForWavesPerEU: 1
; Occupancy: 16
; WaveLimiterHint : 0
; COMPUTE_PGM_RSRC2:SCRATCH_EN: 0
; COMPUTE_PGM_RSRC2:USER_SGPR: 15
; COMPUTE_PGM_RSRC2:TRAP_HANDLER: 0
; COMPUTE_PGM_RSRC2:TGID_X_EN: 1
; COMPUTE_PGM_RSRC2:TGID_Y_EN: 0
; COMPUTE_PGM_RSRC2:TGID_Z_EN: 0
; COMPUTE_PGM_RSRC2:TIDIG_COMP_CNT: 0
	.section	.text._ZN7rocprim17ROCPRIM_400000_NS6detail17trampoline_kernelINS0_14default_configENS1_35adjacent_difference_config_selectorILb1ElEEZNS1_24adjacent_difference_implIS3_Lb1ELb0EPlS7_ZN2at6native12_GLOBAL__N_124unique_dim_cuda_templateIhEESt5tupleIJNS8_6TensorESD_SD_EERKSD_lbbbEUlllE1_EE10hipError_tPvRmT2_T3_mT4_P12ihipStream_tbEUlT_E_NS1_11comp_targetILNS1_3genE10ELNS1_11target_archE1201ELNS1_3gpuE5ELNS1_3repE0EEENS1_30default_config_static_selectorELNS0_4arch9wavefront6targetE0EEEvT1_,"axG",@progbits,_ZN7rocprim17ROCPRIM_400000_NS6detail17trampoline_kernelINS0_14default_configENS1_35adjacent_difference_config_selectorILb1ElEEZNS1_24adjacent_difference_implIS3_Lb1ELb0EPlS7_ZN2at6native12_GLOBAL__N_124unique_dim_cuda_templateIhEESt5tupleIJNS8_6TensorESD_SD_EERKSD_lbbbEUlllE1_EE10hipError_tPvRmT2_T3_mT4_P12ihipStream_tbEUlT_E_NS1_11comp_targetILNS1_3genE10ELNS1_11target_archE1201ELNS1_3gpuE5ELNS1_3repE0EEENS1_30default_config_static_selectorELNS0_4arch9wavefront6targetE0EEEvT1_,comdat
	.globl	_ZN7rocprim17ROCPRIM_400000_NS6detail17trampoline_kernelINS0_14default_configENS1_35adjacent_difference_config_selectorILb1ElEEZNS1_24adjacent_difference_implIS3_Lb1ELb0EPlS7_ZN2at6native12_GLOBAL__N_124unique_dim_cuda_templateIhEESt5tupleIJNS8_6TensorESD_SD_EERKSD_lbbbEUlllE1_EE10hipError_tPvRmT2_T3_mT4_P12ihipStream_tbEUlT_E_NS1_11comp_targetILNS1_3genE10ELNS1_11target_archE1201ELNS1_3gpuE5ELNS1_3repE0EEENS1_30default_config_static_selectorELNS0_4arch9wavefront6targetE0EEEvT1_ ; -- Begin function _ZN7rocprim17ROCPRIM_400000_NS6detail17trampoline_kernelINS0_14default_configENS1_35adjacent_difference_config_selectorILb1ElEEZNS1_24adjacent_difference_implIS3_Lb1ELb0EPlS7_ZN2at6native12_GLOBAL__N_124unique_dim_cuda_templateIhEESt5tupleIJNS8_6TensorESD_SD_EERKSD_lbbbEUlllE1_EE10hipError_tPvRmT2_T3_mT4_P12ihipStream_tbEUlT_E_NS1_11comp_targetILNS1_3genE10ELNS1_11target_archE1201ELNS1_3gpuE5ELNS1_3repE0EEENS1_30default_config_static_selectorELNS0_4arch9wavefront6targetE0EEEvT1_
	.p2align	8
	.type	_ZN7rocprim17ROCPRIM_400000_NS6detail17trampoline_kernelINS0_14default_configENS1_35adjacent_difference_config_selectorILb1ElEEZNS1_24adjacent_difference_implIS3_Lb1ELb0EPlS7_ZN2at6native12_GLOBAL__N_124unique_dim_cuda_templateIhEESt5tupleIJNS8_6TensorESD_SD_EERKSD_lbbbEUlllE1_EE10hipError_tPvRmT2_T3_mT4_P12ihipStream_tbEUlT_E_NS1_11comp_targetILNS1_3genE10ELNS1_11target_archE1201ELNS1_3gpuE5ELNS1_3repE0EEENS1_30default_config_static_selectorELNS0_4arch9wavefront6targetE0EEEvT1_,@function
_ZN7rocprim17ROCPRIM_400000_NS6detail17trampoline_kernelINS0_14default_configENS1_35adjacent_difference_config_selectorILb1ElEEZNS1_24adjacent_difference_implIS3_Lb1ELb0EPlS7_ZN2at6native12_GLOBAL__N_124unique_dim_cuda_templateIhEESt5tupleIJNS8_6TensorESD_SD_EERKSD_lbbbEUlllE1_EE10hipError_tPvRmT2_T3_mT4_P12ihipStream_tbEUlT_E_NS1_11comp_targetILNS1_3genE10ELNS1_11target_archE1201ELNS1_3gpuE5ELNS1_3repE0EEENS1_30default_config_static_selectorELNS0_4arch9wavefront6targetE0EEEvT1_: ; @_ZN7rocprim17ROCPRIM_400000_NS6detail17trampoline_kernelINS0_14default_configENS1_35adjacent_difference_config_selectorILb1ElEEZNS1_24adjacent_difference_implIS3_Lb1ELb0EPlS7_ZN2at6native12_GLOBAL__N_124unique_dim_cuda_templateIhEESt5tupleIJNS8_6TensorESD_SD_EERKSD_lbbbEUlllE1_EE10hipError_tPvRmT2_T3_mT4_P12ihipStream_tbEUlT_E_NS1_11comp_targetILNS1_3genE10ELNS1_11target_archE1201ELNS1_3gpuE5ELNS1_3repE0EEENS1_30default_config_static_selectorELNS0_4arch9wavefront6targetE0EEEvT1_
; %bb.0:
	.section	.rodata,"a",@progbits
	.p2align	6, 0x0
	.amdhsa_kernel _ZN7rocprim17ROCPRIM_400000_NS6detail17trampoline_kernelINS0_14default_configENS1_35adjacent_difference_config_selectorILb1ElEEZNS1_24adjacent_difference_implIS3_Lb1ELb0EPlS7_ZN2at6native12_GLOBAL__N_124unique_dim_cuda_templateIhEESt5tupleIJNS8_6TensorESD_SD_EERKSD_lbbbEUlllE1_EE10hipError_tPvRmT2_T3_mT4_P12ihipStream_tbEUlT_E_NS1_11comp_targetILNS1_3genE10ELNS1_11target_archE1201ELNS1_3gpuE5ELNS1_3repE0EEENS1_30default_config_static_selectorELNS0_4arch9wavefront6targetE0EEEvT1_
		.amdhsa_group_segment_fixed_size 0
		.amdhsa_private_segment_fixed_size 0
		.amdhsa_kernarg_size 64
		.amdhsa_user_sgpr_count 15
		.amdhsa_user_sgpr_dispatch_ptr 0
		.amdhsa_user_sgpr_queue_ptr 0
		.amdhsa_user_sgpr_kernarg_segment_ptr 1
		.amdhsa_user_sgpr_dispatch_id 0
		.amdhsa_user_sgpr_private_segment_size 0
		.amdhsa_wavefront_size32 1
		.amdhsa_uses_dynamic_stack 0
		.amdhsa_enable_private_segment 0
		.amdhsa_system_sgpr_workgroup_id_x 1
		.amdhsa_system_sgpr_workgroup_id_y 0
		.amdhsa_system_sgpr_workgroup_id_z 0
		.amdhsa_system_sgpr_workgroup_info 0
		.amdhsa_system_vgpr_workitem_id 0
		.amdhsa_next_free_vgpr 1
		.amdhsa_next_free_sgpr 1
		.amdhsa_reserve_vcc 0
		.amdhsa_float_round_mode_32 0
		.amdhsa_float_round_mode_16_64 0
		.amdhsa_float_denorm_mode_32 3
		.amdhsa_float_denorm_mode_16_64 3
		.amdhsa_dx10_clamp 1
		.amdhsa_ieee_mode 1
		.amdhsa_fp16_overflow 0
		.amdhsa_workgroup_processor_mode 1
		.amdhsa_memory_ordered 1
		.amdhsa_forward_progress 0
		.amdhsa_shared_vgpr_count 0
		.amdhsa_exception_fp_ieee_invalid_op 0
		.amdhsa_exception_fp_denorm_src 0
		.amdhsa_exception_fp_ieee_div_zero 0
		.amdhsa_exception_fp_ieee_overflow 0
		.amdhsa_exception_fp_ieee_underflow 0
		.amdhsa_exception_fp_ieee_inexact 0
		.amdhsa_exception_int_div_zero 0
	.end_amdhsa_kernel
	.section	.text._ZN7rocprim17ROCPRIM_400000_NS6detail17trampoline_kernelINS0_14default_configENS1_35adjacent_difference_config_selectorILb1ElEEZNS1_24adjacent_difference_implIS3_Lb1ELb0EPlS7_ZN2at6native12_GLOBAL__N_124unique_dim_cuda_templateIhEESt5tupleIJNS8_6TensorESD_SD_EERKSD_lbbbEUlllE1_EE10hipError_tPvRmT2_T3_mT4_P12ihipStream_tbEUlT_E_NS1_11comp_targetILNS1_3genE10ELNS1_11target_archE1201ELNS1_3gpuE5ELNS1_3repE0EEENS1_30default_config_static_selectorELNS0_4arch9wavefront6targetE0EEEvT1_,"axG",@progbits,_ZN7rocprim17ROCPRIM_400000_NS6detail17trampoline_kernelINS0_14default_configENS1_35adjacent_difference_config_selectorILb1ElEEZNS1_24adjacent_difference_implIS3_Lb1ELb0EPlS7_ZN2at6native12_GLOBAL__N_124unique_dim_cuda_templateIhEESt5tupleIJNS8_6TensorESD_SD_EERKSD_lbbbEUlllE1_EE10hipError_tPvRmT2_T3_mT4_P12ihipStream_tbEUlT_E_NS1_11comp_targetILNS1_3genE10ELNS1_11target_archE1201ELNS1_3gpuE5ELNS1_3repE0EEENS1_30default_config_static_selectorELNS0_4arch9wavefront6targetE0EEEvT1_,comdat
.Lfunc_end76:
	.size	_ZN7rocprim17ROCPRIM_400000_NS6detail17trampoline_kernelINS0_14default_configENS1_35adjacent_difference_config_selectorILb1ElEEZNS1_24adjacent_difference_implIS3_Lb1ELb0EPlS7_ZN2at6native12_GLOBAL__N_124unique_dim_cuda_templateIhEESt5tupleIJNS8_6TensorESD_SD_EERKSD_lbbbEUlllE1_EE10hipError_tPvRmT2_T3_mT4_P12ihipStream_tbEUlT_E_NS1_11comp_targetILNS1_3genE10ELNS1_11target_archE1201ELNS1_3gpuE5ELNS1_3repE0EEENS1_30default_config_static_selectorELNS0_4arch9wavefront6targetE0EEEvT1_, .Lfunc_end76-_ZN7rocprim17ROCPRIM_400000_NS6detail17trampoline_kernelINS0_14default_configENS1_35adjacent_difference_config_selectorILb1ElEEZNS1_24adjacent_difference_implIS3_Lb1ELb0EPlS7_ZN2at6native12_GLOBAL__N_124unique_dim_cuda_templateIhEESt5tupleIJNS8_6TensorESD_SD_EERKSD_lbbbEUlllE1_EE10hipError_tPvRmT2_T3_mT4_P12ihipStream_tbEUlT_E_NS1_11comp_targetILNS1_3genE10ELNS1_11target_archE1201ELNS1_3gpuE5ELNS1_3repE0EEENS1_30default_config_static_selectorELNS0_4arch9wavefront6targetE0EEEvT1_
                                        ; -- End function
	.section	.AMDGPU.csdata,"",@progbits
; Kernel info:
; codeLenInByte = 0
; NumSgprs: 0
; NumVgprs: 0
; ScratchSize: 0
; MemoryBound: 0
; FloatMode: 240
; IeeeMode: 1
; LDSByteSize: 0 bytes/workgroup (compile time only)
; SGPRBlocks: 0
; VGPRBlocks: 0
; NumSGPRsForWavesPerEU: 1
; NumVGPRsForWavesPerEU: 1
; Occupancy: 16
; WaveLimiterHint : 0
; COMPUTE_PGM_RSRC2:SCRATCH_EN: 0
; COMPUTE_PGM_RSRC2:USER_SGPR: 15
; COMPUTE_PGM_RSRC2:TRAP_HANDLER: 0
; COMPUTE_PGM_RSRC2:TGID_X_EN: 1
; COMPUTE_PGM_RSRC2:TGID_Y_EN: 0
; COMPUTE_PGM_RSRC2:TGID_Z_EN: 0
; COMPUTE_PGM_RSRC2:TIDIG_COMP_CNT: 0
	.section	.text._ZN7rocprim17ROCPRIM_400000_NS6detail17trampoline_kernelINS0_14default_configENS1_35adjacent_difference_config_selectorILb1ElEEZNS1_24adjacent_difference_implIS3_Lb1ELb0EPlS7_ZN2at6native12_GLOBAL__N_124unique_dim_cuda_templateIhEESt5tupleIJNS8_6TensorESD_SD_EERKSD_lbbbEUlllE1_EE10hipError_tPvRmT2_T3_mT4_P12ihipStream_tbEUlT_E_NS1_11comp_targetILNS1_3genE5ELNS1_11target_archE942ELNS1_3gpuE9ELNS1_3repE0EEENS1_30default_config_static_selectorELNS0_4arch9wavefront6targetE0EEEvT1_,"axG",@progbits,_ZN7rocprim17ROCPRIM_400000_NS6detail17trampoline_kernelINS0_14default_configENS1_35adjacent_difference_config_selectorILb1ElEEZNS1_24adjacent_difference_implIS3_Lb1ELb0EPlS7_ZN2at6native12_GLOBAL__N_124unique_dim_cuda_templateIhEESt5tupleIJNS8_6TensorESD_SD_EERKSD_lbbbEUlllE1_EE10hipError_tPvRmT2_T3_mT4_P12ihipStream_tbEUlT_E_NS1_11comp_targetILNS1_3genE5ELNS1_11target_archE942ELNS1_3gpuE9ELNS1_3repE0EEENS1_30default_config_static_selectorELNS0_4arch9wavefront6targetE0EEEvT1_,comdat
	.globl	_ZN7rocprim17ROCPRIM_400000_NS6detail17trampoline_kernelINS0_14default_configENS1_35adjacent_difference_config_selectorILb1ElEEZNS1_24adjacent_difference_implIS3_Lb1ELb0EPlS7_ZN2at6native12_GLOBAL__N_124unique_dim_cuda_templateIhEESt5tupleIJNS8_6TensorESD_SD_EERKSD_lbbbEUlllE1_EE10hipError_tPvRmT2_T3_mT4_P12ihipStream_tbEUlT_E_NS1_11comp_targetILNS1_3genE5ELNS1_11target_archE942ELNS1_3gpuE9ELNS1_3repE0EEENS1_30default_config_static_selectorELNS0_4arch9wavefront6targetE0EEEvT1_ ; -- Begin function _ZN7rocprim17ROCPRIM_400000_NS6detail17trampoline_kernelINS0_14default_configENS1_35adjacent_difference_config_selectorILb1ElEEZNS1_24adjacent_difference_implIS3_Lb1ELb0EPlS7_ZN2at6native12_GLOBAL__N_124unique_dim_cuda_templateIhEESt5tupleIJNS8_6TensorESD_SD_EERKSD_lbbbEUlllE1_EE10hipError_tPvRmT2_T3_mT4_P12ihipStream_tbEUlT_E_NS1_11comp_targetILNS1_3genE5ELNS1_11target_archE942ELNS1_3gpuE9ELNS1_3repE0EEENS1_30default_config_static_selectorELNS0_4arch9wavefront6targetE0EEEvT1_
	.p2align	8
	.type	_ZN7rocprim17ROCPRIM_400000_NS6detail17trampoline_kernelINS0_14default_configENS1_35adjacent_difference_config_selectorILb1ElEEZNS1_24adjacent_difference_implIS3_Lb1ELb0EPlS7_ZN2at6native12_GLOBAL__N_124unique_dim_cuda_templateIhEESt5tupleIJNS8_6TensorESD_SD_EERKSD_lbbbEUlllE1_EE10hipError_tPvRmT2_T3_mT4_P12ihipStream_tbEUlT_E_NS1_11comp_targetILNS1_3genE5ELNS1_11target_archE942ELNS1_3gpuE9ELNS1_3repE0EEENS1_30default_config_static_selectorELNS0_4arch9wavefront6targetE0EEEvT1_,@function
_ZN7rocprim17ROCPRIM_400000_NS6detail17trampoline_kernelINS0_14default_configENS1_35adjacent_difference_config_selectorILb1ElEEZNS1_24adjacent_difference_implIS3_Lb1ELb0EPlS7_ZN2at6native12_GLOBAL__N_124unique_dim_cuda_templateIhEESt5tupleIJNS8_6TensorESD_SD_EERKSD_lbbbEUlllE1_EE10hipError_tPvRmT2_T3_mT4_P12ihipStream_tbEUlT_E_NS1_11comp_targetILNS1_3genE5ELNS1_11target_archE942ELNS1_3gpuE9ELNS1_3repE0EEENS1_30default_config_static_selectorELNS0_4arch9wavefront6targetE0EEEvT1_: ; @_ZN7rocprim17ROCPRIM_400000_NS6detail17trampoline_kernelINS0_14default_configENS1_35adjacent_difference_config_selectorILb1ElEEZNS1_24adjacent_difference_implIS3_Lb1ELb0EPlS7_ZN2at6native12_GLOBAL__N_124unique_dim_cuda_templateIhEESt5tupleIJNS8_6TensorESD_SD_EERKSD_lbbbEUlllE1_EE10hipError_tPvRmT2_T3_mT4_P12ihipStream_tbEUlT_E_NS1_11comp_targetILNS1_3genE5ELNS1_11target_archE942ELNS1_3gpuE9ELNS1_3repE0EEENS1_30default_config_static_selectorELNS0_4arch9wavefront6targetE0EEEvT1_
; %bb.0:
	.section	.rodata,"a",@progbits
	.p2align	6, 0x0
	.amdhsa_kernel _ZN7rocprim17ROCPRIM_400000_NS6detail17trampoline_kernelINS0_14default_configENS1_35adjacent_difference_config_selectorILb1ElEEZNS1_24adjacent_difference_implIS3_Lb1ELb0EPlS7_ZN2at6native12_GLOBAL__N_124unique_dim_cuda_templateIhEESt5tupleIJNS8_6TensorESD_SD_EERKSD_lbbbEUlllE1_EE10hipError_tPvRmT2_T3_mT4_P12ihipStream_tbEUlT_E_NS1_11comp_targetILNS1_3genE5ELNS1_11target_archE942ELNS1_3gpuE9ELNS1_3repE0EEENS1_30default_config_static_selectorELNS0_4arch9wavefront6targetE0EEEvT1_
		.amdhsa_group_segment_fixed_size 0
		.amdhsa_private_segment_fixed_size 0
		.amdhsa_kernarg_size 64
		.amdhsa_user_sgpr_count 15
		.amdhsa_user_sgpr_dispatch_ptr 0
		.amdhsa_user_sgpr_queue_ptr 0
		.amdhsa_user_sgpr_kernarg_segment_ptr 1
		.amdhsa_user_sgpr_dispatch_id 0
		.amdhsa_user_sgpr_private_segment_size 0
		.amdhsa_wavefront_size32 1
		.amdhsa_uses_dynamic_stack 0
		.amdhsa_enable_private_segment 0
		.amdhsa_system_sgpr_workgroup_id_x 1
		.amdhsa_system_sgpr_workgroup_id_y 0
		.amdhsa_system_sgpr_workgroup_id_z 0
		.amdhsa_system_sgpr_workgroup_info 0
		.amdhsa_system_vgpr_workitem_id 0
		.amdhsa_next_free_vgpr 1
		.amdhsa_next_free_sgpr 1
		.amdhsa_reserve_vcc 0
		.amdhsa_float_round_mode_32 0
		.amdhsa_float_round_mode_16_64 0
		.amdhsa_float_denorm_mode_32 3
		.amdhsa_float_denorm_mode_16_64 3
		.amdhsa_dx10_clamp 1
		.amdhsa_ieee_mode 1
		.amdhsa_fp16_overflow 0
		.amdhsa_workgroup_processor_mode 1
		.amdhsa_memory_ordered 1
		.amdhsa_forward_progress 0
		.amdhsa_shared_vgpr_count 0
		.amdhsa_exception_fp_ieee_invalid_op 0
		.amdhsa_exception_fp_denorm_src 0
		.amdhsa_exception_fp_ieee_div_zero 0
		.amdhsa_exception_fp_ieee_overflow 0
		.amdhsa_exception_fp_ieee_underflow 0
		.amdhsa_exception_fp_ieee_inexact 0
		.amdhsa_exception_int_div_zero 0
	.end_amdhsa_kernel
	.section	.text._ZN7rocprim17ROCPRIM_400000_NS6detail17trampoline_kernelINS0_14default_configENS1_35adjacent_difference_config_selectorILb1ElEEZNS1_24adjacent_difference_implIS3_Lb1ELb0EPlS7_ZN2at6native12_GLOBAL__N_124unique_dim_cuda_templateIhEESt5tupleIJNS8_6TensorESD_SD_EERKSD_lbbbEUlllE1_EE10hipError_tPvRmT2_T3_mT4_P12ihipStream_tbEUlT_E_NS1_11comp_targetILNS1_3genE5ELNS1_11target_archE942ELNS1_3gpuE9ELNS1_3repE0EEENS1_30default_config_static_selectorELNS0_4arch9wavefront6targetE0EEEvT1_,"axG",@progbits,_ZN7rocprim17ROCPRIM_400000_NS6detail17trampoline_kernelINS0_14default_configENS1_35adjacent_difference_config_selectorILb1ElEEZNS1_24adjacent_difference_implIS3_Lb1ELb0EPlS7_ZN2at6native12_GLOBAL__N_124unique_dim_cuda_templateIhEESt5tupleIJNS8_6TensorESD_SD_EERKSD_lbbbEUlllE1_EE10hipError_tPvRmT2_T3_mT4_P12ihipStream_tbEUlT_E_NS1_11comp_targetILNS1_3genE5ELNS1_11target_archE942ELNS1_3gpuE9ELNS1_3repE0EEENS1_30default_config_static_selectorELNS0_4arch9wavefront6targetE0EEEvT1_,comdat
.Lfunc_end77:
	.size	_ZN7rocprim17ROCPRIM_400000_NS6detail17trampoline_kernelINS0_14default_configENS1_35adjacent_difference_config_selectorILb1ElEEZNS1_24adjacent_difference_implIS3_Lb1ELb0EPlS7_ZN2at6native12_GLOBAL__N_124unique_dim_cuda_templateIhEESt5tupleIJNS8_6TensorESD_SD_EERKSD_lbbbEUlllE1_EE10hipError_tPvRmT2_T3_mT4_P12ihipStream_tbEUlT_E_NS1_11comp_targetILNS1_3genE5ELNS1_11target_archE942ELNS1_3gpuE9ELNS1_3repE0EEENS1_30default_config_static_selectorELNS0_4arch9wavefront6targetE0EEEvT1_, .Lfunc_end77-_ZN7rocprim17ROCPRIM_400000_NS6detail17trampoline_kernelINS0_14default_configENS1_35adjacent_difference_config_selectorILb1ElEEZNS1_24adjacent_difference_implIS3_Lb1ELb0EPlS7_ZN2at6native12_GLOBAL__N_124unique_dim_cuda_templateIhEESt5tupleIJNS8_6TensorESD_SD_EERKSD_lbbbEUlllE1_EE10hipError_tPvRmT2_T3_mT4_P12ihipStream_tbEUlT_E_NS1_11comp_targetILNS1_3genE5ELNS1_11target_archE942ELNS1_3gpuE9ELNS1_3repE0EEENS1_30default_config_static_selectorELNS0_4arch9wavefront6targetE0EEEvT1_
                                        ; -- End function
	.section	.AMDGPU.csdata,"",@progbits
; Kernel info:
; codeLenInByte = 0
; NumSgprs: 0
; NumVgprs: 0
; ScratchSize: 0
; MemoryBound: 0
; FloatMode: 240
; IeeeMode: 1
; LDSByteSize: 0 bytes/workgroup (compile time only)
; SGPRBlocks: 0
; VGPRBlocks: 0
; NumSGPRsForWavesPerEU: 1
; NumVGPRsForWavesPerEU: 1
; Occupancy: 16
; WaveLimiterHint : 0
; COMPUTE_PGM_RSRC2:SCRATCH_EN: 0
; COMPUTE_PGM_RSRC2:USER_SGPR: 15
; COMPUTE_PGM_RSRC2:TRAP_HANDLER: 0
; COMPUTE_PGM_RSRC2:TGID_X_EN: 1
; COMPUTE_PGM_RSRC2:TGID_Y_EN: 0
; COMPUTE_PGM_RSRC2:TGID_Z_EN: 0
; COMPUTE_PGM_RSRC2:TIDIG_COMP_CNT: 0
	.section	.text._ZN7rocprim17ROCPRIM_400000_NS6detail17trampoline_kernelINS0_14default_configENS1_35adjacent_difference_config_selectorILb1ElEEZNS1_24adjacent_difference_implIS3_Lb1ELb0EPlS7_ZN2at6native12_GLOBAL__N_124unique_dim_cuda_templateIhEESt5tupleIJNS8_6TensorESD_SD_EERKSD_lbbbEUlllE1_EE10hipError_tPvRmT2_T3_mT4_P12ihipStream_tbEUlT_E_NS1_11comp_targetILNS1_3genE4ELNS1_11target_archE910ELNS1_3gpuE8ELNS1_3repE0EEENS1_30default_config_static_selectorELNS0_4arch9wavefront6targetE0EEEvT1_,"axG",@progbits,_ZN7rocprim17ROCPRIM_400000_NS6detail17trampoline_kernelINS0_14default_configENS1_35adjacent_difference_config_selectorILb1ElEEZNS1_24adjacent_difference_implIS3_Lb1ELb0EPlS7_ZN2at6native12_GLOBAL__N_124unique_dim_cuda_templateIhEESt5tupleIJNS8_6TensorESD_SD_EERKSD_lbbbEUlllE1_EE10hipError_tPvRmT2_T3_mT4_P12ihipStream_tbEUlT_E_NS1_11comp_targetILNS1_3genE4ELNS1_11target_archE910ELNS1_3gpuE8ELNS1_3repE0EEENS1_30default_config_static_selectorELNS0_4arch9wavefront6targetE0EEEvT1_,comdat
	.globl	_ZN7rocprim17ROCPRIM_400000_NS6detail17trampoline_kernelINS0_14default_configENS1_35adjacent_difference_config_selectorILb1ElEEZNS1_24adjacent_difference_implIS3_Lb1ELb0EPlS7_ZN2at6native12_GLOBAL__N_124unique_dim_cuda_templateIhEESt5tupleIJNS8_6TensorESD_SD_EERKSD_lbbbEUlllE1_EE10hipError_tPvRmT2_T3_mT4_P12ihipStream_tbEUlT_E_NS1_11comp_targetILNS1_3genE4ELNS1_11target_archE910ELNS1_3gpuE8ELNS1_3repE0EEENS1_30default_config_static_selectorELNS0_4arch9wavefront6targetE0EEEvT1_ ; -- Begin function _ZN7rocprim17ROCPRIM_400000_NS6detail17trampoline_kernelINS0_14default_configENS1_35adjacent_difference_config_selectorILb1ElEEZNS1_24adjacent_difference_implIS3_Lb1ELb0EPlS7_ZN2at6native12_GLOBAL__N_124unique_dim_cuda_templateIhEESt5tupleIJNS8_6TensorESD_SD_EERKSD_lbbbEUlllE1_EE10hipError_tPvRmT2_T3_mT4_P12ihipStream_tbEUlT_E_NS1_11comp_targetILNS1_3genE4ELNS1_11target_archE910ELNS1_3gpuE8ELNS1_3repE0EEENS1_30default_config_static_selectorELNS0_4arch9wavefront6targetE0EEEvT1_
	.p2align	8
	.type	_ZN7rocprim17ROCPRIM_400000_NS6detail17trampoline_kernelINS0_14default_configENS1_35adjacent_difference_config_selectorILb1ElEEZNS1_24adjacent_difference_implIS3_Lb1ELb0EPlS7_ZN2at6native12_GLOBAL__N_124unique_dim_cuda_templateIhEESt5tupleIJNS8_6TensorESD_SD_EERKSD_lbbbEUlllE1_EE10hipError_tPvRmT2_T3_mT4_P12ihipStream_tbEUlT_E_NS1_11comp_targetILNS1_3genE4ELNS1_11target_archE910ELNS1_3gpuE8ELNS1_3repE0EEENS1_30default_config_static_selectorELNS0_4arch9wavefront6targetE0EEEvT1_,@function
_ZN7rocprim17ROCPRIM_400000_NS6detail17trampoline_kernelINS0_14default_configENS1_35adjacent_difference_config_selectorILb1ElEEZNS1_24adjacent_difference_implIS3_Lb1ELb0EPlS7_ZN2at6native12_GLOBAL__N_124unique_dim_cuda_templateIhEESt5tupleIJNS8_6TensorESD_SD_EERKSD_lbbbEUlllE1_EE10hipError_tPvRmT2_T3_mT4_P12ihipStream_tbEUlT_E_NS1_11comp_targetILNS1_3genE4ELNS1_11target_archE910ELNS1_3gpuE8ELNS1_3repE0EEENS1_30default_config_static_selectorELNS0_4arch9wavefront6targetE0EEEvT1_: ; @_ZN7rocprim17ROCPRIM_400000_NS6detail17trampoline_kernelINS0_14default_configENS1_35adjacent_difference_config_selectorILb1ElEEZNS1_24adjacent_difference_implIS3_Lb1ELb0EPlS7_ZN2at6native12_GLOBAL__N_124unique_dim_cuda_templateIhEESt5tupleIJNS8_6TensorESD_SD_EERKSD_lbbbEUlllE1_EE10hipError_tPvRmT2_T3_mT4_P12ihipStream_tbEUlT_E_NS1_11comp_targetILNS1_3genE4ELNS1_11target_archE910ELNS1_3gpuE8ELNS1_3repE0EEENS1_30default_config_static_selectorELNS0_4arch9wavefront6targetE0EEEvT1_
; %bb.0:
	.section	.rodata,"a",@progbits
	.p2align	6, 0x0
	.amdhsa_kernel _ZN7rocprim17ROCPRIM_400000_NS6detail17trampoline_kernelINS0_14default_configENS1_35adjacent_difference_config_selectorILb1ElEEZNS1_24adjacent_difference_implIS3_Lb1ELb0EPlS7_ZN2at6native12_GLOBAL__N_124unique_dim_cuda_templateIhEESt5tupleIJNS8_6TensorESD_SD_EERKSD_lbbbEUlllE1_EE10hipError_tPvRmT2_T3_mT4_P12ihipStream_tbEUlT_E_NS1_11comp_targetILNS1_3genE4ELNS1_11target_archE910ELNS1_3gpuE8ELNS1_3repE0EEENS1_30default_config_static_selectorELNS0_4arch9wavefront6targetE0EEEvT1_
		.amdhsa_group_segment_fixed_size 0
		.amdhsa_private_segment_fixed_size 0
		.amdhsa_kernarg_size 64
		.amdhsa_user_sgpr_count 15
		.amdhsa_user_sgpr_dispatch_ptr 0
		.amdhsa_user_sgpr_queue_ptr 0
		.amdhsa_user_sgpr_kernarg_segment_ptr 1
		.amdhsa_user_sgpr_dispatch_id 0
		.amdhsa_user_sgpr_private_segment_size 0
		.amdhsa_wavefront_size32 1
		.amdhsa_uses_dynamic_stack 0
		.amdhsa_enable_private_segment 0
		.amdhsa_system_sgpr_workgroup_id_x 1
		.amdhsa_system_sgpr_workgroup_id_y 0
		.amdhsa_system_sgpr_workgroup_id_z 0
		.amdhsa_system_sgpr_workgroup_info 0
		.amdhsa_system_vgpr_workitem_id 0
		.amdhsa_next_free_vgpr 1
		.amdhsa_next_free_sgpr 1
		.amdhsa_reserve_vcc 0
		.amdhsa_float_round_mode_32 0
		.amdhsa_float_round_mode_16_64 0
		.amdhsa_float_denorm_mode_32 3
		.amdhsa_float_denorm_mode_16_64 3
		.amdhsa_dx10_clamp 1
		.amdhsa_ieee_mode 1
		.amdhsa_fp16_overflow 0
		.amdhsa_workgroup_processor_mode 1
		.amdhsa_memory_ordered 1
		.amdhsa_forward_progress 0
		.amdhsa_shared_vgpr_count 0
		.amdhsa_exception_fp_ieee_invalid_op 0
		.amdhsa_exception_fp_denorm_src 0
		.amdhsa_exception_fp_ieee_div_zero 0
		.amdhsa_exception_fp_ieee_overflow 0
		.amdhsa_exception_fp_ieee_underflow 0
		.amdhsa_exception_fp_ieee_inexact 0
		.amdhsa_exception_int_div_zero 0
	.end_amdhsa_kernel
	.section	.text._ZN7rocprim17ROCPRIM_400000_NS6detail17trampoline_kernelINS0_14default_configENS1_35adjacent_difference_config_selectorILb1ElEEZNS1_24adjacent_difference_implIS3_Lb1ELb0EPlS7_ZN2at6native12_GLOBAL__N_124unique_dim_cuda_templateIhEESt5tupleIJNS8_6TensorESD_SD_EERKSD_lbbbEUlllE1_EE10hipError_tPvRmT2_T3_mT4_P12ihipStream_tbEUlT_E_NS1_11comp_targetILNS1_3genE4ELNS1_11target_archE910ELNS1_3gpuE8ELNS1_3repE0EEENS1_30default_config_static_selectorELNS0_4arch9wavefront6targetE0EEEvT1_,"axG",@progbits,_ZN7rocprim17ROCPRIM_400000_NS6detail17trampoline_kernelINS0_14default_configENS1_35adjacent_difference_config_selectorILb1ElEEZNS1_24adjacent_difference_implIS3_Lb1ELb0EPlS7_ZN2at6native12_GLOBAL__N_124unique_dim_cuda_templateIhEESt5tupleIJNS8_6TensorESD_SD_EERKSD_lbbbEUlllE1_EE10hipError_tPvRmT2_T3_mT4_P12ihipStream_tbEUlT_E_NS1_11comp_targetILNS1_3genE4ELNS1_11target_archE910ELNS1_3gpuE8ELNS1_3repE0EEENS1_30default_config_static_selectorELNS0_4arch9wavefront6targetE0EEEvT1_,comdat
.Lfunc_end78:
	.size	_ZN7rocprim17ROCPRIM_400000_NS6detail17trampoline_kernelINS0_14default_configENS1_35adjacent_difference_config_selectorILb1ElEEZNS1_24adjacent_difference_implIS3_Lb1ELb0EPlS7_ZN2at6native12_GLOBAL__N_124unique_dim_cuda_templateIhEESt5tupleIJNS8_6TensorESD_SD_EERKSD_lbbbEUlllE1_EE10hipError_tPvRmT2_T3_mT4_P12ihipStream_tbEUlT_E_NS1_11comp_targetILNS1_3genE4ELNS1_11target_archE910ELNS1_3gpuE8ELNS1_3repE0EEENS1_30default_config_static_selectorELNS0_4arch9wavefront6targetE0EEEvT1_, .Lfunc_end78-_ZN7rocprim17ROCPRIM_400000_NS6detail17trampoline_kernelINS0_14default_configENS1_35adjacent_difference_config_selectorILb1ElEEZNS1_24adjacent_difference_implIS3_Lb1ELb0EPlS7_ZN2at6native12_GLOBAL__N_124unique_dim_cuda_templateIhEESt5tupleIJNS8_6TensorESD_SD_EERKSD_lbbbEUlllE1_EE10hipError_tPvRmT2_T3_mT4_P12ihipStream_tbEUlT_E_NS1_11comp_targetILNS1_3genE4ELNS1_11target_archE910ELNS1_3gpuE8ELNS1_3repE0EEENS1_30default_config_static_selectorELNS0_4arch9wavefront6targetE0EEEvT1_
                                        ; -- End function
	.section	.AMDGPU.csdata,"",@progbits
; Kernel info:
; codeLenInByte = 0
; NumSgprs: 0
; NumVgprs: 0
; ScratchSize: 0
; MemoryBound: 0
; FloatMode: 240
; IeeeMode: 1
; LDSByteSize: 0 bytes/workgroup (compile time only)
; SGPRBlocks: 0
; VGPRBlocks: 0
; NumSGPRsForWavesPerEU: 1
; NumVGPRsForWavesPerEU: 1
; Occupancy: 16
; WaveLimiterHint : 0
; COMPUTE_PGM_RSRC2:SCRATCH_EN: 0
; COMPUTE_PGM_RSRC2:USER_SGPR: 15
; COMPUTE_PGM_RSRC2:TRAP_HANDLER: 0
; COMPUTE_PGM_RSRC2:TGID_X_EN: 1
; COMPUTE_PGM_RSRC2:TGID_Y_EN: 0
; COMPUTE_PGM_RSRC2:TGID_Z_EN: 0
; COMPUTE_PGM_RSRC2:TIDIG_COMP_CNT: 0
	.section	.text._ZN7rocprim17ROCPRIM_400000_NS6detail17trampoline_kernelINS0_14default_configENS1_35adjacent_difference_config_selectorILb1ElEEZNS1_24adjacent_difference_implIS3_Lb1ELb0EPlS7_ZN2at6native12_GLOBAL__N_124unique_dim_cuda_templateIhEESt5tupleIJNS8_6TensorESD_SD_EERKSD_lbbbEUlllE1_EE10hipError_tPvRmT2_T3_mT4_P12ihipStream_tbEUlT_E_NS1_11comp_targetILNS1_3genE3ELNS1_11target_archE908ELNS1_3gpuE7ELNS1_3repE0EEENS1_30default_config_static_selectorELNS0_4arch9wavefront6targetE0EEEvT1_,"axG",@progbits,_ZN7rocprim17ROCPRIM_400000_NS6detail17trampoline_kernelINS0_14default_configENS1_35adjacent_difference_config_selectorILb1ElEEZNS1_24adjacent_difference_implIS3_Lb1ELb0EPlS7_ZN2at6native12_GLOBAL__N_124unique_dim_cuda_templateIhEESt5tupleIJNS8_6TensorESD_SD_EERKSD_lbbbEUlllE1_EE10hipError_tPvRmT2_T3_mT4_P12ihipStream_tbEUlT_E_NS1_11comp_targetILNS1_3genE3ELNS1_11target_archE908ELNS1_3gpuE7ELNS1_3repE0EEENS1_30default_config_static_selectorELNS0_4arch9wavefront6targetE0EEEvT1_,comdat
	.globl	_ZN7rocprim17ROCPRIM_400000_NS6detail17trampoline_kernelINS0_14default_configENS1_35adjacent_difference_config_selectorILb1ElEEZNS1_24adjacent_difference_implIS3_Lb1ELb0EPlS7_ZN2at6native12_GLOBAL__N_124unique_dim_cuda_templateIhEESt5tupleIJNS8_6TensorESD_SD_EERKSD_lbbbEUlllE1_EE10hipError_tPvRmT2_T3_mT4_P12ihipStream_tbEUlT_E_NS1_11comp_targetILNS1_3genE3ELNS1_11target_archE908ELNS1_3gpuE7ELNS1_3repE0EEENS1_30default_config_static_selectorELNS0_4arch9wavefront6targetE0EEEvT1_ ; -- Begin function _ZN7rocprim17ROCPRIM_400000_NS6detail17trampoline_kernelINS0_14default_configENS1_35adjacent_difference_config_selectorILb1ElEEZNS1_24adjacent_difference_implIS3_Lb1ELb0EPlS7_ZN2at6native12_GLOBAL__N_124unique_dim_cuda_templateIhEESt5tupleIJNS8_6TensorESD_SD_EERKSD_lbbbEUlllE1_EE10hipError_tPvRmT2_T3_mT4_P12ihipStream_tbEUlT_E_NS1_11comp_targetILNS1_3genE3ELNS1_11target_archE908ELNS1_3gpuE7ELNS1_3repE0EEENS1_30default_config_static_selectorELNS0_4arch9wavefront6targetE0EEEvT1_
	.p2align	8
	.type	_ZN7rocprim17ROCPRIM_400000_NS6detail17trampoline_kernelINS0_14default_configENS1_35adjacent_difference_config_selectorILb1ElEEZNS1_24adjacent_difference_implIS3_Lb1ELb0EPlS7_ZN2at6native12_GLOBAL__N_124unique_dim_cuda_templateIhEESt5tupleIJNS8_6TensorESD_SD_EERKSD_lbbbEUlllE1_EE10hipError_tPvRmT2_T3_mT4_P12ihipStream_tbEUlT_E_NS1_11comp_targetILNS1_3genE3ELNS1_11target_archE908ELNS1_3gpuE7ELNS1_3repE0EEENS1_30default_config_static_selectorELNS0_4arch9wavefront6targetE0EEEvT1_,@function
_ZN7rocprim17ROCPRIM_400000_NS6detail17trampoline_kernelINS0_14default_configENS1_35adjacent_difference_config_selectorILb1ElEEZNS1_24adjacent_difference_implIS3_Lb1ELb0EPlS7_ZN2at6native12_GLOBAL__N_124unique_dim_cuda_templateIhEESt5tupleIJNS8_6TensorESD_SD_EERKSD_lbbbEUlllE1_EE10hipError_tPvRmT2_T3_mT4_P12ihipStream_tbEUlT_E_NS1_11comp_targetILNS1_3genE3ELNS1_11target_archE908ELNS1_3gpuE7ELNS1_3repE0EEENS1_30default_config_static_selectorELNS0_4arch9wavefront6targetE0EEEvT1_: ; @_ZN7rocprim17ROCPRIM_400000_NS6detail17trampoline_kernelINS0_14default_configENS1_35adjacent_difference_config_selectorILb1ElEEZNS1_24adjacent_difference_implIS3_Lb1ELb0EPlS7_ZN2at6native12_GLOBAL__N_124unique_dim_cuda_templateIhEESt5tupleIJNS8_6TensorESD_SD_EERKSD_lbbbEUlllE1_EE10hipError_tPvRmT2_T3_mT4_P12ihipStream_tbEUlT_E_NS1_11comp_targetILNS1_3genE3ELNS1_11target_archE908ELNS1_3gpuE7ELNS1_3repE0EEENS1_30default_config_static_selectorELNS0_4arch9wavefront6targetE0EEEvT1_
; %bb.0:
	.section	.rodata,"a",@progbits
	.p2align	6, 0x0
	.amdhsa_kernel _ZN7rocprim17ROCPRIM_400000_NS6detail17trampoline_kernelINS0_14default_configENS1_35adjacent_difference_config_selectorILb1ElEEZNS1_24adjacent_difference_implIS3_Lb1ELb0EPlS7_ZN2at6native12_GLOBAL__N_124unique_dim_cuda_templateIhEESt5tupleIJNS8_6TensorESD_SD_EERKSD_lbbbEUlllE1_EE10hipError_tPvRmT2_T3_mT4_P12ihipStream_tbEUlT_E_NS1_11comp_targetILNS1_3genE3ELNS1_11target_archE908ELNS1_3gpuE7ELNS1_3repE0EEENS1_30default_config_static_selectorELNS0_4arch9wavefront6targetE0EEEvT1_
		.amdhsa_group_segment_fixed_size 0
		.amdhsa_private_segment_fixed_size 0
		.amdhsa_kernarg_size 64
		.amdhsa_user_sgpr_count 15
		.amdhsa_user_sgpr_dispatch_ptr 0
		.amdhsa_user_sgpr_queue_ptr 0
		.amdhsa_user_sgpr_kernarg_segment_ptr 1
		.amdhsa_user_sgpr_dispatch_id 0
		.amdhsa_user_sgpr_private_segment_size 0
		.amdhsa_wavefront_size32 1
		.amdhsa_uses_dynamic_stack 0
		.amdhsa_enable_private_segment 0
		.amdhsa_system_sgpr_workgroup_id_x 1
		.amdhsa_system_sgpr_workgroup_id_y 0
		.amdhsa_system_sgpr_workgroup_id_z 0
		.amdhsa_system_sgpr_workgroup_info 0
		.amdhsa_system_vgpr_workitem_id 0
		.amdhsa_next_free_vgpr 1
		.amdhsa_next_free_sgpr 1
		.amdhsa_reserve_vcc 0
		.amdhsa_float_round_mode_32 0
		.amdhsa_float_round_mode_16_64 0
		.amdhsa_float_denorm_mode_32 3
		.amdhsa_float_denorm_mode_16_64 3
		.amdhsa_dx10_clamp 1
		.amdhsa_ieee_mode 1
		.amdhsa_fp16_overflow 0
		.amdhsa_workgroup_processor_mode 1
		.amdhsa_memory_ordered 1
		.amdhsa_forward_progress 0
		.amdhsa_shared_vgpr_count 0
		.amdhsa_exception_fp_ieee_invalid_op 0
		.amdhsa_exception_fp_denorm_src 0
		.amdhsa_exception_fp_ieee_div_zero 0
		.amdhsa_exception_fp_ieee_overflow 0
		.amdhsa_exception_fp_ieee_underflow 0
		.amdhsa_exception_fp_ieee_inexact 0
		.amdhsa_exception_int_div_zero 0
	.end_amdhsa_kernel
	.section	.text._ZN7rocprim17ROCPRIM_400000_NS6detail17trampoline_kernelINS0_14default_configENS1_35adjacent_difference_config_selectorILb1ElEEZNS1_24adjacent_difference_implIS3_Lb1ELb0EPlS7_ZN2at6native12_GLOBAL__N_124unique_dim_cuda_templateIhEESt5tupleIJNS8_6TensorESD_SD_EERKSD_lbbbEUlllE1_EE10hipError_tPvRmT2_T3_mT4_P12ihipStream_tbEUlT_E_NS1_11comp_targetILNS1_3genE3ELNS1_11target_archE908ELNS1_3gpuE7ELNS1_3repE0EEENS1_30default_config_static_selectorELNS0_4arch9wavefront6targetE0EEEvT1_,"axG",@progbits,_ZN7rocprim17ROCPRIM_400000_NS6detail17trampoline_kernelINS0_14default_configENS1_35adjacent_difference_config_selectorILb1ElEEZNS1_24adjacent_difference_implIS3_Lb1ELb0EPlS7_ZN2at6native12_GLOBAL__N_124unique_dim_cuda_templateIhEESt5tupleIJNS8_6TensorESD_SD_EERKSD_lbbbEUlllE1_EE10hipError_tPvRmT2_T3_mT4_P12ihipStream_tbEUlT_E_NS1_11comp_targetILNS1_3genE3ELNS1_11target_archE908ELNS1_3gpuE7ELNS1_3repE0EEENS1_30default_config_static_selectorELNS0_4arch9wavefront6targetE0EEEvT1_,comdat
.Lfunc_end79:
	.size	_ZN7rocprim17ROCPRIM_400000_NS6detail17trampoline_kernelINS0_14default_configENS1_35adjacent_difference_config_selectorILb1ElEEZNS1_24adjacent_difference_implIS3_Lb1ELb0EPlS7_ZN2at6native12_GLOBAL__N_124unique_dim_cuda_templateIhEESt5tupleIJNS8_6TensorESD_SD_EERKSD_lbbbEUlllE1_EE10hipError_tPvRmT2_T3_mT4_P12ihipStream_tbEUlT_E_NS1_11comp_targetILNS1_3genE3ELNS1_11target_archE908ELNS1_3gpuE7ELNS1_3repE0EEENS1_30default_config_static_selectorELNS0_4arch9wavefront6targetE0EEEvT1_, .Lfunc_end79-_ZN7rocprim17ROCPRIM_400000_NS6detail17trampoline_kernelINS0_14default_configENS1_35adjacent_difference_config_selectorILb1ElEEZNS1_24adjacent_difference_implIS3_Lb1ELb0EPlS7_ZN2at6native12_GLOBAL__N_124unique_dim_cuda_templateIhEESt5tupleIJNS8_6TensorESD_SD_EERKSD_lbbbEUlllE1_EE10hipError_tPvRmT2_T3_mT4_P12ihipStream_tbEUlT_E_NS1_11comp_targetILNS1_3genE3ELNS1_11target_archE908ELNS1_3gpuE7ELNS1_3repE0EEENS1_30default_config_static_selectorELNS0_4arch9wavefront6targetE0EEEvT1_
                                        ; -- End function
	.section	.AMDGPU.csdata,"",@progbits
; Kernel info:
; codeLenInByte = 0
; NumSgprs: 0
; NumVgprs: 0
; ScratchSize: 0
; MemoryBound: 0
; FloatMode: 240
; IeeeMode: 1
; LDSByteSize: 0 bytes/workgroup (compile time only)
; SGPRBlocks: 0
; VGPRBlocks: 0
; NumSGPRsForWavesPerEU: 1
; NumVGPRsForWavesPerEU: 1
; Occupancy: 16
; WaveLimiterHint : 0
; COMPUTE_PGM_RSRC2:SCRATCH_EN: 0
; COMPUTE_PGM_RSRC2:USER_SGPR: 15
; COMPUTE_PGM_RSRC2:TRAP_HANDLER: 0
; COMPUTE_PGM_RSRC2:TGID_X_EN: 1
; COMPUTE_PGM_RSRC2:TGID_Y_EN: 0
; COMPUTE_PGM_RSRC2:TGID_Z_EN: 0
; COMPUTE_PGM_RSRC2:TIDIG_COMP_CNT: 0
	.section	.text._ZN7rocprim17ROCPRIM_400000_NS6detail17trampoline_kernelINS0_14default_configENS1_35adjacent_difference_config_selectorILb1ElEEZNS1_24adjacent_difference_implIS3_Lb1ELb0EPlS7_ZN2at6native12_GLOBAL__N_124unique_dim_cuda_templateIhEESt5tupleIJNS8_6TensorESD_SD_EERKSD_lbbbEUlllE1_EE10hipError_tPvRmT2_T3_mT4_P12ihipStream_tbEUlT_E_NS1_11comp_targetILNS1_3genE2ELNS1_11target_archE906ELNS1_3gpuE6ELNS1_3repE0EEENS1_30default_config_static_selectorELNS0_4arch9wavefront6targetE0EEEvT1_,"axG",@progbits,_ZN7rocprim17ROCPRIM_400000_NS6detail17trampoline_kernelINS0_14default_configENS1_35adjacent_difference_config_selectorILb1ElEEZNS1_24adjacent_difference_implIS3_Lb1ELb0EPlS7_ZN2at6native12_GLOBAL__N_124unique_dim_cuda_templateIhEESt5tupleIJNS8_6TensorESD_SD_EERKSD_lbbbEUlllE1_EE10hipError_tPvRmT2_T3_mT4_P12ihipStream_tbEUlT_E_NS1_11comp_targetILNS1_3genE2ELNS1_11target_archE906ELNS1_3gpuE6ELNS1_3repE0EEENS1_30default_config_static_selectorELNS0_4arch9wavefront6targetE0EEEvT1_,comdat
	.globl	_ZN7rocprim17ROCPRIM_400000_NS6detail17trampoline_kernelINS0_14default_configENS1_35adjacent_difference_config_selectorILb1ElEEZNS1_24adjacent_difference_implIS3_Lb1ELb0EPlS7_ZN2at6native12_GLOBAL__N_124unique_dim_cuda_templateIhEESt5tupleIJNS8_6TensorESD_SD_EERKSD_lbbbEUlllE1_EE10hipError_tPvRmT2_T3_mT4_P12ihipStream_tbEUlT_E_NS1_11comp_targetILNS1_3genE2ELNS1_11target_archE906ELNS1_3gpuE6ELNS1_3repE0EEENS1_30default_config_static_selectorELNS0_4arch9wavefront6targetE0EEEvT1_ ; -- Begin function _ZN7rocprim17ROCPRIM_400000_NS6detail17trampoline_kernelINS0_14default_configENS1_35adjacent_difference_config_selectorILb1ElEEZNS1_24adjacent_difference_implIS3_Lb1ELb0EPlS7_ZN2at6native12_GLOBAL__N_124unique_dim_cuda_templateIhEESt5tupleIJNS8_6TensorESD_SD_EERKSD_lbbbEUlllE1_EE10hipError_tPvRmT2_T3_mT4_P12ihipStream_tbEUlT_E_NS1_11comp_targetILNS1_3genE2ELNS1_11target_archE906ELNS1_3gpuE6ELNS1_3repE0EEENS1_30default_config_static_selectorELNS0_4arch9wavefront6targetE0EEEvT1_
	.p2align	8
	.type	_ZN7rocprim17ROCPRIM_400000_NS6detail17trampoline_kernelINS0_14default_configENS1_35adjacent_difference_config_selectorILb1ElEEZNS1_24adjacent_difference_implIS3_Lb1ELb0EPlS7_ZN2at6native12_GLOBAL__N_124unique_dim_cuda_templateIhEESt5tupleIJNS8_6TensorESD_SD_EERKSD_lbbbEUlllE1_EE10hipError_tPvRmT2_T3_mT4_P12ihipStream_tbEUlT_E_NS1_11comp_targetILNS1_3genE2ELNS1_11target_archE906ELNS1_3gpuE6ELNS1_3repE0EEENS1_30default_config_static_selectorELNS0_4arch9wavefront6targetE0EEEvT1_,@function
_ZN7rocprim17ROCPRIM_400000_NS6detail17trampoline_kernelINS0_14default_configENS1_35adjacent_difference_config_selectorILb1ElEEZNS1_24adjacent_difference_implIS3_Lb1ELb0EPlS7_ZN2at6native12_GLOBAL__N_124unique_dim_cuda_templateIhEESt5tupleIJNS8_6TensorESD_SD_EERKSD_lbbbEUlllE1_EE10hipError_tPvRmT2_T3_mT4_P12ihipStream_tbEUlT_E_NS1_11comp_targetILNS1_3genE2ELNS1_11target_archE906ELNS1_3gpuE6ELNS1_3repE0EEENS1_30default_config_static_selectorELNS0_4arch9wavefront6targetE0EEEvT1_: ; @_ZN7rocprim17ROCPRIM_400000_NS6detail17trampoline_kernelINS0_14default_configENS1_35adjacent_difference_config_selectorILb1ElEEZNS1_24adjacent_difference_implIS3_Lb1ELb0EPlS7_ZN2at6native12_GLOBAL__N_124unique_dim_cuda_templateIhEESt5tupleIJNS8_6TensorESD_SD_EERKSD_lbbbEUlllE1_EE10hipError_tPvRmT2_T3_mT4_P12ihipStream_tbEUlT_E_NS1_11comp_targetILNS1_3genE2ELNS1_11target_archE906ELNS1_3gpuE6ELNS1_3repE0EEENS1_30default_config_static_selectorELNS0_4arch9wavefront6targetE0EEEvT1_
; %bb.0:
	.section	.rodata,"a",@progbits
	.p2align	6, 0x0
	.amdhsa_kernel _ZN7rocprim17ROCPRIM_400000_NS6detail17trampoline_kernelINS0_14default_configENS1_35adjacent_difference_config_selectorILb1ElEEZNS1_24adjacent_difference_implIS3_Lb1ELb0EPlS7_ZN2at6native12_GLOBAL__N_124unique_dim_cuda_templateIhEESt5tupleIJNS8_6TensorESD_SD_EERKSD_lbbbEUlllE1_EE10hipError_tPvRmT2_T3_mT4_P12ihipStream_tbEUlT_E_NS1_11comp_targetILNS1_3genE2ELNS1_11target_archE906ELNS1_3gpuE6ELNS1_3repE0EEENS1_30default_config_static_selectorELNS0_4arch9wavefront6targetE0EEEvT1_
		.amdhsa_group_segment_fixed_size 0
		.amdhsa_private_segment_fixed_size 0
		.amdhsa_kernarg_size 64
		.amdhsa_user_sgpr_count 15
		.amdhsa_user_sgpr_dispatch_ptr 0
		.amdhsa_user_sgpr_queue_ptr 0
		.amdhsa_user_sgpr_kernarg_segment_ptr 1
		.amdhsa_user_sgpr_dispatch_id 0
		.amdhsa_user_sgpr_private_segment_size 0
		.amdhsa_wavefront_size32 1
		.amdhsa_uses_dynamic_stack 0
		.amdhsa_enable_private_segment 0
		.amdhsa_system_sgpr_workgroup_id_x 1
		.amdhsa_system_sgpr_workgroup_id_y 0
		.amdhsa_system_sgpr_workgroup_id_z 0
		.amdhsa_system_sgpr_workgroup_info 0
		.amdhsa_system_vgpr_workitem_id 0
		.amdhsa_next_free_vgpr 1
		.amdhsa_next_free_sgpr 1
		.amdhsa_reserve_vcc 0
		.amdhsa_float_round_mode_32 0
		.amdhsa_float_round_mode_16_64 0
		.amdhsa_float_denorm_mode_32 3
		.amdhsa_float_denorm_mode_16_64 3
		.amdhsa_dx10_clamp 1
		.amdhsa_ieee_mode 1
		.amdhsa_fp16_overflow 0
		.amdhsa_workgroup_processor_mode 1
		.amdhsa_memory_ordered 1
		.amdhsa_forward_progress 0
		.amdhsa_shared_vgpr_count 0
		.amdhsa_exception_fp_ieee_invalid_op 0
		.amdhsa_exception_fp_denorm_src 0
		.amdhsa_exception_fp_ieee_div_zero 0
		.amdhsa_exception_fp_ieee_overflow 0
		.amdhsa_exception_fp_ieee_underflow 0
		.amdhsa_exception_fp_ieee_inexact 0
		.amdhsa_exception_int_div_zero 0
	.end_amdhsa_kernel
	.section	.text._ZN7rocprim17ROCPRIM_400000_NS6detail17trampoline_kernelINS0_14default_configENS1_35adjacent_difference_config_selectorILb1ElEEZNS1_24adjacent_difference_implIS3_Lb1ELb0EPlS7_ZN2at6native12_GLOBAL__N_124unique_dim_cuda_templateIhEESt5tupleIJNS8_6TensorESD_SD_EERKSD_lbbbEUlllE1_EE10hipError_tPvRmT2_T3_mT4_P12ihipStream_tbEUlT_E_NS1_11comp_targetILNS1_3genE2ELNS1_11target_archE906ELNS1_3gpuE6ELNS1_3repE0EEENS1_30default_config_static_selectorELNS0_4arch9wavefront6targetE0EEEvT1_,"axG",@progbits,_ZN7rocprim17ROCPRIM_400000_NS6detail17trampoline_kernelINS0_14default_configENS1_35adjacent_difference_config_selectorILb1ElEEZNS1_24adjacent_difference_implIS3_Lb1ELb0EPlS7_ZN2at6native12_GLOBAL__N_124unique_dim_cuda_templateIhEESt5tupleIJNS8_6TensorESD_SD_EERKSD_lbbbEUlllE1_EE10hipError_tPvRmT2_T3_mT4_P12ihipStream_tbEUlT_E_NS1_11comp_targetILNS1_3genE2ELNS1_11target_archE906ELNS1_3gpuE6ELNS1_3repE0EEENS1_30default_config_static_selectorELNS0_4arch9wavefront6targetE0EEEvT1_,comdat
.Lfunc_end80:
	.size	_ZN7rocprim17ROCPRIM_400000_NS6detail17trampoline_kernelINS0_14default_configENS1_35adjacent_difference_config_selectorILb1ElEEZNS1_24adjacent_difference_implIS3_Lb1ELb0EPlS7_ZN2at6native12_GLOBAL__N_124unique_dim_cuda_templateIhEESt5tupleIJNS8_6TensorESD_SD_EERKSD_lbbbEUlllE1_EE10hipError_tPvRmT2_T3_mT4_P12ihipStream_tbEUlT_E_NS1_11comp_targetILNS1_3genE2ELNS1_11target_archE906ELNS1_3gpuE6ELNS1_3repE0EEENS1_30default_config_static_selectorELNS0_4arch9wavefront6targetE0EEEvT1_, .Lfunc_end80-_ZN7rocprim17ROCPRIM_400000_NS6detail17trampoline_kernelINS0_14default_configENS1_35adjacent_difference_config_selectorILb1ElEEZNS1_24adjacent_difference_implIS3_Lb1ELb0EPlS7_ZN2at6native12_GLOBAL__N_124unique_dim_cuda_templateIhEESt5tupleIJNS8_6TensorESD_SD_EERKSD_lbbbEUlllE1_EE10hipError_tPvRmT2_T3_mT4_P12ihipStream_tbEUlT_E_NS1_11comp_targetILNS1_3genE2ELNS1_11target_archE906ELNS1_3gpuE6ELNS1_3repE0EEENS1_30default_config_static_selectorELNS0_4arch9wavefront6targetE0EEEvT1_
                                        ; -- End function
	.section	.AMDGPU.csdata,"",@progbits
; Kernel info:
; codeLenInByte = 0
; NumSgprs: 0
; NumVgprs: 0
; ScratchSize: 0
; MemoryBound: 0
; FloatMode: 240
; IeeeMode: 1
; LDSByteSize: 0 bytes/workgroup (compile time only)
; SGPRBlocks: 0
; VGPRBlocks: 0
; NumSGPRsForWavesPerEU: 1
; NumVGPRsForWavesPerEU: 1
; Occupancy: 16
; WaveLimiterHint : 0
; COMPUTE_PGM_RSRC2:SCRATCH_EN: 0
; COMPUTE_PGM_RSRC2:USER_SGPR: 15
; COMPUTE_PGM_RSRC2:TRAP_HANDLER: 0
; COMPUTE_PGM_RSRC2:TGID_X_EN: 1
; COMPUTE_PGM_RSRC2:TGID_Y_EN: 0
; COMPUTE_PGM_RSRC2:TGID_Z_EN: 0
; COMPUTE_PGM_RSRC2:TIDIG_COMP_CNT: 0
	.section	.text._ZN7rocprim17ROCPRIM_400000_NS6detail17trampoline_kernelINS0_14default_configENS1_35adjacent_difference_config_selectorILb1ElEEZNS1_24adjacent_difference_implIS3_Lb1ELb0EPlS7_ZN2at6native12_GLOBAL__N_124unique_dim_cuda_templateIhEESt5tupleIJNS8_6TensorESD_SD_EERKSD_lbbbEUlllE1_EE10hipError_tPvRmT2_T3_mT4_P12ihipStream_tbEUlT_E_NS1_11comp_targetILNS1_3genE9ELNS1_11target_archE1100ELNS1_3gpuE3ELNS1_3repE0EEENS1_30default_config_static_selectorELNS0_4arch9wavefront6targetE0EEEvT1_,"axG",@progbits,_ZN7rocprim17ROCPRIM_400000_NS6detail17trampoline_kernelINS0_14default_configENS1_35adjacent_difference_config_selectorILb1ElEEZNS1_24adjacent_difference_implIS3_Lb1ELb0EPlS7_ZN2at6native12_GLOBAL__N_124unique_dim_cuda_templateIhEESt5tupleIJNS8_6TensorESD_SD_EERKSD_lbbbEUlllE1_EE10hipError_tPvRmT2_T3_mT4_P12ihipStream_tbEUlT_E_NS1_11comp_targetILNS1_3genE9ELNS1_11target_archE1100ELNS1_3gpuE3ELNS1_3repE0EEENS1_30default_config_static_selectorELNS0_4arch9wavefront6targetE0EEEvT1_,comdat
	.globl	_ZN7rocprim17ROCPRIM_400000_NS6detail17trampoline_kernelINS0_14default_configENS1_35adjacent_difference_config_selectorILb1ElEEZNS1_24adjacent_difference_implIS3_Lb1ELb0EPlS7_ZN2at6native12_GLOBAL__N_124unique_dim_cuda_templateIhEESt5tupleIJNS8_6TensorESD_SD_EERKSD_lbbbEUlllE1_EE10hipError_tPvRmT2_T3_mT4_P12ihipStream_tbEUlT_E_NS1_11comp_targetILNS1_3genE9ELNS1_11target_archE1100ELNS1_3gpuE3ELNS1_3repE0EEENS1_30default_config_static_selectorELNS0_4arch9wavefront6targetE0EEEvT1_ ; -- Begin function _ZN7rocprim17ROCPRIM_400000_NS6detail17trampoline_kernelINS0_14default_configENS1_35adjacent_difference_config_selectorILb1ElEEZNS1_24adjacent_difference_implIS3_Lb1ELb0EPlS7_ZN2at6native12_GLOBAL__N_124unique_dim_cuda_templateIhEESt5tupleIJNS8_6TensorESD_SD_EERKSD_lbbbEUlllE1_EE10hipError_tPvRmT2_T3_mT4_P12ihipStream_tbEUlT_E_NS1_11comp_targetILNS1_3genE9ELNS1_11target_archE1100ELNS1_3gpuE3ELNS1_3repE0EEENS1_30default_config_static_selectorELNS0_4arch9wavefront6targetE0EEEvT1_
	.p2align	8
	.type	_ZN7rocprim17ROCPRIM_400000_NS6detail17trampoline_kernelINS0_14default_configENS1_35adjacent_difference_config_selectorILb1ElEEZNS1_24adjacent_difference_implIS3_Lb1ELb0EPlS7_ZN2at6native12_GLOBAL__N_124unique_dim_cuda_templateIhEESt5tupleIJNS8_6TensorESD_SD_EERKSD_lbbbEUlllE1_EE10hipError_tPvRmT2_T3_mT4_P12ihipStream_tbEUlT_E_NS1_11comp_targetILNS1_3genE9ELNS1_11target_archE1100ELNS1_3gpuE3ELNS1_3repE0EEENS1_30default_config_static_selectorELNS0_4arch9wavefront6targetE0EEEvT1_,@function
_ZN7rocprim17ROCPRIM_400000_NS6detail17trampoline_kernelINS0_14default_configENS1_35adjacent_difference_config_selectorILb1ElEEZNS1_24adjacent_difference_implIS3_Lb1ELb0EPlS7_ZN2at6native12_GLOBAL__N_124unique_dim_cuda_templateIhEESt5tupleIJNS8_6TensorESD_SD_EERKSD_lbbbEUlllE1_EE10hipError_tPvRmT2_T3_mT4_P12ihipStream_tbEUlT_E_NS1_11comp_targetILNS1_3genE9ELNS1_11target_archE1100ELNS1_3gpuE3ELNS1_3repE0EEENS1_30default_config_static_selectorELNS0_4arch9wavefront6targetE0EEEvT1_: ; @_ZN7rocprim17ROCPRIM_400000_NS6detail17trampoline_kernelINS0_14default_configENS1_35adjacent_difference_config_selectorILb1ElEEZNS1_24adjacent_difference_implIS3_Lb1ELb0EPlS7_ZN2at6native12_GLOBAL__N_124unique_dim_cuda_templateIhEESt5tupleIJNS8_6TensorESD_SD_EERKSD_lbbbEUlllE1_EE10hipError_tPvRmT2_T3_mT4_P12ihipStream_tbEUlT_E_NS1_11comp_targetILNS1_3genE9ELNS1_11target_archE1100ELNS1_3gpuE3ELNS1_3repE0EEENS1_30default_config_static_selectorELNS0_4arch9wavefront6targetE0EEEvT1_
; %bb.0:
	s_mov_b32 s20, s15
	s_load_b512 s[0:15], s[0:1], 0x0
	s_waitcnt lgkmcnt(0)
	s_lshl_b64 s[16:17], s[2:3], 3
	s_mov_b32 s2, 0x411a7a30
	s_add_u32 s27, s0, s16
	s_addc_u32 s28, s1, s17
	s_add_u32 s0, 0x76, s2
	s_addc_u32 s1, 0, 0
	v_add_co_u32 v1, s0, 0x20000000, s0
	s_delay_alu instid0(VALU_DEP_1) | instskip(SKIP_1) | instid1(VALU_DEP_1)
	s_cmp_lg_u32 s0, 0
	s_addc_u32 s1, s1, 0x11a7b9
	v_readfirstlane_b32 s0, v1
	s_mul_i32 s2, s1, 0xfffff180
	s_delay_alu instid0(VALU_DEP_1)
	s_mul_hi_u32 s3, s0, 0xfffff180
	s_mul_i32 s18, s0, 0xfffff180
	s_sub_i32 s3, s3, s0
	s_mul_hi_u32 s19, s0, s18
	s_add_i32 s3, s3, s2
	s_mul_hi_u32 s21, s1, s18
	s_mul_i32 s2, s1, s18
	s_mul_hi_u32 s18, s0, s3
	s_mul_i32 s0, s0, s3
	s_mul_hi_u32 s22, s1, s3
	s_add_u32 s0, s19, s0
	s_addc_u32 s18, 0, s18
	s_add_u32 s0, s0, s2
	s_mul_i32 s3, s1, s3
	s_addc_u32 s0, s18, s21
	s_addc_u32 s2, s22, 0
	s_add_u32 s0, s0, s3
	s_addc_u32 s2, 0, s2
	v_add_co_u32 v1, s0, v1, s0
	s_delay_alu instid0(VALU_DEP_1) | instskip(SKIP_1) | instid1(VALU_DEP_1)
	s_cmp_lg_u32 s0, 0
	s_addc_u32 s0, s1, s2
	v_readfirstlane_b32 s1, v1
	s_mul_i32 s3, s6, s0
	s_mul_hi_u32 s2, s6, s0
	s_mul_hi_u32 s18, s7, s0
	s_mul_i32 s0, s7, s0
	s_mul_hi_u32 s19, s6, s1
	s_mul_hi_u32 s21, s7, s1
	s_mul_i32 s1, s7, s1
	s_add_u32 s3, s19, s3
	s_addc_u32 s2, 0, s2
	s_add_u32 s1, s3, s1
	s_addc_u32 s1, s2, s21
	s_addc_u32 s2, s18, 0
	s_add_u32 s0, s1, s0
	s_addc_u32 s1, 0, s2
	s_mul_i32 s3, s0, 0xe80
	s_add_u32 s2, s0, 1
	v_sub_co_u32 v1, s3, s6, s3
	s_mul_hi_u32 s18, s0, 0xe80
	s_addc_u32 s19, s1, 0
	s_mul_i32 s21, s1, 0xe80
	s_delay_alu instid0(VALU_DEP_1)
	v_subrev_co_u32 v2, s22, 0xe80, v1
	s_add_u32 s23, s0, 2
	s_addc_u32 s24, s1, 0
	s_add_i32 s18, s18, s21
	s_cmp_lg_u32 s3, 0
	v_readfirstlane_b32 s3, v2
	s_subb_u32 s18, s7, s18
	s_cmp_lg_u32 s22, 0
	s_subb_u32 s21, s18, 0
	s_delay_alu instid0(VALU_DEP_1) | instskip(SKIP_4) | instid1(SALU_CYCLE_1)
	s_cmpk_gt_u32 s3, 0xe7f
	s_cselect_b32 s3, -1, 0
	s_cmp_eq_u32 s21, 0
	v_readfirstlane_b32 s21, v1
	s_cselect_b32 s3, s3, -1
	s_cmp_lg_u32 s3, 0
	s_cselect_b32 s2, s23, s2
	s_cselect_b32 s3, s24, s19
	s_cmpk_gt_u32 s21, 0xe7f
	s_mov_b32 s21, 0
	s_cselect_b32 s19, -1, 0
	s_cmp_eq_u32 s18, 0
	s_cselect_b32 s18, s19, -1
	s_delay_alu instid0(SALU_CYCLE_1)
	s_cmp_lg_u32 s18, 0
	s_cselect_b32 s3, s3, s1
	s_cselect_b32 s2, s2, s0
	s_mul_i32 s0, s3, 0xe80
	s_mul_hi_u32 s1, s2, 0xe80
	s_mul_i32 s18, s2, 0xe80
	s_add_i32 s1, s1, s0
	s_sub_u32 s0, s6, s18
	s_subb_u32 s1, s7, s1
	s_delay_alu instid0(SALU_CYCLE_1) | instskip(SKIP_1) | instid1(SALU_CYCLE_1)
	s_cmp_lg_u64 s[0:1], 0
	s_cselect_b32 s0, -1, 0
	v_cndmask_b32_e64 v1, 0, 1, s0
	s_delay_alu instid0(VALU_DEP_1) | instskip(NEXT) | instid1(VALU_DEP_1)
	v_readfirstlane_b32 s0, v1
	s_add_u32 s0, s2, s0
	s_addc_u32 s1, s3, 0
	s_add_u32 s18, s14, s20
	s_addc_u32 s19, s15, 0
	s_add_u32 s22, s0, -1
	s_addc_u32 s23, s1, -1
	s_mul_i32 s2, s20, 0xe80
	v_cmp_ge_u64_e64 s26, s[18:19], s[22:23]
	s_mov_b32 s3, -1
	s_mul_i32 s7, s22, 0xfffff180
	s_delay_alu instid0(VALU_DEP_1)
	s_and_b32 vcc_lo, exec_lo, s26
	s_cbranch_vccz .LBB81_60
; %bb.1:
	s_mov_b32 s3, s21
	s_add_i32 s29, s7, s6
	s_lshl_b64 s[24:25], s[2:3], 3
	s_mov_b32 s3, exec_lo
	s_add_u32 s24, s27, s24
	s_addc_u32 s25, s28, s25
                                        ; implicit-def: $vgpr1_vgpr2
	v_cmpx_gt_u32_e64 s29, v0
	s_cbranch_execz .LBB81_3
; %bb.2:
	v_lshlrev_b32_e32 v1, 3, v0
	global_load_b64 v[1:2], v1, s[24:25]
.LBB81_3:
	s_or_b32 exec_lo, exec_lo, s3
	v_or_b32_e32 v3, 0x80, v0
	s_delay_alu instid0(VALU_DEP_1)
	v_cmp_gt_u32_e32 vcc_lo, s29, v3
                                        ; implicit-def: $vgpr3_vgpr4
	s_and_saveexec_b32 s3, vcc_lo
	s_cbranch_execz .LBB81_5
; %bb.4:
	v_lshlrev_b32_e32 v3, 3, v0
	global_load_b64 v[3:4], v3, s[24:25] offset:1024
.LBB81_5:
	s_or_b32 exec_lo, exec_lo, s3
	v_or_b32_e32 v5, 0x100, v0
	s_delay_alu instid0(VALU_DEP_1)
	v_cmp_gt_u32_e32 vcc_lo, s29, v5
                                        ; implicit-def: $vgpr5_vgpr6
	s_and_saveexec_b32 s3, vcc_lo
	s_cbranch_execz .LBB81_7
; %bb.6:
	v_lshlrev_b32_e32 v5, 3, v0
	global_load_b64 v[5:6], v5, s[24:25] offset:2048
.LBB81_7:
	s_or_b32 exec_lo, exec_lo, s3
	v_or_b32_e32 v7, 0x180, v0
	s_delay_alu instid0(VALU_DEP_1)
	v_cmp_gt_u32_e32 vcc_lo, s29, v7
                                        ; implicit-def: $vgpr7_vgpr8
	s_and_saveexec_b32 s3, vcc_lo
	s_cbranch_execz .LBB81_9
; %bb.8:
	v_lshlrev_b32_e32 v7, 3, v0
	global_load_b64 v[7:8], v7, s[24:25] offset:3072
.LBB81_9:
	s_or_b32 exec_lo, exec_lo, s3
	v_or_b32_e32 v11, 0x200, v0
	s_mov_b32 s3, exec_lo
                                        ; implicit-def: $vgpr9_vgpr10
	s_delay_alu instid0(VALU_DEP_1)
	v_cmpx_gt_u32_e64 s29, v11
	s_cbranch_execz .LBB81_11
; %bb.10:
	v_lshlrev_b32_e32 v9, 3, v11
	global_load_b64 v[9:10], v9, s[24:25]
.LBB81_11:
	s_or_b32 exec_lo, exec_lo, s3
	v_or_b32_e32 v13, 0x280, v0
	s_mov_b32 s3, exec_lo
                                        ; implicit-def: $vgpr11_vgpr12
	s_delay_alu instid0(VALU_DEP_1)
	v_cmpx_gt_u32_e64 s29, v13
	s_cbranch_execz .LBB81_13
; %bb.12:
	v_lshlrev_b32_e32 v11, 3, v13
	global_load_b64 v[11:12], v11, s[24:25]
.LBB81_13:
	s_or_b32 exec_lo, exec_lo, s3
	v_or_b32_e32 v15, 0x300, v0
	s_mov_b32 s3, exec_lo
                                        ; implicit-def: $vgpr13_vgpr14
	s_delay_alu instid0(VALU_DEP_1)
	v_cmpx_gt_u32_e64 s29, v15
	s_cbranch_execz .LBB81_15
; %bb.14:
	v_lshlrev_b32_e32 v13, 3, v15
	global_load_b64 v[13:14], v13, s[24:25]
.LBB81_15:
	s_or_b32 exec_lo, exec_lo, s3
	v_or_b32_e32 v17, 0x380, v0
	s_mov_b32 s3, exec_lo
                                        ; implicit-def: $vgpr15_vgpr16
	s_delay_alu instid0(VALU_DEP_1)
	v_cmpx_gt_u32_e64 s29, v17
	s_cbranch_execz .LBB81_17
; %bb.16:
	v_lshlrev_b32_e32 v15, 3, v17
	global_load_b64 v[15:16], v15, s[24:25]
.LBB81_17:
	s_or_b32 exec_lo, exec_lo, s3
	v_or_b32_e32 v19, 0x400, v0
	s_mov_b32 s3, exec_lo
                                        ; implicit-def: $vgpr17_vgpr18
	s_delay_alu instid0(VALU_DEP_1)
	v_cmpx_gt_u32_e64 s29, v19
	s_cbranch_execz .LBB81_19
; %bb.18:
	v_lshlrev_b32_e32 v17, 3, v19
	global_load_b64 v[17:18], v17, s[24:25]
.LBB81_19:
	s_or_b32 exec_lo, exec_lo, s3
	v_or_b32_e32 v21, 0x480, v0
	s_mov_b32 s3, exec_lo
                                        ; implicit-def: $vgpr19_vgpr20
	s_delay_alu instid0(VALU_DEP_1)
	v_cmpx_gt_u32_e64 s29, v21
	s_cbranch_execz .LBB81_21
; %bb.20:
	v_lshlrev_b32_e32 v19, 3, v21
	global_load_b64 v[19:20], v19, s[24:25]
.LBB81_21:
	s_or_b32 exec_lo, exec_lo, s3
	v_or_b32_e32 v23, 0x500, v0
	s_mov_b32 s3, exec_lo
                                        ; implicit-def: $vgpr21_vgpr22
	s_delay_alu instid0(VALU_DEP_1)
	v_cmpx_gt_u32_e64 s29, v23
	s_cbranch_execz .LBB81_23
; %bb.22:
	v_lshlrev_b32_e32 v21, 3, v23
	global_load_b64 v[21:22], v21, s[24:25]
.LBB81_23:
	s_or_b32 exec_lo, exec_lo, s3
	v_or_b32_e32 v25, 0x580, v0
	s_mov_b32 s3, exec_lo
                                        ; implicit-def: $vgpr23_vgpr24
	s_delay_alu instid0(VALU_DEP_1)
	v_cmpx_gt_u32_e64 s29, v25
	s_cbranch_execz .LBB81_25
; %bb.24:
	v_lshlrev_b32_e32 v23, 3, v25
	global_load_b64 v[23:24], v23, s[24:25]
.LBB81_25:
	s_or_b32 exec_lo, exec_lo, s3
	v_or_b32_e32 v27, 0x600, v0
	s_mov_b32 s3, exec_lo
                                        ; implicit-def: $vgpr25_vgpr26
	s_delay_alu instid0(VALU_DEP_1)
	v_cmpx_gt_u32_e64 s29, v27
	s_cbranch_execz .LBB81_27
; %bb.26:
	v_lshlrev_b32_e32 v25, 3, v27
	global_load_b64 v[25:26], v25, s[24:25]
.LBB81_27:
	s_or_b32 exec_lo, exec_lo, s3
	v_or_b32_e32 v29, 0x680, v0
	s_mov_b32 s3, exec_lo
                                        ; implicit-def: $vgpr27_vgpr28
	s_delay_alu instid0(VALU_DEP_1)
	v_cmpx_gt_u32_e64 s29, v29
	s_cbranch_execz .LBB81_29
; %bb.28:
	v_lshlrev_b32_e32 v27, 3, v29
	global_load_b64 v[27:28], v27, s[24:25]
.LBB81_29:
	s_or_b32 exec_lo, exec_lo, s3
	v_or_b32_e32 v31, 0x700, v0
	s_mov_b32 s3, exec_lo
                                        ; implicit-def: $vgpr29_vgpr30
	s_delay_alu instid0(VALU_DEP_1)
	v_cmpx_gt_u32_e64 s29, v31
	s_cbranch_execz .LBB81_31
; %bb.30:
	v_lshlrev_b32_e32 v29, 3, v31
	global_load_b64 v[29:30], v29, s[24:25]
.LBB81_31:
	s_or_b32 exec_lo, exec_lo, s3
	v_or_b32_e32 v33, 0x780, v0
	s_mov_b32 s3, exec_lo
                                        ; implicit-def: $vgpr31_vgpr32
	s_delay_alu instid0(VALU_DEP_1)
	v_cmpx_gt_u32_e64 s29, v33
	s_cbranch_execz .LBB81_33
; %bb.32:
	v_lshlrev_b32_e32 v31, 3, v33
	global_load_b64 v[31:32], v31, s[24:25]
.LBB81_33:
	s_or_b32 exec_lo, exec_lo, s3
	v_or_b32_e32 v35, 0x800, v0
	s_mov_b32 s3, exec_lo
                                        ; implicit-def: $vgpr33_vgpr34
	s_delay_alu instid0(VALU_DEP_1)
	v_cmpx_gt_u32_e64 s29, v35
	s_cbranch_execz .LBB81_35
; %bb.34:
	v_lshlrev_b32_e32 v33, 3, v35
	global_load_b64 v[33:34], v33, s[24:25]
.LBB81_35:
	s_or_b32 exec_lo, exec_lo, s3
	v_or_b32_e32 v37, 0x880, v0
	s_mov_b32 s3, exec_lo
                                        ; implicit-def: $vgpr35_vgpr36
	s_delay_alu instid0(VALU_DEP_1)
	v_cmpx_gt_u32_e64 s29, v37
	s_cbranch_execz .LBB81_37
; %bb.36:
	v_lshlrev_b32_e32 v35, 3, v37
	global_load_b64 v[35:36], v35, s[24:25]
.LBB81_37:
	s_or_b32 exec_lo, exec_lo, s3
	v_or_b32_e32 v39, 0x900, v0
	s_mov_b32 s3, exec_lo
                                        ; implicit-def: $vgpr37_vgpr38
	s_delay_alu instid0(VALU_DEP_1)
	v_cmpx_gt_u32_e64 s29, v39
	s_cbranch_execz .LBB81_39
; %bb.38:
	v_lshlrev_b32_e32 v37, 3, v39
	global_load_b64 v[37:38], v37, s[24:25]
.LBB81_39:
	s_or_b32 exec_lo, exec_lo, s3
	v_or_b32_e32 v41, 0x980, v0
	s_mov_b32 s3, exec_lo
                                        ; implicit-def: $vgpr39_vgpr40
	s_delay_alu instid0(VALU_DEP_1)
	v_cmpx_gt_u32_e64 s29, v41
	s_cbranch_execz .LBB81_41
; %bb.40:
	v_lshlrev_b32_e32 v39, 3, v41
	global_load_b64 v[39:40], v39, s[24:25]
.LBB81_41:
	s_or_b32 exec_lo, exec_lo, s3
	v_or_b32_e32 v43, 0xa00, v0
	s_mov_b32 s3, exec_lo
                                        ; implicit-def: $vgpr41_vgpr42
	s_delay_alu instid0(VALU_DEP_1)
	v_cmpx_gt_u32_e64 s29, v43
	s_cbranch_execz .LBB81_43
; %bb.42:
	v_lshlrev_b32_e32 v41, 3, v43
	global_load_b64 v[41:42], v41, s[24:25]
.LBB81_43:
	s_or_b32 exec_lo, exec_lo, s3
	v_or_b32_e32 v45, 0xa80, v0
	s_mov_b32 s3, exec_lo
                                        ; implicit-def: $vgpr43_vgpr44
	s_delay_alu instid0(VALU_DEP_1)
	v_cmpx_gt_u32_e64 s29, v45
	s_cbranch_execz .LBB81_45
; %bb.44:
	v_lshlrev_b32_e32 v43, 3, v45
	global_load_b64 v[43:44], v43, s[24:25]
.LBB81_45:
	s_or_b32 exec_lo, exec_lo, s3
	v_or_b32_e32 v47, 0xb00, v0
	s_mov_b32 s3, exec_lo
                                        ; implicit-def: $vgpr45_vgpr46
	s_delay_alu instid0(VALU_DEP_1)
	v_cmpx_gt_u32_e64 s29, v47
	s_cbranch_execz .LBB81_47
; %bb.46:
	v_lshlrev_b32_e32 v45, 3, v47
	global_load_b64 v[45:46], v45, s[24:25]
.LBB81_47:
	s_or_b32 exec_lo, exec_lo, s3
	v_or_b32_e32 v49, 0xb80, v0
	s_mov_b32 s3, exec_lo
                                        ; implicit-def: $vgpr47_vgpr48
	s_delay_alu instid0(VALU_DEP_1)
	v_cmpx_gt_u32_e64 s29, v49
	s_cbranch_execz .LBB81_49
; %bb.48:
	v_lshlrev_b32_e32 v47, 3, v49
	global_load_b64 v[47:48], v47, s[24:25]
.LBB81_49:
	s_or_b32 exec_lo, exec_lo, s3
	v_or_b32_e32 v51, 0xc00, v0
	s_mov_b32 s3, exec_lo
                                        ; implicit-def: $vgpr49_vgpr50
	s_delay_alu instid0(VALU_DEP_1)
	v_cmpx_gt_u32_e64 s29, v51
	s_cbranch_execz .LBB81_51
; %bb.50:
	v_lshlrev_b32_e32 v49, 3, v51
	global_load_b64 v[49:50], v49, s[24:25]
.LBB81_51:
	s_or_b32 exec_lo, exec_lo, s3
	v_or_b32_e32 v53, 0xc80, v0
	s_mov_b32 s3, exec_lo
                                        ; implicit-def: $vgpr51_vgpr52
	s_delay_alu instid0(VALU_DEP_1)
	v_cmpx_gt_u32_e64 s29, v53
	s_cbranch_execz .LBB81_53
; %bb.52:
	v_lshlrev_b32_e32 v51, 3, v53
	global_load_b64 v[51:52], v51, s[24:25]
.LBB81_53:
	s_or_b32 exec_lo, exec_lo, s3
	v_or_b32_e32 v55, 0xd00, v0
	s_mov_b32 s3, exec_lo
                                        ; implicit-def: $vgpr53_vgpr54
	s_delay_alu instid0(VALU_DEP_1)
	v_cmpx_gt_u32_e64 s29, v55
	s_cbranch_execz .LBB81_55
; %bb.54:
	v_lshlrev_b32_e32 v53, 3, v55
	global_load_b64 v[53:54], v53, s[24:25]
.LBB81_55:
	s_or_b32 exec_lo, exec_lo, s3
	v_or_b32_e32 v57, 0xd80, v0
	s_mov_b32 s3, exec_lo
                                        ; implicit-def: $vgpr55_vgpr56
	s_delay_alu instid0(VALU_DEP_1)
	v_cmpx_gt_u32_e64 s29, v57
	s_cbranch_execz .LBB81_57
; %bb.56:
	v_lshlrev_b32_e32 v55, 3, v57
	global_load_b64 v[55:56], v55, s[24:25]
.LBB81_57:
	s_or_b32 exec_lo, exec_lo, s3
	v_or_b32_e32 v59, 0xe00, v0
	s_mov_b32 s3, exec_lo
                                        ; implicit-def: $vgpr57_vgpr58
	s_delay_alu instid0(VALU_DEP_1)
	v_cmpx_gt_u32_e64 s29, v59
	s_cbranch_execz .LBB81_59
; %bb.58:
	v_lshlrev_b32_e32 v57, 3, v59
	global_load_b64 v[57:58], v57, s[24:25]
.LBB81_59:
	s_or_b32 exec_lo, exec_lo, s3
	v_lshlrev_b32_e32 v59, 3, v0
	s_mov_b32 s3, 0
	s_waitcnt vmcnt(0)
	ds_store_2addr_stride64_b64 v59, v[1:2], v[3:4] offset1:2
	ds_store_2addr_stride64_b64 v59, v[5:6], v[7:8] offset0:4 offset1:6
	ds_store_2addr_stride64_b64 v59, v[9:10], v[11:12] offset0:8 offset1:10
	;; [unrolled: 1-line block ×13, first 2 shown]
	ds_store_b64 v59, v[57:58] offset:28672
	s_waitcnt lgkmcnt(0)
	s_barrier
.LBB81_60:
	v_lshlrev_b32_e32 v195, 3, v0
	s_and_b32 vcc_lo, exec_lo, s3
	s_cbranch_vccz .LBB81_62
; %bb.61:
	s_mov_b32 s3, 0
	s_delay_alu instid0(SALU_CYCLE_1) | instskip(NEXT) | instid1(SALU_CYCLE_1)
	s_lshl_b64 s[24:25], s[2:3], 3
	s_add_u32 s24, s27, s24
	s_addc_u32 s25, s28, s25
	v_add_co_u32 v49, s3, s24, v195
	s_delay_alu instid0(VALU_DEP_1)
	v_add_co_ci_u32_e64 v50, null, s25, 0, s3
	s_clause 0x3
	global_load_b64 v[1:2], v195, s[24:25]
	global_load_b64 v[3:4], v195, s[24:25] offset:1024
	global_load_b64 v[5:6], v195, s[24:25] offset:2048
	;; [unrolled: 1-line block ×3, first 2 shown]
	v_add_co_u32 v9, vcc_lo, 0x1000, v49
	v_add_co_ci_u32_e32 v10, vcc_lo, 0, v50, vcc_lo
	v_add_co_u32 v11, vcc_lo, v49, 0x2000
	v_add_co_ci_u32_e32 v12, vcc_lo, 0, v50, vcc_lo
	;; [unrolled: 2-line block ×10, first 2 shown]
	s_clause 0x18
	global_load_b64 v[15:16], v[11:12], off offset:-4096
	global_load_b64 v[17:18], v[9:10], off offset:1024
	global_load_b64 v[19:20], v[9:10], off offset:2048
	;; [unrolled: 1-line block ×12, first 2 shown]
	global_load_b64 v[11:12], v[11:12], off
	global_load_b64 v[43:44], v[25:26], off offset:-4096
	global_load_b64 v[25:26], v[25:26], off
	global_load_b64 v[45:46], v[39:40], off offset:-4096
	global_load_b64 v[39:40], v[39:40], off
	global_load_b64 v[51:52], v[41:42], off offset:1024
	global_load_b64 v[53:54], v[41:42], off offset:2048
	;; [unrolled: 1-line block ×6, first 2 shown]
	global_load_b64 v[49:50], v[49:50], off
	s_waitcnt vmcnt(27)
	ds_store_2addr_stride64_b64 v195, v[1:2], v[3:4] offset1:2
	s_waitcnt vmcnt(25)
	ds_store_2addr_stride64_b64 v195, v[5:6], v[7:8] offset0:4 offset1:6
	s_waitcnt vmcnt(23)
	ds_store_2addr_stride64_b64 v195, v[15:16], v[17:18] offset0:8 offset1:10
	;; [unrolled: 2-line block ×4, first 2 shown]
	ds_store_2addr_stride64_b64 v195, v[29:30], v[13:14] offset0:20 offset1:22
	s_waitcnt vmcnt(10)
	ds_store_2addr_stride64_b64 v195, v[43:44], v[31:32] offset0:24 offset1:26
	ds_store_2addr_stride64_b64 v195, v[33:34], v[23:24] offset0:28 offset1:30
	s_waitcnt vmcnt(9)
	ds_store_2addr_stride64_b64 v195, v[25:26], v[35:36] offset0:32 offset1:34
	ds_store_2addr_stride64_b64 v195, v[37:38], v[27:28] offset0:36 offset1:38
	s_waitcnt vmcnt(6)
	ds_store_2addr_stride64_b64 v195, v[45:46], v[51:52] offset0:40 offset1:42
	s_waitcnt vmcnt(4)
	ds_store_2addr_stride64_b64 v195, v[53:54], v[41:42] offset0:44 offset1:46
	s_waitcnt vmcnt(3)
	ds_store_2addr_stride64_b64 v195, v[39:40], v[55:56] offset0:48 offset1:50
	;; [unrolled: 2-line block ×3, first 2 shown]
	s_waitcnt vmcnt(0)
	ds_store_b64 v195, v[49:50] offset:28672
	s_waitcnt lgkmcnt(0)
	s_barrier
.LBB81_62:
	v_mul_u32_u24_e32 v1, 29, v0
	buffer_gl0_inv
	s_cmp_eq_u64 s[18:19], 0
	v_lshlrev_b32_e32 v53, 3, v1
	ds_load_b64 v[109:110], v53 offset:224
	ds_load_2addr_b64 v[5:8], v53 offset0:26 offset1:27
	ds_load_2addr_b64 v[9:12], v53 offset0:24 offset1:25
	ds_load_2addr_b64 v[1:4], v53 offset1:1
	ds_load_2addr_b64 v[13:16], v53 offset0:2 offset1:3
	ds_load_2addr_b64 v[17:20], v53 offset0:4 offset1:5
	;; [unrolled: 1-line block ×11, first 2 shown]
	s_waitcnt lgkmcnt(0)
	s_barrier
	buffer_gl0_inv
	s_cbranch_scc1 .LBB81_71
; %bb.63:
	s_lshl_b64 s[14:15], s[14:15], 3
	s_delay_alu instid0(SALU_CYCLE_1) | instskip(SKIP_2) | instid1(SALU_CYCLE_1)
	s_add_u32 s3, s12, s14
	s_addc_u32 s14, s13, s15
	s_lshl_b64 s[12:13], s[20:21], 3
	s_add_u32 s3, s3, s12
	s_addc_u32 s13, s14, s13
	s_add_u32 s12, s3, -8
	s_addc_u32 s13, s13, -1
	s_cmp_lg_u64 s[18:19], s[22:23]
	s_load_b64 s[12:13], s[12:13], 0x0
	s_cbranch_scc0 .LBB81_72
; %bb.64:
	v_mul_lo_u32 v59, v8, s8
	v_mul_lo_u32 v60, v7, s9
	v_mad_u64_u32 v[57:58], null, v7, s8, 0
	v_mov_b32_e32 v113, 0
	v_mov_b32_e32 v114, 0
	v_cmp_lt_i64_e64 s14, s[8:9], 1
	v_cmp_gt_i64_e64 s3, s[8:9], 0
	s_delay_alu instid0(VALU_DEP_4)
	v_mov_b32_e32 v111, v113
	ds_store_b64 v195, v[109:110]
	v_mov_b32_e32 v112, v114
	v_add3_u32 v64, v58, v60, v59
	s_and_b32 vcc_lo, exec_lo, s14
	s_cbranch_vccnz .LBB81_76
; %bb.65:
	v_mad_u64_u32 v[58:59], null, v109, s8, s[10:11]
	v_mul_lo_u32 v60, v109, s9
	v_mul_lo_u32 v61, v110, s8
	v_mov_b32_e32 v111, 1
	v_mov_b32_e32 v112, 0
	s_mov_b32 s19, exec_lo
	s_delay_alu instid0(VALU_DEP_3)
	v_add3_u32 v59, v61, v59, v60
	v_add_co_u32 v60, vcc_lo, s10, v57
	v_add_co_ci_u32_e32 v61, vcc_lo, s11, v64, vcc_lo
	s_clause 0x1
	global_load_u8 v62, v[58:59], off
	global_load_u8 v63, v[60:61], off
	s_waitcnt vmcnt(0)
	v_cmpx_eq_u16_e64 v62, v63
	s_cbranch_execz .LBB81_75
; %bb.66:
	s_mov_b64 s[14:15], 1
	s_mov_b32 s22, 0
                                        ; implicit-def: $sgpr23
	s_set_inst_prefetch_distance 0x1
	s_branch .LBB81_69
	.p2align	6
.LBB81_67:                              ;   in Loop: Header=BB81_69 Depth=1
	v_add_co_u32 v62, vcc_lo, v58, s14
	v_add_co_ci_u32_e32 v63, vcc_lo, s15, v59, vcc_lo
	v_add_co_u32 v65, vcc_lo, v60, s14
	v_add_co_ci_u32_e32 v66, vcc_lo, s15, v61, vcc_lo
	s_add_u32 s20, s14, 1
	s_clause 0x1
	global_load_u8 v62, v[62:63], off
	global_load_u8 v63, v[65:66], off
	s_addc_u32 s21, s15, 0
	s_and_not1_b32 s23, s23, exec_lo
	s_waitcnt vmcnt(0)
	v_cmp_ne_u16_e32 vcc_lo, v62, v63
	s_and_b32 s24, vcc_lo, exec_lo
	s_delay_alu instid0(SALU_CYCLE_1)
	s_or_b32 s23, s23, s24
.LBB81_68:                              ;   in Loop: Header=BB81_69 Depth=1
	v_dual_mov_b32 v63, s15 :: v_dual_mov_b32 v62, s14
	s_and_b32 s24, exec_lo, s23
	s_mov_b64 s[14:15], s[20:21]
	s_or_b32 s22, s24, s22
	s_delay_alu instid0(SALU_CYCLE_1)
	s_and_not1_b32 exec_lo, exec_lo, s22
	s_cbranch_execz .LBB81_74
.LBB81_69:                              ; =>This Inner Loop Header: Depth=1
	s_or_b32 s23, s23, exec_lo
	s_cmp_eq_u64 s[8:9], s[14:15]
	s_cbranch_scc0 .LBB81_67
; %bb.70:                               ;   in Loop: Header=BB81_69 Depth=1
	s_mov_b64 s[14:15], s[8:9]
                                        ; implicit-def: $sgpr20_sgpr21
	s_branch .LBB81_68
.LBB81_71:
	s_mov_b32 s3, 0
                                        ; implicit-def: $sgpr14
                                        ; implicit-def: $vgpr165_vgpr166
                                        ; implicit-def: $vgpr163_vgpr164
                                        ; implicit-def: $vgpr161_vgpr162
                                        ; implicit-def: $vgpr159_vgpr160
                                        ; implicit-def: $vgpr157_vgpr158
                                        ; implicit-def: $vgpr155_vgpr156
                                        ; implicit-def: $vgpr153_vgpr154
                                        ; implicit-def: $vgpr151_vgpr152
                                        ; implicit-def: $vgpr149_vgpr150
                                        ; implicit-def: $vgpr147_vgpr148
                                        ; implicit-def: $vgpr145_vgpr146
                                        ; implicit-def: $vgpr143_vgpr144
                                        ; implicit-def: $vgpr141_vgpr142
                                        ; implicit-def: $vgpr139_vgpr140
                                        ; implicit-def: $vgpr137_vgpr138
                                        ; implicit-def: $vgpr135_vgpr136
                                        ; implicit-def: $vgpr133_vgpr134
                                        ; implicit-def: $vgpr131_vgpr132
                                        ; implicit-def: $vgpr129_vgpr130
                                        ; implicit-def: $vgpr127_vgpr128
                                        ; implicit-def: $vgpr125_vgpr126
                                        ; implicit-def: $vgpr123_vgpr124
                                        ; implicit-def: $vgpr121_vgpr122
                                        ; implicit-def: $vgpr119_vgpr120
                                        ; implicit-def: $vgpr117_vgpr118
                                        ; implicit-def: $vgpr113_vgpr114
                                        ; implicit-def: $vgpr115_vgpr116
                                        ; implicit-def: $vgpr111_vgpr112
                                        ; implicit-def: $vgpr181_vgpr182
                                        ; implicit-def: $vgpr167_vgpr168
                                        ; implicit-def: $vgpr169_vgpr170
                                        ; implicit-def: $vgpr171_vgpr172
                                        ; implicit-def: $vgpr173_vgpr174
                                        ; implicit-def: $vgpr175_vgpr176
                                        ; implicit-def: $vgpr177_vgpr178
                                        ; implicit-def: $vgpr179_vgpr180
                                        ; implicit-def: $vgpr183_vgpr184
                                        ; implicit-def: $vgpr185_vgpr186
                                        ; implicit-def: $vgpr187_vgpr188
                                        ; implicit-def: $vgpr189_vgpr190
                                        ; implicit-def: $vgpr191_vgpr192
                                        ; implicit-def: $vgpr193_vgpr194
                                        ; implicit-def: $vgpr57_vgpr58_vgpr59_vgpr60
                                        ; implicit-def: $vgpr61_vgpr62_vgpr63_vgpr64
                                        ; implicit-def: $vgpr65_vgpr66_vgpr67_vgpr68
                                        ; implicit-def: $vgpr69_vgpr70_vgpr71_vgpr72
                                        ; implicit-def: $vgpr73_vgpr74_vgpr75_vgpr76
                                        ; implicit-def: $vgpr77_vgpr78_vgpr79_vgpr80
                                        ; implicit-def: $vgpr81_vgpr82_vgpr83_vgpr84
                                        ; implicit-def: $vgpr85_vgpr86_vgpr87_vgpr88
                                        ; implicit-def: $vgpr89_vgpr90_vgpr91_vgpr92
                                        ; implicit-def: $vgpr93_vgpr94_vgpr95_vgpr96
                                        ; implicit-def: $vgpr97_vgpr98_vgpr99_vgpr100
                                        ; implicit-def: $vgpr101_vgpr102_vgpr103_vgpr104
                                        ; implicit-def: $vgpr105_vgpr106_vgpr107_vgpr108
	s_cbranch_execnz .LBB81_655
	s_branch .LBB81_1243
.LBB81_72:
	s_mov_b32 s3, 0
                                        ; implicit-def: $sgpr14
                                        ; implicit-def: $vgpr165_vgpr166
                                        ; implicit-def: $vgpr163_vgpr164
                                        ; implicit-def: $vgpr161_vgpr162
                                        ; implicit-def: $vgpr159_vgpr160
                                        ; implicit-def: $vgpr157_vgpr158
                                        ; implicit-def: $vgpr155_vgpr156
                                        ; implicit-def: $vgpr153_vgpr154
                                        ; implicit-def: $vgpr151_vgpr152
                                        ; implicit-def: $vgpr149_vgpr150
                                        ; implicit-def: $vgpr147_vgpr148
                                        ; implicit-def: $vgpr145_vgpr146
                                        ; implicit-def: $vgpr143_vgpr144
                                        ; implicit-def: $vgpr141_vgpr142
                                        ; implicit-def: $vgpr139_vgpr140
                                        ; implicit-def: $vgpr137_vgpr138
                                        ; implicit-def: $vgpr135_vgpr136
                                        ; implicit-def: $vgpr133_vgpr134
                                        ; implicit-def: $vgpr131_vgpr132
                                        ; implicit-def: $vgpr129_vgpr130
                                        ; implicit-def: $vgpr127_vgpr128
                                        ; implicit-def: $vgpr125_vgpr126
                                        ; implicit-def: $vgpr123_vgpr124
                                        ; implicit-def: $vgpr121_vgpr122
                                        ; implicit-def: $vgpr119_vgpr120
                                        ; implicit-def: $vgpr117_vgpr118
                                        ; implicit-def: $vgpr113_vgpr114
                                        ; implicit-def: $vgpr115_vgpr116
                                        ; implicit-def: $vgpr111_vgpr112
	s_cbranch_execnz .LBB81_332
.LBB81_73:
                                        ; implicit-def: $vgpr181_vgpr182
                                        ; implicit-def: $vgpr167_vgpr168
                                        ; implicit-def: $vgpr169_vgpr170
                                        ; implicit-def: $vgpr171_vgpr172
                                        ; implicit-def: $vgpr173_vgpr174
                                        ; implicit-def: $vgpr175_vgpr176
                                        ; implicit-def: $vgpr177_vgpr178
                                        ; implicit-def: $vgpr179_vgpr180
                                        ; implicit-def: $vgpr183_vgpr184
                                        ; implicit-def: $vgpr185_vgpr186
                                        ; implicit-def: $vgpr187_vgpr188
                                        ; implicit-def: $vgpr189_vgpr190
                                        ; implicit-def: $vgpr191_vgpr192
                                        ; implicit-def: $vgpr193_vgpr194
                                        ; implicit-def: $vgpr57_vgpr58_vgpr59_vgpr60
                                        ; implicit-def: $vgpr61_vgpr62_vgpr63_vgpr64
                                        ; implicit-def: $vgpr65_vgpr66_vgpr67_vgpr68
                                        ; implicit-def: $vgpr69_vgpr70_vgpr71_vgpr72
                                        ; implicit-def: $vgpr73_vgpr74_vgpr75_vgpr76
                                        ; implicit-def: $vgpr77_vgpr78_vgpr79_vgpr80
                                        ; implicit-def: $vgpr81_vgpr82_vgpr83_vgpr84
                                        ; implicit-def: $vgpr85_vgpr86_vgpr87_vgpr88
                                        ; implicit-def: $vgpr89_vgpr90_vgpr91_vgpr92
                                        ; implicit-def: $vgpr93_vgpr94_vgpr95_vgpr96
                                        ; implicit-def: $vgpr97_vgpr98_vgpr99_vgpr100
                                        ; implicit-def: $vgpr101_vgpr102_vgpr103_vgpr104
                                        ; implicit-def: $vgpr105_vgpr106_vgpr107_vgpr108
	s_waitcnt lgkmcnt(0)
	s_branch .LBB81_1243
.LBB81_74:
	s_set_inst_prefetch_distance 0x2
	s_or_b32 exec_lo, exec_lo, s22
	v_cmp_gt_i64_e32 vcc_lo, s[8:9], v[62:63]
	s_mov_b32 s14, 0
	s_delay_alu instid0(SALU_CYCLE_1)
	v_mov_b32_e32 v112, s14
	v_cndmask_b32_e64 v111, 0, 1, vcc_lo
.LBB81_75:
	s_or_b32 exec_lo, exec_lo, s19
.LBB81_76:
	v_mul_lo_u32 v60, v6, s8
	v_mul_lo_u32 v61, v5, s9
	v_mad_u64_u32 v[58:59], null, v5, s8, 0
	v_cndmask_b32_e64 v65, 0, 1, s3
	v_dual_mov_b32 v116, v114 :: v_dual_mov_b32 v115, v113
	s_and_not1_b32 vcc_lo, exec_lo, s3
	s_delay_alu instid0(VALU_DEP_3)
	v_add3_u32 v66, v59, v61, v60
	s_cbranch_vccnz .LBB81_85
; %bb.77:
	v_add_co_u32 v59, vcc_lo, s10, v57
	v_add_co_ci_u32_e32 v60, vcc_lo, s11, v64, vcc_lo
	v_add_co_u32 v61, vcc_lo, s10, v58
	v_add_co_ci_u32_e32 v62, vcc_lo, s11, v66, vcc_lo
	v_mov_b32_e32 v115, 1
	s_clause 0x1
	global_load_u8 v57, v[59:60], off
	global_load_u8 v63, v[61:62], off
	v_mov_b32_e32 v116, 0
	s_mov_b32 s3, exec_lo
	s_waitcnt vmcnt(0)
	v_cmpx_eq_u16_e64 v57, v63
	s_cbranch_execz .LBB81_84
; %bb.78:
	s_mov_b64 s[14:15], 1
	s_mov_b32 s19, 0
                                        ; implicit-def: $sgpr22
	s_set_inst_prefetch_distance 0x1
	s_branch .LBB81_81
	.p2align	6
.LBB81_79:                              ;   in Loop: Header=BB81_81 Depth=1
	v_add_co_u32 v63, vcc_lo, v59, s14
	v_add_co_ci_u32_e32 v64, vcc_lo, s15, v60, vcc_lo
	v_add_co_u32 v67, vcc_lo, v61, s14
	v_add_co_ci_u32_e32 v68, vcc_lo, s15, v62, vcc_lo
	s_add_u32 s20, s14, 1
	s_clause 0x1
	global_load_u8 v57, v[63:64], off
	global_load_u8 v63, v[67:68], off
	s_addc_u32 s21, s15, 0
	s_and_not1_b32 s22, s22, exec_lo
	s_waitcnt vmcnt(0)
	v_cmp_ne_u16_e32 vcc_lo, v57, v63
	s_and_b32 s23, vcc_lo, exec_lo
	s_delay_alu instid0(SALU_CYCLE_1)
	s_or_b32 s22, s22, s23
.LBB81_80:                              ;   in Loop: Header=BB81_81 Depth=1
	v_dual_mov_b32 v64, s15 :: v_dual_mov_b32 v63, s14
	s_and_b32 s23, exec_lo, s22
	s_mov_b64 s[14:15], s[20:21]
	s_or_b32 s19, s23, s19
	s_delay_alu instid0(SALU_CYCLE_1)
	s_and_not1_b32 exec_lo, exec_lo, s19
	s_cbranch_execz .LBB81_83
.LBB81_81:                              ; =>This Inner Loop Header: Depth=1
	s_or_b32 s22, s22, exec_lo
	s_cmp_eq_u64 s[8:9], s[14:15]
	s_cbranch_scc0 .LBB81_79
; %bb.82:                               ;   in Loop: Header=BB81_81 Depth=1
	s_mov_b64 s[14:15], s[8:9]
                                        ; implicit-def: $sgpr20_sgpr21
	s_branch .LBB81_80
.LBB81_83:
	s_set_inst_prefetch_distance 0x2
	s_or_b32 exec_lo, exec_lo, s19
	v_cmp_gt_i64_e32 vcc_lo, s[8:9], v[63:64]
	s_mov_b32 s14, 0
	s_delay_alu instid0(SALU_CYCLE_1)
	v_mov_b32_e32 v116, s14
	v_cndmask_b32_e64 v115, 0, 1, vcc_lo
.LBB81_84:
	s_or_b32 exec_lo, exec_lo, s3
.LBB81_85:
	v_mul_lo_u32 v57, v12, s8
	v_mul_lo_u32 v61, v11, s9
	v_mad_u64_u32 v[59:60], null, v11, s8, 0
	v_cmp_ne_u32_e32 vcc_lo, 1, v65
	s_delay_alu instid0(VALU_DEP_2)
	v_add3_u32 v64, v60, v61, v57
	s_cbranch_vccnz .LBB81_94
; %bb.86:
	v_add_co_u32 v57, vcc_lo, s10, v58
	v_add_co_ci_u32_e32 v58, vcc_lo, s11, v66, vcc_lo
	v_add_co_u32 v60, vcc_lo, s10, v59
	v_add_co_ci_u32_e32 v61, vcc_lo, s11, v64, vcc_lo
	v_mov_b32_e32 v113, 1
	s_clause 0x1
	global_load_u8 v62, v[57:58], off
	global_load_u8 v63, v[60:61], off
	v_mov_b32_e32 v114, 0
	s_mov_b32 s3, exec_lo
	s_waitcnt vmcnt(0)
	v_cmpx_eq_u16_e64 v62, v63
	s_cbranch_execz .LBB81_93
; %bb.87:
	s_mov_b64 s[14:15], 1
	s_mov_b32 s19, 0
                                        ; implicit-def: $sgpr22
	s_set_inst_prefetch_distance 0x1
	s_branch .LBB81_90
	.p2align	6
.LBB81_88:                              ;   in Loop: Header=BB81_90 Depth=1
	v_add_co_u32 v62, vcc_lo, v57, s14
	v_add_co_ci_u32_e32 v63, vcc_lo, s15, v58, vcc_lo
	v_add_co_u32 v66, vcc_lo, v60, s14
	v_add_co_ci_u32_e32 v67, vcc_lo, s15, v61, vcc_lo
	s_add_u32 s20, s14, 1
	s_clause 0x1
	global_load_u8 v62, v[62:63], off
	global_load_u8 v63, v[66:67], off
	s_addc_u32 s21, s15, 0
	s_and_not1_b32 s22, s22, exec_lo
	s_waitcnt vmcnt(0)
	v_cmp_ne_u16_e32 vcc_lo, v62, v63
	s_and_b32 s23, vcc_lo, exec_lo
	s_delay_alu instid0(SALU_CYCLE_1)
	s_or_b32 s22, s22, s23
.LBB81_89:                              ;   in Loop: Header=BB81_90 Depth=1
	v_dual_mov_b32 v63, s15 :: v_dual_mov_b32 v62, s14
	s_and_b32 s23, exec_lo, s22
	s_mov_b64 s[14:15], s[20:21]
	s_or_b32 s19, s23, s19
	s_delay_alu instid0(SALU_CYCLE_1)
	s_and_not1_b32 exec_lo, exec_lo, s19
	s_cbranch_execz .LBB81_92
.LBB81_90:                              ; =>This Inner Loop Header: Depth=1
	s_or_b32 s22, s22, exec_lo
	s_cmp_eq_u64 s[8:9], s[14:15]
	s_cbranch_scc0 .LBB81_88
; %bb.91:                               ;   in Loop: Header=BB81_90 Depth=1
	s_mov_b64 s[14:15], s[8:9]
                                        ; implicit-def: $sgpr20_sgpr21
	s_branch .LBB81_89
.LBB81_92:
	s_set_inst_prefetch_distance 0x2
	s_or_b32 exec_lo, exec_lo, s19
	v_cmp_gt_i64_e32 vcc_lo, s[8:9], v[62:63]
	s_mov_b32 s14, 0
	s_delay_alu instid0(SALU_CYCLE_1)
	v_mov_b32_e32 v114, s14
	v_cndmask_b32_e64 v113, 0, 1, vcc_lo
.LBB81_93:
	s_or_b32 exec_lo, exec_lo, s3
.LBB81_94:
	v_mul_lo_u32 v60, v10, s8
	v_mul_lo_u32 v61, v9, s9
	v_mad_u64_u32 v[57:58], null, v9, s8, 0
	v_mov_b32_e32 v119, 0
	v_mov_b32_e32 v120, 0
	v_cmp_ne_u32_e32 vcc_lo, 1, v65
	s_delay_alu instid0(VALU_DEP_2)
	v_dual_mov_b32 v117, v119 :: v_dual_mov_b32 v118, v120
	v_add3_u32 v66, v58, v61, v60
	s_cbranch_vccnz .LBB81_103
; %bb.95:
	v_add_co_u32 v58, vcc_lo, s10, v59
	v_add_co_ci_u32_e32 v59, vcc_lo, s11, v64, vcc_lo
	v_add_co_u32 v60, vcc_lo, s10, v57
	v_add_co_ci_u32_e32 v61, vcc_lo, s11, v66, vcc_lo
	v_mov_b32_e32 v117, 1
	s_clause 0x1
	global_load_u8 v62, v[58:59], off
	global_load_u8 v63, v[60:61], off
	v_mov_b32_e32 v118, 0
	s_mov_b32 s3, exec_lo
	s_waitcnt vmcnt(0)
	v_cmpx_eq_u16_e64 v62, v63
	s_cbranch_execz .LBB81_102
; %bb.96:
	s_mov_b64 s[14:15], 1
	s_mov_b32 s19, 0
                                        ; implicit-def: $sgpr22
	s_set_inst_prefetch_distance 0x1
	s_branch .LBB81_99
	.p2align	6
.LBB81_97:                              ;   in Loop: Header=BB81_99 Depth=1
	v_add_co_u32 v62, vcc_lo, v58, s14
	v_add_co_ci_u32_e32 v63, vcc_lo, s15, v59, vcc_lo
	v_add_co_u32 v67, vcc_lo, v60, s14
	v_add_co_ci_u32_e32 v68, vcc_lo, s15, v61, vcc_lo
	s_add_u32 s20, s14, 1
	s_clause 0x1
	global_load_u8 v62, v[62:63], off
	global_load_u8 v63, v[67:68], off
	s_addc_u32 s21, s15, 0
	s_and_not1_b32 s22, s22, exec_lo
	s_waitcnt vmcnt(0)
	v_cmp_ne_u16_e32 vcc_lo, v62, v63
	s_and_b32 s23, vcc_lo, exec_lo
	s_delay_alu instid0(SALU_CYCLE_1)
	s_or_b32 s22, s22, s23
.LBB81_98:                              ;   in Loop: Header=BB81_99 Depth=1
	v_dual_mov_b32 v63, s15 :: v_dual_mov_b32 v62, s14
	s_and_b32 s23, exec_lo, s22
	s_mov_b64 s[14:15], s[20:21]
	s_or_b32 s19, s23, s19
	s_delay_alu instid0(SALU_CYCLE_1)
	s_and_not1_b32 exec_lo, exec_lo, s19
	s_cbranch_execz .LBB81_101
.LBB81_99:                              ; =>This Inner Loop Header: Depth=1
	s_or_b32 s22, s22, exec_lo
	s_cmp_eq_u64 s[8:9], s[14:15]
	s_cbranch_scc0 .LBB81_97
; %bb.100:                              ;   in Loop: Header=BB81_99 Depth=1
	s_mov_b64 s[14:15], s[8:9]
                                        ; implicit-def: $sgpr20_sgpr21
	s_branch .LBB81_98
.LBB81_101:
	s_set_inst_prefetch_distance 0x2
	s_or_b32 exec_lo, exec_lo, s19
	v_cmp_gt_i64_e32 vcc_lo, s[8:9], v[62:63]
	s_mov_b32 s14, 0
	s_delay_alu instid0(SALU_CYCLE_1)
	v_mov_b32_e32 v118, s14
	v_cndmask_b32_e64 v117, 0, 1, vcc_lo
.LBB81_102:
	s_or_b32 exec_lo, exec_lo, s3
.LBB81_103:
	v_mul_lo_u32 v58, v56, s8
	v_mul_lo_u32 v61, v55, s9
	v_mad_u64_u32 v[59:60], null, v55, s8, 0
	v_cmp_ne_u32_e32 vcc_lo, 1, v65
	s_delay_alu instid0(VALU_DEP_2)
	v_add3_u32 v64, v60, v61, v58
	s_cbranch_vccnz .LBB81_112
; %bb.104:
	v_add_co_u32 v57, vcc_lo, s10, v57
	v_add_co_ci_u32_e32 v58, vcc_lo, s11, v66, vcc_lo
	v_add_co_u32 v60, vcc_lo, s10, v59
	v_add_co_ci_u32_e32 v61, vcc_lo, s11, v64, vcc_lo
	v_mov_b32_e32 v119, 1
	s_clause 0x1
	global_load_u8 v62, v[57:58], off
	global_load_u8 v63, v[60:61], off
	v_mov_b32_e32 v120, 0
	s_mov_b32 s3, exec_lo
	s_waitcnt vmcnt(0)
	v_cmpx_eq_u16_e64 v62, v63
	s_cbranch_execz .LBB81_111
; %bb.105:
	s_mov_b64 s[14:15], 1
	s_mov_b32 s19, 0
                                        ; implicit-def: $sgpr22
	s_set_inst_prefetch_distance 0x1
	s_branch .LBB81_108
	.p2align	6
.LBB81_106:                             ;   in Loop: Header=BB81_108 Depth=1
	v_add_co_u32 v62, vcc_lo, v57, s14
	v_add_co_ci_u32_e32 v63, vcc_lo, s15, v58, vcc_lo
	v_add_co_u32 v66, vcc_lo, v60, s14
	v_add_co_ci_u32_e32 v67, vcc_lo, s15, v61, vcc_lo
	s_add_u32 s20, s14, 1
	s_clause 0x1
	global_load_u8 v62, v[62:63], off
	global_load_u8 v63, v[66:67], off
	s_addc_u32 s21, s15, 0
	s_and_not1_b32 s22, s22, exec_lo
	s_waitcnt vmcnt(0)
	v_cmp_ne_u16_e32 vcc_lo, v62, v63
	s_and_b32 s23, vcc_lo, exec_lo
	s_delay_alu instid0(SALU_CYCLE_1)
	s_or_b32 s22, s22, s23
.LBB81_107:                             ;   in Loop: Header=BB81_108 Depth=1
	v_dual_mov_b32 v63, s15 :: v_dual_mov_b32 v62, s14
	s_and_b32 s23, exec_lo, s22
	s_mov_b64 s[14:15], s[20:21]
	s_or_b32 s19, s23, s19
	s_delay_alu instid0(SALU_CYCLE_1)
	s_and_not1_b32 exec_lo, exec_lo, s19
	s_cbranch_execz .LBB81_110
.LBB81_108:                             ; =>This Inner Loop Header: Depth=1
	s_or_b32 s22, s22, exec_lo
	s_cmp_eq_u64 s[8:9], s[14:15]
	s_cbranch_scc0 .LBB81_106
; %bb.109:                              ;   in Loop: Header=BB81_108 Depth=1
	s_mov_b64 s[14:15], s[8:9]
                                        ; implicit-def: $sgpr20_sgpr21
	s_branch .LBB81_107
.LBB81_110:
	s_set_inst_prefetch_distance 0x2
	s_or_b32 exec_lo, exec_lo, s19
	v_cmp_gt_i64_e32 vcc_lo, s[8:9], v[62:63]
	s_mov_b32 s14, 0
	s_delay_alu instid0(SALU_CYCLE_1)
	v_mov_b32_e32 v120, s14
	v_cndmask_b32_e64 v119, 0, 1, vcc_lo
.LBB81_111:
	s_or_b32 exec_lo, exec_lo, s3
.LBB81_112:
	v_mul_lo_u32 v60, v54, s8
	v_mul_lo_u32 v61, v53, s9
	v_mad_u64_u32 v[57:58], null, v53, s8, 0
	v_mov_b32_e32 v123, 0
	v_mov_b32_e32 v124, 0
	v_cmp_ne_u32_e32 vcc_lo, 1, v65
	s_delay_alu instid0(VALU_DEP_2)
	v_dual_mov_b32 v121, v123 :: v_dual_mov_b32 v122, v124
	v_add3_u32 v66, v58, v61, v60
	s_cbranch_vccnz .LBB81_121
; %bb.113:
	v_add_co_u32 v58, vcc_lo, s10, v59
	v_add_co_ci_u32_e32 v59, vcc_lo, s11, v64, vcc_lo
	v_add_co_u32 v60, vcc_lo, s10, v57
	v_add_co_ci_u32_e32 v61, vcc_lo, s11, v66, vcc_lo
	v_mov_b32_e32 v121, 1
	s_clause 0x1
	global_load_u8 v62, v[58:59], off
	global_load_u8 v63, v[60:61], off
	v_mov_b32_e32 v122, 0
	s_mov_b32 s3, exec_lo
	s_waitcnt vmcnt(0)
	v_cmpx_eq_u16_e64 v62, v63
	s_cbranch_execz .LBB81_120
; %bb.114:
	s_mov_b64 s[14:15], 1
	s_mov_b32 s19, 0
                                        ; implicit-def: $sgpr22
	s_set_inst_prefetch_distance 0x1
	s_branch .LBB81_117
	.p2align	6
.LBB81_115:                             ;   in Loop: Header=BB81_117 Depth=1
	v_add_co_u32 v62, vcc_lo, v58, s14
	v_add_co_ci_u32_e32 v63, vcc_lo, s15, v59, vcc_lo
	v_add_co_u32 v67, vcc_lo, v60, s14
	v_add_co_ci_u32_e32 v68, vcc_lo, s15, v61, vcc_lo
	s_add_u32 s20, s14, 1
	s_clause 0x1
	global_load_u8 v62, v[62:63], off
	global_load_u8 v63, v[67:68], off
	s_addc_u32 s21, s15, 0
	s_and_not1_b32 s22, s22, exec_lo
	s_waitcnt vmcnt(0)
	v_cmp_ne_u16_e32 vcc_lo, v62, v63
	s_and_b32 s23, vcc_lo, exec_lo
	s_delay_alu instid0(SALU_CYCLE_1)
	s_or_b32 s22, s22, s23
.LBB81_116:                             ;   in Loop: Header=BB81_117 Depth=1
	v_dual_mov_b32 v63, s15 :: v_dual_mov_b32 v62, s14
	s_and_b32 s23, exec_lo, s22
	s_mov_b64 s[14:15], s[20:21]
	s_or_b32 s19, s23, s19
	s_delay_alu instid0(SALU_CYCLE_1)
	s_and_not1_b32 exec_lo, exec_lo, s19
	s_cbranch_execz .LBB81_119
.LBB81_117:                             ; =>This Inner Loop Header: Depth=1
	s_or_b32 s22, s22, exec_lo
	s_cmp_eq_u64 s[8:9], s[14:15]
	s_cbranch_scc0 .LBB81_115
; %bb.118:                              ;   in Loop: Header=BB81_117 Depth=1
	s_mov_b64 s[14:15], s[8:9]
                                        ; implicit-def: $sgpr20_sgpr21
	s_branch .LBB81_116
.LBB81_119:
	s_set_inst_prefetch_distance 0x2
	s_or_b32 exec_lo, exec_lo, s19
	v_cmp_gt_i64_e32 vcc_lo, s[8:9], v[62:63]
	s_mov_b32 s14, 0
	s_delay_alu instid0(SALU_CYCLE_1)
	v_mov_b32_e32 v122, s14
	v_cndmask_b32_e64 v121, 0, 1, vcc_lo
.LBB81_120:
	s_or_b32 exec_lo, exec_lo, s3
.LBB81_121:
	v_mul_lo_u32 v58, v52, s8
	v_mul_lo_u32 v61, v51, s9
	v_mad_u64_u32 v[59:60], null, v51, s8, 0
	v_cmp_ne_u32_e32 vcc_lo, 1, v65
	s_delay_alu instid0(VALU_DEP_2)
	v_add3_u32 v64, v60, v61, v58
	s_cbranch_vccnz .LBB81_130
; %bb.122:
	v_add_co_u32 v57, vcc_lo, s10, v57
	v_add_co_ci_u32_e32 v58, vcc_lo, s11, v66, vcc_lo
	v_add_co_u32 v60, vcc_lo, s10, v59
	v_add_co_ci_u32_e32 v61, vcc_lo, s11, v64, vcc_lo
	v_mov_b32_e32 v123, 1
	s_clause 0x1
	global_load_u8 v62, v[57:58], off
	global_load_u8 v63, v[60:61], off
	v_mov_b32_e32 v124, 0
	s_mov_b32 s3, exec_lo
	s_waitcnt vmcnt(0)
	v_cmpx_eq_u16_e64 v62, v63
	s_cbranch_execz .LBB81_129
; %bb.123:
	s_mov_b64 s[14:15], 1
	s_mov_b32 s19, 0
                                        ; implicit-def: $sgpr22
	s_set_inst_prefetch_distance 0x1
	s_branch .LBB81_126
	.p2align	6
.LBB81_124:                             ;   in Loop: Header=BB81_126 Depth=1
	v_add_co_u32 v62, vcc_lo, v57, s14
	v_add_co_ci_u32_e32 v63, vcc_lo, s15, v58, vcc_lo
	v_add_co_u32 v66, vcc_lo, v60, s14
	v_add_co_ci_u32_e32 v67, vcc_lo, s15, v61, vcc_lo
	s_add_u32 s20, s14, 1
	s_clause 0x1
	global_load_u8 v62, v[62:63], off
	global_load_u8 v63, v[66:67], off
	s_addc_u32 s21, s15, 0
	s_and_not1_b32 s22, s22, exec_lo
	s_waitcnt vmcnt(0)
	v_cmp_ne_u16_e32 vcc_lo, v62, v63
	s_and_b32 s23, vcc_lo, exec_lo
	s_delay_alu instid0(SALU_CYCLE_1)
	s_or_b32 s22, s22, s23
.LBB81_125:                             ;   in Loop: Header=BB81_126 Depth=1
	v_dual_mov_b32 v63, s15 :: v_dual_mov_b32 v62, s14
	s_and_b32 s23, exec_lo, s22
	s_mov_b64 s[14:15], s[20:21]
	s_or_b32 s19, s23, s19
	s_delay_alu instid0(SALU_CYCLE_1)
	s_and_not1_b32 exec_lo, exec_lo, s19
	s_cbranch_execz .LBB81_128
.LBB81_126:                             ; =>This Inner Loop Header: Depth=1
	s_or_b32 s22, s22, exec_lo
	s_cmp_eq_u64 s[8:9], s[14:15]
	s_cbranch_scc0 .LBB81_124
; %bb.127:                              ;   in Loop: Header=BB81_126 Depth=1
	s_mov_b64 s[14:15], s[8:9]
                                        ; implicit-def: $sgpr20_sgpr21
	s_branch .LBB81_125
.LBB81_128:
	s_set_inst_prefetch_distance 0x2
	s_or_b32 exec_lo, exec_lo, s19
	v_cmp_gt_i64_e32 vcc_lo, s[8:9], v[62:63]
	s_mov_b32 s14, 0
	s_delay_alu instid0(SALU_CYCLE_1)
	v_mov_b32_e32 v124, s14
	v_cndmask_b32_e64 v123, 0, 1, vcc_lo
.LBB81_129:
	s_or_b32 exec_lo, exec_lo, s3
.LBB81_130:
	v_mul_lo_u32 v60, v50, s8
	v_mul_lo_u32 v61, v49, s9
	v_mad_u64_u32 v[57:58], null, v49, s8, 0
	v_mov_b32_e32 v127, 0
	v_mov_b32_e32 v128, 0
	v_cmp_ne_u32_e32 vcc_lo, 1, v65
	s_delay_alu instid0(VALU_DEP_2)
	v_dual_mov_b32 v125, v127 :: v_dual_mov_b32 v126, v128
	v_add3_u32 v66, v58, v61, v60
	s_cbranch_vccnz .LBB81_139
; %bb.131:
	v_add_co_u32 v58, vcc_lo, s10, v59
	v_add_co_ci_u32_e32 v59, vcc_lo, s11, v64, vcc_lo
	v_add_co_u32 v60, vcc_lo, s10, v57
	v_add_co_ci_u32_e32 v61, vcc_lo, s11, v66, vcc_lo
	v_mov_b32_e32 v125, 1
	s_clause 0x1
	global_load_u8 v62, v[58:59], off
	global_load_u8 v63, v[60:61], off
	v_mov_b32_e32 v126, 0
	s_mov_b32 s3, exec_lo
	s_waitcnt vmcnt(0)
	v_cmpx_eq_u16_e64 v62, v63
	s_cbranch_execz .LBB81_138
; %bb.132:
	s_mov_b64 s[14:15], 1
	s_mov_b32 s19, 0
                                        ; implicit-def: $sgpr22
	s_set_inst_prefetch_distance 0x1
	s_branch .LBB81_135
	.p2align	6
.LBB81_133:                             ;   in Loop: Header=BB81_135 Depth=1
	v_add_co_u32 v62, vcc_lo, v58, s14
	v_add_co_ci_u32_e32 v63, vcc_lo, s15, v59, vcc_lo
	v_add_co_u32 v67, vcc_lo, v60, s14
	v_add_co_ci_u32_e32 v68, vcc_lo, s15, v61, vcc_lo
	s_add_u32 s20, s14, 1
	s_clause 0x1
	global_load_u8 v62, v[62:63], off
	global_load_u8 v63, v[67:68], off
	s_addc_u32 s21, s15, 0
	s_and_not1_b32 s22, s22, exec_lo
	s_waitcnt vmcnt(0)
	v_cmp_ne_u16_e32 vcc_lo, v62, v63
	s_and_b32 s23, vcc_lo, exec_lo
	s_delay_alu instid0(SALU_CYCLE_1)
	s_or_b32 s22, s22, s23
.LBB81_134:                             ;   in Loop: Header=BB81_135 Depth=1
	v_dual_mov_b32 v63, s15 :: v_dual_mov_b32 v62, s14
	s_and_b32 s23, exec_lo, s22
	s_mov_b64 s[14:15], s[20:21]
	s_or_b32 s19, s23, s19
	s_delay_alu instid0(SALU_CYCLE_1)
	s_and_not1_b32 exec_lo, exec_lo, s19
	s_cbranch_execz .LBB81_137
.LBB81_135:                             ; =>This Inner Loop Header: Depth=1
	s_or_b32 s22, s22, exec_lo
	s_cmp_eq_u64 s[8:9], s[14:15]
	s_cbranch_scc0 .LBB81_133
; %bb.136:                              ;   in Loop: Header=BB81_135 Depth=1
	s_mov_b64 s[14:15], s[8:9]
                                        ; implicit-def: $sgpr20_sgpr21
	s_branch .LBB81_134
.LBB81_137:
	s_set_inst_prefetch_distance 0x2
	s_or_b32 exec_lo, exec_lo, s19
	v_cmp_gt_i64_e32 vcc_lo, s[8:9], v[62:63]
	s_mov_b32 s14, 0
	s_delay_alu instid0(SALU_CYCLE_1)
	v_mov_b32_e32 v126, s14
	v_cndmask_b32_e64 v125, 0, 1, vcc_lo
.LBB81_138:
	s_or_b32 exec_lo, exec_lo, s3
.LBB81_139:
	v_mul_lo_u32 v58, v48, s8
	v_mul_lo_u32 v61, v47, s9
	v_mad_u64_u32 v[59:60], null, v47, s8, 0
	v_cmp_ne_u32_e32 vcc_lo, 1, v65
	s_delay_alu instid0(VALU_DEP_2)
	v_add3_u32 v64, v60, v61, v58
	s_cbranch_vccnz .LBB81_148
; %bb.140:
	v_add_co_u32 v57, vcc_lo, s10, v57
	v_add_co_ci_u32_e32 v58, vcc_lo, s11, v66, vcc_lo
	v_add_co_u32 v60, vcc_lo, s10, v59
	v_add_co_ci_u32_e32 v61, vcc_lo, s11, v64, vcc_lo
	v_mov_b32_e32 v127, 1
	s_clause 0x1
	global_load_u8 v62, v[57:58], off
	global_load_u8 v63, v[60:61], off
	v_mov_b32_e32 v128, 0
	s_mov_b32 s3, exec_lo
	s_waitcnt vmcnt(0)
	v_cmpx_eq_u16_e64 v62, v63
	s_cbranch_execz .LBB81_147
; %bb.141:
	s_mov_b64 s[14:15], 1
	s_mov_b32 s19, 0
                                        ; implicit-def: $sgpr22
	s_set_inst_prefetch_distance 0x1
	s_branch .LBB81_144
	.p2align	6
.LBB81_142:                             ;   in Loop: Header=BB81_144 Depth=1
	v_add_co_u32 v62, vcc_lo, v57, s14
	v_add_co_ci_u32_e32 v63, vcc_lo, s15, v58, vcc_lo
	v_add_co_u32 v66, vcc_lo, v60, s14
	v_add_co_ci_u32_e32 v67, vcc_lo, s15, v61, vcc_lo
	s_add_u32 s20, s14, 1
	s_clause 0x1
	global_load_u8 v62, v[62:63], off
	global_load_u8 v63, v[66:67], off
	s_addc_u32 s21, s15, 0
	s_and_not1_b32 s22, s22, exec_lo
	s_waitcnt vmcnt(0)
	v_cmp_ne_u16_e32 vcc_lo, v62, v63
	s_and_b32 s23, vcc_lo, exec_lo
	s_delay_alu instid0(SALU_CYCLE_1)
	s_or_b32 s22, s22, s23
.LBB81_143:                             ;   in Loop: Header=BB81_144 Depth=1
	v_dual_mov_b32 v63, s15 :: v_dual_mov_b32 v62, s14
	s_and_b32 s23, exec_lo, s22
	s_mov_b64 s[14:15], s[20:21]
	s_or_b32 s19, s23, s19
	s_delay_alu instid0(SALU_CYCLE_1)
	s_and_not1_b32 exec_lo, exec_lo, s19
	s_cbranch_execz .LBB81_146
.LBB81_144:                             ; =>This Inner Loop Header: Depth=1
	s_or_b32 s22, s22, exec_lo
	s_cmp_eq_u64 s[8:9], s[14:15]
	s_cbranch_scc0 .LBB81_142
; %bb.145:                              ;   in Loop: Header=BB81_144 Depth=1
	s_mov_b64 s[14:15], s[8:9]
                                        ; implicit-def: $sgpr20_sgpr21
	s_branch .LBB81_143
.LBB81_146:
	s_set_inst_prefetch_distance 0x2
	s_or_b32 exec_lo, exec_lo, s19
	v_cmp_gt_i64_e32 vcc_lo, s[8:9], v[62:63]
	s_mov_b32 s14, 0
	s_delay_alu instid0(SALU_CYCLE_1)
	v_mov_b32_e32 v128, s14
	v_cndmask_b32_e64 v127, 0, 1, vcc_lo
.LBB81_147:
	s_or_b32 exec_lo, exec_lo, s3
.LBB81_148:
	v_mul_lo_u32 v60, v46, s8
	v_mul_lo_u32 v61, v45, s9
	v_mad_u64_u32 v[57:58], null, v45, s8, 0
	v_mov_b32_e32 v131, 0
	v_mov_b32_e32 v132, 0
	v_cmp_ne_u32_e32 vcc_lo, 1, v65
	s_delay_alu instid0(VALU_DEP_2)
	v_dual_mov_b32 v129, v131 :: v_dual_mov_b32 v130, v132
	v_add3_u32 v66, v58, v61, v60
	s_cbranch_vccnz .LBB81_157
; %bb.149:
	v_add_co_u32 v58, vcc_lo, s10, v59
	v_add_co_ci_u32_e32 v59, vcc_lo, s11, v64, vcc_lo
	v_add_co_u32 v60, vcc_lo, s10, v57
	v_add_co_ci_u32_e32 v61, vcc_lo, s11, v66, vcc_lo
	v_mov_b32_e32 v129, 1
	s_clause 0x1
	global_load_u8 v62, v[58:59], off
	global_load_u8 v63, v[60:61], off
	v_mov_b32_e32 v130, 0
	s_mov_b32 s3, exec_lo
	s_waitcnt vmcnt(0)
	v_cmpx_eq_u16_e64 v62, v63
	s_cbranch_execz .LBB81_156
; %bb.150:
	s_mov_b64 s[14:15], 1
	s_mov_b32 s19, 0
                                        ; implicit-def: $sgpr22
	s_set_inst_prefetch_distance 0x1
	s_branch .LBB81_153
	.p2align	6
.LBB81_151:                             ;   in Loop: Header=BB81_153 Depth=1
	v_add_co_u32 v62, vcc_lo, v58, s14
	v_add_co_ci_u32_e32 v63, vcc_lo, s15, v59, vcc_lo
	v_add_co_u32 v67, vcc_lo, v60, s14
	v_add_co_ci_u32_e32 v68, vcc_lo, s15, v61, vcc_lo
	s_add_u32 s20, s14, 1
	s_clause 0x1
	global_load_u8 v62, v[62:63], off
	global_load_u8 v63, v[67:68], off
	s_addc_u32 s21, s15, 0
	s_and_not1_b32 s22, s22, exec_lo
	s_waitcnt vmcnt(0)
	v_cmp_ne_u16_e32 vcc_lo, v62, v63
	s_and_b32 s23, vcc_lo, exec_lo
	s_delay_alu instid0(SALU_CYCLE_1)
	s_or_b32 s22, s22, s23
.LBB81_152:                             ;   in Loop: Header=BB81_153 Depth=1
	v_dual_mov_b32 v63, s15 :: v_dual_mov_b32 v62, s14
	s_and_b32 s23, exec_lo, s22
	s_mov_b64 s[14:15], s[20:21]
	s_or_b32 s19, s23, s19
	s_delay_alu instid0(SALU_CYCLE_1)
	s_and_not1_b32 exec_lo, exec_lo, s19
	s_cbranch_execz .LBB81_155
.LBB81_153:                             ; =>This Inner Loop Header: Depth=1
	s_or_b32 s22, s22, exec_lo
	s_cmp_eq_u64 s[8:9], s[14:15]
	s_cbranch_scc0 .LBB81_151
; %bb.154:                              ;   in Loop: Header=BB81_153 Depth=1
	s_mov_b64 s[14:15], s[8:9]
                                        ; implicit-def: $sgpr20_sgpr21
	s_branch .LBB81_152
.LBB81_155:
	s_set_inst_prefetch_distance 0x2
	s_or_b32 exec_lo, exec_lo, s19
	v_cmp_gt_i64_e32 vcc_lo, s[8:9], v[62:63]
	s_mov_b32 s14, 0
	s_delay_alu instid0(SALU_CYCLE_1)
	v_mov_b32_e32 v130, s14
	v_cndmask_b32_e64 v129, 0, 1, vcc_lo
.LBB81_156:
	s_or_b32 exec_lo, exec_lo, s3
.LBB81_157:
	v_mul_lo_u32 v58, v44, s8
	v_mul_lo_u32 v61, v43, s9
	v_mad_u64_u32 v[59:60], null, v43, s8, 0
	v_cmp_ne_u32_e32 vcc_lo, 1, v65
	s_delay_alu instid0(VALU_DEP_2)
	v_add3_u32 v64, v60, v61, v58
	s_cbranch_vccnz .LBB81_166
; %bb.158:
	v_add_co_u32 v57, vcc_lo, s10, v57
	v_add_co_ci_u32_e32 v58, vcc_lo, s11, v66, vcc_lo
	v_add_co_u32 v60, vcc_lo, s10, v59
	v_add_co_ci_u32_e32 v61, vcc_lo, s11, v64, vcc_lo
	v_mov_b32_e32 v131, 1
	s_clause 0x1
	global_load_u8 v62, v[57:58], off
	global_load_u8 v63, v[60:61], off
	v_mov_b32_e32 v132, 0
	s_mov_b32 s3, exec_lo
	s_waitcnt vmcnt(0)
	v_cmpx_eq_u16_e64 v62, v63
	s_cbranch_execz .LBB81_165
; %bb.159:
	s_mov_b64 s[14:15], 1
	s_mov_b32 s19, 0
                                        ; implicit-def: $sgpr22
	s_set_inst_prefetch_distance 0x1
	s_branch .LBB81_162
	.p2align	6
.LBB81_160:                             ;   in Loop: Header=BB81_162 Depth=1
	v_add_co_u32 v62, vcc_lo, v57, s14
	v_add_co_ci_u32_e32 v63, vcc_lo, s15, v58, vcc_lo
	v_add_co_u32 v66, vcc_lo, v60, s14
	v_add_co_ci_u32_e32 v67, vcc_lo, s15, v61, vcc_lo
	s_add_u32 s20, s14, 1
	s_clause 0x1
	global_load_u8 v62, v[62:63], off
	global_load_u8 v63, v[66:67], off
	s_addc_u32 s21, s15, 0
	s_and_not1_b32 s22, s22, exec_lo
	s_waitcnt vmcnt(0)
	v_cmp_ne_u16_e32 vcc_lo, v62, v63
	s_and_b32 s23, vcc_lo, exec_lo
	s_delay_alu instid0(SALU_CYCLE_1)
	s_or_b32 s22, s22, s23
.LBB81_161:                             ;   in Loop: Header=BB81_162 Depth=1
	v_dual_mov_b32 v63, s15 :: v_dual_mov_b32 v62, s14
	s_and_b32 s23, exec_lo, s22
	s_mov_b64 s[14:15], s[20:21]
	s_or_b32 s19, s23, s19
	s_delay_alu instid0(SALU_CYCLE_1)
	s_and_not1_b32 exec_lo, exec_lo, s19
	s_cbranch_execz .LBB81_164
.LBB81_162:                             ; =>This Inner Loop Header: Depth=1
	s_or_b32 s22, s22, exec_lo
	s_cmp_eq_u64 s[8:9], s[14:15]
	s_cbranch_scc0 .LBB81_160
; %bb.163:                              ;   in Loop: Header=BB81_162 Depth=1
	s_mov_b64 s[14:15], s[8:9]
                                        ; implicit-def: $sgpr20_sgpr21
	s_branch .LBB81_161
.LBB81_164:
	s_set_inst_prefetch_distance 0x2
	s_or_b32 exec_lo, exec_lo, s19
	v_cmp_gt_i64_e32 vcc_lo, s[8:9], v[62:63]
	s_mov_b32 s14, 0
	s_delay_alu instid0(SALU_CYCLE_1)
	v_mov_b32_e32 v132, s14
	v_cndmask_b32_e64 v131, 0, 1, vcc_lo
.LBB81_165:
	s_or_b32 exec_lo, exec_lo, s3
.LBB81_166:
	v_mul_lo_u32 v60, v42, s8
	v_mul_lo_u32 v61, v41, s9
	v_mad_u64_u32 v[57:58], null, v41, s8, 0
	v_mov_b32_e32 v135, 0
	v_mov_b32_e32 v136, 0
	v_cmp_ne_u32_e32 vcc_lo, 1, v65
	s_delay_alu instid0(VALU_DEP_2)
	v_dual_mov_b32 v133, v135 :: v_dual_mov_b32 v134, v136
	v_add3_u32 v66, v58, v61, v60
	s_cbranch_vccnz .LBB81_175
; %bb.167:
	v_add_co_u32 v58, vcc_lo, s10, v59
	v_add_co_ci_u32_e32 v59, vcc_lo, s11, v64, vcc_lo
	v_add_co_u32 v60, vcc_lo, s10, v57
	v_add_co_ci_u32_e32 v61, vcc_lo, s11, v66, vcc_lo
	v_mov_b32_e32 v133, 1
	s_clause 0x1
	global_load_u8 v62, v[58:59], off
	global_load_u8 v63, v[60:61], off
	v_mov_b32_e32 v134, 0
	s_mov_b32 s3, exec_lo
	s_waitcnt vmcnt(0)
	v_cmpx_eq_u16_e64 v62, v63
	s_cbranch_execz .LBB81_174
; %bb.168:
	s_mov_b64 s[14:15], 1
	s_mov_b32 s19, 0
                                        ; implicit-def: $sgpr22
	s_set_inst_prefetch_distance 0x1
	s_branch .LBB81_171
	.p2align	6
.LBB81_169:                             ;   in Loop: Header=BB81_171 Depth=1
	v_add_co_u32 v62, vcc_lo, v58, s14
	v_add_co_ci_u32_e32 v63, vcc_lo, s15, v59, vcc_lo
	v_add_co_u32 v67, vcc_lo, v60, s14
	v_add_co_ci_u32_e32 v68, vcc_lo, s15, v61, vcc_lo
	s_add_u32 s20, s14, 1
	s_clause 0x1
	global_load_u8 v62, v[62:63], off
	global_load_u8 v63, v[67:68], off
	s_addc_u32 s21, s15, 0
	s_and_not1_b32 s22, s22, exec_lo
	s_waitcnt vmcnt(0)
	v_cmp_ne_u16_e32 vcc_lo, v62, v63
	s_and_b32 s23, vcc_lo, exec_lo
	s_delay_alu instid0(SALU_CYCLE_1)
	s_or_b32 s22, s22, s23
.LBB81_170:                             ;   in Loop: Header=BB81_171 Depth=1
	v_dual_mov_b32 v63, s15 :: v_dual_mov_b32 v62, s14
	s_and_b32 s23, exec_lo, s22
	s_mov_b64 s[14:15], s[20:21]
	s_or_b32 s19, s23, s19
	s_delay_alu instid0(SALU_CYCLE_1)
	s_and_not1_b32 exec_lo, exec_lo, s19
	s_cbranch_execz .LBB81_173
.LBB81_171:                             ; =>This Inner Loop Header: Depth=1
	s_or_b32 s22, s22, exec_lo
	s_cmp_eq_u64 s[8:9], s[14:15]
	s_cbranch_scc0 .LBB81_169
; %bb.172:                              ;   in Loop: Header=BB81_171 Depth=1
	s_mov_b64 s[14:15], s[8:9]
                                        ; implicit-def: $sgpr20_sgpr21
	s_branch .LBB81_170
.LBB81_173:
	s_set_inst_prefetch_distance 0x2
	s_or_b32 exec_lo, exec_lo, s19
	v_cmp_gt_i64_e32 vcc_lo, s[8:9], v[62:63]
	s_mov_b32 s14, 0
	s_delay_alu instid0(SALU_CYCLE_1)
	v_mov_b32_e32 v134, s14
	v_cndmask_b32_e64 v133, 0, 1, vcc_lo
.LBB81_174:
	s_or_b32 exec_lo, exec_lo, s3
.LBB81_175:
	v_mul_lo_u32 v58, v40, s8
	v_mul_lo_u32 v61, v39, s9
	v_mad_u64_u32 v[59:60], null, v39, s8, 0
	v_cmp_ne_u32_e32 vcc_lo, 1, v65
	s_delay_alu instid0(VALU_DEP_2)
	v_add3_u32 v64, v60, v61, v58
	s_cbranch_vccnz .LBB81_184
; %bb.176:
	v_add_co_u32 v57, vcc_lo, s10, v57
	v_add_co_ci_u32_e32 v58, vcc_lo, s11, v66, vcc_lo
	v_add_co_u32 v60, vcc_lo, s10, v59
	v_add_co_ci_u32_e32 v61, vcc_lo, s11, v64, vcc_lo
	v_mov_b32_e32 v135, 1
	s_clause 0x1
	global_load_u8 v62, v[57:58], off
	global_load_u8 v63, v[60:61], off
	v_mov_b32_e32 v136, 0
	s_mov_b32 s3, exec_lo
	s_waitcnt vmcnt(0)
	v_cmpx_eq_u16_e64 v62, v63
	s_cbranch_execz .LBB81_183
; %bb.177:
	s_mov_b64 s[14:15], 1
	s_mov_b32 s19, 0
                                        ; implicit-def: $sgpr22
	s_set_inst_prefetch_distance 0x1
	s_branch .LBB81_180
	.p2align	6
.LBB81_178:                             ;   in Loop: Header=BB81_180 Depth=1
	v_add_co_u32 v62, vcc_lo, v57, s14
	v_add_co_ci_u32_e32 v63, vcc_lo, s15, v58, vcc_lo
	v_add_co_u32 v66, vcc_lo, v60, s14
	v_add_co_ci_u32_e32 v67, vcc_lo, s15, v61, vcc_lo
	s_add_u32 s20, s14, 1
	s_clause 0x1
	global_load_u8 v62, v[62:63], off
	global_load_u8 v63, v[66:67], off
	s_addc_u32 s21, s15, 0
	s_and_not1_b32 s22, s22, exec_lo
	s_waitcnt vmcnt(0)
	v_cmp_ne_u16_e32 vcc_lo, v62, v63
	s_and_b32 s23, vcc_lo, exec_lo
	s_delay_alu instid0(SALU_CYCLE_1)
	s_or_b32 s22, s22, s23
.LBB81_179:                             ;   in Loop: Header=BB81_180 Depth=1
	v_dual_mov_b32 v63, s15 :: v_dual_mov_b32 v62, s14
	s_and_b32 s23, exec_lo, s22
	s_mov_b64 s[14:15], s[20:21]
	s_or_b32 s19, s23, s19
	s_delay_alu instid0(SALU_CYCLE_1)
	s_and_not1_b32 exec_lo, exec_lo, s19
	s_cbranch_execz .LBB81_182
.LBB81_180:                             ; =>This Inner Loop Header: Depth=1
	s_or_b32 s22, s22, exec_lo
	s_cmp_eq_u64 s[8:9], s[14:15]
	s_cbranch_scc0 .LBB81_178
; %bb.181:                              ;   in Loop: Header=BB81_180 Depth=1
	s_mov_b64 s[14:15], s[8:9]
                                        ; implicit-def: $sgpr20_sgpr21
	s_branch .LBB81_179
.LBB81_182:
	s_set_inst_prefetch_distance 0x2
	s_or_b32 exec_lo, exec_lo, s19
	v_cmp_gt_i64_e32 vcc_lo, s[8:9], v[62:63]
	s_mov_b32 s14, 0
	s_delay_alu instid0(SALU_CYCLE_1)
	v_mov_b32_e32 v136, s14
	v_cndmask_b32_e64 v135, 0, 1, vcc_lo
.LBB81_183:
	s_or_b32 exec_lo, exec_lo, s3
.LBB81_184:
	v_mul_lo_u32 v60, v38, s8
	v_mul_lo_u32 v61, v37, s9
	v_mad_u64_u32 v[57:58], null, v37, s8, 0
	v_mov_b32_e32 v139, 0
	v_mov_b32_e32 v140, 0
	v_cmp_ne_u32_e32 vcc_lo, 1, v65
	s_delay_alu instid0(VALU_DEP_2)
	v_dual_mov_b32 v137, v139 :: v_dual_mov_b32 v138, v140
	v_add3_u32 v66, v58, v61, v60
	s_cbranch_vccnz .LBB81_193
; %bb.185:
	v_add_co_u32 v58, vcc_lo, s10, v59
	v_add_co_ci_u32_e32 v59, vcc_lo, s11, v64, vcc_lo
	v_add_co_u32 v60, vcc_lo, s10, v57
	v_add_co_ci_u32_e32 v61, vcc_lo, s11, v66, vcc_lo
	v_mov_b32_e32 v137, 1
	s_clause 0x1
	global_load_u8 v62, v[58:59], off
	global_load_u8 v63, v[60:61], off
	v_mov_b32_e32 v138, 0
	s_mov_b32 s3, exec_lo
	s_waitcnt vmcnt(0)
	v_cmpx_eq_u16_e64 v62, v63
	s_cbranch_execz .LBB81_192
; %bb.186:
	s_mov_b64 s[14:15], 1
	s_mov_b32 s19, 0
                                        ; implicit-def: $sgpr22
	s_set_inst_prefetch_distance 0x1
	s_branch .LBB81_189
	.p2align	6
.LBB81_187:                             ;   in Loop: Header=BB81_189 Depth=1
	v_add_co_u32 v62, vcc_lo, v58, s14
	v_add_co_ci_u32_e32 v63, vcc_lo, s15, v59, vcc_lo
	v_add_co_u32 v67, vcc_lo, v60, s14
	v_add_co_ci_u32_e32 v68, vcc_lo, s15, v61, vcc_lo
	s_add_u32 s20, s14, 1
	s_clause 0x1
	global_load_u8 v62, v[62:63], off
	global_load_u8 v63, v[67:68], off
	s_addc_u32 s21, s15, 0
	s_and_not1_b32 s22, s22, exec_lo
	s_waitcnt vmcnt(0)
	v_cmp_ne_u16_e32 vcc_lo, v62, v63
	s_and_b32 s23, vcc_lo, exec_lo
	s_delay_alu instid0(SALU_CYCLE_1)
	s_or_b32 s22, s22, s23
.LBB81_188:                             ;   in Loop: Header=BB81_189 Depth=1
	v_dual_mov_b32 v63, s15 :: v_dual_mov_b32 v62, s14
	s_and_b32 s23, exec_lo, s22
	s_mov_b64 s[14:15], s[20:21]
	s_or_b32 s19, s23, s19
	s_delay_alu instid0(SALU_CYCLE_1)
	s_and_not1_b32 exec_lo, exec_lo, s19
	s_cbranch_execz .LBB81_191
.LBB81_189:                             ; =>This Inner Loop Header: Depth=1
	s_or_b32 s22, s22, exec_lo
	s_cmp_eq_u64 s[8:9], s[14:15]
	s_cbranch_scc0 .LBB81_187
; %bb.190:                              ;   in Loop: Header=BB81_189 Depth=1
	s_mov_b64 s[14:15], s[8:9]
                                        ; implicit-def: $sgpr20_sgpr21
	s_branch .LBB81_188
.LBB81_191:
	s_set_inst_prefetch_distance 0x2
	s_or_b32 exec_lo, exec_lo, s19
	v_cmp_gt_i64_e32 vcc_lo, s[8:9], v[62:63]
	s_mov_b32 s14, 0
	s_delay_alu instid0(SALU_CYCLE_1)
	v_mov_b32_e32 v138, s14
	v_cndmask_b32_e64 v137, 0, 1, vcc_lo
.LBB81_192:
	s_or_b32 exec_lo, exec_lo, s3
.LBB81_193:
	v_mul_lo_u32 v58, v36, s8
	v_mul_lo_u32 v61, v35, s9
	v_mad_u64_u32 v[59:60], null, v35, s8, 0
	v_cmp_ne_u32_e32 vcc_lo, 1, v65
	s_delay_alu instid0(VALU_DEP_2)
	v_add3_u32 v64, v60, v61, v58
	s_cbranch_vccnz .LBB81_202
; %bb.194:
	v_add_co_u32 v57, vcc_lo, s10, v57
	v_add_co_ci_u32_e32 v58, vcc_lo, s11, v66, vcc_lo
	v_add_co_u32 v60, vcc_lo, s10, v59
	v_add_co_ci_u32_e32 v61, vcc_lo, s11, v64, vcc_lo
	v_mov_b32_e32 v139, 1
	s_clause 0x1
	global_load_u8 v62, v[57:58], off
	global_load_u8 v63, v[60:61], off
	v_mov_b32_e32 v140, 0
	s_mov_b32 s3, exec_lo
	s_waitcnt vmcnt(0)
	v_cmpx_eq_u16_e64 v62, v63
	s_cbranch_execz .LBB81_201
; %bb.195:
	s_mov_b64 s[14:15], 1
	s_mov_b32 s19, 0
                                        ; implicit-def: $sgpr22
	s_set_inst_prefetch_distance 0x1
	s_branch .LBB81_198
	.p2align	6
.LBB81_196:                             ;   in Loop: Header=BB81_198 Depth=1
	v_add_co_u32 v62, vcc_lo, v57, s14
	v_add_co_ci_u32_e32 v63, vcc_lo, s15, v58, vcc_lo
	v_add_co_u32 v66, vcc_lo, v60, s14
	v_add_co_ci_u32_e32 v67, vcc_lo, s15, v61, vcc_lo
	s_add_u32 s20, s14, 1
	s_clause 0x1
	global_load_u8 v62, v[62:63], off
	global_load_u8 v63, v[66:67], off
	s_addc_u32 s21, s15, 0
	s_and_not1_b32 s22, s22, exec_lo
	s_waitcnt vmcnt(0)
	v_cmp_ne_u16_e32 vcc_lo, v62, v63
	s_and_b32 s23, vcc_lo, exec_lo
	s_delay_alu instid0(SALU_CYCLE_1)
	s_or_b32 s22, s22, s23
.LBB81_197:                             ;   in Loop: Header=BB81_198 Depth=1
	v_dual_mov_b32 v63, s15 :: v_dual_mov_b32 v62, s14
	s_and_b32 s23, exec_lo, s22
	s_mov_b64 s[14:15], s[20:21]
	s_or_b32 s19, s23, s19
	s_delay_alu instid0(SALU_CYCLE_1)
	s_and_not1_b32 exec_lo, exec_lo, s19
	s_cbranch_execz .LBB81_200
.LBB81_198:                             ; =>This Inner Loop Header: Depth=1
	s_or_b32 s22, s22, exec_lo
	s_cmp_eq_u64 s[8:9], s[14:15]
	s_cbranch_scc0 .LBB81_196
; %bb.199:                              ;   in Loop: Header=BB81_198 Depth=1
	s_mov_b64 s[14:15], s[8:9]
                                        ; implicit-def: $sgpr20_sgpr21
	s_branch .LBB81_197
.LBB81_200:
	s_set_inst_prefetch_distance 0x2
	s_or_b32 exec_lo, exec_lo, s19
	v_cmp_gt_i64_e32 vcc_lo, s[8:9], v[62:63]
	s_mov_b32 s14, 0
	s_delay_alu instid0(SALU_CYCLE_1)
	v_mov_b32_e32 v140, s14
	v_cndmask_b32_e64 v139, 0, 1, vcc_lo
.LBB81_201:
	s_or_b32 exec_lo, exec_lo, s3
.LBB81_202:
	v_mul_lo_u32 v60, v34, s8
	v_mul_lo_u32 v61, v33, s9
	v_mad_u64_u32 v[57:58], null, v33, s8, 0
	v_mov_b32_e32 v143, 0
	v_mov_b32_e32 v144, 0
	v_cmp_ne_u32_e32 vcc_lo, 1, v65
	s_delay_alu instid0(VALU_DEP_2)
	v_dual_mov_b32 v141, v143 :: v_dual_mov_b32 v142, v144
	v_add3_u32 v66, v58, v61, v60
	s_cbranch_vccnz .LBB81_211
; %bb.203:
	v_add_co_u32 v58, vcc_lo, s10, v59
	v_add_co_ci_u32_e32 v59, vcc_lo, s11, v64, vcc_lo
	v_add_co_u32 v60, vcc_lo, s10, v57
	v_add_co_ci_u32_e32 v61, vcc_lo, s11, v66, vcc_lo
	v_mov_b32_e32 v141, 1
	s_clause 0x1
	global_load_u8 v62, v[58:59], off
	global_load_u8 v63, v[60:61], off
	v_mov_b32_e32 v142, 0
	s_mov_b32 s3, exec_lo
	s_waitcnt vmcnt(0)
	v_cmpx_eq_u16_e64 v62, v63
	s_cbranch_execz .LBB81_210
; %bb.204:
	s_mov_b64 s[14:15], 1
	s_mov_b32 s19, 0
                                        ; implicit-def: $sgpr22
	s_set_inst_prefetch_distance 0x1
	s_branch .LBB81_207
	.p2align	6
.LBB81_205:                             ;   in Loop: Header=BB81_207 Depth=1
	v_add_co_u32 v62, vcc_lo, v58, s14
	v_add_co_ci_u32_e32 v63, vcc_lo, s15, v59, vcc_lo
	v_add_co_u32 v67, vcc_lo, v60, s14
	v_add_co_ci_u32_e32 v68, vcc_lo, s15, v61, vcc_lo
	s_add_u32 s20, s14, 1
	s_clause 0x1
	global_load_u8 v62, v[62:63], off
	global_load_u8 v63, v[67:68], off
	s_addc_u32 s21, s15, 0
	s_and_not1_b32 s22, s22, exec_lo
	s_waitcnt vmcnt(0)
	v_cmp_ne_u16_e32 vcc_lo, v62, v63
	s_and_b32 s23, vcc_lo, exec_lo
	s_delay_alu instid0(SALU_CYCLE_1)
	s_or_b32 s22, s22, s23
.LBB81_206:                             ;   in Loop: Header=BB81_207 Depth=1
	v_dual_mov_b32 v63, s15 :: v_dual_mov_b32 v62, s14
	s_and_b32 s23, exec_lo, s22
	s_mov_b64 s[14:15], s[20:21]
	s_or_b32 s19, s23, s19
	s_delay_alu instid0(SALU_CYCLE_1)
	s_and_not1_b32 exec_lo, exec_lo, s19
	s_cbranch_execz .LBB81_209
.LBB81_207:                             ; =>This Inner Loop Header: Depth=1
	s_or_b32 s22, s22, exec_lo
	s_cmp_eq_u64 s[8:9], s[14:15]
	s_cbranch_scc0 .LBB81_205
; %bb.208:                              ;   in Loop: Header=BB81_207 Depth=1
	s_mov_b64 s[14:15], s[8:9]
                                        ; implicit-def: $sgpr20_sgpr21
	s_branch .LBB81_206
.LBB81_209:
	s_set_inst_prefetch_distance 0x2
	s_or_b32 exec_lo, exec_lo, s19
	v_cmp_gt_i64_e32 vcc_lo, s[8:9], v[62:63]
	s_mov_b32 s14, 0
	s_delay_alu instid0(SALU_CYCLE_1)
	v_mov_b32_e32 v142, s14
	v_cndmask_b32_e64 v141, 0, 1, vcc_lo
.LBB81_210:
	s_or_b32 exec_lo, exec_lo, s3
.LBB81_211:
	v_mul_lo_u32 v58, v32, s8
	v_mul_lo_u32 v61, v31, s9
	v_mad_u64_u32 v[59:60], null, v31, s8, 0
	v_cmp_ne_u32_e32 vcc_lo, 1, v65
	s_delay_alu instid0(VALU_DEP_2)
	v_add3_u32 v64, v60, v61, v58
	s_cbranch_vccnz .LBB81_220
; %bb.212:
	v_add_co_u32 v57, vcc_lo, s10, v57
	v_add_co_ci_u32_e32 v58, vcc_lo, s11, v66, vcc_lo
	v_add_co_u32 v60, vcc_lo, s10, v59
	v_add_co_ci_u32_e32 v61, vcc_lo, s11, v64, vcc_lo
	v_mov_b32_e32 v143, 1
	s_clause 0x1
	global_load_u8 v62, v[57:58], off
	global_load_u8 v63, v[60:61], off
	v_mov_b32_e32 v144, 0
	s_mov_b32 s3, exec_lo
	s_waitcnt vmcnt(0)
	v_cmpx_eq_u16_e64 v62, v63
	s_cbranch_execz .LBB81_219
; %bb.213:
	s_mov_b64 s[14:15], 1
	s_mov_b32 s19, 0
                                        ; implicit-def: $sgpr22
	s_set_inst_prefetch_distance 0x1
	s_branch .LBB81_216
	.p2align	6
.LBB81_214:                             ;   in Loop: Header=BB81_216 Depth=1
	v_add_co_u32 v62, vcc_lo, v57, s14
	v_add_co_ci_u32_e32 v63, vcc_lo, s15, v58, vcc_lo
	v_add_co_u32 v66, vcc_lo, v60, s14
	v_add_co_ci_u32_e32 v67, vcc_lo, s15, v61, vcc_lo
	s_add_u32 s20, s14, 1
	s_clause 0x1
	global_load_u8 v62, v[62:63], off
	global_load_u8 v63, v[66:67], off
	s_addc_u32 s21, s15, 0
	s_and_not1_b32 s22, s22, exec_lo
	s_waitcnt vmcnt(0)
	v_cmp_ne_u16_e32 vcc_lo, v62, v63
	s_and_b32 s23, vcc_lo, exec_lo
	s_delay_alu instid0(SALU_CYCLE_1)
	s_or_b32 s22, s22, s23
.LBB81_215:                             ;   in Loop: Header=BB81_216 Depth=1
	v_dual_mov_b32 v63, s15 :: v_dual_mov_b32 v62, s14
	s_and_b32 s23, exec_lo, s22
	s_mov_b64 s[14:15], s[20:21]
	s_or_b32 s19, s23, s19
	s_delay_alu instid0(SALU_CYCLE_1)
	s_and_not1_b32 exec_lo, exec_lo, s19
	s_cbranch_execz .LBB81_218
.LBB81_216:                             ; =>This Inner Loop Header: Depth=1
	s_or_b32 s22, s22, exec_lo
	s_cmp_eq_u64 s[8:9], s[14:15]
	s_cbranch_scc0 .LBB81_214
; %bb.217:                              ;   in Loop: Header=BB81_216 Depth=1
	s_mov_b64 s[14:15], s[8:9]
                                        ; implicit-def: $sgpr20_sgpr21
	s_branch .LBB81_215
.LBB81_218:
	s_set_inst_prefetch_distance 0x2
	s_or_b32 exec_lo, exec_lo, s19
	v_cmp_gt_i64_e32 vcc_lo, s[8:9], v[62:63]
	s_mov_b32 s14, 0
	s_delay_alu instid0(SALU_CYCLE_1)
	v_mov_b32_e32 v144, s14
	v_cndmask_b32_e64 v143, 0, 1, vcc_lo
.LBB81_219:
	s_or_b32 exec_lo, exec_lo, s3
.LBB81_220:
	v_mul_lo_u32 v60, v30, s8
	v_mul_lo_u32 v61, v29, s9
	v_mad_u64_u32 v[57:58], null, v29, s8, 0
	v_mov_b32_e32 v147, 0
	v_mov_b32_e32 v148, 0
	v_cmp_ne_u32_e32 vcc_lo, 1, v65
	s_delay_alu instid0(VALU_DEP_2)
	v_dual_mov_b32 v145, v147 :: v_dual_mov_b32 v146, v148
	v_add3_u32 v66, v58, v61, v60
	s_cbranch_vccnz .LBB81_229
; %bb.221:
	v_add_co_u32 v58, vcc_lo, s10, v59
	v_add_co_ci_u32_e32 v59, vcc_lo, s11, v64, vcc_lo
	v_add_co_u32 v60, vcc_lo, s10, v57
	v_add_co_ci_u32_e32 v61, vcc_lo, s11, v66, vcc_lo
	v_mov_b32_e32 v145, 1
	s_clause 0x1
	global_load_u8 v62, v[58:59], off
	global_load_u8 v63, v[60:61], off
	v_mov_b32_e32 v146, 0
	s_mov_b32 s3, exec_lo
	s_waitcnt vmcnt(0)
	v_cmpx_eq_u16_e64 v62, v63
	s_cbranch_execz .LBB81_228
; %bb.222:
	s_mov_b64 s[14:15], 1
	s_mov_b32 s19, 0
                                        ; implicit-def: $sgpr22
	s_set_inst_prefetch_distance 0x1
	s_branch .LBB81_225
	.p2align	6
.LBB81_223:                             ;   in Loop: Header=BB81_225 Depth=1
	v_add_co_u32 v62, vcc_lo, v58, s14
	v_add_co_ci_u32_e32 v63, vcc_lo, s15, v59, vcc_lo
	v_add_co_u32 v67, vcc_lo, v60, s14
	v_add_co_ci_u32_e32 v68, vcc_lo, s15, v61, vcc_lo
	s_add_u32 s20, s14, 1
	s_clause 0x1
	global_load_u8 v62, v[62:63], off
	global_load_u8 v63, v[67:68], off
	s_addc_u32 s21, s15, 0
	s_and_not1_b32 s22, s22, exec_lo
	s_waitcnt vmcnt(0)
	v_cmp_ne_u16_e32 vcc_lo, v62, v63
	s_and_b32 s23, vcc_lo, exec_lo
	s_delay_alu instid0(SALU_CYCLE_1)
	s_or_b32 s22, s22, s23
.LBB81_224:                             ;   in Loop: Header=BB81_225 Depth=1
	v_dual_mov_b32 v63, s15 :: v_dual_mov_b32 v62, s14
	s_and_b32 s23, exec_lo, s22
	s_mov_b64 s[14:15], s[20:21]
	s_or_b32 s19, s23, s19
	s_delay_alu instid0(SALU_CYCLE_1)
	s_and_not1_b32 exec_lo, exec_lo, s19
	s_cbranch_execz .LBB81_227
.LBB81_225:                             ; =>This Inner Loop Header: Depth=1
	s_or_b32 s22, s22, exec_lo
	s_cmp_eq_u64 s[8:9], s[14:15]
	s_cbranch_scc0 .LBB81_223
; %bb.226:                              ;   in Loop: Header=BB81_225 Depth=1
	s_mov_b64 s[14:15], s[8:9]
                                        ; implicit-def: $sgpr20_sgpr21
	s_branch .LBB81_224
.LBB81_227:
	s_set_inst_prefetch_distance 0x2
	s_or_b32 exec_lo, exec_lo, s19
	v_cmp_gt_i64_e32 vcc_lo, s[8:9], v[62:63]
	s_mov_b32 s14, 0
	s_delay_alu instid0(SALU_CYCLE_1)
	v_mov_b32_e32 v146, s14
	v_cndmask_b32_e64 v145, 0, 1, vcc_lo
.LBB81_228:
	s_or_b32 exec_lo, exec_lo, s3
.LBB81_229:
	v_mul_lo_u32 v58, v28, s8
	v_mul_lo_u32 v61, v27, s9
	v_mad_u64_u32 v[59:60], null, v27, s8, 0
	v_cmp_ne_u32_e32 vcc_lo, 1, v65
	s_delay_alu instid0(VALU_DEP_2)
	v_add3_u32 v64, v60, v61, v58
	s_cbranch_vccnz .LBB81_238
; %bb.230:
	v_add_co_u32 v57, vcc_lo, s10, v57
	v_add_co_ci_u32_e32 v58, vcc_lo, s11, v66, vcc_lo
	v_add_co_u32 v60, vcc_lo, s10, v59
	v_add_co_ci_u32_e32 v61, vcc_lo, s11, v64, vcc_lo
	v_mov_b32_e32 v147, 1
	s_clause 0x1
	global_load_u8 v62, v[57:58], off
	global_load_u8 v63, v[60:61], off
	v_mov_b32_e32 v148, 0
	s_mov_b32 s3, exec_lo
	s_waitcnt vmcnt(0)
	v_cmpx_eq_u16_e64 v62, v63
	s_cbranch_execz .LBB81_237
; %bb.231:
	s_mov_b64 s[14:15], 1
	s_mov_b32 s19, 0
                                        ; implicit-def: $sgpr22
	s_set_inst_prefetch_distance 0x1
	s_branch .LBB81_234
	.p2align	6
.LBB81_232:                             ;   in Loop: Header=BB81_234 Depth=1
	v_add_co_u32 v62, vcc_lo, v57, s14
	v_add_co_ci_u32_e32 v63, vcc_lo, s15, v58, vcc_lo
	v_add_co_u32 v66, vcc_lo, v60, s14
	v_add_co_ci_u32_e32 v67, vcc_lo, s15, v61, vcc_lo
	s_add_u32 s20, s14, 1
	s_clause 0x1
	global_load_u8 v62, v[62:63], off
	global_load_u8 v63, v[66:67], off
	s_addc_u32 s21, s15, 0
	s_and_not1_b32 s22, s22, exec_lo
	s_waitcnt vmcnt(0)
	v_cmp_ne_u16_e32 vcc_lo, v62, v63
	s_and_b32 s23, vcc_lo, exec_lo
	s_delay_alu instid0(SALU_CYCLE_1)
	s_or_b32 s22, s22, s23
.LBB81_233:                             ;   in Loop: Header=BB81_234 Depth=1
	v_dual_mov_b32 v63, s15 :: v_dual_mov_b32 v62, s14
	s_and_b32 s23, exec_lo, s22
	s_mov_b64 s[14:15], s[20:21]
	s_or_b32 s19, s23, s19
	s_delay_alu instid0(SALU_CYCLE_1)
	s_and_not1_b32 exec_lo, exec_lo, s19
	s_cbranch_execz .LBB81_236
.LBB81_234:                             ; =>This Inner Loop Header: Depth=1
	s_or_b32 s22, s22, exec_lo
	s_cmp_eq_u64 s[8:9], s[14:15]
	s_cbranch_scc0 .LBB81_232
; %bb.235:                              ;   in Loop: Header=BB81_234 Depth=1
	s_mov_b64 s[14:15], s[8:9]
                                        ; implicit-def: $sgpr20_sgpr21
	s_branch .LBB81_233
.LBB81_236:
	s_set_inst_prefetch_distance 0x2
	s_or_b32 exec_lo, exec_lo, s19
	v_cmp_gt_i64_e32 vcc_lo, s[8:9], v[62:63]
	s_mov_b32 s14, 0
	s_delay_alu instid0(SALU_CYCLE_1)
	v_mov_b32_e32 v148, s14
	v_cndmask_b32_e64 v147, 0, 1, vcc_lo
.LBB81_237:
	s_or_b32 exec_lo, exec_lo, s3
.LBB81_238:
	v_mul_lo_u32 v60, v26, s8
	v_mul_lo_u32 v61, v25, s9
	v_mad_u64_u32 v[57:58], null, v25, s8, 0
	v_mov_b32_e32 v151, 0
	v_mov_b32_e32 v152, 0
	v_cmp_ne_u32_e32 vcc_lo, 1, v65
	s_delay_alu instid0(VALU_DEP_2)
	v_dual_mov_b32 v149, v151 :: v_dual_mov_b32 v150, v152
	v_add3_u32 v66, v58, v61, v60
	s_cbranch_vccnz .LBB81_247
; %bb.239:
	v_add_co_u32 v58, vcc_lo, s10, v59
	v_add_co_ci_u32_e32 v59, vcc_lo, s11, v64, vcc_lo
	v_add_co_u32 v60, vcc_lo, s10, v57
	v_add_co_ci_u32_e32 v61, vcc_lo, s11, v66, vcc_lo
	v_mov_b32_e32 v149, 1
	s_clause 0x1
	global_load_u8 v62, v[58:59], off
	global_load_u8 v63, v[60:61], off
	v_mov_b32_e32 v150, 0
	s_mov_b32 s3, exec_lo
	s_waitcnt vmcnt(0)
	v_cmpx_eq_u16_e64 v62, v63
	s_cbranch_execz .LBB81_246
; %bb.240:
	s_mov_b64 s[14:15], 1
	s_mov_b32 s19, 0
                                        ; implicit-def: $sgpr22
	s_set_inst_prefetch_distance 0x1
	s_branch .LBB81_243
	.p2align	6
.LBB81_241:                             ;   in Loop: Header=BB81_243 Depth=1
	v_add_co_u32 v62, vcc_lo, v58, s14
	v_add_co_ci_u32_e32 v63, vcc_lo, s15, v59, vcc_lo
	v_add_co_u32 v67, vcc_lo, v60, s14
	v_add_co_ci_u32_e32 v68, vcc_lo, s15, v61, vcc_lo
	s_add_u32 s20, s14, 1
	s_clause 0x1
	global_load_u8 v62, v[62:63], off
	global_load_u8 v63, v[67:68], off
	s_addc_u32 s21, s15, 0
	s_and_not1_b32 s22, s22, exec_lo
	s_waitcnt vmcnt(0)
	v_cmp_ne_u16_e32 vcc_lo, v62, v63
	s_and_b32 s23, vcc_lo, exec_lo
	s_delay_alu instid0(SALU_CYCLE_1)
	s_or_b32 s22, s22, s23
.LBB81_242:                             ;   in Loop: Header=BB81_243 Depth=1
	v_dual_mov_b32 v63, s15 :: v_dual_mov_b32 v62, s14
	s_and_b32 s23, exec_lo, s22
	s_mov_b64 s[14:15], s[20:21]
	s_or_b32 s19, s23, s19
	s_delay_alu instid0(SALU_CYCLE_1)
	s_and_not1_b32 exec_lo, exec_lo, s19
	s_cbranch_execz .LBB81_245
.LBB81_243:                             ; =>This Inner Loop Header: Depth=1
	s_or_b32 s22, s22, exec_lo
	s_cmp_eq_u64 s[8:9], s[14:15]
	s_cbranch_scc0 .LBB81_241
; %bb.244:                              ;   in Loop: Header=BB81_243 Depth=1
	s_mov_b64 s[14:15], s[8:9]
                                        ; implicit-def: $sgpr20_sgpr21
	s_branch .LBB81_242
.LBB81_245:
	s_set_inst_prefetch_distance 0x2
	s_or_b32 exec_lo, exec_lo, s19
	v_cmp_gt_i64_e32 vcc_lo, s[8:9], v[62:63]
	s_mov_b32 s14, 0
	s_delay_alu instid0(SALU_CYCLE_1)
	v_mov_b32_e32 v150, s14
	v_cndmask_b32_e64 v149, 0, 1, vcc_lo
.LBB81_246:
	s_or_b32 exec_lo, exec_lo, s3
.LBB81_247:
	v_mul_lo_u32 v58, v24, s8
	v_mul_lo_u32 v61, v23, s9
	v_mad_u64_u32 v[59:60], null, v23, s8, 0
	v_cmp_ne_u32_e32 vcc_lo, 1, v65
	s_delay_alu instid0(VALU_DEP_2)
	v_add3_u32 v64, v60, v61, v58
	s_cbranch_vccnz .LBB81_256
; %bb.248:
	v_add_co_u32 v57, vcc_lo, s10, v57
	v_add_co_ci_u32_e32 v58, vcc_lo, s11, v66, vcc_lo
	v_add_co_u32 v60, vcc_lo, s10, v59
	v_add_co_ci_u32_e32 v61, vcc_lo, s11, v64, vcc_lo
	v_mov_b32_e32 v151, 1
	s_clause 0x1
	global_load_u8 v62, v[57:58], off
	global_load_u8 v63, v[60:61], off
	v_mov_b32_e32 v152, 0
	s_mov_b32 s3, exec_lo
	s_waitcnt vmcnt(0)
	v_cmpx_eq_u16_e64 v62, v63
	s_cbranch_execz .LBB81_255
; %bb.249:
	s_mov_b64 s[14:15], 1
	s_mov_b32 s19, 0
                                        ; implicit-def: $sgpr22
	s_set_inst_prefetch_distance 0x1
	s_branch .LBB81_252
	.p2align	6
.LBB81_250:                             ;   in Loop: Header=BB81_252 Depth=1
	v_add_co_u32 v62, vcc_lo, v57, s14
	v_add_co_ci_u32_e32 v63, vcc_lo, s15, v58, vcc_lo
	v_add_co_u32 v66, vcc_lo, v60, s14
	v_add_co_ci_u32_e32 v67, vcc_lo, s15, v61, vcc_lo
	s_add_u32 s20, s14, 1
	s_clause 0x1
	global_load_u8 v62, v[62:63], off
	global_load_u8 v63, v[66:67], off
	s_addc_u32 s21, s15, 0
	s_and_not1_b32 s22, s22, exec_lo
	s_waitcnt vmcnt(0)
	v_cmp_ne_u16_e32 vcc_lo, v62, v63
	s_and_b32 s23, vcc_lo, exec_lo
	s_delay_alu instid0(SALU_CYCLE_1)
	s_or_b32 s22, s22, s23
.LBB81_251:                             ;   in Loop: Header=BB81_252 Depth=1
	v_dual_mov_b32 v63, s15 :: v_dual_mov_b32 v62, s14
	s_and_b32 s23, exec_lo, s22
	s_mov_b64 s[14:15], s[20:21]
	s_or_b32 s19, s23, s19
	s_delay_alu instid0(SALU_CYCLE_1)
	s_and_not1_b32 exec_lo, exec_lo, s19
	s_cbranch_execz .LBB81_254
.LBB81_252:                             ; =>This Inner Loop Header: Depth=1
	s_or_b32 s22, s22, exec_lo
	s_cmp_eq_u64 s[8:9], s[14:15]
	s_cbranch_scc0 .LBB81_250
; %bb.253:                              ;   in Loop: Header=BB81_252 Depth=1
	s_mov_b64 s[14:15], s[8:9]
                                        ; implicit-def: $sgpr20_sgpr21
	s_branch .LBB81_251
.LBB81_254:
	s_set_inst_prefetch_distance 0x2
	s_or_b32 exec_lo, exec_lo, s19
	v_cmp_gt_i64_e32 vcc_lo, s[8:9], v[62:63]
	s_mov_b32 s14, 0
	s_delay_alu instid0(SALU_CYCLE_1)
	v_mov_b32_e32 v152, s14
	v_cndmask_b32_e64 v151, 0, 1, vcc_lo
.LBB81_255:
	s_or_b32 exec_lo, exec_lo, s3
.LBB81_256:
	v_mul_lo_u32 v60, v22, s8
	v_mul_lo_u32 v61, v21, s9
	v_mad_u64_u32 v[57:58], null, v21, s8, 0
	v_mov_b32_e32 v155, 0
	v_mov_b32_e32 v156, 0
	v_cmp_ne_u32_e32 vcc_lo, 1, v65
	s_delay_alu instid0(VALU_DEP_2)
	v_dual_mov_b32 v153, v155 :: v_dual_mov_b32 v154, v156
	v_add3_u32 v66, v58, v61, v60
	s_cbranch_vccnz .LBB81_265
; %bb.257:
	v_add_co_u32 v58, vcc_lo, s10, v59
	v_add_co_ci_u32_e32 v59, vcc_lo, s11, v64, vcc_lo
	v_add_co_u32 v60, vcc_lo, s10, v57
	v_add_co_ci_u32_e32 v61, vcc_lo, s11, v66, vcc_lo
	v_mov_b32_e32 v153, 1
	s_clause 0x1
	global_load_u8 v62, v[58:59], off
	global_load_u8 v63, v[60:61], off
	v_mov_b32_e32 v154, 0
	s_mov_b32 s3, exec_lo
	s_waitcnt vmcnt(0)
	v_cmpx_eq_u16_e64 v62, v63
	s_cbranch_execz .LBB81_264
; %bb.258:
	s_mov_b64 s[14:15], 1
	s_mov_b32 s19, 0
                                        ; implicit-def: $sgpr22
	s_set_inst_prefetch_distance 0x1
	s_branch .LBB81_261
	.p2align	6
.LBB81_259:                             ;   in Loop: Header=BB81_261 Depth=1
	v_add_co_u32 v62, vcc_lo, v58, s14
	v_add_co_ci_u32_e32 v63, vcc_lo, s15, v59, vcc_lo
	v_add_co_u32 v67, vcc_lo, v60, s14
	v_add_co_ci_u32_e32 v68, vcc_lo, s15, v61, vcc_lo
	s_add_u32 s20, s14, 1
	s_clause 0x1
	global_load_u8 v62, v[62:63], off
	global_load_u8 v63, v[67:68], off
	s_addc_u32 s21, s15, 0
	s_and_not1_b32 s22, s22, exec_lo
	s_waitcnt vmcnt(0)
	v_cmp_ne_u16_e32 vcc_lo, v62, v63
	s_and_b32 s23, vcc_lo, exec_lo
	s_delay_alu instid0(SALU_CYCLE_1)
	s_or_b32 s22, s22, s23
.LBB81_260:                             ;   in Loop: Header=BB81_261 Depth=1
	v_dual_mov_b32 v63, s15 :: v_dual_mov_b32 v62, s14
	s_and_b32 s23, exec_lo, s22
	s_mov_b64 s[14:15], s[20:21]
	s_or_b32 s19, s23, s19
	s_delay_alu instid0(SALU_CYCLE_1)
	s_and_not1_b32 exec_lo, exec_lo, s19
	s_cbranch_execz .LBB81_263
.LBB81_261:                             ; =>This Inner Loop Header: Depth=1
	s_or_b32 s22, s22, exec_lo
	s_cmp_eq_u64 s[8:9], s[14:15]
	s_cbranch_scc0 .LBB81_259
; %bb.262:                              ;   in Loop: Header=BB81_261 Depth=1
	s_mov_b64 s[14:15], s[8:9]
                                        ; implicit-def: $sgpr20_sgpr21
	s_branch .LBB81_260
.LBB81_263:
	s_set_inst_prefetch_distance 0x2
	s_or_b32 exec_lo, exec_lo, s19
	v_cmp_gt_i64_e32 vcc_lo, s[8:9], v[62:63]
	s_mov_b32 s14, 0
	s_delay_alu instid0(SALU_CYCLE_1)
	v_mov_b32_e32 v154, s14
	v_cndmask_b32_e64 v153, 0, 1, vcc_lo
.LBB81_264:
	s_or_b32 exec_lo, exec_lo, s3
.LBB81_265:
	v_mul_lo_u32 v58, v20, s8
	v_mul_lo_u32 v61, v19, s9
	v_mad_u64_u32 v[59:60], null, v19, s8, 0
	v_cmp_ne_u32_e32 vcc_lo, 1, v65
	s_delay_alu instid0(VALU_DEP_2)
	v_add3_u32 v64, v60, v61, v58
	s_cbranch_vccnz .LBB81_274
; %bb.266:
	v_add_co_u32 v57, vcc_lo, s10, v57
	v_add_co_ci_u32_e32 v58, vcc_lo, s11, v66, vcc_lo
	v_add_co_u32 v60, vcc_lo, s10, v59
	v_add_co_ci_u32_e32 v61, vcc_lo, s11, v64, vcc_lo
	v_mov_b32_e32 v155, 1
	s_clause 0x1
	global_load_u8 v62, v[57:58], off
	global_load_u8 v63, v[60:61], off
	v_mov_b32_e32 v156, 0
	s_mov_b32 s3, exec_lo
	s_waitcnt vmcnt(0)
	v_cmpx_eq_u16_e64 v62, v63
	s_cbranch_execz .LBB81_273
; %bb.267:
	s_mov_b64 s[14:15], 1
	s_mov_b32 s19, 0
                                        ; implicit-def: $sgpr22
	s_set_inst_prefetch_distance 0x1
	s_branch .LBB81_270
	.p2align	6
.LBB81_268:                             ;   in Loop: Header=BB81_270 Depth=1
	v_add_co_u32 v62, vcc_lo, v57, s14
	v_add_co_ci_u32_e32 v63, vcc_lo, s15, v58, vcc_lo
	v_add_co_u32 v66, vcc_lo, v60, s14
	v_add_co_ci_u32_e32 v67, vcc_lo, s15, v61, vcc_lo
	s_add_u32 s20, s14, 1
	s_clause 0x1
	global_load_u8 v62, v[62:63], off
	global_load_u8 v63, v[66:67], off
	s_addc_u32 s21, s15, 0
	s_and_not1_b32 s22, s22, exec_lo
	s_waitcnt vmcnt(0)
	v_cmp_ne_u16_e32 vcc_lo, v62, v63
	s_and_b32 s23, vcc_lo, exec_lo
	s_delay_alu instid0(SALU_CYCLE_1)
	s_or_b32 s22, s22, s23
.LBB81_269:                             ;   in Loop: Header=BB81_270 Depth=1
	v_dual_mov_b32 v63, s15 :: v_dual_mov_b32 v62, s14
	s_and_b32 s23, exec_lo, s22
	s_mov_b64 s[14:15], s[20:21]
	s_or_b32 s19, s23, s19
	s_delay_alu instid0(SALU_CYCLE_1)
	s_and_not1_b32 exec_lo, exec_lo, s19
	s_cbranch_execz .LBB81_272
.LBB81_270:                             ; =>This Inner Loop Header: Depth=1
	s_or_b32 s22, s22, exec_lo
	s_cmp_eq_u64 s[8:9], s[14:15]
	s_cbranch_scc0 .LBB81_268
; %bb.271:                              ;   in Loop: Header=BB81_270 Depth=1
	s_mov_b64 s[14:15], s[8:9]
                                        ; implicit-def: $sgpr20_sgpr21
	s_branch .LBB81_269
.LBB81_272:
	s_set_inst_prefetch_distance 0x2
	s_or_b32 exec_lo, exec_lo, s19
	v_cmp_gt_i64_e32 vcc_lo, s[8:9], v[62:63]
	s_mov_b32 s14, 0
	s_delay_alu instid0(SALU_CYCLE_1)
	v_mov_b32_e32 v156, s14
	v_cndmask_b32_e64 v155, 0, 1, vcc_lo
.LBB81_273:
	s_or_b32 exec_lo, exec_lo, s3
.LBB81_274:
	v_mul_lo_u32 v60, v18, s8
	v_mul_lo_u32 v61, v17, s9
	v_mad_u64_u32 v[57:58], null, v17, s8, 0
	v_mov_b32_e32 v159, 0
	v_mov_b32_e32 v160, 0
	v_cmp_ne_u32_e32 vcc_lo, 1, v65
	s_delay_alu instid0(VALU_DEP_2)
	v_dual_mov_b32 v157, v159 :: v_dual_mov_b32 v158, v160
	v_add3_u32 v66, v58, v61, v60
	s_cbranch_vccnz .LBB81_283
; %bb.275:
	v_add_co_u32 v58, vcc_lo, s10, v59
	v_add_co_ci_u32_e32 v59, vcc_lo, s11, v64, vcc_lo
	v_add_co_u32 v60, vcc_lo, s10, v57
	v_add_co_ci_u32_e32 v61, vcc_lo, s11, v66, vcc_lo
	v_mov_b32_e32 v157, 1
	s_clause 0x1
	global_load_u8 v62, v[58:59], off
	global_load_u8 v63, v[60:61], off
	v_mov_b32_e32 v158, 0
	s_mov_b32 s3, exec_lo
	s_waitcnt vmcnt(0)
	v_cmpx_eq_u16_e64 v62, v63
	s_cbranch_execz .LBB81_282
; %bb.276:
	s_mov_b64 s[14:15], 1
	s_mov_b32 s19, 0
                                        ; implicit-def: $sgpr22
	s_set_inst_prefetch_distance 0x1
	s_branch .LBB81_279
	.p2align	6
.LBB81_277:                             ;   in Loop: Header=BB81_279 Depth=1
	v_add_co_u32 v62, vcc_lo, v58, s14
	v_add_co_ci_u32_e32 v63, vcc_lo, s15, v59, vcc_lo
	v_add_co_u32 v67, vcc_lo, v60, s14
	v_add_co_ci_u32_e32 v68, vcc_lo, s15, v61, vcc_lo
	s_add_u32 s20, s14, 1
	s_clause 0x1
	global_load_u8 v62, v[62:63], off
	global_load_u8 v63, v[67:68], off
	s_addc_u32 s21, s15, 0
	s_and_not1_b32 s22, s22, exec_lo
	s_waitcnt vmcnt(0)
	v_cmp_ne_u16_e32 vcc_lo, v62, v63
	s_and_b32 s23, vcc_lo, exec_lo
	s_delay_alu instid0(SALU_CYCLE_1)
	s_or_b32 s22, s22, s23
.LBB81_278:                             ;   in Loop: Header=BB81_279 Depth=1
	v_dual_mov_b32 v63, s15 :: v_dual_mov_b32 v62, s14
	s_and_b32 s23, exec_lo, s22
	s_mov_b64 s[14:15], s[20:21]
	s_or_b32 s19, s23, s19
	s_delay_alu instid0(SALU_CYCLE_1)
	s_and_not1_b32 exec_lo, exec_lo, s19
	s_cbranch_execz .LBB81_281
.LBB81_279:                             ; =>This Inner Loop Header: Depth=1
	s_or_b32 s22, s22, exec_lo
	s_cmp_eq_u64 s[8:9], s[14:15]
	s_cbranch_scc0 .LBB81_277
; %bb.280:                              ;   in Loop: Header=BB81_279 Depth=1
	s_mov_b64 s[14:15], s[8:9]
                                        ; implicit-def: $sgpr20_sgpr21
	s_branch .LBB81_278
.LBB81_281:
	s_set_inst_prefetch_distance 0x2
	s_or_b32 exec_lo, exec_lo, s19
	v_cmp_gt_i64_e32 vcc_lo, s[8:9], v[62:63]
	s_mov_b32 s14, 0
	s_delay_alu instid0(SALU_CYCLE_1)
	v_mov_b32_e32 v158, s14
	v_cndmask_b32_e64 v157, 0, 1, vcc_lo
.LBB81_282:
	s_or_b32 exec_lo, exec_lo, s3
.LBB81_283:
	v_mul_lo_u32 v58, v16, s8
	v_mul_lo_u32 v61, v15, s9
	v_mad_u64_u32 v[59:60], null, v15, s8, 0
	v_cmp_ne_u32_e32 vcc_lo, 1, v65
	s_delay_alu instid0(VALU_DEP_2)
	v_add3_u32 v64, v60, v61, v58
	s_cbranch_vccnz .LBB81_292
; %bb.284:
	v_add_co_u32 v57, vcc_lo, s10, v57
	v_add_co_ci_u32_e32 v58, vcc_lo, s11, v66, vcc_lo
	v_add_co_u32 v60, vcc_lo, s10, v59
	v_add_co_ci_u32_e32 v61, vcc_lo, s11, v64, vcc_lo
	v_mov_b32_e32 v159, 1
	s_clause 0x1
	global_load_u8 v62, v[57:58], off
	global_load_u8 v63, v[60:61], off
	v_mov_b32_e32 v160, 0
	s_mov_b32 s3, exec_lo
	s_waitcnt vmcnt(0)
	v_cmpx_eq_u16_e64 v62, v63
	s_cbranch_execz .LBB81_291
; %bb.285:
	s_mov_b64 s[14:15], 1
	s_mov_b32 s19, 0
                                        ; implicit-def: $sgpr22
	s_set_inst_prefetch_distance 0x1
	s_branch .LBB81_288
	.p2align	6
.LBB81_286:                             ;   in Loop: Header=BB81_288 Depth=1
	v_add_co_u32 v62, vcc_lo, v57, s14
	v_add_co_ci_u32_e32 v63, vcc_lo, s15, v58, vcc_lo
	v_add_co_u32 v66, vcc_lo, v60, s14
	v_add_co_ci_u32_e32 v67, vcc_lo, s15, v61, vcc_lo
	s_add_u32 s20, s14, 1
	s_clause 0x1
	global_load_u8 v62, v[62:63], off
	global_load_u8 v63, v[66:67], off
	s_addc_u32 s21, s15, 0
	s_and_not1_b32 s22, s22, exec_lo
	s_waitcnt vmcnt(0)
	v_cmp_ne_u16_e32 vcc_lo, v62, v63
	s_and_b32 s23, vcc_lo, exec_lo
	s_delay_alu instid0(SALU_CYCLE_1)
	s_or_b32 s22, s22, s23
.LBB81_287:                             ;   in Loop: Header=BB81_288 Depth=1
	v_dual_mov_b32 v63, s15 :: v_dual_mov_b32 v62, s14
	s_and_b32 s23, exec_lo, s22
	s_mov_b64 s[14:15], s[20:21]
	s_or_b32 s19, s23, s19
	s_delay_alu instid0(SALU_CYCLE_1)
	s_and_not1_b32 exec_lo, exec_lo, s19
	s_cbranch_execz .LBB81_290
.LBB81_288:                             ; =>This Inner Loop Header: Depth=1
	s_or_b32 s22, s22, exec_lo
	s_cmp_eq_u64 s[8:9], s[14:15]
	s_cbranch_scc0 .LBB81_286
; %bb.289:                              ;   in Loop: Header=BB81_288 Depth=1
	s_mov_b64 s[14:15], s[8:9]
                                        ; implicit-def: $sgpr20_sgpr21
	s_branch .LBB81_287
.LBB81_290:
	s_set_inst_prefetch_distance 0x2
	s_or_b32 exec_lo, exec_lo, s19
	v_cmp_gt_i64_e32 vcc_lo, s[8:9], v[62:63]
	s_mov_b32 s14, 0
	s_delay_alu instid0(SALU_CYCLE_1)
	v_mov_b32_e32 v160, s14
	v_cndmask_b32_e64 v159, 0, 1, vcc_lo
.LBB81_291:
	s_or_b32 exec_lo, exec_lo, s3
.LBB81_292:
	v_mul_lo_u32 v60, v14, s8
	v_mul_lo_u32 v61, v13, s9
	v_mad_u64_u32 v[57:58], null, v13, s8, 0
	v_mov_b32_e32 v163, 0
	v_mov_b32_e32 v164, 0
	v_cmp_ne_u32_e32 vcc_lo, 1, v65
	s_delay_alu instid0(VALU_DEP_2)
	v_dual_mov_b32 v161, v163 :: v_dual_mov_b32 v162, v164
	v_add3_u32 v66, v58, v61, v60
	s_cbranch_vccnz .LBB81_301
; %bb.293:
	v_add_co_u32 v58, vcc_lo, s10, v59
	v_add_co_ci_u32_e32 v59, vcc_lo, s11, v64, vcc_lo
	v_add_co_u32 v60, vcc_lo, s10, v57
	v_add_co_ci_u32_e32 v61, vcc_lo, s11, v66, vcc_lo
	v_mov_b32_e32 v161, 1
	s_clause 0x1
	global_load_u8 v62, v[58:59], off
	global_load_u8 v63, v[60:61], off
	v_mov_b32_e32 v162, 0
	s_mov_b32 s3, exec_lo
	s_waitcnt vmcnt(0)
	v_cmpx_eq_u16_e64 v62, v63
	s_cbranch_execz .LBB81_300
; %bb.294:
	s_mov_b64 s[14:15], 1
	s_mov_b32 s19, 0
                                        ; implicit-def: $sgpr22
	s_set_inst_prefetch_distance 0x1
	s_branch .LBB81_297
	.p2align	6
.LBB81_295:                             ;   in Loop: Header=BB81_297 Depth=1
	v_add_co_u32 v62, vcc_lo, v58, s14
	v_add_co_ci_u32_e32 v63, vcc_lo, s15, v59, vcc_lo
	v_add_co_u32 v67, vcc_lo, v60, s14
	v_add_co_ci_u32_e32 v68, vcc_lo, s15, v61, vcc_lo
	s_add_u32 s20, s14, 1
	s_clause 0x1
	global_load_u8 v62, v[62:63], off
	global_load_u8 v63, v[67:68], off
	s_addc_u32 s21, s15, 0
	s_and_not1_b32 s22, s22, exec_lo
	s_waitcnt vmcnt(0)
	v_cmp_ne_u16_e32 vcc_lo, v62, v63
	s_and_b32 s23, vcc_lo, exec_lo
	s_delay_alu instid0(SALU_CYCLE_1)
	s_or_b32 s22, s22, s23
.LBB81_296:                             ;   in Loop: Header=BB81_297 Depth=1
	v_dual_mov_b32 v63, s15 :: v_dual_mov_b32 v62, s14
	s_and_b32 s23, exec_lo, s22
	s_mov_b64 s[14:15], s[20:21]
	s_or_b32 s19, s23, s19
	s_delay_alu instid0(SALU_CYCLE_1)
	s_and_not1_b32 exec_lo, exec_lo, s19
	s_cbranch_execz .LBB81_299
.LBB81_297:                             ; =>This Inner Loop Header: Depth=1
	s_or_b32 s22, s22, exec_lo
	s_cmp_eq_u64 s[8:9], s[14:15]
	s_cbranch_scc0 .LBB81_295
; %bb.298:                              ;   in Loop: Header=BB81_297 Depth=1
	s_mov_b64 s[14:15], s[8:9]
                                        ; implicit-def: $sgpr20_sgpr21
	s_branch .LBB81_296
.LBB81_299:
	s_set_inst_prefetch_distance 0x2
	s_or_b32 exec_lo, exec_lo, s19
	v_cmp_gt_i64_e32 vcc_lo, s[8:9], v[62:63]
	s_mov_b32 s14, 0
	s_delay_alu instid0(SALU_CYCLE_1)
	v_mov_b32_e32 v162, s14
	v_cndmask_b32_e64 v161, 0, 1, vcc_lo
.LBB81_300:
	s_or_b32 exec_lo, exec_lo, s3
.LBB81_301:
	v_mul_lo_u32 v60, v4, s8
	v_mul_lo_u32 v61, v3, s9
	v_mad_u64_u32 v[58:59], null, v3, s8, 0
	v_cmp_ne_u32_e32 vcc_lo, 1, v65
	s_delay_alu instid0(VALU_DEP_2)
	v_add3_u32 v67, v59, v61, v60
	s_cbranch_vccnz .LBB81_310
; %bb.302:
	v_add_co_u32 v59, vcc_lo, s10, v57
	v_add_co_ci_u32_e32 v60, vcc_lo, s11, v66, vcc_lo
	v_add_co_u32 v61, vcc_lo, s10, v58
	v_add_co_ci_u32_e32 v62, vcc_lo, s11, v67, vcc_lo
	v_mov_b32_e32 v163, 1
	s_clause 0x1
	global_load_u8 v57, v[59:60], off
	global_load_u8 v63, v[61:62], off
	v_mov_b32_e32 v164, 0
	s_mov_b32 s3, exec_lo
	s_waitcnt vmcnt(0)
	v_cmpx_eq_u16_e64 v57, v63
	s_cbranch_execz .LBB81_309
; %bb.303:
	s_mov_b64 s[14:15], 1
	s_mov_b32 s19, 0
                                        ; implicit-def: $sgpr22
	s_set_inst_prefetch_distance 0x1
	s_branch .LBB81_306
	.p2align	6
.LBB81_304:                             ;   in Loop: Header=BB81_306 Depth=1
	v_add_co_u32 v63, vcc_lo, v59, s14
	v_add_co_ci_u32_e32 v64, vcc_lo, s15, v60, vcc_lo
	v_add_co_u32 v68, vcc_lo, v61, s14
	v_add_co_ci_u32_e32 v69, vcc_lo, s15, v62, vcc_lo
	s_add_u32 s20, s14, 1
	s_clause 0x1
	global_load_u8 v57, v[63:64], off
	global_load_u8 v63, v[68:69], off
	s_addc_u32 s21, s15, 0
	s_and_not1_b32 s22, s22, exec_lo
	s_waitcnt vmcnt(0)
	v_cmp_ne_u16_e32 vcc_lo, v57, v63
	s_and_b32 s23, vcc_lo, exec_lo
	s_delay_alu instid0(SALU_CYCLE_1)
	s_or_b32 s22, s22, s23
.LBB81_305:                             ;   in Loop: Header=BB81_306 Depth=1
	v_dual_mov_b32 v64, s15 :: v_dual_mov_b32 v63, s14
	s_and_b32 s23, exec_lo, s22
	s_mov_b64 s[14:15], s[20:21]
	s_or_b32 s19, s23, s19
	s_delay_alu instid0(SALU_CYCLE_1)
	s_and_not1_b32 exec_lo, exec_lo, s19
	s_cbranch_execz .LBB81_308
.LBB81_306:                             ; =>This Inner Loop Header: Depth=1
	s_or_b32 s22, s22, exec_lo
	s_cmp_eq_u64 s[8:9], s[14:15]
	s_cbranch_scc0 .LBB81_304
; %bb.307:                              ;   in Loop: Header=BB81_306 Depth=1
	s_mov_b64 s[14:15], s[8:9]
                                        ; implicit-def: $sgpr20_sgpr21
	s_branch .LBB81_305
.LBB81_308:
	s_set_inst_prefetch_distance 0x2
	s_or_b32 exec_lo, exec_lo, s19
	v_cmp_gt_i64_e32 vcc_lo, s[8:9], v[63:64]
	s_mov_b32 s14, 0
	s_delay_alu instid0(SALU_CYCLE_1)
	v_mov_b32_e32 v164, s14
	v_cndmask_b32_e64 v163, 0, 1, vcc_lo
.LBB81_309:
	s_or_b32 exec_lo, exec_lo, s3
.LBB81_310:
	v_cmp_ne_u32_e32 vcc_lo, 1, v65
	s_cbranch_vccnz .LBB81_317
; %bb.311:
	v_mad_u64_u32 v[59:60], null, v1, s8, s[10:11]
	v_mul_lo_u32 v61, v1, s9
	v_mul_lo_u32 v62, v2, s8
	v_add_co_u32 v57, vcc_lo, s10, v58
	v_add_co_ci_u32_e32 v58, vcc_lo, s11, v67, vcc_lo
	v_mov_b32_e32 v165, 1
	v_mov_b32_e32 v166, 0
	s_mov_b32 s3, exec_lo
	v_add3_u32 v60, v62, v60, v61
	s_clause 0x1
	global_load_u8 v61, v[57:58], off
	global_load_u8 v62, v[59:60], off
	s_waitcnt vmcnt(0)
	v_cmpx_eq_u16_e64 v61, v62
	s_cbranch_execz .LBB81_319
; %bb.312:
	s_mov_b64 s[14:15], 1
	s_mov_b32 s19, 0
                                        ; implicit-def: $sgpr22
	s_set_inst_prefetch_distance 0x1
	s_branch .LBB81_315
	.p2align	6
.LBB81_313:                             ;   in Loop: Header=BB81_315 Depth=1
	v_add_co_u32 v61, vcc_lo, v57, s14
	v_add_co_ci_u32_e32 v62, vcc_lo, s15, v58, vcc_lo
	v_add_co_u32 v63, vcc_lo, v59, s14
	v_add_co_ci_u32_e32 v64, vcc_lo, s15, v60, vcc_lo
	s_add_u32 s20, s14, 1
	s_clause 0x1
	global_load_u8 v61, v[61:62], off
	global_load_u8 v62, v[63:64], off
	s_addc_u32 s21, s15, 0
	s_and_not1_b32 s22, s22, exec_lo
	s_waitcnt vmcnt(0)
	v_cmp_ne_u16_e32 vcc_lo, v61, v62
	s_and_b32 s23, vcc_lo, exec_lo
	s_delay_alu instid0(SALU_CYCLE_1)
	s_or_b32 s22, s22, s23
.LBB81_314:                             ;   in Loop: Header=BB81_315 Depth=1
	v_dual_mov_b32 v62, s15 :: v_dual_mov_b32 v61, s14
	s_and_b32 s23, exec_lo, s22
	s_mov_b64 s[14:15], s[20:21]
	s_or_b32 s19, s23, s19
	s_delay_alu instid0(SALU_CYCLE_1)
	s_and_not1_b32 exec_lo, exec_lo, s19
	s_cbranch_execz .LBB81_318
.LBB81_315:                             ; =>This Inner Loop Header: Depth=1
	s_or_b32 s22, s22, exec_lo
	s_cmp_eq_u64 s[8:9], s[14:15]
	s_cbranch_scc0 .LBB81_313
; %bb.316:                              ;   in Loop: Header=BB81_315 Depth=1
	s_mov_b64 s[14:15], s[8:9]
                                        ; implicit-def: $sgpr20_sgpr21
	s_branch .LBB81_314
.LBB81_317:
	v_mov_b32_e32 v165, 0
	v_mov_b32_e32 v166, 0
	s_branch .LBB81_320
.LBB81_318:
	s_set_inst_prefetch_distance 0x2
	s_or_b32 exec_lo, exec_lo, s19
	v_cmp_gt_i64_e32 vcc_lo, s[8:9], v[61:62]
	s_mov_b32 s14, 0
	s_delay_alu instid0(SALU_CYCLE_1)
	v_mov_b32_e32 v166, s14
	v_cndmask_b32_e64 v165, 0, 1, vcc_lo
.LBB81_319:
	s_or_b32 exec_lo, exec_lo, s3
.LBB81_320:
	s_waitcnt lgkmcnt(0)
	v_dual_mov_b32 v62, s13 :: v_dual_mov_b32 v61, s12
	s_mov_b32 s14, 0
	s_mov_b32 s3, exec_lo
	s_barrier
	buffer_gl0_inv
	v_cmpx_ne_u32_e32 0, v0
	s_cbranch_execz .LBB81_322
; %bb.321:
	v_add_nc_u32_e32 v57, -8, v195
	ds_load_b64 v[61:62], v57
.LBB81_322:
	s_or_b32 exec_lo, exec_lo, s3
	v_cmp_ne_u32_e32 vcc_lo, 1, v65
	s_cbranch_vccnz .LBB81_331
; %bb.323:
	v_mad_u64_u32 v[57:58], null, v1, s8, s[10:11]
	v_mul_lo_u32 v63, v1, s9
	v_mul_lo_u32 v64, v2, s8
	s_waitcnt lgkmcnt(0)
	v_mad_u64_u32 v[59:60], null, v61, s8, s[10:11]
	v_mul_lo_u32 v61, v61, s9
	v_mul_lo_u32 v62, v62, s8
	s_mov_b32 s14, -1
	s_mov_b32 s3, exec_lo
	s_delay_alu instid0(VALU_DEP_4) | instskip(NEXT) | instid1(VALU_DEP_2)
	v_add3_u32 v58, v64, v58, v63
	v_add3_u32 v60, v62, v60, v61
	s_clause 0x1
	global_load_u8 v61, v[57:58], off
	global_load_u8 v62, v[59:60], off
	s_waitcnt vmcnt(0)
	v_cmpx_eq_u16_e64 v61, v62
	s_cbranch_execz .LBB81_330
; %bb.324:
	s_mov_b64 s[14:15], 1
	s_mov_b32 s19, 0
                                        ; implicit-def: $sgpr22
	s_set_inst_prefetch_distance 0x1
	s_branch .LBB81_327
	.p2align	6
.LBB81_325:                             ;   in Loop: Header=BB81_327 Depth=1
	v_add_co_u32 v61, vcc_lo, v57, s14
	v_add_co_ci_u32_e32 v62, vcc_lo, s15, v58, vcc_lo
	v_add_co_u32 v63, vcc_lo, v59, s14
	v_add_co_ci_u32_e32 v64, vcc_lo, s15, v60, vcc_lo
	s_add_u32 s20, s14, 1
	s_clause 0x1
	global_load_u8 v61, v[61:62], off
	global_load_u8 v62, v[63:64], off
	s_addc_u32 s21, s15, 0
	s_and_not1_b32 s22, s22, exec_lo
	s_waitcnt vmcnt(0)
	v_cmp_ne_u16_e32 vcc_lo, v61, v62
	s_and_b32 s23, vcc_lo, exec_lo
	s_delay_alu instid0(SALU_CYCLE_1)
	s_or_b32 s22, s22, s23
.LBB81_326:                             ;   in Loop: Header=BB81_327 Depth=1
	v_dual_mov_b32 v62, s15 :: v_dual_mov_b32 v61, s14
	s_and_b32 s23, exec_lo, s22
	s_mov_b64 s[14:15], s[20:21]
	s_or_b32 s19, s23, s19
	s_delay_alu instid0(SALU_CYCLE_1)
	s_and_not1_b32 exec_lo, exec_lo, s19
	s_cbranch_execz .LBB81_329
.LBB81_327:                             ; =>This Inner Loop Header: Depth=1
	s_or_b32 s22, s22, exec_lo
	s_cmp_eq_u64 s[8:9], s[14:15]
	s_cbranch_scc0 .LBB81_325
; %bb.328:                              ;   in Loop: Header=BB81_327 Depth=1
	s_mov_b64 s[14:15], s[8:9]
                                        ; implicit-def: $sgpr20_sgpr21
	s_branch .LBB81_326
.LBB81_329:
	s_set_inst_prefetch_distance 0x2
	s_or_b32 exec_lo, exec_lo, s19
	v_cmp_gt_i64_e32 vcc_lo, s[8:9], v[61:62]
	s_or_not1_b32 s14, vcc_lo, exec_lo
.LBB81_330:
	s_or_b32 exec_lo, exec_lo, s3
.LBB81_331:
	s_mov_b32 s3, -1
	s_branch .LBB81_73
.LBB81_332:
	v_cmp_gt_i64_e64 s14, s[8:9], 0
	v_mad_u32_u24 v57, v0, 29, 28
	v_mul_u32_u24_e32 v64, 29, v0
	v_dual_mov_b32 v112, v110 :: v_dual_mov_b32 v111, v109
	s_mul_i32 s20, s18, 0xfffff180
	s_delay_alu instid0(VALU_DEP_4)
	v_cndmask_b32_e64 v63, 0, 1, s14
	s_add_i32 s20, s20, s6
	s_mov_b32 s21, exec_lo
	ds_store_b64 v195, v[109:110]
	v_cmpx_gt_u32_e64 s20, v57
	s_cbranch_execz .LBB81_343
; %bb.333:
	s_and_not1_b32 vcc_lo, exec_lo, s14
	s_cbranch_vccnz .LBB81_340
; %bb.334:
	v_mad_u64_u32 v[57:58], null, v109, s8, s[10:11]
	s_waitcnt lgkmcnt(0)
	v_mul_lo_u32 v61, v109, s9
	v_mul_lo_u32 v62, v110, s8
	v_mad_u64_u32 v[59:60], null, v7, s8, s[10:11]
	v_mul_lo_u32 v65, v7, s9
	v_mul_lo_u32 v66, v8, s8
	v_mov_b32_e32 v111, 1
	v_mov_b32_e32 v112, 0
	s_mov_b32 s22, exec_lo
	v_add3_u32 v58, v62, v58, v61
	s_delay_alu instid0(VALU_DEP_4)
	v_add3_u32 v60, v66, v60, v65
	s_clause 0x1
	global_load_u8 v61, v[57:58], off
	global_load_u8 v62, v[59:60], off
	s_waitcnt vmcnt(0)
	v_cmpx_eq_u16_e64 v61, v62
	s_cbranch_execz .LBB81_342
; %bb.335:
	s_mov_b64 s[14:15], 1
	s_mov_b32 s23, 0
                                        ; implicit-def: $sgpr24
	s_set_inst_prefetch_distance 0x1
	s_branch .LBB81_338
	.p2align	6
.LBB81_336:                             ;   in Loop: Header=BB81_338 Depth=1
	v_add_co_u32 v61, vcc_lo, v57, s14
	v_add_co_ci_u32_e32 v62, vcc_lo, s15, v58, vcc_lo
	v_add_co_u32 v65, vcc_lo, v59, s14
	v_add_co_ci_u32_e32 v66, vcc_lo, s15, v60, vcc_lo
	s_add_u32 s18, s14, 1
	s_clause 0x1
	global_load_u8 v61, v[61:62], off
	global_load_u8 v62, v[65:66], off
	s_addc_u32 s19, s15, 0
	s_and_not1_b32 s24, s24, exec_lo
	s_waitcnt vmcnt(0)
	v_cmp_ne_u16_e32 vcc_lo, v61, v62
	s_and_b32 s25, vcc_lo, exec_lo
	s_delay_alu instid0(SALU_CYCLE_1)
	s_or_b32 s24, s24, s25
.LBB81_337:                             ;   in Loop: Header=BB81_338 Depth=1
	v_dual_mov_b32 v62, s15 :: v_dual_mov_b32 v61, s14
	s_and_b32 s25, exec_lo, s24
	s_mov_b64 s[14:15], s[18:19]
	s_or_b32 s23, s25, s23
	s_delay_alu instid0(SALU_CYCLE_1)
	s_and_not1_b32 exec_lo, exec_lo, s23
	s_cbranch_execz .LBB81_341
.LBB81_338:                             ; =>This Inner Loop Header: Depth=1
	s_or_b32 s24, s24, exec_lo
	s_cmp_eq_u64 s[8:9], s[14:15]
	s_cbranch_scc0 .LBB81_336
; %bb.339:                              ;   in Loop: Header=BB81_338 Depth=1
	s_mov_b64 s[14:15], s[8:9]
                                        ; implicit-def: $sgpr18_sgpr19
	s_branch .LBB81_337
.LBB81_340:
	v_mov_b32_e32 v111, 0
	v_mov_b32_e32 v112, 0
	s_branch .LBB81_343
.LBB81_341:
	s_set_inst_prefetch_distance 0x2
	s_or_b32 exec_lo, exec_lo, s23
	v_cmp_gt_i64_e32 vcc_lo, s[8:9], v[61:62]
	s_mov_b32 s14, 0
	s_delay_alu instid0(SALU_CYCLE_1)
	v_mov_b32_e32 v112, s14
	v_cndmask_b32_e64 v111, 0, 1, vcc_lo
.LBB81_342:
	s_or_b32 exec_lo, exec_lo, s22
.LBB81_343:
	s_delay_alu instid0(SALU_CYCLE_1) | instskip(SKIP_3) | instid1(VALU_DEP_2)
	s_or_b32 exec_lo, exec_lo, s21
	v_dual_mov_b32 v116, v8 :: v_dual_add_nc_u32 v57, 27, v64
	v_mov_b32_e32 v115, v7
	s_mov_b32 s21, exec_lo
	v_cmpx_gt_u32_e64 s20, v57
	s_cbranch_execz .LBB81_354
; %bb.344:
	v_cmp_ne_u32_e32 vcc_lo, 1, v63
	s_cbranch_vccnz .LBB81_351
; %bb.345:
	v_mad_u64_u32 v[57:58], null, v7, s8, s[10:11]
	s_waitcnt lgkmcnt(0)
	v_mul_lo_u32 v61, v7, s9
	v_mul_lo_u32 v62, v8, s8
	v_mad_u64_u32 v[59:60], null, v5, s8, s[10:11]
	v_mul_lo_u32 v65, v5, s9
	v_mul_lo_u32 v66, v6, s8
	v_mov_b32_e32 v115, 1
	v_mov_b32_e32 v116, 0
	s_mov_b32 s22, exec_lo
	v_add3_u32 v58, v62, v58, v61
	s_delay_alu instid0(VALU_DEP_4)
	v_add3_u32 v60, v66, v60, v65
	s_clause 0x1
	global_load_u8 v61, v[57:58], off
	global_load_u8 v62, v[59:60], off
	s_waitcnt vmcnt(0)
	v_cmpx_eq_u16_e64 v61, v62
	s_cbranch_execz .LBB81_353
; %bb.346:
	s_mov_b64 s[14:15], 1
	s_mov_b32 s23, 0
                                        ; implicit-def: $sgpr24
	s_set_inst_prefetch_distance 0x1
	s_branch .LBB81_349
	.p2align	6
.LBB81_347:                             ;   in Loop: Header=BB81_349 Depth=1
	v_add_co_u32 v61, vcc_lo, v57, s14
	v_add_co_ci_u32_e32 v62, vcc_lo, s15, v58, vcc_lo
	v_add_co_u32 v65, vcc_lo, v59, s14
	v_add_co_ci_u32_e32 v66, vcc_lo, s15, v60, vcc_lo
	s_add_u32 s18, s14, 1
	s_clause 0x1
	global_load_u8 v61, v[61:62], off
	global_load_u8 v62, v[65:66], off
	s_addc_u32 s19, s15, 0
	s_and_not1_b32 s24, s24, exec_lo
	s_waitcnt vmcnt(0)
	v_cmp_ne_u16_e32 vcc_lo, v61, v62
	s_and_b32 s25, vcc_lo, exec_lo
	s_delay_alu instid0(SALU_CYCLE_1)
	s_or_b32 s24, s24, s25
.LBB81_348:                             ;   in Loop: Header=BB81_349 Depth=1
	v_dual_mov_b32 v62, s15 :: v_dual_mov_b32 v61, s14
	s_and_b32 s25, exec_lo, s24
	s_mov_b64 s[14:15], s[18:19]
	s_or_b32 s23, s25, s23
	s_delay_alu instid0(SALU_CYCLE_1)
	s_and_not1_b32 exec_lo, exec_lo, s23
	s_cbranch_execz .LBB81_352
.LBB81_349:                             ; =>This Inner Loop Header: Depth=1
	s_or_b32 s24, s24, exec_lo
	s_cmp_eq_u64 s[8:9], s[14:15]
	s_cbranch_scc0 .LBB81_347
; %bb.350:                              ;   in Loop: Header=BB81_349 Depth=1
	s_mov_b64 s[14:15], s[8:9]
                                        ; implicit-def: $sgpr18_sgpr19
	s_branch .LBB81_348
.LBB81_351:
	v_mov_b32_e32 v115, 0
	v_mov_b32_e32 v116, 0
	s_branch .LBB81_354
.LBB81_352:
	s_set_inst_prefetch_distance 0x2
	s_or_b32 exec_lo, exec_lo, s23
	v_cmp_gt_i64_e32 vcc_lo, s[8:9], v[61:62]
	s_mov_b32 s14, 0
	s_delay_alu instid0(SALU_CYCLE_1)
	v_mov_b32_e32 v116, s14
	v_cndmask_b32_e64 v115, 0, 1, vcc_lo
.LBB81_353:
	s_or_b32 exec_lo, exec_lo, s22
.LBB81_354:
	s_delay_alu instid0(SALU_CYCLE_1) | instskip(SKIP_3) | instid1(VALU_DEP_2)
	s_or_b32 exec_lo, exec_lo, s21
	v_dual_mov_b32 v114, v6 :: v_dual_add_nc_u32 v57, 26, v64
	v_mov_b32_e32 v113, v5
	s_mov_b32 s21, exec_lo
	v_cmpx_gt_u32_e64 s20, v57
	s_cbranch_execz .LBB81_365
; %bb.355:
	v_cmp_ne_u32_e32 vcc_lo, 1, v63
	s_cbranch_vccnz .LBB81_362
; %bb.356:
	v_mad_u64_u32 v[57:58], null, v5, s8, s[10:11]
	s_waitcnt lgkmcnt(0)
	v_mul_lo_u32 v61, v5, s9
	v_mul_lo_u32 v62, v6, s8
	v_mad_u64_u32 v[59:60], null, v11, s8, s[10:11]
	v_mul_lo_u32 v65, v11, s9
	v_mul_lo_u32 v66, v12, s8
	v_mov_b32_e32 v113, 1
	v_mov_b32_e32 v114, 0
	s_mov_b32 s22, exec_lo
	v_add3_u32 v58, v62, v58, v61
	s_delay_alu instid0(VALU_DEP_4)
	v_add3_u32 v60, v66, v60, v65
	s_clause 0x1
	global_load_u8 v61, v[57:58], off
	global_load_u8 v62, v[59:60], off
	s_waitcnt vmcnt(0)
	v_cmpx_eq_u16_e64 v61, v62
	s_cbranch_execz .LBB81_364
; %bb.357:
	s_mov_b64 s[14:15], 1
	s_mov_b32 s23, 0
                                        ; implicit-def: $sgpr24
	s_set_inst_prefetch_distance 0x1
	s_branch .LBB81_360
	.p2align	6
.LBB81_358:                             ;   in Loop: Header=BB81_360 Depth=1
	v_add_co_u32 v61, vcc_lo, v57, s14
	v_add_co_ci_u32_e32 v62, vcc_lo, s15, v58, vcc_lo
	v_add_co_u32 v65, vcc_lo, v59, s14
	v_add_co_ci_u32_e32 v66, vcc_lo, s15, v60, vcc_lo
	s_add_u32 s18, s14, 1
	s_clause 0x1
	global_load_u8 v61, v[61:62], off
	global_load_u8 v62, v[65:66], off
	s_addc_u32 s19, s15, 0
	s_and_not1_b32 s24, s24, exec_lo
	s_waitcnt vmcnt(0)
	v_cmp_ne_u16_e32 vcc_lo, v61, v62
	s_and_b32 s25, vcc_lo, exec_lo
	s_delay_alu instid0(SALU_CYCLE_1)
	s_or_b32 s24, s24, s25
.LBB81_359:                             ;   in Loop: Header=BB81_360 Depth=1
	v_dual_mov_b32 v62, s15 :: v_dual_mov_b32 v61, s14
	s_and_b32 s25, exec_lo, s24
	s_mov_b64 s[14:15], s[18:19]
	s_or_b32 s23, s25, s23
	s_delay_alu instid0(SALU_CYCLE_1)
	s_and_not1_b32 exec_lo, exec_lo, s23
	s_cbranch_execz .LBB81_363
.LBB81_360:                             ; =>This Inner Loop Header: Depth=1
	s_or_b32 s24, s24, exec_lo
	s_cmp_eq_u64 s[8:9], s[14:15]
	s_cbranch_scc0 .LBB81_358
; %bb.361:                              ;   in Loop: Header=BB81_360 Depth=1
	s_mov_b64 s[14:15], s[8:9]
                                        ; implicit-def: $sgpr18_sgpr19
	s_branch .LBB81_359
.LBB81_362:
	v_mov_b32_e32 v113, 0
	v_mov_b32_e32 v114, 0
	s_branch .LBB81_365
.LBB81_363:
	s_set_inst_prefetch_distance 0x2
	s_or_b32 exec_lo, exec_lo, s23
	v_cmp_gt_i64_e32 vcc_lo, s[8:9], v[61:62]
	s_mov_b32 s14, 0
	s_delay_alu instid0(SALU_CYCLE_1)
	v_mov_b32_e32 v114, s14
	v_cndmask_b32_e64 v113, 0, 1, vcc_lo
.LBB81_364:
	s_or_b32 exec_lo, exec_lo, s22
.LBB81_365:
	s_delay_alu instid0(SALU_CYCLE_1) | instskip(SKIP_3) | instid1(VALU_DEP_2)
	s_or_b32 exec_lo, exec_lo, s21
	v_dual_mov_b32 v118, v12 :: v_dual_add_nc_u32 v57, 25, v64
	v_mov_b32_e32 v117, v11
	s_mov_b32 s21, exec_lo
	v_cmpx_gt_u32_e64 s20, v57
	s_cbranch_execz .LBB81_376
; %bb.366:
	v_cmp_ne_u32_e32 vcc_lo, 1, v63
	s_cbranch_vccnz .LBB81_373
; %bb.367:
	v_mad_u64_u32 v[57:58], null, v11, s8, s[10:11]
	s_waitcnt lgkmcnt(0)
	v_mul_lo_u32 v61, v11, s9
	v_mul_lo_u32 v62, v12, s8
	v_mad_u64_u32 v[59:60], null, v9, s8, s[10:11]
	v_mul_lo_u32 v65, v9, s9
	v_mul_lo_u32 v66, v10, s8
	v_mov_b32_e32 v117, 1
	v_mov_b32_e32 v118, 0
	s_mov_b32 s22, exec_lo
	v_add3_u32 v58, v62, v58, v61
	s_delay_alu instid0(VALU_DEP_4)
	v_add3_u32 v60, v66, v60, v65
	s_clause 0x1
	global_load_u8 v61, v[57:58], off
	global_load_u8 v62, v[59:60], off
	s_waitcnt vmcnt(0)
	v_cmpx_eq_u16_e64 v61, v62
	s_cbranch_execz .LBB81_375
; %bb.368:
	s_mov_b64 s[14:15], 1
	s_mov_b32 s23, 0
                                        ; implicit-def: $sgpr24
	s_set_inst_prefetch_distance 0x1
	s_branch .LBB81_371
	.p2align	6
.LBB81_369:                             ;   in Loop: Header=BB81_371 Depth=1
	v_add_co_u32 v61, vcc_lo, v57, s14
	v_add_co_ci_u32_e32 v62, vcc_lo, s15, v58, vcc_lo
	v_add_co_u32 v65, vcc_lo, v59, s14
	v_add_co_ci_u32_e32 v66, vcc_lo, s15, v60, vcc_lo
	s_add_u32 s18, s14, 1
	s_clause 0x1
	global_load_u8 v61, v[61:62], off
	global_load_u8 v62, v[65:66], off
	s_addc_u32 s19, s15, 0
	s_and_not1_b32 s24, s24, exec_lo
	s_waitcnt vmcnt(0)
	v_cmp_ne_u16_e32 vcc_lo, v61, v62
	s_and_b32 s25, vcc_lo, exec_lo
	s_delay_alu instid0(SALU_CYCLE_1)
	s_or_b32 s24, s24, s25
.LBB81_370:                             ;   in Loop: Header=BB81_371 Depth=1
	v_dual_mov_b32 v62, s15 :: v_dual_mov_b32 v61, s14
	s_and_b32 s25, exec_lo, s24
	s_mov_b64 s[14:15], s[18:19]
	s_or_b32 s23, s25, s23
	s_delay_alu instid0(SALU_CYCLE_1)
	s_and_not1_b32 exec_lo, exec_lo, s23
	s_cbranch_execz .LBB81_374
.LBB81_371:                             ; =>This Inner Loop Header: Depth=1
	s_or_b32 s24, s24, exec_lo
	s_cmp_eq_u64 s[8:9], s[14:15]
	s_cbranch_scc0 .LBB81_369
; %bb.372:                              ;   in Loop: Header=BB81_371 Depth=1
	s_mov_b64 s[14:15], s[8:9]
                                        ; implicit-def: $sgpr18_sgpr19
	s_branch .LBB81_370
.LBB81_373:
	v_mov_b32_e32 v117, 0
	v_mov_b32_e32 v118, 0
	s_branch .LBB81_376
.LBB81_374:
	s_set_inst_prefetch_distance 0x2
	s_or_b32 exec_lo, exec_lo, s23
	v_cmp_gt_i64_e32 vcc_lo, s[8:9], v[61:62]
	s_mov_b32 s14, 0
	s_delay_alu instid0(SALU_CYCLE_1)
	v_mov_b32_e32 v118, s14
	v_cndmask_b32_e64 v117, 0, 1, vcc_lo
.LBB81_375:
	s_or_b32 exec_lo, exec_lo, s22
.LBB81_376:
	s_delay_alu instid0(SALU_CYCLE_1) | instskip(SKIP_3) | instid1(VALU_DEP_2)
	s_or_b32 exec_lo, exec_lo, s21
	v_dual_mov_b32 v120, v10 :: v_dual_add_nc_u32 v57, 24, v64
	v_mov_b32_e32 v119, v9
	s_mov_b32 s21, exec_lo
	v_cmpx_gt_u32_e64 s20, v57
	s_cbranch_execz .LBB81_387
; %bb.377:
	v_cmp_ne_u32_e32 vcc_lo, 1, v63
	s_cbranch_vccnz .LBB81_384
; %bb.378:
	v_mad_u64_u32 v[57:58], null, v9, s8, s[10:11]
	s_waitcnt lgkmcnt(0)
	v_mul_lo_u32 v61, v9, s9
	v_mul_lo_u32 v62, v10, s8
	v_mad_u64_u32 v[59:60], null, v55, s8, s[10:11]
	v_mul_lo_u32 v65, v55, s9
	v_mul_lo_u32 v66, v56, s8
	v_mov_b32_e32 v119, 1
	v_mov_b32_e32 v120, 0
	s_mov_b32 s22, exec_lo
	v_add3_u32 v58, v62, v58, v61
	s_delay_alu instid0(VALU_DEP_4)
	v_add3_u32 v60, v66, v60, v65
	s_clause 0x1
	global_load_u8 v61, v[57:58], off
	global_load_u8 v62, v[59:60], off
	s_waitcnt vmcnt(0)
	v_cmpx_eq_u16_e64 v61, v62
	s_cbranch_execz .LBB81_386
; %bb.379:
	s_mov_b64 s[14:15], 1
	s_mov_b32 s23, 0
                                        ; implicit-def: $sgpr24
	s_set_inst_prefetch_distance 0x1
	s_branch .LBB81_382
	.p2align	6
.LBB81_380:                             ;   in Loop: Header=BB81_382 Depth=1
	v_add_co_u32 v61, vcc_lo, v57, s14
	v_add_co_ci_u32_e32 v62, vcc_lo, s15, v58, vcc_lo
	v_add_co_u32 v65, vcc_lo, v59, s14
	v_add_co_ci_u32_e32 v66, vcc_lo, s15, v60, vcc_lo
	s_add_u32 s18, s14, 1
	s_clause 0x1
	global_load_u8 v61, v[61:62], off
	global_load_u8 v62, v[65:66], off
	s_addc_u32 s19, s15, 0
	s_and_not1_b32 s24, s24, exec_lo
	s_waitcnt vmcnt(0)
	v_cmp_ne_u16_e32 vcc_lo, v61, v62
	s_and_b32 s25, vcc_lo, exec_lo
	s_delay_alu instid0(SALU_CYCLE_1)
	s_or_b32 s24, s24, s25
.LBB81_381:                             ;   in Loop: Header=BB81_382 Depth=1
	v_dual_mov_b32 v62, s15 :: v_dual_mov_b32 v61, s14
	s_and_b32 s25, exec_lo, s24
	s_mov_b64 s[14:15], s[18:19]
	s_or_b32 s23, s25, s23
	s_delay_alu instid0(SALU_CYCLE_1)
	s_and_not1_b32 exec_lo, exec_lo, s23
	s_cbranch_execz .LBB81_385
.LBB81_382:                             ; =>This Inner Loop Header: Depth=1
	s_or_b32 s24, s24, exec_lo
	s_cmp_eq_u64 s[8:9], s[14:15]
	s_cbranch_scc0 .LBB81_380
; %bb.383:                              ;   in Loop: Header=BB81_382 Depth=1
	s_mov_b64 s[14:15], s[8:9]
                                        ; implicit-def: $sgpr18_sgpr19
	s_branch .LBB81_381
.LBB81_384:
	v_mov_b32_e32 v119, 0
	v_mov_b32_e32 v120, 0
	s_branch .LBB81_387
.LBB81_385:
	s_set_inst_prefetch_distance 0x2
	s_or_b32 exec_lo, exec_lo, s23
	v_cmp_gt_i64_e32 vcc_lo, s[8:9], v[61:62]
	s_mov_b32 s14, 0
	s_delay_alu instid0(SALU_CYCLE_1)
	v_mov_b32_e32 v120, s14
	v_cndmask_b32_e64 v119, 0, 1, vcc_lo
.LBB81_386:
	s_or_b32 exec_lo, exec_lo, s22
.LBB81_387:
	s_delay_alu instid0(SALU_CYCLE_1) | instskip(SKIP_3) | instid1(VALU_DEP_2)
	s_or_b32 exec_lo, exec_lo, s21
	v_dual_mov_b32 v122, v56 :: v_dual_add_nc_u32 v57, 23, v64
	v_mov_b32_e32 v121, v55
	s_mov_b32 s21, exec_lo
	v_cmpx_gt_u32_e64 s20, v57
	s_cbranch_execz .LBB81_398
; %bb.388:
	v_cmp_ne_u32_e32 vcc_lo, 1, v63
	s_cbranch_vccnz .LBB81_395
; %bb.389:
	v_mad_u64_u32 v[57:58], null, v55, s8, s[10:11]
	s_waitcnt lgkmcnt(0)
	v_mul_lo_u32 v61, v55, s9
	v_mul_lo_u32 v62, v56, s8
	v_mad_u64_u32 v[59:60], null, v53, s8, s[10:11]
	v_mul_lo_u32 v65, v53, s9
	v_mul_lo_u32 v66, v54, s8
	v_mov_b32_e32 v121, 1
	v_mov_b32_e32 v122, 0
	s_mov_b32 s22, exec_lo
	v_add3_u32 v58, v62, v58, v61
	s_delay_alu instid0(VALU_DEP_4)
	v_add3_u32 v60, v66, v60, v65
	s_clause 0x1
	global_load_u8 v61, v[57:58], off
	global_load_u8 v62, v[59:60], off
	s_waitcnt vmcnt(0)
	v_cmpx_eq_u16_e64 v61, v62
	s_cbranch_execz .LBB81_397
; %bb.390:
	s_mov_b64 s[14:15], 1
	s_mov_b32 s23, 0
                                        ; implicit-def: $sgpr24
	s_set_inst_prefetch_distance 0x1
	s_branch .LBB81_393
	.p2align	6
.LBB81_391:                             ;   in Loop: Header=BB81_393 Depth=1
	v_add_co_u32 v61, vcc_lo, v57, s14
	v_add_co_ci_u32_e32 v62, vcc_lo, s15, v58, vcc_lo
	v_add_co_u32 v65, vcc_lo, v59, s14
	v_add_co_ci_u32_e32 v66, vcc_lo, s15, v60, vcc_lo
	s_add_u32 s18, s14, 1
	s_clause 0x1
	global_load_u8 v61, v[61:62], off
	global_load_u8 v62, v[65:66], off
	s_addc_u32 s19, s15, 0
	s_and_not1_b32 s24, s24, exec_lo
	s_waitcnt vmcnt(0)
	v_cmp_ne_u16_e32 vcc_lo, v61, v62
	s_and_b32 s25, vcc_lo, exec_lo
	s_delay_alu instid0(SALU_CYCLE_1)
	s_or_b32 s24, s24, s25
.LBB81_392:                             ;   in Loop: Header=BB81_393 Depth=1
	v_dual_mov_b32 v62, s15 :: v_dual_mov_b32 v61, s14
	s_and_b32 s25, exec_lo, s24
	s_mov_b64 s[14:15], s[18:19]
	s_or_b32 s23, s25, s23
	s_delay_alu instid0(SALU_CYCLE_1)
	s_and_not1_b32 exec_lo, exec_lo, s23
	s_cbranch_execz .LBB81_396
.LBB81_393:                             ; =>This Inner Loop Header: Depth=1
	s_or_b32 s24, s24, exec_lo
	s_cmp_eq_u64 s[8:9], s[14:15]
	s_cbranch_scc0 .LBB81_391
; %bb.394:                              ;   in Loop: Header=BB81_393 Depth=1
	s_mov_b64 s[14:15], s[8:9]
                                        ; implicit-def: $sgpr18_sgpr19
	s_branch .LBB81_392
.LBB81_395:
	v_mov_b32_e32 v121, 0
	v_mov_b32_e32 v122, 0
	s_branch .LBB81_398
.LBB81_396:
	s_set_inst_prefetch_distance 0x2
	s_or_b32 exec_lo, exec_lo, s23
	v_cmp_gt_i64_e32 vcc_lo, s[8:9], v[61:62]
	s_mov_b32 s14, 0
	s_delay_alu instid0(SALU_CYCLE_1)
	v_mov_b32_e32 v122, s14
	v_cndmask_b32_e64 v121, 0, 1, vcc_lo
.LBB81_397:
	s_or_b32 exec_lo, exec_lo, s22
.LBB81_398:
	s_delay_alu instid0(SALU_CYCLE_1) | instskip(SKIP_3) | instid1(VALU_DEP_2)
	s_or_b32 exec_lo, exec_lo, s21
	v_dual_mov_b32 v124, v54 :: v_dual_add_nc_u32 v57, 22, v64
	v_mov_b32_e32 v123, v53
	s_mov_b32 s21, exec_lo
	v_cmpx_gt_u32_e64 s20, v57
	s_cbranch_execz .LBB81_409
; %bb.399:
	v_cmp_ne_u32_e32 vcc_lo, 1, v63
	s_cbranch_vccnz .LBB81_406
; %bb.400:
	v_mad_u64_u32 v[57:58], null, v53, s8, s[10:11]
	s_waitcnt lgkmcnt(0)
	v_mul_lo_u32 v61, v53, s9
	v_mul_lo_u32 v62, v54, s8
	v_mad_u64_u32 v[59:60], null, v51, s8, s[10:11]
	v_mul_lo_u32 v65, v51, s9
	v_mul_lo_u32 v66, v52, s8
	v_mov_b32_e32 v123, 1
	v_mov_b32_e32 v124, 0
	s_mov_b32 s22, exec_lo
	v_add3_u32 v58, v62, v58, v61
	s_delay_alu instid0(VALU_DEP_4)
	v_add3_u32 v60, v66, v60, v65
	s_clause 0x1
	global_load_u8 v61, v[57:58], off
	global_load_u8 v62, v[59:60], off
	s_waitcnt vmcnt(0)
	v_cmpx_eq_u16_e64 v61, v62
	s_cbranch_execz .LBB81_408
; %bb.401:
	s_mov_b64 s[14:15], 1
	s_mov_b32 s23, 0
                                        ; implicit-def: $sgpr24
	s_set_inst_prefetch_distance 0x1
	s_branch .LBB81_404
	.p2align	6
.LBB81_402:                             ;   in Loop: Header=BB81_404 Depth=1
	v_add_co_u32 v61, vcc_lo, v57, s14
	v_add_co_ci_u32_e32 v62, vcc_lo, s15, v58, vcc_lo
	v_add_co_u32 v65, vcc_lo, v59, s14
	v_add_co_ci_u32_e32 v66, vcc_lo, s15, v60, vcc_lo
	s_add_u32 s18, s14, 1
	s_clause 0x1
	global_load_u8 v61, v[61:62], off
	global_load_u8 v62, v[65:66], off
	s_addc_u32 s19, s15, 0
	s_and_not1_b32 s24, s24, exec_lo
	s_waitcnt vmcnt(0)
	v_cmp_ne_u16_e32 vcc_lo, v61, v62
	s_and_b32 s25, vcc_lo, exec_lo
	s_delay_alu instid0(SALU_CYCLE_1)
	s_or_b32 s24, s24, s25
.LBB81_403:                             ;   in Loop: Header=BB81_404 Depth=1
	v_dual_mov_b32 v62, s15 :: v_dual_mov_b32 v61, s14
	s_and_b32 s25, exec_lo, s24
	s_mov_b64 s[14:15], s[18:19]
	s_or_b32 s23, s25, s23
	s_delay_alu instid0(SALU_CYCLE_1)
	s_and_not1_b32 exec_lo, exec_lo, s23
	s_cbranch_execz .LBB81_407
.LBB81_404:                             ; =>This Inner Loop Header: Depth=1
	s_or_b32 s24, s24, exec_lo
	s_cmp_eq_u64 s[8:9], s[14:15]
	s_cbranch_scc0 .LBB81_402
; %bb.405:                              ;   in Loop: Header=BB81_404 Depth=1
	s_mov_b64 s[14:15], s[8:9]
                                        ; implicit-def: $sgpr18_sgpr19
	s_branch .LBB81_403
.LBB81_406:
	v_mov_b32_e32 v123, 0
	v_mov_b32_e32 v124, 0
	s_branch .LBB81_409
.LBB81_407:
	s_set_inst_prefetch_distance 0x2
	s_or_b32 exec_lo, exec_lo, s23
	v_cmp_gt_i64_e32 vcc_lo, s[8:9], v[61:62]
	s_mov_b32 s14, 0
	s_delay_alu instid0(SALU_CYCLE_1)
	v_mov_b32_e32 v124, s14
	v_cndmask_b32_e64 v123, 0, 1, vcc_lo
.LBB81_408:
	s_or_b32 exec_lo, exec_lo, s22
.LBB81_409:
	s_delay_alu instid0(SALU_CYCLE_1) | instskip(SKIP_3) | instid1(VALU_DEP_2)
	s_or_b32 exec_lo, exec_lo, s21
	v_dual_mov_b32 v126, v52 :: v_dual_add_nc_u32 v57, 21, v64
	v_mov_b32_e32 v125, v51
	s_mov_b32 s21, exec_lo
	v_cmpx_gt_u32_e64 s20, v57
	s_cbranch_execz .LBB81_420
; %bb.410:
	v_cmp_ne_u32_e32 vcc_lo, 1, v63
	s_cbranch_vccnz .LBB81_417
; %bb.411:
	v_mad_u64_u32 v[57:58], null, v51, s8, s[10:11]
	s_waitcnt lgkmcnt(0)
	v_mul_lo_u32 v61, v51, s9
	v_mul_lo_u32 v62, v52, s8
	v_mad_u64_u32 v[59:60], null, v49, s8, s[10:11]
	v_mul_lo_u32 v65, v49, s9
	v_mul_lo_u32 v66, v50, s8
	v_mov_b32_e32 v125, 1
	v_mov_b32_e32 v126, 0
	s_mov_b32 s22, exec_lo
	v_add3_u32 v58, v62, v58, v61
	s_delay_alu instid0(VALU_DEP_4)
	v_add3_u32 v60, v66, v60, v65
	s_clause 0x1
	global_load_u8 v61, v[57:58], off
	global_load_u8 v62, v[59:60], off
	s_waitcnt vmcnt(0)
	v_cmpx_eq_u16_e64 v61, v62
	s_cbranch_execz .LBB81_419
; %bb.412:
	s_mov_b64 s[14:15], 1
	s_mov_b32 s23, 0
                                        ; implicit-def: $sgpr24
	s_set_inst_prefetch_distance 0x1
	s_branch .LBB81_415
	.p2align	6
.LBB81_413:                             ;   in Loop: Header=BB81_415 Depth=1
	v_add_co_u32 v61, vcc_lo, v57, s14
	v_add_co_ci_u32_e32 v62, vcc_lo, s15, v58, vcc_lo
	v_add_co_u32 v65, vcc_lo, v59, s14
	v_add_co_ci_u32_e32 v66, vcc_lo, s15, v60, vcc_lo
	s_add_u32 s18, s14, 1
	s_clause 0x1
	global_load_u8 v61, v[61:62], off
	global_load_u8 v62, v[65:66], off
	s_addc_u32 s19, s15, 0
	s_and_not1_b32 s24, s24, exec_lo
	s_waitcnt vmcnt(0)
	v_cmp_ne_u16_e32 vcc_lo, v61, v62
	s_and_b32 s25, vcc_lo, exec_lo
	s_delay_alu instid0(SALU_CYCLE_1)
	s_or_b32 s24, s24, s25
.LBB81_414:                             ;   in Loop: Header=BB81_415 Depth=1
	v_dual_mov_b32 v62, s15 :: v_dual_mov_b32 v61, s14
	s_and_b32 s25, exec_lo, s24
	s_mov_b64 s[14:15], s[18:19]
	s_or_b32 s23, s25, s23
	s_delay_alu instid0(SALU_CYCLE_1)
	s_and_not1_b32 exec_lo, exec_lo, s23
	s_cbranch_execz .LBB81_418
.LBB81_415:                             ; =>This Inner Loop Header: Depth=1
	s_or_b32 s24, s24, exec_lo
	s_cmp_eq_u64 s[8:9], s[14:15]
	s_cbranch_scc0 .LBB81_413
; %bb.416:                              ;   in Loop: Header=BB81_415 Depth=1
	s_mov_b64 s[14:15], s[8:9]
                                        ; implicit-def: $sgpr18_sgpr19
	s_branch .LBB81_414
.LBB81_417:
	v_mov_b32_e32 v125, 0
	v_mov_b32_e32 v126, 0
	s_branch .LBB81_420
.LBB81_418:
	s_set_inst_prefetch_distance 0x2
	s_or_b32 exec_lo, exec_lo, s23
	v_cmp_gt_i64_e32 vcc_lo, s[8:9], v[61:62]
	s_mov_b32 s14, 0
	s_delay_alu instid0(SALU_CYCLE_1)
	v_mov_b32_e32 v126, s14
	v_cndmask_b32_e64 v125, 0, 1, vcc_lo
.LBB81_419:
	s_or_b32 exec_lo, exec_lo, s22
.LBB81_420:
	s_delay_alu instid0(SALU_CYCLE_1) | instskip(SKIP_3) | instid1(VALU_DEP_2)
	s_or_b32 exec_lo, exec_lo, s21
	v_dual_mov_b32 v128, v50 :: v_dual_add_nc_u32 v57, 20, v64
	v_mov_b32_e32 v127, v49
	s_mov_b32 s21, exec_lo
	v_cmpx_gt_u32_e64 s20, v57
	s_cbranch_execz .LBB81_431
; %bb.421:
	v_cmp_ne_u32_e32 vcc_lo, 1, v63
	s_cbranch_vccnz .LBB81_428
; %bb.422:
	v_mad_u64_u32 v[57:58], null, v49, s8, s[10:11]
	s_waitcnt lgkmcnt(0)
	v_mul_lo_u32 v61, v49, s9
	v_mul_lo_u32 v62, v50, s8
	v_mad_u64_u32 v[59:60], null, v47, s8, s[10:11]
	v_mul_lo_u32 v65, v47, s9
	v_mul_lo_u32 v66, v48, s8
	v_mov_b32_e32 v127, 1
	v_mov_b32_e32 v128, 0
	s_mov_b32 s22, exec_lo
	v_add3_u32 v58, v62, v58, v61
	s_delay_alu instid0(VALU_DEP_4)
	v_add3_u32 v60, v66, v60, v65
	s_clause 0x1
	global_load_u8 v61, v[57:58], off
	global_load_u8 v62, v[59:60], off
	s_waitcnt vmcnt(0)
	v_cmpx_eq_u16_e64 v61, v62
	s_cbranch_execz .LBB81_430
; %bb.423:
	s_mov_b64 s[14:15], 1
	s_mov_b32 s23, 0
                                        ; implicit-def: $sgpr24
	s_set_inst_prefetch_distance 0x1
	s_branch .LBB81_426
	.p2align	6
.LBB81_424:                             ;   in Loop: Header=BB81_426 Depth=1
	v_add_co_u32 v61, vcc_lo, v57, s14
	v_add_co_ci_u32_e32 v62, vcc_lo, s15, v58, vcc_lo
	v_add_co_u32 v65, vcc_lo, v59, s14
	v_add_co_ci_u32_e32 v66, vcc_lo, s15, v60, vcc_lo
	s_add_u32 s18, s14, 1
	s_clause 0x1
	global_load_u8 v61, v[61:62], off
	global_load_u8 v62, v[65:66], off
	s_addc_u32 s19, s15, 0
	s_and_not1_b32 s24, s24, exec_lo
	s_waitcnt vmcnt(0)
	v_cmp_ne_u16_e32 vcc_lo, v61, v62
	s_and_b32 s25, vcc_lo, exec_lo
	s_delay_alu instid0(SALU_CYCLE_1)
	s_or_b32 s24, s24, s25
.LBB81_425:                             ;   in Loop: Header=BB81_426 Depth=1
	v_dual_mov_b32 v62, s15 :: v_dual_mov_b32 v61, s14
	s_and_b32 s25, exec_lo, s24
	s_mov_b64 s[14:15], s[18:19]
	s_or_b32 s23, s25, s23
	s_delay_alu instid0(SALU_CYCLE_1)
	s_and_not1_b32 exec_lo, exec_lo, s23
	s_cbranch_execz .LBB81_429
.LBB81_426:                             ; =>This Inner Loop Header: Depth=1
	s_or_b32 s24, s24, exec_lo
	s_cmp_eq_u64 s[8:9], s[14:15]
	s_cbranch_scc0 .LBB81_424
; %bb.427:                              ;   in Loop: Header=BB81_426 Depth=1
	s_mov_b64 s[14:15], s[8:9]
                                        ; implicit-def: $sgpr18_sgpr19
	s_branch .LBB81_425
.LBB81_428:
	v_mov_b32_e32 v127, 0
	v_mov_b32_e32 v128, 0
	s_branch .LBB81_431
.LBB81_429:
	s_set_inst_prefetch_distance 0x2
	s_or_b32 exec_lo, exec_lo, s23
	v_cmp_gt_i64_e32 vcc_lo, s[8:9], v[61:62]
	s_mov_b32 s14, 0
	s_delay_alu instid0(SALU_CYCLE_1)
	v_mov_b32_e32 v128, s14
	v_cndmask_b32_e64 v127, 0, 1, vcc_lo
.LBB81_430:
	s_or_b32 exec_lo, exec_lo, s22
.LBB81_431:
	s_delay_alu instid0(SALU_CYCLE_1) | instskip(SKIP_3) | instid1(VALU_DEP_2)
	s_or_b32 exec_lo, exec_lo, s21
	v_dual_mov_b32 v130, v48 :: v_dual_add_nc_u32 v57, 19, v64
	v_mov_b32_e32 v129, v47
	s_mov_b32 s21, exec_lo
	v_cmpx_gt_u32_e64 s20, v57
	s_cbranch_execz .LBB81_442
; %bb.432:
	v_cmp_ne_u32_e32 vcc_lo, 1, v63
	s_cbranch_vccnz .LBB81_439
; %bb.433:
	v_mad_u64_u32 v[57:58], null, v47, s8, s[10:11]
	s_waitcnt lgkmcnt(0)
	v_mul_lo_u32 v61, v47, s9
	v_mul_lo_u32 v62, v48, s8
	v_mad_u64_u32 v[59:60], null, v45, s8, s[10:11]
	v_mul_lo_u32 v65, v45, s9
	v_mul_lo_u32 v66, v46, s8
	v_mov_b32_e32 v129, 1
	v_mov_b32_e32 v130, 0
	s_mov_b32 s22, exec_lo
	v_add3_u32 v58, v62, v58, v61
	s_delay_alu instid0(VALU_DEP_4)
	v_add3_u32 v60, v66, v60, v65
	s_clause 0x1
	global_load_u8 v61, v[57:58], off
	global_load_u8 v62, v[59:60], off
	s_waitcnt vmcnt(0)
	v_cmpx_eq_u16_e64 v61, v62
	s_cbranch_execz .LBB81_441
; %bb.434:
	s_mov_b64 s[14:15], 1
	s_mov_b32 s23, 0
                                        ; implicit-def: $sgpr24
	s_set_inst_prefetch_distance 0x1
	s_branch .LBB81_437
	.p2align	6
.LBB81_435:                             ;   in Loop: Header=BB81_437 Depth=1
	v_add_co_u32 v61, vcc_lo, v57, s14
	v_add_co_ci_u32_e32 v62, vcc_lo, s15, v58, vcc_lo
	v_add_co_u32 v65, vcc_lo, v59, s14
	v_add_co_ci_u32_e32 v66, vcc_lo, s15, v60, vcc_lo
	s_add_u32 s18, s14, 1
	s_clause 0x1
	global_load_u8 v61, v[61:62], off
	global_load_u8 v62, v[65:66], off
	s_addc_u32 s19, s15, 0
	s_and_not1_b32 s24, s24, exec_lo
	s_waitcnt vmcnt(0)
	v_cmp_ne_u16_e32 vcc_lo, v61, v62
	s_and_b32 s25, vcc_lo, exec_lo
	s_delay_alu instid0(SALU_CYCLE_1)
	s_or_b32 s24, s24, s25
.LBB81_436:                             ;   in Loop: Header=BB81_437 Depth=1
	v_dual_mov_b32 v62, s15 :: v_dual_mov_b32 v61, s14
	s_and_b32 s25, exec_lo, s24
	s_mov_b64 s[14:15], s[18:19]
	s_or_b32 s23, s25, s23
	s_delay_alu instid0(SALU_CYCLE_1)
	s_and_not1_b32 exec_lo, exec_lo, s23
	s_cbranch_execz .LBB81_440
.LBB81_437:                             ; =>This Inner Loop Header: Depth=1
	s_or_b32 s24, s24, exec_lo
	s_cmp_eq_u64 s[8:9], s[14:15]
	s_cbranch_scc0 .LBB81_435
; %bb.438:                              ;   in Loop: Header=BB81_437 Depth=1
	s_mov_b64 s[14:15], s[8:9]
                                        ; implicit-def: $sgpr18_sgpr19
	s_branch .LBB81_436
.LBB81_439:
	v_mov_b32_e32 v129, 0
	v_mov_b32_e32 v130, 0
	s_branch .LBB81_442
.LBB81_440:
	s_set_inst_prefetch_distance 0x2
	s_or_b32 exec_lo, exec_lo, s23
	v_cmp_gt_i64_e32 vcc_lo, s[8:9], v[61:62]
	s_mov_b32 s14, 0
	s_delay_alu instid0(SALU_CYCLE_1)
	v_mov_b32_e32 v130, s14
	v_cndmask_b32_e64 v129, 0, 1, vcc_lo
.LBB81_441:
	s_or_b32 exec_lo, exec_lo, s22
.LBB81_442:
	s_delay_alu instid0(SALU_CYCLE_1) | instskip(SKIP_3) | instid1(VALU_DEP_2)
	s_or_b32 exec_lo, exec_lo, s21
	v_dual_mov_b32 v132, v46 :: v_dual_add_nc_u32 v57, 18, v64
	v_mov_b32_e32 v131, v45
	s_mov_b32 s21, exec_lo
	v_cmpx_gt_u32_e64 s20, v57
	s_cbranch_execz .LBB81_453
; %bb.443:
	v_cmp_ne_u32_e32 vcc_lo, 1, v63
	s_cbranch_vccnz .LBB81_450
; %bb.444:
	v_mad_u64_u32 v[57:58], null, v45, s8, s[10:11]
	s_waitcnt lgkmcnt(0)
	v_mul_lo_u32 v61, v45, s9
	v_mul_lo_u32 v62, v46, s8
	v_mad_u64_u32 v[59:60], null, v43, s8, s[10:11]
	v_mul_lo_u32 v65, v43, s9
	v_mul_lo_u32 v66, v44, s8
	v_mov_b32_e32 v131, 1
	v_mov_b32_e32 v132, 0
	s_mov_b32 s22, exec_lo
	v_add3_u32 v58, v62, v58, v61
	s_delay_alu instid0(VALU_DEP_4)
	v_add3_u32 v60, v66, v60, v65
	s_clause 0x1
	global_load_u8 v61, v[57:58], off
	global_load_u8 v62, v[59:60], off
	s_waitcnt vmcnt(0)
	v_cmpx_eq_u16_e64 v61, v62
	s_cbranch_execz .LBB81_452
; %bb.445:
	s_mov_b64 s[14:15], 1
	s_mov_b32 s23, 0
                                        ; implicit-def: $sgpr24
	s_set_inst_prefetch_distance 0x1
	s_branch .LBB81_448
	.p2align	6
.LBB81_446:                             ;   in Loop: Header=BB81_448 Depth=1
	v_add_co_u32 v61, vcc_lo, v57, s14
	v_add_co_ci_u32_e32 v62, vcc_lo, s15, v58, vcc_lo
	v_add_co_u32 v65, vcc_lo, v59, s14
	v_add_co_ci_u32_e32 v66, vcc_lo, s15, v60, vcc_lo
	s_add_u32 s18, s14, 1
	s_clause 0x1
	global_load_u8 v61, v[61:62], off
	global_load_u8 v62, v[65:66], off
	s_addc_u32 s19, s15, 0
	s_and_not1_b32 s24, s24, exec_lo
	s_waitcnt vmcnt(0)
	v_cmp_ne_u16_e32 vcc_lo, v61, v62
	s_and_b32 s25, vcc_lo, exec_lo
	s_delay_alu instid0(SALU_CYCLE_1)
	s_or_b32 s24, s24, s25
.LBB81_447:                             ;   in Loop: Header=BB81_448 Depth=1
	v_dual_mov_b32 v62, s15 :: v_dual_mov_b32 v61, s14
	s_and_b32 s25, exec_lo, s24
	s_mov_b64 s[14:15], s[18:19]
	s_or_b32 s23, s25, s23
	s_delay_alu instid0(SALU_CYCLE_1)
	s_and_not1_b32 exec_lo, exec_lo, s23
	s_cbranch_execz .LBB81_451
.LBB81_448:                             ; =>This Inner Loop Header: Depth=1
	s_or_b32 s24, s24, exec_lo
	s_cmp_eq_u64 s[8:9], s[14:15]
	s_cbranch_scc0 .LBB81_446
; %bb.449:                              ;   in Loop: Header=BB81_448 Depth=1
	s_mov_b64 s[14:15], s[8:9]
                                        ; implicit-def: $sgpr18_sgpr19
	s_branch .LBB81_447
.LBB81_450:
	v_mov_b32_e32 v131, 0
	v_mov_b32_e32 v132, 0
	s_branch .LBB81_453
.LBB81_451:
	s_set_inst_prefetch_distance 0x2
	s_or_b32 exec_lo, exec_lo, s23
	v_cmp_gt_i64_e32 vcc_lo, s[8:9], v[61:62]
	s_mov_b32 s14, 0
	s_delay_alu instid0(SALU_CYCLE_1)
	v_mov_b32_e32 v132, s14
	v_cndmask_b32_e64 v131, 0, 1, vcc_lo
.LBB81_452:
	s_or_b32 exec_lo, exec_lo, s22
.LBB81_453:
	s_delay_alu instid0(SALU_CYCLE_1) | instskip(SKIP_3) | instid1(VALU_DEP_2)
	s_or_b32 exec_lo, exec_lo, s21
	v_dual_mov_b32 v134, v44 :: v_dual_add_nc_u32 v57, 17, v64
	v_mov_b32_e32 v133, v43
	s_mov_b32 s21, exec_lo
	v_cmpx_gt_u32_e64 s20, v57
	s_cbranch_execz .LBB81_464
; %bb.454:
	v_cmp_ne_u32_e32 vcc_lo, 1, v63
	s_cbranch_vccnz .LBB81_461
; %bb.455:
	v_mad_u64_u32 v[57:58], null, v43, s8, s[10:11]
	s_waitcnt lgkmcnt(0)
	v_mul_lo_u32 v61, v43, s9
	v_mul_lo_u32 v62, v44, s8
	v_mad_u64_u32 v[59:60], null, v41, s8, s[10:11]
	v_mul_lo_u32 v65, v41, s9
	v_mul_lo_u32 v66, v42, s8
	v_mov_b32_e32 v133, 1
	v_mov_b32_e32 v134, 0
	s_mov_b32 s22, exec_lo
	v_add3_u32 v58, v62, v58, v61
	s_delay_alu instid0(VALU_DEP_4)
	v_add3_u32 v60, v66, v60, v65
	s_clause 0x1
	global_load_u8 v61, v[57:58], off
	global_load_u8 v62, v[59:60], off
	s_waitcnt vmcnt(0)
	v_cmpx_eq_u16_e64 v61, v62
	s_cbranch_execz .LBB81_463
; %bb.456:
	s_mov_b64 s[14:15], 1
	s_mov_b32 s23, 0
                                        ; implicit-def: $sgpr24
	s_set_inst_prefetch_distance 0x1
	s_branch .LBB81_459
	.p2align	6
.LBB81_457:                             ;   in Loop: Header=BB81_459 Depth=1
	v_add_co_u32 v61, vcc_lo, v57, s14
	v_add_co_ci_u32_e32 v62, vcc_lo, s15, v58, vcc_lo
	v_add_co_u32 v65, vcc_lo, v59, s14
	v_add_co_ci_u32_e32 v66, vcc_lo, s15, v60, vcc_lo
	s_add_u32 s18, s14, 1
	s_clause 0x1
	global_load_u8 v61, v[61:62], off
	global_load_u8 v62, v[65:66], off
	s_addc_u32 s19, s15, 0
	s_and_not1_b32 s24, s24, exec_lo
	s_waitcnt vmcnt(0)
	v_cmp_ne_u16_e32 vcc_lo, v61, v62
	s_and_b32 s25, vcc_lo, exec_lo
	s_delay_alu instid0(SALU_CYCLE_1)
	s_or_b32 s24, s24, s25
.LBB81_458:                             ;   in Loop: Header=BB81_459 Depth=1
	v_dual_mov_b32 v62, s15 :: v_dual_mov_b32 v61, s14
	s_and_b32 s25, exec_lo, s24
	s_mov_b64 s[14:15], s[18:19]
	s_or_b32 s23, s25, s23
	s_delay_alu instid0(SALU_CYCLE_1)
	s_and_not1_b32 exec_lo, exec_lo, s23
	s_cbranch_execz .LBB81_462
.LBB81_459:                             ; =>This Inner Loop Header: Depth=1
	s_or_b32 s24, s24, exec_lo
	s_cmp_eq_u64 s[8:9], s[14:15]
	s_cbranch_scc0 .LBB81_457
; %bb.460:                              ;   in Loop: Header=BB81_459 Depth=1
	s_mov_b64 s[14:15], s[8:9]
                                        ; implicit-def: $sgpr18_sgpr19
	s_branch .LBB81_458
.LBB81_461:
	v_mov_b32_e32 v133, 0
	v_mov_b32_e32 v134, 0
	s_branch .LBB81_464
.LBB81_462:
	s_set_inst_prefetch_distance 0x2
	s_or_b32 exec_lo, exec_lo, s23
	v_cmp_gt_i64_e32 vcc_lo, s[8:9], v[61:62]
	s_mov_b32 s14, 0
	s_delay_alu instid0(SALU_CYCLE_1)
	v_mov_b32_e32 v134, s14
	v_cndmask_b32_e64 v133, 0, 1, vcc_lo
.LBB81_463:
	s_or_b32 exec_lo, exec_lo, s22
.LBB81_464:
	s_delay_alu instid0(SALU_CYCLE_1) | instskip(SKIP_3) | instid1(VALU_DEP_2)
	s_or_b32 exec_lo, exec_lo, s21
	v_dual_mov_b32 v136, v42 :: v_dual_add_nc_u32 v57, 16, v64
	v_mov_b32_e32 v135, v41
	s_mov_b32 s21, exec_lo
	v_cmpx_gt_u32_e64 s20, v57
	s_cbranch_execz .LBB81_475
; %bb.465:
	v_cmp_ne_u32_e32 vcc_lo, 1, v63
	s_cbranch_vccnz .LBB81_472
; %bb.466:
	v_mad_u64_u32 v[57:58], null, v41, s8, s[10:11]
	s_waitcnt lgkmcnt(0)
	v_mul_lo_u32 v61, v41, s9
	v_mul_lo_u32 v62, v42, s8
	v_mad_u64_u32 v[59:60], null, v39, s8, s[10:11]
	v_mul_lo_u32 v65, v39, s9
	v_mul_lo_u32 v66, v40, s8
	v_mov_b32_e32 v135, 1
	v_mov_b32_e32 v136, 0
	s_mov_b32 s22, exec_lo
	v_add3_u32 v58, v62, v58, v61
	s_delay_alu instid0(VALU_DEP_4)
	v_add3_u32 v60, v66, v60, v65
	s_clause 0x1
	global_load_u8 v61, v[57:58], off
	global_load_u8 v62, v[59:60], off
	s_waitcnt vmcnt(0)
	v_cmpx_eq_u16_e64 v61, v62
	s_cbranch_execz .LBB81_474
; %bb.467:
	s_mov_b64 s[14:15], 1
	s_mov_b32 s23, 0
                                        ; implicit-def: $sgpr24
	s_set_inst_prefetch_distance 0x1
	s_branch .LBB81_470
	.p2align	6
.LBB81_468:                             ;   in Loop: Header=BB81_470 Depth=1
	v_add_co_u32 v61, vcc_lo, v57, s14
	v_add_co_ci_u32_e32 v62, vcc_lo, s15, v58, vcc_lo
	v_add_co_u32 v65, vcc_lo, v59, s14
	v_add_co_ci_u32_e32 v66, vcc_lo, s15, v60, vcc_lo
	s_add_u32 s18, s14, 1
	s_clause 0x1
	global_load_u8 v61, v[61:62], off
	global_load_u8 v62, v[65:66], off
	s_addc_u32 s19, s15, 0
	s_and_not1_b32 s24, s24, exec_lo
	s_waitcnt vmcnt(0)
	v_cmp_ne_u16_e32 vcc_lo, v61, v62
	s_and_b32 s25, vcc_lo, exec_lo
	s_delay_alu instid0(SALU_CYCLE_1)
	s_or_b32 s24, s24, s25
.LBB81_469:                             ;   in Loop: Header=BB81_470 Depth=1
	v_dual_mov_b32 v62, s15 :: v_dual_mov_b32 v61, s14
	s_and_b32 s25, exec_lo, s24
	s_mov_b64 s[14:15], s[18:19]
	s_or_b32 s23, s25, s23
	s_delay_alu instid0(SALU_CYCLE_1)
	s_and_not1_b32 exec_lo, exec_lo, s23
	s_cbranch_execz .LBB81_473
.LBB81_470:                             ; =>This Inner Loop Header: Depth=1
	s_or_b32 s24, s24, exec_lo
	s_cmp_eq_u64 s[8:9], s[14:15]
	s_cbranch_scc0 .LBB81_468
; %bb.471:                              ;   in Loop: Header=BB81_470 Depth=1
	s_mov_b64 s[14:15], s[8:9]
                                        ; implicit-def: $sgpr18_sgpr19
	s_branch .LBB81_469
.LBB81_472:
	v_mov_b32_e32 v135, 0
	v_mov_b32_e32 v136, 0
	s_branch .LBB81_475
.LBB81_473:
	s_set_inst_prefetch_distance 0x2
	s_or_b32 exec_lo, exec_lo, s23
	v_cmp_gt_i64_e32 vcc_lo, s[8:9], v[61:62]
	s_mov_b32 s14, 0
	s_delay_alu instid0(SALU_CYCLE_1)
	v_mov_b32_e32 v136, s14
	v_cndmask_b32_e64 v135, 0, 1, vcc_lo
.LBB81_474:
	s_or_b32 exec_lo, exec_lo, s22
.LBB81_475:
	s_delay_alu instid0(SALU_CYCLE_1) | instskip(SKIP_3) | instid1(VALU_DEP_2)
	s_or_b32 exec_lo, exec_lo, s21
	v_dual_mov_b32 v138, v40 :: v_dual_add_nc_u32 v57, 15, v64
	v_mov_b32_e32 v137, v39
	s_mov_b32 s21, exec_lo
	v_cmpx_gt_u32_e64 s20, v57
	s_cbranch_execz .LBB81_486
; %bb.476:
	v_cmp_ne_u32_e32 vcc_lo, 1, v63
	s_cbranch_vccnz .LBB81_483
; %bb.477:
	v_mad_u64_u32 v[57:58], null, v39, s8, s[10:11]
	s_waitcnt lgkmcnt(0)
	v_mul_lo_u32 v61, v39, s9
	v_mul_lo_u32 v62, v40, s8
	v_mad_u64_u32 v[59:60], null, v37, s8, s[10:11]
	v_mul_lo_u32 v65, v37, s9
	v_mul_lo_u32 v66, v38, s8
	v_mov_b32_e32 v137, 1
	v_mov_b32_e32 v138, 0
	s_mov_b32 s22, exec_lo
	v_add3_u32 v58, v62, v58, v61
	s_delay_alu instid0(VALU_DEP_4)
	v_add3_u32 v60, v66, v60, v65
	s_clause 0x1
	global_load_u8 v61, v[57:58], off
	global_load_u8 v62, v[59:60], off
	s_waitcnt vmcnt(0)
	v_cmpx_eq_u16_e64 v61, v62
	s_cbranch_execz .LBB81_485
; %bb.478:
	s_mov_b64 s[14:15], 1
	s_mov_b32 s23, 0
                                        ; implicit-def: $sgpr24
	s_set_inst_prefetch_distance 0x1
	s_branch .LBB81_481
	.p2align	6
.LBB81_479:                             ;   in Loop: Header=BB81_481 Depth=1
	v_add_co_u32 v61, vcc_lo, v57, s14
	v_add_co_ci_u32_e32 v62, vcc_lo, s15, v58, vcc_lo
	v_add_co_u32 v65, vcc_lo, v59, s14
	v_add_co_ci_u32_e32 v66, vcc_lo, s15, v60, vcc_lo
	s_add_u32 s18, s14, 1
	s_clause 0x1
	global_load_u8 v61, v[61:62], off
	global_load_u8 v62, v[65:66], off
	s_addc_u32 s19, s15, 0
	s_and_not1_b32 s24, s24, exec_lo
	s_waitcnt vmcnt(0)
	v_cmp_ne_u16_e32 vcc_lo, v61, v62
	s_and_b32 s25, vcc_lo, exec_lo
	s_delay_alu instid0(SALU_CYCLE_1)
	s_or_b32 s24, s24, s25
.LBB81_480:                             ;   in Loop: Header=BB81_481 Depth=1
	v_dual_mov_b32 v62, s15 :: v_dual_mov_b32 v61, s14
	s_and_b32 s25, exec_lo, s24
	s_mov_b64 s[14:15], s[18:19]
	s_or_b32 s23, s25, s23
	s_delay_alu instid0(SALU_CYCLE_1)
	s_and_not1_b32 exec_lo, exec_lo, s23
	s_cbranch_execz .LBB81_484
.LBB81_481:                             ; =>This Inner Loop Header: Depth=1
	s_or_b32 s24, s24, exec_lo
	s_cmp_eq_u64 s[8:9], s[14:15]
	s_cbranch_scc0 .LBB81_479
; %bb.482:                              ;   in Loop: Header=BB81_481 Depth=1
	s_mov_b64 s[14:15], s[8:9]
                                        ; implicit-def: $sgpr18_sgpr19
	s_branch .LBB81_480
.LBB81_483:
	v_mov_b32_e32 v137, 0
	v_mov_b32_e32 v138, 0
	s_branch .LBB81_486
.LBB81_484:
	s_set_inst_prefetch_distance 0x2
	s_or_b32 exec_lo, exec_lo, s23
	v_cmp_gt_i64_e32 vcc_lo, s[8:9], v[61:62]
	s_mov_b32 s14, 0
	s_delay_alu instid0(SALU_CYCLE_1)
	v_mov_b32_e32 v138, s14
	v_cndmask_b32_e64 v137, 0, 1, vcc_lo
.LBB81_485:
	s_or_b32 exec_lo, exec_lo, s22
.LBB81_486:
	s_delay_alu instid0(SALU_CYCLE_1) | instskip(SKIP_3) | instid1(VALU_DEP_2)
	s_or_b32 exec_lo, exec_lo, s21
	v_dual_mov_b32 v140, v38 :: v_dual_add_nc_u32 v57, 14, v64
	v_mov_b32_e32 v139, v37
	s_mov_b32 s21, exec_lo
	v_cmpx_gt_u32_e64 s20, v57
	s_cbranch_execz .LBB81_497
; %bb.487:
	v_cmp_ne_u32_e32 vcc_lo, 1, v63
	s_cbranch_vccnz .LBB81_494
; %bb.488:
	v_mad_u64_u32 v[57:58], null, v37, s8, s[10:11]
	s_waitcnt lgkmcnt(0)
	v_mul_lo_u32 v61, v37, s9
	v_mul_lo_u32 v62, v38, s8
	v_mad_u64_u32 v[59:60], null, v35, s8, s[10:11]
	v_mul_lo_u32 v65, v35, s9
	v_mul_lo_u32 v66, v36, s8
	v_mov_b32_e32 v139, 1
	v_mov_b32_e32 v140, 0
	s_mov_b32 s22, exec_lo
	v_add3_u32 v58, v62, v58, v61
	s_delay_alu instid0(VALU_DEP_4)
	v_add3_u32 v60, v66, v60, v65
	s_clause 0x1
	global_load_u8 v61, v[57:58], off
	global_load_u8 v62, v[59:60], off
	s_waitcnt vmcnt(0)
	v_cmpx_eq_u16_e64 v61, v62
	s_cbranch_execz .LBB81_496
; %bb.489:
	s_mov_b64 s[14:15], 1
	s_mov_b32 s23, 0
                                        ; implicit-def: $sgpr24
	s_set_inst_prefetch_distance 0x1
	s_branch .LBB81_492
	.p2align	6
.LBB81_490:                             ;   in Loop: Header=BB81_492 Depth=1
	v_add_co_u32 v61, vcc_lo, v57, s14
	v_add_co_ci_u32_e32 v62, vcc_lo, s15, v58, vcc_lo
	v_add_co_u32 v65, vcc_lo, v59, s14
	v_add_co_ci_u32_e32 v66, vcc_lo, s15, v60, vcc_lo
	s_add_u32 s18, s14, 1
	s_clause 0x1
	global_load_u8 v61, v[61:62], off
	global_load_u8 v62, v[65:66], off
	s_addc_u32 s19, s15, 0
	s_and_not1_b32 s24, s24, exec_lo
	s_waitcnt vmcnt(0)
	v_cmp_ne_u16_e32 vcc_lo, v61, v62
	s_and_b32 s25, vcc_lo, exec_lo
	s_delay_alu instid0(SALU_CYCLE_1)
	s_or_b32 s24, s24, s25
.LBB81_491:                             ;   in Loop: Header=BB81_492 Depth=1
	v_dual_mov_b32 v62, s15 :: v_dual_mov_b32 v61, s14
	s_and_b32 s25, exec_lo, s24
	s_mov_b64 s[14:15], s[18:19]
	s_or_b32 s23, s25, s23
	s_delay_alu instid0(SALU_CYCLE_1)
	s_and_not1_b32 exec_lo, exec_lo, s23
	s_cbranch_execz .LBB81_495
.LBB81_492:                             ; =>This Inner Loop Header: Depth=1
	s_or_b32 s24, s24, exec_lo
	s_cmp_eq_u64 s[8:9], s[14:15]
	s_cbranch_scc0 .LBB81_490
; %bb.493:                              ;   in Loop: Header=BB81_492 Depth=1
	s_mov_b64 s[14:15], s[8:9]
                                        ; implicit-def: $sgpr18_sgpr19
	s_branch .LBB81_491
.LBB81_494:
	v_mov_b32_e32 v139, 0
	v_mov_b32_e32 v140, 0
	s_branch .LBB81_497
.LBB81_495:
	s_set_inst_prefetch_distance 0x2
	s_or_b32 exec_lo, exec_lo, s23
	v_cmp_gt_i64_e32 vcc_lo, s[8:9], v[61:62]
	s_mov_b32 s14, 0
	s_delay_alu instid0(SALU_CYCLE_1)
	v_mov_b32_e32 v140, s14
	v_cndmask_b32_e64 v139, 0, 1, vcc_lo
.LBB81_496:
	s_or_b32 exec_lo, exec_lo, s22
.LBB81_497:
	s_delay_alu instid0(SALU_CYCLE_1) | instskip(SKIP_3) | instid1(VALU_DEP_2)
	s_or_b32 exec_lo, exec_lo, s21
	v_dual_mov_b32 v142, v36 :: v_dual_add_nc_u32 v57, 13, v64
	v_mov_b32_e32 v141, v35
	s_mov_b32 s21, exec_lo
	v_cmpx_gt_u32_e64 s20, v57
	s_cbranch_execz .LBB81_508
; %bb.498:
	v_cmp_ne_u32_e32 vcc_lo, 1, v63
	s_cbranch_vccnz .LBB81_505
; %bb.499:
	v_mad_u64_u32 v[57:58], null, v35, s8, s[10:11]
	s_waitcnt lgkmcnt(0)
	v_mul_lo_u32 v61, v35, s9
	v_mul_lo_u32 v62, v36, s8
	v_mad_u64_u32 v[59:60], null, v33, s8, s[10:11]
	v_mul_lo_u32 v65, v33, s9
	v_mul_lo_u32 v66, v34, s8
	v_mov_b32_e32 v141, 1
	v_mov_b32_e32 v142, 0
	s_mov_b32 s22, exec_lo
	v_add3_u32 v58, v62, v58, v61
	s_delay_alu instid0(VALU_DEP_4)
	v_add3_u32 v60, v66, v60, v65
	s_clause 0x1
	global_load_u8 v61, v[57:58], off
	global_load_u8 v62, v[59:60], off
	s_waitcnt vmcnt(0)
	v_cmpx_eq_u16_e64 v61, v62
	s_cbranch_execz .LBB81_507
; %bb.500:
	s_mov_b64 s[14:15], 1
	s_mov_b32 s23, 0
                                        ; implicit-def: $sgpr24
	s_set_inst_prefetch_distance 0x1
	s_branch .LBB81_503
	.p2align	6
.LBB81_501:                             ;   in Loop: Header=BB81_503 Depth=1
	v_add_co_u32 v61, vcc_lo, v57, s14
	v_add_co_ci_u32_e32 v62, vcc_lo, s15, v58, vcc_lo
	v_add_co_u32 v65, vcc_lo, v59, s14
	v_add_co_ci_u32_e32 v66, vcc_lo, s15, v60, vcc_lo
	s_add_u32 s18, s14, 1
	s_clause 0x1
	global_load_u8 v61, v[61:62], off
	global_load_u8 v62, v[65:66], off
	s_addc_u32 s19, s15, 0
	s_and_not1_b32 s24, s24, exec_lo
	s_waitcnt vmcnt(0)
	v_cmp_ne_u16_e32 vcc_lo, v61, v62
	s_and_b32 s25, vcc_lo, exec_lo
	s_delay_alu instid0(SALU_CYCLE_1)
	s_or_b32 s24, s24, s25
.LBB81_502:                             ;   in Loop: Header=BB81_503 Depth=1
	v_dual_mov_b32 v62, s15 :: v_dual_mov_b32 v61, s14
	s_and_b32 s25, exec_lo, s24
	s_mov_b64 s[14:15], s[18:19]
	s_or_b32 s23, s25, s23
	s_delay_alu instid0(SALU_CYCLE_1)
	s_and_not1_b32 exec_lo, exec_lo, s23
	s_cbranch_execz .LBB81_506
.LBB81_503:                             ; =>This Inner Loop Header: Depth=1
	s_or_b32 s24, s24, exec_lo
	s_cmp_eq_u64 s[8:9], s[14:15]
	s_cbranch_scc0 .LBB81_501
; %bb.504:                              ;   in Loop: Header=BB81_503 Depth=1
	s_mov_b64 s[14:15], s[8:9]
                                        ; implicit-def: $sgpr18_sgpr19
	s_branch .LBB81_502
.LBB81_505:
	v_mov_b32_e32 v141, 0
	v_mov_b32_e32 v142, 0
	s_branch .LBB81_508
.LBB81_506:
	s_set_inst_prefetch_distance 0x2
	s_or_b32 exec_lo, exec_lo, s23
	v_cmp_gt_i64_e32 vcc_lo, s[8:9], v[61:62]
	s_mov_b32 s14, 0
	s_delay_alu instid0(SALU_CYCLE_1)
	v_mov_b32_e32 v142, s14
	v_cndmask_b32_e64 v141, 0, 1, vcc_lo
.LBB81_507:
	s_or_b32 exec_lo, exec_lo, s22
.LBB81_508:
	s_delay_alu instid0(SALU_CYCLE_1) | instskip(SKIP_3) | instid1(VALU_DEP_2)
	s_or_b32 exec_lo, exec_lo, s21
	v_dual_mov_b32 v144, v34 :: v_dual_add_nc_u32 v57, 12, v64
	v_mov_b32_e32 v143, v33
	s_mov_b32 s21, exec_lo
	v_cmpx_gt_u32_e64 s20, v57
	s_cbranch_execz .LBB81_519
; %bb.509:
	v_cmp_ne_u32_e32 vcc_lo, 1, v63
	s_cbranch_vccnz .LBB81_516
; %bb.510:
	v_mad_u64_u32 v[57:58], null, v33, s8, s[10:11]
	s_waitcnt lgkmcnt(0)
	v_mul_lo_u32 v61, v33, s9
	v_mul_lo_u32 v62, v34, s8
	v_mad_u64_u32 v[59:60], null, v31, s8, s[10:11]
	v_mul_lo_u32 v65, v31, s9
	v_mul_lo_u32 v66, v32, s8
	v_mov_b32_e32 v143, 1
	v_mov_b32_e32 v144, 0
	s_mov_b32 s22, exec_lo
	v_add3_u32 v58, v62, v58, v61
	s_delay_alu instid0(VALU_DEP_4)
	v_add3_u32 v60, v66, v60, v65
	s_clause 0x1
	global_load_u8 v61, v[57:58], off
	global_load_u8 v62, v[59:60], off
	s_waitcnt vmcnt(0)
	v_cmpx_eq_u16_e64 v61, v62
	s_cbranch_execz .LBB81_518
; %bb.511:
	s_mov_b64 s[14:15], 1
	s_mov_b32 s23, 0
                                        ; implicit-def: $sgpr24
	s_set_inst_prefetch_distance 0x1
	s_branch .LBB81_514
	.p2align	6
.LBB81_512:                             ;   in Loop: Header=BB81_514 Depth=1
	v_add_co_u32 v61, vcc_lo, v57, s14
	v_add_co_ci_u32_e32 v62, vcc_lo, s15, v58, vcc_lo
	v_add_co_u32 v65, vcc_lo, v59, s14
	v_add_co_ci_u32_e32 v66, vcc_lo, s15, v60, vcc_lo
	s_add_u32 s18, s14, 1
	s_clause 0x1
	global_load_u8 v61, v[61:62], off
	global_load_u8 v62, v[65:66], off
	s_addc_u32 s19, s15, 0
	s_and_not1_b32 s24, s24, exec_lo
	s_waitcnt vmcnt(0)
	v_cmp_ne_u16_e32 vcc_lo, v61, v62
	s_and_b32 s25, vcc_lo, exec_lo
	s_delay_alu instid0(SALU_CYCLE_1)
	s_or_b32 s24, s24, s25
.LBB81_513:                             ;   in Loop: Header=BB81_514 Depth=1
	v_dual_mov_b32 v62, s15 :: v_dual_mov_b32 v61, s14
	s_and_b32 s25, exec_lo, s24
	s_mov_b64 s[14:15], s[18:19]
	s_or_b32 s23, s25, s23
	s_delay_alu instid0(SALU_CYCLE_1)
	s_and_not1_b32 exec_lo, exec_lo, s23
	s_cbranch_execz .LBB81_517
.LBB81_514:                             ; =>This Inner Loop Header: Depth=1
	s_or_b32 s24, s24, exec_lo
	s_cmp_eq_u64 s[8:9], s[14:15]
	s_cbranch_scc0 .LBB81_512
; %bb.515:                              ;   in Loop: Header=BB81_514 Depth=1
	s_mov_b64 s[14:15], s[8:9]
                                        ; implicit-def: $sgpr18_sgpr19
	s_branch .LBB81_513
.LBB81_516:
	v_mov_b32_e32 v143, 0
	v_mov_b32_e32 v144, 0
	s_branch .LBB81_519
.LBB81_517:
	s_set_inst_prefetch_distance 0x2
	s_or_b32 exec_lo, exec_lo, s23
	v_cmp_gt_i64_e32 vcc_lo, s[8:9], v[61:62]
	s_mov_b32 s14, 0
	s_delay_alu instid0(SALU_CYCLE_1)
	v_mov_b32_e32 v144, s14
	v_cndmask_b32_e64 v143, 0, 1, vcc_lo
.LBB81_518:
	s_or_b32 exec_lo, exec_lo, s22
.LBB81_519:
	s_delay_alu instid0(SALU_CYCLE_1) | instskip(SKIP_3) | instid1(VALU_DEP_2)
	s_or_b32 exec_lo, exec_lo, s21
	v_dual_mov_b32 v146, v32 :: v_dual_add_nc_u32 v57, 11, v64
	v_mov_b32_e32 v145, v31
	s_mov_b32 s21, exec_lo
	v_cmpx_gt_u32_e64 s20, v57
	s_cbranch_execz .LBB81_530
; %bb.520:
	v_cmp_ne_u32_e32 vcc_lo, 1, v63
	s_cbranch_vccnz .LBB81_527
; %bb.521:
	v_mad_u64_u32 v[57:58], null, v31, s8, s[10:11]
	s_waitcnt lgkmcnt(0)
	v_mul_lo_u32 v61, v31, s9
	v_mul_lo_u32 v62, v32, s8
	v_mad_u64_u32 v[59:60], null, v29, s8, s[10:11]
	v_mul_lo_u32 v65, v29, s9
	v_mul_lo_u32 v66, v30, s8
	v_mov_b32_e32 v145, 1
	v_mov_b32_e32 v146, 0
	s_mov_b32 s22, exec_lo
	v_add3_u32 v58, v62, v58, v61
	s_delay_alu instid0(VALU_DEP_4)
	v_add3_u32 v60, v66, v60, v65
	s_clause 0x1
	global_load_u8 v61, v[57:58], off
	global_load_u8 v62, v[59:60], off
	s_waitcnt vmcnt(0)
	v_cmpx_eq_u16_e64 v61, v62
	s_cbranch_execz .LBB81_529
; %bb.522:
	s_mov_b64 s[14:15], 1
	s_mov_b32 s23, 0
                                        ; implicit-def: $sgpr24
	s_set_inst_prefetch_distance 0x1
	s_branch .LBB81_525
	.p2align	6
.LBB81_523:                             ;   in Loop: Header=BB81_525 Depth=1
	v_add_co_u32 v61, vcc_lo, v57, s14
	v_add_co_ci_u32_e32 v62, vcc_lo, s15, v58, vcc_lo
	v_add_co_u32 v65, vcc_lo, v59, s14
	v_add_co_ci_u32_e32 v66, vcc_lo, s15, v60, vcc_lo
	s_add_u32 s18, s14, 1
	s_clause 0x1
	global_load_u8 v61, v[61:62], off
	global_load_u8 v62, v[65:66], off
	s_addc_u32 s19, s15, 0
	s_and_not1_b32 s24, s24, exec_lo
	s_waitcnt vmcnt(0)
	v_cmp_ne_u16_e32 vcc_lo, v61, v62
	s_and_b32 s25, vcc_lo, exec_lo
	s_delay_alu instid0(SALU_CYCLE_1)
	s_or_b32 s24, s24, s25
.LBB81_524:                             ;   in Loop: Header=BB81_525 Depth=1
	v_dual_mov_b32 v62, s15 :: v_dual_mov_b32 v61, s14
	s_and_b32 s25, exec_lo, s24
	s_mov_b64 s[14:15], s[18:19]
	s_or_b32 s23, s25, s23
	s_delay_alu instid0(SALU_CYCLE_1)
	s_and_not1_b32 exec_lo, exec_lo, s23
	s_cbranch_execz .LBB81_528
.LBB81_525:                             ; =>This Inner Loop Header: Depth=1
	s_or_b32 s24, s24, exec_lo
	s_cmp_eq_u64 s[8:9], s[14:15]
	s_cbranch_scc0 .LBB81_523
; %bb.526:                              ;   in Loop: Header=BB81_525 Depth=1
	s_mov_b64 s[14:15], s[8:9]
                                        ; implicit-def: $sgpr18_sgpr19
	s_branch .LBB81_524
.LBB81_527:
	v_mov_b32_e32 v145, 0
	v_mov_b32_e32 v146, 0
	s_branch .LBB81_530
.LBB81_528:
	s_set_inst_prefetch_distance 0x2
	s_or_b32 exec_lo, exec_lo, s23
	v_cmp_gt_i64_e32 vcc_lo, s[8:9], v[61:62]
	s_mov_b32 s14, 0
	s_delay_alu instid0(SALU_CYCLE_1)
	v_mov_b32_e32 v146, s14
	v_cndmask_b32_e64 v145, 0, 1, vcc_lo
.LBB81_529:
	s_or_b32 exec_lo, exec_lo, s22
.LBB81_530:
	s_delay_alu instid0(SALU_CYCLE_1) | instskip(SKIP_3) | instid1(VALU_DEP_2)
	s_or_b32 exec_lo, exec_lo, s21
	v_dual_mov_b32 v148, v30 :: v_dual_add_nc_u32 v57, 10, v64
	v_mov_b32_e32 v147, v29
	s_mov_b32 s21, exec_lo
	v_cmpx_gt_u32_e64 s20, v57
	s_cbranch_execz .LBB81_541
; %bb.531:
	v_cmp_ne_u32_e32 vcc_lo, 1, v63
	s_cbranch_vccnz .LBB81_538
; %bb.532:
	v_mad_u64_u32 v[57:58], null, v29, s8, s[10:11]
	s_waitcnt lgkmcnt(0)
	v_mul_lo_u32 v61, v29, s9
	v_mul_lo_u32 v62, v30, s8
	v_mad_u64_u32 v[59:60], null, v27, s8, s[10:11]
	v_mul_lo_u32 v65, v27, s9
	v_mul_lo_u32 v66, v28, s8
	v_mov_b32_e32 v147, 1
	v_mov_b32_e32 v148, 0
	s_mov_b32 s22, exec_lo
	v_add3_u32 v58, v62, v58, v61
	s_delay_alu instid0(VALU_DEP_4)
	v_add3_u32 v60, v66, v60, v65
	s_clause 0x1
	global_load_u8 v61, v[57:58], off
	global_load_u8 v62, v[59:60], off
	s_waitcnt vmcnt(0)
	v_cmpx_eq_u16_e64 v61, v62
	s_cbranch_execz .LBB81_540
; %bb.533:
	s_mov_b64 s[14:15], 1
	s_mov_b32 s23, 0
                                        ; implicit-def: $sgpr24
	s_set_inst_prefetch_distance 0x1
	s_branch .LBB81_536
	.p2align	6
.LBB81_534:                             ;   in Loop: Header=BB81_536 Depth=1
	v_add_co_u32 v61, vcc_lo, v57, s14
	v_add_co_ci_u32_e32 v62, vcc_lo, s15, v58, vcc_lo
	v_add_co_u32 v65, vcc_lo, v59, s14
	v_add_co_ci_u32_e32 v66, vcc_lo, s15, v60, vcc_lo
	s_add_u32 s18, s14, 1
	s_clause 0x1
	global_load_u8 v61, v[61:62], off
	global_load_u8 v62, v[65:66], off
	s_addc_u32 s19, s15, 0
	s_and_not1_b32 s24, s24, exec_lo
	s_waitcnt vmcnt(0)
	v_cmp_ne_u16_e32 vcc_lo, v61, v62
	s_and_b32 s25, vcc_lo, exec_lo
	s_delay_alu instid0(SALU_CYCLE_1)
	s_or_b32 s24, s24, s25
.LBB81_535:                             ;   in Loop: Header=BB81_536 Depth=1
	v_dual_mov_b32 v62, s15 :: v_dual_mov_b32 v61, s14
	s_and_b32 s25, exec_lo, s24
	s_mov_b64 s[14:15], s[18:19]
	s_or_b32 s23, s25, s23
	s_delay_alu instid0(SALU_CYCLE_1)
	s_and_not1_b32 exec_lo, exec_lo, s23
	s_cbranch_execz .LBB81_539
.LBB81_536:                             ; =>This Inner Loop Header: Depth=1
	s_or_b32 s24, s24, exec_lo
	s_cmp_eq_u64 s[8:9], s[14:15]
	s_cbranch_scc0 .LBB81_534
; %bb.537:                              ;   in Loop: Header=BB81_536 Depth=1
	s_mov_b64 s[14:15], s[8:9]
                                        ; implicit-def: $sgpr18_sgpr19
	s_branch .LBB81_535
.LBB81_538:
	v_mov_b32_e32 v147, 0
	v_mov_b32_e32 v148, 0
	s_branch .LBB81_541
.LBB81_539:
	s_set_inst_prefetch_distance 0x2
	s_or_b32 exec_lo, exec_lo, s23
	v_cmp_gt_i64_e32 vcc_lo, s[8:9], v[61:62]
	s_mov_b32 s14, 0
	s_delay_alu instid0(SALU_CYCLE_1)
	v_mov_b32_e32 v148, s14
	v_cndmask_b32_e64 v147, 0, 1, vcc_lo
.LBB81_540:
	s_or_b32 exec_lo, exec_lo, s22
.LBB81_541:
	s_delay_alu instid0(SALU_CYCLE_1) | instskip(SKIP_3) | instid1(VALU_DEP_2)
	s_or_b32 exec_lo, exec_lo, s21
	v_dual_mov_b32 v150, v28 :: v_dual_add_nc_u32 v57, 9, v64
	v_mov_b32_e32 v149, v27
	s_mov_b32 s21, exec_lo
	v_cmpx_gt_u32_e64 s20, v57
	s_cbranch_execz .LBB81_552
; %bb.542:
	v_cmp_ne_u32_e32 vcc_lo, 1, v63
	s_cbranch_vccnz .LBB81_549
; %bb.543:
	v_mad_u64_u32 v[57:58], null, v27, s8, s[10:11]
	s_waitcnt lgkmcnt(0)
	v_mul_lo_u32 v61, v27, s9
	v_mul_lo_u32 v62, v28, s8
	v_mad_u64_u32 v[59:60], null, v25, s8, s[10:11]
	v_mul_lo_u32 v65, v25, s9
	v_mul_lo_u32 v66, v26, s8
	v_mov_b32_e32 v149, 1
	v_mov_b32_e32 v150, 0
	s_mov_b32 s22, exec_lo
	v_add3_u32 v58, v62, v58, v61
	s_delay_alu instid0(VALU_DEP_4)
	v_add3_u32 v60, v66, v60, v65
	s_clause 0x1
	global_load_u8 v61, v[57:58], off
	global_load_u8 v62, v[59:60], off
	s_waitcnt vmcnt(0)
	v_cmpx_eq_u16_e64 v61, v62
	s_cbranch_execz .LBB81_551
; %bb.544:
	s_mov_b64 s[14:15], 1
	s_mov_b32 s23, 0
                                        ; implicit-def: $sgpr24
	s_set_inst_prefetch_distance 0x1
	s_branch .LBB81_547
	.p2align	6
.LBB81_545:                             ;   in Loop: Header=BB81_547 Depth=1
	v_add_co_u32 v61, vcc_lo, v57, s14
	v_add_co_ci_u32_e32 v62, vcc_lo, s15, v58, vcc_lo
	v_add_co_u32 v65, vcc_lo, v59, s14
	v_add_co_ci_u32_e32 v66, vcc_lo, s15, v60, vcc_lo
	s_add_u32 s18, s14, 1
	s_clause 0x1
	global_load_u8 v61, v[61:62], off
	global_load_u8 v62, v[65:66], off
	s_addc_u32 s19, s15, 0
	s_and_not1_b32 s24, s24, exec_lo
	s_waitcnt vmcnt(0)
	v_cmp_ne_u16_e32 vcc_lo, v61, v62
	s_and_b32 s25, vcc_lo, exec_lo
	s_delay_alu instid0(SALU_CYCLE_1)
	s_or_b32 s24, s24, s25
.LBB81_546:                             ;   in Loop: Header=BB81_547 Depth=1
	v_dual_mov_b32 v62, s15 :: v_dual_mov_b32 v61, s14
	s_and_b32 s25, exec_lo, s24
	s_mov_b64 s[14:15], s[18:19]
	s_or_b32 s23, s25, s23
	s_delay_alu instid0(SALU_CYCLE_1)
	s_and_not1_b32 exec_lo, exec_lo, s23
	s_cbranch_execz .LBB81_550
.LBB81_547:                             ; =>This Inner Loop Header: Depth=1
	s_or_b32 s24, s24, exec_lo
	s_cmp_eq_u64 s[8:9], s[14:15]
	s_cbranch_scc0 .LBB81_545
; %bb.548:                              ;   in Loop: Header=BB81_547 Depth=1
	s_mov_b64 s[14:15], s[8:9]
                                        ; implicit-def: $sgpr18_sgpr19
	s_branch .LBB81_546
.LBB81_549:
	v_mov_b32_e32 v149, 0
	v_mov_b32_e32 v150, 0
	s_branch .LBB81_552
.LBB81_550:
	s_set_inst_prefetch_distance 0x2
	s_or_b32 exec_lo, exec_lo, s23
	v_cmp_gt_i64_e32 vcc_lo, s[8:9], v[61:62]
	s_mov_b32 s14, 0
	s_delay_alu instid0(SALU_CYCLE_1)
	v_mov_b32_e32 v150, s14
	v_cndmask_b32_e64 v149, 0, 1, vcc_lo
.LBB81_551:
	s_or_b32 exec_lo, exec_lo, s22
.LBB81_552:
	s_delay_alu instid0(SALU_CYCLE_1) | instskip(SKIP_3) | instid1(VALU_DEP_2)
	s_or_b32 exec_lo, exec_lo, s21
	v_dual_mov_b32 v152, v26 :: v_dual_add_nc_u32 v57, 8, v64
	v_mov_b32_e32 v151, v25
	s_mov_b32 s21, exec_lo
	v_cmpx_gt_u32_e64 s20, v57
	s_cbranch_execz .LBB81_563
; %bb.553:
	v_cmp_ne_u32_e32 vcc_lo, 1, v63
	s_cbranch_vccnz .LBB81_560
; %bb.554:
	v_mad_u64_u32 v[57:58], null, v25, s8, s[10:11]
	s_waitcnt lgkmcnt(0)
	v_mul_lo_u32 v61, v25, s9
	v_mul_lo_u32 v62, v26, s8
	v_mad_u64_u32 v[59:60], null, v23, s8, s[10:11]
	v_mul_lo_u32 v65, v23, s9
	v_mul_lo_u32 v66, v24, s8
	v_mov_b32_e32 v151, 1
	v_mov_b32_e32 v152, 0
	s_mov_b32 s22, exec_lo
	v_add3_u32 v58, v62, v58, v61
	s_delay_alu instid0(VALU_DEP_4)
	v_add3_u32 v60, v66, v60, v65
	s_clause 0x1
	global_load_u8 v61, v[57:58], off
	global_load_u8 v62, v[59:60], off
	s_waitcnt vmcnt(0)
	v_cmpx_eq_u16_e64 v61, v62
	s_cbranch_execz .LBB81_562
; %bb.555:
	s_mov_b64 s[14:15], 1
	s_mov_b32 s23, 0
                                        ; implicit-def: $sgpr24
	s_set_inst_prefetch_distance 0x1
	s_branch .LBB81_558
	.p2align	6
.LBB81_556:                             ;   in Loop: Header=BB81_558 Depth=1
	v_add_co_u32 v61, vcc_lo, v57, s14
	v_add_co_ci_u32_e32 v62, vcc_lo, s15, v58, vcc_lo
	v_add_co_u32 v65, vcc_lo, v59, s14
	v_add_co_ci_u32_e32 v66, vcc_lo, s15, v60, vcc_lo
	s_add_u32 s18, s14, 1
	s_clause 0x1
	global_load_u8 v61, v[61:62], off
	global_load_u8 v62, v[65:66], off
	s_addc_u32 s19, s15, 0
	s_and_not1_b32 s24, s24, exec_lo
	s_waitcnt vmcnt(0)
	v_cmp_ne_u16_e32 vcc_lo, v61, v62
	s_and_b32 s25, vcc_lo, exec_lo
	s_delay_alu instid0(SALU_CYCLE_1)
	s_or_b32 s24, s24, s25
.LBB81_557:                             ;   in Loop: Header=BB81_558 Depth=1
	v_dual_mov_b32 v62, s15 :: v_dual_mov_b32 v61, s14
	s_and_b32 s25, exec_lo, s24
	s_mov_b64 s[14:15], s[18:19]
	s_or_b32 s23, s25, s23
	s_delay_alu instid0(SALU_CYCLE_1)
	s_and_not1_b32 exec_lo, exec_lo, s23
	s_cbranch_execz .LBB81_561
.LBB81_558:                             ; =>This Inner Loop Header: Depth=1
	s_or_b32 s24, s24, exec_lo
	s_cmp_eq_u64 s[8:9], s[14:15]
	s_cbranch_scc0 .LBB81_556
; %bb.559:                              ;   in Loop: Header=BB81_558 Depth=1
	s_mov_b64 s[14:15], s[8:9]
                                        ; implicit-def: $sgpr18_sgpr19
	s_branch .LBB81_557
.LBB81_560:
	v_mov_b32_e32 v151, 0
	v_mov_b32_e32 v152, 0
	s_branch .LBB81_563
.LBB81_561:
	s_set_inst_prefetch_distance 0x2
	s_or_b32 exec_lo, exec_lo, s23
	v_cmp_gt_i64_e32 vcc_lo, s[8:9], v[61:62]
	s_mov_b32 s14, 0
	s_delay_alu instid0(SALU_CYCLE_1)
	v_mov_b32_e32 v152, s14
	v_cndmask_b32_e64 v151, 0, 1, vcc_lo
.LBB81_562:
	s_or_b32 exec_lo, exec_lo, s22
.LBB81_563:
	s_delay_alu instid0(SALU_CYCLE_1) | instskip(SKIP_3) | instid1(VALU_DEP_2)
	s_or_b32 exec_lo, exec_lo, s21
	v_dual_mov_b32 v154, v24 :: v_dual_add_nc_u32 v57, 7, v64
	v_mov_b32_e32 v153, v23
	s_mov_b32 s21, exec_lo
	v_cmpx_gt_u32_e64 s20, v57
	s_cbranch_execz .LBB81_574
; %bb.564:
	v_cmp_ne_u32_e32 vcc_lo, 1, v63
	s_cbranch_vccnz .LBB81_571
; %bb.565:
	v_mad_u64_u32 v[57:58], null, v23, s8, s[10:11]
	s_waitcnt lgkmcnt(0)
	v_mul_lo_u32 v61, v23, s9
	v_mul_lo_u32 v62, v24, s8
	v_mad_u64_u32 v[59:60], null, v21, s8, s[10:11]
	v_mul_lo_u32 v65, v21, s9
	v_mul_lo_u32 v66, v22, s8
	v_mov_b32_e32 v153, 1
	v_mov_b32_e32 v154, 0
	s_mov_b32 s22, exec_lo
	v_add3_u32 v58, v62, v58, v61
	s_delay_alu instid0(VALU_DEP_4)
	v_add3_u32 v60, v66, v60, v65
	s_clause 0x1
	global_load_u8 v61, v[57:58], off
	global_load_u8 v62, v[59:60], off
	s_waitcnt vmcnt(0)
	v_cmpx_eq_u16_e64 v61, v62
	s_cbranch_execz .LBB81_573
; %bb.566:
	s_mov_b64 s[14:15], 1
	s_mov_b32 s23, 0
                                        ; implicit-def: $sgpr24
	s_set_inst_prefetch_distance 0x1
	s_branch .LBB81_569
	.p2align	6
.LBB81_567:                             ;   in Loop: Header=BB81_569 Depth=1
	v_add_co_u32 v61, vcc_lo, v57, s14
	v_add_co_ci_u32_e32 v62, vcc_lo, s15, v58, vcc_lo
	v_add_co_u32 v65, vcc_lo, v59, s14
	v_add_co_ci_u32_e32 v66, vcc_lo, s15, v60, vcc_lo
	s_add_u32 s18, s14, 1
	s_clause 0x1
	global_load_u8 v61, v[61:62], off
	global_load_u8 v62, v[65:66], off
	s_addc_u32 s19, s15, 0
	s_and_not1_b32 s24, s24, exec_lo
	s_waitcnt vmcnt(0)
	v_cmp_ne_u16_e32 vcc_lo, v61, v62
	s_and_b32 s25, vcc_lo, exec_lo
	s_delay_alu instid0(SALU_CYCLE_1)
	s_or_b32 s24, s24, s25
.LBB81_568:                             ;   in Loop: Header=BB81_569 Depth=1
	v_dual_mov_b32 v62, s15 :: v_dual_mov_b32 v61, s14
	s_and_b32 s25, exec_lo, s24
	s_mov_b64 s[14:15], s[18:19]
	s_or_b32 s23, s25, s23
	s_delay_alu instid0(SALU_CYCLE_1)
	s_and_not1_b32 exec_lo, exec_lo, s23
	s_cbranch_execz .LBB81_572
.LBB81_569:                             ; =>This Inner Loop Header: Depth=1
	s_or_b32 s24, s24, exec_lo
	s_cmp_eq_u64 s[8:9], s[14:15]
	s_cbranch_scc0 .LBB81_567
; %bb.570:                              ;   in Loop: Header=BB81_569 Depth=1
	s_mov_b64 s[14:15], s[8:9]
                                        ; implicit-def: $sgpr18_sgpr19
	s_branch .LBB81_568
.LBB81_571:
	v_mov_b32_e32 v153, 0
	v_mov_b32_e32 v154, 0
	s_branch .LBB81_574
.LBB81_572:
	s_set_inst_prefetch_distance 0x2
	s_or_b32 exec_lo, exec_lo, s23
	v_cmp_gt_i64_e32 vcc_lo, s[8:9], v[61:62]
	s_mov_b32 s14, 0
	s_delay_alu instid0(SALU_CYCLE_1)
	v_mov_b32_e32 v154, s14
	v_cndmask_b32_e64 v153, 0, 1, vcc_lo
.LBB81_573:
	s_or_b32 exec_lo, exec_lo, s22
.LBB81_574:
	s_delay_alu instid0(SALU_CYCLE_1) | instskip(SKIP_3) | instid1(VALU_DEP_2)
	s_or_b32 exec_lo, exec_lo, s21
	v_dual_mov_b32 v156, v22 :: v_dual_add_nc_u32 v57, 6, v64
	v_mov_b32_e32 v155, v21
	s_mov_b32 s21, exec_lo
	v_cmpx_gt_u32_e64 s20, v57
	s_cbranch_execz .LBB81_585
; %bb.575:
	v_cmp_ne_u32_e32 vcc_lo, 1, v63
	s_cbranch_vccnz .LBB81_582
; %bb.576:
	v_mad_u64_u32 v[57:58], null, v21, s8, s[10:11]
	s_waitcnt lgkmcnt(0)
	v_mul_lo_u32 v61, v21, s9
	v_mul_lo_u32 v62, v22, s8
	v_mad_u64_u32 v[59:60], null, v19, s8, s[10:11]
	v_mul_lo_u32 v65, v19, s9
	v_mul_lo_u32 v66, v20, s8
	v_mov_b32_e32 v155, 1
	v_mov_b32_e32 v156, 0
	s_mov_b32 s22, exec_lo
	v_add3_u32 v58, v62, v58, v61
	s_delay_alu instid0(VALU_DEP_4)
	v_add3_u32 v60, v66, v60, v65
	s_clause 0x1
	global_load_u8 v61, v[57:58], off
	global_load_u8 v62, v[59:60], off
	s_waitcnt vmcnt(0)
	v_cmpx_eq_u16_e64 v61, v62
	s_cbranch_execz .LBB81_584
; %bb.577:
	s_mov_b64 s[14:15], 1
	s_mov_b32 s23, 0
                                        ; implicit-def: $sgpr24
	s_set_inst_prefetch_distance 0x1
	s_branch .LBB81_580
	.p2align	6
.LBB81_578:                             ;   in Loop: Header=BB81_580 Depth=1
	v_add_co_u32 v61, vcc_lo, v57, s14
	v_add_co_ci_u32_e32 v62, vcc_lo, s15, v58, vcc_lo
	v_add_co_u32 v65, vcc_lo, v59, s14
	v_add_co_ci_u32_e32 v66, vcc_lo, s15, v60, vcc_lo
	s_add_u32 s18, s14, 1
	s_clause 0x1
	global_load_u8 v61, v[61:62], off
	global_load_u8 v62, v[65:66], off
	s_addc_u32 s19, s15, 0
	s_and_not1_b32 s24, s24, exec_lo
	s_waitcnt vmcnt(0)
	v_cmp_ne_u16_e32 vcc_lo, v61, v62
	s_and_b32 s25, vcc_lo, exec_lo
	s_delay_alu instid0(SALU_CYCLE_1)
	s_or_b32 s24, s24, s25
.LBB81_579:                             ;   in Loop: Header=BB81_580 Depth=1
	v_dual_mov_b32 v62, s15 :: v_dual_mov_b32 v61, s14
	s_and_b32 s25, exec_lo, s24
	s_mov_b64 s[14:15], s[18:19]
	s_or_b32 s23, s25, s23
	s_delay_alu instid0(SALU_CYCLE_1)
	s_and_not1_b32 exec_lo, exec_lo, s23
	s_cbranch_execz .LBB81_583
.LBB81_580:                             ; =>This Inner Loop Header: Depth=1
	s_or_b32 s24, s24, exec_lo
	s_cmp_eq_u64 s[8:9], s[14:15]
	s_cbranch_scc0 .LBB81_578
; %bb.581:                              ;   in Loop: Header=BB81_580 Depth=1
	s_mov_b64 s[14:15], s[8:9]
                                        ; implicit-def: $sgpr18_sgpr19
	s_branch .LBB81_579
.LBB81_582:
	v_mov_b32_e32 v155, 0
	v_mov_b32_e32 v156, 0
	s_branch .LBB81_585
.LBB81_583:
	s_set_inst_prefetch_distance 0x2
	s_or_b32 exec_lo, exec_lo, s23
	v_cmp_gt_i64_e32 vcc_lo, s[8:9], v[61:62]
	s_mov_b32 s14, 0
	s_delay_alu instid0(SALU_CYCLE_1)
	v_mov_b32_e32 v156, s14
	v_cndmask_b32_e64 v155, 0, 1, vcc_lo
.LBB81_584:
	s_or_b32 exec_lo, exec_lo, s22
.LBB81_585:
	s_delay_alu instid0(SALU_CYCLE_1) | instskip(SKIP_3) | instid1(VALU_DEP_2)
	s_or_b32 exec_lo, exec_lo, s21
	v_dual_mov_b32 v158, v20 :: v_dual_add_nc_u32 v57, 5, v64
	v_mov_b32_e32 v157, v19
	s_mov_b32 s21, exec_lo
	v_cmpx_gt_u32_e64 s20, v57
	s_cbranch_execz .LBB81_596
; %bb.586:
	v_cmp_ne_u32_e32 vcc_lo, 1, v63
	s_cbranch_vccnz .LBB81_593
; %bb.587:
	v_mad_u64_u32 v[57:58], null, v19, s8, s[10:11]
	s_waitcnt lgkmcnt(0)
	v_mul_lo_u32 v61, v19, s9
	v_mul_lo_u32 v62, v20, s8
	v_mad_u64_u32 v[59:60], null, v17, s8, s[10:11]
	v_mul_lo_u32 v65, v17, s9
	v_mul_lo_u32 v66, v18, s8
	v_mov_b32_e32 v157, 1
	v_mov_b32_e32 v158, 0
	s_mov_b32 s22, exec_lo
	v_add3_u32 v58, v62, v58, v61
	s_delay_alu instid0(VALU_DEP_4)
	v_add3_u32 v60, v66, v60, v65
	s_clause 0x1
	global_load_u8 v61, v[57:58], off
	global_load_u8 v62, v[59:60], off
	s_waitcnt vmcnt(0)
	v_cmpx_eq_u16_e64 v61, v62
	s_cbranch_execz .LBB81_595
; %bb.588:
	s_mov_b64 s[14:15], 1
	s_mov_b32 s23, 0
                                        ; implicit-def: $sgpr24
	s_set_inst_prefetch_distance 0x1
	s_branch .LBB81_591
	.p2align	6
.LBB81_589:                             ;   in Loop: Header=BB81_591 Depth=1
	v_add_co_u32 v61, vcc_lo, v57, s14
	v_add_co_ci_u32_e32 v62, vcc_lo, s15, v58, vcc_lo
	v_add_co_u32 v65, vcc_lo, v59, s14
	v_add_co_ci_u32_e32 v66, vcc_lo, s15, v60, vcc_lo
	s_add_u32 s18, s14, 1
	s_clause 0x1
	global_load_u8 v61, v[61:62], off
	global_load_u8 v62, v[65:66], off
	s_addc_u32 s19, s15, 0
	s_and_not1_b32 s24, s24, exec_lo
	s_waitcnt vmcnt(0)
	v_cmp_ne_u16_e32 vcc_lo, v61, v62
	s_and_b32 s25, vcc_lo, exec_lo
	s_delay_alu instid0(SALU_CYCLE_1)
	s_or_b32 s24, s24, s25
.LBB81_590:                             ;   in Loop: Header=BB81_591 Depth=1
	v_dual_mov_b32 v62, s15 :: v_dual_mov_b32 v61, s14
	s_and_b32 s25, exec_lo, s24
	s_mov_b64 s[14:15], s[18:19]
	s_or_b32 s23, s25, s23
	s_delay_alu instid0(SALU_CYCLE_1)
	s_and_not1_b32 exec_lo, exec_lo, s23
	s_cbranch_execz .LBB81_594
.LBB81_591:                             ; =>This Inner Loop Header: Depth=1
	s_or_b32 s24, s24, exec_lo
	s_cmp_eq_u64 s[8:9], s[14:15]
	s_cbranch_scc0 .LBB81_589
; %bb.592:                              ;   in Loop: Header=BB81_591 Depth=1
	s_mov_b64 s[14:15], s[8:9]
                                        ; implicit-def: $sgpr18_sgpr19
	s_branch .LBB81_590
.LBB81_593:
	v_mov_b32_e32 v157, 0
	v_mov_b32_e32 v158, 0
	s_branch .LBB81_596
.LBB81_594:
	s_set_inst_prefetch_distance 0x2
	s_or_b32 exec_lo, exec_lo, s23
	v_cmp_gt_i64_e32 vcc_lo, s[8:9], v[61:62]
	s_mov_b32 s14, 0
	s_delay_alu instid0(SALU_CYCLE_1)
	v_mov_b32_e32 v158, s14
	v_cndmask_b32_e64 v157, 0, 1, vcc_lo
.LBB81_595:
	s_or_b32 exec_lo, exec_lo, s22
.LBB81_596:
	s_delay_alu instid0(SALU_CYCLE_1) | instskip(SKIP_3) | instid1(VALU_DEP_2)
	s_or_b32 exec_lo, exec_lo, s21
	v_dual_mov_b32 v160, v18 :: v_dual_add_nc_u32 v57, 4, v64
	v_mov_b32_e32 v159, v17
	s_mov_b32 s21, exec_lo
	v_cmpx_gt_u32_e64 s20, v57
	s_cbranch_execz .LBB81_607
; %bb.597:
	v_cmp_ne_u32_e32 vcc_lo, 1, v63
	s_cbranch_vccnz .LBB81_604
; %bb.598:
	v_mad_u64_u32 v[57:58], null, v17, s8, s[10:11]
	s_waitcnt lgkmcnt(0)
	v_mul_lo_u32 v61, v17, s9
	v_mul_lo_u32 v62, v18, s8
	v_mad_u64_u32 v[59:60], null, v15, s8, s[10:11]
	v_mul_lo_u32 v65, v15, s9
	v_mul_lo_u32 v66, v16, s8
	v_mov_b32_e32 v159, 1
	v_mov_b32_e32 v160, 0
	s_mov_b32 s22, exec_lo
	v_add3_u32 v58, v62, v58, v61
	s_delay_alu instid0(VALU_DEP_4)
	v_add3_u32 v60, v66, v60, v65
	s_clause 0x1
	global_load_u8 v61, v[57:58], off
	global_load_u8 v62, v[59:60], off
	s_waitcnt vmcnt(0)
	v_cmpx_eq_u16_e64 v61, v62
	s_cbranch_execz .LBB81_606
; %bb.599:
	s_mov_b64 s[14:15], 1
	s_mov_b32 s23, 0
                                        ; implicit-def: $sgpr24
	s_set_inst_prefetch_distance 0x1
	s_branch .LBB81_602
	.p2align	6
.LBB81_600:                             ;   in Loop: Header=BB81_602 Depth=1
	v_add_co_u32 v61, vcc_lo, v57, s14
	v_add_co_ci_u32_e32 v62, vcc_lo, s15, v58, vcc_lo
	v_add_co_u32 v65, vcc_lo, v59, s14
	v_add_co_ci_u32_e32 v66, vcc_lo, s15, v60, vcc_lo
	s_add_u32 s18, s14, 1
	s_clause 0x1
	global_load_u8 v61, v[61:62], off
	global_load_u8 v62, v[65:66], off
	s_addc_u32 s19, s15, 0
	s_and_not1_b32 s24, s24, exec_lo
	s_waitcnt vmcnt(0)
	v_cmp_ne_u16_e32 vcc_lo, v61, v62
	s_and_b32 s25, vcc_lo, exec_lo
	s_delay_alu instid0(SALU_CYCLE_1)
	s_or_b32 s24, s24, s25
.LBB81_601:                             ;   in Loop: Header=BB81_602 Depth=1
	v_dual_mov_b32 v62, s15 :: v_dual_mov_b32 v61, s14
	s_and_b32 s25, exec_lo, s24
	s_mov_b64 s[14:15], s[18:19]
	s_or_b32 s23, s25, s23
	s_delay_alu instid0(SALU_CYCLE_1)
	s_and_not1_b32 exec_lo, exec_lo, s23
	s_cbranch_execz .LBB81_605
.LBB81_602:                             ; =>This Inner Loop Header: Depth=1
	s_or_b32 s24, s24, exec_lo
	s_cmp_eq_u64 s[8:9], s[14:15]
	s_cbranch_scc0 .LBB81_600
; %bb.603:                              ;   in Loop: Header=BB81_602 Depth=1
	s_mov_b64 s[14:15], s[8:9]
                                        ; implicit-def: $sgpr18_sgpr19
	s_branch .LBB81_601
.LBB81_604:
	v_mov_b32_e32 v159, 0
	v_mov_b32_e32 v160, 0
	s_branch .LBB81_607
.LBB81_605:
	s_set_inst_prefetch_distance 0x2
	s_or_b32 exec_lo, exec_lo, s23
	v_cmp_gt_i64_e32 vcc_lo, s[8:9], v[61:62]
	s_mov_b32 s14, 0
	s_delay_alu instid0(SALU_CYCLE_1)
	v_mov_b32_e32 v160, s14
	v_cndmask_b32_e64 v159, 0, 1, vcc_lo
.LBB81_606:
	s_or_b32 exec_lo, exec_lo, s22
.LBB81_607:
	s_delay_alu instid0(SALU_CYCLE_1) | instskip(SKIP_3) | instid1(VALU_DEP_2)
	s_or_b32 exec_lo, exec_lo, s21
	v_dual_mov_b32 v162, v16 :: v_dual_add_nc_u32 v57, 3, v64
	v_mov_b32_e32 v161, v15
	s_mov_b32 s21, exec_lo
	v_cmpx_gt_u32_e64 s20, v57
	s_cbranch_execz .LBB81_618
; %bb.608:
	v_cmp_ne_u32_e32 vcc_lo, 1, v63
	s_cbranch_vccnz .LBB81_615
; %bb.609:
	v_mad_u64_u32 v[57:58], null, v15, s8, s[10:11]
	s_waitcnt lgkmcnt(0)
	v_mul_lo_u32 v61, v15, s9
	v_mul_lo_u32 v62, v16, s8
	v_mad_u64_u32 v[59:60], null, v13, s8, s[10:11]
	v_mul_lo_u32 v65, v13, s9
	v_mul_lo_u32 v66, v14, s8
	v_mov_b32_e32 v161, 1
	v_mov_b32_e32 v162, 0
	s_mov_b32 s22, exec_lo
	v_add3_u32 v58, v62, v58, v61
	s_delay_alu instid0(VALU_DEP_4)
	v_add3_u32 v60, v66, v60, v65
	s_clause 0x1
	global_load_u8 v61, v[57:58], off
	global_load_u8 v62, v[59:60], off
	s_waitcnt vmcnt(0)
	v_cmpx_eq_u16_e64 v61, v62
	s_cbranch_execz .LBB81_617
; %bb.610:
	s_mov_b64 s[14:15], 1
	s_mov_b32 s23, 0
                                        ; implicit-def: $sgpr24
	s_set_inst_prefetch_distance 0x1
	s_branch .LBB81_613
	.p2align	6
.LBB81_611:                             ;   in Loop: Header=BB81_613 Depth=1
	v_add_co_u32 v61, vcc_lo, v57, s14
	v_add_co_ci_u32_e32 v62, vcc_lo, s15, v58, vcc_lo
	v_add_co_u32 v65, vcc_lo, v59, s14
	v_add_co_ci_u32_e32 v66, vcc_lo, s15, v60, vcc_lo
	s_add_u32 s18, s14, 1
	s_clause 0x1
	global_load_u8 v61, v[61:62], off
	global_load_u8 v62, v[65:66], off
	s_addc_u32 s19, s15, 0
	s_and_not1_b32 s24, s24, exec_lo
	s_waitcnt vmcnt(0)
	v_cmp_ne_u16_e32 vcc_lo, v61, v62
	s_and_b32 s25, vcc_lo, exec_lo
	s_delay_alu instid0(SALU_CYCLE_1)
	s_or_b32 s24, s24, s25
.LBB81_612:                             ;   in Loop: Header=BB81_613 Depth=1
	v_dual_mov_b32 v62, s15 :: v_dual_mov_b32 v61, s14
	s_and_b32 s25, exec_lo, s24
	s_mov_b64 s[14:15], s[18:19]
	s_or_b32 s23, s25, s23
	s_delay_alu instid0(SALU_CYCLE_1)
	s_and_not1_b32 exec_lo, exec_lo, s23
	s_cbranch_execz .LBB81_616
.LBB81_613:                             ; =>This Inner Loop Header: Depth=1
	s_or_b32 s24, s24, exec_lo
	s_cmp_eq_u64 s[8:9], s[14:15]
	s_cbranch_scc0 .LBB81_611
; %bb.614:                              ;   in Loop: Header=BB81_613 Depth=1
	s_mov_b64 s[14:15], s[8:9]
                                        ; implicit-def: $sgpr18_sgpr19
	s_branch .LBB81_612
.LBB81_615:
	v_mov_b32_e32 v161, 0
	v_mov_b32_e32 v162, 0
	s_branch .LBB81_618
.LBB81_616:
	s_set_inst_prefetch_distance 0x2
	s_or_b32 exec_lo, exec_lo, s23
	v_cmp_gt_i64_e32 vcc_lo, s[8:9], v[61:62]
	s_mov_b32 s14, 0
	s_delay_alu instid0(SALU_CYCLE_1)
	v_mov_b32_e32 v162, s14
	v_cndmask_b32_e64 v161, 0, 1, vcc_lo
.LBB81_617:
	s_or_b32 exec_lo, exec_lo, s22
.LBB81_618:
	s_delay_alu instid0(SALU_CYCLE_1) | instskip(SKIP_3) | instid1(VALU_DEP_2)
	s_or_b32 exec_lo, exec_lo, s21
	v_dual_mov_b32 v164, v14 :: v_dual_add_nc_u32 v57, 2, v64
	v_mov_b32_e32 v163, v13
	s_mov_b32 s21, exec_lo
	v_cmpx_gt_u32_e64 s20, v57
	s_cbranch_execz .LBB81_629
; %bb.619:
	v_cmp_ne_u32_e32 vcc_lo, 1, v63
	s_cbranch_vccnz .LBB81_626
; %bb.620:
	v_mad_u64_u32 v[57:58], null, v13, s8, s[10:11]
	s_waitcnt lgkmcnt(0)
	v_mul_lo_u32 v61, v13, s9
	v_mul_lo_u32 v62, v14, s8
	v_mad_u64_u32 v[59:60], null, v3, s8, s[10:11]
	v_mul_lo_u32 v65, v3, s9
	v_mul_lo_u32 v66, v4, s8
	v_mov_b32_e32 v163, 1
	v_mov_b32_e32 v164, 0
	s_mov_b32 s22, exec_lo
	v_add3_u32 v58, v62, v58, v61
	s_delay_alu instid0(VALU_DEP_4)
	v_add3_u32 v60, v66, v60, v65
	s_clause 0x1
	global_load_u8 v61, v[57:58], off
	global_load_u8 v62, v[59:60], off
	s_waitcnt vmcnt(0)
	v_cmpx_eq_u16_e64 v61, v62
	s_cbranch_execz .LBB81_628
; %bb.621:
	s_mov_b64 s[14:15], 1
	s_mov_b32 s23, 0
                                        ; implicit-def: $sgpr24
	s_set_inst_prefetch_distance 0x1
	s_branch .LBB81_624
	.p2align	6
.LBB81_622:                             ;   in Loop: Header=BB81_624 Depth=1
	v_add_co_u32 v61, vcc_lo, v57, s14
	v_add_co_ci_u32_e32 v62, vcc_lo, s15, v58, vcc_lo
	v_add_co_u32 v65, vcc_lo, v59, s14
	v_add_co_ci_u32_e32 v66, vcc_lo, s15, v60, vcc_lo
	s_add_u32 s18, s14, 1
	s_clause 0x1
	global_load_u8 v61, v[61:62], off
	global_load_u8 v62, v[65:66], off
	s_addc_u32 s19, s15, 0
	s_and_not1_b32 s24, s24, exec_lo
	s_waitcnt vmcnt(0)
	v_cmp_ne_u16_e32 vcc_lo, v61, v62
	s_and_b32 s25, vcc_lo, exec_lo
	s_delay_alu instid0(SALU_CYCLE_1)
	s_or_b32 s24, s24, s25
.LBB81_623:                             ;   in Loop: Header=BB81_624 Depth=1
	v_dual_mov_b32 v62, s15 :: v_dual_mov_b32 v61, s14
	s_and_b32 s25, exec_lo, s24
	s_mov_b64 s[14:15], s[18:19]
	s_or_b32 s23, s25, s23
	s_delay_alu instid0(SALU_CYCLE_1)
	s_and_not1_b32 exec_lo, exec_lo, s23
	s_cbranch_execz .LBB81_627
.LBB81_624:                             ; =>This Inner Loop Header: Depth=1
	s_or_b32 s24, s24, exec_lo
	s_cmp_eq_u64 s[8:9], s[14:15]
	s_cbranch_scc0 .LBB81_622
; %bb.625:                              ;   in Loop: Header=BB81_624 Depth=1
	s_mov_b64 s[14:15], s[8:9]
                                        ; implicit-def: $sgpr18_sgpr19
	s_branch .LBB81_623
.LBB81_626:
	v_mov_b32_e32 v163, 0
	v_mov_b32_e32 v164, 0
	s_branch .LBB81_629
.LBB81_627:
	s_set_inst_prefetch_distance 0x2
	s_or_b32 exec_lo, exec_lo, s23
	v_cmp_gt_i64_e32 vcc_lo, s[8:9], v[61:62]
	s_mov_b32 s14, 0
	s_delay_alu instid0(SALU_CYCLE_1)
	v_mov_b32_e32 v164, s14
	v_cndmask_b32_e64 v163, 0, 1, vcc_lo
.LBB81_628:
	s_or_b32 exec_lo, exec_lo, s22
.LBB81_629:
	s_delay_alu instid0(SALU_CYCLE_1) | instskip(SKIP_3) | instid1(VALU_DEP_2)
	s_or_b32 exec_lo, exec_lo, s21
	v_dual_mov_b32 v166, v4 :: v_dual_add_nc_u32 v57, 1, v64
	v_mov_b32_e32 v165, v3
	s_mov_b32 s21, exec_lo
	v_cmpx_gt_u32_e64 s20, v57
	s_cbranch_execz .LBB81_640
; %bb.630:
	v_cmp_ne_u32_e32 vcc_lo, 1, v63
	s_cbranch_vccnz .LBB81_637
; %bb.631:
	v_mad_u64_u32 v[57:58], null, v3, s8, s[10:11]
	s_waitcnt lgkmcnt(0)
	v_mul_lo_u32 v61, v3, s9
	v_mul_lo_u32 v62, v4, s8
	v_mad_u64_u32 v[59:60], null, v1, s8, s[10:11]
	v_mul_lo_u32 v65, v1, s9
	v_mul_lo_u32 v66, v2, s8
	v_mov_b32_e32 v165, 1
	v_mov_b32_e32 v166, 0
	s_mov_b32 s22, exec_lo
	v_add3_u32 v58, v62, v58, v61
	s_delay_alu instid0(VALU_DEP_4)
	v_add3_u32 v60, v66, v60, v65
	s_clause 0x1
	global_load_u8 v61, v[57:58], off
	global_load_u8 v62, v[59:60], off
	s_waitcnt vmcnt(0)
	v_cmpx_eq_u16_e64 v61, v62
	s_cbranch_execz .LBB81_639
; %bb.632:
	s_mov_b64 s[14:15], 1
	s_mov_b32 s23, 0
                                        ; implicit-def: $sgpr24
	s_set_inst_prefetch_distance 0x1
	s_branch .LBB81_635
	.p2align	6
.LBB81_633:                             ;   in Loop: Header=BB81_635 Depth=1
	v_add_co_u32 v61, vcc_lo, v57, s14
	v_add_co_ci_u32_e32 v62, vcc_lo, s15, v58, vcc_lo
	v_add_co_u32 v65, vcc_lo, v59, s14
	v_add_co_ci_u32_e32 v66, vcc_lo, s15, v60, vcc_lo
	s_add_u32 s18, s14, 1
	s_clause 0x1
	global_load_u8 v61, v[61:62], off
	global_load_u8 v62, v[65:66], off
	s_addc_u32 s19, s15, 0
	s_and_not1_b32 s24, s24, exec_lo
	s_waitcnt vmcnt(0)
	v_cmp_ne_u16_e32 vcc_lo, v61, v62
	s_and_b32 s25, vcc_lo, exec_lo
	s_delay_alu instid0(SALU_CYCLE_1)
	s_or_b32 s24, s24, s25
.LBB81_634:                             ;   in Loop: Header=BB81_635 Depth=1
	v_dual_mov_b32 v62, s15 :: v_dual_mov_b32 v61, s14
	s_and_b32 s25, exec_lo, s24
	s_mov_b64 s[14:15], s[18:19]
	s_or_b32 s23, s25, s23
	s_delay_alu instid0(SALU_CYCLE_1)
	s_and_not1_b32 exec_lo, exec_lo, s23
	s_cbranch_execz .LBB81_638
.LBB81_635:                             ; =>This Inner Loop Header: Depth=1
	s_or_b32 s24, s24, exec_lo
	s_cmp_eq_u64 s[8:9], s[14:15]
	s_cbranch_scc0 .LBB81_633
; %bb.636:                              ;   in Loop: Header=BB81_635 Depth=1
	s_mov_b64 s[14:15], s[8:9]
                                        ; implicit-def: $sgpr18_sgpr19
	s_branch .LBB81_634
.LBB81_637:
	v_mov_b32_e32 v165, 0
	v_mov_b32_e32 v166, 0
	s_branch .LBB81_640
.LBB81_638:
	s_set_inst_prefetch_distance 0x2
	s_or_b32 exec_lo, exec_lo, s23
	v_cmp_gt_i64_e32 vcc_lo, s[8:9], v[61:62]
	s_mov_b32 s14, 0
	s_delay_alu instid0(SALU_CYCLE_1)
	v_mov_b32_e32 v166, s14
	v_cndmask_b32_e64 v165, 0, 1, vcc_lo
.LBB81_639:
	s_or_b32 exec_lo, exec_lo, s22
.LBB81_640:
	s_delay_alu instid0(SALU_CYCLE_1)
	s_or_b32 exec_lo, exec_lo, s21
	s_waitcnt lgkmcnt(0)
	v_dual_mov_b32 v58, s13 :: v_dual_mov_b32 v57, s12
	s_mov_b32 s12, exec_lo
	s_barrier
	buffer_gl0_inv
	v_cmpx_ne_u32_e32 0, v0
	s_cbranch_execz .LBB81_642
; %bb.641:
	v_add_nc_u32_e32 v57, -8, v195
	ds_load_b64 v[57:58], v57
.LBB81_642:
	s_or_b32 exec_lo, exec_lo, s12
	s_delay_alu instid0(SALU_CYCLE_1)
	s_mov_b32 s18, exec_lo
                                        ; implicit-def: $sgpr14
	v_cmpx_gt_u32_e64 s20, v64
	s_cbranch_execz .LBB81_654
; %bb.643:
	v_cmp_ne_u32_e32 vcc_lo, 1, v63
	s_cbranch_vccnz .LBB81_650
; %bb.644:
	v_mad_u64_u32 v[59:60], null, v1, s8, s[10:11]
	v_mul_lo_u32 v63, v1, s9
	v_mul_lo_u32 v64, v2, s8
	s_waitcnt lgkmcnt(0)
	v_mad_u64_u32 v[61:62], null, v57, s8, s[10:11]
	v_mul_lo_u32 v57, v57, s9
	v_mul_lo_u32 v58, v58, s8
	s_mov_b32 s12, -1
	s_mov_b32 s19, exec_lo
	s_delay_alu instid0(VALU_DEP_4) | instskip(NEXT) | instid1(VALU_DEP_2)
	v_add3_u32 v60, v64, v60, v63
	v_add3_u32 v62, v58, v62, v57
	s_clause 0x1
	global_load_u8 v57, v[59:60], off
	global_load_u8 v58, v[61:62], off
	s_waitcnt vmcnt(0)
	v_cmpx_eq_u16_e64 v57, v58
	s_cbranch_execz .LBB81_652
; %bb.645:
	s_mov_b64 s[12:13], 1
	s_mov_b32 s20, 0
                                        ; implicit-def: $sgpr21
	s_set_inst_prefetch_distance 0x1
	s_branch .LBB81_648
	.p2align	6
.LBB81_646:                             ;   in Loop: Header=BB81_648 Depth=1
	v_add_co_u32 v57, vcc_lo, v59, s12
	v_add_co_ci_u32_e32 v58, vcc_lo, s13, v60, vcc_lo
	v_add_co_u32 v63, vcc_lo, v61, s12
	v_add_co_ci_u32_e32 v64, vcc_lo, s13, v62, vcc_lo
	s_add_u32 s14, s12, 1
	s_clause 0x1
	global_load_u8 v57, v[57:58], off
	global_load_u8 v58, v[63:64], off
	s_addc_u32 s15, s13, 0
	s_and_not1_b32 s21, s21, exec_lo
	s_waitcnt vmcnt(0)
	v_cmp_ne_u16_e32 vcc_lo, v57, v58
	s_and_b32 s22, vcc_lo, exec_lo
	s_delay_alu instid0(SALU_CYCLE_1)
	s_or_b32 s21, s21, s22
.LBB81_647:                             ;   in Loop: Header=BB81_648 Depth=1
	v_dual_mov_b32 v58, s13 :: v_dual_mov_b32 v57, s12
	s_and_b32 s22, exec_lo, s21
	s_mov_b64 s[12:13], s[14:15]
	s_or_b32 s20, s22, s20
	s_delay_alu instid0(SALU_CYCLE_1)
	s_and_not1_b32 exec_lo, exec_lo, s20
	s_cbranch_execz .LBB81_651
.LBB81_648:                             ; =>This Inner Loop Header: Depth=1
	s_or_b32 s21, s21, exec_lo
	s_cmp_eq_u64 s[8:9], s[12:13]
	s_cbranch_scc0 .LBB81_646
; %bb.649:                              ;   in Loop: Header=BB81_648 Depth=1
	s_mov_b64 s[12:13], s[8:9]
                                        ; implicit-def: $sgpr14_sgpr15
	s_branch .LBB81_647
.LBB81_650:
	s_mov_b32 s12, 0
	s_branch .LBB81_653
.LBB81_651:
	s_set_inst_prefetch_distance 0x2
	s_or_b32 exec_lo, exec_lo, s20
	v_cmp_gt_i64_e32 vcc_lo, s[8:9], v[57:58]
	s_or_not1_b32 s12, vcc_lo, exec_lo
.LBB81_652:
	s_or_b32 exec_lo, exec_lo, s19
.LBB81_653:
	s_delay_alu instid0(SALU_CYCLE_1)
	s_and_b32 s14, s12, exec_lo
	s_or_b32 s3, s3, exec_lo
.LBB81_654:
	s_or_b32 exec_lo, exec_lo, s18
	v_dual_mov_b32 v182, v166 :: v_dual_mov_b32 v181, v165
	v_dual_mov_b32 v168, v164 :: v_dual_mov_b32 v167, v163
	;; [unrolled: 1-line block ×27, first 2 shown]
	s_branch .LBB81_1243
.LBB81_655:
	s_cmp_lg_u64 s[0:1], 1
	s_cbranch_scc0 .LBB81_663
; %bb.656:
	v_mul_lo_u32 v59, v8, s8
	v_mul_lo_u32 v60, v7, s9
	s_waitcnt lgkmcnt(0)
	v_mad_u64_u32 v[57:58], null, v7, s8, 0
	v_mov_b32_e32 v113, 0
	v_mov_b32_e32 v114, 0
	v_cmp_lt_i64_e64 s0, s[8:9], 1
	v_cmp_gt_i64_e64 s14, s[8:9], 0
	s_delay_alu instid0(VALU_DEP_4)
	v_mov_b32_e32 v111, v113
	ds_store_b64 v195, v[109:110]
	v_mov_b32_e32 v112, v114
	v_add3_u32 v64, v58, v60, v59
	s_and_b32 vcc_lo, exec_lo, s0
	s_cbranch_vccnz .LBB81_666
; %bb.657:
	v_mad_u64_u32 v[58:59], null, v109, s8, s[10:11]
	v_mul_lo_u32 v60, v109, s9
	v_mul_lo_u32 v61, v110, s8
	v_mov_b32_e32 v111, 1
	v_mov_b32_e32 v112, 0
	s_mov_b32 s15, exec_lo
	s_delay_alu instid0(VALU_DEP_3)
	v_add3_u32 v59, v61, v59, v60
	v_add_co_u32 v60, vcc_lo, s10, v57
	v_add_co_ci_u32_e32 v61, vcc_lo, s11, v64, vcc_lo
	s_clause 0x1
	global_load_u8 v62, v[58:59], off
	global_load_u8 v63, v[60:61], off
	s_waitcnt vmcnt(0)
	v_cmpx_eq_u16_e64 v62, v63
	s_cbranch_execz .LBB81_665
; %bb.658:
	s_mov_b64 s[0:1], 1
	s_mov_b32 s18, 0
                                        ; implicit-def: $sgpr19
	s_set_inst_prefetch_distance 0x1
	s_branch .LBB81_661
	.p2align	6
.LBB81_659:                             ;   in Loop: Header=BB81_661 Depth=1
	v_add_co_u32 v62, vcc_lo, v58, s0
	v_add_co_ci_u32_e32 v63, vcc_lo, s1, v59, vcc_lo
	v_add_co_u32 v65, vcc_lo, v60, s0
	v_add_co_ci_u32_e32 v66, vcc_lo, s1, v61, vcc_lo
	s_add_u32 s12, s0, 1
	s_clause 0x1
	global_load_u8 v62, v[62:63], off
	global_load_u8 v63, v[65:66], off
	s_addc_u32 s13, s1, 0
	s_and_not1_b32 s19, s19, exec_lo
	s_waitcnt vmcnt(0)
	v_cmp_ne_u16_e32 vcc_lo, v62, v63
	s_and_b32 s20, vcc_lo, exec_lo
	s_delay_alu instid0(SALU_CYCLE_1)
	s_or_b32 s19, s19, s20
.LBB81_660:                             ;   in Loop: Header=BB81_661 Depth=1
	v_dual_mov_b32 v63, s1 :: v_dual_mov_b32 v62, s0
	s_and_b32 s20, exec_lo, s19
	s_mov_b64 s[0:1], s[12:13]
	s_or_b32 s18, s20, s18
	s_delay_alu instid0(SALU_CYCLE_1)
	s_and_not1_b32 exec_lo, exec_lo, s18
	s_cbranch_execz .LBB81_664
.LBB81_661:                             ; =>This Inner Loop Header: Depth=1
	s_or_b32 s19, s19, exec_lo
	s_cmp_eq_u64 s[8:9], s[0:1]
	s_cbranch_scc0 .LBB81_659
; %bb.662:                              ;   in Loop: Header=BB81_661 Depth=1
	s_mov_b64 s[0:1], s[8:9]
                                        ; implicit-def: $sgpr12_sgpr13
	s_branch .LBB81_660
.LBB81_663:
                                        ; implicit-def: $sgpr14
                                        ; implicit-def: $vgpr165_vgpr166
                                        ; implicit-def: $vgpr163_vgpr164
                                        ; implicit-def: $vgpr161_vgpr162
                                        ; implicit-def: $vgpr159_vgpr160
                                        ; implicit-def: $vgpr157_vgpr158
                                        ; implicit-def: $vgpr155_vgpr156
                                        ; implicit-def: $vgpr153_vgpr154
                                        ; implicit-def: $vgpr151_vgpr152
                                        ; implicit-def: $vgpr149_vgpr150
                                        ; implicit-def: $vgpr147_vgpr148
                                        ; implicit-def: $vgpr145_vgpr146
                                        ; implicit-def: $vgpr143_vgpr144
                                        ; implicit-def: $vgpr141_vgpr142
                                        ; implicit-def: $vgpr139_vgpr140
                                        ; implicit-def: $vgpr137_vgpr138
                                        ; implicit-def: $vgpr135_vgpr136
                                        ; implicit-def: $vgpr133_vgpr134
                                        ; implicit-def: $vgpr131_vgpr132
                                        ; implicit-def: $vgpr129_vgpr130
                                        ; implicit-def: $vgpr127_vgpr128
                                        ; implicit-def: $vgpr125_vgpr126
                                        ; implicit-def: $vgpr123_vgpr124
                                        ; implicit-def: $vgpr121_vgpr122
                                        ; implicit-def: $vgpr119_vgpr120
                                        ; implicit-def: $vgpr117_vgpr118
                                        ; implicit-def: $vgpr113_vgpr114
                                        ; implicit-def: $vgpr115_vgpr116
                                        ; implicit-def: $vgpr111_vgpr112
                                        ; implicit-def: $vgpr181_vgpr182
                                        ; implicit-def: $vgpr167_vgpr168
                                        ; implicit-def: $vgpr169_vgpr170
                                        ; implicit-def: $vgpr171_vgpr172
                                        ; implicit-def: $vgpr173_vgpr174
                                        ; implicit-def: $vgpr175_vgpr176
                                        ; implicit-def: $vgpr177_vgpr178
                                        ; implicit-def: $vgpr179_vgpr180
                                        ; implicit-def: $vgpr183_vgpr184
                                        ; implicit-def: $vgpr185_vgpr186
                                        ; implicit-def: $vgpr187_vgpr188
                                        ; implicit-def: $vgpr189_vgpr190
                                        ; implicit-def: $vgpr191_vgpr192
                                        ; implicit-def: $vgpr193_vgpr194
                                        ; implicit-def: $vgpr57_vgpr58_vgpr59_vgpr60
                                        ; implicit-def: $vgpr61_vgpr62_vgpr63_vgpr64
                                        ; implicit-def: $vgpr65_vgpr66_vgpr67_vgpr68
                                        ; implicit-def: $vgpr69_vgpr70_vgpr71_vgpr72
                                        ; implicit-def: $vgpr73_vgpr74_vgpr75_vgpr76
                                        ; implicit-def: $vgpr77_vgpr78_vgpr79_vgpr80
                                        ; implicit-def: $vgpr81_vgpr82_vgpr83_vgpr84
                                        ; implicit-def: $vgpr85_vgpr86_vgpr87_vgpr88
                                        ; implicit-def: $vgpr89_vgpr90_vgpr91_vgpr92
                                        ; implicit-def: $vgpr93_vgpr94_vgpr95_vgpr96
                                        ; implicit-def: $vgpr97_vgpr98_vgpr99_vgpr100
                                        ; implicit-def: $vgpr101_vgpr102_vgpr103_vgpr104
                                        ; implicit-def: $vgpr105_vgpr106_vgpr107_vgpr108
	s_cbranch_execnz .LBB81_923
	s_branch .LBB81_1243
.LBB81_664:
	s_set_inst_prefetch_distance 0x2
	s_or_b32 exec_lo, exec_lo, s18
	v_cmp_gt_i64_e32 vcc_lo, s[8:9], v[62:63]
	s_mov_b32 s0, 0
	s_delay_alu instid0(SALU_CYCLE_1)
	v_mov_b32_e32 v112, s0
	v_cndmask_b32_e64 v111, 0, 1, vcc_lo
.LBB81_665:
	s_or_b32 exec_lo, exec_lo, s15
.LBB81_666:
	v_mul_lo_u32 v60, v6, s8
	v_mul_lo_u32 v61, v5, s9
	v_mad_u64_u32 v[58:59], null, v5, s8, 0
	v_cndmask_b32_e64 v65, 0, 1, s14
	v_dual_mov_b32 v116, v114 :: v_dual_mov_b32 v115, v113
	s_and_not1_b32 vcc_lo, exec_lo, s14
	s_delay_alu instid0(VALU_DEP_3)
	v_add3_u32 v66, v59, v61, v60
	s_cbranch_vccnz .LBB81_675
; %bb.667:
	v_add_co_u32 v59, vcc_lo, s10, v57
	v_add_co_ci_u32_e32 v60, vcc_lo, s11, v64, vcc_lo
	v_add_co_u32 v61, vcc_lo, s10, v58
	v_add_co_ci_u32_e32 v62, vcc_lo, s11, v66, vcc_lo
	v_mov_b32_e32 v115, 1
	s_clause 0x1
	global_load_u8 v57, v[59:60], off
	global_load_u8 v63, v[61:62], off
	v_mov_b32_e32 v116, 0
	s_mov_b32 s14, exec_lo
	s_waitcnt vmcnt(0)
	v_cmpx_eq_u16_e64 v57, v63
	s_cbranch_execz .LBB81_674
; %bb.668:
	s_mov_b64 s[0:1], 1
	s_mov_b32 s15, 0
                                        ; implicit-def: $sgpr18
	s_set_inst_prefetch_distance 0x1
	s_branch .LBB81_671
	.p2align	6
.LBB81_669:                             ;   in Loop: Header=BB81_671 Depth=1
	v_add_co_u32 v63, vcc_lo, v59, s0
	v_add_co_ci_u32_e32 v64, vcc_lo, s1, v60, vcc_lo
	v_add_co_u32 v67, vcc_lo, v61, s0
	v_add_co_ci_u32_e32 v68, vcc_lo, s1, v62, vcc_lo
	s_add_u32 s12, s0, 1
	s_clause 0x1
	global_load_u8 v57, v[63:64], off
	global_load_u8 v63, v[67:68], off
	s_addc_u32 s13, s1, 0
	s_and_not1_b32 s18, s18, exec_lo
	s_waitcnt vmcnt(0)
	v_cmp_ne_u16_e32 vcc_lo, v57, v63
	s_and_b32 s19, vcc_lo, exec_lo
	s_delay_alu instid0(SALU_CYCLE_1)
	s_or_b32 s18, s18, s19
.LBB81_670:                             ;   in Loop: Header=BB81_671 Depth=1
	v_dual_mov_b32 v64, s1 :: v_dual_mov_b32 v63, s0
	s_and_b32 s19, exec_lo, s18
	s_mov_b64 s[0:1], s[12:13]
	s_or_b32 s15, s19, s15
	s_delay_alu instid0(SALU_CYCLE_1)
	s_and_not1_b32 exec_lo, exec_lo, s15
	s_cbranch_execz .LBB81_673
.LBB81_671:                             ; =>This Inner Loop Header: Depth=1
	s_or_b32 s18, s18, exec_lo
	s_cmp_eq_u64 s[8:9], s[0:1]
	s_cbranch_scc0 .LBB81_669
; %bb.672:                              ;   in Loop: Header=BB81_671 Depth=1
	s_mov_b64 s[0:1], s[8:9]
                                        ; implicit-def: $sgpr12_sgpr13
	s_branch .LBB81_670
.LBB81_673:
	s_set_inst_prefetch_distance 0x2
	s_or_b32 exec_lo, exec_lo, s15
	v_cmp_gt_i64_e32 vcc_lo, s[8:9], v[63:64]
	s_mov_b32 s0, 0
	s_delay_alu instid0(SALU_CYCLE_1)
	v_mov_b32_e32 v116, s0
	v_cndmask_b32_e64 v115, 0, 1, vcc_lo
.LBB81_674:
	s_or_b32 exec_lo, exec_lo, s14
.LBB81_675:
	v_mul_lo_u32 v57, v12, s8
	v_mul_lo_u32 v61, v11, s9
	v_mad_u64_u32 v[59:60], null, v11, s8, 0
	v_cmp_ne_u32_e32 vcc_lo, 1, v65
	s_delay_alu instid0(VALU_DEP_2)
	v_add3_u32 v64, v60, v61, v57
	s_cbranch_vccnz .LBB81_684
; %bb.676:
	v_add_co_u32 v57, vcc_lo, s10, v58
	v_add_co_ci_u32_e32 v58, vcc_lo, s11, v66, vcc_lo
	v_add_co_u32 v60, vcc_lo, s10, v59
	v_add_co_ci_u32_e32 v61, vcc_lo, s11, v64, vcc_lo
	v_mov_b32_e32 v113, 1
	s_clause 0x1
	global_load_u8 v62, v[57:58], off
	global_load_u8 v63, v[60:61], off
	v_mov_b32_e32 v114, 0
	s_mov_b32 s14, exec_lo
	s_waitcnt vmcnt(0)
	v_cmpx_eq_u16_e64 v62, v63
	s_cbranch_execz .LBB81_683
; %bb.677:
	s_mov_b64 s[0:1], 1
	s_mov_b32 s15, 0
                                        ; implicit-def: $sgpr18
	s_set_inst_prefetch_distance 0x1
	s_branch .LBB81_680
	.p2align	6
.LBB81_678:                             ;   in Loop: Header=BB81_680 Depth=1
	v_add_co_u32 v62, vcc_lo, v57, s0
	v_add_co_ci_u32_e32 v63, vcc_lo, s1, v58, vcc_lo
	v_add_co_u32 v66, vcc_lo, v60, s0
	v_add_co_ci_u32_e32 v67, vcc_lo, s1, v61, vcc_lo
	s_add_u32 s12, s0, 1
	s_clause 0x1
	global_load_u8 v62, v[62:63], off
	global_load_u8 v63, v[66:67], off
	s_addc_u32 s13, s1, 0
	s_and_not1_b32 s18, s18, exec_lo
	s_waitcnt vmcnt(0)
	v_cmp_ne_u16_e32 vcc_lo, v62, v63
	s_and_b32 s19, vcc_lo, exec_lo
	s_delay_alu instid0(SALU_CYCLE_1)
	s_or_b32 s18, s18, s19
.LBB81_679:                             ;   in Loop: Header=BB81_680 Depth=1
	v_dual_mov_b32 v63, s1 :: v_dual_mov_b32 v62, s0
	s_and_b32 s19, exec_lo, s18
	s_mov_b64 s[0:1], s[12:13]
	s_or_b32 s15, s19, s15
	s_delay_alu instid0(SALU_CYCLE_1)
	s_and_not1_b32 exec_lo, exec_lo, s15
	s_cbranch_execz .LBB81_682
.LBB81_680:                             ; =>This Inner Loop Header: Depth=1
	s_or_b32 s18, s18, exec_lo
	s_cmp_eq_u64 s[8:9], s[0:1]
	s_cbranch_scc0 .LBB81_678
; %bb.681:                              ;   in Loop: Header=BB81_680 Depth=1
	s_mov_b64 s[0:1], s[8:9]
                                        ; implicit-def: $sgpr12_sgpr13
	s_branch .LBB81_679
.LBB81_682:
	s_set_inst_prefetch_distance 0x2
	s_or_b32 exec_lo, exec_lo, s15
	v_cmp_gt_i64_e32 vcc_lo, s[8:9], v[62:63]
	s_mov_b32 s0, 0
	s_delay_alu instid0(SALU_CYCLE_1)
	v_mov_b32_e32 v114, s0
	v_cndmask_b32_e64 v113, 0, 1, vcc_lo
.LBB81_683:
	s_or_b32 exec_lo, exec_lo, s14
.LBB81_684:
	v_mul_lo_u32 v60, v10, s8
	v_mul_lo_u32 v61, v9, s9
	v_mad_u64_u32 v[57:58], null, v9, s8, 0
	v_mov_b32_e32 v119, 0
	v_mov_b32_e32 v120, 0
	v_cmp_ne_u32_e32 vcc_lo, 1, v65
	s_delay_alu instid0(VALU_DEP_2)
	v_dual_mov_b32 v117, v119 :: v_dual_mov_b32 v118, v120
	v_add3_u32 v66, v58, v61, v60
	s_cbranch_vccnz .LBB81_693
; %bb.685:
	v_add_co_u32 v58, vcc_lo, s10, v59
	v_add_co_ci_u32_e32 v59, vcc_lo, s11, v64, vcc_lo
	v_add_co_u32 v60, vcc_lo, s10, v57
	v_add_co_ci_u32_e32 v61, vcc_lo, s11, v66, vcc_lo
	v_mov_b32_e32 v117, 1
	s_clause 0x1
	global_load_u8 v62, v[58:59], off
	global_load_u8 v63, v[60:61], off
	v_mov_b32_e32 v118, 0
	s_mov_b32 s14, exec_lo
	s_waitcnt vmcnt(0)
	v_cmpx_eq_u16_e64 v62, v63
	s_cbranch_execz .LBB81_692
; %bb.686:
	s_mov_b64 s[0:1], 1
	s_mov_b32 s15, 0
                                        ; implicit-def: $sgpr18
	s_set_inst_prefetch_distance 0x1
	s_branch .LBB81_689
	.p2align	6
.LBB81_687:                             ;   in Loop: Header=BB81_689 Depth=1
	v_add_co_u32 v62, vcc_lo, v58, s0
	v_add_co_ci_u32_e32 v63, vcc_lo, s1, v59, vcc_lo
	v_add_co_u32 v67, vcc_lo, v60, s0
	v_add_co_ci_u32_e32 v68, vcc_lo, s1, v61, vcc_lo
	s_add_u32 s12, s0, 1
	s_clause 0x1
	global_load_u8 v62, v[62:63], off
	global_load_u8 v63, v[67:68], off
	s_addc_u32 s13, s1, 0
	s_and_not1_b32 s18, s18, exec_lo
	s_waitcnt vmcnt(0)
	v_cmp_ne_u16_e32 vcc_lo, v62, v63
	s_and_b32 s19, vcc_lo, exec_lo
	s_delay_alu instid0(SALU_CYCLE_1)
	s_or_b32 s18, s18, s19
.LBB81_688:                             ;   in Loop: Header=BB81_689 Depth=1
	v_dual_mov_b32 v63, s1 :: v_dual_mov_b32 v62, s0
	s_and_b32 s19, exec_lo, s18
	s_mov_b64 s[0:1], s[12:13]
	s_or_b32 s15, s19, s15
	s_delay_alu instid0(SALU_CYCLE_1)
	s_and_not1_b32 exec_lo, exec_lo, s15
	s_cbranch_execz .LBB81_691
.LBB81_689:                             ; =>This Inner Loop Header: Depth=1
	s_or_b32 s18, s18, exec_lo
	s_cmp_eq_u64 s[8:9], s[0:1]
	s_cbranch_scc0 .LBB81_687
; %bb.690:                              ;   in Loop: Header=BB81_689 Depth=1
	s_mov_b64 s[0:1], s[8:9]
                                        ; implicit-def: $sgpr12_sgpr13
	s_branch .LBB81_688
.LBB81_691:
	s_set_inst_prefetch_distance 0x2
	s_or_b32 exec_lo, exec_lo, s15
	v_cmp_gt_i64_e32 vcc_lo, s[8:9], v[62:63]
	s_mov_b32 s0, 0
	s_delay_alu instid0(SALU_CYCLE_1)
	v_mov_b32_e32 v118, s0
	v_cndmask_b32_e64 v117, 0, 1, vcc_lo
.LBB81_692:
	s_or_b32 exec_lo, exec_lo, s14
.LBB81_693:
	v_mul_lo_u32 v58, v56, s8
	v_mul_lo_u32 v61, v55, s9
	v_mad_u64_u32 v[59:60], null, v55, s8, 0
	v_cmp_ne_u32_e32 vcc_lo, 1, v65
	s_delay_alu instid0(VALU_DEP_2)
	v_add3_u32 v64, v60, v61, v58
	s_cbranch_vccnz .LBB81_702
; %bb.694:
	v_add_co_u32 v57, vcc_lo, s10, v57
	v_add_co_ci_u32_e32 v58, vcc_lo, s11, v66, vcc_lo
	v_add_co_u32 v60, vcc_lo, s10, v59
	v_add_co_ci_u32_e32 v61, vcc_lo, s11, v64, vcc_lo
	v_mov_b32_e32 v119, 1
	s_clause 0x1
	global_load_u8 v62, v[57:58], off
	global_load_u8 v63, v[60:61], off
	v_mov_b32_e32 v120, 0
	s_mov_b32 s14, exec_lo
	s_waitcnt vmcnt(0)
	v_cmpx_eq_u16_e64 v62, v63
	s_cbranch_execz .LBB81_701
; %bb.695:
	s_mov_b64 s[0:1], 1
	s_mov_b32 s15, 0
                                        ; implicit-def: $sgpr18
	s_set_inst_prefetch_distance 0x1
	s_branch .LBB81_698
	.p2align	6
.LBB81_696:                             ;   in Loop: Header=BB81_698 Depth=1
	v_add_co_u32 v62, vcc_lo, v57, s0
	v_add_co_ci_u32_e32 v63, vcc_lo, s1, v58, vcc_lo
	v_add_co_u32 v66, vcc_lo, v60, s0
	v_add_co_ci_u32_e32 v67, vcc_lo, s1, v61, vcc_lo
	s_add_u32 s12, s0, 1
	s_clause 0x1
	global_load_u8 v62, v[62:63], off
	global_load_u8 v63, v[66:67], off
	s_addc_u32 s13, s1, 0
	s_and_not1_b32 s18, s18, exec_lo
	s_waitcnt vmcnt(0)
	v_cmp_ne_u16_e32 vcc_lo, v62, v63
	s_and_b32 s19, vcc_lo, exec_lo
	s_delay_alu instid0(SALU_CYCLE_1)
	s_or_b32 s18, s18, s19
.LBB81_697:                             ;   in Loop: Header=BB81_698 Depth=1
	v_dual_mov_b32 v63, s1 :: v_dual_mov_b32 v62, s0
	s_and_b32 s19, exec_lo, s18
	s_mov_b64 s[0:1], s[12:13]
	s_or_b32 s15, s19, s15
	s_delay_alu instid0(SALU_CYCLE_1)
	s_and_not1_b32 exec_lo, exec_lo, s15
	s_cbranch_execz .LBB81_700
.LBB81_698:                             ; =>This Inner Loop Header: Depth=1
	s_or_b32 s18, s18, exec_lo
	s_cmp_eq_u64 s[8:9], s[0:1]
	s_cbranch_scc0 .LBB81_696
; %bb.699:                              ;   in Loop: Header=BB81_698 Depth=1
	s_mov_b64 s[0:1], s[8:9]
                                        ; implicit-def: $sgpr12_sgpr13
	s_branch .LBB81_697
.LBB81_700:
	s_set_inst_prefetch_distance 0x2
	s_or_b32 exec_lo, exec_lo, s15
	v_cmp_gt_i64_e32 vcc_lo, s[8:9], v[62:63]
	s_mov_b32 s0, 0
	s_delay_alu instid0(SALU_CYCLE_1)
	v_mov_b32_e32 v120, s0
	v_cndmask_b32_e64 v119, 0, 1, vcc_lo
.LBB81_701:
	s_or_b32 exec_lo, exec_lo, s14
.LBB81_702:
	v_mul_lo_u32 v60, v54, s8
	v_mul_lo_u32 v61, v53, s9
	v_mad_u64_u32 v[57:58], null, v53, s8, 0
	v_mov_b32_e32 v123, 0
	v_mov_b32_e32 v124, 0
	v_cmp_ne_u32_e32 vcc_lo, 1, v65
	s_delay_alu instid0(VALU_DEP_2)
	v_dual_mov_b32 v121, v123 :: v_dual_mov_b32 v122, v124
	v_add3_u32 v66, v58, v61, v60
	s_cbranch_vccnz .LBB81_711
; %bb.703:
	v_add_co_u32 v58, vcc_lo, s10, v59
	v_add_co_ci_u32_e32 v59, vcc_lo, s11, v64, vcc_lo
	v_add_co_u32 v60, vcc_lo, s10, v57
	v_add_co_ci_u32_e32 v61, vcc_lo, s11, v66, vcc_lo
	v_mov_b32_e32 v121, 1
	s_clause 0x1
	global_load_u8 v62, v[58:59], off
	global_load_u8 v63, v[60:61], off
	v_mov_b32_e32 v122, 0
	s_mov_b32 s14, exec_lo
	s_waitcnt vmcnt(0)
	v_cmpx_eq_u16_e64 v62, v63
	s_cbranch_execz .LBB81_710
; %bb.704:
	s_mov_b64 s[0:1], 1
	s_mov_b32 s15, 0
                                        ; implicit-def: $sgpr18
	s_set_inst_prefetch_distance 0x1
	s_branch .LBB81_707
	.p2align	6
.LBB81_705:                             ;   in Loop: Header=BB81_707 Depth=1
	v_add_co_u32 v62, vcc_lo, v58, s0
	v_add_co_ci_u32_e32 v63, vcc_lo, s1, v59, vcc_lo
	v_add_co_u32 v67, vcc_lo, v60, s0
	v_add_co_ci_u32_e32 v68, vcc_lo, s1, v61, vcc_lo
	s_add_u32 s12, s0, 1
	s_clause 0x1
	global_load_u8 v62, v[62:63], off
	global_load_u8 v63, v[67:68], off
	s_addc_u32 s13, s1, 0
	s_and_not1_b32 s18, s18, exec_lo
	s_waitcnt vmcnt(0)
	v_cmp_ne_u16_e32 vcc_lo, v62, v63
	s_and_b32 s19, vcc_lo, exec_lo
	s_delay_alu instid0(SALU_CYCLE_1)
	s_or_b32 s18, s18, s19
.LBB81_706:                             ;   in Loop: Header=BB81_707 Depth=1
	v_dual_mov_b32 v63, s1 :: v_dual_mov_b32 v62, s0
	s_and_b32 s19, exec_lo, s18
	s_mov_b64 s[0:1], s[12:13]
	s_or_b32 s15, s19, s15
	s_delay_alu instid0(SALU_CYCLE_1)
	s_and_not1_b32 exec_lo, exec_lo, s15
	s_cbranch_execz .LBB81_709
.LBB81_707:                             ; =>This Inner Loop Header: Depth=1
	s_or_b32 s18, s18, exec_lo
	s_cmp_eq_u64 s[8:9], s[0:1]
	s_cbranch_scc0 .LBB81_705
; %bb.708:                              ;   in Loop: Header=BB81_707 Depth=1
	s_mov_b64 s[0:1], s[8:9]
                                        ; implicit-def: $sgpr12_sgpr13
	s_branch .LBB81_706
.LBB81_709:
	s_set_inst_prefetch_distance 0x2
	s_or_b32 exec_lo, exec_lo, s15
	v_cmp_gt_i64_e32 vcc_lo, s[8:9], v[62:63]
	s_mov_b32 s0, 0
	s_delay_alu instid0(SALU_CYCLE_1)
	v_mov_b32_e32 v122, s0
	v_cndmask_b32_e64 v121, 0, 1, vcc_lo
.LBB81_710:
	s_or_b32 exec_lo, exec_lo, s14
.LBB81_711:
	v_mul_lo_u32 v58, v52, s8
	v_mul_lo_u32 v61, v51, s9
	v_mad_u64_u32 v[59:60], null, v51, s8, 0
	v_cmp_ne_u32_e32 vcc_lo, 1, v65
	s_delay_alu instid0(VALU_DEP_2)
	v_add3_u32 v64, v60, v61, v58
	s_cbranch_vccnz .LBB81_720
; %bb.712:
	v_add_co_u32 v57, vcc_lo, s10, v57
	v_add_co_ci_u32_e32 v58, vcc_lo, s11, v66, vcc_lo
	v_add_co_u32 v60, vcc_lo, s10, v59
	v_add_co_ci_u32_e32 v61, vcc_lo, s11, v64, vcc_lo
	v_mov_b32_e32 v123, 1
	s_clause 0x1
	global_load_u8 v62, v[57:58], off
	global_load_u8 v63, v[60:61], off
	v_mov_b32_e32 v124, 0
	s_mov_b32 s14, exec_lo
	s_waitcnt vmcnt(0)
	v_cmpx_eq_u16_e64 v62, v63
	s_cbranch_execz .LBB81_719
; %bb.713:
	s_mov_b64 s[0:1], 1
	s_mov_b32 s15, 0
                                        ; implicit-def: $sgpr18
	s_set_inst_prefetch_distance 0x1
	s_branch .LBB81_716
	.p2align	6
.LBB81_714:                             ;   in Loop: Header=BB81_716 Depth=1
	v_add_co_u32 v62, vcc_lo, v57, s0
	v_add_co_ci_u32_e32 v63, vcc_lo, s1, v58, vcc_lo
	v_add_co_u32 v66, vcc_lo, v60, s0
	v_add_co_ci_u32_e32 v67, vcc_lo, s1, v61, vcc_lo
	s_add_u32 s12, s0, 1
	s_clause 0x1
	global_load_u8 v62, v[62:63], off
	global_load_u8 v63, v[66:67], off
	s_addc_u32 s13, s1, 0
	s_and_not1_b32 s18, s18, exec_lo
	s_waitcnt vmcnt(0)
	v_cmp_ne_u16_e32 vcc_lo, v62, v63
	s_and_b32 s19, vcc_lo, exec_lo
	s_delay_alu instid0(SALU_CYCLE_1)
	s_or_b32 s18, s18, s19
.LBB81_715:                             ;   in Loop: Header=BB81_716 Depth=1
	v_dual_mov_b32 v63, s1 :: v_dual_mov_b32 v62, s0
	s_and_b32 s19, exec_lo, s18
	s_mov_b64 s[0:1], s[12:13]
	s_or_b32 s15, s19, s15
	s_delay_alu instid0(SALU_CYCLE_1)
	s_and_not1_b32 exec_lo, exec_lo, s15
	s_cbranch_execz .LBB81_718
.LBB81_716:                             ; =>This Inner Loop Header: Depth=1
	s_or_b32 s18, s18, exec_lo
	s_cmp_eq_u64 s[8:9], s[0:1]
	s_cbranch_scc0 .LBB81_714
; %bb.717:                              ;   in Loop: Header=BB81_716 Depth=1
	s_mov_b64 s[0:1], s[8:9]
                                        ; implicit-def: $sgpr12_sgpr13
	s_branch .LBB81_715
.LBB81_718:
	s_set_inst_prefetch_distance 0x2
	s_or_b32 exec_lo, exec_lo, s15
	v_cmp_gt_i64_e32 vcc_lo, s[8:9], v[62:63]
	s_mov_b32 s0, 0
	s_delay_alu instid0(SALU_CYCLE_1)
	v_mov_b32_e32 v124, s0
	v_cndmask_b32_e64 v123, 0, 1, vcc_lo
.LBB81_719:
	s_or_b32 exec_lo, exec_lo, s14
.LBB81_720:
	v_mul_lo_u32 v60, v50, s8
	v_mul_lo_u32 v61, v49, s9
	v_mad_u64_u32 v[57:58], null, v49, s8, 0
	v_mov_b32_e32 v127, 0
	v_mov_b32_e32 v128, 0
	v_cmp_ne_u32_e32 vcc_lo, 1, v65
	s_delay_alu instid0(VALU_DEP_2)
	v_dual_mov_b32 v125, v127 :: v_dual_mov_b32 v126, v128
	v_add3_u32 v66, v58, v61, v60
	s_cbranch_vccnz .LBB81_729
; %bb.721:
	v_add_co_u32 v58, vcc_lo, s10, v59
	v_add_co_ci_u32_e32 v59, vcc_lo, s11, v64, vcc_lo
	v_add_co_u32 v60, vcc_lo, s10, v57
	v_add_co_ci_u32_e32 v61, vcc_lo, s11, v66, vcc_lo
	v_mov_b32_e32 v125, 1
	s_clause 0x1
	global_load_u8 v62, v[58:59], off
	global_load_u8 v63, v[60:61], off
	v_mov_b32_e32 v126, 0
	s_mov_b32 s14, exec_lo
	s_waitcnt vmcnt(0)
	v_cmpx_eq_u16_e64 v62, v63
	s_cbranch_execz .LBB81_728
; %bb.722:
	s_mov_b64 s[0:1], 1
	s_mov_b32 s15, 0
                                        ; implicit-def: $sgpr18
	s_set_inst_prefetch_distance 0x1
	s_branch .LBB81_725
	.p2align	6
.LBB81_723:                             ;   in Loop: Header=BB81_725 Depth=1
	v_add_co_u32 v62, vcc_lo, v58, s0
	v_add_co_ci_u32_e32 v63, vcc_lo, s1, v59, vcc_lo
	v_add_co_u32 v67, vcc_lo, v60, s0
	v_add_co_ci_u32_e32 v68, vcc_lo, s1, v61, vcc_lo
	s_add_u32 s12, s0, 1
	s_clause 0x1
	global_load_u8 v62, v[62:63], off
	global_load_u8 v63, v[67:68], off
	s_addc_u32 s13, s1, 0
	s_and_not1_b32 s18, s18, exec_lo
	s_waitcnt vmcnt(0)
	v_cmp_ne_u16_e32 vcc_lo, v62, v63
	s_and_b32 s19, vcc_lo, exec_lo
	s_delay_alu instid0(SALU_CYCLE_1)
	s_or_b32 s18, s18, s19
.LBB81_724:                             ;   in Loop: Header=BB81_725 Depth=1
	v_dual_mov_b32 v63, s1 :: v_dual_mov_b32 v62, s0
	s_and_b32 s19, exec_lo, s18
	s_mov_b64 s[0:1], s[12:13]
	s_or_b32 s15, s19, s15
	s_delay_alu instid0(SALU_CYCLE_1)
	s_and_not1_b32 exec_lo, exec_lo, s15
	s_cbranch_execz .LBB81_727
.LBB81_725:                             ; =>This Inner Loop Header: Depth=1
	s_or_b32 s18, s18, exec_lo
	s_cmp_eq_u64 s[8:9], s[0:1]
	s_cbranch_scc0 .LBB81_723
; %bb.726:                              ;   in Loop: Header=BB81_725 Depth=1
	s_mov_b64 s[0:1], s[8:9]
                                        ; implicit-def: $sgpr12_sgpr13
	s_branch .LBB81_724
.LBB81_727:
	s_set_inst_prefetch_distance 0x2
	s_or_b32 exec_lo, exec_lo, s15
	v_cmp_gt_i64_e32 vcc_lo, s[8:9], v[62:63]
	s_mov_b32 s0, 0
	s_delay_alu instid0(SALU_CYCLE_1)
	v_mov_b32_e32 v126, s0
	v_cndmask_b32_e64 v125, 0, 1, vcc_lo
.LBB81_728:
	s_or_b32 exec_lo, exec_lo, s14
.LBB81_729:
	v_mul_lo_u32 v58, v48, s8
	v_mul_lo_u32 v61, v47, s9
	v_mad_u64_u32 v[59:60], null, v47, s8, 0
	v_cmp_ne_u32_e32 vcc_lo, 1, v65
	s_delay_alu instid0(VALU_DEP_2)
	v_add3_u32 v64, v60, v61, v58
	s_cbranch_vccnz .LBB81_738
; %bb.730:
	v_add_co_u32 v57, vcc_lo, s10, v57
	v_add_co_ci_u32_e32 v58, vcc_lo, s11, v66, vcc_lo
	v_add_co_u32 v60, vcc_lo, s10, v59
	v_add_co_ci_u32_e32 v61, vcc_lo, s11, v64, vcc_lo
	v_mov_b32_e32 v127, 1
	s_clause 0x1
	global_load_u8 v62, v[57:58], off
	global_load_u8 v63, v[60:61], off
	v_mov_b32_e32 v128, 0
	s_mov_b32 s14, exec_lo
	s_waitcnt vmcnt(0)
	v_cmpx_eq_u16_e64 v62, v63
	s_cbranch_execz .LBB81_737
; %bb.731:
	s_mov_b64 s[0:1], 1
	s_mov_b32 s15, 0
                                        ; implicit-def: $sgpr18
	s_set_inst_prefetch_distance 0x1
	s_branch .LBB81_734
	.p2align	6
.LBB81_732:                             ;   in Loop: Header=BB81_734 Depth=1
	v_add_co_u32 v62, vcc_lo, v57, s0
	v_add_co_ci_u32_e32 v63, vcc_lo, s1, v58, vcc_lo
	v_add_co_u32 v66, vcc_lo, v60, s0
	v_add_co_ci_u32_e32 v67, vcc_lo, s1, v61, vcc_lo
	s_add_u32 s12, s0, 1
	s_clause 0x1
	global_load_u8 v62, v[62:63], off
	global_load_u8 v63, v[66:67], off
	s_addc_u32 s13, s1, 0
	s_and_not1_b32 s18, s18, exec_lo
	s_waitcnt vmcnt(0)
	v_cmp_ne_u16_e32 vcc_lo, v62, v63
	s_and_b32 s19, vcc_lo, exec_lo
	s_delay_alu instid0(SALU_CYCLE_1)
	s_or_b32 s18, s18, s19
.LBB81_733:                             ;   in Loop: Header=BB81_734 Depth=1
	v_dual_mov_b32 v63, s1 :: v_dual_mov_b32 v62, s0
	s_and_b32 s19, exec_lo, s18
	s_mov_b64 s[0:1], s[12:13]
	s_or_b32 s15, s19, s15
	s_delay_alu instid0(SALU_CYCLE_1)
	s_and_not1_b32 exec_lo, exec_lo, s15
	s_cbranch_execz .LBB81_736
.LBB81_734:                             ; =>This Inner Loop Header: Depth=1
	s_or_b32 s18, s18, exec_lo
	s_cmp_eq_u64 s[8:9], s[0:1]
	s_cbranch_scc0 .LBB81_732
; %bb.735:                              ;   in Loop: Header=BB81_734 Depth=1
	s_mov_b64 s[0:1], s[8:9]
                                        ; implicit-def: $sgpr12_sgpr13
	s_branch .LBB81_733
.LBB81_736:
	s_set_inst_prefetch_distance 0x2
	s_or_b32 exec_lo, exec_lo, s15
	v_cmp_gt_i64_e32 vcc_lo, s[8:9], v[62:63]
	s_mov_b32 s0, 0
	s_delay_alu instid0(SALU_CYCLE_1)
	v_mov_b32_e32 v128, s0
	v_cndmask_b32_e64 v127, 0, 1, vcc_lo
.LBB81_737:
	s_or_b32 exec_lo, exec_lo, s14
.LBB81_738:
	v_mul_lo_u32 v60, v46, s8
	v_mul_lo_u32 v61, v45, s9
	v_mad_u64_u32 v[57:58], null, v45, s8, 0
	v_mov_b32_e32 v131, 0
	v_mov_b32_e32 v132, 0
	v_cmp_ne_u32_e32 vcc_lo, 1, v65
	s_delay_alu instid0(VALU_DEP_2)
	v_dual_mov_b32 v129, v131 :: v_dual_mov_b32 v130, v132
	v_add3_u32 v66, v58, v61, v60
	s_cbranch_vccnz .LBB81_747
; %bb.739:
	v_add_co_u32 v58, vcc_lo, s10, v59
	v_add_co_ci_u32_e32 v59, vcc_lo, s11, v64, vcc_lo
	v_add_co_u32 v60, vcc_lo, s10, v57
	v_add_co_ci_u32_e32 v61, vcc_lo, s11, v66, vcc_lo
	v_mov_b32_e32 v129, 1
	s_clause 0x1
	global_load_u8 v62, v[58:59], off
	global_load_u8 v63, v[60:61], off
	v_mov_b32_e32 v130, 0
	s_mov_b32 s14, exec_lo
	s_waitcnt vmcnt(0)
	v_cmpx_eq_u16_e64 v62, v63
	s_cbranch_execz .LBB81_746
; %bb.740:
	s_mov_b64 s[0:1], 1
	s_mov_b32 s15, 0
                                        ; implicit-def: $sgpr18
	s_set_inst_prefetch_distance 0x1
	s_branch .LBB81_743
	.p2align	6
.LBB81_741:                             ;   in Loop: Header=BB81_743 Depth=1
	v_add_co_u32 v62, vcc_lo, v58, s0
	v_add_co_ci_u32_e32 v63, vcc_lo, s1, v59, vcc_lo
	v_add_co_u32 v67, vcc_lo, v60, s0
	v_add_co_ci_u32_e32 v68, vcc_lo, s1, v61, vcc_lo
	s_add_u32 s12, s0, 1
	s_clause 0x1
	global_load_u8 v62, v[62:63], off
	global_load_u8 v63, v[67:68], off
	s_addc_u32 s13, s1, 0
	s_and_not1_b32 s18, s18, exec_lo
	s_waitcnt vmcnt(0)
	v_cmp_ne_u16_e32 vcc_lo, v62, v63
	s_and_b32 s19, vcc_lo, exec_lo
	s_delay_alu instid0(SALU_CYCLE_1)
	s_or_b32 s18, s18, s19
.LBB81_742:                             ;   in Loop: Header=BB81_743 Depth=1
	v_dual_mov_b32 v63, s1 :: v_dual_mov_b32 v62, s0
	s_and_b32 s19, exec_lo, s18
	s_mov_b64 s[0:1], s[12:13]
	s_or_b32 s15, s19, s15
	s_delay_alu instid0(SALU_CYCLE_1)
	s_and_not1_b32 exec_lo, exec_lo, s15
	s_cbranch_execz .LBB81_745
.LBB81_743:                             ; =>This Inner Loop Header: Depth=1
	s_or_b32 s18, s18, exec_lo
	s_cmp_eq_u64 s[8:9], s[0:1]
	s_cbranch_scc0 .LBB81_741
; %bb.744:                              ;   in Loop: Header=BB81_743 Depth=1
	s_mov_b64 s[0:1], s[8:9]
                                        ; implicit-def: $sgpr12_sgpr13
	s_branch .LBB81_742
.LBB81_745:
	s_set_inst_prefetch_distance 0x2
	s_or_b32 exec_lo, exec_lo, s15
	v_cmp_gt_i64_e32 vcc_lo, s[8:9], v[62:63]
	s_mov_b32 s0, 0
	s_delay_alu instid0(SALU_CYCLE_1)
	v_mov_b32_e32 v130, s0
	v_cndmask_b32_e64 v129, 0, 1, vcc_lo
.LBB81_746:
	s_or_b32 exec_lo, exec_lo, s14
.LBB81_747:
	v_mul_lo_u32 v58, v44, s8
	v_mul_lo_u32 v61, v43, s9
	v_mad_u64_u32 v[59:60], null, v43, s8, 0
	v_cmp_ne_u32_e32 vcc_lo, 1, v65
	s_delay_alu instid0(VALU_DEP_2)
	v_add3_u32 v64, v60, v61, v58
	s_cbranch_vccnz .LBB81_756
; %bb.748:
	v_add_co_u32 v57, vcc_lo, s10, v57
	v_add_co_ci_u32_e32 v58, vcc_lo, s11, v66, vcc_lo
	v_add_co_u32 v60, vcc_lo, s10, v59
	v_add_co_ci_u32_e32 v61, vcc_lo, s11, v64, vcc_lo
	v_mov_b32_e32 v131, 1
	s_clause 0x1
	global_load_u8 v62, v[57:58], off
	global_load_u8 v63, v[60:61], off
	v_mov_b32_e32 v132, 0
	s_mov_b32 s14, exec_lo
	s_waitcnt vmcnt(0)
	v_cmpx_eq_u16_e64 v62, v63
	s_cbranch_execz .LBB81_755
; %bb.749:
	s_mov_b64 s[0:1], 1
	s_mov_b32 s15, 0
                                        ; implicit-def: $sgpr18
	s_set_inst_prefetch_distance 0x1
	s_branch .LBB81_752
	.p2align	6
.LBB81_750:                             ;   in Loop: Header=BB81_752 Depth=1
	v_add_co_u32 v62, vcc_lo, v57, s0
	v_add_co_ci_u32_e32 v63, vcc_lo, s1, v58, vcc_lo
	v_add_co_u32 v66, vcc_lo, v60, s0
	v_add_co_ci_u32_e32 v67, vcc_lo, s1, v61, vcc_lo
	s_add_u32 s12, s0, 1
	s_clause 0x1
	global_load_u8 v62, v[62:63], off
	global_load_u8 v63, v[66:67], off
	s_addc_u32 s13, s1, 0
	s_and_not1_b32 s18, s18, exec_lo
	s_waitcnt vmcnt(0)
	v_cmp_ne_u16_e32 vcc_lo, v62, v63
	s_and_b32 s19, vcc_lo, exec_lo
	s_delay_alu instid0(SALU_CYCLE_1)
	s_or_b32 s18, s18, s19
.LBB81_751:                             ;   in Loop: Header=BB81_752 Depth=1
	v_dual_mov_b32 v63, s1 :: v_dual_mov_b32 v62, s0
	s_and_b32 s19, exec_lo, s18
	s_mov_b64 s[0:1], s[12:13]
	s_or_b32 s15, s19, s15
	s_delay_alu instid0(SALU_CYCLE_1)
	s_and_not1_b32 exec_lo, exec_lo, s15
	s_cbranch_execz .LBB81_754
.LBB81_752:                             ; =>This Inner Loop Header: Depth=1
	s_or_b32 s18, s18, exec_lo
	s_cmp_eq_u64 s[8:9], s[0:1]
	s_cbranch_scc0 .LBB81_750
; %bb.753:                              ;   in Loop: Header=BB81_752 Depth=1
	s_mov_b64 s[0:1], s[8:9]
                                        ; implicit-def: $sgpr12_sgpr13
	s_branch .LBB81_751
.LBB81_754:
	s_set_inst_prefetch_distance 0x2
	s_or_b32 exec_lo, exec_lo, s15
	v_cmp_gt_i64_e32 vcc_lo, s[8:9], v[62:63]
	s_mov_b32 s0, 0
	s_delay_alu instid0(SALU_CYCLE_1)
	v_mov_b32_e32 v132, s0
	v_cndmask_b32_e64 v131, 0, 1, vcc_lo
.LBB81_755:
	s_or_b32 exec_lo, exec_lo, s14
.LBB81_756:
	v_mul_lo_u32 v60, v42, s8
	v_mul_lo_u32 v61, v41, s9
	v_mad_u64_u32 v[57:58], null, v41, s8, 0
	v_mov_b32_e32 v135, 0
	v_mov_b32_e32 v136, 0
	v_cmp_ne_u32_e32 vcc_lo, 1, v65
	s_delay_alu instid0(VALU_DEP_2)
	v_dual_mov_b32 v133, v135 :: v_dual_mov_b32 v134, v136
	v_add3_u32 v66, v58, v61, v60
	s_cbranch_vccnz .LBB81_765
; %bb.757:
	v_add_co_u32 v58, vcc_lo, s10, v59
	v_add_co_ci_u32_e32 v59, vcc_lo, s11, v64, vcc_lo
	v_add_co_u32 v60, vcc_lo, s10, v57
	v_add_co_ci_u32_e32 v61, vcc_lo, s11, v66, vcc_lo
	v_mov_b32_e32 v133, 1
	s_clause 0x1
	global_load_u8 v62, v[58:59], off
	global_load_u8 v63, v[60:61], off
	v_mov_b32_e32 v134, 0
	s_mov_b32 s14, exec_lo
	s_waitcnt vmcnt(0)
	v_cmpx_eq_u16_e64 v62, v63
	s_cbranch_execz .LBB81_764
; %bb.758:
	s_mov_b64 s[0:1], 1
	s_mov_b32 s15, 0
                                        ; implicit-def: $sgpr18
	s_set_inst_prefetch_distance 0x1
	s_branch .LBB81_761
	.p2align	6
.LBB81_759:                             ;   in Loop: Header=BB81_761 Depth=1
	v_add_co_u32 v62, vcc_lo, v58, s0
	v_add_co_ci_u32_e32 v63, vcc_lo, s1, v59, vcc_lo
	v_add_co_u32 v67, vcc_lo, v60, s0
	v_add_co_ci_u32_e32 v68, vcc_lo, s1, v61, vcc_lo
	s_add_u32 s12, s0, 1
	s_clause 0x1
	global_load_u8 v62, v[62:63], off
	global_load_u8 v63, v[67:68], off
	s_addc_u32 s13, s1, 0
	s_and_not1_b32 s18, s18, exec_lo
	s_waitcnt vmcnt(0)
	v_cmp_ne_u16_e32 vcc_lo, v62, v63
	s_and_b32 s19, vcc_lo, exec_lo
	s_delay_alu instid0(SALU_CYCLE_1)
	s_or_b32 s18, s18, s19
.LBB81_760:                             ;   in Loop: Header=BB81_761 Depth=1
	v_dual_mov_b32 v63, s1 :: v_dual_mov_b32 v62, s0
	s_and_b32 s19, exec_lo, s18
	s_mov_b64 s[0:1], s[12:13]
	s_or_b32 s15, s19, s15
	s_delay_alu instid0(SALU_CYCLE_1)
	s_and_not1_b32 exec_lo, exec_lo, s15
	s_cbranch_execz .LBB81_763
.LBB81_761:                             ; =>This Inner Loop Header: Depth=1
	s_or_b32 s18, s18, exec_lo
	s_cmp_eq_u64 s[8:9], s[0:1]
	s_cbranch_scc0 .LBB81_759
; %bb.762:                              ;   in Loop: Header=BB81_761 Depth=1
	s_mov_b64 s[0:1], s[8:9]
                                        ; implicit-def: $sgpr12_sgpr13
	s_branch .LBB81_760
.LBB81_763:
	s_set_inst_prefetch_distance 0x2
	s_or_b32 exec_lo, exec_lo, s15
	v_cmp_gt_i64_e32 vcc_lo, s[8:9], v[62:63]
	s_mov_b32 s0, 0
	s_delay_alu instid0(SALU_CYCLE_1)
	v_mov_b32_e32 v134, s0
	v_cndmask_b32_e64 v133, 0, 1, vcc_lo
.LBB81_764:
	s_or_b32 exec_lo, exec_lo, s14
.LBB81_765:
	v_mul_lo_u32 v58, v40, s8
	v_mul_lo_u32 v61, v39, s9
	v_mad_u64_u32 v[59:60], null, v39, s8, 0
	v_cmp_ne_u32_e32 vcc_lo, 1, v65
	s_delay_alu instid0(VALU_DEP_2)
	v_add3_u32 v64, v60, v61, v58
	s_cbranch_vccnz .LBB81_774
; %bb.766:
	v_add_co_u32 v57, vcc_lo, s10, v57
	v_add_co_ci_u32_e32 v58, vcc_lo, s11, v66, vcc_lo
	v_add_co_u32 v60, vcc_lo, s10, v59
	v_add_co_ci_u32_e32 v61, vcc_lo, s11, v64, vcc_lo
	v_mov_b32_e32 v135, 1
	s_clause 0x1
	global_load_u8 v62, v[57:58], off
	global_load_u8 v63, v[60:61], off
	v_mov_b32_e32 v136, 0
	s_mov_b32 s14, exec_lo
	s_waitcnt vmcnt(0)
	v_cmpx_eq_u16_e64 v62, v63
	s_cbranch_execz .LBB81_773
; %bb.767:
	s_mov_b64 s[0:1], 1
	s_mov_b32 s15, 0
                                        ; implicit-def: $sgpr18
	s_set_inst_prefetch_distance 0x1
	s_branch .LBB81_770
	.p2align	6
.LBB81_768:                             ;   in Loop: Header=BB81_770 Depth=1
	v_add_co_u32 v62, vcc_lo, v57, s0
	v_add_co_ci_u32_e32 v63, vcc_lo, s1, v58, vcc_lo
	v_add_co_u32 v66, vcc_lo, v60, s0
	v_add_co_ci_u32_e32 v67, vcc_lo, s1, v61, vcc_lo
	s_add_u32 s12, s0, 1
	s_clause 0x1
	global_load_u8 v62, v[62:63], off
	global_load_u8 v63, v[66:67], off
	s_addc_u32 s13, s1, 0
	s_and_not1_b32 s18, s18, exec_lo
	s_waitcnt vmcnt(0)
	v_cmp_ne_u16_e32 vcc_lo, v62, v63
	s_and_b32 s19, vcc_lo, exec_lo
	s_delay_alu instid0(SALU_CYCLE_1)
	s_or_b32 s18, s18, s19
.LBB81_769:                             ;   in Loop: Header=BB81_770 Depth=1
	v_dual_mov_b32 v63, s1 :: v_dual_mov_b32 v62, s0
	s_and_b32 s19, exec_lo, s18
	s_mov_b64 s[0:1], s[12:13]
	s_or_b32 s15, s19, s15
	s_delay_alu instid0(SALU_CYCLE_1)
	s_and_not1_b32 exec_lo, exec_lo, s15
	s_cbranch_execz .LBB81_772
.LBB81_770:                             ; =>This Inner Loop Header: Depth=1
	s_or_b32 s18, s18, exec_lo
	s_cmp_eq_u64 s[8:9], s[0:1]
	s_cbranch_scc0 .LBB81_768
; %bb.771:                              ;   in Loop: Header=BB81_770 Depth=1
	s_mov_b64 s[0:1], s[8:9]
                                        ; implicit-def: $sgpr12_sgpr13
	s_branch .LBB81_769
.LBB81_772:
	s_set_inst_prefetch_distance 0x2
	s_or_b32 exec_lo, exec_lo, s15
	v_cmp_gt_i64_e32 vcc_lo, s[8:9], v[62:63]
	s_mov_b32 s0, 0
	s_delay_alu instid0(SALU_CYCLE_1)
	v_mov_b32_e32 v136, s0
	v_cndmask_b32_e64 v135, 0, 1, vcc_lo
.LBB81_773:
	s_or_b32 exec_lo, exec_lo, s14
.LBB81_774:
	v_mul_lo_u32 v60, v38, s8
	v_mul_lo_u32 v61, v37, s9
	v_mad_u64_u32 v[57:58], null, v37, s8, 0
	v_mov_b32_e32 v139, 0
	v_mov_b32_e32 v140, 0
	v_cmp_ne_u32_e32 vcc_lo, 1, v65
	s_delay_alu instid0(VALU_DEP_2)
	v_dual_mov_b32 v137, v139 :: v_dual_mov_b32 v138, v140
	v_add3_u32 v66, v58, v61, v60
	s_cbranch_vccnz .LBB81_783
; %bb.775:
	v_add_co_u32 v58, vcc_lo, s10, v59
	v_add_co_ci_u32_e32 v59, vcc_lo, s11, v64, vcc_lo
	v_add_co_u32 v60, vcc_lo, s10, v57
	v_add_co_ci_u32_e32 v61, vcc_lo, s11, v66, vcc_lo
	v_mov_b32_e32 v137, 1
	s_clause 0x1
	global_load_u8 v62, v[58:59], off
	global_load_u8 v63, v[60:61], off
	v_mov_b32_e32 v138, 0
	s_mov_b32 s14, exec_lo
	s_waitcnt vmcnt(0)
	v_cmpx_eq_u16_e64 v62, v63
	s_cbranch_execz .LBB81_782
; %bb.776:
	s_mov_b64 s[0:1], 1
	s_mov_b32 s15, 0
                                        ; implicit-def: $sgpr18
	s_set_inst_prefetch_distance 0x1
	s_branch .LBB81_779
	.p2align	6
.LBB81_777:                             ;   in Loop: Header=BB81_779 Depth=1
	v_add_co_u32 v62, vcc_lo, v58, s0
	v_add_co_ci_u32_e32 v63, vcc_lo, s1, v59, vcc_lo
	v_add_co_u32 v67, vcc_lo, v60, s0
	v_add_co_ci_u32_e32 v68, vcc_lo, s1, v61, vcc_lo
	s_add_u32 s12, s0, 1
	s_clause 0x1
	global_load_u8 v62, v[62:63], off
	global_load_u8 v63, v[67:68], off
	s_addc_u32 s13, s1, 0
	s_and_not1_b32 s18, s18, exec_lo
	s_waitcnt vmcnt(0)
	v_cmp_ne_u16_e32 vcc_lo, v62, v63
	s_and_b32 s19, vcc_lo, exec_lo
	s_delay_alu instid0(SALU_CYCLE_1)
	s_or_b32 s18, s18, s19
.LBB81_778:                             ;   in Loop: Header=BB81_779 Depth=1
	v_dual_mov_b32 v63, s1 :: v_dual_mov_b32 v62, s0
	s_and_b32 s19, exec_lo, s18
	s_mov_b64 s[0:1], s[12:13]
	s_or_b32 s15, s19, s15
	s_delay_alu instid0(SALU_CYCLE_1)
	s_and_not1_b32 exec_lo, exec_lo, s15
	s_cbranch_execz .LBB81_781
.LBB81_779:                             ; =>This Inner Loop Header: Depth=1
	s_or_b32 s18, s18, exec_lo
	s_cmp_eq_u64 s[8:9], s[0:1]
	s_cbranch_scc0 .LBB81_777
; %bb.780:                              ;   in Loop: Header=BB81_779 Depth=1
	s_mov_b64 s[0:1], s[8:9]
                                        ; implicit-def: $sgpr12_sgpr13
	s_branch .LBB81_778
.LBB81_781:
	s_set_inst_prefetch_distance 0x2
	s_or_b32 exec_lo, exec_lo, s15
	v_cmp_gt_i64_e32 vcc_lo, s[8:9], v[62:63]
	s_mov_b32 s0, 0
	s_delay_alu instid0(SALU_CYCLE_1)
	v_mov_b32_e32 v138, s0
	v_cndmask_b32_e64 v137, 0, 1, vcc_lo
.LBB81_782:
	s_or_b32 exec_lo, exec_lo, s14
.LBB81_783:
	v_mul_lo_u32 v58, v36, s8
	v_mul_lo_u32 v61, v35, s9
	v_mad_u64_u32 v[59:60], null, v35, s8, 0
	v_cmp_ne_u32_e32 vcc_lo, 1, v65
	s_delay_alu instid0(VALU_DEP_2)
	v_add3_u32 v64, v60, v61, v58
	s_cbranch_vccnz .LBB81_792
; %bb.784:
	v_add_co_u32 v57, vcc_lo, s10, v57
	v_add_co_ci_u32_e32 v58, vcc_lo, s11, v66, vcc_lo
	v_add_co_u32 v60, vcc_lo, s10, v59
	v_add_co_ci_u32_e32 v61, vcc_lo, s11, v64, vcc_lo
	v_mov_b32_e32 v139, 1
	s_clause 0x1
	global_load_u8 v62, v[57:58], off
	global_load_u8 v63, v[60:61], off
	v_mov_b32_e32 v140, 0
	s_mov_b32 s14, exec_lo
	s_waitcnt vmcnt(0)
	v_cmpx_eq_u16_e64 v62, v63
	s_cbranch_execz .LBB81_791
; %bb.785:
	s_mov_b64 s[0:1], 1
	s_mov_b32 s15, 0
                                        ; implicit-def: $sgpr18
	s_set_inst_prefetch_distance 0x1
	s_branch .LBB81_788
	.p2align	6
.LBB81_786:                             ;   in Loop: Header=BB81_788 Depth=1
	v_add_co_u32 v62, vcc_lo, v57, s0
	v_add_co_ci_u32_e32 v63, vcc_lo, s1, v58, vcc_lo
	v_add_co_u32 v66, vcc_lo, v60, s0
	v_add_co_ci_u32_e32 v67, vcc_lo, s1, v61, vcc_lo
	s_add_u32 s12, s0, 1
	s_clause 0x1
	global_load_u8 v62, v[62:63], off
	global_load_u8 v63, v[66:67], off
	s_addc_u32 s13, s1, 0
	s_and_not1_b32 s18, s18, exec_lo
	s_waitcnt vmcnt(0)
	v_cmp_ne_u16_e32 vcc_lo, v62, v63
	s_and_b32 s19, vcc_lo, exec_lo
	s_delay_alu instid0(SALU_CYCLE_1)
	s_or_b32 s18, s18, s19
.LBB81_787:                             ;   in Loop: Header=BB81_788 Depth=1
	v_dual_mov_b32 v63, s1 :: v_dual_mov_b32 v62, s0
	s_and_b32 s19, exec_lo, s18
	s_mov_b64 s[0:1], s[12:13]
	s_or_b32 s15, s19, s15
	s_delay_alu instid0(SALU_CYCLE_1)
	s_and_not1_b32 exec_lo, exec_lo, s15
	s_cbranch_execz .LBB81_790
.LBB81_788:                             ; =>This Inner Loop Header: Depth=1
	s_or_b32 s18, s18, exec_lo
	s_cmp_eq_u64 s[8:9], s[0:1]
	s_cbranch_scc0 .LBB81_786
; %bb.789:                              ;   in Loop: Header=BB81_788 Depth=1
	s_mov_b64 s[0:1], s[8:9]
                                        ; implicit-def: $sgpr12_sgpr13
	s_branch .LBB81_787
.LBB81_790:
	s_set_inst_prefetch_distance 0x2
	s_or_b32 exec_lo, exec_lo, s15
	v_cmp_gt_i64_e32 vcc_lo, s[8:9], v[62:63]
	s_mov_b32 s0, 0
	s_delay_alu instid0(SALU_CYCLE_1)
	v_mov_b32_e32 v140, s0
	v_cndmask_b32_e64 v139, 0, 1, vcc_lo
.LBB81_791:
	s_or_b32 exec_lo, exec_lo, s14
.LBB81_792:
	v_mul_lo_u32 v60, v34, s8
	v_mul_lo_u32 v61, v33, s9
	v_mad_u64_u32 v[57:58], null, v33, s8, 0
	v_mov_b32_e32 v143, 0
	v_mov_b32_e32 v144, 0
	v_cmp_ne_u32_e32 vcc_lo, 1, v65
	s_delay_alu instid0(VALU_DEP_2)
	v_dual_mov_b32 v141, v143 :: v_dual_mov_b32 v142, v144
	v_add3_u32 v66, v58, v61, v60
	s_cbranch_vccnz .LBB81_801
; %bb.793:
	v_add_co_u32 v58, vcc_lo, s10, v59
	v_add_co_ci_u32_e32 v59, vcc_lo, s11, v64, vcc_lo
	v_add_co_u32 v60, vcc_lo, s10, v57
	v_add_co_ci_u32_e32 v61, vcc_lo, s11, v66, vcc_lo
	v_mov_b32_e32 v141, 1
	s_clause 0x1
	global_load_u8 v62, v[58:59], off
	global_load_u8 v63, v[60:61], off
	v_mov_b32_e32 v142, 0
	s_mov_b32 s14, exec_lo
	s_waitcnt vmcnt(0)
	v_cmpx_eq_u16_e64 v62, v63
	s_cbranch_execz .LBB81_800
; %bb.794:
	s_mov_b64 s[0:1], 1
	s_mov_b32 s15, 0
                                        ; implicit-def: $sgpr18
	s_set_inst_prefetch_distance 0x1
	s_branch .LBB81_797
	.p2align	6
.LBB81_795:                             ;   in Loop: Header=BB81_797 Depth=1
	v_add_co_u32 v62, vcc_lo, v58, s0
	v_add_co_ci_u32_e32 v63, vcc_lo, s1, v59, vcc_lo
	v_add_co_u32 v67, vcc_lo, v60, s0
	v_add_co_ci_u32_e32 v68, vcc_lo, s1, v61, vcc_lo
	s_add_u32 s12, s0, 1
	s_clause 0x1
	global_load_u8 v62, v[62:63], off
	global_load_u8 v63, v[67:68], off
	s_addc_u32 s13, s1, 0
	s_and_not1_b32 s18, s18, exec_lo
	s_waitcnt vmcnt(0)
	v_cmp_ne_u16_e32 vcc_lo, v62, v63
	s_and_b32 s19, vcc_lo, exec_lo
	s_delay_alu instid0(SALU_CYCLE_1)
	s_or_b32 s18, s18, s19
.LBB81_796:                             ;   in Loop: Header=BB81_797 Depth=1
	v_dual_mov_b32 v63, s1 :: v_dual_mov_b32 v62, s0
	s_and_b32 s19, exec_lo, s18
	s_mov_b64 s[0:1], s[12:13]
	s_or_b32 s15, s19, s15
	s_delay_alu instid0(SALU_CYCLE_1)
	s_and_not1_b32 exec_lo, exec_lo, s15
	s_cbranch_execz .LBB81_799
.LBB81_797:                             ; =>This Inner Loop Header: Depth=1
	s_or_b32 s18, s18, exec_lo
	s_cmp_eq_u64 s[8:9], s[0:1]
	s_cbranch_scc0 .LBB81_795
; %bb.798:                              ;   in Loop: Header=BB81_797 Depth=1
	s_mov_b64 s[0:1], s[8:9]
                                        ; implicit-def: $sgpr12_sgpr13
	s_branch .LBB81_796
.LBB81_799:
	s_set_inst_prefetch_distance 0x2
	s_or_b32 exec_lo, exec_lo, s15
	v_cmp_gt_i64_e32 vcc_lo, s[8:9], v[62:63]
	s_mov_b32 s0, 0
	s_delay_alu instid0(SALU_CYCLE_1)
	v_mov_b32_e32 v142, s0
	v_cndmask_b32_e64 v141, 0, 1, vcc_lo
.LBB81_800:
	s_or_b32 exec_lo, exec_lo, s14
.LBB81_801:
	v_mul_lo_u32 v58, v32, s8
	v_mul_lo_u32 v61, v31, s9
	v_mad_u64_u32 v[59:60], null, v31, s8, 0
	v_cmp_ne_u32_e32 vcc_lo, 1, v65
	s_delay_alu instid0(VALU_DEP_2)
	v_add3_u32 v64, v60, v61, v58
	s_cbranch_vccnz .LBB81_810
; %bb.802:
	v_add_co_u32 v57, vcc_lo, s10, v57
	v_add_co_ci_u32_e32 v58, vcc_lo, s11, v66, vcc_lo
	v_add_co_u32 v60, vcc_lo, s10, v59
	v_add_co_ci_u32_e32 v61, vcc_lo, s11, v64, vcc_lo
	v_mov_b32_e32 v143, 1
	s_clause 0x1
	global_load_u8 v62, v[57:58], off
	global_load_u8 v63, v[60:61], off
	v_mov_b32_e32 v144, 0
	s_mov_b32 s14, exec_lo
	s_waitcnt vmcnt(0)
	v_cmpx_eq_u16_e64 v62, v63
	s_cbranch_execz .LBB81_809
; %bb.803:
	s_mov_b64 s[0:1], 1
	s_mov_b32 s15, 0
                                        ; implicit-def: $sgpr18
	s_set_inst_prefetch_distance 0x1
	s_branch .LBB81_806
	.p2align	6
.LBB81_804:                             ;   in Loop: Header=BB81_806 Depth=1
	v_add_co_u32 v62, vcc_lo, v57, s0
	v_add_co_ci_u32_e32 v63, vcc_lo, s1, v58, vcc_lo
	v_add_co_u32 v66, vcc_lo, v60, s0
	v_add_co_ci_u32_e32 v67, vcc_lo, s1, v61, vcc_lo
	s_add_u32 s12, s0, 1
	s_clause 0x1
	global_load_u8 v62, v[62:63], off
	global_load_u8 v63, v[66:67], off
	s_addc_u32 s13, s1, 0
	s_and_not1_b32 s18, s18, exec_lo
	s_waitcnt vmcnt(0)
	v_cmp_ne_u16_e32 vcc_lo, v62, v63
	s_and_b32 s19, vcc_lo, exec_lo
	s_delay_alu instid0(SALU_CYCLE_1)
	s_or_b32 s18, s18, s19
.LBB81_805:                             ;   in Loop: Header=BB81_806 Depth=1
	v_dual_mov_b32 v63, s1 :: v_dual_mov_b32 v62, s0
	s_and_b32 s19, exec_lo, s18
	s_mov_b64 s[0:1], s[12:13]
	s_or_b32 s15, s19, s15
	s_delay_alu instid0(SALU_CYCLE_1)
	s_and_not1_b32 exec_lo, exec_lo, s15
	s_cbranch_execz .LBB81_808
.LBB81_806:                             ; =>This Inner Loop Header: Depth=1
	s_or_b32 s18, s18, exec_lo
	s_cmp_eq_u64 s[8:9], s[0:1]
	s_cbranch_scc0 .LBB81_804
; %bb.807:                              ;   in Loop: Header=BB81_806 Depth=1
	s_mov_b64 s[0:1], s[8:9]
                                        ; implicit-def: $sgpr12_sgpr13
	s_branch .LBB81_805
.LBB81_808:
	s_set_inst_prefetch_distance 0x2
	s_or_b32 exec_lo, exec_lo, s15
	v_cmp_gt_i64_e32 vcc_lo, s[8:9], v[62:63]
	s_mov_b32 s0, 0
	s_delay_alu instid0(SALU_CYCLE_1)
	v_mov_b32_e32 v144, s0
	v_cndmask_b32_e64 v143, 0, 1, vcc_lo
.LBB81_809:
	s_or_b32 exec_lo, exec_lo, s14
.LBB81_810:
	v_mul_lo_u32 v60, v30, s8
	v_mul_lo_u32 v61, v29, s9
	v_mad_u64_u32 v[57:58], null, v29, s8, 0
	v_mov_b32_e32 v147, 0
	v_mov_b32_e32 v148, 0
	v_cmp_ne_u32_e32 vcc_lo, 1, v65
	s_delay_alu instid0(VALU_DEP_2)
	v_dual_mov_b32 v145, v147 :: v_dual_mov_b32 v146, v148
	v_add3_u32 v66, v58, v61, v60
	s_cbranch_vccnz .LBB81_819
; %bb.811:
	v_add_co_u32 v58, vcc_lo, s10, v59
	v_add_co_ci_u32_e32 v59, vcc_lo, s11, v64, vcc_lo
	v_add_co_u32 v60, vcc_lo, s10, v57
	v_add_co_ci_u32_e32 v61, vcc_lo, s11, v66, vcc_lo
	v_mov_b32_e32 v145, 1
	s_clause 0x1
	global_load_u8 v62, v[58:59], off
	global_load_u8 v63, v[60:61], off
	v_mov_b32_e32 v146, 0
	s_mov_b32 s14, exec_lo
	s_waitcnt vmcnt(0)
	v_cmpx_eq_u16_e64 v62, v63
	s_cbranch_execz .LBB81_818
; %bb.812:
	s_mov_b64 s[0:1], 1
	s_mov_b32 s15, 0
                                        ; implicit-def: $sgpr18
	s_set_inst_prefetch_distance 0x1
	s_branch .LBB81_815
	.p2align	6
.LBB81_813:                             ;   in Loop: Header=BB81_815 Depth=1
	v_add_co_u32 v62, vcc_lo, v58, s0
	v_add_co_ci_u32_e32 v63, vcc_lo, s1, v59, vcc_lo
	v_add_co_u32 v67, vcc_lo, v60, s0
	v_add_co_ci_u32_e32 v68, vcc_lo, s1, v61, vcc_lo
	s_add_u32 s12, s0, 1
	s_clause 0x1
	global_load_u8 v62, v[62:63], off
	global_load_u8 v63, v[67:68], off
	s_addc_u32 s13, s1, 0
	s_and_not1_b32 s18, s18, exec_lo
	s_waitcnt vmcnt(0)
	v_cmp_ne_u16_e32 vcc_lo, v62, v63
	s_and_b32 s19, vcc_lo, exec_lo
	s_delay_alu instid0(SALU_CYCLE_1)
	s_or_b32 s18, s18, s19
.LBB81_814:                             ;   in Loop: Header=BB81_815 Depth=1
	v_dual_mov_b32 v63, s1 :: v_dual_mov_b32 v62, s0
	s_and_b32 s19, exec_lo, s18
	s_mov_b64 s[0:1], s[12:13]
	s_or_b32 s15, s19, s15
	s_delay_alu instid0(SALU_CYCLE_1)
	s_and_not1_b32 exec_lo, exec_lo, s15
	s_cbranch_execz .LBB81_817
.LBB81_815:                             ; =>This Inner Loop Header: Depth=1
	s_or_b32 s18, s18, exec_lo
	s_cmp_eq_u64 s[8:9], s[0:1]
	s_cbranch_scc0 .LBB81_813
; %bb.816:                              ;   in Loop: Header=BB81_815 Depth=1
	s_mov_b64 s[0:1], s[8:9]
                                        ; implicit-def: $sgpr12_sgpr13
	s_branch .LBB81_814
.LBB81_817:
	s_set_inst_prefetch_distance 0x2
	s_or_b32 exec_lo, exec_lo, s15
	v_cmp_gt_i64_e32 vcc_lo, s[8:9], v[62:63]
	s_mov_b32 s0, 0
	s_delay_alu instid0(SALU_CYCLE_1)
	v_mov_b32_e32 v146, s0
	v_cndmask_b32_e64 v145, 0, 1, vcc_lo
.LBB81_818:
	s_or_b32 exec_lo, exec_lo, s14
.LBB81_819:
	v_mul_lo_u32 v58, v28, s8
	v_mul_lo_u32 v61, v27, s9
	v_mad_u64_u32 v[59:60], null, v27, s8, 0
	v_cmp_ne_u32_e32 vcc_lo, 1, v65
	s_delay_alu instid0(VALU_DEP_2)
	v_add3_u32 v64, v60, v61, v58
	s_cbranch_vccnz .LBB81_828
; %bb.820:
	v_add_co_u32 v57, vcc_lo, s10, v57
	v_add_co_ci_u32_e32 v58, vcc_lo, s11, v66, vcc_lo
	v_add_co_u32 v60, vcc_lo, s10, v59
	v_add_co_ci_u32_e32 v61, vcc_lo, s11, v64, vcc_lo
	v_mov_b32_e32 v147, 1
	s_clause 0x1
	global_load_u8 v62, v[57:58], off
	global_load_u8 v63, v[60:61], off
	v_mov_b32_e32 v148, 0
	s_mov_b32 s14, exec_lo
	s_waitcnt vmcnt(0)
	v_cmpx_eq_u16_e64 v62, v63
	s_cbranch_execz .LBB81_827
; %bb.821:
	s_mov_b64 s[0:1], 1
	s_mov_b32 s15, 0
                                        ; implicit-def: $sgpr18
	s_set_inst_prefetch_distance 0x1
	s_branch .LBB81_824
	.p2align	6
.LBB81_822:                             ;   in Loop: Header=BB81_824 Depth=1
	v_add_co_u32 v62, vcc_lo, v57, s0
	v_add_co_ci_u32_e32 v63, vcc_lo, s1, v58, vcc_lo
	v_add_co_u32 v66, vcc_lo, v60, s0
	v_add_co_ci_u32_e32 v67, vcc_lo, s1, v61, vcc_lo
	s_add_u32 s12, s0, 1
	s_clause 0x1
	global_load_u8 v62, v[62:63], off
	global_load_u8 v63, v[66:67], off
	s_addc_u32 s13, s1, 0
	s_and_not1_b32 s18, s18, exec_lo
	s_waitcnt vmcnt(0)
	v_cmp_ne_u16_e32 vcc_lo, v62, v63
	s_and_b32 s19, vcc_lo, exec_lo
	s_delay_alu instid0(SALU_CYCLE_1)
	s_or_b32 s18, s18, s19
.LBB81_823:                             ;   in Loop: Header=BB81_824 Depth=1
	v_dual_mov_b32 v63, s1 :: v_dual_mov_b32 v62, s0
	s_and_b32 s19, exec_lo, s18
	s_mov_b64 s[0:1], s[12:13]
	s_or_b32 s15, s19, s15
	s_delay_alu instid0(SALU_CYCLE_1)
	s_and_not1_b32 exec_lo, exec_lo, s15
	s_cbranch_execz .LBB81_826
.LBB81_824:                             ; =>This Inner Loop Header: Depth=1
	s_or_b32 s18, s18, exec_lo
	s_cmp_eq_u64 s[8:9], s[0:1]
	s_cbranch_scc0 .LBB81_822
; %bb.825:                              ;   in Loop: Header=BB81_824 Depth=1
	s_mov_b64 s[0:1], s[8:9]
                                        ; implicit-def: $sgpr12_sgpr13
	s_branch .LBB81_823
.LBB81_826:
	s_set_inst_prefetch_distance 0x2
	s_or_b32 exec_lo, exec_lo, s15
	v_cmp_gt_i64_e32 vcc_lo, s[8:9], v[62:63]
	s_mov_b32 s0, 0
	s_delay_alu instid0(SALU_CYCLE_1)
	v_mov_b32_e32 v148, s0
	v_cndmask_b32_e64 v147, 0, 1, vcc_lo
.LBB81_827:
	s_or_b32 exec_lo, exec_lo, s14
.LBB81_828:
	v_mul_lo_u32 v60, v26, s8
	v_mul_lo_u32 v61, v25, s9
	v_mad_u64_u32 v[57:58], null, v25, s8, 0
	v_mov_b32_e32 v151, 0
	v_mov_b32_e32 v152, 0
	v_cmp_ne_u32_e32 vcc_lo, 1, v65
	s_delay_alu instid0(VALU_DEP_2)
	v_dual_mov_b32 v149, v151 :: v_dual_mov_b32 v150, v152
	v_add3_u32 v66, v58, v61, v60
	s_cbranch_vccnz .LBB81_837
; %bb.829:
	v_add_co_u32 v58, vcc_lo, s10, v59
	v_add_co_ci_u32_e32 v59, vcc_lo, s11, v64, vcc_lo
	v_add_co_u32 v60, vcc_lo, s10, v57
	v_add_co_ci_u32_e32 v61, vcc_lo, s11, v66, vcc_lo
	v_mov_b32_e32 v149, 1
	s_clause 0x1
	global_load_u8 v62, v[58:59], off
	global_load_u8 v63, v[60:61], off
	v_mov_b32_e32 v150, 0
	s_mov_b32 s14, exec_lo
	s_waitcnt vmcnt(0)
	v_cmpx_eq_u16_e64 v62, v63
	s_cbranch_execz .LBB81_836
; %bb.830:
	s_mov_b64 s[0:1], 1
	s_mov_b32 s15, 0
                                        ; implicit-def: $sgpr18
	s_set_inst_prefetch_distance 0x1
	s_branch .LBB81_833
	.p2align	6
.LBB81_831:                             ;   in Loop: Header=BB81_833 Depth=1
	v_add_co_u32 v62, vcc_lo, v58, s0
	v_add_co_ci_u32_e32 v63, vcc_lo, s1, v59, vcc_lo
	v_add_co_u32 v67, vcc_lo, v60, s0
	v_add_co_ci_u32_e32 v68, vcc_lo, s1, v61, vcc_lo
	s_add_u32 s12, s0, 1
	s_clause 0x1
	global_load_u8 v62, v[62:63], off
	global_load_u8 v63, v[67:68], off
	s_addc_u32 s13, s1, 0
	s_and_not1_b32 s18, s18, exec_lo
	s_waitcnt vmcnt(0)
	v_cmp_ne_u16_e32 vcc_lo, v62, v63
	s_and_b32 s19, vcc_lo, exec_lo
	s_delay_alu instid0(SALU_CYCLE_1)
	s_or_b32 s18, s18, s19
.LBB81_832:                             ;   in Loop: Header=BB81_833 Depth=1
	v_dual_mov_b32 v63, s1 :: v_dual_mov_b32 v62, s0
	s_and_b32 s19, exec_lo, s18
	s_mov_b64 s[0:1], s[12:13]
	s_or_b32 s15, s19, s15
	s_delay_alu instid0(SALU_CYCLE_1)
	s_and_not1_b32 exec_lo, exec_lo, s15
	s_cbranch_execz .LBB81_835
.LBB81_833:                             ; =>This Inner Loop Header: Depth=1
	s_or_b32 s18, s18, exec_lo
	s_cmp_eq_u64 s[8:9], s[0:1]
	s_cbranch_scc0 .LBB81_831
; %bb.834:                              ;   in Loop: Header=BB81_833 Depth=1
	s_mov_b64 s[0:1], s[8:9]
                                        ; implicit-def: $sgpr12_sgpr13
	s_branch .LBB81_832
.LBB81_835:
	s_set_inst_prefetch_distance 0x2
	s_or_b32 exec_lo, exec_lo, s15
	v_cmp_gt_i64_e32 vcc_lo, s[8:9], v[62:63]
	s_mov_b32 s0, 0
	s_delay_alu instid0(SALU_CYCLE_1)
	v_mov_b32_e32 v150, s0
	v_cndmask_b32_e64 v149, 0, 1, vcc_lo
.LBB81_836:
	s_or_b32 exec_lo, exec_lo, s14
.LBB81_837:
	v_mul_lo_u32 v58, v24, s8
	v_mul_lo_u32 v61, v23, s9
	v_mad_u64_u32 v[59:60], null, v23, s8, 0
	v_cmp_ne_u32_e32 vcc_lo, 1, v65
	s_delay_alu instid0(VALU_DEP_2)
	v_add3_u32 v64, v60, v61, v58
	s_cbranch_vccnz .LBB81_846
; %bb.838:
	v_add_co_u32 v57, vcc_lo, s10, v57
	v_add_co_ci_u32_e32 v58, vcc_lo, s11, v66, vcc_lo
	v_add_co_u32 v60, vcc_lo, s10, v59
	v_add_co_ci_u32_e32 v61, vcc_lo, s11, v64, vcc_lo
	v_mov_b32_e32 v151, 1
	s_clause 0x1
	global_load_u8 v62, v[57:58], off
	global_load_u8 v63, v[60:61], off
	v_mov_b32_e32 v152, 0
	s_mov_b32 s14, exec_lo
	s_waitcnt vmcnt(0)
	v_cmpx_eq_u16_e64 v62, v63
	s_cbranch_execz .LBB81_845
; %bb.839:
	s_mov_b64 s[0:1], 1
	s_mov_b32 s15, 0
                                        ; implicit-def: $sgpr18
	s_set_inst_prefetch_distance 0x1
	s_branch .LBB81_842
	.p2align	6
.LBB81_840:                             ;   in Loop: Header=BB81_842 Depth=1
	v_add_co_u32 v62, vcc_lo, v57, s0
	v_add_co_ci_u32_e32 v63, vcc_lo, s1, v58, vcc_lo
	v_add_co_u32 v66, vcc_lo, v60, s0
	v_add_co_ci_u32_e32 v67, vcc_lo, s1, v61, vcc_lo
	s_add_u32 s12, s0, 1
	s_clause 0x1
	global_load_u8 v62, v[62:63], off
	global_load_u8 v63, v[66:67], off
	s_addc_u32 s13, s1, 0
	s_and_not1_b32 s18, s18, exec_lo
	s_waitcnt vmcnt(0)
	v_cmp_ne_u16_e32 vcc_lo, v62, v63
	s_and_b32 s19, vcc_lo, exec_lo
	s_delay_alu instid0(SALU_CYCLE_1)
	s_or_b32 s18, s18, s19
.LBB81_841:                             ;   in Loop: Header=BB81_842 Depth=1
	v_dual_mov_b32 v63, s1 :: v_dual_mov_b32 v62, s0
	s_and_b32 s19, exec_lo, s18
	s_mov_b64 s[0:1], s[12:13]
	s_or_b32 s15, s19, s15
	s_delay_alu instid0(SALU_CYCLE_1)
	s_and_not1_b32 exec_lo, exec_lo, s15
	s_cbranch_execz .LBB81_844
.LBB81_842:                             ; =>This Inner Loop Header: Depth=1
	s_or_b32 s18, s18, exec_lo
	s_cmp_eq_u64 s[8:9], s[0:1]
	s_cbranch_scc0 .LBB81_840
; %bb.843:                              ;   in Loop: Header=BB81_842 Depth=1
	s_mov_b64 s[0:1], s[8:9]
                                        ; implicit-def: $sgpr12_sgpr13
	s_branch .LBB81_841
.LBB81_844:
	s_set_inst_prefetch_distance 0x2
	s_or_b32 exec_lo, exec_lo, s15
	v_cmp_gt_i64_e32 vcc_lo, s[8:9], v[62:63]
	s_mov_b32 s0, 0
	s_delay_alu instid0(SALU_CYCLE_1)
	v_mov_b32_e32 v152, s0
	v_cndmask_b32_e64 v151, 0, 1, vcc_lo
.LBB81_845:
	s_or_b32 exec_lo, exec_lo, s14
.LBB81_846:
	v_mul_lo_u32 v60, v22, s8
	v_mul_lo_u32 v61, v21, s9
	v_mad_u64_u32 v[57:58], null, v21, s8, 0
	v_mov_b32_e32 v155, 0
	v_mov_b32_e32 v156, 0
	v_cmp_ne_u32_e32 vcc_lo, 1, v65
	s_delay_alu instid0(VALU_DEP_2)
	v_dual_mov_b32 v153, v155 :: v_dual_mov_b32 v154, v156
	v_add3_u32 v66, v58, v61, v60
	s_cbranch_vccnz .LBB81_855
; %bb.847:
	v_add_co_u32 v58, vcc_lo, s10, v59
	v_add_co_ci_u32_e32 v59, vcc_lo, s11, v64, vcc_lo
	v_add_co_u32 v60, vcc_lo, s10, v57
	v_add_co_ci_u32_e32 v61, vcc_lo, s11, v66, vcc_lo
	v_mov_b32_e32 v153, 1
	s_clause 0x1
	global_load_u8 v62, v[58:59], off
	global_load_u8 v63, v[60:61], off
	v_mov_b32_e32 v154, 0
	s_mov_b32 s14, exec_lo
	s_waitcnt vmcnt(0)
	v_cmpx_eq_u16_e64 v62, v63
	s_cbranch_execz .LBB81_854
; %bb.848:
	s_mov_b64 s[0:1], 1
	s_mov_b32 s15, 0
                                        ; implicit-def: $sgpr18
	s_set_inst_prefetch_distance 0x1
	s_branch .LBB81_851
	.p2align	6
.LBB81_849:                             ;   in Loop: Header=BB81_851 Depth=1
	v_add_co_u32 v62, vcc_lo, v58, s0
	v_add_co_ci_u32_e32 v63, vcc_lo, s1, v59, vcc_lo
	v_add_co_u32 v67, vcc_lo, v60, s0
	v_add_co_ci_u32_e32 v68, vcc_lo, s1, v61, vcc_lo
	s_add_u32 s12, s0, 1
	s_clause 0x1
	global_load_u8 v62, v[62:63], off
	global_load_u8 v63, v[67:68], off
	s_addc_u32 s13, s1, 0
	s_and_not1_b32 s18, s18, exec_lo
	s_waitcnt vmcnt(0)
	v_cmp_ne_u16_e32 vcc_lo, v62, v63
	s_and_b32 s19, vcc_lo, exec_lo
	s_delay_alu instid0(SALU_CYCLE_1)
	s_or_b32 s18, s18, s19
.LBB81_850:                             ;   in Loop: Header=BB81_851 Depth=1
	v_dual_mov_b32 v63, s1 :: v_dual_mov_b32 v62, s0
	s_and_b32 s19, exec_lo, s18
	s_mov_b64 s[0:1], s[12:13]
	s_or_b32 s15, s19, s15
	s_delay_alu instid0(SALU_CYCLE_1)
	s_and_not1_b32 exec_lo, exec_lo, s15
	s_cbranch_execz .LBB81_853
.LBB81_851:                             ; =>This Inner Loop Header: Depth=1
	s_or_b32 s18, s18, exec_lo
	s_cmp_eq_u64 s[8:9], s[0:1]
	s_cbranch_scc0 .LBB81_849
; %bb.852:                              ;   in Loop: Header=BB81_851 Depth=1
	s_mov_b64 s[0:1], s[8:9]
                                        ; implicit-def: $sgpr12_sgpr13
	s_branch .LBB81_850
.LBB81_853:
	s_set_inst_prefetch_distance 0x2
	s_or_b32 exec_lo, exec_lo, s15
	v_cmp_gt_i64_e32 vcc_lo, s[8:9], v[62:63]
	s_mov_b32 s0, 0
	s_delay_alu instid0(SALU_CYCLE_1)
	v_mov_b32_e32 v154, s0
	v_cndmask_b32_e64 v153, 0, 1, vcc_lo
.LBB81_854:
	s_or_b32 exec_lo, exec_lo, s14
.LBB81_855:
	v_mul_lo_u32 v58, v20, s8
	v_mul_lo_u32 v61, v19, s9
	v_mad_u64_u32 v[59:60], null, v19, s8, 0
	v_cmp_ne_u32_e32 vcc_lo, 1, v65
	s_delay_alu instid0(VALU_DEP_2)
	v_add3_u32 v64, v60, v61, v58
	s_cbranch_vccnz .LBB81_864
; %bb.856:
	v_add_co_u32 v57, vcc_lo, s10, v57
	v_add_co_ci_u32_e32 v58, vcc_lo, s11, v66, vcc_lo
	v_add_co_u32 v60, vcc_lo, s10, v59
	v_add_co_ci_u32_e32 v61, vcc_lo, s11, v64, vcc_lo
	v_mov_b32_e32 v155, 1
	s_clause 0x1
	global_load_u8 v62, v[57:58], off
	global_load_u8 v63, v[60:61], off
	v_mov_b32_e32 v156, 0
	s_mov_b32 s14, exec_lo
	s_waitcnt vmcnt(0)
	v_cmpx_eq_u16_e64 v62, v63
	s_cbranch_execz .LBB81_863
; %bb.857:
	s_mov_b64 s[0:1], 1
	s_mov_b32 s15, 0
                                        ; implicit-def: $sgpr18
	s_set_inst_prefetch_distance 0x1
	s_branch .LBB81_860
	.p2align	6
.LBB81_858:                             ;   in Loop: Header=BB81_860 Depth=1
	v_add_co_u32 v62, vcc_lo, v57, s0
	v_add_co_ci_u32_e32 v63, vcc_lo, s1, v58, vcc_lo
	v_add_co_u32 v66, vcc_lo, v60, s0
	v_add_co_ci_u32_e32 v67, vcc_lo, s1, v61, vcc_lo
	s_add_u32 s12, s0, 1
	s_clause 0x1
	global_load_u8 v62, v[62:63], off
	global_load_u8 v63, v[66:67], off
	s_addc_u32 s13, s1, 0
	s_and_not1_b32 s18, s18, exec_lo
	s_waitcnt vmcnt(0)
	v_cmp_ne_u16_e32 vcc_lo, v62, v63
	s_and_b32 s19, vcc_lo, exec_lo
	s_delay_alu instid0(SALU_CYCLE_1)
	s_or_b32 s18, s18, s19
.LBB81_859:                             ;   in Loop: Header=BB81_860 Depth=1
	v_dual_mov_b32 v63, s1 :: v_dual_mov_b32 v62, s0
	s_and_b32 s19, exec_lo, s18
	s_mov_b64 s[0:1], s[12:13]
	s_or_b32 s15, s19, s15
	s_delay_alu instid0(SALU_CYCLE_1)
	s_and_not1_b32 exec_lo, exec_lo, s15
	s_cbranch_execz .LBB81_862
.LBB81_860:                             ; =>This Inner Loop Header: Depth=1
	s_or_b32 s18, s18, exec_lo
	s_cmp_eq_u64 s[8:9], s[0:1]
	s_cbranch_scc0 .LBB81_858
; %bb.861:                              ;   in Loop: Header=BB81_860 Depth=1
	s_mov_b64 s[0:1], s[8:9]
                                        ; implicit-def: $sgpr12_sgpr13
	s_branch .LBB81_859
.LBB81_862:
	s_set_inst_prefetch_distance 0x2
	s_or_b32 exec_lo, exec_lo, s15
	v_cmp_gt_i64_e32 vcc_lo, s[8:9], v[62:63]
	s_mov_b32 s0, 0
	s_delay_alu instid0(SALU_CYCLE_1)
	v_mov_b32_e32 v156, s0
	v_cndmask_b32_e64 v155, 0, 1, vcc_lo
.LBB81_863:
	s_or_b32 exec_lo, exec_lo, s14
.LBB81_864:
	v_mul_lo_u32 v60, v18, s8
	v_mul_lo_u32 v61, v17, s9
	v_mad_u64_u32 v[57:58], null, v17, s8, 0
	v_mov_b32_e32 v159, 0
	v_mov_b32_e32 v160, 0
	v_cmp_ne_u32_e32 vcc_lo, 1, v65
	s_delay_alu instid0(VALU_DEP_2)
	v_dual_mov_b32 v157, v159 :: v_dual_mov_b32 v158, v160
	v_add3_u32 v66, v58, v61, v60
	s_cbranch_vccnz .LBB81_873
; %bb.865:
	v_add_co_u32 v58, vcc_lo, s10, v59
	v_add_co_ci_u32_e32 v59, vcc_lo, s11, v64, vcc_lo
	v_add_co_u32 v60, vcc_lo, s10, v57
	v_add_co_ci_u32_e32 v61, vcc_lo, s11, v66, vcc_lo
	v_mov_b32_e32 v157, 1
	s_clause 0x1
	global_load_u8 v62, v[58:59], off
	global_load_u8 v63, v[60:61], off
	v_mov_b32_e32 v158, 0
	s_mov_b32 s14, exec_lo
	s_waitcnt vmcnt(0)
	v_cmpx_eq_u16_e64 v62, v63
	s_cbranch_execz .LBB81_872
; %bb.866:
	s_mov_b64 s[0:1], 1
	s_mov_b32 s15, 0
                                        ; implicit-def: $sgpr18
	s_set_inst_prefetch_distance 0x1
	s_branch .LBB81_869
	.p2align	6
.LBB81_867:                             ;   in Loop: Header=BB81_869 Depth=1
	v_add_co_u32 v62, vcc_lo, v58, s0
	v_add_co_ci_u32_e32 v63, vcc_lo, s1, v59, vcc_lo
	v_add_co_u32 v67, vcc_lo, v60, s0
	v_add_co_ci_u32_e32 v68, vcc_lo, s1, v61, vcc_lo
	s_add_u32 s12, s0, 1
	s_clause 0x1
	global_load_u8 v62, v[62:63], off
	global_load_u8 v63, v[67:68], off
	s_addc_u32 s13, s1, 0
	s_and_not1_b32 s18, s18, exec_lo
	s_waitcnt vmcnt(0)
	v_cmp_ne_u16_e32 vcc_lo, v62, v63
	s_and_b32 s19, vcc_lo, exec_lo
	s_delay_alu instid0(SALU_CYCLE_1)
	s_or_b32 s18, s18, s19
.LBB81_868:                             ;   in Loop: Header=BB81_869 Depth=1
	v_dual_mov_b32 v63, s1 :: v_dual_mov_b32 v62, s0
	s_and_b32 s19, exec_lo, s18
	s_mov_b64 s[0:1], s[12:13]
	s_or_b32 s15, s19, s15
	s_delay_alu instid0(SALU_CYCLE_1)
	s_and_not1_b32 exec_lo, exec_lo, s15
	s_cbranch_execz .LBB81_871
.LBB81_869:                             ; =>This Inner Loop Header: Depth=1
	s_or_b32 s18, s18, exec_lo
	s_cmp_eq_u64 s[8:9], s[0:1]
	s_cbranch_scc0 .LBB81_867
; %bb.870:                              ;   in Loop: Header=BB81_869 Depth=1
	s_mov_b64 s[0:1], s[8:9]
                                        ; implicit-def: $sgpr12_sgpr13
	s_branch .LBB81_868
.LBB81_871:
	s_set_inst_prefetch_distance 0x2
	s_or_b32 exec_lo, exec_lo, s15
	v_cmp_gt_i64_e32 vcc_lo, s[8:9], v[62:63]
	s_mov_b32 s0, 0
	s_delay_alu instid0(SALU_CYCLE_1)
	v_mov_b32_e32 v158, s0
	v_cndmask_b32_e64 v157, 0, 1, vcc_lo
.LBB81_872:
	s_or_b32 exec_lo, exec_lo, s14
.LBB81_873:
	v_mul_lo_u32 v58, v16, s8
	v_mul_lo_u32 v61, v15, s9
	v_mad_u64_u32 v[59:60], null, v15, s8, 0
	v_cmp_ne_u32_e32 vcc_lo, 1, v65
	s_delay_alu instid0(VALU_DEP_2)
	v_add3_u32 v64, v60, v61, v58
	s_cbranch_vccnz .LBB81_882
; %bb.874:
	v_add_co_u32 v57, vcc_lo, s10, v57
	v_add_co_ci_u32_e32 v58, vcc_lo, s11, v66, vcc_lo
	v_add_co_u32 v60, vcc_lo, s10, v59
	v_add_co_ci_u32_e32 v61, vcc_lo, s11, v64, vcc_lo
	v_mov_b32_e32 v159, 1
	s_clause 0x1
	global_load_u8 v62, v[57:58], off
	global_load_u8 v63, v[60:61], off
	v_mov_b32_e32 v160, 0
	s_mov_b32 s14, exec_lo
	s_waitcnt vmcnt(0)
	v_cmpx_eq_u16_e64 v62, v63
	s_cbranch_execz .LBB81_881
; %bb.875:
	s_mov_b64 s[0:1], 1
	s_mov_b32 s15, 0
                                        ; implicit-def: $sgpr18
	s_set_inst_prefetch_distance 0x1
	s_branch .LBB81_878
	.p2align	6
.LBB81_876:                             ;   in Loop: Header=BB81_878 Depth=1
	v_add_co_u32 v62, vcc_lo, v57, s0
	v_add_co_ci_u32_e32 v63, vcc_lo, s1, v58, vcc_lo
	v_add_co_u32 v66, vcc_lo, v60, s0
	v_add_co_ci_u32_e32 v67, vcc_lo, s1, v61, vcc_lo
	s_add_u32 s12, s0, 1
	s_clause 0x1
	global_load_u8 v62, v[62:63], off
	global_load_u8 v63, v[66:67], off
	s_addc_u32 s13, s1, 0
	s_and_not1_b32 s18, s18, exec_lo
	s_waitcnt vmcnt(0)
	v_cmp_ne_u16_e32 vcc_lo, v62, v63
	s_and_b32 s19, vcc_lo, exec_lo
	s_delay_alu instid0(SALU_CYCLE_1)
	s_or_b32 s18, s18, s19
.LBB81_877:                             ;   in Loop: Header=BB81_878 Depth=1
	v_dual_mov_b32 v63, s1 :: v_dual_mov_b32 v62, s0
	s_and_b32 s19, exec_lo, s18
	s_mov_b64 s[0:1], s[12:13]
	s_or_b32 s15, s19, s15
	s_delay_alu instid0(SALU_CYCLE_1)
	s_and_not1_b32 exec_lo, exec_lo, s15
	s_cbranch_execz .LBB81_880
.LBB81_878:                             ; =>This Inner Loop Header: Depth=1
	s_or_b32 s18, s18, exec_lo
	s_cmp_eq_u64 s[8:9], s[0:1]
	s_cbranch_scc0 .LBB81_876
; %bb.879:                              ;   in Loop: Header=BB81_878 Depth=1
	s_mov_b64 s[0:1], s[8:9]
                                        ; implicit-def: $sgpr12_sgpr13
	s_branch .LBB81_877
.LBB81_880:
	s_set_inst_prefetch_distance 0x2
	s_or_b32 exec_lo, exec_lo, s15
	v_cmp_gt_i64_e32 vcc_lo, s[8:9], v[62:63]
	s_mov_b32 s0, 0
	s_delay_alu instid0(SALU_CYCLE_1)
	v_mov_b32_e32 v160, s0
	v_cndmask_b32_e64 v159, 0, 1, vcc_lo
.LBB81_881:
	s_or_b32 exec_lo, exec_lo, s14
.LBB81_882:
	v_mul_lo_u32 v60, v14, s8
	v_mul_lo_u32 v61, v13, s9
	v_mad_u64_u32 v[57:58], null, v13, s8, 0
	v_mov_b32_e32 v163, 0
	v_mov_b32_e32 v164, 0
	v_cmp_ne_u32_e32 vcc_lo, 1, v65
	s_delay_alu instid0(VALU_DEP_2)
	v_dual_mov_b32 v161, v163 :: v_dual_mov_b32 v162, v164
	v_add3_u32 v66, v58, v61, v60
	s_cbranch_vccnz .LBB81_891
; %bb.883:
	v_add_co_u32 v58, vcc_lo, s10, v59
	v_add_co_ci_u32_e32 v59, vcc_lo, s11, v64, vcc_lo
	v_add_co_u32 v60, vcc_lo, s10, v57
	v_add_co_ci_u32_e32 v61, vcc_lo, s11, v66, vcc_lo
	v_mov_b32_e32 v161, 1
	s_clause 0x1
	global_load_u8 v62, v[58:59], off
	global_load_u8 v63, v[60:61], off
	v_mov_b32_e32 v162, 0
	s_mov_b32 s14, exec_lo
	s_waitcnt vmcnt(0)
	v_cmpx_eq_u16_e64 v62, v63
	s_cbranch_execz .LBB81_890
; %bb.884:
	s_mov_b64 s[0:1], 1
	s_mov_b32 s15, 0
                                        ; implicit-def: $sgpr18
	s_set_inst_prefetch_distance 0x1
	s_branch .LBB81_887
	.p2align	6
.LBB81_885:                             ;   in Loop: Header=BB81_887 Depth=1
	v_add_co_u32 v62, vcc_lo, v58, s0
	v_add_co_ci_u32_e32 v63, vcc_lo, s1, v59, vcc_lo
	v_add_co_u32 v67, vcc_lo, v60, s0
	v_add_co_ci_u32_e32 v68, vcc_lo, s1, v61, vcc_lo
	s_add_u32 s12, s0, 1
	s_clause 0x1
	global_load_u8 v62, v[62:63], off
	global_load_u8 v63, v[67:68], off
	s_addc_u32 s13, s1, 0
	s_and_not1_b32 s18, s18, exec_lo
	s_waitcnt vmcnt(0)
	v_cmp_ne_u16_e32 vcc_lo, v62, v63
	s_and_b32 s19, vcc_lo, exec_lo
	s_delay_alu instid0(SALU_CYCLE_1)
	s_or_b32 s18, s18, s19
.LBB81_886:                             ;   in Loop: Header=BB81_887 Depth=1
	v_dual_mov_b32 v63, s1 :: v_dual_mov_b32 v62, s0
	s_and_b32 s19, exec_lo, s18
	s_mov_b64 s[0:1], s[12:13]
	s_or_b32 s15, s19, s15
	s_delay_alu instid0(SALU_CYCLE_1)
	s_and_not1_b32 exec_lo, exec_lo, s15
	s_cbranch_execz .LBB81_889
.LBB81_887:                             ; =>This Inner Loop Header: Depth=1
	s_or_b32 s18, s18, exec_lo
	s_cmp_eq_u64 s[8:9], s[0:1]
	s_cbranch_scc0 .LBB81_885
; %bb.888:                              ;   in Loop: Header=BB81_887 Depth=1
	s_mov_b64 s[0:1], s[8:9]
                                        ; implicit-def: $sgpr12_sgpr13
	s_branch .LBB81_886
.LBB81_889:
	s_set_inst_prefetch_distance 0x2
	s_or_b32 exec_lo, exec_lo, s15
	v_cmp_gt_i64_e32 vcc_lo, s[8:9], v[62:63]
	s_mov_b32 s0, 0
	s_delay_alu instid0(SALU_CYCLE_1)
	v_mov_b32_e32 v162, s0
	v_cndmask_b32_e64 v161, 0, 1, vcc_lo
.LBB81_890:
	s_or_b32 exec_lo, exec_lo, s14
.LBB81_891:
	v_mul_lo_u32 v60, v4, s8
	v_mul_lo_u32 v61, v3, s9
	v_mad_u64_u32 v[58:59], null, v3, s8, 0
	v_cmp_ne_u32_e32 vcc_lo, 1, v65
	s_delay_alu instid0(VALU_DEP_2)
	v_add3_u32 v67, v59, v61, v60
	s_cbranch_vccnz .LBB81_900
; %bb.892:
	v_add_co_u32 v59, vcc_lo, s10, v57
	v_add_co_ci_u32_e32 v60, vcc_lo, s11, v66, vcc_lo
	v_add_co_u32 v61, vcc_lo, s10, v58
	v_add_co_ci_u32_e32 v62, vcc_lo, s11, v67, vcc_lo
	v_mov_b32_e32 v163, 1
	s_clause 0x1
	global_load_u8 v57, v[59:60], off
	global_load_u8 v63, v[61:62], off
	v_mov_b32_e32 v164, 0
	s_mov_b32 s14, exec_lo
	s_waitcnt vmcnt(0)
	v_cmpx_eq_u16_e64 v57, v63
	s_cbranch_execz .LBB81_899
; %bb.893:
	s_mov_b64 s[0:1], 1
	s_mov_b32 s15, 0
                                        ; implicit-def: $sgpr18
	s_set_inst_prefetch_distance 0x1
	s_branch .LBB81_896
	.p2align	6
.LBB81_894:                             ;   in Loop: Header=BB81_896 Depth=1
	v_add_co_u32 v63, vcc_lo, v59, s0
	v_add_co_ci_u32_e32 v64, vcc_lo, s1, v60, vcc_lo
	v_add_co_u32 v68, vcc_lo, v61, s0
	v_add_co_ci_u32_e32 v69, vcc_lo, s1, v62, vcc_lo
	s_add_u32 s12, s0, 1
	s_clause 0x1
	global_load_u8 v57, v[63:64], off
	global_load_u8 v63, v[68:69], off
	s_addc_u32 s13, s1, 0
	s_and_not1_b32 s18, s18, exec_lo
	s_waitcnt vmcnt(0)
	v_cmp_ne_u16_e32 vcc_lo, v57, v63
	s_and_b32 s19, vcc_lo, exec_lo
	s_delay_alu instid0(SALU_CYCLE_1)
	s_or_b32 s18, s18, s19
.LBB81_895:                             ;   in Loop: Header=BB81_896 Depth=1
	v_dual_mov_b32 v64, s1 :: v_dual_mov_b32 v63, s0
	s_and_b32 s19, exec_lo, s18
	s_mov_b64 s[0:1], s[12:13]
	s_or_b32 s15, s19, s15
	s_delay_alu instid0(SALU_CYCLE_1)
	s_and_not1_b32 exec_lo, exec_lo, s15
	s_cbranch_execz .LBB81_898
.LBB81_896:                             ; =>This Inner Loop Header: Depth=1
	s_or_b32 s18, s18, exec_lo
	s_cmp_eq_u64 s[8:9], s[0:1]
	s_cbranch_scc0 .LBB81_894
; %bb.897:                              ;   in Loop: Header=BB81_896 Depth=1
	s_mov_b64 s[0:1], s[8:9]
                                        ; implicit-def: $sgpr12_sgpr13
	s_branch .LBB81_895
.LBB81_898:
	s_set_inst_prefetch_distance 0x2
	s_or_b32 exec_lo, exec_lo, s15
	v_cmp_gt_i64_e32 vcc_lo, s[8:9], v[63:64]
	s_mov_b32 s0, 0
	s_delay_alu instid0(SALU_CYCLE_1)
	v_mov_b32_e32 v164, s0
	v_cndmask_b32_e64 v163, 0, 1, vcc_lo
.LBB81_899:
	s_or_b32 exec_lo, exec_lo, s14
.LBB81_900:
	v_cmp_ne_u32_e32 vcc_lo, 1, v65
	s_cbranch_vccnz .LBB81_907
; %bb.901:
	v_mad_u64_u32 v[59:60], null, v1, s8, s[10:11]
	v_mul_lo_u32 v61, v1, s9
	v_mul_lo_u32 v62, v2, s8
	v_add_co_u32 v57, vcc_lo, s10, v58
	v_add_co_ci_u32_e32 v58, vcc_lo, s11, v67, vcc_lo
	v_mov_b32_e32 v165, 1
	v_mov_b32_e32 v166, 0
	s_mov_b32 s14, exec_lo
	v_add3_u32 v60, v62, v60, v61
	s_clause 0x1
	global_load_u8 v61, v[57:58], off
	global_load_u8 v62, v[59:60], off
	s_waitcnt vmcnt(0)
	v_cmpx_eq_u16_e64 v61, v62
	s_cbranch_execz .LBB81_909
; %bb.902:
	s_mov_b64 s[0:1], 1
	s_mov_b32 s15, 0
                                        ; implicit-def: $sgpr18
	s_set_inst_prefetch_distance 0x1
	s_branch .LBB81_905
	.p2align	6
.LBB81_903:                             ;   in Loop: Header=BB81_905 Depth=1
	v_add_co_u32 v61, vcc_lo, v57, s0
	v_add_co_ci_u32_e32 v62, vcc_lo, s1, v58, vcc_lo
	v_add_co_u32 v63, vcc_lo, v59, s0
	v_add_co_ci_u32_e32 v64, vcc_lo, s1, v60, vcc_lo
	s_add_u32 s12, s0, 1
	s_clause 0x1
	global_load_u8 v61, v[61:62], off
	global_load_u8 v62, v[63:64], off
	s_addc_u32 s13, s1, 0
	s_and_not1_b32 s18, s18, exec_lo
	s_waitcnt vmcnt(0)
	v_cmp_ne_u16_e32 vcc_lo, v61, v62
	s_and_b32 s19, vcc_lo, exec_lo
	s_delay_alu instid0(SALU_CYCLE_1)
	s_or_b32 s18, s18, s19
.LBB81_904:                             ;   in Loop: Header=BB81_905 Depth=1
	v_dual_mov_b32 v62, s1 :: v_dual_mov_b32 v61, s0
	s_and_b32 s19, exec_lo, s18
	s_mov_b64 s[0:1], s[12:13]
	s_or_b32 s15, s19, s15
	s_delay_alu instid0(SALU_CYCLE_1)
	s_and_not1_b32 exec_lo, exec_lo, s15
	s_cbranch_execz .LBB81_908
.LBB81_905:                             ; =>This Inner Loop Header: Depth=1
	s_or_b32 s18, s18, exec_lo
	s_cmp_eq_u64 s[8:9], s[0:1]
	s_cbranch_scc0 .LBB81_903
; %bb.906:                              ;   in Loop: Header=BB81_905 Depth=1
	s_mov_b64 s[0:1], s[8:9]
                                        ; implicit-def: $sgpr12_sgpr13
	s_branch .LBB81_904
.LBB81_907:
	v_mov_b32_e32 v165, 0
	v_mov_b32_e32 v166, 0
	s_branch .LBB81_910
.LBB81_908:
	s_set_inst_prefetch_distance 0x2
	s_or_b32 exec_lo, exec_lo, s15
	v_cmp_gt_i64_e32 vcc_lo, s[8:9], v[61:62]
	s_mov_b32 s0, 0
	s_delay_alu instid0(SALU_CYCLE_1)
	v_mov_b32_e32 v166, s0
	v_cndmask_b32_e64 v165, 0, 1, vcc_lo
.LBB81_909:
	s_or_b32 exec_lo, exec_lo, s14
.LBB81_910:
	s_mov_b32 s15, 0
	s_mov_b32 s18, exec_lo
	s_waitcnt lgkmcnt(0)
	s_barrier
	buffer_gl0_inv
                                        ; implicit-def: $sgpr14
	v_cmpx_ne_u32_e32 0, v0
	s_cbranch_execz .LBB81_922
; %bb.911:
	v_cmp_ne_u32_e32 vcc_lo, 1, v65
	s_cbranch_vccnz .LBB81_918
; %bb.912:
	v_add_nc_u32_e32 v57, -8, v195
	v_mul_lo_u32 v63, v1, s9
	v_mul_lo_u32 v64, v2, s8
	s_mov_b32 s0, -1
	s_mov_b32 s14, exec_lo
	ds_load_b64 v[61:62], v57
	v_mad_u64_u32 v[57:58], null, v1, s8, s[10:11]
	s_delay_alu instid0(VALU_DEP_1) | instskip(SKIP_4) | instid1(VALU_DEP_1)
	v_add3_u32 v58, v64, v58, v63
	s_waitcnt lgkmcnt(0)
	v_mul_lo_u32 v65, v61, s9
	v_mul_lo_u32 v62, v62, s8
	v_mad_u64_u32 v[59:60], null, v61, s8, s[10:11]
	v_add3_u32 v60, v62, v60, v65
	s_clause 0x1
	global_load_u8 v61, v[57:58], off
	global_load_u8 v62, v[59:60], off
	s_waitcnt vmcnt(0)
	v_cmpx_eq_u16_e64 v61, v62
	s_cbranch_execz .LBB81_920
; %bb.913:
	s_mov_b64 s[0:1], 1
	s_mov_b32 s19, 0
                                        ; implicit-def: $sgpr20
	s_set_inst_prefetch_distance 0x1
	s_branch .LBB81_916
	.p2align	6
.LBB81_914:                             ;   in Loop: Header=BB81_916 Depth=1
	v_add_co_u32 v61, vcc_lo, v57, s0
	v_add_co_ci_u32_e32 v62, vcc_lo, s1, v58, vcc_lo
	v_add_co_u32 v63, vcc_lo, v59, s0
	v_add_co_ci_u32_e32 v64, vcc_lo, s1, v60, vcc_lo
	s_add_u32 s12, s0, 1
	s_clause 0x1
	global_load_u8 v61, v[61:62], off
	global_load_u8 v62, v[63:64], off
	s_addc_u32 s13, s1, 0
	s_and_not1_b32 s20, s20, exec_lo
	s_waitcnt vmcnt(0)
	v_cmp_ne_u16_e32 vcc_lo, v61, v62
	s_and_b32 s21, vcc_lo, exec_lo
	s_delay_alu instid0(SALU_CYCLE_1)
	s_or_b32 s20, s20, s21
.LBB81_915:                             ;   in Loop: Header=BB81_916 Depth=1
	v_dual_mov_b32 v62, s1 :: v_dual_mov_b32 v61, s0
	s_and_b32 s21, exec_lo, s20
	s_mov_b64 s[0:1], s[12:13]
	s_or_b32 s19, s21, s19
	s_delay_alu instid0(SALU_CYCLE_1)
	s_and_not1_b32 exec_lo, exec_lo, s19
	s_cbranch_execz .LBB81_919
.LBB81_916:                             ; =>This Inner Loop Header: Depth=1
	s_or_b32 s20, s20, exec_lo
	s_cmp_eq_u64 s[8:9], s[0:1]
	s_cbranch_scc0 .LBB81_914
; %bb.917:                              ;   in Loop: Header=BB81_916 Depth=1
	s_mov_b64 s[0:1], s[8:9]
                                        ; implicit-def: $sgpr12_sgpr13
	s_branch .LBB81_915
.LBB81_918:
	s_mov_b32 s0, 0
	s_branch .LBB81_921
.LBB81_919:
	s_set_inst_prefetch_distance 0x2
	s_or_b32 exec_lo, exec_lo, s19
	v_cmp_gt_i64_e32 vcc_lo, s[8:9], v[61:62]
	s_or_not1_b32 s0, vcc_lo, exec_lo
.LBB81_920:
	s_or_b32 exec_lo, exec_lo, s14
.LBB81_921:
	s_delay_alu instid0(SALU_CYCLE_1)
	s_and_b32 s14, s0, exec_lo
	s_or_b32 s3, s3, exec_lo
.LBB81_922:
	s_or_b32 exec_lo, exec_lo, s18
	v_dual_mov_b32 v182, v166 :: v_dual_mov_b32 v181, v165
	v_dual_mov_b32 v168, v164 :: v_dual_mov_b32 v167, v163
	;; [unrolled: 1-line block ×27, first 2 shown]
	s_and_b32 vcc_lo, exec_lo, s15
	s_cbranch_vccz .LBB81_1243
.LBB81_923:
	v_cmp_gt_i64_e64 s0, s[8:9], 0
	s_waitcnt lgkmcnt(0)
	v_mad_u32_u24 v57, v0, 29, 28
	v_mul_u32_u24_e32 v64, 29, v0
	s_mov_b32 s14, exec_lo
	ds_store_b64 v195, v[109:110]
	v_cndmask_b32_e64 v63, 0, 1, s0
	v_cmpx_gt_u32_e64 s6, v57
	s_cbranch_execz .LBB81_934
; %bb.924:
	s_and_not1_b32 vcc_lo, exec_lo, s0
	s_cbranch_vccnz .LBB81_931
; %bb.925:
	v_mad_u64_u32 v[57:58], null, v109, s8, s[10:11]
	v_mul_lo_u32 v61, v109, s9
	v_mul_lo_u32 v62, v110, s8
	v_mad_u64_u32 v[59:60], null, v7, s8, s[10:11]
	v_mul_lo_u32 v65, v7, s9
	v_mul_lo_u32 v66, v8, s8
	v_mov_b32_e32 v109, 1
	v_mov_b32_e32 v110, 0
	s_mov_b32 s15, exec_lo
	v_add3_u32 v58, v62, v58, v61
	s_delay_alu instid0(VALU_DEP_4)
	v_add3_u32 v60, v66, v60, v65
	s_clause 0x1
	global_load_u8 v61, v[57:58], off
	global_load_u8 v62, v[59:60], off
	s_waitcnt vmcnt(0)
	v_cmpx_eq_u16_e64 v61, v62
	s_cbranch_execz .LBB81_933
; %bb.926:
	s_mov_b64 s[0:1], 1
	s_mov_b32 s18, 0
                                        ; implicit-def: $sgpr19
	s_set_inst_prefetch_distance 0x1
	s_branch .LBB81_929
	.p2align	6
.LBB81_927:                             ;   in Loop: Header=BB81_929 Depth=1
	v_add_co_u32 v61, vcc_lo, v57, s0
	v_add_co_ci_u32_e32 v62, vcc_lo, s1, v58, vcc_lo
	v_add_co_u32 v65, vcc_lo, v59, s0
	v_add_co_ci_u32_e32 v66, vcc_lo, s1, v60, vcc_lo
	s_add_u32 s12, s0, 1
	s_clause 0x1
	global_load_u8 v61, v[61:62], off
	global_load_u8 v62, v[65:66], off
	s_addc_u32 s13, s1, 0
	s_and_not1_b32 s19, s19, exec_lo
	s_waitcnt vmcnt(0)
	v_cmp_ne_u16_e32 vcc_lo, v61, v62
	s_and_b32 s20, vcc_lo, exec_lo
	s_delay_alu instid0(SALU_CYCLE_1)
	s_or_b32 s19, s19, s20
.LBB81_928:                             ;   in Loop: Header=BB81_929 Depth=1
	v_dual_mov_b32 v62, s1 :: v_dual_mov_b32 v61, s0
	s_and_b32 s20, exec_lo, s19
	s_mov_b64 s[0:1], s[12:13]
	s_or_b32 s18, s20, s18
	s_delay_alu instid0(SALU_CYCLE_1)
	s_and_not1_b32 exec_lo, exec_lo, s18
	s_cbranch_execz .LBB81_932
.LBB81_929:                             ; =>This Inner Loop Header: Depth=1
	s_or_b32 s19, s19, exec_lo
	s_cmp_eq_u64 s[8:9], s[0:1]
	s_cbranch_scc0 .LBB81_927
; %bb.930:                              ;   in Loop: Header=BB81_929 Depth=1
	s_mov_b64 s[0:1], s[8:9]
                                        ; implicit-def: $sgpr12_sgpr13
	s_branch .LBB81_928
.LBB81_931:
	v_mov_b32_e32 v109, 0
	v_mov_b32_e32 v110, 0
	s_branch .LBB81_934
.LBB81_932:
	s_set_inst_prefetch_distance 0x2
	s_or_b32 exec_lo, exec_lo, s18
	v_cmp_gt_i64_e32 vcc_lo, s[8:9], v[61:62]
	s_mov_b32 s0, 0
	s_delay_alu instid0(SALU_CYCLE_1)
	v_mov_b32_e32 v110, s0
	v_cndmask_b32_e64 v109, 0, 1, vcc_lo
.LBB81_933:
	s_or_b32 exec_lo, exec_lo, s15
.LBB81_934:
	s_delay_alu instid0(SALU_CYCLE_1) | instskip(SKIP_2) | instid1(VALU_DEP_1)
	s_or_b32 exec_lo, exec_lo, s14
	v_add_nc_u32_e32 v57, 27, v64
	s_mov_b32 s14, exec_lo
	v_cmpx_gt_u32_e64 s6, v57
	s_cbranch_execz .LBB81_945
; %bb.935:
	v_cmp_ne_u32_e32 vcc_lo, 1, v63
	s_cbranch_vccnz .LBB81_942
; %bb.936:
	v_mad_u64_u32 v[57:58], null, v7, s8, s[10:11]
	v_mul_lo_u32 v7, v7, s9
	v_mul_lo_u32 v8, v8, s8
	v_mad_u64_u32 v[59:60], null, v5, s8, s[10:11]
	v_mul_lo_u32 v61, v5, s9
	v_mul_lo_u32 v62, v6, s8
	s_mov_b32 s15, exec_lo
	s_delay_alu instid0(VALU_DEP_4) | instskip(SKIP_2) | instid1(VALU_DEP_4)
	v_add3_u32 v58, v8, v58, v7
	v_mov_b32_e32 v7, 1
	v_mov_b32_e32 v8, 0
	v_add3_u32 v60, v62, v60, v61
	s_clause 0x1
	global_load_u8 v61, v[57:58], off
	global_load_u8 v62, v[59:60], off
	s_waitcnt vmcnt(0)
	v_cmpx_eq_u16_e64 v61, v62
	s_cbranch_execz .LBB81_944
; %bb.937:
	s_mov_b64 s[0:1], 1
	s_mov_b32 s18, 0
                                        ; implicit-def: $sgpr19
	s_set_inst_prefetch_distance 0x1
	s_branch .LBB81_940
	.p2align	6
.LBB81_938:                             ;   in Loop: Header=BB81_940 Depth=1
	v_add_co_u32 v7, vcc_lo, v57, s0
	v_add_co_ci_u32_e32 v8, vcc_lo, s1, v58, vcc_lo
	v_add_co_u32 v61, vcc_lo, v59, s0
	v_add_co_ci_u32_e32 v62, vcc_lo, s1, v60, vcc_lo
	s_add_u32 s12, s0, 1
	s_clause 0x1
	global_load_u8 v7, v[7:8], off
	global_load_u8 v8, v[61:62], off
	s_addc_u32 s13, s1, 0
	s_and_not1_b32 s19, s19, exec_lo
	s_waitcnt vmcnt(0)
	v_cmp_ne_u16_e32 vcc_lo, v7, v8
	s_and_b32 s20, vcc_lo, exec_lo
	s_delay_alu instid0(SALU_CYCLE_1)
	s_or_b32 s19, s19, s20
.LBB81_939:                             ;   in Loop: Header=BB81_940 Depth=1
	v_dual_mov_b32 v8, s1 :: v_dual_mov_b32 v7, s0
	s_and_b32 s20, exec_lo, s19
	s_mov_b64 s[0:1], s[12:13]
	s_or_b32 s18, s20, s18
	s_delay_alu instid0(SALU_CYCLE_1)
	s_and_not1_b32 exec_lo, exec_lo, s18
	s_cbranch_execz .LBB81_943
.LBB81_940:                             ; =>This Inner Loop Header: Depth=1
	s_or_b32 s19, s19, exec_lo
	s_cmp_eq_u64 s[8:9], s[0:1]
	s_cbranch_scc0 .LBB81_938
; %bb.941:                              ;   in Loop: Header=BB81_940 Depth=1
	s_mov_b64 s[0:1], s[8:9]
                                        ; implicit-def: $sgpr12_sgpr13
	s_branch .LBB81_939
.LBB81_942:
	v_mov_b32_e32 v7, 0
	v_mov_b32_e32 v8, 0
	s_branch .LBB81_945
.LBB81_943:
	s_set_inst_prefetch_distance 0x2
	s_or_b32 exec_lo, exec_lo, s18
	v_cmp_gt_i64_e32 vcc_lo, s[8:9], v[7:8]
	s_mov_b32 s0, 0
	s_delay_alu instid0(SALU_CYCLE_1)
	v_mov_b32_e32 v8, s0
	v_cndmask_b32_e64 v7, 0, 1, vcc_lo
.LBB81_944:
	s_or_b32 exec_lo, exec_lo, s15
.LBB81_945:
	s_delay_alu instid0(SALU_CYCLE_1) | instskip(SKIP_2) | instid1(VALU_DEP_1)
	s_or_b32 exec_lo, exec_lo, s14
	v_add_nc_u32_e32 v57, 26, v64
	s_mov_b32 s14, exec_lo
	v_cmpx_gt_u32_e64 s6, v57
	s_cbranch_execz .LBB81_956
; %bb.946:
	v_cmp_ne_u32_e32 vcc_lo, 1, v63
	s_cbranch_vccnz .LBB81_953
; %bb.947:
	v_mad_u64_u32 v[57:58], null, v5, s8, s[10:11]
	v_mul_lo_u32 v5, v5, s9
	v_mul_lo_u32 v6, v6, s8
	v_mad_u64_u32 v[59:60], null, v11, s8, s[10:11]
	v_mul_lo_u32 v61, v11, s9
	v_mul_lo_u32 v62, v12, s8
	s_mov_b32 s15, exec_lo
	s_delay_alu instid0(VALU_DEP_4) | instskip(SKIP_2) | instid1(VALU_DEP_4)
	v_add3_u32 v58, v6, v58, v5
	v_mov_b32_e32 v5, 1
	v_mov_b32_e32 v6, 0
	v_add3_u32 v60, v62, v60, v61
	s_clause 0x1
	global_load_u8 v61, v[57:58], off
	global_load_u8 v62, v[59:60], off
	s_waitcnt vmcnt(0)
	v_cmpx_eq_u16_e64 v61, v62
	s_cbranch_execz .LBB81_955
; %bb.948:
	s_mov_b64 s[0:1], 1
	s_mov_b32 s18, 0
                                        ; implicit-def: $sgpr19
	s_set_inst_prefetch_distance 0x1
	s_branch .LBB81_951
	.p2align	6
.LBB81_949:                             ;   in Loop: Header=BB81_951 Depth=1
	v_add_co_u32 v5, vcc_lo, v57, s0
	v_add_co_ci_u32_e32 v6, vcc_lo, s1, v58, vcc_lo
	v_add_co_u32 v61, vcc_lo, v59, s0
	v_add_co_ci_u32_e32 v62, vcc_lo, s1, v60, vcc_lo
	s_add_u32 s12, s0, 1
	s_clause 0x1
	global_load_u8 v5, v[5:6], off
	global_load_u8 v6, v[61:62], off
	s_addc_u32 s13, s1, 0
	s_and_not1_b32 s19, s19, exec_lo
	s_waitcnt vmcnt(0)
	v_cmp_ne_u16_e32 vcc_lo, v5, v6
	s_and_b32 s20, vcc_lo, exec_lo
	s_delay_alu instid0(SALU_CYCLE_1)
	s_or_b32 s19, s19, s20
.LBB81_950:                             ;   in Loop: Header=BB81_951 Depth=1
	v_dual_mov_b32 v6, s1 :: v_dual_mov_b32 v5, s0
	s_and_b32 s20, exec_lo, s19
	s_mov_b64 s[0:1], s[12:13]
	s_or_b32 s18, s20, s18
	s_delay_alu instid0(SALU_CYCLE_1)
	s_and_not1_b32 exec_lo, exec_lo, s18
	s_cbranch_execz .LBB81_954
.LBB81_951:                             ; =>This Inner Loop Header: Depth=1
	s_or_b32 s19, s19, exec_lo
	s_cmp_eq_u64 s[8:9], s[0:1]
	s_cbranch_scc0 .LBB81_949
; %bb.952:                              ;   in Loop: Header=BB81_951 Depth=1
	s_mov_b64 s[0:1], s[8:9]
                                        ; implicit-def: $sgpr12_sgpr13
	s_branch .LBB81_950
.LBB81_953:
	v_mov_b32_e32 v5, 0
	v_mov_b32_e32 v6, 0
	s_branch .LBB81_956
.LBB81_954:
	s_set_inst_prefetch_distance 0x2
	s_or_b32 exec_lo, exec_lo, s18
	v_cmp_gt_i64_e32 vcc_lo, s[8:9], v[5:6]
	s_mov_b32 s0, 0
	s_delay_alu instid0(SALU_CYCLE_1)
	v_mov_b32_e32 v6, s0
	v_cndmask_b32_e64 v5, 0, 1, vcc_lo
.LBB81_955:
	s_or_b32 exec_lo, exec_lo, s15
.LBB81_956:
	s_delay_alu instid0(SALU_CYCLE_1) | instskip(SKIP_2) | instid1(VALU_DEP_1)
	s_or_b32 exec_lo, exec_lo, s14
	v_add_nc_u32_e32 v57, 25, v64
	s_mov_b32 s14, exec_lo
	v_cmpx_gt_u32_e64 s6, v57
	s_cbranch_execz .LBB81_967
; %bb.957:
	v_cmp_ne_u32_e32 vcc_lo, 1, v63
	s_cbranch_vccnz .LBB81_964
; %bb.958:
	v_mad_u64_u32 v[57:58], null, v11, s8, s[10:11]
	v_mul_lo_u32 v11, v11, s9
	v_mul_lo_u32 v12, v12, s8
	v_mad_u64_u32 v[59:60], null, v9, s8, s[10:11]
	v_mul_lo_u32 v61, v9, s9
	v_mul_lo_u32 v62, v10, s8
	s_mov_b32 s15, exec_lo
	s_delay_alu instid0(VALU_DEP_4) | instskip(SKIP_2) | instid1(VALU_DEP_4)
	v_add3_u32 v58, v12, v58, v11
	v_mov_b32_e32 v11, 1
	v_mov_b32_e32 v12, 0
	v_add3_u32 v60, v62, v60, v61
	s_clause 0x1
	global_load_u8 v61, v[57:58], off
	global_load_u8 v62, v[59:60], off
	s_waitcnt vmcnt(0)
	v_cmpx_eq_u16_e64 v61, v62
	s_cbranch_execz .LBB81_966
; %bb.959:
	s_mov_b64 s[0:1], 1
	s_mov_b32 s18, 0
                                        ; implicit-def: $sgpr19
	s_set_inst_prefetch_distance 0x1
	s_branch .LBB81_962
	.p2align	6
.LBB81_960:                             ;   in Loop: Header=BB81_962 Depth=1
	v_add_co_u32 v11, vcc_lo, v57, s0
	v_add_co_ci_u32_e32 v12, vcc_lo, s1, v58, vcc_lo
	v_add_co_u32 v61, vcc_lo, v59, s0
	v_add_co_ci_u32_e32 v62, vcc_lo, s1, v60, vcc_lo
	s_add_u32 s12, s0, 1
	s_clause 0x1
	global_load_u8 v11, v[11:12], off
	global_load_u8 v12, v[61:62], off
	s_addc_u32 s13, s1, 0
	s_and_not1_b32 s19, s19, exec_lo
	s_waitcnt vmcnt(0)
	v_cmp_ne_u16_e32 vcc_lo, v11, v12
	s_and_b32 s20, vcc_lo, exec_lo
	s_delay_alu instid0(SALU_CYCLE_1)
	s_or_b32 s19, s19, s20
.LBB81_961:                             ;   in Loop: Header=BB81_962 Depth=1
	v_dual_mov_b32 v12, s1 :: v_dual_mov_b32 v11, s0
	s_and_b32 s20, exec_lo, s19
	s_mov_b64 s[0:1], s[12:13]
	s_or_b32 s18, s20, s18
	s_delay_alu instid0(SALU_CYCLE_1)
	s_and_not1_b32 exec_lo, exec_lo, s18
	s_cbranch_execz .LBB81_965
.LBB81_962:                             ; =>This Inner Loop Header: Depth=1
	s_or_b32 s19, s19, exec_lo
	s_cmp_eq_u64 s[8:9], s[0:1]
	s_cbranch_scc0 .LBB81_960
; %bb.963:                              ;   in Loop: Header=BB81_962 Depth=1
	s_mov_b64 s[0:1], s[8:9]
                                        ; implicit-def: $sgpr12_sgpr13
	s_branch .LBB81_961
.LBB81_964:
	v_mov_b32_e32 v11, 0
	v_mov_b32_e32 v12, 0
	s_branch .LBB81_967
.LBB81_965:
	s_set_inst_prefetch_distance 0x2
	s_or_b32 exec_lo, exec_lo, s18
	v_cmp_gt_i64_e32 vcc_lo, s[8:9], v[11:12]
	s_mov_b32 s0, 0
	s_delay_alu instid0(SALU_CYCLE_1)
	v_mov_b32_e32 v12, s0
	v_cndmask_b32_e64 v11, 0, 1, vcc_lo
.LBB81_966:
	s_or_b32 exec_lo, exec_lo, s15
.LBB81_967:
	s_delay_alu instid0(SALU_CYCLE_1) | instskip(SKIP_2) | instid1(VALU_DEP_1)
	s_or_b32 exec_lo, exec_lo, s14
	v_add_nc_u32_e32 v57, 24, v64
	s_mov_b32 s14, exec_lo
	v_cmpx_gt_u32_e64 s6, v57
	s_cbranch_execz .LBB81_978
; %bb.968:
	v_cmp_ne_u32_e32 vcc_lo, 1, v63
	s_cbranch_vccnz .LBB81_975
; %bb.969:
	v_mad_u64_u32 v[57:58], null, v9, s8, s[10:11]
	v_mul_lo_u32 v9, v9, s9
	v_mul_lo_u32 v10, v10, s8
	v_mad_u64_u32 v[59:60], null, v55, s8, s[10:11]
	v_mul_lo_u32 v61, v55, s9
	v_mul_lo_u32 v62, v56, s8
	s_mov_b32 s15, exec_lo
	s_delay_alu instid0(VALU_DEP_4) | instskip(SKIP_2) | instid1(VALU_DEP_4)
	v_add3_u32 v58, v10, v58, v9
	v_mov_b32_e32 v9, 1
	v_mov_b32_e32 v10, 0
	v_add3_u32 v60, v62, v60, v61
	s_clause 0x1
	global_load_u8 v61, v[57:58], off
	global_load_u8 v62, v[59:60], off
	s_waitcnt vmcnt(0)
	v_cmpx_eq_u16_e64 v61, v62
	s_cbranch_execz .LBB81_977
; %bb.970:
	s_mov_b64 s[0:1], 1
	s_mov_b32 s18, 0
                                        ; implicit-def: $sgpr19
	s_set_inst_prefetch_distance 0x1
	s_branch .LBB81_973
	.p2align	6
.LBB81_971:                             ;   in Loop: Header=BB81_973 Depth=1
	v_add_co_u32 v9, vcc_lo, v57, s0
	v_add_co_ci_u32_e32 v10, vcc_lo, s1, v58, vcc_lo
	v_add_co_u32 v61, vcc_lo, v59, s0
	v_add_co_ci_u32_e32 v62, vcc_lo, s1, v60, vcc_lo
	s_add_u32 s12, s0, 1
	s_clause 0x1
	global_load_u8 v9, v[9:10], off
	global_load_u8 v10, v[61:62], off
	s_addc_u32 s13, s1, 0
	s_and_not1_b32 s19, s19, exec_lo
	s_waitcnt vmcnt(0)
	v_cmp_ne_u16_e32 vcc_lo, v9, v10
	s_and_b32 s20, vcc_lo, exec_lo
	s_delay_alu instid0(SALU_CYCLE_1)
	s_or_b32 s19, s19, s20
.LBB81_972:                             ;   in Loop: Header=BB81_973 Depth=1
	v_dual_mov_b32 v10, s1 :: v_dual_mov_b32 v9, s0
	s_and_b32 s20, exec_lo, s19
	s_mov_b64 s[0:1], s[12:13]
	s_or_b32 s18, s20, s18
	s_delay_alu instid0(SALU_CYCLE_1)
	s_and_not1_b32 exec_lo, exec_lo, s18
	s_cbranch_execz .LBB81_976
.LBB81_973:                             ; =>This Inner Loop Header: Depth=1
	s_or_b32 s19, s19, exec_lo
	s_cmp_eq_u64 s[8:9], s[0:1]
	s_cbranch_scc0 .LBB81_971
; %bb.974:                              ;   in Loop: Header=BB81_973 Depth=1
	s_mov_b64 s[0:1], s[8:9]
                                        ; implicit-def: $sgpr12_sgpr13
	s_branch .LBB81_972
.LBB81_975:
	v_mov_b32_e32 v9, 0
	v_mov_b32_e32 v10, 0
	s_branch .LBB81_978
.LBB81_976:
	s_set_inst_prefetch_distance 0x2
	s_or_b32 exec_lo, exec_lo, s18
	v_cmp_gt_i64_e32 vcc_lo, s[8:9], v[9:10]
	s_mov_b32 s0, 0
	s_delay_alu instid0(SALU_CYCLE_1)
	v_mov_b32_e32 v10, s0
	v_cndmask_b32_e64 v9, 0, 1, vcc_lo
.LBB81_977:
	s_or_b32 exec_lo, exec_lo, s15
.LBB81_978:
	s_delay_alu instid0(SALU_CYCLE_1) | instskip(SKIP_2) | instid1(VALU_DEP_1)
	s_or_b32 exec_lo, exec_lo, s14
	v_add_nc_u32_e32 v57, 23, v64
	s_mov_b32 s14, exec_lo
	v_cmpx_gt_u32_e64 s6, v57
	s_cbranch_execz .LBB81_989
; %bb.979:
	v_cmp_ne_u32_e32 vcc_lo, 1, v63
	s_cbranch_vccnz .LBB81_986
; %bb.980:
	v_mad_u64_u32 v[57:58], null, v55, s8, s[10:11]
	v_mul_lo_u32 v55, v55, s9
	v_mul_lo_u32 v56, v56, s8
	v_mad_u64_u32 v[59:60], null, v53, s8, s[10:11]
	v_mul_lo_u32 v61, v53, s9
	v_mul_lo_u32 v62, v54, s8
	s_mov_b32 s15, exec_lo
	s_delay_alu instid0(VALU_DEP_4) | instskip(SKIP_2) | instid1(VALU_DEP_4)
	v_add3_u32 v58, v56, v58, v55
	v_mov_b32_e32 v55, 1
	v_mov_b32_e32 v56, 0
	v_add3_u32 v60, v62, v60, v61
	s_clause 0x1
	global_load_u8 v61, v[57:58], off
	global_load_u8 v62, v[59:60], off
	s_waitcnt vmcnt(0)
	v_cmpx_eq_u16_e64 v61, v62
	s_cbranch_execz .LBB81_988
; %bb.981:
	s_mov_b64 s[0:1], 1
	s_mov_b32 s18, 0
                                        ; implicit-def: $sgpr19
	s_set_inst_prefetch_distance 0x1
	s_branch .LBB81_984
	.p2align	6
.LBB81_982:                             ;   in Loop: Header=BB81_984 Depth=1
	v_add_co_u32 v55, vcc_lo, v57, s0
	v_add_co_ci_u32_e32 v56, vcc_lo, s1, v58, vcc_lo
	v_add_co_u32 v61, vcc_lo, v59, s0
	v_add_co_ci_u32_e32 v62, vcc_lo, s1, v60, vcc_lo
	s_add_u32 s12, s0, 1
	s_clause 0x1
	global_load_u8 v55, v[55:56], off
	global_load_u8 v56, v[61:62], off
	s_addc_u32 s13, s1, 0
	s_and_not1_b32 s19, s19, exec_lo
	s_waitcnt vmcnt(0)
	v_cmp_ne_u16_e32 vcc_lo, v55, v56
	s_and_b32 s20, vcc_lo, exec_lo
	s_delay_alu instid0(SALU_CYCLE_1)
	s_or_b32 s19, s19, s20
.LBB81_983:                             ;   in Loop: Header=BB81_984 Depth=1
	v_dual_mov_b32 v56, s1 :: v_dual_mov_b32 v55, s0
	s_and_b32 s20, exec_lo, s19
	s_mov_b64 s[0:1], s[12:13]
	s_or_b32 s18, s20, s18
	s_delay_alu instid0(SALU_CYCLE_1)
	s_and_not1_b32 exec_lo, exec_lo, s18
	s_cbranch_execz .LBB81_987
.LBB81_984:                             ; =>This Inner Loop Header: Depth=1
	s_or_b32 s19, s19, exec_lo
	s_cmp_eq_u64 s[8:9], s[0:1]
	s_cbranch_scc0 .LBB81_982
; %bb.985:                              ;   in Loop: Header=BB81_984 Depth=1
	s_mov_b64 s[0:1], s[8:9]
                                        ; implicit-def: $sgpr12_sgpr13
	s_branch .LBB81_983
.LBB81_986:
	v_mov_b32_e32 v55, 0
	v_mov_b32_e32 v56, 0
	s_branch .LBB81_989
.LBB81_987:
	s_set_inst_prefetch_distance 0x2
	s_or_b32 exec_lo, exec_lo, s18
	v_cmp_gt_i64_e32 vcc_lo, s[8:9], v[55:56]
	s_mov_b32 s0, 0
	s_delay_alu instid0(SALU_CYCLE_1)
	v_mov_b32_e32 v56, s0
	v_cndmask_b32_e64 v55, 0, 1, vcc_lo
.LBB81_988:
	s_or_b32 exec_lo, exec_lo, s15
.LBB81_989:
	s_delay_alu instid0(SALU_CYCLE_1) | instskip(SKIP_2) | instid1(VALU_DEP_1)
	s_or_b32 exec_lo, exec_lo, s14
	v_add_nc_u32_e32 v57, 22, v64
	s_mov_b32 s14, exec_lo
	v_cmpx_gt_u32_e64 s6, v57
	s_cbranch_execz .LBB81_1000
; %bb.990:
	v_cmp_ne_u32_e32 vcc_lo, 1, v63
	s_cbranch_vccnz .LBB81_997
; %bb.991:
	v_mad_u64_u32 v[57:58], null, v53, s8, s[10:11]
	v_mul_lo_u32 v53, v53, s9
	v_mul_lo_u32 v54, v54, s8
	v_mad_u64_u32 v[59:60], null, v51, s8, s[10:11]
	v_mul_lo_u32 v61, v51, s9
	v_mul_lo_u32 v62, v52, s8
	s_mov_b32 s15, exec_lo
	s_delay_alu instid0(VALU_DEP_4) | instskip(SKIP_2) | instid1(VALU_DEP_4)
	v_add3_u32 v58, v54, v58, v53
	v_mov_b32_e32 v53, 1
	v_mov_b32_e32 v54, 0
	v_add3_u32 v60, v62, v60, v61
	s_clause 0x1
	global_load_u8 v61, v[57:58], off
	global_load_u8 v62, v[59:60], off
	s_waitcnt vmcnt(0)
	v_cmpx_eq_u16_e64 v61, v62
	s_cbranch_execz .LBB81_999
; %bb.992:
	s_mov_b64 s[0:1], 1
	s_mov_b32 s18, 0
                                        ; implicit-def: $sgpr19
	s_set_inst_prefetch_distance 0x1
	s_branch .LBB81_995
	.p2align	6
.LBB81_993:                             ;   in Loop: Header=BB81_995 Depth=1
	v_add_co_u32 v53, vcc_lo, v57, s0
	v_add_co_ci_u32_e32 v54, vcc_lo, s1, v58, vcc_lo
	v_add_co_u32 v61, vcc_lo, v59, s0
	v_add_co_ci_u32_e32 v62, vcc_lo, s1, v60, vcc_lo
	s_add_u32 s12, s0, 1
	s_clause 0x1
	global_load_u8 v53, v[53:54], off
	global_load_u8 v54, v[61:62], off
	s_addc_u32 s13, s1, 0
	s_and_not1_b32 s19, s19, exec_lo
	s_waitcnt vmcnt(0)
	v_cmp_ne_u16_e32 vcc_lo, v53, v54
	s_and_b32 s20, vcc_lo, exec_lo
	s_delay_alu instid0(SALU_CYCLE_1)
	s_or_b32 s19, s19, s20
.LBB81_994:                             ;   in Loop: Header=BB81_995 Depth=1
	v_dual_mov_b32 v54, s1 :: v_dual_mov_b32 v53, s0
	s_and_b32 s20, exec_lo, s19
	s_mov_b64 s[0:1], s[12:13]
	s_or_b32 s18, s20, s18
	s_delay_alu instid0(SALU_CYCLE_1)
	s_and_not1_b32 exec_lo, exec_lo, s18
	s_cbranch_execz .LBB81_998
.LBB81_995:                             ; =>This Inner Loop Header: Depth=1
	s_or_b32 s19, s19, exec_lo
	s_cmp_eq_u64 s[8:9], s[0:1]
	s_cbranch_scc0 .LBB81_993
; %bb.996:                              ;   in Loop: Header=BB81_995 Depth=1
	s_mov_b64 s[0:1], s[8:9]
                                        ; implicit-def: $sgpr12_sgpr13
	s_branch .LBB81_994
.LBB81_997:
	v_mov_b32_e32 v53, 0
	v_mov_b32_e32 v54, 0
	s_branch .LBB81_1000
.LBB81_998:
	s_set_inst_prefetch_distance 0x2
	s_or_b32 exec_lo, exec_lo, s18
	v_cmp_gt_i64_e32 vcc_lo, s[8:9], v[53:54]
	s_mov_b32 s0, 0
	s_delay_alu instid0(SALU_CYCLE_1)
	v_mov_b32_e32 v54, s0
	v_cndmask_b32_e64 v53, 0, 1, vcc_lo
.LBB81_999:
	s_or_b32 exec_lo, exec_lo, s15
.LBB81_1000:
	s_delay_alu instid0(SALU_CYCLE_1) | instskip(SKIP_2) | instid1(VALU_DEP_1)
	s_or_b32 exec_lo, exec_lo, s14
	v_add_nc_u32_e32 v57, 21, v64
	s_mov_b32 s14, exec_lo
	v_cmpx_gt_u32_e64 s6, v57
	s_cbranch_execz .LBB81_1011
; %bb.1001:
	v_cmp_ne_u32_e32 vcc_lo, 1, v63
	s_cbranch_vccnz .LBB81_1008
; %bb.1002:
	v_mad_u64_u32 v[57:58], null, v51, s8, s[10:11]
	v_mul_lo_u32 v51, v51, s9
	v_mul_lo_u32 v52, v52, s8
	v_mad_u64_u32 v[59:60], null, v49, s8, s[10:11]
	v_mul_lo_u32 v61, v49, s9
	v_mul_lo_u32 v62, v50, s8
	s_mov_b32 s15, exec_lo
	s_delay_alu instid0(VALU_DEP_4) | instskip(SKIP_2) | instid1(VALU_DEP_4)
	v_add3_u32 v58, v52, v58, v51
	v_mov_b32_e32 v51, 1
	v_mov_b32_e32 v52, 0
	v_add3_u32 v60, v62, v60, v61
	s_clause 0x1
	global_load_u8 v61, v[57:58], off
	global_load_u8 v62, v[59:60], off
	s_waitcnt vmcnt(0)
	v_cmpx_eq_u16_e64 v61, v62
	s_cbranch_execz .LBB81_1010
; %bb.1003:
	s_mov_b64 s[0:1], 1
	s_mov_b32 s18, 0
                                        ; implicit-def: $sgpr19
	s_set_inst_prefetch_distance 0x1
	s_branch .LBB81_1006
	.p2align	6
.LBB81_1004:                            ;   in Loop: Header=BB81_1006 Depth=1
	v_add_co_u32 v51, vcc_lo, v57, s0
	v_add_co_ci_u32_e32 v52, vcc_lo, s1, v58, vcc_lo
	v_add_co_u32 v61, vcc_lo, v59, s0
	v_add_co_ci_u32_e32 v62, vcc_lo, s1, v60, vcc_lo
	s_add_u32 s12, s0, 1
	s_clause 0x1
	global_load_u8 v51, v[51:52], off
	global_load_u8 v52, v[61:62], off
	s_addc_u32 s13, s1, 0
	s_and_not1_b32 s19, s19, exec_lo
	s_waitcnt vmcnt(0)
	v_cmp_ne_u16_e32 vcc_lo, v51, v52
	s_and_b32 s20, vcc_lo, exec_lo
	s_delay_alu instid0(SALU_CYCLE_1)
	s_or_b32 s19, s19, s20
.LBB81_1005:                            ;   in Loop: Header=BB81_1006 Depth=1
	v_dual_mov_b32 v52, s1 :: v_dual_mov_b32 v51, s0
	s_and_b32 s20, exec_lo, s19
	s_mov_b64 s[0:1], s[12:13]
	s_or_b32 s18, s20, s18
	s_delay_alu instid0(SALU_CYCLE_1)
	s_and_not1_b32 exec_lo, exec_lo, s18
	s_cbranch_execz .LBB81_1009
.LBB81_1006:                            ; =>This Inner Loop Header: Depth=1
	s_or_b32 s19, s19, exec_lo
	s_cmp_eq_u64 s[8:9], s[0:1]
	s_cbranch_scc0 .LBB81_1004
; %bb.1007:                             ;   in Loop: Header=BB81_1006 Depth=1
	s_mov_b64 s[0:1], s[8:9]
                                        ; implicit-def: $sgpr12_sgpr13
	s_branch .LBB81_1005
.LBB81_1008:
	v_mov_b32_e32 v51, 0
	v_mov_b32_e32 v52, 0
	s_branch .LBB81_1011
.LBB81_1009:
	s_set_inst_prefetch_distance 0x2
	s_or_b32 exec_lo, exec_lo, s18
	v_cmp_gt_i64_e32 vcc_lo, s[8:9], v[51:52]
	s_mov_b32 s0, 0
	s_delay_alu instid0(SALU_CYCLE_1)
	v_mov_b32_e32 v52, s0
	v_cndmask_b32_e64 v51, 0, 1, vcc_lo
.LBB81_1010:
	s_or_b32 exec_lo, exec_lo, s15
.LBB81_1011:
	s_delay_alu instid0(SALU_CYCLE_1) | instskip(SKIP_2) | instid1(VALU_DEP_1)
	s_or_b32 exec_lo, exec_lo, s14
	v_add_nc_u32_e32 v57, 20, v64
	s_mov_b32 s14, exec_lo
	v_cmpx_gt_u32_e64 s6, v57
	s_cbranch_execz .LBB81_1022
; %bb.1012:
	v_cmp_ne_u32_e32 vcc_lo, 1, v63
	s_cbranch_vccnz .LBB81_1019
; %bb.1013:
	v_mad_u64_u32 v[57:58], null, v49, s8, s[10:11]
	v_mul_lo_u32 v49, v49, s9
	v_mul_lo_u32 v50, v50, s8
	v_mad_u64_u32 v[59:60], null, v47, s8, s[10:11]
	v_mul_lo_u32 v61, v47, s9
	v_mul_lo_u32 v62, v48, s8
	s_mov_b32 s15, exec_lo
	s_delay_alu instid0(VALU_DEP_4) | instskip(SKIP_2) | instid1(VALU_DEP_4)
	v_add3_u32 v58, v50, v58, v49
	v_mov_b32_e32 v49, 1
	v_mov_b32_e32 v50, 0
	v_add3_u32 v60, v62, v60, v61
	s_clause 0x1
	global_load_u8 v61, v[57:58], off
	global_load_u8 v62, v[59:60], off
	s_waitcnt vmcnt(0)
	v_cmpx_eq_u16_e64 v61, v62
	s_cbranch_execz .LBB81_1021
; %bb.1014:
	s_mov_b64 s[0:1], 1
	s_mov_b32 s18, 0
                                        ; implicit-def: $sgpr19
	s_set_inst_prefetch_distance 0x1
	s_branch .LBB81_1017
	.p2align	6
.LBB81_1015:                            ;   in Loop: Header=BB81_1017 Depth=1
	v_add_co_u32 v49, vcc_lo, v57, s0
	v_add_co_ci_u32_e32 v50, vcc_lo, s1, v58, vcc_lo
	v_add_co_u32 v61, vcc_lo, v59, s0
	v_add_co_ci_u32_e32 v62, vcc_lo, s1, v60, vcc_lo
	s_add_u32 s12, s0, 1
	s_clause 0x1
	global_load_u8 v49, v[49:50], off
	global_load_u8 v50, v[61:62], off
	s_addc_u32 s13, s1, 0
	s_and_not1_b32 s19, s19, exec_lo
	s_waitcnt vmcnt(0)
	v_cmp_ne_u16_e32 vcc_lo, v49, v50
	s_and_b32 s20, vcc_lo, exec_lo
	s_delay_alu instid0(SALU_CYCLE_1)
	s_or_b32 s19, s19, s20
.LBB81_1016:                            ;   in Loop: Header=BB81_1017 Depth=1
	v_dual_mov_b32 v50, s1 :: v_dual_mov_b32 v49, s0
	s_and_b32 s20, exec_lo, s19
	s_mov_b64 s[0:1], s[12:13]
	s_or_b32 s18, s20, s18
	s_delay_alu instid0(SALU_CYCLE_1)
	s_and_not1_b32 exec_lo, exec_lo, s18
	s_cbranch_execz .LBB81_1020
.LBB81_1017:                            ; =>This Inner Loop Header: Depth=1
	s_or_b32 s19, s19, exec_lo
	s_cmp_eq_u64 s[8:9], s[0:1]
	s_cbranch_scc0 .LBB81_1015
; %bb.1018:                             ;   in Loop: Header=BB81_1017 Depth=1
	s_mov_b64 s[0:1], s[8:9]
                                        ; implicit-def: $sgpr12_sgpr13
	s_branch .LBB81_1016
.LBB81_1019:
	v_mov_b32_e32 v49, 0
	v_mov_b32_e32 v50, 0
	s_branch .LBB81_1022
.LBB81_1020:
	s_set_inst_prefetch_distance 0x2
	s_or_b32 exec_lo, exec_lo, s18
	v_cmp_gt_i64_e32 vcc_lo, s[8:9], v[49:50]
	s_mov_b32 s0, 0
	s_delay_alu instid0(SALU_CYCLE_1)
	v_mov_b32_e32 v50, s0
	v_cndmask_b32_e64 v49, 0, 1, vcc_lo
.LBB81_1021:
	s_or_b32 exec_lo, exec_lo, s15
.LBB81_1022:
	s_delay_alu instid0(SALU_CYCLE_1) | instskip(SKIP_2) | instid1(VALU_DEP_1)
	s_or_b32 exec_lo, exec_lo, s14
	v_add_nc_u32_e32 v57, 19, v64
	s_mov_b32 s14, exec_lo
	v_cmpx_gt_u32_e64 s6, v57
	s_cbranch_execz .LBB81_1033
; %bb.1023:
	v_cmp_ne_u32_e32 vcc_lo, 1, v63
	s_cbranch_vccnz .LBB81_1030
; %bb.1024:
	v_mad_u64_u32 v[57:58], null, v47, s8, s[10:11]
	v_mul_lo_u32 v47, v47, s9
	v_mul_lo_u32 v48, v48, s8
	v_mad_u64_u32 v[59:60], null, v45, s8, s[10:11]
	v_mul_lo_u32 v61, v45, s9
	v_mul_lo_u32 v62, v46, s8
	s_mov_b32 s15, exec_lo
	s_delay_alu instid0(VALU_DEP_4) | instskip(SKIP_2) | instid1(VALU_DEP_4)
	v_add3_u32 v58, v48, v58, v47
	v_mov_b32_e32 v47, 1
	v_mov_b32_e32 v48, 0
	v_add3_u32 v60, v62, v60, v61
	s_clause 0x1
	global_load_u8 v61, v[57:58], off
	global_load_u8 v62, v[59:60], off
	s_waitcnt vmcnt(0)
	v_cmpx_eq_u16_e64 v61, v62
	s_cbranch_execz .LBB81_1032
; %bb.1025:
	s_mov_b64 s[0:1], 1
	s_mov_b32 s18, 0
                                        ; implicit-def: $sgpr19
	s_set_inst_prefetch_distance 0x1
	s_branch .LBB81_1028
	.p2align	6
.LBB81_1026:                            ;   in Loop: Header=BB81_1028 Depth=1
	v_add_co_u32 v47, vcc_lo, v57, s0
	v_add_co_ci_u32_e32 v48, vcc_lo, s1, v58, vcc_lo
	v_add_co_u32 v61, vcc_lo, v59, s0
	v_add_co_ci_u32_e32 v62, vcc_lo, s1, v60, vcc_lo
	s_add_u32 s12, s0, 1
	s_clause 0x1
	global_load_u8 v47, v[47:48], off
	global_load_u8 v48, v[61:62], off
	s_addc_u32 s13, s1, 0
	s_and_not1_b32 s19, s19, exec_lo
	s_waitcnt vmcnt(0)
	v_cmp_ne_u16_e32 vcc_lo, v47, v48
	s_and_b32 s20, vcc_lo, exec_lo
	s_delay_alu instid0(SALU_CYCLE_1)
	s_or_b32 s19, s19, s20
.LBB81_1027:                            ;   in Loop: Header=BB81_1028 Depth=1
	v_dual_mov_b32 v48, s1 :: v_dual_mov_b32 v47, s0
	s_and_b32 s20, exec_lo, s19
	s_mov_b64 s[0:1], s[12:13]
	s_or_b32 s18, s20, s18
	s_delay_alu instid0(SALU_CYCLE_1)
	s_and_not1_b32 exec_lo, exec_lo, s18
	s_cbranch_execz .LBB81_1031
.LBB81_1028:                            ; =>This Inner Loop Header: Depth=1
	s_or_b32 s19, s19, exec_lo
	s_cmp_eq_u64 s[8:9], s[0:1]
	s_cbranch_scc0 .LBB81_1026
; %bb.1029:                             ;   in Loop: Header=BB81_1028 Depth=1
	s_mov_b64 s[0:1], s[8:9]
                                        ; implicit-def: $sgpr12_sgpr13
	s_branch .LBB81_1027
.LBB81_1030:
	v_mov_b32_e32 v47, 0
	v_mov_b32_e32 v48, 0
	s_branch .LBB81_1033
.LBB81_1031:
	s_set_inst_prefetch_distance 0x2
	s_or_b32 exec_lo, exec_lo, s18
	v_cmp_gt_i64_e32 vcc_lo, s[8:9], v[47:48]
	s_mov_b32 s0, 0
	s_delay_alu instid0(SALU_CYCLE_1)
	v_mov_b32_e32 v48, s0
	v_cndmask_b32_e64 v47, 0, 1, vcc_lo
.LBB81_1032:
	s_or_b32 exec_lo, exec_lo, s15
.LBB81_1033:
	s_delay_alu instid0(SALU_CYCLE_1) | instskip(SKIP_2) | instid1(VALU_DEP_1)
	s_or_b32 exec_lo, exec_lo, s14
	v_add_nc_u32_e32 v57, 18, v64
	s_mov_b32 s14, exec_lo
	v_cmpx_gt_u32_e64 s6, v57
	s_cbranch_execz .LBB81_1044
; %bb.1034:
	v_cmp_ne_u32_e32 vcc_lo, 1, v63
	s_cbranch_vccnz .LBB81_1041
; %bb.1035:
	v_mad_u64_u32 v[57:58], null, v45, s8, s[10:11]
	v_mul_lo_u32 v45, v45, s9
	v_mul_lo_u32 v46, v46, s8
	v_mad_u64_u32 v[59:60], null, v43, s8, s[10:11]
	v_mul_lo_u32 v61, v43, s9
	v_mul_lo_u32 v62, v44, s8
	s_mov_b32 s15, exec_lo
	s_delay_alu instid0(VALU_DEP_4) | instskip(SKIP_2) | instid1(VALU_DEP_4)
	v_add3_u32 v58, v46, v58, v45
	v_mov_b32_e32 v45, 1
	v_mov_b32_e32 v46, 0
	v_add3_u32 v60, v62, v60, v61
	s_clause 0x1
	global_load_u8 v61, v[57:58], off
	global_load_u8 v62, v[59:60], off
	s_waitcnt vmcnt(0)
	v_cmpx_eq_u16_e64 v61, v62
	s_cbranch_execz .LBB81_1043
; %bb.1036:
	s_mov_b64 s[0:1], 1
	s_mov_b32 s18, 0
                                        ; implicit-def: $sgpr19
	s_set_inst_prefetch_distance 0x1
	s_branch .LBB81_1039
	.p2align	6
.LBB81_1037:                            ;   in Loop: Header=BB81_1039 Depth=1
	v_add_co_u32 v45, vcc_lo, v57, s0
	v_add_co_ci_u32_e32 v46, vcc_lo, s1, v58, vcc_lo
	v_add_co_u32 v61, vcc_lo, v59, s0
	v_add_co_ci_u32_e32 v62, vcc_lo, s1, v60, vcc_lo
	s_add_u32 s12, s0, 1
	s_clause 0x1
	global_load_u8 v45, v[45:46], off
	global_load_u8 v46, v[61:62], off
	s_addc_u32 s13, s1, 0
	s_and_not1_b32 s19, s19, exec_lo
	s_waitcnt vmcnt(0)
	v_cmp_ne_u16_e32 vcc_lo, v45, v46
	s_and_b32 s20, vcc_lo, exec_lo
	s_delay_alu instid0(SALU_CYCLE_1)
	s_or_b32 s19, s19, s20
.LBB81_1038:                            ;   in Loop: Header=BB81_1039 Depth=1
	v_dual_mov_b32 v46, s1 :: v_dual_mov_b32 v45, s0
	s_and_b32 s20, exec_lo, s19
	s_mov_b64 s[0:1], s[12:13]
	s_or_b32 s18, s20, s18
	s_delay_alu instid0(SALU_CYCLE_1)
	s_and_not1_b32 exec_lo, exec_lo, s18
	s_cbranch_execz .LBB81_1042
.LBB81_1039:                            ; =>This Inner Loop Header: Depth=1
	s_or_b32 s19, s19, exec_lo
	s_cmp_eq_u64 s[8:9], s[0:1]
	s_cbranch_scc0 .LBB81_1037
; %bb.1040:                             ;   in Loop: Header=BB81_1039 Depth=1
	s_mov_b64 s[0:1], s[8:9]
                                        ; implicit-def: $sgpr12_sgpr13
	s_branch .LBB81_1038
.LBB81_1041:
	v_mov_b32_e32 v45, 0
	v_mov_b32_e32 v46, 0
	s_branch .LBB81_1044
.LBB81_1042:
	s_set_inst_prefetch_distance 0x2
	s_or_b32 exec_lo, exec_lo, s18
	v_cmp_gt_i64_e32 vcc_lo, s[8:9], v[45:46]
	s_mov_b32 s0, 0
	s_delay_alu instid0(SALU_CYCLE_1)
	v_mov_b32_e32 v46, s0
	v_cndmask_b32_e64 v45, 0, 1, vcc_lo
.LBB81_1043:
	s_or_b32 exec_lo, exec_lo, s15
.LBB81_1044:
	s_delay_alu instid0(SALU_CYCLE_1) | instskip(SKIP_2) | instid1(VALU_DEP_1)
	s_or_b32 exec_lo, exec_lo, s14
	v_add_nc_u32_e32 v57, 17, v64
	s_mov_b32 s14, exec_lo
	v_cmpx_gt_u32_e64 s6, v57
	s_cbranch_execz .LBB81_1055
; %bb.1045:
	v_cmp_ne_u32_e32 vcc_lo, 1, v63
	s_cbranch_vccnz .LBB81_1052
; %bb.1046:
	v_mad_u64_u32 v[57:58], null, v43, s8, s[10:11]
	v_mul_lo_u32 v43, v43, s9
	v_mul_lo_u32 v44, v44, s8
	v_mad_u64_u32 v[59:60], null, v41, s8, s[10:11]
	v_mul_lo_u32 v61, v41, s9
	v_mul_lo_u32 v62, v42, s8
	s_mov_b32 s15, exec_lo
	s_delay_alu instid0(VALU_DEP_4) | instskip(SKIP_2) | instid1(VALU_DEP_4)
	v_add3_u32 v58, v44, v58, v43
	v_mov_b32_e32 v43, 1
	v_mov_b32_e32 v44, 0
	v_add3_u32 v60, v62, v60, v61
	s_clause 0x1
	global_load_u8 v61, v[57:58], off
	global_load_u8 v62, v[59:60], off
	s_waitcnt vmcnt(0)
	v_cmpx_eq_u16_e64 v61, v62
	s_cbranch_execz .LBB81_1054
; %bb.1047:
	s_mov_b64 s[0:1], 1
	s_mov_b32 s18, 0
                                        ; implicit-def: $sgpr19
	s_set_inst_prefetch_distance 0x1
	s_branch .LBB81_1050
	.p2align	6
.LBB81_1048:                            ;   in Loop: Header=BB81_1050 Depth=1
	v_add_co_u32 v43, vcc_lo, v57, s0
	v_add_co_ci_u32_e32 v44, vcc_lo, s1, v58, vcc_lo
	v_add_co_u32 v61, vcc_lo, v59, s0
	v_add_co_ci_u32_e32 v62, vcc_lo, s1, v60, vcc_lo
	s_add_u32 s12, s0, 1
	s_clause 0x1
	global_load_u8 v43, v[43:44], off
	global_load_u8 v44, v[61:62], off
	s_addc_u32 s13, s1, 0
	s_and_not1_b32 s19, s19, exec_lo
	s_waitcnt vmcnt(0)
	v_cmp_ne_u16_e32 vcc_lo, v43, v44
	s_and_b32 s20, vcc_lo, exec_lo
	s_delay_alu instid0(SALU_CYCLE_1)
	s_or_b32 s19, s19, s20
.LBB81_1049:                            ;   in Loop: Header=BB81_1050 Depth=1
	v_dual_mov_b32 v44, s1 :: v_dual_mov_b32 v43, s0
	s_and_b32 s20, exec_lo, s19
	s_mov_b64 s[0:1], s[12:13]
	s_or_b32 s18, s20, s18
	s_delay_alu instid0(SALU_CYCLE_1)
	s_and_not1_b32 exec_lo, exec_lo, s18
	s_cbranch_execz .LBB81_1053
.LBB81_1050:                            ; =>This Inner Loop Header: Depth=1
	s_or_b32 s19, s19, exec_lo
	s_cmp_eq_u64 s[8:9], s[0:1]
	s_cbranch_scc0 .LBB81_1048
; %bb.1051:                             ;   in Loop: Header=BB81_1050 Depth=1
	s_mov_b64 s[0:1], s[8:9]
                                        ; implicit-def: $sgpr12_sgpr13
	s_branch .LBB81_1049
.LBB81_1052:
	v_mov_b32_e32 v43, 0
	v_mov_b32_e32 v44, 0
	s_branch .LBB81_1055
.LBB81_1053:
	s_set_inst_prefetch_distance 0x2
	s_or_b32 exec_lo, exec_lo, s18
	v_cmp_gt_i64_e32 vcc_lo, s[8:9], v[43:44]
	s_mov_b32 s0, 0
	s_delay_alu instid0(SALU_CYCLE_1)
	v_mov_b32_e32 v44, s0
	v_cndmask_b32_e64 v43, 0, 1, vcc_lo
.LBB81_1054:
	s_or_b32 exec_lo, exec_lo, s15
.LBB81_1055:
	s_delay_alu instid0(SALU_CYCLE_1) | instskip(SKIP_2) | instid1(VALU_DEP_1)
	s_or_b32 exec_lo, exec_lo, s14
	v_add_nc_u32_e32 v57, 16, v64
	s_mov_b32 s14, exec_lo
	v_cmpx_gt_u32_e64 s6, v57
	s_cbranch_execz .LBB81_1066
; %bb.1056:
	v_cmp_ne_u32_e32 vcc_lo, 1, v63
	s_cbranch_vccnz .LBB81_1063
; %bb.1057:
	v_mad_u64_u32 v[57:58], null, v41, s8, s[10:11]
	v_mul_lo_u32 v41, v41, s9
	v_mul_lo_u32 v42, v42, s8
	v_mad_u64_u32 v[59:60], null, v39, s8, s[10:11]
	v_mul_lo_u32 v61, v39, s9
	v_mul_lo_u32 v62, v40, s8
	s_mov_b32 s15, exec_lo
	s_delay_alu instid0(VALU_DEP_4) | instskip(SKIP_2) | instid1(VALU_DEP_4)
	v_add3_u32 v58, v42, v58, v41
	v_mov_b32_e32 v41, 1
	v_mov_b32_e32 v42, 0
	v_add3_u32 v60, v62, v60, v61
	s_clause 0x1
	global_load_u8 v61, v[57:58], off
	global_load_u8 v62, v[59:60], off
	s_waitcnt vmcnt(0)
	v_cmpx_eq_u16_e64 v61, v62
	s_cbranch_execz .LBB81_1065
; %bb.1058:
	s_mov_b64 s[0:1], 1
	s_mov_b32 s18, 0
                                        ; implicit-def: $sgpr19
	s_set_inst_prefetch_distance 0x1
	s_branch .LBB81_1061
	.p2align	6
.LBB81_1059:                            ;   in Loop: Header=BB81_1061 Depth=1
	v_add_co_u32 v41, vcc_lo, v57, s0
	v_add_co_ci_u32_e32 v42, vcc_lo, s1, v58, vcc_lo
	v_add_co_u32 v61, vcc_lo, v59, s0
	v_add_co_ci_u32_e32 v62, vcc_lo, s1, v60, vcc_lo
	s_add_u32 s12, s0, 1
	s_clause 0x1
	global_load_u8 v41, v[41:42], off
	global_load_u8 v42, v[61:62], off
	s_addc_u32 s13, s1, 0
	s_and_not1_b32 s19, s19, exec_lo
	s_waitcnt vmcnt(0)
	v_cmp_ne_u16_e32 vcc_lo, v41, v42
	s_and_b32 s20, vcc_lo, exec_lo
	s_delay_alu instid0(SALU_CYCLE_1)
	s_or_b32 s19, s19, s20
.LBB81_1060:                            ;   in Loop: Header=BB81_1061 Depth=1
	v_dual_mov_b32 v42, s1 :: v_dual_mov_b32 v41, s0
	s_and_b32 s20, exec_lo, s19
	s_mov_b64 s[0:1], s[12:13]
	s_or_b32 s18, s20, s18
	s_delay_alu instid0(SALU_CYCLE_1)
	s_and_not1_b32 exec_lo, exec_lo, s18
	s_cbranch_execz .LBB81_1064
.LBB81_1061:                            ; =>This Inner Loop Header: Depth=1
	s_or_b32 s19, s19, exec_lo
	s_cmp_eq_u64 s[8:9], s[0:1]
	s_cbranch_scc0 .LBB81_1059
; %bb.1062:                             ;   in Loop: Header=BB81_1061 Depth=1
	s_mov_b64 s[0:1], s[8:9]
                                        ; implicit-def: $sgpr12_sgpr13
	s_branch .LBB81_1060
.LBB81_1063:
	v_mov_b32_e32 v41, 0
	v_mov_b32_e32 v42, 0
	s_branch .LBB81_1066
.LBB81_1064:
	s_set_inst_prefetch_distance 0x2
	s_or_b32 exec_lo, exec_lo, s18
	v_cmp_gt_i64_e32 vcc_lo, s[8:9], v[41:42]
	s_mov_b32 s0, 0
	s_delay_alu instid0(SALU_CYCLE_1)
	v_mov_b32_e32 v42, s0
	v_cndmask_b32_e64 v41, 0, 1, vcc_lo
.LBB81_1065:
	s_or_b32 exec_lo, exec_lo, s15
.LBB81_1066:
	s_delay_alu instid0(SALU_CYCLE_1) | instskip(SKIP_2) | instid1(VALU_DEP_1)
	s_or_b32 exec_lo, exec_lo, s14
	v_add_nc_u32_e32 v57, 15, v64
	s_mov_b32 s14, exec_lo
	v_cmpx_gt_u32_e64 s6, v57
	s_cbranch_execz .LBB81_1077
; %bb.1067:
	v_cmp_ne_u32_e32 vcc_lo, 1, v63
	s_cbranch_vccnz .LBB81_1074
; %bb.1068:
	v_mad_u64_u32 v[57:58], null, v39, s8, s[10:11]
	v_mul_lo_u32 v39, v39, s9
	v_mul_lo_u32 v40, v40, s8
	v_mad_u64_u32 v[59:60], null, v37, s8, s[10:11]
	v_mul_lo_u32 v61, v37, s9
	v_mul_lo_u32 v62, v38, s8
	s_mov_b32 s15, exec_lo
	s_delay_alu instid0(VALU_DEP_4) | instskip(SKIP_2) | instid1(VALU_DEP_4)
	v_add3_u32 v58, v40, v58, v39
	v_mov_b32_e32 v39, 1
	v_mov_b32_e32 v40, 0
	v_add3_u32 v60, v62, v60, v61
	s_clause 0x1
	global_load_u8 v61, v[57:58], off
	global_load_u8 v62, v[59:60], off
	s_waitcnt vmcnt(0)
	v_cmpx_eq_u16_e64 v61, v62
	s_cbranch_execz .LBB81_1076
; %bb.1069:
	s_mov_b64 s[0:1], 1
	s_mov_b32 s18, 0
                                        ; implicit-def: $sgpr19
	s_set_inst_prefetch_distance 0x1
	s_branch .LBB81_1072
	.p2align	6
.LBB81_1070:                            ;   in Loop: Header=BB81_1072 Depth=1
	v_add_co_u32 v39, vcc_lo, v57, s0
	v_add_co_ci_u32_e32 v40, vcc_lo, s1, v58, vcc_lo
	v_add_co_u32 v61, vcc_lo, v59, s0
	v_add_co_ci_u32_e32 v62, vcc_lo, s1, v60, vcc_lo
	s_add_u32 s12, s0, 1
	s_clause 0x1
	global_load_u8 v39, v[39:40], off
	global_load_u8 v40, v[61:62], off
	s_addc_u32 s13, s1, 0
	s_and_not1_b32 s19, s19, exec_lo
	s_waitcnt vmcnt(0)
	v_cmp_ne_u16_e32 vcc_lo, v39, v40
	s_and_b32 s20, vcc_lo, exec_lo
	s_delay_alu instid0(SALU_CYCLE_1)
	s_or_b32 s19, s19, s20
.LBB81_1071:                            ;   in Loop: Header=BB81_1072 Depth=1
	v_dual_mov_b32 v40, s1 :: v_dual_mov_b32 v39, s0
	s_and_b32 s20, exec_lo, s19
	s_mov_b64 s[0:1], s[12:13]
	s_or_b32 s18, s20, s18
	s_delay_alu instid0(SALU_CYCLE_1)
	s_and_not1_b32 exec_lo, exec_lo, s18
	s_cbranch_execz .LBB81_1075
.LBB81_1072:                            ; =>This Inner Loop Header: Depth=1
	s_or_b32 s19, s19, exec_lo
	s_cmp_eq_u64 s[8:9], s[0:1]
	s_cbranch_scc0 .LBB81_1070
; %bb.1073:                             ;   in Loop: Header=BB81_1072 Depth=1
	s_mov_b64 s[0:1], s[8:9]
                                        ; implicit-def: $sgpr12_sgpr13
	s_branch .LBB81_1071
.LBB81_1074:
	v_mov_b32_e32 v39, 0
	v_mov_b32_e32 v40, 0
	s_branch .LBB81_1077
.LBB81_1075:
	s_set_inst_prefetch_distance 0x2
	s_or_b32 exec_lo, exec_lo, s18
	v_cmp_gt_i64_e32 vcc_lo, s[8:9], v[39:40]
	s_mov_b32 s0, 0
	s_delay_alu instid0(SALU_CYCLE_1)
	v_mov_b32_e32 v40, s0
	v_cndmask_b32_e64 v39, 0, 1, vcc_lo
.LBB81_1076:
	s_or_b32 exec_lo, exec_lo, s15
.LBB81_1077:
	s_delay_alu instid0(SALU_CYCLE_1) | instskip(SKIP_2) | instid1(VALU_DEP_1)
	s_or_b32 exec_lo, exec_lo, s14
	v_add_nc_u32_e32 v57, 14, v64
	s_mov_b32 s14, exec_lo
	v_cmpx_gt_u32_e64 s6, v57
	s_cbranch_execz .LBB81_1088
; %bb.1078:
	v_cmp_ne_u32_e32 vcc_lo, 1, v63
	s_cbranch_vccnz .LBB81_1085
; %bb.1079:
	v_mad_u64_u32 v[57:58], null, v37, s8, s[10:11]
	v_mul_lo_u32 v37, v37, s9
	v_mul_lo_u32 v38, v38, s8
	v_mad_u64_u32 v[59:60], null, v35, s8, s[10:11]
	v_mul_lo_u32 v61, v35, s9
	v_mul_lo_u32 v62, v36, s8
	s_mov_b32 s15, exec_lo
	s_delay_alu instid0(VALU_DEP_4) | instskip(SKIP_2) | instid1(VALU_DEP_4)
	v_add3_u32 v58, v38, v58, v37
	v_mov_b32_e32 v37, 1
	v_mov_b32_e32 v38, 0
	v_add3_u32 v60, v62, v60, v61
	s_clause 0x1
	global_load_u8 v61, v[57:58], off
	global_load_u8 v62, v[59:60], off
	s_waitcnt vmcnt(0)
	v_cmpx_eq_u16_e64 v61, v62
	s_cbranch_execz .LBB81_1087
; %bb.1080:
	s_mov_b64 s[0:1], 1
	s_mov_b32 s18, 0
                                        ; implicit-def: $sgpr19
	s_set_inst_prefetch_distance 0x1
	s_branch .LBB81_1083
	.p2align	6
.LBB81_1081:                            ;   in Loop: Header=BB81_1083 Depth=1
	v_add_co_u32 v37, vcc_lo, v57, s0
	v_add_co_ci_u32_e32 v38, vcc_lo, s1, v58, vcc_lo
	v_add_co_u32 v61, vcc_lo, v59, s0
	v_add_co_ci_u32_e32 v62, vcc_lo, s1, v60, vcc_lo
	s_add_u32 s12, s0, 1
	s_clause 0x1
	global_load_u8 v37, v[37:38], off
	global_load_u8 v38, v[61:62], off
	s_addc_u32 s13, s1, 0
	s_and_not1_b32 s19, s19, exec_lo
	s_waitcnt vmcnt(0)
	v_cmp_ne_u16_e32 vcc_lo, v37, v38
	s_and_b32 s20, vcc_lo, exec_lo
	s_delay_alu instid0(SALU_CYCLE_1)
	s_or_b32 s19, s19, s20
.LBB81_1082:                            ;   in Loop: Header=BB81_1083 Depth=1
	v_dual_mov_b32 v38, s1 :: v_dual_mov_b32 v37, s0
	s_and_b32 s20, exec_lo, s19
	s_mov_b64 s[0:1], s[12:13]
	s_or_b32 s18, s20, s18
	s_delay_alu instid0(SALU_CYCLE_1)
	s_and_not1_b32 exec_lo, exec_lo, s18
	s_cbranch_execz .LBB81_1086
.LBB81_1083:                            ; =>This Inner Loop Header: Depth=1
	s_or_b32 s19, s19, exec_lo
	s_cmp_eq_u64 s[8:9], s[0:1]
	s_cbranch_scc0 .LBB81_1081
; %bb.1084:                             ;   in Loop: Header=BB81_1083 Depth=1
	s_mov_b64 s[0:1], s[8:9]
                                        ; implicit-def: $sgpr12_sgpr13
	s_branch .LBB81_1082
.LBB81_1085:
	v_mov_b32_e32 v37, 0
	v_mov_b32_e32 v38, 0
	s_branch .LBB81_1088
.LBB81_1086:
	s_set_inst_prefetch_distance 0x2
	s_or_b32 exec_lo, exec_lo, s18
	v_cmp_gt_i64_e32 vcc_lo, s[8:9], v[37:38]
	s_mov_b32 s0, 0
	s_delay_alu instid0(SALU_CYCLE_1)
	v_mov_b32_e32 v38, s0
	v_cndmask_b32_e64 v37, 0, 1, vcc_lo
.LBB81_1087:
	s_or_b32 exec_lo, exec_lo, s15
.LBB81_1088:
	s_delay_alu instid0(SALU_CYCLE_1) | instskip(SKIP_2) | instid1(VALU_DEP_1)
	s_or_b32 exec_lo, exec_lo, s14
	v_add_nc_u32_e32 v57, 13, v64
	s_mov_b32 s14, exec_lo
	v_cmpx_gt_u32_e64 s6, v57
	s_cbranch_execz .LBB81_1099
; %bb.1089:
	v_cmp_ne_u32_e32 vcc_lo, 1, v63
	s_cbranch_vccnz .LBB81_1096
; %bb.1090:
	v_mad_u64_u32 v[57:58], null, v35, s8, s[10:11]
	v_mul_lo_u32 v35, v35, s9
	v_mul_lo_u32 v36, v36, s8
	v_mad_u64_u32 v[59:60], null, v33, s8, s[10:11]
	v_mul_lo_u32 v61, v33, s9
	v_mul_lo_u32 v62, v34, s8
	s_mov_b32 s15, exec_lo
	s_delay_alu instid0(VALU_DEP_4) | instskip(SKIP_2) | instid1(VALU_DEP_4)
	v_add3_u32 v58, v36, v58, v35
	v_mov_b32_e32 v35, 1
	v_mov_b32_e32 v36, 0
	v_add3_u32 v60, v62, v60, v61
	s_clause 0x1
	global_load_u8 v61, v[57:58], off
	global_load_u8 v62, v[59:60], off
	s_waitcnt vmcnt(0)
	v_cmpx_eq_u16_e64 v61, v62
	s_cbranch_execz .LBB81_1098
; %bb.1091:
	s_mov_b64 s[0:1], 1
	s_mov_b32 s18, 0
                                        ; implicit-def: $sgpr19
	s_set_inst_prefetch_distance 0x1
	s_branch .LBB81_1094
	.p2align	6
.LBB81_1092:                            ;   in Loop: Header=BB81_1094 Depth=1
	v_add_co_u32 v35, vcc_lo, v57, s0
	v_add_co_ci_u32_e32 v36, vcc_lo, s1, v58, vcc_lo
	v_add_co_u32 v61, vcc_lo, v59, s0
	v_add_co_ci_u32_e32 v62, vcc_lo, s1, v60, vcc_lo
	s_add_u32 s12, s0, 1
	s_clause 0x1
	global_load_u8 v35, v[35:36], off
	global_load_u8 v36, v[61:62], off
	s_addc_u32 s13, s1, 0
	s_and_not1_b32 s19, s19, exec_lo
	s_waitcnt vmcnt(0)
	v_cmp_ne_u16_e32 vcc_lo, v35, v36
	s_and_b32 s20, vcc_lo, exec_lo
	s_delay_alu instid0(SALU_CYCLE_1)
	s_or_b32 s19, s19, s20
.LBB81_1093:                            ;   in Loop: Header=BB81_1094 Depth=1
	v_dual_mov_b32 v36, s1 :: v_dual_mov_b32 v35, s0
	s_and_b32 s20, exec_lo, s19
	s_mov_b64 s[0:1], s[12:13]
	s_or_b32 s18, s20, s18
	s_delay_alu instid0(SALU_CYCLE_1)
	s_and_not1_b32 exec_lo, exec_lo, s18
	s_cbranch_execz .LBB81_1097
.LBB81_1094:                            ; =>This Inner Loop Header: Depth=1
	s_or_b32 s19, s19, exec_lo
	s_cmp_eq_u64 s[8:9], s[0:1]
	s_cbranch_scc0 .LBB81_1092
; %bb.1095:                             ;   in Loop: Header=BB81_1094 Depth=1
	s_mov_b64 s[0:1], s[8:9]
                                        ; implicit-def: $sgpr12_sgpr13
	s_branch .LBB81_1093
.LBB81_1096:
	v_mov_b32_e32 v35, 0
	v_mov_b32_e32 v36, 0
	s_branch .LBB81_1099
.LBB81_1097:
	s_set_inst_prefetch_distance 0x2
	s_or_b32 exec_lo, exec_lo, s18
	v_cmp_gt_i64_e32 vcc_lo, s[8:9], v[35:36]
	s_mov_b32 s0, 0
	s_delay_alu instid0(SALU_CYCLE_1)
	v_mov_b32_e32 v36, s0
	v_cndmask_b32_e64 v35, 0, 1, vcc_lo
.LBB81_1098:
	s_or_b32 exec_lo, exec_lo, s15
.LBB81_1099:
	s_delay_alu instid0(SALU_CYCLE_1) | instskip(SKIP_2) | instid1(VALU_DEP_1)
	s_or_b32 exec_lo, exec_lo, s14
	v_add_nc_u32_e32 v57, 12, v64
	s_mov_b32 s14, exec_lo
	v_cmpx_gt_u32_e64 s6, v57
	s_cbranch_execz .LBB81_1110
; %bb.1100:
	v_cmp_ne_u32_e32 vcc_lo, 1, v63
	s_cbranch_vccnz .LBB81_1107
; %bb.1101:
	v_mad_u64_u32 v[57:58], null, v33, s8, s[10:11]
	v_mul_lo_u32 v33, v33, s9
	v_mul_lo_u32 v34, v34, s8
	v_mad_u64_u32 v[59:60], null, v31, s8, s[10:11]
	v_mul_lo_u32 v61, v31, s9
	v_mul_lo_u32 v62, v32, s8
	s_mov_b32 s15, exec_lo
	s_delay_alu instid0(VALU_DEP_4) | instskip(SKIP_2) | instid1(VALU_DEP_4)
	v_add3_u32 v58, v34, v58, v33
	v_mov_b32_e32 v33, 1
	v_mov_b32_e32 v34, 0
	v_add3_u32 v60, v62, v60, v61
	s_clause 0x1
	global_load_u8 v61, v[57:58], off
	global_load_u8 v62, v[59:60], off
	s_waitcnt vmcnt(0)
	v_cmpx_eq_u16_e64 v61, v62
	s_cbranch_execz .LBB81_1109
; %bb.1102:
	s_mov_b64 s[0:1], 1
	s_mov_b32 s18, 0
                                        ; implicit-def: $sgpr19
	s_set_inst_prefetch_distance 0x1
	s_branch .LBB81_1105
	.p2align	6
.LBB81_1103:                            ;   in Loop: Header=BB81_1105 Depth=1
	v_add_co_u32 v33, vcc_lo, v57, s0
	v_add_co_ci_u32_e32 v34, vcc_lo, s1, v58, vcc_lo
	v_add_co_u32 v61, vcc_lo, v59, s0
	v_add_co_ci_u32_e32 v62, vcc_lo, s1, v60, vcc_lo
	s_add_u32 s12, s0, 1
	s_clause 0x1
	global_load_u8 v33, v[33:34], off
	global_load_u8 v34, v[61:62], off
	s_addc_u32 s13, s1, 0
	s_and_not1_b32 s19, s19, exec_lo
	s_waitcnt vmcnt(0)
	v_cmp_ne_u16_e32 vcc_lo, v33, v34
	s_and_b32 s20, vcc_lo, exec_lo
	s_delay_alu instid0(SALU_CYCLE_1)
	s_or_b32 s19, s19, s20
.LBB81_1104:                            ;   in Loop: Header=BB81_1105 Depth=1
	v_dual_mov_b32 v34, s1 :: v_dual_mov_b32 v33, s0
	s_and_b32 s20, exec_lo, s19
	s_mov_b64 s[0:1], s[12:13]
	s_or_b32 s18, s20, s18
	s_delay_alu instid0(SALU_CYCLE_1)
	s_and_not1_b32 exec_lo, exec_lo, s18
	s_cbranch_execz .LBB81_1108
.LBB81_1105:                            ; =>This Inner Loop Header: Depth=1
	s_or_b32 s19, s19, exec_lo
	s_cmp_eq_u64 s[8:9], s[0:1]
	s_cbranch_scc0 .LBB81_1103
; %bb.1106:                             ;   in Loop: Header=BB81_1105 Depth=1
	s_mov_b64 s[0:1], s[8:9]
                                        ; implicit-def: $sgpr12_sgpr13
	s_branch .LBB81_1104
.LBB81_1107:
	v_mov_b32_e32 v33, 0
	v_mov_b32_e32 v34, 0
	s_branch .LBB81_1110
.LBB81_1108:
	s_set_inst_prefetch_distance 0x2
	s_or_b32 exec_lo, exec_lo, s18
	v_cmp_gt_i64_e32 vcc_lo, s[8:9], v[33:34]
	s_mov_b32 s0, 0
	s_delay_alu instid0(SALU_CYCLE_1)
	v_mov_b32_e32 v34, s0
	v_cndmask_b32_e64 v33, 0, 1, vcc_lo
.LBB81_1109:
	s_or_b32 exec_lo, exec_lo, s15
.LBB81_1110:
	s_delay_alu instid0(SALU_CYCLE_1) | instskip(SKIP_2) | instid1(VALU_DEP_1)
	s_or_b32 exec_lo, exec_lo, s14
	v_add_nc_u32_e32 v57, 11, v64
	s_mov_b32 s14, exec_lo
	v_cmpx_gt_u32_e64 s6, v57
	s_cbranch_execz .LBB81_1121
; %bb.1111:
	v_cmp_ne_u32_e32 vcc_lo, 1, v63
	s_cbranch_vccnz .LBB81_1118
; %bb.1112:
	v_mad_u64_u32 v[57:58], null, v31, s8, s[10:11]
	v_mul_lo_u32 v31, v31, s9
	v_mul_lo_u32 v32, v32, s8
	v_mad_u64_u32 v[59:60], null, v29, s8, s[10:11]
	v_mul_lo_u32 v61, v29, s9
	v_mul_lo_u32 v62, v30, s8
	s_mov_b32 s15, exec_lo
	s_delay_alu instid0(VALU_DEP_4) | instskip(SKIP_2) | instid1(VALU_DEP_4)
	v_add3_u32 v58, v32, v58, v31
	v_mov_b32_e32 v31, 1
	v_mov_b32_e32 v32, 0
	v_add3_u32 v60, v62, v60, v61
	s_clause 0x1
	global_load_u8 v61, v[57:58], off
	global_load_u8 v62, v[59:60], off
	s_waitcnt vmcnt(0)
	v_cmpx_eq_u16_e64 v61, v62
	s_cbranch_execz .LBB81_1120
; %bb.1113:
	s_mov_b64 s[0:1], 1
	s_mov_b32 s18, 0
                                        ; implicit-def: $sgpr19
	s_set_inst_prefetch_distance 0x1
	s_branch .LBB81_1116
	.p2align	6
.LBB81_1114:                            ;   in Loop: Header=BB81_1116 Depth=1
	v_add_co_u32 v31, vcc_lo, v57, s0
	v_add_co_ci_u32_e32 v32, vcc_lo, s1, v58, vcc_lo
	v_add_co_u32 v61, vcc_lo, v59, s0
	v_add_co_ci_u32_e32 v62, vcc_lo, s1, v60, vcc_lo
	s_add_u32 s12, s0, 1
	s_clause 0x1
	global_load_u8 v31, v[31:32], off
	global_load_u8 v32, v[61:62], off
	s_addc_u32 s13, s1, 0
	s_and_not1_b32 s19, s19, exec_lo
	s_waitcnt vmcnt(0)
	v_cmp_ne_u16_e32 vcc_lo, v31, v32
	s_and_b32 s20, vcc_lo, exec_lo
	s_delay_alu instid0(SALU_CYCLE_1)
	s_or_b32 s19, s19, s20
.LBB81_1115:                            ;   in Loop: Header=BB81_1116 Depth=1
	v_dual_mov_b32 v32, s1 :: v_dual_mov_b32 v31, s0
	s_and_b32 s20, exec_lo, s19
	s_mov_b64 s[0:1], s[12:13]
	s_or_b32 s18, s20, s18
	s_delay_alu instid0(SALU_CYCLE_1)
	s_and_not1_b32 exec_lo, exec_lo, s18
	s_cbranch_execz .LBB81_1119
.LBB81_1116:                            ; =>This Inner Loop Header: Depth=1
	s_or_b32 s19, s19, exec_lo
	s_cmp_eq_u64 s[8:9], s[0:1]
	s_cbranch_scc0 .LBB81_1114
; %bb.1117:                             ;   in Loop: Header=BB81_1116 Depth=1
	s_mov_b64 s[0:1], s[8:9]
                                        ; implicit-def: $sgpr12_sgpr13
	s_branch .LBB81_1115
.LBB81_1118:
	v_mov_b32_e32 v31, 0
	v_mov_b32_e32 v32, 0
	s_branch .LBB81_1121
.LBB81_1119:
	s_set_inst_prefetch_distance 0x2
	s_or_b32 exec_lo, exec_lo, s18
	v_cmp_gt_i64_e32 vcc_lo, s[8:9], v[31:32]
	s_mov_b32 s0, 0
	s_delay_alu instid0(SALU_CYCLE_1)
	v_mov_b32_e32 v32, s0
	v_cndmask_b32_e64 v31, 0, 1, vcc_lo
.LBB81_1120:
	s_or_b32 exec_lo, exec_lo, s15
.LBB81_1121:
	s_delay_alu instid0(SALU_CYCLE_1) | instskip(SKIP_2) | instid1(VALU_DEP_1)
	s_or_b32 exec_lo, exec_lo, s14
	v_add_nc_u32_e32 v57, 10, v64
	s_mov_b32 s14, exec_lo
	v_cmpx_gt_u32_e64 s6, v57
	s_cbranch_execz .LBB81_1132
; %bb.1122:
	v_cmp_ne_u32_e32 vcc_lo, 1, v63
	s_cbranch_vccnz .LBB81_1129
; %bb.1123:
	v_mad_u64_u32 v[57:58], null, v29, s8, s[10:11]
	v_mul_lo_u32 v29, v29, s9
	v_mul_lo_u32 v30, v30, s8
	v_mad_u64_u32 v[59:60], null, v27, s8, s[10:11]
	v_mul_lo_u32 v61, v27, s9
	v_mul_lo_u32 v62, v28, s8
	s_mov_b32 s15, exec_lo
	s_delay_alu instid0(VALU_DEP_4) | instskip(SKIP_2) | instid1(VALU_DEP_4)
	v_add3_u32 v58, v30, v58, v29
	v_mov_b32_e32 v29, 1
	v_mov_b32_e32 v30, 0
	v_add3_u32 v60, v62, v60, v61
	s_clause 0x1
	global_load_u8 v61, v[57:58], off
	global_load_u8 v62, v[59:60], off
	s_waitcnt vmcnt(0)
	v_cmpx_eq_u16_e64 v61, v62
	s_cbranch_execz .LBB81_1131
; %bb.1124:
	s_mov_b64 s[0:1], 1
	s_mov_b32 s18, 0
                                        ; implicit-def: $sgpr19
	s_set_inst_prefetch_distance 0x1
	s_branch .LBB81_1127
	.p2align	6
.LBB81_1125:                            ;   in Loop: Header=BB81_1127 Depth=1
	v_add_co_u32 v29, vcc_lo, v57, s0
	v_add_co_ci_u32_e32 v30, vcc_lo, s1, v58, vcc_lo
	v_add_co_u32 v61, vcc_lo, v59, s0
	v_add_co_ci_u32_e32 v62, vcc_lo, s1, v60, vcc_lo
	s_add_u32 s12, s0, 1
	s_clause 0x1
	global_load_u8 v29, v[29:30], off
	global_load_u8 v30, v[61:62], off
	s_addc_u32 s13, s1, 0
	s_and_not1_b32 s19, s19, exec_lo
	s_waitcnt vmcnt(0)
	v_cmp_ne_u16_e32 vcc_lo, v29, v30
	s_and_b32 s20, vcc_lo, exec_lo
	s_delay_alu instid0(SALU_CYCLE_1)
	s_or_b32 s19, s19, s20
.LBB81_1126:                            ;   in Loop: Header=BB81_1127 Depth=1
	v_dual_mov_b32 v30, s1 :: v_dual_mov_b32 v29, s0
	s_and_b32 s20, exec_lo, s19
	s_mov_b64 s[0:1], s[12:13]
	s_or_b32 s18, s20, s18
	s_delay_alu instid0(SALU_CYCLE_1)
	s_and_not1_b32 exec_lo, exec_lo, s18
	s_cbranch_execz .LBB81_1130
.LBB81_1127:                            ; =>This Inner Loop Header: Depth=1
	s_or_b32 s19, s19, exec_lo
	s_cmp_eq_u64 s[8:9], s[0:1]
	s_cbranch_scc0 .LBB81_1125
; %bb.1128:                             ;   in Loop: Header=BB81_1127 Depth=1
	s_mov_b64 s[0:1], s[8:9]
                                        ; implicit-def: $sgpr12_sgpr13
	s_branch .LBB81_1126
.LBB81_1129:
	v_mov_b32_e32 v29, 0
	v_mov_b32_e32 v30, 0
	s_branch .LBB81_1132
.LBB81_1130:
	s_set_inst_prefetch_distance 0x2
	s_or_b32 exec_lo, exec_lo, s18
	v_cmp_gt_i64_e32 vcc_lo, s[8:9], v[29:30]
	s_mov_b32 s0, 0
	s_delay_alu instid0(SALU_CYCLE_1)
	v_mov_b32_e32 v30, s0
	v_cndmask_b32_e64 v29, 0, 1, vcc_lo
.LBB81_1131:
	s_or_b32 exec_lo, exec_lo, s15
.LBB81_1132:
	s_delay_alu instid0(SALU_CYCLE_1) | instskip(SKIP_2) | instid1(VALU_DEP_1)
	s_or_b32 exec_lo, exec_lo, s14
	v_add_nc_u32_e32 v57, 9, v64
	s_mov_b32 s14, exec_lo
	v_cmpx_gt_u32_e64 s6, v57
	s_cbranch_execz .LBB81_1143
; %bb.1133:
	v_cmp_ne_u32_e32 vcc_lo, 1, v63
	s_cbranch_vccnz .LBB81_1140
; %bb.1134:
	v_mad_u64_u32 v[57:58], null, v27, s8, s[10:11]
	v_mul_lo_u32 v27, v27, s9
	v_mul_lo_u32 v28, v28, s8
	v_mad_u64_u32 v[59:60], null, v25, s8, s[10:11]
	v_mul_lo_u32 v61, v25, s9
	v_mul_lo_u32 v62, v26, s8
	s_mov_b32 s15, exec_lo
	s_delay_alu instid0(VALU_DEP_4) | instskip(SKIP_2) | instid1(VALU_DEP_4)
	v_add3_u32 v58, v28, v58, v27
	v_mov_b32_e32 v27, 1
	v_mov_b32_e32 v28, 0
	v_add3_u32 v60, v62, v60, v61
	s_clause 0x1
	global_load_u8 v61, v[57:58], off
	global_load_u8 v62, v[59:60], off
	s_waitcnt vmcnt(0)
	v_cmpx_eq_u16_e64 v61, v62
	s_cbranch_execz .LBB81_1142
; %bb.1135:
	s_mov_b64 s[0:1], 1
	s_mov_b32 s18, 0
                                        ; implicit-def: $sgpr19
	s_set_inst_prefetch_distance 0x1
	s_branch .LBB81_1138
	.p2align	6
.LBB81_1136:                            ;   in Loop: Header=BB81_1138 Depth=1
	v_add_co_u32 v27, vcc_lo, v57, s0
	v_add_co_ci_u32_e32 v28, vcc_lo, s1, v58, vcc_lo
	v_add_co_u32 v61, vcc_lo, v59, s0
	v_add_co_ci_u32_e32 v62, vcc_lo, s1, v60, vcc_lo
	s_add_u32 s12, s0, 1
	s_clause 0x1
	global_load_u8 v27, v[27:28], off
	global_load_u8 v28, v[61:62], off
	s_addc_u32 s13, s1, 0
	s_and_not1_b32 s19, s19, exec_lo
	s_waitcnt vmcnt(0)
	v_cmp_ne_u16_e32 vcc_lo, v27, v28
	s_and_b32 s20, vcc_lo, exec_lo
	s_delay_alu instid0(SALU_CYCLE_1)
	s_or_b32 s19, s19, s20
.LBB81_1137:                            ;   in Loop: Header=BB81_1138 Depth=1
	v_dual_mov_b32 v28, s1 :: v_dual_mov_b32 v27, s0
	s_and_b32 s20, exec_lo, s19
	s_mov_b64 s[0:1], s[12:13]
	s_or_b32 s18, s20, s18
	s_delay_alu instid0(SALU_CYCLE_1)
	s_and_not1_b32 exec_lo, exec_lo, s18
	s_cbranch_execz .LBB81_1141
.LBB81_1138:                            ; =>This Inner Loop Header: Depth=1
	s_or_b32 s19, s19, exec_lo
	s_cmp_eq_u64 s[8:9], s[0:1]
	s_cbranch_scc0 .LBB81_1136
; %bb.1139:                             ;   in Loop: Header=BB81_1138 Depth=1
	s_mov_b64 s[0:1], s[8:9]
                                        ; implicit-def: $sgpr12_sgpr13
	s_branch .LBB81_1137
.LBB81_1140:
	v_mov_b32_e32 v27, 0
	v_mov_b32_e32 v28, 0
	s_branch .LBB81_1143
.LBB81_1141:
	s_set_inst_prefetch_distance 0x2
	s_or_b32 exec_lo, exec_lo, s18
	v_cmp_gt_i64_e32 vcc_lo, s[8:9], v[27:28]
	s_mov_b32 s0, 0
	s_delay_alu instid0(SALU_CYCLE_1)
	v_mov_b32_e32 v28, s0
	v_cndmask_b32_e64 v27, 0, 1, vcc_lo
.LBB81_1142:
	s_or_b32 exec_lo, exec_lo, s15
.LBB81_1143:
	s_delay_alu instid0(SALU_CYCLE_1) | instskip(SKIP_2) | instid1(VALU_DEP_1)
	s_or_b32 exec_lo, exec_lo, s14
	v_add_nc_u32_e32 v57, 8, v64
	s_mov_b32 s14, exec_lo
	v_cmpx_gt_u32_e64 s6, v57
	s_cbranch_execz .LBB81_1154
; %bb.1144:
	v_cmp_ne_u32_e32 vcc_lo, 1, v63
	s_cbranch_vccnz .LBB81_1151
; %bb.1145:
	v_mad_u64_u32 v[57:58], null, v25, s8, s[10:11]
	v_mul_lo_u32 v25, v25, s9
	v_mul_lo_u32 v26, v26, s8
	v_mad_u64_u32 v[59:60], null, v23, s8, s[10:11]
	v_mul_lo_u32 v61, v23, s9
	v_mul_lo_u32 v62, v24, s8
	s_mov_b32 s15, exec_lo
	s_delay_alu instid0(VALU_DEP_4) | instskip(SKIP_2) | instid1(VALU_DEP_4)
	v_add3_u32 v58, v26, v58, v25
	v_mov_b32_e32 v25, 1
	v_mov_b32_e32 v26, 0
	v_add3_u32 v60, v62, v60, v61
	s_clause 0x1
	global_load_u8 v61, v[57:58], off
	global_load_u8 v62, v[59:60], off
	s_waitcnt vmcnt(0)
	v_cmpx_eq_u16_e64 v61, v62
	s_cbranch_execz .LBB81_1153
; %bb.1146:
	s_mov_b64 s[0:1], 1
	s_mov_b32 s18, 0
                                        ; implicit-def: $sgpr19
	s_set_inst_prefetch_distance 0x1
	s_branch .LBB81_1149
	.p2align	6
.LBB81_1147:                            ;   in Loop: Header=BB81_1149 Depth=1
	v_add_co_u32 v25, vcc_lo, v57, s0
	v_add_co_ci_u32_e32 v26, vcc_lo, s1, v58, vcc_lo
	v_add_co_u32 v61, vcc_lo, v59, s0
	v_add_co_ci_u32_e32 v62, vcc_lo, s1, v60, vcc_lo
	s_add_u32 s12, s0, 1
	s_clause 0x1
	global_load_u8 v25, v[25:26], off
	global_load_u8 v26, v[61:62], off
	s_addc_u32 s13, s1, 0
	s_and_not1_b32 s19, s19, exec_lo
	s_waitcnt vmcnt(0)
	v_cmp_ne_u16_e32 vcc_lo, v25, v26
	s_and_b32 s20, vcc_lo, exec_lo
	s_delay_alu instid0(SALU_CYCLE_1)
	s_or_b32 s19, s19, s20
.LBB81_1148:                            ;   in Loop: Header=BB81_1149 Depth=1
	v_dual_mov_b32 v26, s1 :: v_dual_mov_b32 v25, s0
	s_and_b32 s20, exec_lo, s19
	s_mov_b64 s[0:1], s[12:13]
	s_or_b32 s18, s20, s18
	s_delay_alu instid0(SALU_CYCLE_1)
	s_and_not1_b32 exec_lo, exec_lo, s18
	s_cbranch_execz .LBB81_1152
.LBB81_1149:                            ; =>This Inner Loop Header: Depth=1
	s_or_b32 s19, s19, exec_lo
	s_cmp_eq_u64 s[8:9], s[0:1]
	s_cbranch_scc0 .LBB81_1147
; %bb.1150:                             ;   in Loop: Header=BB81_1149 Depth=1
	s_mov_b64 s[0:1], s[8:9]
                                        ; implicit-def: $sgpr12_sgpr13
	s_branch .LBB81_1148
.LBB81_1151:
	v_mov_b32_e32 v25, 0
	v_mov_b32_e32 v26, 0
	s_branch .LBB81_1154
.LBB81_1152:
	s_set_inst_prefetch_distance 0x2
	s_or_b32 exec_lo, exec_lo, s18
	v_cmp_gt_i64_e32 vcc_lo, s[8:9], v[25:26]
	s_mov_b32 s0, 0
	s_delay_alu instid0(SALU_CYCLE_1)
	v_mov_b32_e32 v26, s0
	v_cndmask_b32_e64 v25, 0, 1, vcc_lo
.LBB81_1153:
	s_or_b32 exec_lo, exec_lo, s15
.LBB81_1154:
	s_delay_alu instid0(SALU_CYCLE_1) | instskip(SKIP_2) | instid1(VALU_DEP_1)
	s_or_b32 exec_lo, exec_lo, s14
	v_add_nc_u32_e32 v57, 7, v64
	s_mov_b32 s14, exec_lo
	v_cmpx_gt_u32_e64 s6, v57
	s_cbranch_execz .LBB81_1165
; %bb.1155:
	v_cmp_ne_u32_e32 vcc_lo, 1, v63
	s_cbranch_vccnz .LBB81_1162
; %bb.1156:
	v_mad_u64_u32 v[57:58], null, v23, s8, s[10:11]
	v_mul_lo_u32 v23, v23, s9
	v_mul_lo_u32 v24, v24, s8
	v_mad_u64_u32 v[59:60], null, v21, s8, s[10:11]
	v_mul_lo_u32 v61, v21, s9
	v_mul_lo_u32 v62, v22, s8
	s_mov_b32 s15, exec_lo
	s_delay_alu instid0(VALU_DEP_4) | instskip(SKIP_2) | instid1(VALU_DEP_4)
	v_add3_u32 v58, v24, v58, v23
	v_mov_b32_e32 v23, 1
	v_mov_b32_e32 v24, 0
	v_add3_u32 v60, v62, v60, v61
	s_clause 0x1
	global_load_u8 v61, v[57:58], off
	global_load_u8 v62, v[59:60], off
	s_waitcnt vmcnt(0)
	v_cmpx_eq_u16_e64 v61, v62
	s_cbranch_execz .LBB81_1164
; %bb.1157:
	s_mov_b64 s[0:1], 1
	s_mov_b32 s18, 0
                                        ; implicit-def: $sgpr19
	s_set_inst_prefetch_distance 0x1
	s_branch .LBB81_1160
	.p2align	6
.LBB81_1158:                            ;   in Loop: Header=BB81_1160 Depth=1
	v_add_co_u32 v23, vcc_lo, v57, s0
	v_add_co_ci_u32_e32 v24, vcc_lo, s1, v58, vcc_lo
	v_add_co_u32 v61, vcc_lo, v59, s0
	v_add_co_ci_u32_e32 v62, vcc_lo, s1, v60, vcc_lo
	s_add_u32 s12, s0, 1
	s_clause 0x1
	global_load_u8 v23, v[23:24], off
	global_load_u8 v24, v[61:62], off
	s_addc_u32 s13, s1, 0
	s_and_not1_b32 s19, s19, exec_lo
	s_waitcnt vmcnt(0)
	v_cmp_ne_u16_e32 vcc_lo, v23, v24
	s_and_b32 s20, vcc_lo, exec_lo
	s_delay_alu instid0(SALU_CYCLE_1)
	s_or_b32 s19, s19, s20
.LBB81_1159:                            ;   in Loop: Header=BB81_1160 Depth=1
	v_dual_mov_b32 v24, s1 :: v_dual_mov_b32 v23, s0
	s_and_b32 s20, exec_lo, s19
	s_mov_b64 s[0:1], s[12:13]
	s_or_b32 s18, s20, s18
	s_delay_alu instid0(SALU_CYCLE_1)
	s_and_not1_b32 exec_lo, exec_lo, s18
	s_cbranch_execz .LBB81_1163
.LBB81_1160:                            ; =>This Inner Loop Header: Depth=1
	s_or_b32 s19, s19, exec_lo
	s_cmp_eq_u64 s[8:9], s[0:1]
	s_cbranch_scc0 .LBB81_1158
; %bb.1161:                             ;   in Loop: Header=BB81_1160 Depth=1
	s_mov_b64 s[0:1], s[8:9]
                                        ; implicit-def: $sgpr12_sgpr13
	s_branch .LBB81_1159
.LBB81_1162:
	v_mov_b32_e32 v23, 0
	v_mov_b32_e32 v24, 0
	s_branch .LBB81_1165
.LBB81_1163:
	s_set_inst_prefetch_distance 0x2
	s_or_b32 exec_lo, exec_lo, s18
	v_cmp_gt_i64_e32 vcc_lo, s[8:9], v[23:24]
	s_mov_b32 s0, 0
	s_delay_alu instid0(SALU_CYCLE_1)
	v_mov_b32_e32 v24, s0
	v_cndmask_b32_e64 v23, 0, 1, vcc_lo
.LBB81_1164:
	s_or_b32 exec_lo, exec_lo, s15
.LBB81_1165:
	s_delay_alu instid0(SALU_CYCLE_1) | instskip(SKIP_2) | instid1(VALU_DEP_1)
	s_or_b32 exec_lo, exec_lo, s14
	v_add_nc_u32_e32 v57, 6, v64
	s_mov_b32 s14, exec_lo
	v_cmpx_gt_u32_e64 s6, v57
	s_cbranch_execz .LBB81_1176
; %bb.1166:
	v_cmp_ne_u32_e32 vcc_lo, 1, v63
	s_cbranch_vccnz .LBB81_1173
; %bb.1167:
	v_mad_u64_u32 v[57:58], null, v21, s8, s[10:11]
	v_mul_lo_u32 v21, v21, s9
	v_mul_lo_u32 v22, v22, s8
	v_mad_u64_u32 v[59:60], null, v19, s8, s[10:11]
	v_mul_lo_u32 v61, v19, s9
	v_mul_lo_u32 v62, v20, s8
	s_mov_b32 s15, exec_lo
	s_delay_alu instid0(VALU_DEP_4) | instskip(SKIP_2) | instid1(VALU_DEP_4)
	v_add3_u32 v58, v22, v58, v21
	v_mov_b32_e32 v21, 1
	v_mov_b32_e32 v22, 0
	v_add3_u32 v60, v62, v60, v61
	s_clause 0x1
	global_load_u8 v61, v[57:58], off
	global_load_u8 v62, v[59:60], off
	s_waitcnt vmcnt(0)
	v_cmpx_eq_u16_e64 v61, v62
	s_cbranch_execz .LBB81_1175
; %bb.1168:
	s_mov_b64 s[0:1], 1
	s_mov_b32 s18, 0
                                        ; implicit-def: $sgpr19
	s_set_inst_prefetch_distance 0x1
	s_branch .LBB81_1171
	.p2align	6
.LBB81_1169:                            ;   in Loop: Header=BB81_1171 Depth=1
	v_add_co_u32 v21, vcc_lo, v57, s0
	v_add_co_ci_u32_e32 v22, vcc_lo, s1, v58, vcc_lo
	v_add_co_u32 v61, vcc_lo, v59, s0
	v_add_co_ci_u32_e32 v62, vcc_lo, s1, v60, vcc_lo
	s_add_u32 s12, s0, 1
	s_clause 0x1
	global_load_u8 v21, v[21:22], off
	global_load_u8 v22, v[61:62], off
	s_addc_u32 s13, s1, 0
	s_and_not1_b32 s19, s19, exec_lo
	s_waitcnt vmcnt(0)
	v_cmp_ne_u16_e32 vcc_lo, v21, v22
	s_and_b32 s20, vcc_lo, exec_lo
	s_delay_alu instid0(SALU_CYCLE_1)
	s_or_b32 s19, s19, s20
.LBB81_1170:                            ;   in Loop: Header=BB81_1171 Depth=1
	v_dual_mov_b32 v22, s1 :: v_dual_mov_b32 v21, s0
	s_and_b32 s20, exec_lo, s19
	s_mov_b64 s[0:1], s[12:13]
	s_or_b32 s18, s20, s18
	s_delay_alu instid0(SALU_CYCLE_1)
	s_and_not1_b32 exec_lo, exec_lo, s18
	s_cbranch_execz .LBB81_1174
.LBB81_1171:                            ; =>This Inner Loop Header: Depth=1
	s_or_b32 s19, s19, exec_lo
	s_cmp_eq_u64 s[8:9], s[0:1]
	s_cbranch_scc0 .LBB81_1169
; %bb.1172:                             ;   in Loop: Header=BB81_1171 Depth=1
	s_mov_b64 s[0:1], s[8:9]
                                        ; implicit-def: $sgpr12_sgpr13
	s_branch .LBB81_1170
.LBB81_1173:
	v_mov_b32_e32 v21, 0
	v_mov_b32_e32 v22, 0
	s_branch .LBB81_1176
.LBB81_1174:
	s_set_inst_prefetch_distance 0x2
	s_or_b32 exec_lo, exec_lo, s18
	v_cmp_gt_i64_e32 vcc_lo, s[8:9], v[21:22]
	s_mov_b32 s0, 0
	s_delay_alu instid0(SALU_CYCLE_1)
	v_mov_b32_e32 v22, s0
	v_cndmask_b32_e64 v21, 0, 1, vcc_lo
.LBB81_1175:
	s_or_b32 exec_lo, exec_lo, s15
.LBB81_1176:
	s_delay_alu instid0(SALU_CYCLE_1) | instskip(SKIP_2) | instid1(VALU_DEP_1)
	s_or_b32 exec_lo, exec_lo, s14
	v_add_nc_u32_e32 v57, 5, v64
	s_mov_b32 s14, exec_lo
	v_cmpx_gt_u32_e64 s6, v57
	s_cbranch_execz .LBB81_1187
; %bb.1177:
	v_cmp_ne_u32_e32 vcc_lo, 1, v63
	s_cbranch_vccnz .LBB81_1184
; %bb.1178:
	v_mad_u64_u32 v[57:58], null, v19, s8, s[10:11]
	v_mul_lo_u32 v19, v19, s9
	v_mul_lo_u32 v20, v20, s8
	v_mad_u64_u32 v[59:60], null, v17, s8, s[10:11]
	v_mul_lo_u32 v61, v17, s9
	v_mul_lo_u32 v62, v18, s8
	s_mov_b32 s15, exec_lo
	s_delay_alu instid0(VALU_DEP_4) | instskip(SKIP_2) | instid1(VALU_DEP_4)
	v_add3_u32 v58, v20, v58, v19
	v_mov_b32_e32 v19, 1
	v_mov_b32_e32 v20, 0
	v_add3_u32 v60, v62, v60, v61
	s_clause 0x1
	global_load_u8 v61, v[57:58], off
	global_load_u8 v62, v[59:60], off
	s_waitcnt vmcnt(0)
	v_cmpx_eq_u16_e64 v61, v62
	s_cbranch_execz .LBB81_1186
; %bb.1179:
	s_mov_b64 s[0:1], 1
	s_mov_b32 s18, 0
                                        ; implicit-def: $sgpr19
	s_set_inst_prefetch_distance 0x1
	s_branch .LBB81_1182
	.p2align	6
.LBB81_1180:                            ;   in Loop: Header=BB81_1182 Depth=1
	v_add_co_u32 v19, vcc_lo, v57, s0
	v_add_co_ci_u32_e32 v20, vcc_lo, s1, v58, vcc_lo
	v_add_co_u32 v61, vcc_lo, v59, s0
	v_add_co_ci_u32_e32 v62, vcc_lo, s1, v60, vcc_lo
	s_add_u32 s12, s0, 1
	s_clause 0x1
	global_load_u8 v19, v[19:20], off
	global_load_u8 v20, v[61:62], off
	s_addc_u32 s13, s1, 0
	s_and_not1_b32 s19, s19, exec_lo
	s_waitcnt vmcnt(0)
	v_cmp_ne_u16_e32 vcc_lo, v19, v20
	s_and_b32 s20, vcc_lo, exec_lo
	s_delay_alu instid0(SALU_CYCLE_1)
	s_or_b32 s19, s19, s20
.LBB81_1181:                            ;   in Loop: Header=BB81_1182 Depth=1
	v_dual_mov_b32 v20, s1 :: v_dual_mov_b32 v19, s0
	s_and_b32 s20, exec_lo, s19
	s_mov_b64 s[0:1], s[12:13]
	s_or_b32 s18, s20, s18
	s_delay_alu instid0(SALU_CYCLE_1)
	s_and_not1_b32 exec_lo, exec_lo, s18
	s_cbranch_execz .LBB81_1185
.LBB81_1182:                            ; =>This Inner Loop Header: Depth=1
	s_or_b32 s19, s19, exec_lo
	s_cmp_eq_u64 s[8:9], s[0:1]
	s_cbranch_scc0 .LBB81_1180
; %bb.1183:                             ;   in Loop: Header=BB81_1182 Depth=1
	s_mov_b64 s[0:1], s[8:9]
                                        ; implicit-def: $sgpr12_sgpr13
	s_branch .LBB81_1181
.LBB81_1184:
	v_mov_b32_e32 v19, 0
	v_mov_b32_e32 v20, 0
	s_branch .LBB81_1187
.LBB81_1185:
	s_set_inst_prefetch_distance 0x2
	s_or_b32 exec_lo, exec_lo, s18
	v_cmp_gt_i64_e32 vcc_lo, s[8:9], v[19:20]
	s_mov_b32 s0, 0
	s_delay_alu instid0(SALU_CYCLE_1)
	v_mov_b32_e32 v20, s0
	v_cndmask_b32_e64 v19, 0, 1, vcc_lo
.LBB81_1186:
	s_or_b32 exec_lo, exec_lo, s15
.LBB81_1187:
	s_delay_alu instid0(SALU_CYCLE_1) | instskip(SKIP_2) | instid1(VALU_DEP_1)
	s_or_b32 exec_lo, exec_lo, s14
	v_add_nc_u32_e32 v57, 4, v64
	s_mov_b32 s14, exec_lo
	v_cmpx_gt_u32_e64 s6, v57
	s_cbranch_execz .LBB81_1198
; %bb.1188:
	v_cmp_ne_u32_e32 vcc_lo, 1, v63
	s_cbranch_vccnz .LBB81_1195
; %bb.1189:
	v_mad_u64_u32 v[57:58], null, v17, s8, s[10:11]
	v_mul_lo_u32 v17, v17, s9
	v_mul_lo_u32 v18, v18, s8
	v_mad_u64_u32 v[59:60], null, v15, s8, s[10:11]
	v_mul_lo_u32 v61, v15, s9
	v_mul_lo_u32 v62, v16, s8
	s_mov_b32 s15, exec_lo
	s_delay_alu instid0(VALU_DEP_4) | instskip(SKIP_2) | instid1(VALU_DEP_4)
	v_add3_u32 v58, v18, v58, v17
	v_mov_b32_e32 v17, 1
	v_mov_b32_e32 v18, 0
	v_add3_u32 v60, v62, v60, v61
	s_clause 0x1
	global_load_u8 v61, v[57:58], off
	global_load_u8 v62, v[59:60], off
	s_waitcnt vmcnt(0)
	v_cmpx_eq_u16_e64 v61, v62
	s_cbranch_execz .LBB81_1197
; %bb.1190:
	s_mov_b64 s[0:1], 1
	s_mov_b32 s18, 0
                                        ; implicit-def: $sgpr19
	s_set_inst_prefetch_distance 0x1
	s_branch .LBB81_1193
	.p2align	6
.LBB81_1191:                            ;   in Loop: Header=BB81_1193 Depth=1
	v_add_co_u32 v17, vcc_lo, v57, s0
	v_add_co_ci_u32_e32 v18, vcc_lo, s1, v58, vcc_lo
	v_add_co_u32 v61, vcc_lo, v59, s0
	v_add_co_ci_u32_e32 v62, vcc_lo, s1, v60, vcc_lo
	s_add_u32 s12, s0, 1
	s_clause 0x1
	global_load_u8 v17, v[17:18], off
	global_load_u8 v18, v[61:62], off
	s_addc_u32 s13, s1, 0
	s_and_not1_b32 s19, s19, exec_lo
	s_waitcnt vmcnt(0)
	v_cmp_ne_u16_e32 vcc_lo, v17, v18
	s_and_b32 s20, vcc_lo, exec_lo
	s_delay_alu instid0(SALU_CYCLE_1)
	s_or_b32 s19, s19, s20
.LBB81_1192:                            ;   in Loop: Header=BB81_1193 Depth=1
	v_dual_mov_b32 v18, s1 :: v_dual_mov_b32 v17, s0
	s_and_b32 s20, exec_lo, s19
	s_mov_b64 s[0:1], s[12:13]
	s_or_b32 s18, s20, s18
	s_delay_alu instid0(SALU_CYCLE_1)
	s_and_not1_b32 exec_lo, exec_lo, s18
	s_cbranch_execz .LBB81_1196
.LBB81_1193:                            ; =>This Inner Loop Header: Depth=1
	s_or_b32 s19, s19, exec_lo
	s_cmp_eq_u64 s[8:9], s[0:1]
	s_cbranch_scc0 .LBB81_1191
; %bb.1194:                             ;   in Loop: Header=BB81_1193 Depth=1
	s_mov_b64 s[0:1], s[8:9]
                                        ; implicit-def: $sgpr12_sgpr13
	s_branch .LBB81_1192
.LBB81_1195:
	v_mov_b32_e32 v17, 0
	v_mov_b32_e32 v18, 0
	s_branch .LBB81_1198
.LBB81_1196:
	s_set_inst_prefetch_distance 0x2
	s_or_b32 exec_lo, exec_lo, s18
	v_cmp_gt_i64_e32 vcc_lo, s[8:9], v[17:18]
	s_mov_b32 s0, 0
	s_delay_alu instid0(SALU_CYCLE_1)
	v_mov_b32_e32 v18, s0
	v_cndmask_b32_e64 v17, 0, 1, vcc_lo
.LBB81_1197:
	s_or_b32 exec_lo, exec_lo, s15
.LBB81_1198:
	s_delay_alu instid0(SALU_CYCLE_1) | instskip(SKIP_2) | instid1(VALU_DEP_1)
	s_or_b32 exec_lo, exec_lo, s14
	v_add_nc_u32_e32 v57, 3, v64
	s_mov_b32 s14, exec_lo
	v_cmpx_gt_u32_e64 s6, v57
	s_cbranch_execz .LBB81_1209
; %bb.1199:
	v_cmp_ne_u32_e32 vcc_lo, 1, v63
	s_cbranch_vccnz .LBB81_1206
; %bb.1200:
	v_mad_u64_u32 v[57:58], null, v15, s8, s[10:11]
	v_mul_lo_u32 v15, v15, s9
	v_mul_lo_u32 v16, v16, s8
	v_mad_u64_u32 v[59:60], null, v13, s8, s[10:11]
	v_mul_lo_u32 v61, v13, s9
	v_mul_lo_u32 v62, v14, s8
	s_mov_b32 s15, exec_lo
	s_delay_alu instid0(VALU_DEP_4) | instskip(SKIP_2) | instid1(VALU_DEP_4)
	v_add3_u32 v58, v16, v58, v15
	v_mov_b32_e32 v15, 1
	v_mov_b32_e32 v16, 0
	v_add3_u32 v60, v62, v60, v61
	s_clause 0x1
	global_load_u8 v61, v[57:58], off
	global_load_u8 v62, v[59:60], off
	s_waitcnt vmcnt(0)
	v_cmpx_eq_u16_e64 v61, v62
	s_cbranch_execz .LBB81_1208
; %bb.1201:
	s_mov_b64 s[0:1], 1
	s_mov_b32 s18, 0
                                        ; implicit-def: $sgpr19
	s_set_inst_prefetch_distance 0x1
	s_branch .LBB81_1204
	.p2align	6
.LBB81_1202:                            ;   in Loop: Header=BB81_1204 Depth=1
	v_add_co_u32 v15, vcc_lo, v57, s0
	v_add_co_ci_u32_e32 v16, vcc_lo, s1, v58, vcc_lo
	v_add_co_u32 v61, vcc_lo, v59, s0
	v_add_co_ci_u32_e32 v62, vcc_lo, s1, v60, vcc_lo
	s_add_u32 s12, s0, 1
	s_clause 0x1
	global_load_u8 v15, v[15:16], off
	global_load_u8 v16, v[61:62], off
	s_addc_u32 s13, s1, 0
	s_and_not1_b32 s19, s19, exec_lo
	s_waitcnt vmcnt(0)
	v_cmp_ne_u16_e32 vcc_lo, v15, v16
	s_and_b32 s20, vcc_lo, exec_lo
	s_delay_alu instid0(SALU_CYCLE_1)
	s_or_b32 s19, s19, s20
.LBB81_1203:                            ;   in Loop: Header=BB81_1204 Depth=1
	v_dual_mov_b32 v16, s1 :: v_dual_mov_b32 v15, s0
	s_and_b32 s20, exec_lo, s19
	s_mov_b64 s[0:1], s[12:13]
	s_or_b32 s18, s20, s18
	s_delay_alu instid0(SALU_CYCLE_1)
	s_and_not1_b32 exec_lo, exec_lo, s18
	s_cbranch_execz .LBB81_1207
.LBB81_1204:                            ; =>This Inner Loop Header: Depth=1
	s_or_b32 s19, s19, exec_lo
	s_cmp_eq_u64 s[8:9], s[0:1]
	s_cbranch_scc0 .LBB81_1202
; %bb.1205:                             ;   in Loop: Header=BB81_1204 Depth=1
	s_mov_b64 s[0:1], s[8:9]
                                        ; implicit-def: $sgpr12_sgpr13
	s_branch .LBB81_1203
.LBB81_1206:
	v_mov_b32_e32 v15, 0
	v_mov_b32_e32 v16, 0
	s_branch .LBB81_1209
.LBB81_1207:
	s_set_inst_prefetch_distance 0x2
	s_or_b32 exec_lo, exec_lo, s18
	v_cmp_gt_i64_e32 vcc_lo, s[8:9], v[15:16]
	s_mov_b32 s0, 0
	s_delay_alu instid0(SALU_CYCLE_1)
	v_mov_b32_e32 v16, s0
	v_cndmask_b32_e64 v15, 0, 1, vcc_lo
.LBB81_1208:
	s_or_b32 exec_lo, exec_lo, s15
.LBB81_1209:
	s_delay_alu instid0(SALU_CYCLE_1) | instskip(SKIP_2) | instid1(VALU_DEP_1)
	s_or_b32 exec_lo, exec_lo, s14
	v_add_nc_u32_e32 v57, 2, v64
	s_mov_b32 s14, exec_lo
	v_cmpx_gt_u32_e64 s6, v57
	s_cbranch_execz .LBB81_1220
; %bb.1210:
	v_cmp_ne_u32_e32 vcc_lo, 1, v63
	s_cbranch_vccnz .LBB81_1217
; %bb.1211:
	v_mad_u64_u32 v[57:58], null, v13, s8, s[10:11]
	v_mul_lo_u32 v13, v13, s9
	v_mul_lo_u32 v14, v14, s8
	v_mad_u64_u32 v[59:60], null, v3, s8, s[10:11]
	v_mul_lo_u32 v61, v3, s9
	v_mul_lo_u32 v62, v4, s8
	s_mov_b32 s15, exec_lo
	s_delay_alu instid0(VALU_DEP_4) | instskip(SKIP_2) | instid1(VALU_DEP_4)
	v_add3_u32 v58, v14, v58, v13
	v_mov_b32_e32 v13, 1
	v_mov_b32_e32 v14, 0
	v_add3_u32 v60, v62, v60, v61
	s_clause 0x1
	global_load_u8 v61, v[57:58], off
	global_load_u8 v62, v[59:60], off
	s_waitcnt vmcnt(0)
	v_cmpx_eq_u16_e64 v61, v62
	s_cbranch_execz .LBB81_1219
; %bb.1212:
	s_mov_b64 s[0:1], 1
	s_mov_b32 s18, 0
                                        ; implicit-def: $sgpr19
	s_set_inst_prefetch_distance 0x1
	s_branch .LBB81_1215
	.p2align	6
.LBB81_1213:                            ;   in Loop: Header=BB81_1215 Depth=1
	v_add_co_u32 v13, vcc_lo, v57, s0
	v_add_co_ci_u32_e32 v14, vcc_lo, s1, v58, vcc_lo
	v_add_co_u32 v61, vcc_lo, v59, s0
	v_add_co_ci_u32_e32 v62, vcc_lo, s1, v60, vcc_lo
	s_add_u32 s12, s0, 1
	s_clause 0x1
	global_load_u8 v13, v[13:14], off
	global_load_u8 v14, v[61:62], off
	s_addc_u32 s13, s1, 0
	s_and_not1_b32 s19, s19, exec_lo
	s_waitcnt vmcnt(0)
	v_cmp_ne_u16_e32 vcc_lo, v13, v14
	s_and_b32 s20, vcc_lo, exec_lo
	s_delay_alu instid0(SALU_CYCLE_1)
	s_or_b32 s19, s19, s20
.LBB81_1214:                            ;   in Loop: Header=BB81_1215 Depth=1
	v_dual_mov_b32 v14, s1 :: v_dual_mov_b32 v13, s0
	s_and_b32 s20, exec_lo, s19
	s_mov_b64 s[0:1], s[12:13]
	s_or_b32 s18, s20, s18
	s_delay_alu instid0(SALU_CYCLE_1)
	s_and_not1_b32 exec_lo, exec_lo, s18
	s_cbranch_execz .LBB81_1218
.LBB81_1215:                            ; =>This Inner Loop Header: Depth=1
	s_or_b32 s19, s19, exec_lo
	s_cmp_eq_u64 s[8:9], s[0:1]
	s_cbranch_scc0 .LBB81_1213
; %bb.1216:                             ;   in Loop: Header=BB81_1215 Depth=1
	s_mov_b64 s[0:1], s[8:9]
                                        ; implicit-def: $sgpr12_sgpr13
	s_branch .LBB81_1214
.LBB81_1217:
	v_mov_b32_e32 v13, 0
	v_mov_b32_e32 v14, 0
	s_branch .LBB81_1220
.LBB81_1218:
	s_set_inst_prefetch_distance 0x2
	s_or_b32 exec_lo, exec_lo, s18
	v_cmp_gt_i64_e32 vcc_lo, s[8:9], v[13:14]
	s_mov_b32 s0, 0
	s_delay_alu instid0(SALU_CYCLE_1)
	v_mov_b32_e32 v14, s0
	v_cndmask_b32_e64 v13, 0, 1, vcc_lo
.LBB81_1219:
	s_or_b32 exec_lo, exec_lo, s15
.LBB81_1220:
	s_delay_alu instid0(SALU_CYCLE_1) | instskip(SKIP_2) | instid1(VALU_DEP_1)
	s_or_b32 exec_lo, exec_lo, s14
	v_add_nc_u32_e32 v57, 1, v64
	s_mov_b32 s14, exec_lo
	v_cmpx_gt_u32_e64 s6, v57
	s_cbranch_execz .LBB81_1231
; %bb.1221:
	v_cmp_ne_u32_e32 vcc_lo, 1, v63
	s_cbranch_vccnz .LBB81_1228
; %bb.1222:
	v_mad_u64_u32 v[57:58], null, v3, s8, s[10:11]
	v_mul_lo_u32 v3, v3, s9
	v_mul_lo_u32 v4, v4, s8
	v_mad_u64_u32 v[59:60], null, v1, s8, s[10:11]
	v_mul_lo_u32 v61, v1, s9
	v_mul_lo_u32 v62, v2, s8
	s_mov_b32 s15, exec_lo
	s_delay_alu instid0(VALU_DEP_4) | instskip(SKIP_2) | instid1(VALU_DEP_4)
	v_add3_u32 v58, v4, v58, v3
	v_mov_b32_e32 v3, 1
	v_mov_b32_e32 v4, 0
	v_add3_u32 v60, v62, v60, v61
	s_clause 0x1
	global_load_u8 v61, v[57:58], off
	global_load_u8 v62, v[59:60], off
	s_waitcnt vmcnt(0)
	v_cmpx_eq_u16_e64 v61, v62
	s_cbranch_execz .LBB81_1230
; %bb.1223:
	s_mov_b64 s[0:1], 1
	s_mov_b32 s18, 0
                                        ; implicit-def: $sgpr19
	s_set_inst_prefetch_distance 0x1
	s_branch .LBB81_1226
	.p2align	6
.LBB81_1224:                            ;   in Loop: Header=BB81_1226 Depth=1
	v_add_co_u32 v3, vcc_lo, v57, s0
	v_add_co_ci_u32_e32 v4, vcc_lo, s1, v58, vcc_lo
	v_add_co_u32 v61, vcc_lo, v59, s0
	v_add_co_ci_u32_e32 v62, vcc_lo, s1, v60, vcc_lo
	s_add_u32 s12, s0, 1
	s_clause 0x1
	global_load_u8 v3, v[3:4], off
	global_load_u8 v4, v[61:62], off
	s_addc_u32 s13, s1, 0
	s_and_not1_b32 s19, s19, exec_lo
	s_waitcnt vmcnt(0)
	v_cmp_ne_u16_e32 vcc_lo, v3, v4
	s_and_b32 s20, vcc_lo, exec_lo
	s_delay_alu instid0(SALU_CYCLE_1)
	s_or_b32 s19, s19, s20
.LBB81_1225:                            ;   in Loop: Header=BB81_1226 Depth=1
	v_dual_mov_b32 v4, s1 :: v_dual_mov_b32 v3, s0
	s_and_b32 s20, exec_lo, s19
	s_mov_b64 s[0:1], s[12:13]
	s_or_b32 s18, s20, s18
	s_delay_alu instid0(SALU_CYCLE_1)
	s_and_not1_b32 exec_lo, exec_lo, s18
	s_cbranch_execz .LBB81_1229
.LBB81_1226:                            ; =>This Inner Loop Header: Depth=1
	s_or_b32 s19, s19, exec_lo
	s_cmp_eq_u64 s[8:9], s[0:1]
	s_cbranch_scc0 .LBB81_1224
; %bb.1227:                             ;   in Loop: Header=BB81_1226 Depth=1
	s_mov_b64 s[0:1], s[8:9]
                                        ; implicit-def: $sgpr12_sgpr13
	s_branch .LBB81_1225
.LBB81_1228:
	v_mov_b32_e32 v3, 0
	v_mov_b32_e32 v4, 0
	s_branch .LBB81_1231
.LBB81_1229:
	s_set_inst_prefetch_distance 0x2
	s_or_b32 exec_lo, exec_lo, s18
	v_cmp_gt_i64_e32 vcc_lo, s[8:9], v[3:4]
	s_mov_b32 s0, 0
	s_delay_alu instid0(SALU_CYCLE_1)
	v_mov_b32_e32 v4, s0
	v_cndmask_b32_e64 v3, 0, 1, vcc_lo
.LBB81_1230:
	s_or_b32 exec_lo, exec_lo, s15
.LBB81_1231:
	s_delay_alu instid0(SALU_CYCLE_1)
	s_or_b32 exec_lo, exec_lo, s14
	v_cmp_ne_u32_e32 vcc_lo, 0, v0
	v_cmp_gt_u32_e64 s0, s6, v64
	s_mov_b32 s1, 0
	s_waitcnt lgkmcnt(0)
	s_barrier
	buffer_gl0_inv
	s_and_b32 s0, vcc_lo, s0
                                        ; implicit-def: $sgpr14
	s_delay_alu instid0(SALU_CYCLE_1)
	s_and_saveexec_b32 s12, s0
	s_cbranch_execz .LBB81_1242
; %bb.1232:
	v_cmp_ne_u32_e32 vcc_lo, 1, v63
	s_cbranch_vccnz .LBB81_1241
; %bb.1233:
	v_add_nc_u32_e32 v57, -8, v195
	v_mul_lo_u32 v61, v1, s9
	v_mul_lo_u32 v62, v2, s8
	s_mov_b32 s1, -1
	s_mov_b32 s13, exec_lo
	ds_load_b64 v[59:60], v57
	v_mad_u64_u32 v[57:58], null, v1, s8, s[10:11]
	s_delay_alu instid0(VALU_DEP_1) | instskip(SKIP_4) | instid1(VALU_DEP_1)
	v_add3_u32 v58, v62, v58, v61
	s_waitcnt lgkmcnt(0)
	v_mul_lo_u32 v63, v59, s9
	v_mul_lo_u32 v60, v60, s8
	v_mad_u64_u32 v[1:2], null, v59, s8, s[10:11]
	v_add3_u32 v2, v60, v2, v63
	s_clause 0x1
	global_load_u8 v59, v[57:58], off
	global_load_u8 v60, v[1:2], off
	s_waitcnt vmcnt(0)
	v_cmpx_eq_u16_e64 v59, v60
	s_cbranch_execz .LBB81_1240
; %bb.1234:
	s_mov_b64 s[0:1], 1
	s_mov_b32 s14, 0
                                        ; implicit-def: $sgpr15
	s_set_inst_prefetch_distance 0x1
	s_branch .LBB81_1237
	.p2align	6
.LBB81_1235:                            ;   in Loop: Header=BB81_1237 Depth=1
	v_add_co_u32 v59, vcc_lo, v57, s0
	v_add_co_ci_u32_e32 v60, vcc_lo, s1, v58, vcc_lo
	v_add_co_u32 v61, vcc_lo, v1, s0
	v_add_co_ci_u32_e32 v62, vcc_lo, s1, v2, vcc_lo
	s_add_u32 s10, s0, 1
	s_clause 0x1
	global_load_u8 v59, v[59:60], off
	global_load_u8 v60, v[61:62], off
	s_addc_u32 s11, s1, 0
	s_and_not1_b32 s15, s15, exec_lo
	s_waitcnt vmcnt(0)
	v_cmp_ne_u16_e32 vcc_lo, v59, v60
	s_and_b32 s18, vcc_lo, exec_lo
	s_delay_alu instid0(SALU_CYCLE_1)
	s_or_b32 s15, s15, s18
.LBB81_1236:                            ;   in Loop: Header=BB81_1237 Depth=1
	v_dual_mov_b32 v60, s1 :: v_dual_mov_b32 v59, s0
	s_and_b32 s18, exec_lo, s15
	s_mov_b64 s[0:1], s[10:11]
	s_or_b32 s14, s18, s14
	s_delay_alu instid0(SALU_CYCLE_1)
	s_and_not1_b32 exec_lo, exec_lo, s14
	s_cbranch_execz .LBB81_1239
.LBB81_1237:                            ; =>This Inner Loop Header: Depth=1
	s_or_b32 s15, s15, exec_lo
	s_cmp_eq_u64 s[8:9], s[0:1]
	s_cbranch_scc0 .LBB81_1235
; %bb.1238:                             ;   in Loop: Header=BB81_1237 Depth=1
	s_mov_b64 s[0:1], s[8:9]
                                        ; implicit-def: $sgpr10_sgpr11
	s_branch .LBB81_1236
.LBB81_1239:
	s_set_inst_prefetch_distance 0x2
	s_or_b32 exec_lo, exec_lo, s14
	v_cmp_gt_i64_e32 vcc_lo, s[8:9], v[59:60]
	s_or_not1_b32 s1, vcc_lo, exec_lo
.LBB81_1240:
	s_or_b32 exec_lo, exec_lo, s13
.LBB81_1241:
	s_delay_alu instid0(SALU_CYCLE_1)
	s_and_b32 s14, s1, exec_lo
	s_or_b32 s3, s3, exec_lo
.LBB81_1242:
	s_or_b32 exec_lo, exec_lo, s12
	v_dual_mov_b32 v166, v4 :: v_dual_mov_b32 v165, v3
	v_dual_mov_b32 v164, v14 :: v_dual_mov_b32 v163, v13
	;; [unrolled: 1-line block ×55, first 2 shown]
.LBB81_1243:
	s_and_saveexec_b32 s0, s3
	s_cbranch_execz .LBB81_1245
; %bb.1244:
	s_mov_b32 s1, 0
	v_dual_mov_b32 v194, v114 :: v_dual_mov_b32 v63, v117
	v_dual_mov_b32 v2, s1 :: v_dual_mov_b32 v59, v115
	;; [unrolled: 1-line block ×13, first 2 shown]
	v_mov_b32_e32 v168, v164
	v_dual_mov_b32 v182, v166 :: v_dual_mov_b32 v181, v165
	v_cndmask_b32_e64 v1, 0, 1, s14
	v_dual_mov_b32 v60, v116 :: v_dual_mov_b32 v193, v113
	v_dual_mov_b32 v64, v118 :: v_dual_mov_b32 v191, v119
	;; [unrolled: 1-line block ×13, first 2 shown]
.LBB81_1245:
	s_or_b32 exec_lo, exec_lo, s0
	v_mul_u32_u24_e32 v65, 0xe8, v0
	v_mul_i32_i24_e32 v66, 0xffffff20, v0
	s_add_u32 s8, s4, s16
	s_addc_u32 s4, s5, s17
	s_and_b32 vcc_lo, exec_lo, s26
	s_waitcnt lgkmcnt(0)
	s_barrier
	buffer_gl0_inv
	s_cbranch_vccz .LBB81_1303
; %bb.1246:
	v_dual_mov_b32 v3, v181 :: v_dual_mov_b32 v4, v182
	s_mov_b32 s3, 0
	ds_store_2addr_b64 v65, v[169:170], v[103:104] offset0:4 offset1:5
	ds_store_2addr_b64 v65, v[171:172], v[99:100] offset0:6 offset1:7
	ds_store_2addr_b64 v65, v[1:2], v[3:4] offset1:1
	ds_store_2addr_b64 v65, v[167:168], v[107:108] offset0:2 offset1:3
	ds_store_2addr_b64 v65, v[173:174], v[95:96] offset0:8 offset1:9
	ds_store_2addr_b64 v65, v[175:176], v[91:92] offset0:10 offset1:11
	ds_store_2addr_b64 v65, v[177:178], v[87:88] offset0:12 offset1:13
	ds_store_2addr_b64 v65, v[179:180], v[83:84] offset0:14 offset1:15
	ds_store_2addr_b64 v65, v[183:184], v[79:80] offset0:16 offset1:17
	ds_store_2addr_b64 v65, v[185:186], v[75:76] offset0:18 offset1:19
	ds_store_2addr_b64 v65, v[187:188], v[71:72] offset0:20 offset1:21
	ds_store_2addr_b64 v65, v[189:190], v[67:68] offset0:22 offset1:23
	ds_store_2addr_b64 v65, v[191:192], v[63:64] offset0:24 offset1:25
	ds_store_2addr_b64 v65, v[193:194], v[59:60] offset0:26 offset1:27
	v_mad_u32_u24 v3, 0xe8, v0, v66
	ds_store_b64 v65, v[111:112] offset:224
	s_waitcnt lgkmcnt(0)
	s_barrier
	buffer_gl0_inv
	ds_load_2addr_stride64_b64 v[55:58], v3 offset0:2 offset1:4
	ds_load_2addr_stride64_b64 v[51:54], v3 offset0:6 offset1:8
	;; [unrolled: 1-line block ×14, first 2 shown]
	s_lshl_b64 s[0:1], s[2:3], 3
	s_add_i32 s7, s7, s6
	s_add_u32 s0, s8, s0
	s_addc_u32 s1, s4, s1
	v_add_co_u32 v61, s0, s0, v195
	s_delay_alu instid0(VALU_DEP_1)
	v_add_co_ci_u32_e64 v62, null, s1, 0, s0
	s_mov_b32 s0, exec_lo
	v_cmpx_gt_u32_e64 s7, v0
	s_cbranch_execz .LBB81_1248
; %bb.1247:
	v_add_nc_u32_e32 v69, v65, v66
	ds_load_b64 v[69:70], v69
	s_waitcnt lgkmcnt(0)
	global_store_b64 v[61:62], v[69:70], off
.LBB81_1248:
	s_or_b32 exec_lo, exec_lo, s0
	v_or_b32_e32 v69, 0x80, v0
	s_mov_b32 s0, exec_lo
	s_delay_alu instid0(VALU_DEP_1)
	v_cmpx_gt_u32_e64 s7, v69
	s_cbranch_execz .LBB81_1250
; %bb.1249:
	s_waitcnt lgkmcnt(13)
	global_store_b64 v[61:62], v[55:56], off offset:1024
.LBB81_1250:
	s_or_b32 exec_lo, exec_lo, s0
	s_waitcnt lgkmcnt(13)
	v_or_b32_e32 v55, 0x100, v0
	s_mov_b32 s0, exec_lo
	s_delay_alu instid0(VALU_DEP_1)
	v_cmpx_gt_u32_e64 s7, v55
	s_cbranch_execz .LBB81_1252
; %bb.1251:
	global_store_b64 v[61:62], v[57:58], off offset:2048
.LBB81_1252:
	s_or_b32 exec_lo, exec_lo, s0
	v_or_b32_e32 v55, 0x180, v0
	s_mov_b32 s0, exec_lo
	s_delay_alu instid0(VALU_DEP_1)
	v_cmpx_gt_u32_e64 s7, v55
	s_cbranch_execz .LBB81_1254
; %bb.1253:
	s_waitcnt lgkmcnt(12)
	global_store_b64 v[61:62], v[51:52], off offset:3072
.LBB81_1254:
	s_or_b32 exec_lo, exec_lo, s0
	s_waitcnt lgkmcnt(12)
	v_or_b32_e32 v51, 0x200, v0
	s_mov_b32 s0, exec_lo
	s_delay_alu instid0(VALU_DEP_1)
	v_cmpx_gt_u32_e64 s7, v51
	s_cbranch_execz .LBB81_1256
; %bb.1255:
	v_add_co_u32 v51, vcc_lo, 0x1000, v61
	v_add_co_ci_u32_e32 v52, vcc_lo, 0, v62, vcc_lo
	global_store_b64 v[51:52], v[53:54], off
.LBB81_1256:
	s_or_b32 exec_lo, exec_lo, s0
	v_or_b32_e32 v51, 0x280, v0
	s_mov_b32 s0, exec_lo
	s_delay_alu instid0(VALU_DEP_1)
	v_cmpx_gt_u32_e64 s7, v51
	s_cbranch_execz .LBB81_1258
; %bb.1257:
	v_add_co_u32 v51, vcc_lo, 0x1000, v61
	v_add_co_ci_u32_e32 v52, vcc_lo, 0, v62, vcc_lo
	s_waitcnt lgkmcnt(11)
	global_store_b64 v[51:52], v[47:48], off offset:1024
.LBB81_1258:
	s_or_b32 exec_lo, exec_lo, s0
	s_waitcnt lgkmcnt(11)
	v_or_b32_e32 v47, 0x300, v0
	s_mov_b32 s0, exec_lo
	s_delay_alu instid0(VALU_DEP_1)
	v_cmpx_gt_u32_e64 s7, v47
	s_cbranch_execz .LBB81_1260
; %bb.1259:
	v_add_co_u32 v47, vcc_lo, 0x1000, v61
	v_add_co_ci_u32_e32 v48, vcc_lo, 0, v62, vcc_lo
	global_store_b64 v[47:48], v[49:50], off offset:2048
.LBB81_1260:
	s_or_b32 exec_lo, exec_lo, s0
	v_or_b32_e32 v47, 0x380, v0
	s_mov_b32 s0, exec_lo
	s_delay_alu instid0(VALU_DEP_1)
	v_cmpx_gt_u32_e64 s7, v47
	s_cbranch_execz .LBB81_1262
; %bb.1261:
	v_add_co_u32 v47, vcc_lo, 0x1000, v61
	v_add_co_ci_u32_e32 v48, vcc_lo, 0, v62, vcc_lo
	s_waitcnt lgkmcnt(10)
	global_store_b64 v[47:48], v[43:44], off offset:3072
.LBB81_1262:
	s_or_b32 exec_lo, exec_lo, s0
	s_waitcnt lgkmcnt(10)
	v_or_b32_e32 v43, 0x400, v0
	s_mov_b32 s0, exec_lo
	s_delay_alu instid0(VALU_DEP_1)
	v_cmpx_gt_u32_e64 s7, v43
	s_cbranch_execz .LBB81_1264
; %bb.1263:
	v_add_co_u32 v43, vcc_lo, 0x2000, v61
	v_add_co_ci_u32_e32 v44, vcc_lo, 0, v62, vcc_lo
	global_store_b64 v[43:44], v[45:46], off
.LBB81_1264:
	s_or_b32 exec_lo, exec_lo, s0
	v_or_b32_e32 v43, 0x480, v0
	s_mov_b32 s0, exec_lo
	s_delay_alu instid0(VALU_DEP_1)
	v_cmpx_gt_u32_e64 s7, v43
	s_cbranch_execz .LBB81_1266
; %bb.1265:
	v_add_co_u32 v43, vcc_lo, 0x2000, v61
	v_add_co_ci_u32_e32 v44, vcc_lo, 0, v62, vcc_lo
	s_waitcnt lgkmcnt(9)
	global_store_b64 v[43:44], v[39:40], off offset:1024
.LBB81_1266:
	s_or_b32 exec_lo, exec_lo, s0
	s_waitcnt lgkmcnt(9)
	v_or_b32_e32 v39, 0x500, v0
	s_mov_b32 s0, exec_lo
	s_delay_alu instid0(VALU_DEP_1)
	v_cmpx_gt_u32_e64 s7, v39
	s_cbranch_execz .LBB81_1268
; %bb.1267:
	v_add_co_u32 v39, vcc_lo, 0x2000, v61
	v_add_co_ci_u32_e32 v40, vcc_lo, 0, v62, vcc_lo
	global_store_b64 v[39:40], v[41:42], off offset:2048
.LBB81_1268:
	s_or_b32 exec_lo, exec_lo, s0
	v_or_b32_e32 v39, 0x580, v0
	s_mov_b32 s0, exec_lo
	s_delay_alu instid0(VALU_DEP_1)
	v_cmpx_gt_u32_e64 s7, v39
	s_cbranch_execz .LBB81_1270
; %bb.1269:
	v_add_co_u32 v39, vcc_lo, 0x2000, v61
	v_add_co_ci_u32_e32 v40, vcc_lo, 0, v62, vcc_lo
	s_waitcnt lgkmcnt(8)
	global_store_b64 v[39:40], v[35:36], off offset:3072
.LBB81_1270:
	;; [unrolled: 48-line block ×6, first 2 shown]
	s_or_b32 exec_lo, exec_lo, s0
	s_waitcnt lgkmcnt(0)
	v_or_b32_e32 v3, 0xe00, v0
	s_delay_alu instid0(VALU_DEP_1)
	v_cmp_gt_u32_e64 s5, s7, v3
	s_branch .LBB81_1305
.LBB81_1303:
	s_mov_b32 s5, 0
                                        ; implicit-def: $vgpr5_vgpr6
                                        ; implicit-def: $vgpr61_vgpr62
	s_cbranch_execz .LBB81_1305
; %bb.1304:
	v_mad_u32_u24 v4, 0xe8, v0, v66
	ds_store_2addr_b64 v65, v[1:2], v[181:182] offset1:1
	ds_store_2addr_b64 v65, v[167:168], v[107:108] offset0:2 offset1:3
	ds_store_2addr_b64 v65, v[169:170], v[103:104] offset0:4 offset1:5
	ds_store_2addr_b64 v65, v[171:172], v[99:100] offset0:6 offset1:7
	ds_store_2addr_b64 v65, v[173:174], v[95:96] offset0:8 offset1:9
	ds_store_2addr_b64 v65, v[175:176], v[91:92] offset0:10 offset1:11
	ds_store_2addr_b64 v65, v[177:178], v[87:88] offset0:12 offset1:13
	ds_store_2addr_b64 v65, v[179:180], v[83:84] offset0:14 offset1:15
	ds_store_2addr_b64 v65, v[183:184], v[79:80] offset0:16 offset1:17
	ds_store_2addr_b64 v65, v[185:186], v[75:76] offset0:18 offset1:19
	ds_store_2addr_b64 v65, v[187:188], v[71:72] offset0:20 offset1:21
	ds_store_2addr_b64 v65, v[189:190], v[67:68] offset0:22 offset1:23
	ds_store_2addr_b64 v65, v[191:192], v[63:64] offset0:24 offset1:25
	ds_store_2addr_b64 v65, v[193:194], v[59:60] offset0:26 offset1:27
	ds_store_b64 v65, v[111:112] offset:224
	s_waitcnt lgkmcnt(0)
	s_waitcnt_vscnt null, 0x0
	s_barrier
	buffer_gl0_inv
	ds_load_2addr_stride64_b64 v[0:3], v4 offset1:2
	s_mov_b32 s3, 0
	ds_load_2addr_stride64_b64 v[7:10], v4 offset0:4 offset1:6
	ds_load_2addr_stride64_b64 v[11:14], v4 offset0:8 offset1:10
	;; [unrolled: 1-line block ×13, first 2 shown]
	ds_load_b64 v[5:6], v4 offset:28672
	s_lshl_b64 s[0:1], s[2:3], 3
	s_delay_alu instid0(SALU_CYCLE_1) | instskip(SKIP_2) | instid1(VALU_DEP_1)
	s_add_u32 s0, s8, s0
	s_addc_u32 s1, s4, s1
	v_add_co_u32 v61, s2, s0, v195
	v_add_co_ci_u32_e64 v62, null, s1, 0, s2
	s_or_b32 s5, s5, exec_lo
	s_waitcnt lgkmcnt(14)
	s_clause 0x1
	global_store_b64 v195, v[0:1], s[0:1]
	global_store_b64 v195, v[2:3], s[0:1] offset:1024
	s_waitcnt lgkmcnt(13)
	s_clause 0x1
	global_store_b64 v195, v[7:8], s[0:1] offset:2048
	global_store_b64 v195, v[9:10], s[0:1] offset:3072
	v_add_co_u32 v0, vcc_lo, 0x1000, v61
	v_add_co_ci_u32_e32 v1, vcc_lo, 0, v62, vcc_lo
	v_add_co_u32 v2, vcc_lo, v61, 0x2000
	v_add_co_ci_u32_e32 v3, vcc_lo, 0, v62, vcc_lo
	;; [unrolled: 2-line block ×3, first 2 shown]
	s_waitcnt lgkmcnt(10)
	s_clause 0x4
	global_store_b64 v[2:3], v[19:20], off
	global_store_b64 v[0:1], v[13:14], off offset:1024
	global_store_b64 v[0:1], v[15:16], off offset:2048
	;; [unrolled: 1-line block ×4, first 2 shown]
	v_add_co_u32 v0, vcc_lo, 0x3000, v61
	v_add_co_ci_u32_e32 v1, vcc_lo, 0, v62, vcc_lo
	v_add_co_u32 v9, vcc_lo, v61, 0x4000
	v_add_co_ci_u32_e32 v10, vcc_lo, 0, v62, vcc_lo
	;; [unrolled: 2-line block ×3, first 2 shown]
	s_waitcnt lgkmcnt(9)
	s_clause 0x1
	global_store_b64 v[7:8], v[23:24], off offset:2048
	global_store_b64 v[7:8], v[25:26], off offset:3072
	s_waitcnt lgkmcnt(8)
	global_store_b64 v[0:1], v[29:30], off offset:1024
	s_waitcnt lgkmcnt(7)
	s_clause 0x1
	global_store_b64 v[0:1], v[31:32], off offset:2048
	global_store_b64 v[0:1], v[33:34], off offset:3072
	s_waitcnt lgkmcnt(6)
	global_store_b64 v[13:14], v[37:38], off offset:1024
	s_waitcnt lgkmcnt(5)
	s_clause 0x1
	global_store_b64 v[13:14], v[39:40], off offset:2048
	global_store_b64 v[13:14], v[41:42], off offset:3072
	v_add_co_u32 v0, vcc_lo, 0x5000, v61
	v_add_co_ci_u32_e32 v1, vcc_lo, 0, v62, vcc_lo
	v_add_co_u32 v7, vcc_lo, v61, 0x6000
	v_add_co_ci_u32_e32 v8, vcc_lo, 0, v62, vcc_lo
	;; [unrolled: 2-line block ×3, first 2 shown]
	s_clause 0x1
	global_store_b64 v[9:10], v[27:28], off offset:-4096
	global_store_b64 v[9:10], v[35:36], off
	s_waitcnt lgkmcnt(4)
	global_store_b64 v[7:8], v[43:44], off offset:-4096
	s_waitcnt lgkmcnt(2)
	s_clause 0x4
	global_store_b64 v[7:8], v[51:52], off
	global_store_b64 v[0:1], v[45:46], off offset:1024
	global_store_b64 v[0:1], v[47:48], off offset:2048
	;; [unrolled: 1-line block ×4, first 2 shown]
	s_waitcnt lgkmcnt(1)
	s_clause 0x2
	global_store_b64 v[13:14], v[55:56], off offset:2048
	global_store_b64 v[2:3], v[11:12], off offset:-4096
	global_store_b64 v[13:14], v[57:58], off offset:3072
.LBB81_1305:
	s_delay_alu instid0(VALU_DEP_1)
	s_and_saveexec_b32 s0, s5
	s_cbranch_execnz .LBB81_1307
; %bb.1306:
	s_nop 0
	s_sendmsg sendmsg(MSG_DEALLOC_VGPRS)
	s_endpgm
.LBB81_1307:
	v_add_co_u32 v0, vcc_lo, 0x7000, v61
	v_add_co_ci_u32_e32 v1, vcc_lo, 0, v62, vcc_lo
	s_waitcnt lgkmcnt(0)
	global_store_b64 v[0:1], v[5:6], off
	s_nop 0
	s_sendmsg sendmsg(MSG_DEALLOC_VGPRS)
	s_endpgm
	.section	.rodata,"a",@progbits
	.p2align	6, 0x0
	.amdhsa_kernel _ZN7rocprim17ROCPRIM_400000_NS6detail17trampoline_kernelINS0_14default_configENS1_35adjacent_difference_config_selectorILb1ElEEZNS1_24adjacent_difference_implIS3_Lb1ELb0EPlS7_ZN2at6native12_GLOBAL__N_124unique_dim_cuda_templateIhEESt5tupleIJNS8_6TensorESD_SD_EERKSD_lbbbEUlllE1_EE10hipError_tPvRmT2_T3_mT4_P12ihipStream_tbEUlT_E_NS1_11comp_targetILNS1_3genE9ELNS1_11target_archE1100ELNS1_3gpuE3ELNS1_3repE0EEENS1_30default_config_static_selectorELNS0_4arch9wavefront6targetE0EEEvT1_
		.amdhsa_group_segment_fixed_size 29696
		.amdhsa_private_segment_fixed_size 0
		.amdhsa_kernarg_size 64
		.amdhsa_user_sgpr_count 15
		.amdhsa_user_sgpr_dispatch_ptr 0
		.amdhsa_user_sgpr_queue_ptr 0
		.amdhsa_user_sgpr_kernarg_segment_ptr 1
		.amdhsa_user_sgpr_dispatch_id 0
		.amdhsa_user_sgpr_private_segment_size 0
		.amdhsa_wavefront_size32 1
		.amdhsa_uses_dynamic_stack 0
		.amdhsa_enable_private_segment 0
		.amdhsa_system_sgpr_workgroup_id_x 1
		.amdhsa_system_sgpr_workgroup_id_y 0
		.amdhsa_system_sgpr_workgroup_id_z 0
		.amdhsa_system_sgpr_workgroup_info 0
		.amdhsa_system_vgpr_workitem_id 0
		.amdhsa_next_free_vgpr 196
		.amdhsa_next_free_sgpr 30
		.amdhsa_reserve_vcc 1
		.amdhsa_float_round_mode_32 0
		.amdhsa_float_round_mode_16_64 0
		.amdhsa_float_denorm_mode_32 3
		.amdhsa_float_denorm_mode_16_64 3
		.amdhsa_dx10_clamp 1
		.amdhsa_ieee_mode 1
		.amdhsa_fp16_overflow 0
		.amdhsa_workgroup_processor_mode 1
		.amdhsa_memory_ordered 1
		.amdhsa_forward_progress 0
		.amdhsa_shared_vgpr_count 0
		.amdhsa_exception_fp_ieee_invalid_op 0
		.amdhsa_exception_fp_denorm_src 0
		.amdhsa_exception_fp_ieee_div_zero 0
		.amdhsa_exception_fp_ieee_overflow 0
		.amdhsa_exception_fp_ieee_underflow 0
		.amdhsa_exception_fp_ieee_inexact 0
		.amdhsa_exception_int_div_zero 0
	.end_amdhsa_kernel
	.section	.text._ZN7rocprim17ROCPRIM_400000_NS6detail17trampoline_kernelINS0_14default_configENS1_35adjacent_difference_config_selectorILb1ElEEZNS1_24adjacent_difference_implIS3_Lb1ELb0EPlS7_ZN2at6native12_GLOBAL__N_124unique_dim_cuda_templateIhEESt5tupleIJNS8_6TensorESD_SD_EERKSD_lbbbEUlllE1_EE10hipError_tPvRmT2_T3_mT4_P12ihipStream_tbEUlT_E_NS1_11comp_targetILNS1_3genE9ELNS1_11target_archE1100ELNS1_3gpuE3ELNS1_3repE0EEENS1_30default_config_static_selectorELNS0_4arch9wavefront6targetE0EEEvT1_,"axG",@progbits,_ZN7rocprim17ROCPRIM_400000_NS6detail17trampoline_kernelINS0_14default_configENS1_35adjacent_difference_config_selectorILb1ElEEZNS1_24adjacent_difference_implIS3_Lb1ELb0EPlS7_ZN2at6native12_GLOBAL__N_124unique_dim_cuda_templateIhEESt5tupleIJNS8_6TensorESD_SD_EERKSD_lbbbEUlllE1_EE10hipError_tPvRmT2_T3_mT4_P12ihipStream_tbEUlT_E_NS1_11comp_targetILNS1_3genE9ELNS1_11target_archE1100ELNS1_3gpuE3ELNS1_3repE0EEENS1_30default_config_static_selectorELNS0_4arch9wavefront6targetE0EEEvT1_,comdat
.Lfunc_end81:
	.size	_ZN7rocprim17ROCPRIM_400000_NS6detail17trampoline_kernelINS0_14default_configENS1_35adjacent_difference_config_selectorILb1ElEEZNS1_24adjacent_difference_implIS3_Lb1ELb0EPlS7_ZN2at6native12_GLOBAL__N_124unique_dim_cuda_templateIhEESt5tupleIJNS8_6TensorESD_SD_EERKSD_lbbbEUlllE1_EE10hipError_tPvRmT2_T3_mT4_P12ihipStream_tbEUlT_E_NS1_11comp_targetILNS1_3genE9ELNS1_11target_archE1100ELNS1_3gpuE3ELNS1_3repE0EEENS1_30default_config_static_selectorELNS0_4arch9wavefront6targetE0EEEvT1_, .Lfunc_end81-_ZN7rocprim17ROCPRIM_400000_NS6detail17trampoline_kernelINS0_14default_configENS1_35adjacent_difference_config_selectorILb1ElEEZNS1_24adjacent_difference_implIS3_Lb1ELb0EPlS7_ZN2at6native12_GLOBAL__N_124unique_dim_cuda_templateIhEESt5tupleIJNS8_6TensorESD_SD_EERKSD_lbbbEUlllE1_EE10hipError_tPvRmT2_T3_mT4_P12ihipStream_tbEUlT_E_NS1_11comp_targetILNS1_3genE9ELNS1_11target_archE1100ELNS1_3gpuE3ELNS1_3repE0EEENS1_30default_config_static_selectorELNS0_4arch9wavefront6targetE0EEEvT1_
                                        ; -- End function
	.section	.AMDGPU.csdata,"",@progbits
; Kernel info:
; codeLenInByte = 45052
; NumSgprs: 32
; NumVgprs: 196
; ScratchSize: 0
; MemoryBound: 0
; FloatMode: 240
; IeeeMode: 1
; LDSByteSize: 29696 bytes/workgroup (compile time only)
; SGPRBlocks: 3
; VGPRBlocks: 24
; NumSGPRsForWavesPerEU: 32
; NumVGPRsForWavesPerEU: 196
; Occupancy: 4
; WaveLimiterHint : 1
; COMPUTE_PGM_RSRC2:SCRATCH_EN: 0
; COMPUTE_PGM_RSRC2:USER_SGPR: 15
; COMPUTE_PGM_RSRC2:TRAP_HANDLER: 0
; COMPUTE_PGM_RSRC2:TGID_X_EN: 1
; COMPUTE_PGM_RSRC2:TGID_Y_EN: 0
; COMPUTE_PGM_RSRC2:TGID_Z_EN: 0
; COMPUTE_PGM_RSRC2:TIDIG_COMP_CNT: 0
	.section	.text._ZN7rocprim17ROCPRIM_400000_NS6detail17trampoline_kernelINS0_14default_configENS1_35adjacent_difference_config_selectorILb1ElEEZNS1_24adjacent_difference_implIS3_Lb1ELb0EPlS7_ZN2at6native12_GLOBAL__N_124unique_dim_cuda_templateIhEESt5tupleIJNS8_6TensorESD_SD_EERKSD_lbbbEUlllE1_EE10hipError_tPvRmT2_T3_mT4_P12ihipStream_tbEUlT_E_NS1_11comp_targetILNS1_3genE8ELNS1_11target_archE1030ELNS1_3gpuE2ELNS1_3repE0EEENS1_30default_config_static_selectorELNS0_4arch9wavefront6targetE0EEEvT1_,"axG",@progbits,_ZN7rocprim17ROCPRIM_400000_NS6detail17trampoline_kernelINS0_14default_configENS1_35adjacent_difference_config_selectorILb1ElEEZNS1_24adjacent_difference_implIS3_Lb1ELb0EPlS7_ZN2at6native12_GLOBAL__N_124unique_dim_cuda_templateIhEESt5tupleIJNS8_6TensorESD_SD_EERKSD_lbbbEUlllE1_EE10hipError_tPvRmT2_T3_mT4_P12ihipStream_tbEUlT_E_NS1_11comp_targetILNS1_3genE8ELNS1_11target_archE1030ELNS1_3gpuE2ELNS1_3repE0EEENS1_30default_config_static_selectorELNS0_4arch9wavefront6targetE0EEEvT1_,comdat
	.globl	_ZN7rocprim17ROCPRIM_400000_NS6detail17trampoline_kernelINS0_14default_configENS1_35adjacent_difference_config_selectorILb1ElEEZNS1_24adjacent_difference_implIS3_Lb1ELb0EPlS7_ZN2at6native12_GLOBAL__N_124unique_dim_cuda_templateIhEESt5tupleIJNS8_6TensorESD_SD_EERKSD_lbbbEUlllE1_EE10hipError_tPvRmT2_T3_mT4_P12ihipStream_tbEUlT_E_NS1_11comp_targetILNS1_3genE8ELNS1_11target_archE1030ELNS1_3gpuE2ELNS1_3repE0EEENS1_30default_config_static_selectorELNS0_4arch9wavefront6targetE0EEEvT1_ ; -- Begin function _ZN7rocprim17ROCPRIM_400000_NS6detail17trampoline_kernelINS0_14default_configENS1_35adjacent_difference_config_selectorILb1ElEEZNS1_24adjacent_difference_implIS3_Lb1ELb0EPlS7_ZN2at6native12_GLOBAL__N_124unique_dim_cuda_templateIhEESt5tupleIJNS8_6TensorESD_SD_EERKSD_lbbbEUlllE1_EE10hipError_tPvRmT2_T3_mT4_P12ihipStream_tbEUlT_E_NS1_11comp_targetILNS1_3genE8ELNS1_11target_archE1030ELNS1_3gpuE2ELNS1_3repE0EEENS1_30default_config_static_selectorELNS0_4arch9wavefront6targetE0EEEvT1_
	.p2align	8
	.type	_ZN7rocprim17ROCPRIM_400000_NS6detail17trampoline_kernelINS0_14default_configENS1_35adjacent_difference_config_selectorILb1ElEEZNS1_24adjacent_difference_implIS3_Lb1ELb0EPlS7_ZN2at6native12_GLOBAL__N_124unique_dim_cuda_templateIhEESt5tupleIJNS8_6TensorESD_SD_EERKSD_lbbbEUlllE1_EE10hipError_tPvRmT2_T3_mT4_P12ihipStream_tbEUlT_E_NS1_11comp_targetILNS1_3genE8ELNS1_11target_archE1030ELNS1_3gpuE2ELNS1_3repE0EEENS1_30default_config_static_selectorELNS0_4arch9wavefront6targetE0EEEvT1_,@function
_ZN7rocprim17ROCPRIM_400000_NS6detail17trampoline_kernelINS0_14default_configENS1_35adjacent_difference_config_selectorILb1ElEEZNS1_24adjacent_difference_implIS3_Lb1ELb0EPlS7_ZN2at6native12_GLOBAL__N_124unique_dim_cuda_templateIhEESt5tupleIJNS8_6TensorESD_SD_EERKSD_lbbbEUlllE1_EE10hipError_tPvRmT2_T3_mT4_P12ihipStream_tbEUlT_E_NS1_11comp_targetILNS1_3genE8ELNS1_11target_archE1030ELNS1_3gpuE2ELNS1_3repE0EEENS1_30default_config_static_selectorELNS0_4arch9wavefront6targetE0EEEvT1_: ; @_ZN7rocprim17ROCPRIM_400000_NS6detail17trampoline_kernelINS0_14default_configENS1_35adjacent_difference_config_selectorILb1ElEEZNS1_24adjacent_difference_implIS3_Lb1ELb0EPlS7_ZN2at6native12_GLOBAL__N_124unique_dim_cuda_templateIhEESt5tupleIJNS8_6TensorESD_SD_EERKSD_lbbbEUlllE1_EE10hipError_tPvRmT2_T3_mT4_P12ihipStream_tbEUlT_E_NS1_11comp_targetILNS1_3genE8ELNS1_11target_archE1030ELNS1_3gpuE2ELNS1_3repE0EEENS1_30default_config_static_selectorELNS0_4arch9wavefront6targetE0EEEvT1_
; %bb.0:
	.section	.rodata,"a",@progbits
	.p2align	6, 0x0
	.amdhsa_kernel _ZN7rocprim17ROCPRIM_400000_NS6detail17trampoline_kernelINS0_14default_configENS1_35adjacent_difference_config_selectorILb1ElEEZNS1_24adjacent_difference_implIS3_Lb1ELb0EPlS7_ZN2at6native12_GLOBAL__N_124unique_dim_cuda_templateIhEESt5tupleIJNS8_6TensorESD_SD_EERKSD_lbbbEUlllE1_EE10hipError_tPvRmT2_T3_mT4_P12ihipStream_tbEUlT_E_NS1_11comp_targetILNS1_3genE8ELNS1_11target_archE1030ELNS1_3gpuE2ELNS1_3repE0EEENS1_30default_config_static_selectorELNS0_4arch9wavefront6targetE0EEEvT1_
		.amdhsa_group_segment_fixed_size 0
		.amdhsa_private_segment_fixed_size 0
		.amdhsa_kernarg_size 64
		.amdhsa_user_sgpr_count 15
		.amdhsa_user_sgpr_dispatch_ptr 0
		.amdhsa_user_sgpr_queue_ptr 0
		.amdhsa_user_sgpr_kernarg_segment_ptr 1
		.amdhsa_user_sgpr_dispatch_id 0
		.amdhsa_user_sgpr_private_segment_size 0
		.amdhsa_wavefront_size32 1
		.amdhsa_uses_dynamic_stack 0
		.amdhsa_enable_private_segment 0
		.amdhsa_system_sgpr_workgroup_id_x 1
		.amdhsa_system_sgpr_workgroup_id_y 0
		.amdhsa_system_sgpr_workgroup_id_z 0
		.amdhsa_system_sgpr_workgroup_info 0
		.amdhsa_system_vgpr_workitem_id 0
		.amdhsa_next_free_vgpr 1
		.amdhsa_next_free_sgpr 1
		.amdhsa_reserve_vcc 0
		.amdhsa_float_round_mode_32 0
		.amdhsa_float_round_mode_16_64 0
		.amdhsa_float_denorm_mode_32 3
		.amdhsa_float_denorm_mode_16_64 3
		.amdhsa_dx10_clamp 1
		.amdhsa_ieee_mode 1
		.amdhsa_fp16_overflow 0
		.amdhsa_workgroup_processor_mode 1
		.amdhsa_memory_ordered 1
		.amdhsa_forward_progress 0
		.amdhsa_shared_vgpr_count 0
		.amdhsa_exception_fp_ieee_invalid_op 0
		.amdhsa_exception_fp_denorm_src 0
		.amdhsa_exception_fp_ieee_div_zero 0
		.amdhsa_exception_fp_ieee_overflow 0
		.amdhsa_exception_fp_ieee_underflow 0
		.amdhsa_exception_fp_ieee_inexact 0
		.amdhsa_exception_int_div_zero 0
	.end_amdhsa_kernel
	.section	.text._ZN7rocprim17ROCPRIM_400000_NS6detail17trampoline_kernelINS0_14default_configENS1_35adjacent_difference_config_selectorILb1ElEEZNS1_24adjacent_difference_implIS3_Lb1ELb0EPlS7_ZN2at6native12_GLOBAL__N_124unique_dim_cuda_templateIhEESt5tupleIJNS8_6TensorESD_SD_EERKSD_lbbbEUlllE1_EE10hipError_tPvRmT2_T3_mT4_P12ihipStream_tbEUlT_E_NS1_11comp_targetILNS1_3genE8ELNS1_11target_archE1030ELNS1_3gpuE2ELNS1_3repE0EEENS1_30default_config_static_selectorELNS0_4arch9wavefront6targetE0EEEvT1_,"axG",@progbits,_ZN7rocprim17ROCPRIM_400000_NS6detail17trampoline_kernelINS0_14default_configENS1_35adjacent_difference_config_selectorILb1ElEEZNS1_24adjacent_difference_implIS3_Lb1ELb0EPlS7_ZN2at6native12_GLOBAL__N_124unique_dim_cuda_templateIhEESt5tupleIJNS8_6TensorESD_SD_EERKSD_lbbbEUlllE1_EE10hipError_tPvRmT2_T3_mT4_P12ihipStream_tbEUlT_E_NS1_11comp_targetILNS1_3genE8ELNS1_11target_archE1030ELNS1_3gpuE2ELNS1_3repE0EEENS1_30default_config_static_selectorELNS0_4arch9wavefront6targetE0EEEvT1_,comdat
.Lfunc_end82:
	.size	_ZN7rocprim17ROCPRIM_400000_NS6detail17trampoline_kernelINS0_14default_configENS1_35adjacent_difference_config_selectorILb1ElEEZNS1_24adjacent_difference_implIS3_Lb1ELb0EPlS7_ZN2at6native12_GLOBAL__N_124unique_dim_cuda_templateIhEESt5tupleIJNS8_6TensorESD_SD_EERKSD_lbbbEUlllE1_EE10hipError_tPvRmT2_T3_mT4_P12ihipStream_tbEUlT_E_NS1_11comp_targetILNS1_3genE8ELNS1_11target_archE1030ELNS1_3gpuE2ELNS1_3repE0EEENS1_30default_config_static_selectorELNS0_4arch9wavefront6targetE0EEEvT1_, .Lfunc_end82-_ZN7rocprim17ROCPRIM_400000_NS6detail17trampoline_kernelINS0_14default_configENS1_35adjacent_difference_config_selectorILb1ElEEZNS1_24adjacent_difference_implIS3_Lb1ELb0EPlS7_ZN2at6native12_GLOBAL__N_124unique_dim_cuda_templateIhEESt5tupleIJNS8_6TensorESD_SD_EERKSD_lbbbEUlllE1_EE10hipError_tPvRmT2_T3_mT4_P12ihipStream_tbEUlT_E_NS1_11comp_targetILNS1_3genE8ELNS1_11target_archE1030ELNS1_3gpuE2ELNS1_3repE0EEENS1_30default_config_static_selectorELNS0_4arch9wavefront6targetE0EEEvT1_
                                        ; -- End function
	.section	.AMDGPU.csdata,"",@progbits
; Kernel info:
; codeLenInByte = 0
; NumSgprs: 0
; NumVgprs: 0
; ScratchSize: 0
; MemoryBound: 0
; FloatMode: 240
; IeeeMode: 1
; LDSByteSize: 0 bytes/workgroup (compile time only)
; SGPRBlocks: 0
; VGPRBlocks: 0
; NumSGPRsForWavesPerEU: 1
; NumVGPRsForWavesPerEU: 1
; Occupancy: 16
; WaveLimiterHint : 0
; COMPUTE_PGM_RSRC2:SCRATCH_EN: 0
; COMPUTE_PGM_RSRC2:USER_SGPR: 15
; COMPUTE_PGM_RSRC2:TRAP_HANDLER: 0
; COMPUTE_PGM_RSRC2:TGID_X_EN: 1
; COMPUTE_PGM_RSRC2:TGID_Y_EN: 0
; COMPUTE_PGM_RSRC2:TGID_Z_EN: 0
; COMPUTE_PGM_RSRC2:TIDIG_COMP_CNT: 0
	.section	.text._ZN7rocprim17ROCPRIM_400000_NS6detail31init_lookback_scan_state_kernelINS1_19lookback_scan_stateIlLb0ELb1EEENS1_16block_id_wrapperIjLb0EEEEEvT_jT0_jPNS7_10value_typeE,"axG",@progbits,_ZN7rocprim17ROCPRIM_400000_NS6detail31init_lookback_scan_state_kernelINS1_19lookback_scan_stateIlLb0ELb1EEENS1_16block_id_wrapperIjLb0EEEEEvT_jT0_jPNS7_10value_typeE,comdat
	.protected	_ZN7rocprim17ROCPRIM_400000_NS6detail31init_lookback_scan_state_kernelINS1_19lookback_scan_stateIlLb0ELb1EEENS1_16block_id_wrapperIjLb0EEEEEvT_jT0_jPNS7_10value_typeE ; -- Begin function _ZN7rocprim17ROCPRIM_400000_NS6detail31init_lookback_scan_state_kernelINS1_19lookback_scan_stateIlLb0ELb1EEENS1_16block_id_wrapperIjLb0EEEEEvT_jT0_jPNS7_10value_typeE
	.globl	_ZN7rocprim17ROCPRIM_400000_NS6detail31init_lookback_scan_state_kernelINS1_19lookback_scan_stateIlLb0ELb1EEENS1_16block_id_wrapperIjLb0EEEEEvT_jT0_jPNS7_10value_typeE
	.p2align	8
	.type	_ZN7rocprim17ROCPRIM_400000_NS6detail31init_lookback_scan_state_kernelINS1_19lookback_scan_stateIlLb0ELb1EEENS1_16block_id_wrapperIjLb0EEEEEvT_jT0_jPNS7_10value_typeE,@function
_ZN7rocprim17ROCPRIM_400000_NS6detail31init_lookback_scan_state_kernelINS1_19lookback_scan_stateIlLb0ELb1EEENS1_16block_id_wrapperIjLb0EEEEEvT_jT0_jPNS7_10value_typeE: ; @_ZN7rocprim17ROCPRIM_400000_NS6detail31init_lookback_scan_state_kernelINS1_19lookback_scan_stateIlLb0ELb1EEENS1_16block_id_wrapperIjLb0EEEEEvT_jT0_jPNS7_10value_typeE
; %bb.0:
	s_clause 0x3
	s_load_b32 s7, s[0:1], 0x2c
	s_load_b64 s[4:5], s[0:1], 0x18
	s_load_b64 s[2:3], s[0:1], 0x0
	s_load_b32 s6, s[0:1], 0x8
	s_waitcnt lgkmcnt(0)
	s_and_b32 s7, s7, 0xffff
	s_cmp_eq_u64 s[4:5], 0
	v_mad_u64_u32 v[1:2], null, s15, s7, v[0:1]
	s_cbranch_scc1 .LBB83_8
; %bb.1:
	s_load_b32 s0, s[0:1], 0x10
	s_waitcnt lgkmcnt(0)
	s_cmp_lt_u32 s0, s6
	s_cselect_b32 s1, s0, 0
	s_delay_alu instid0(VALU_DEP_1) | instid1(SALU_CYCLE_1)
	v_cmp_eq_u32_e32 vcc_lo, s1, v1
	s_mov_b32 s1, 0
	s_and_saveexec_b32 s7, vcc_lo
	s_cbranch_execz .LBB83_7
; %bb.2:
	s_add_i32 s0, s0, 32
	s_mov_b32 s8, exec_lo
	s_lshl_b64 s[0:1], s[0:1], 4
	v_mov_b32_e32 v6, 0
	s_add_u32 s0, s2, s0
	s_addc_u32 s1, s3, s1
	s_delay_alu instid0(SALU_CYCLE_1) | instskip(SKIP_2) | instid1(VALU_DEP_1)
	v_dual_mov_b32 v3, s1 :: v_dual_mov_b32 v2, s0
	;;#ASMSTART
	global_load_dwordx4 v[2:5], v[2:3] off glc	
s_waitcnt vmcnt(0)
	;;#ASMEND
	v_and_b32_e32 v5, 0xff, v4
	v_cmpx_eq_u64_e32 0, v[5:6]
	s_cbranch_execz .LBB83_6
; %bb.3:
	v_dual_mov_b32 v8, s1 :: v_dual_mov_b32 v7, s0
	s_mov_b32 s0, 0
.LBB83_4:                               ; =>This Inner Loop Header: Depth=1
	;;#ASMSTART
	global_load_dwordx4 v[2:5], v[7:8] off glc	
s_waitcnt vmcnt(0)
	;;#ASMEND
	v_and_b32_e32 v5, 0xff, v4
	s_delay_alu instid0(VALU_DEP_1) | instskip(SKIP_1) | instid1(SALU_CYCLE_1)
	v_cmp_ne_u64_e32 vcc_lo, 0, v[5:6]
	s_or_b32 s0, vcc_lo, s0
	s_and_not1_b32 exec_lo, exec_lo, s0
	s_cbranch_execnz .LBB83_4
; %bb.5:
	s_or_b32 exec_lo, exec_lo, s0
.LBB83_6:
	s_delay_alu instid0(SALU_CYCLE_1)
	s_or_b32 exec_lo, exec_lo, s8
	v_mov_b32_e32 v0, 0
	global_store_b64 v0, v[2:3], s[4:5]
.LBB83_7:
	s_or_b32 exec_lo, exec_lo, s7
.LBB83_8:
	s_delay_alu instid0(SALU_CYCLE_1) | instskip(NEXT) | instid1(VALU_DEP_1)
	s_mov_b32 s0, exec_lo
	v_cmpx_gt_u32_e64 s6, v1
	s_cbranch_execz .LBB83_10
; %bb.9:
	v_dual_mov_b32 v3, 0 :: v_dual_add_nc_u32 v2, 32, v1
	s_delay_alu instid0(VALU_DEP_1) | instskip(SKIP_2) | instid1(VALU_DEP_3)
	v_lshlrev_b64 v[5:6], 4, v[2:3]
	v_mov_b32_e32 v2, v3
	v_mov_b32_e32 v4, v3
	v_add_co_u32 v7, vcc_lo, s2, v5
	s_delay_alu instid0(VALU_DEP_4)
	v_add_co_ci_u32_e32 v8, vcc_lo, s3, v6, vcc_lo
	v_mov_b32_e32 v5, v3
	global_store_b128 v[7:8], v[2:5], off
.LBB83_10:
	s_or_b32 exec_lo, exec_lo, s0
	s_delay_alu instid0(SALU_CYCLE_1)
	s_mov_b32 s0, exec_lo
	v_cmpx_gt_u32_e32 32, v1
	s_cbranch_execz .LBB83_12
; %bb.11:
	v_dual_mov_b32 v2, 0 :: v_dual_mov_b32 v3, 0xff
	s_delay_alu instid0(VALU_DEP_1) | instskip(SKIP_1) | instid1(VALU_DEP_2)
	v_lshlrev_b64 v[4:5], 4, v[1:2]
	v_mov_b32_e32 v1, v2
	v_add_co_u32 v6, vcc_lo, s2, v4
	s_delay_alu instid0(VALU_DEP_3)
	v_add_co_ci_u32_e32 v7, vcc_lo, s3, v5, vcc_lo
	v_mov_b32_e32 v4, v2
	global_store_b128 v[6:7], v[1:4], off
.LBB83_12:
	s_nop 0
	s_sendmsg sendmsg(MSG_DEALLOC_VGPRS)
	s_endpgm
	.section	.rodata,"a",@progbits
	.p2align	6, 0x0
	.amdhsa_kernel _ZN7rocprim17ROCPRIM_400000_NS6detail31init_lookback_scan_state_kernelINS1_19lookback_scan_stateIlLb0ELb1EEENS1_16block_id_wrapperIjLb0EEEEEvT_jT0_jPNS7_10value_typeE
		.amdhsa_group_segment_fixed_size 0
		.amdhsa_private_segment_fixed_size 0
		.amdhsa_kernarg_size 288
		.amdhsa_user_sgpr_count 15
		.amdhsa_user_sgpr_dispatch_ptr 0
		.amdhsa_user_sgpr_queue_ptr 0
		.amdhsa_user_sgpr_kernarg_segment_ptr 1
		.amdhsa_user_sgpr_dispatch_id 0
		.amdhsa_user_sgpr_private_segment_size 0
		.amdhsa_wavefront_size32 1
		.amdhsa_uses_dynamic_stack 0
		.amdhsa_enable_private_segment 0
		.amdhsa_system_sgpr_workgroup_id_x 1
		.amdhsa_system_sgpr_workgroup_id_y 0
		.amdhsa_system_sgpr_workgroup_id_z 0
		.amdhsa_system_sgpr_workgroup_info 0
		.amdhsa_system_vgpr_workitem_id 0
		.amdhsa_next_free_vgpr 9
		.amdhsa_next_free_sgpr 16
		.amdhsa_reserve_vcc 1
		.amdhsa_float_round_mode_32 0
		.amdhsa_float_round_mode_16_64 0
		.amdhsa_float_denorm_mode_32 3
		.amdhsa_float_denorm_mode_16_64 3
		.amdhsa_dx10_clamp 1
		.amdhsa_ieee_mode 1
		.amdhsa_fp16_overflow 0
		.amdhsa_workgroup_processor_mode 1
		.amdhsa_memory_ordered 1
		.amdhsa_forward_progress 0
		.amdhsa_shared_vgpr_count 0
		.amdhsa_exception_fp_ieee_invalid_op 0
		.amdhsa_exception_fp_denorm_src 0
		.amdhsa_exception_fp_ieee_div_zero 0
		.amdhsa_exception_fp_ieee_overflow 0
		.amdhsa_exception_fp_ieee_underflow 0
		.amdhsa_exception_fp_ieee_inexact 0
		.amdhsa_exception_int_div_zero 0
	.end_amdhsa_kernel
	.section	.text._ZN7rocprim17ROCPRIM_400000_NS6detail31init_lookback_scan_state_kernelINS1_19lookback_scan_stateIlLb0ELb1EEENS1_16block_id_wrapperIjLb0EEEEEvT_jT0_jPNS7_10value_typeE,"axG",@progbits,_ZN7rocprim17ROCPRIM_400000_NS6detail31init_lookback_scan_state_kernelINS1_19lookback_scan_stateIlLb0ELb1EEENS1_16block_id_wrapperIjLb0EEEEEvT_jT0_jPNS7_10value_typeE,comdat
.Lfunc_end83:
	.size	_ZN7rocprim17ROCPRIM_400000_NS6detail31init_lookback_scan_state_kernelINS1_19lookback_scan_stateIlLb0ELb1EEENS1_16block_id_wrapperIjLb0EEEEEvT_jT0_jPNS7_10value_typeE, .Lfunc_end83-_ZN7rocprim17ROCPRIM_400000_NS6detail31init_lookback_scan_state_kernelINS1_19lookback_scan_stateIlLb0ELb1EEENS1_16block_id_wrapperIjLb0EEEEEvT_jT0_jPNS7_10value_typeE
                                        ; -- End function
	.section	.AMDGPU.csdata,"",@progbits
; Kernel info:
; codeLenInByte = 468
; NumSgprs: 18
; NumVgprs: 9
; ScratchSize: 0
; MemoryBound: 0
; FloatMode: 240
; IeeeMode: 1
; LDSByteSize: 0 bytes/workgroup (compile time only)
; SGPRBlocks: 2
; VGPRBlocks: 1
; NumSGPRsForWavesPerEU: 18
; NumVGPRsForWavesPerEU: 9
; Occupancy: 16
; WaveLimiterHint : 0
; COMPUTE_PGM_RSRC2:SCRATCH_EN: 0
; COMPUTE_PGM_RSRC2:USER_SGPR: 15
; COMPUTE_PGM_RSRC2:TRAP_HANDLER: 0
; COMPUTE_PGM_RSRC2:TGID_X_EN: 1
; COMPUTE_PGM_RSRC2:TGID_Y_EN: 0
; COMPUTE_PGM_RSRC2:TGID_Z_EN: 0
; COMPUTE_PGM_RSRC2:TIDIG_COMP_CNT: 0
	.section	.text._ZN7rocprim17ROCPRIM_400000_NS6detail17trampoline_kernelINS0_14default_configENS1_20scan_config_selectorIlEEZZNS1_9scan_implILNS1_25lookback_scan_determinismE0ELb0ELb0ES3_PlS8_lN6thrust23THRUST_200600_302600_NS4plusIvEElEEDaPvRmT3_T4_T5_mT6_P12ihipStream_tbENKUlT_T0_E_clISt17integral_constantIbLb0EESQ_EEDaSL_SM_EUlSL_E_NS1_11comp_targetILNS1_3genE0ELNS1_11target_archE4294967295ELNS1_3gpuE0ELNS1_3repE0EEENS1_30default_config_static_selectorELNS0_4arch9wavefront6targetE0EEEvT1_,"axG",@progbits,_ZN7rocprim17ROCPRIM_400000_NS6detail17trampoline_kernelINS0_14default_configENS1_20scan_config_selectorIlEEZZNS1_9scan_implILNS1_25lookback_scan_determinismE0ELb0ELb0ES3_PlS8_lN6thrust23THRUST_200600_302600_NS4plusIvEElEEDaPvRmT3_T4_T5_mT6_P12ihipStream_tbENKUlT_T0_E_clISt17integral_constantIbLb0EESQ_EEDaSL_SM_EUlSL_E_NS1_11comp_targetILNS1_3genE0ELNS1_11target_archE4294967295ELNS1_3gpuE0ELNS1_3repE0EEENS1_30default_config_static_selectorELNS0_4arch9wavefront6targetE0EEEvT1_,comdat
	.protected	_ZN7rocprim17ROCPRIM_400000_NS6detail17trampoline_kernelINS0_14default_configENS1_20scan_config_selectorIlEEZZNS1_9scan_implILNS1_25lookback_scan_determinismE0ELb0ELb0ES3_PlS8_lN6thrust23THRUST_200600_302600_NS4plusIvEElEEDaPvRmT3_T4_T5_mT6_P12ihipStream_tbENKUlT_T0_E_clISt17integral_constantIbLb0EESQ_EEDaSL_SM_EUlSL_E_NS1_11comp_targetILNS1_3genE0ELNS1_11target_archE4294967295ELNS1_3gpuE0ELNS1_3repE0EEENS1_30default_config_static_selectorELNS0_4arch9wavefront6targetE0EEEvT1_ ; -- Begin function _ZN7rocprim17ROCPRIM_400000_NS6detail17trampoline_kernelINS0_14default_configENS1_20scan_config_selectorIlEEZZNS1_9scan_implILNS1_25lookback_scan_determinismE0ELb0ELb0ES3_PlS8_lN6thrust23THRUST_200600_302600_NS4plusIvEElEEDaPvRmT3_T4_T5_mT6_P12ihipStream_tbENKUlT_T0_E_clISt17integral_constantIbLb0EESQ_EEDaSL_SM_EUlSL_E_NS1_11comp_targetILNS1_3genE0ELNS1_11target_archE4294967295ELNS1_3gpuE0ELNS1_3repE0EEENS1_30default_config_static_selectorELNS0_4arch9wavefront6targetE0EEEvT1_
	.globl	_ZN7rocprim17ROCPRIM_400000_NS6detail17trampoline_kernelINS0_14default_configENS1_20scan_config_selectorIlEEZZNS1_9scan_implILNS1_25lookback_scan_determinismE0ELb0ELb0ES3_PlS8_lN6thrust23THRUST_200600_302600_NS4plusIvEElEEDaPvRmT3_T4_T5_mT6_P12ihipStream_tbENKUlT_T0_E_clISt17integral_constantIbLb0EESQ_EEDaSL_SM_EUlSL_E_NS1_11comp_targetILNS1_3genE0ELNS1_11target_archE4294967295ELNS1_3gpuE0ELNS1_3repE0EEENS1_30default_config_static_selectorELNS0_4arch9wavefront6targetE0EEEvT1_
	.p2align	8
	.type	_ZN7rocprim17ROCPRIM_400000_NS6detail17trampoline_kernelINS0_14default_configENS1_20scan_config_selectorIlEEZZNS1_9scan_implILNS1_25lookback_scan_determinismE0ELb0ELb0ES3_PlS8_lN6thrust23THRUST_200600_302600_NS4plusIvEElEEDaPvRmT3_T4_T5_mT6_P12ihipStream_tbENKUlT_T0_E_clISt17integral_constantIbLb0EESQ_EEDaSL_SM_EUlSL_E_NS1_11comp_targetILNS1_3genE0ELNS1_11target_archE4294967295ELNS1_3gpuE0ELNS1_3repE0EEENS1_30default_config_static_selectorELNS0_4arch9wavefront6targetE0EEEvT1_,@function
_ZN7rocprim17ROCPRIM_400000_NS6detail17trampoline_kernelINS0_14default_configENS1_20scan_config_selectorIlEEZZNS1_9scan_implILNS1_25lookback_scan_determinismE0ELb0ELb0ES3_PlS8_lN6thrust23THRUST_200600_302600_NS4plusIvEElEEDaPvRmT3_T4_T5_mT6_P12ihipStream_tbENKUlT_T0_E_clISt17integral_constantIbLb0EESQ_EEDaSL_SM_EUlSL_E_NS1_11comp_targetILNS1_3genE0ELNS1_11target_archE4294967295ELNS1_3gpuE0ELNS1_3repE0EEENS1_30default_config_static_selectorELNS0_4arch9wavefront6targetE0EEEvT1_: ; @_ZN7rocprim17ROCPRIM_400000_NS6detail17trampoline_kernelINS0_14default_configENS1_20scan_config_selectorIlEEZZNS1_9scan_implILNS1_25lookback_scan_determinismE0ELb0ELb0ES3_PlS8_lN6thrust23THRUST_200600_302600_NS4plusIvEElEEDaPvRmT3_T4_T5_mT6_P12ihipStream_tbENKUlT_T0_E_clISt17integral_constantIbLb0EESQ_EEDaSL_SM_EUlSL_E_NS1_11comp_targetILNS1_3genE0ELNS1_11target_archE4294967295ELNS1_3gpuE0ELNS1_3repE0EEENS1_30default_config_static_selectorELNS0_4arch9wavefront6targetE0EEEvT1_
; %bb.0:
	.section	.rodata,"a",@progbits
	.p2align	6, 0x0
	.amdhsa_kernel _ZN7rocprim17ROCPRIM_400000_NS6detail17trampoline_kernelINS0_14default_configENS1_20scan_config_selectorIlEEZZNS1_9scan_implILNS1_25lookback_scan_determinismE0ELb0ELb0ES3_PlS8_lN6thrust23THRUST_200600_302600_NS4plusIvEElEEDaPvRmT3_T4_T5_mT6_P12ihipStream_tbENKUlT_T0_E_clISt17integral_constantIbLb0EESQ_EEDaSL_SM_EUlSL_E_NS1_11comp_targetILNS1_3genE0ELNS1_11target_archE4294967295ELNS1_3gpuE0ELNS1_3repE0EEENS1_30default_config_static_selectorELNS0_4arch9wavefront6targetE0EEEvT1_
		.amdhsa_group_segment_fixed_size 0
		.amdhsa_private_segment_fixed_size 0
		.amdhsa_kernarg_size 104
		.amdhsa_user_sgpr_count 15
		.amdhsa_user_sgpr_dispatch_ptr 0
		.amdhsa_user_sgpr_queue_ptr 0
		.amdhsa_user_sgpr_kernarg_segment_ptr 1
		.amdhsa_user_sgpr_dispatch_id 0
		.amdhsa_user_sgpr_private_segment_size 0
		.amdhsa_wavefront_size32 1
		.amdhsa_uses_dynamic_stack 0
		.amdhsa_enable_private_segment 0
		.amdhsa_system_sgpr_workgroup_id_x 1
		.amdhsa_system_sgpr_workgroup_id_y 0
		.amdhsa_system_sgpr_workgroup_id_z 0
		.amdhsa_system_sgpr_workgroup_info 0
		.amdhsa_system_vgpr_workitem_id 0
		.amdhsa_next_free_vgpr 1
		.amdhsa_next_free_sgpr 1
		.amdhsa_reserve_vcc 0
		.amdhsa_float_round_mode_32 0
		.amdhsa_float_round_mode_16_64 0
		.amdhsa_float_denorm_mode_32 3
		.amdhsa_float_denorm_mode_16_64 3
		.amdhsa_dx10_clamp 1
		.amdhsa_ieee_mode 1
		.amdhsa_fp16_overflow 0
		.amdhsa_workgroup_processor_mode 1
		.amdhsa_memory_ordered 1
		.amdhsa_forward_progress 0
		.amdhsa_shared_vgpr_count 0
		.amdhsa_exception_fp_ieee_invalid_op 0
		.amdhsa_exception_fp_denorm_src 0
		.amdhsa_exception_fp_ieee_div_zero 0
		.amdhsa_exception_fp_ieee_overflow 0
		.amdhsa_exception_fp_ieee_underflow 0
		.amdhsa_exception_fp_ieee_inexact 0
		.amdhsa_exception_int_div_zero 0
	.end_amdhsa_kernel
	.section	.text._ZN7rocprim17ROCPRIM_400000_NS6detail17trampoline_kernelINS0_14default_configENS1_20scan_config_selectorIlEEZZNS1_9scan_implILNS1_25lookback_scan_determinismE0ELb0ELb0ES3_PlS8_lN6thrust23THRUST_200600_302600_NS4plusIvEElEEDaPvRmT3_T4_T5_mT6_P12ihipStream_tbENKUlT_T0_E_clISt17integral_constantIbLb0EESQ_EEDaSL_SM_EUlSL_E_NS1_11comp_targetILNS1_3genE0ELNS1_11target_archE4294967295ELNS1_3gpuE0ELNS1_3repE0EEENS1_30default_config_static_selectorELNS0_4arch9wavefront6targetE0EEEvT1_,"axG",@progbits,_ZN7rocprim17ROCPRIM_400000_NS6detail17trampoline_kernelINS0_14default_configENS1_20scan_config_selectorIlEEZZNS1_9scan_implILNS1_25lookback_scan_determinismE0ELb0ELb0ES3_PlS8_lN6thrust23THRUST_200600_302600_NS4plusIvEElEEDaPvRmT3_T4_T5_mT6_P12ihipStream_tbENKUlT_T0_E_clISt17integral_constantIbLb0EESQ_EEDaSL_SM_EUlSL_E_NS1_11comp_targetILNS1_3genE0ELNS1_11target_archE4294967295ELNS1_3gpuE0ELNS1_3repE0EEENS1_30default_config_static_selectorELNS0_4arch9wavefront6targetE0EEEvT1_,comdat
.Lfunc_end84:
	.size	_ZN7rocprim17ROCPRIM_400000_NS6detail17trampoline_kernelINS0_14default_configENS1_20scan_config_selectorIlEEZZNS1_9scan_implILNS1_25lookback_scan_determinismE0ELb0ELb0ES3_PlS8_lN6thrust23THRUST_200600_302600_NS4plusIvEElEEDaPvRmT3_T4_T5_mT6_P12ihipStream_tbENKUlT_T0_E_clISt17integral_constantIbLb0EESQ_EEDaSL_SM_EUlSL_E_NS1_11comp_targetILNS1_3genE0ELNS1_11target_archE4294967295ELNS1_3gpuE0ELNS1_3repE0EEENS1_30default_config_static_selectorELNS0_4arch9wavefront6targetE0EEEvT1_, .Lfunc_end84-_ZN7rocprim17ROCPRIM_400000_NS6detail17trampoline_kernelINS0_14default_configENS1_20scan_config_selectorIlEEZZNS1_9scan_implILNS1_25lookback_scan_determinismE0ELb0ELb0ES3_PlS8_lN6thrust23THRUST_200600_302600_NS4plusIvEElEEDaPvRmT3_T4_T5_mT6_P12ihipStream_tbENKUlT_T0_E_clISt17integral_constantIbLb0EESQ_EEDaSL_SM_EUlSL_E_NS1_11comp_targetILNS1_3genE0ELNS1_11target_archE4294967295ELNS1_3gpuE0ELNS1_3repE0EEENS1_30default_config_static_selectorELNS0_4arch9wavefront6targetE0EEEvT1_
                                        ; -- End function
	.section	.AMDGPU.csdata,"",@progbits
; Kernel info:
; codeLenInByte = 0
; NumSgprs: 0
; NumVgprs: 0
; ScratchSize: 0
; MemoryBound: 0
; FloatMode: 240
; IeeeMode: 1
; LDSByteSize: 0 bytes/workgroup (compile time only)
; SGPRBlocks: 0
; VGPRBlocks: 0
; NumSGPRsForWavesPerEU: 1
; NumVGPRsForWavesPerEU: 1
; Occupancy: 16
; WaveLimiterHint : 0
; COMPUTE_PGM_RSRC2:SCRATCH_EN: 0
; COMPUTE_PGM_RSRC2:USER_SGPR: 15
; COMPUTE_PGM_RSRC2:TRAP_HANDLER: 0
; COMPUTE_PGM_RSRC2:TGID_X_EN: 1
; COMPUTE_PGM_RSRC2:TGID_Y_EN: 0
; COMPUTE_PGM_RSRC2:TGID_Z_EN: 0
; COMPUTE_PGM_RSRC2:TIDIG_COMP_CNT: 0
	.section	.text._ZN7rocprim17ROCPRIM_400000_NS6detail17trampoline_kernelINS0_14default_configENS1_20scan_config_selectorIlEEZZNS1_9scan_implILNS1_25lookback_scan_determinismE0ELb0ELb0ES3_PlS8_lN6thrust23THRUST_200600_302600_NS4plusIvEElEEDaPvRmT3_T4_T5_mT6_P12ihipStream_tbENKUlT_T0_E_clISt17integral_constantIbLb0EESQ_EEDaSL_SM_EUlSL_E_NS1_11comp_targetILNS1_3genE5ELNS1_11target_archE942ELNS1_3gpuE9ELNS1_3repE0EEENS1_30default_config_static_selectorELNS0_4arch9wavefront6targetE0EEEvT1_,"axG",@progbits,_ZN7rocprim17ROCPRIM_400000_NS6detail17trampoline_kernelINS0_14default_configENS1_20scan_config_selectorIlEEZZNS1_9scan_implILNS1_25lookback_scan_determinismE0ELb0ELb0ES3_PlS8_lN6thrust23THRUST_200600_302600_NS4plusIvEElEEDaPvRmT3_T4_T5_mT6_P12ihipStream_tbENKUlT_T0_E_clISt17integral_constantIbLb0EESQ_EEDaSL_SM_EUlSL_E_NS1_11comp_targetILNS1_3genE5ELNS1_11target_archE942ELNS1_3gpuE9ELNS1_3repE0EEENS1_30default_config_static_selectorELNS0_4arch9wavefront6targetE0EEEvT1_,comdat
	.protected	_ZN7rocprim17ROCPRIM_400000_NS6detail17trampoline_kernelINS0_14default_configENS1_20scan_config_selectorIlEEZZNS1_9scan_implILNS1_25lookback_scan_determinismE0ELb0ELb0ES3_PlS8_lN6thrust23THRUST_200600_302600_NS4plusIvEElEEDaPvRmT3_T4_T5_mT6_P12ihipStream_tbENKUlT_T0_E_clISt17integral_constantIbLb0EESQ_EEDaSL_SM_EUlSL_E_NS1_11comp_targetILNS1_3genE5ELNS1_11target_archE942ELNS1_3gpuE9ELNS1_3repE0EEENS1_30default_config_static_selectorELNS0_4arch9wavefront6targetE0EEEvT1_ ; -- Begin function _ZN7rocprim17ROCPRIM_400000_NS6detail17trampoline_kernelINS0_14default_configENS1_20scan_config_selectorIlEEZZNS1_9scan_implILNS1_25lookback_scan_determinismE0ELb0ELb0ES3_PlS8_lN6thrust23THRUST_200600_302600_NS4plusIvEElEEDaPvRmT3_T4_T5_mT6_P12ihipStream_tbENKUlT_T0_E_clISt17integral_constantIbLb0EESQ_EEDaSL_SM_EUlSL_E_NS1_11comp_targetILNS1_3genE5ELNS1_11target_archE942ELNS1_3gpuE9ELNS1_3repE0EEENS1_30default_config_static_selectorELNS0_4arch9wavefront6targetE0EEEvT1_
	.globl	_ZN7rocprim17ROCPRIM_400000_NS6detail17trampoline_kernelINS0_14default_configENS1_20scan_config_selectorIlEEZZNS1_9scan_implILNS1_25lookback_scan_determinismE0ELb0ELb0ES3_PlS8_lN6thrust23THRUST_200600_302600_NS4plusIvEElEEDaPvRmT3_T4_T5_mT6_P12ihipStream_tbENKUlT_T0_E_clISt17integral_constantIbLb0EESQ_EEDaSL_SM_EUlSL_E_NS1_11comp_targetILNS1_3genE5ELNS1_11target_archE942ELNS1_3gpuE9ELNS1_3repE0EEENS1_30default_config_static_selectorELNS0_4arch9wavefront6targetE0EEEvT1_
	.p2align	8
	.type	_ZN7rocprim17ROCPRIM_400000_NS6detail17trampoline_kernelINS0_14default_configENS1_20scan_config_selectorIlEEZZNS1_9scan_implILNS1_25lookback_scan_determinismE0ELb0ELb0ES3_PlS8_lN6thrust23THRUST_200600_302600_NS4plusIvEElEEDaPvRmT3_T4_T5_mT6_P12ihipStream_tbENKUlT_T0_E_clISt17integral_constantIbLb0EESQ_EEDaSL_SM_EUlSL_E_NS1_11comp_targetILNS1_3genE5ELNS1_11target_archE942ELNS1_3gpuE9ELNS1_3repE0EEENS1_30default_config_static_selectorELNS0_4arch9wavefront6targetE0EEEvT1_,@function
_ZN7rocprim17ROCPRIM_400000_NS6detail17trampoline_kernelINS0_14default_configENS1_20scan_config_selectorIlEEZZNS1_9scan_implILNS1_25lookback_scan_determinismE0ELb0ELb0ES3_PlS8_lN6thrust23THRUST_200600_302600_NS4plusIvEElEEDaPvRmT3_T4_T5_mT6_P12ihipStream_tbENKUlT_T0_E_clISt17integral_constantIbLb0EESQ_EEDaSL_SM_EUlSL_E_NS1_11comp_targetILNS1_3genE5ELNS1_11target_archE942ELNS1_3gpuE9ELNS1_3repE0EEENS1_30default_config_static_selectorELNS0_4arch9wavefront6targetE0EEEvT1_: ; @_ZN7rocprim17ROCPRIM_400000_NS6detail17trampoline_kernelINS0_14default_configENS1_20scan_config_selectorIlEEZZNS1_9scan_implILNS1_25lookback_scan_determinismE0ELb0ELb0ES3_PlS8_lN6thrust23THRUST_200600_302600_NS4plusIvEElEEDaPvRmT3_T4_T5_mT6_P12ihipStream_tbENKUlT_T0_E_clISt17integral_constantIbLb0EESQ_EEDaSL_SM_EUlSL_E_NS1_11comp_targetILNS1_3genE5ELNS1_11target_archE942ELNS1_3gpuE9ELNS1_3repE0EEENS1_30default_config_static_selectorELNS0_4arch9wavefront6targetE0EEEvT1_
; %bb.0:
	.section	.rodata,"a",@progbits
	.p2align	6, 0x0
	.amdhsa_kernel _ZN7rocprim17ROCPRIM_400000_NS6detail17trampoline_kernelINS0_14default_configENS1_20scan_config_selectorIlEEZZNS1_9scan_implILNS1_25lookback_scan_determinismE0ELb0ELb0ES3_PlS8_lN6thrust23THRUST_200600_302600_NS4plusIvEElEEDaPvRmT3_T4_T5_mT6_P12ihipStream_tbENKUlT_T0_E_clISt17integral_constantIbLb0EESQ_EEDaSL_SM_EUlSL_E_NS1_11comp_targetILNS1_3genE5ELNS1_11target_archE942ELNS1_3gpuE9ELNS1_3repE0EEENS1_30default_config_static_selectorELNS0_4arch9wavefront6targetE0EEEvT1_
		.amdhsa_group_segment_fixed_size 0
		.amdhsa_private_segment_fixed_size 0
		.amdhsa_kernarg_size 104
		.amdhsa_user_sgpr_count 15
		.amdhsa_user_sgpr_dispatch_ptr 0
		.amdhsa_user_sgpr_queue_ptr 0
		.amdhsa_user_sgpr_kernarg_segment_ptr 1
		.amdhsa_user_sgpr_dispatch_id 0
		.amdhsa_user_sgpr_private_segment_size 0
		.amdhsa_wavefront_size32 1
		.amdhsa_uses_dynamic_stack 0
		.amdhsa_enable_private_segment 0
		.amdhsa_system_sgpr_workgroup_id_x 1
		.amdhsa_system_sgpr_workgroup_id_y 0
		.amdhsa_system_sgpr_workgroup_id_z 0
		.amdhsa_system_sgpr_workgroup_info 0
		.amdhsa_system_vgpr_workitem_id 0
		.amdhsa_next_free_vgpr 1
		.amdhsa_next_free_sgpr 1
		.amdhsa_reserve_vcc 0
		.amdhsa_float_round_mode_32 0
		.amdhsa_float_round_mode_16_64 0
		.amdhsa_float_denorm_mode_32 3
		.amdhsa_float_denorm_mode_16_64 3
		.amdhsa_dx10_clamp 1
		.amdhsa_ieee_mode 1
		.amdhsa_fp16_overflow 0
		.amdhsa_workgroup_processor_mode 1
		.amdhsa_memory_ordered 1
		.amdhsa_forward_progress 0
		.amdhsa_shared_vgpr_count 0
		.amdhsa_exception_fp_ieee_invalid_op 0
		.amdhsa_exception_fp_denorm_src 0
		.amdhsa_exception_fp_ieee_div_zero 0
		.amdhsa_exception_fp_ieee_overflow 0
		.amdhsa_exception_fp_ieee_underflow 0
		.amdhsa_exception_fp_ieee_inexact 0
		.amdhsa_exception_int_div_zero 0
	.end_amdhsa_kernel
	.section	.text._ZN7rocprim17ROCPRIM_400000_NS6detail17trampoline_kernelINS0_14default_configENS1_20scan_config_selectorIlEEZZNS1_9scan_implILNS1_25lookback_scan_determinismE0ELb0ELb0ES3_PlS8_lN6thrust23THRUST_200600_302600_NS4plusIvEElEEDaPvRmT3_T4_T5_mT6_P12ihipStream_tbENKUlT_T0_E_clISt17integral_constantIbLb0EESQ_EEDaSL_SM_EUlSL_E_NS1_11comp_targetILNS1_3genE5ELNS1_11target_archE942ELNS1_3gpuE9ELNS1_3repE0EEENS1_30default_config_static_selectorELNS0_4arch9wavefront6targetE0EEEvT1_,"axG",@progbits,_ZN7rocprim17ROCPRIM_400000_NS6detail17trampoline_kernelINS0_14default_configENS1_20scan_config_selectorIlEEZZNS1_9scan_implILNS1_25lookback_scan_determinismE0ELb0ELb0ES3_PlS8_lN6thrust23THRUST_200600_302600_NS4plusIvEElEEDaPvRmT3_T4_T5_mT6_P12ihipStream_tbENKUlT_T0_E_clISt17integral_constantIbLb0EESQ_EEDaSL_SM_EUlSL_E_NS1_11comp_targetILNS1_3genE5ELNS1_11target_archE942ELNS1_3gpuE9ELNS1_3repE0EEENS1_30default_config_static_selectorELNS0_4arch9wavefront6targetE0EEEvT1_,comdat
.Lfunc_end85:
	.size	_ZN7rocprim17ROCPRIM_400000_NS6detail17trampoline_kernelINS0_14default_configENS1_20scan_config_selectorIlEEZZNS1_9scan_implILNS1_25lookback_scan_determinismE0ELb0ELb0ES3_PlS8_lN6thrust23THRUST_200600_302600_NS4plusIvEElEEDaPvRmT3_T4_T5_mT6_P12ihipStream_tbENKUlT_T0_E_clISt17integral_constantIbLb0EESQ_EEDaSL_SM_EUlSL_E_NS1_11comp_targetILNS1_3genE5ELNS1_11target_archE942ELNS1_3gpuE9ELNS1_3repE0EEENS1_30default_config_static_selectorELNS0_4arch9wavefront6targetE0EEEvT1_, .Lfunc_end85-_ZN7rocprim17ROCPRIM_400000_NS6detail17trampoline_kernelINS0_14default_configENS1_20scan_config_selectorIlEEZZNS1_9scan_implILNS1_25lookback_scan_determinismE0ELb0ELb0ES3_PlS8_lN6thrust23THRUST_200600_302600_NS4plusIvEElEEDaPvRmT3_T4_T5_mT6_P12ihipStream_tbENKUlT_T0_E_clISt17integral_constantIbLb0EESQ_EEDaSL_SM_EUlSL_E_NS1_11comp_targetILNS1_3genE5ELNS1_11target_archE942ELNS1_3gpuE9ELNS1_3repE0EEENS1_30default_config_static_selectorELNS0_4arch9wavefront6targetE0EEEvT1_
                                        ; -- End function
	.section	.AMDGPU.csdata,"",@progbits
; Kernel info:
; codeLenInByte = 0
; NumSgprs: 0
; NumVgprs: 0
; ScratchSize: 0
; MemoryBound: 0
; FloatMode: 240
; IeeeMode: 1
; LDSByteSize: 0 bytes/workgroup (compile time only)
; SGPRBlocks: 0
; VGPRBlocks: 0
; NumSGPRsForWavesPerEU: 1
; NumVGPRsForWavesPerEU: 1
; Occupancy: 16
; WaveLimiterHint : 0
; COMPUTE_PGM_RSRC2:SCRATCH_EN: 0
; COMPUTE_PGM_RSRC2:USER_SGPR: 15
; COMPUTE_PGM_RSRC2:TRAP_HANDLER: 0
; COMPUTE_PGM_RSRC2:TGID_X_EN: 1
; COMPUTE_PGM_RSRC2:TGID_Y_EN: 0
; COMPUTE_PGM_RSRC2:TGID_Z_EN: 0
; COMPUTE_PGM_RSRC2:TIDIG_COMP_CNT: 0
	.section	.text._ZN7rocprim17ROCPRIM_400000_NS6detail17trampoline_kernelINS0_14default_configENS1_20scan_config_selectorIlEEZZNS1_9scan_implILNS1_25lookback_scan_determinismE0ELb0ELb0ES3_PlS8_lN6thrust23THRUST_200600_302600_NS4plusIvEElEEDaPvRmT3_T4_T5_mT6_P12ihipStream_tbENKUlT_T0_E_clISt17integral_constantIbLb0EESQ_EEDaSL_SM_EUlSL_E_NS1_11comp_targetILNS1_3genE4ELNS1_11target_archE910ELNS1_3gpuE8ELNS1_3repE0EEENS1_30default_config_static_selectorELNS0_4arch9wavefront6targetE0EEEvT1_,"axG",@progbits,_ZN7rocprim17ROCPRIM_400000_NS6detail17trampoline_kernelINS0_14default_configENS1_20scan_config_selectorIlEEZZNS1_9scan_implILNS1_25lookback_scan_determinismE0ELb0ELb0ES3_PlS8_lN6thrust23THRUST_200600_302600_NS4plusIvEElEEDaPvRmT3_T4_T5_mT6_P12ihipStream_tbENKUlT_T0_E_clISt17integral_constantIbLb0EESQ_EEDaSL_SM_EUlSL_E_NS1_11comp_targetILNS1_3genE4ELNS1_11target_archE910ELNS1_3gpuE8ELNS1_3repE0EEENS1_30default_config_static_selectorELNS0_4arch9wavefront6targetE0EEEvT1_,comdat
	.protected	_ZN7rocprim17ROCPRIM_400000_NS6detail17trampoline_kernelINS0_14default_configENS1_20scan_config_selectorIlEEZZNS1_9scan_implILNS1_25lookback_scan_determinismE0ELb0ELb0ES3_PlS8_lN6thrust23THRUST_200600_302600_NS4plusIvEElEEDaPvRmT3_T4_T5_mT6_P12ihipStream_tbENKUlT_T0_E_clISt17integral_constantIbLb0EESQ_EEDaSL_SM_EUlSL_E_NS1_11comp_targetILNS1_3genE4ELNS1_11target_archE910ELNS1_3gpuE8ELNS1_3repE0EEENS1_30default_config_static_selectorELNS0_4arch9wavefront6targetE0EEEvT1_ ; -- Begin function _ZN7rocprim17ROCPRIM_400000_NS6detail17trampoline_kernelINS0_14default_configENS1_20scan_config_selectorIlEEZZNS1_9scan_implILNS1_25lookback_scan_determinismE0ELb0ELb0ES3_PlS8_lN6thrust23THRUST_200600_302600_NS4plusIvEElEEDaPvRmT3_T4_T5_mT6_P12ihipStream_tbENKUlT_T0_E_clISt17integral_constantIbLb0EESQ_EEDaSL_SM_EUlSL_E_NS1_11comp_targetILNS1_3genE4ELNS1_11target_archE910ELNS1_3gpuE8ELNS1_3repE0EEENS1_30default_config_static_selectorELNS0_4arch9wavefront6targetE0EEEvT1_
	.globl	_ZN7rocprim17ROCPRIM_400000_NS6detail17trampoline_kernelINS0_14default_configENS1_20scan_config_selectorIlEEZZNS1_9scan_implILNS1_25lookback_scan_determinismE0ELb0ELb0ES3_PlS8_lN6thrust23THRUST_200600_302600_NS4plusIvEElEEDaPvRmT3_T4_T5_mT6_P12ihipStream_tbENKUlT_T0_E_clISt17integral_constantIbLb0EESQ_EEDaSL_SM_EUlSL_E_NS1_11comp_targetILNS1_3genE4ELNS1_11target_archE910ELNS1_3gpuE8ELNS1_3repE0EEENS1_30default_config_static_selectorELNS0_4arch9wavefront6targetE0EEEvT1_
	.p2align	8
	.type	_ZN7rocprim17ROCPRIM_400000_NS6detail17trampoline_kernelINS0_14default_configENS1_20scan_config_selectorIlEEZZNS1_9scan_implILNS1_25lookback_scan_determinismE0ELb0ELb0ES3_PlS8_lN6thrust23THRUST_200600_302600_NS4plusIvEElEEDaPvRmT3_T4_T5_mT6_P12ihipStream_tbENKUlT_T0_E_clISt17integral_constantIbLb0EESQ_EEDaSL_SM_EUlSL_E_NS1_11comp_targetILNS1_3genE4ELNS1_11target_archE910ELNS1_3gpuE8ELNS1_3repE0EEENS1_30default_config_static_selectorELNS0_4arch9wavefront6targetE0EEEvT1_,@function
_ZN7rocprim17ROCPRIM_400000_NS6detail17trampoline_kernelINS0_14default_configENS1_20scan_config_selectorIlEEZZNS1_9scan_implILNS1_25lookback_scan_determinismE0ELb0ELb0ES3_PlS8_lN6thrust23THRUST_200600_302600_NS4plusIvEElEEDaPvRmT3_T4_T5_mT6_P12ihipStream_tbENKUlT_T0_E_clISt17integral_constantIbLb0EESQ_EEDaSL_SM_EUlSL_E_NS1_11comp_targetILNS1_3genE4ELNS1_11target_archE910ELNS1_3gpuE8ELNS1_3repE0EEENS1_30default_config_static_selectorELNS0_4arch9wavefront6targetE0EEEvT1_: ; @_ZN7rocprim17ROCPRIM_400000_NS6detail17trampoline_kernelINS0_14default_configENS1_20scan_config_selectorIlEEZZNS1_9scan_implILNS1_25lookback_scan_determinismE0ELb0ELb0ES3_PlS8_lN6thrust23THRUST_200600_302600_NS4plusIvEElEEDaPvRmT3_T4_T5_mT6_P12ihipStream_tbENKUlT_T0_E_clISt17integral_constantIbLb0EESQ_EEDaSL_SM_EUlSL_E_NS1_11comp_targetILNS1_3genE4ELNS1_11target_archE910ELNS1_3gpuE8ELNS1_3repE0EEENS1_30default_config_static_selectorELNS0_4arch9wavefront6targetE0EEEvT1_
; %bb.0:
	.section	.rodata,"a",@progbits
	.p2align	6, 0x0
	.amdhsa_kernel _ZN7rocprim17ROCPRIM_400000_NS6detail17trampoline_kernelINS0_14default_configENS1_20scan_config_selectorIlEEZZNS1_9scan_implILNS1_25lookback_scan_determinismE0ELb0ELb0ES3_PlS8_lN6thrust23THRUST_200600_302600_NS4plusIvEElEEDaPvRmT3_T4_T5_mT6_P12ihipStream_tbENKUlT_T0_E_clISt17integral_constantIbLb0EESQ_EEDaSL_SM_EUlSL_E_NS1_11comp_targetILNS1_3genE4ELNS1_11target_archE910ELNS1_3gpuE8ELNS1_3repE0EEENS1_30default_config_static_selectorELNS0_4arch9wavefront6targetE0EEEvT1_
		.amdhsa_group_segment_fixed_size 0
		.amdhsa_private_segment_fixed_size 0
		.amdhsa_kernarg_size 104
		.amdhsa_user_sgpr_count 15
		.amdhsa_user_sgpr_dispatch_ptr 0
		.amdhsa_user_sgpr_queue_ptr 0
		.amdhsa_user_sgpr_kernarg_segment_ptr 1
		.amdhsa_user_sgpr_dispatch_id 0
		.amdhsa_user_sgpr_private_segment_size 0
		.amdhsa_wavefront_size32 1
		.amdhsa_uses_dynamic_stack 0
		.amdhsa_enable_private_segment 0
		.amdhsa_system_sgpr_workgroup_id_x 1
		.amdhsa_system_sgpr_workgroup_id_y 0
		.amdhsa_system_sgpr_workgroup_id_z 0
		.amdhsa_system_sgpr_workgroup_info 0
		.amdhsa_system_vgpr_workitem_id 0
		.amdhsa_next_free_vgpr 1
		.amdhsa_next_free_sgpr 1
		.amdhsa_reserve_vcc 0
		.amdhsa_float_round_mode_32 0
		.amdhsa_float_round_mode_16_64 0
		.amdhsa_float_denorm_mode_32 3
		.amdhsa_float_denorm_mode_16_64 3
		.amdhsa_dx10_clamp 1
		.amdhsa_ieee_mode 1
		.amdhsa_fp16_overflow 0
		.amdhsa_workgroup_processor_mode 1
		.amdhsa_memory_ordered 1
		.amdhsa_forward_progress 0
		.amdhsa_shared_vgpr_count 0
		.amdhsa_exception_fp_ieee_invalid_op 0
		.amdhsa_exception_fp_denorm_src 0
		.amdhsa_exception_fp_ieee_div_zero 0
		.amdhsa_exception_fp_ieee_overflow 0
		.amdhsa_exception_fp_ieee_underflow 0
		.amdhsa_exception_fp_ieee_inexact 0
		.amdhsa_exception_int_div_zero 0
	.end_amdhsa_kernel
	.section	.text._ZN7rocprim17ROCPRIM_400000_NS6detail17trampoline_kernelINS0_14default_configENS1_20scan_config_selectorIlEEZZNS1_9scan_implILNS1_25lookback_scan_determinismE0ELb0ELb0ES3_PlS8_lN6thrust23THRUST_200600_302600_NS4plusIvEElEEDaPvRmT3_T4_T5_mT6_P12ihipStream_tbENKUlT_T0_E_clISt17integral_constantIbLb0EESQ_EEDaSL_SM_EUlSL_E_NS1_11comp_targetILNS1_3genE4ELNS1_11target_archE910ELNS1_3gpuE8ELNS1_3repE0EEENS1_30default_config_static_selectorELNS0_4arch9wavefront6targetE0EEEvT1_,"axG",@progbits,_ZN7rocprim17ROCPRIM_400000_NS6detail17trampoline_kernelINS0_14default_configENS1_20scan_config_selectorIlEEZZNS1_9scan_implILNS1_25lookback_scan_determinismE0ELb0ELb0ES3_PlS8_lN6thrust23THRUST_200600_302600_NS4plusIvEElEEDaPvRmT3_T4_T5_mT6_P12ihipStream_tbENKUlT_T0_E_clISt17integral_constantIbLb0EESQ_EEDaSL_SM_EUlSL_E_NS1_11comp_targetILNS1_3genE4ELNS1_11target_archE910ELNS1_3gpuE8ELNS1_3repE0EEENS1_30default_config_static_selectorELNS0_4arch9wavefront6targetE0EEEvT1_,comdat
.Lfunc_end86:
	.size	_ZN7rocprim17ROCPRIM_400000_NS6detail17trampoline_kernelINS0_14default_configENS1_20scan_config_selectorIlEEZZNS1_9scan_implILNS1_25lookback_scan_determinismE0ELb0ELb0ES3_PlS8_lN6thrust23THRUST_200600_302600_NS4plusIvEElEEDaPvRmT3_T4_T5_mT6_P12ihipStream_tbENKUlT_T0_E_clISt17integral_constantIbLb0EESQ_EEDaSL_SM_EUlSL_E_NS1_11comp_targetILNS1_3genE4ELNS1_11target_archE910ELNS1_3gpuE8ELNS1_3repE0EEENS1_30default_config_static_selectorELNS0_4arch9wavefront6targetE0EEEvT1_, .Lfunc_end86-_ZN7rocprim17ROCPRIM_400000_NS6detail17trampoline_kernelINS0_14default_configENS1_20scan_config_selectorIlEEZZNS1_9scan_implILNS1_25lookback_scan_determinismE0ELb0ELb0ES3_PlS8_lN6thrust23THRUST_200600_302600_NS4plusIvEElEEDaPvRmT3_T4_T5_mT6_P12ihipStream_tbENKUlT_T0_E_clISt17integral_constantIbLb0EESQ_EEDaSL_SM_EUlSL_E_NS1_11comp_targetILNS1_3genE4ELNS1_11target_archE910ELNS1_3gpuE8ELNS1_3repE0EEENS1_30default_config_static_selectorELNS0_4arch9wavefront6targetE0EEEvT1_
                                        ; -- End function
	.section	.AMDGPU.csdata,"",@progbits
; Kernel info:
; codeLenInByte = 0
; NumSgprs: 0
; NumVgprs: 0
; ScratchSize: 0
; MemoryBound: 0
; FloatMode: 240
; IeeeMode: 1
; LDSByteSize: 0 bytes/workgroup (compile time only)
; SGPRBlocks: 0
; VGPRBlocks: 0
; NumSGPRsForWavesPerEU: 1
; NumVGPRsForWavesPerEU: 1
; Occupancy: 16
; WaveLimiterHint : 0
; COMPUTE_PGM_RSRC2:SCRATCH_EN: 0
; COMPUTE_PGM_RSRC2:USER_SGPR: 15
; COMPUTE_PGM_RSRC2:TRAP_HANDLER: 0
; COMPUTE_PGM_RSRC2:TGID_X_EN: 1
; COMPUTE_PGM_RSRC2:TGID_Y_EN: 0
; COMPUTE_PGM_RSRC2:TGID_Z_EN: 0
; COMPUTE_PGM_RSRC2:TIDIG_COMP_CNT: 0
	.section	.text._ZN7rocprim17ROCPRIM_400000_NS6detail17trampoline_kernelINS0_14default_configENS1_20scan_config_selectorIlEEZZNS1_9scan_implILNS1_25lookback_scan_determinismE0ELb0ELb0ES3_PlS8_lN6thrust23THRUST_200600_302600_NS4plusIvEElEEDaPvRmT3_T4_T5_mT6_P12ihipStream_tbENKUlT_T0_E_clISt17integral_constantIbLb0EESQ_EEDaSL_SM_EUlSL_E_NS1_11comp_targetILNS1_3genE3ELNS1_11target_archE908ELNS1_3gpuE7ELNS1_3repE0EEENS1_30default_config_static_selectorELNS0_4arch9wavefront6targetE0EEEvT1_,"axG",@progbits,_ZN7rocprim17ROCPRIM_400000_NS6detail17trampoline_kernelINS0_14default_configENS1_20scan_config_selectorIlEEZZNS1_9scan_implILNS1_25lookback_scan_determinismE0ELb0ELb0ES3_PlS8_lN6thrust23THRUST_200600_302600_NS4plusIvEElEEDaPvRmT3_T4_T5_mT6_P12ihipStream_tbENKUlT_T0_E_clISt17integral_constantIbLb0EESQ_EEDaSL_SM_EUlSL_E_NS1_11comp_targetILNS1_3genE3ELNS1_11target_archE908ELNS1_3gpuE7ELNS1_3repE0EEENS1_30default_config_static_selectorELNS0_4arch9wavefront6targetE0EEEvT1_,comdat
	.protected	_ZN7rocprim17ROCPRIM_400000_NS6detail17trampoline_kernelINS0_14default_configENS1_20scan_config_selectorIlEEZZNS1_9scan_implILNS1_25lookback_scan_determinismE0ELb0ELb0ES3_PlS8_lN6thrust23THRUST_200600_302600_NS4plusIvEElEEDaPvRmT3_T4_T5_mT6_P12ihipStream_tbENKUlT_T0_E_clISt17integral_constantIbLb0EESQ_EEDaSL_SM_EUlSL_E_NS1_11comp_targetILNS1_3genE3ELNS1_11target_archE908ELNS1_3gpuE7ELNS1_3repE0EEENS1_30default_config_static_selectorELNS0_4arch9wavefront6targetE0EEEvT1_ ; -- Begin function _ZN7rocprim17ROCPRIM_400000_NS6detail17trampoline_kernelINS0_14default_configENS1_20scan_config_selectorIlEEZZNS1_9scan_implILNS1_25lookback_scan_determinismE0ELb0ELb0ES3_PlS8_lN6thrust23THRUST_200600_302600_NS4plusIvEElEEDaPvRmT3_T4_T5_mT6_P12ihipStream_tbENKUlT_T0_E_clISt17integral_constantIbLb0EESQ_EEDaSL_SM_EUlSL_E_NS1_11comp_targetILNS1_3genE3ELNS1_11target_archE908ELNS1_3gpuE7ELNS1_3repE0EEENS1_30default_config_static_selectorELNS0_4arch9wavefront6targetE0EEEvT1_
	.globl	_ZN7rocprim17ROCPRIM_400000_NS6detail17trampoline_kernelINS0_14default_configENS1_20scan_config_selectorIlEEZZNS1_9scan_implILNS1_25lookback_scan_determinismE0ELb0ELb0ES3_PlS8_lN6thrust23THRUST_200600_302600_NS4plusIvEElEEDaPvRmT3_T4_T5_mT6_P12ihipStream_tbENKUlT_T0_E_clISt17integral_constantIbLb0EESQ_EEDaSL_SM_EUlSL_E_NS1_11comp_targetILNS1_3genE3ELNS1_11target_archE908ELNS1_3gpuE7ELNS1_3repE0EEENS1_30default_config_static_selectorELNS0_4arch9wavefront6targetE0EEEvT1_
	.p2align	8
	.type	_ZN7rocprim17ROCPRIM_400000_NS6detail17trampoline_kernelINS0_14default_configENS1_20scan_config_selectorIlEEZZNS1_9scan_implILNS1_25lookback_scan_determinismE0ELb0ELb0ES3_PlS8_lN6thrust23THRUST_200600_302600_NS4plusIvEElEEDaPvRmT3_T4_T5_mT6_P12ihipStream_tbENKUlT_T0_E_clISt17integral_constantIbLb0EESQ_EEDaSL_SM_EUlSL_E_NS1_11comp_targetILNS1_3genE3ELNS1_11target_archE908ELNS1_3gpuE7ELNS1_3repE0EEENS1_30default_config_static_selectorELNS0_4arch9wavefront6targetE0EEEvT1_,@function
_ZN7rocprim17ROCPRIM_400000_NS6detail17trampoline_kernelINS0_14default_configENS1_20scan_config_selectorIlEEZZNS1_9scan_implILNS1_25lookback_scan_determinismE0ELb0ELb0ES3_PlS8_lN6thrust23THRUST_200600_302600_NS4plusIvEElEEDaPvRmT3_T4_T5_mT6_P12ihipStream_tbENKUlT_T0_E_clISt17integral_constantIbLb0EESQ_EEDaSL_SM_EUlSL_E_NS1_11comp_targetILNS1_3genE3ELNS1_11target_archE908ELNS1_3gpuE7ELNS1_3repE0EEENS1_30default_config_static_selectorELNS0_4arch9wavefront6targetE0EEEvT1_: ; @_ZN7rocprim17ROCPRIM_400000_NS6detail17trampoline_kernelINS0_14default_configENS1_20scan_config_selectorIlEEZZNS1_9scan_implILNS1_25lookback_scan_determinismE0ELb0ELb0ES3_PlS8_lN6thrust23THRUST_200600_302600_NS4plusIvEElEEDaPvRmT3_T4_T5_mT6_P12ihipStream_tbENKUlT_T0_E_clISt17integral_constantIbLb0EESQ_EEDaSL_SM_EUlSL_E_NS1_11comp_targetILNS1_3genE3ELNS1_11target_archE908ELNS1_3gpuE7ELNS1_3repE0EEENS1_30default_config_static_selectorELNS0_4arch9wavefront6targetE0EEEvT1_
; %bb.0:
	.section	.rodata,"a",@progbits
	.p2align	6, 0x0
	.amdhsa_kernel _ZN7rocprim17ROCPRIM_400000_NS6detail17trampoline_kernelINS0_14default_configENS1_20scan_config_selectorIlEEZZNS1_9scan_implILNS1_25lookback_scan_determinismE0ELb0ELb0ES3_PlS8_lN6thrust23THRUST_200600_302600_NS4plusIvEElEEDaPvRmT3_T4_T5_mT6_P12ihipStream_tbENKUlT_T0_E_clISt17integral_constantIbLb0EESQ_EEDaSL_SM_EUlSL_E_NS1_11comp_targetILNS1_3genE3ELNS1_11target_archE908ELNS1_3gpuE7ELNS1_3repE0EEENS1_30default_config_static_selectorELNS0_4arch9wavefront6targetE0EEEvT1_
		.amdhsa_group_segment_fixed_size 0
		.amdhsa_private_segment_fixed_size 0
		.amdhsa_kernarg_size 104
		.amdhsa_user_sgpr_count 15
		.amdhsa_user_sgpr_dispatch_ptr 0
		.amdhsa_user_sgpr_queue_ptr 0
		.amdhsa_user_sgpr_kernarg_segment_ptr 1
		.amdhsa_user_sgpr_dispatch_id 0
		.amdhsa_user_sgpr_private_segment_size 0
		.amdhsa_wavefront_size32 1
		.amdhsa_uses_dynamic_stack 0
		.amdhsa_enable_private_segment 0
		.amdhsa_system_sgpr_workgroup_id_x 1
		.amdhsa_system_sgpr_workgroup_id_y 0
		.amdhsa_system_sgpr_workgroup_id_z 0
		.amdhsa_system_sgpr_workgroup_info 0
		.amdhsa_system_vgpr_workitem_id 0
		.amdhsa_next_free_vgpr 1
		.amdhsa_next_free_sgpr 1
		.amdhsa_reserve_vcc 0
		.amdhsa_float_round_mode_32 0
		.amdhsa_float_round_mode_16_64 0
		.amdhsa_float_denorm_mode_32 3
		.amdhsa_float_denorm_mode_16_64 3
		.amdhsa_dx10_clamp 1
		.amdhsa_ieee_mode 1
		.amdhsa_fp16_overflow 0
		.amdhsa_workgroup_processor_mode 1
		.amdhsa_memory_ordered 1
		.amdhsa_forward_progress 0
		.amdhsa_shared_vgpr_count 0
		.amdhsa_exception_fp_ieee_invalid_op 0
		.amdhsa_exception_fp_denorm_src 0
		.amdhsa_exception_fp_ieee_div_zero 0
		.amdhsa_exception_fp_ieee_overflow 0
		.amdhsa_exception_fp_ieee_underflow 0
		.amdhsa_exception_fp_ieee_inexact 0
		.amdhsa_exception_int_div_zero 0
	.end_amdhsa_kernel
	.section	.text._ZN7rocprim17ROCPRIM_400000_NS6detail17trampoline_kernelINS0_14default_configENS1_20scan_config_selectorIlEEZZNS1_9scan_implILNS1_25lookback_scan_determinismE0ELb0ELb0ES3_PlS8_lN6thrust23THRUST_200600_302600_NS4plusIvEElEEDaPvRmT3_T4_T5_mT6_P12ihipStream_tbENKUlT_T0_E_clISt17integral_constantIbLb0EESQ_EEDaSL_SM_EUlSL_E_NS1_11comp_targetILNS1_3genE3ELNS1_11target_archE908ELNS1_3gpuE7ELNS1_3repE0EEENS1_30default_config_static_selectorELNS0_4arch9wavefront6targetE0EEEvT1_,"axG",@progbits,_ZN7rocprim17ROCPRIM_400000_NS6detail17trampoline_kernelINS0_14default_configENS1_20scan_config_selectorIlEEZZNS1_9scan_implILNS1_25lookback_scan_determinismE0ELb0ELb0ES3_PlS8_lN6thrust23THRUST_200600_302600_NS4plusIvEElEEDaPvRmT3_T4_T5_mT6_P12ihipStream_tbENKUlT_T0_E_clISt17integral_constantIbLb0EESQ_EEDaSL_SM_EUlSL_E_NS1_11comp_targetILNS1_3genE3ELNS1_11target_archE908ELNS1_3gpuE7ELNS1_3repE0EEENS1_30default_config_static_selectorELNS0_4arch9wavefront6targetE0EEEvT1_,comdat
.Lfunc_end87:
	.size	_ZN7rocprim17ROCPRIM_400000_NS6detail17trampoline_kernelINS0_14default_configENS1_20scan_config_selectorIlEEZZNS1_9scan_implILNS1_25lookback_scan_determinismE0ELb0ELb0ES3_PlS8_lN6thrust23THRUST_200600_302600_NS4plusIvEElEEDaPvRmT3_T4_T5_mT6_P12ihipStream_tbENKUlT_T0_E_clISt17integral_constantIbLb0EESQ_EEDaSL_SM_EUlSL_E_NS1_11comp_targetILNS1_3genE3ELNS1_11target_archE908ELNS1_3gpuE7ELNS1_3repE0EEENS1_30default_config_static_selectorELNS0_4arch9wavefront6targetE0EEEvT1_, .Lfunc_end87-_ZN7rocprim17ROCPRIM_400000_NS6detail17trampoline_kernelINS0_14default_configENS1_20scan_config_selectorIlEEZZNS1_9scan_implILNS1_25lookback_scan_determinismE0ELb0ELb0ES3_PlS8_lN6thrust23THRUST_200600_302600_NS4plusIvEElEEDaPvRmT3_T4_T5_mT6_P12ihipStream_tbENKUlT_T0_E_clISt17integral_constantIbLb0EESQ_EEDaSL_SM_EUlSL_E_NS1_11comp_targetILNS1_3genE3ELNS1_11target_archE908ELNS1_3gpuE7ELNS1_3repE0EEENS1_30default_config_static_selectorELNS0_4arch9wavefront6targetE0EEEvT1_
                                        ; -- End function
	.section	.AMDGPU.csdata,"",@progbits
; Kernel info:
; codeLenInByte = 0
; NumSgprs: 0
; NumVgprs: 0
; ScratchSize: 0
; MemoryBound: 0
; FloatMode: 240
; IeeeMode: 1
; LDSByteSize: 0 bytes/workgroup (compile time only)
; SGPRBlocks: 0
; VGPRBlocks: 0
; NumSGPRsForWavesPerEU: 1
; NumVGPRsForWavesPerEU: 1
; Occupancy: 16
; WaveLimiterHint : 0
; COMPUTE_PGM_RSRC2:SCRATCH_EN: 0
; COMPUTE_PGM_RSRC2:USER_SGPR: 15
; COMPUTE_PGM_RSRC2:TRAP_HANDLER: 0
; COMPUTE_PGM_RSRC2:TGID_X_EN: 1
; COMPUTE_PGM_RSRC2:TGID_Y_EN: 0
; COMPUTE_PGM_RSRC2:TGID_Z_EN: 0
; COMPUTE_PGM_RSRC2:TIDIG_COMP_CNT: 0
	.section	.text._ZN7rocprim17ROCPRIM_400000_NS6detail17trampoline_kernelINS0_14default_configENS1_20scan_config_selectorIlEEZZNS1_9scan_implILNS1_25lookback_scan_determinismE0ELb0ELb0ES3_PlS8_lN6thrust23THRUST_200600_302600_NS4plusIvEElEEDaPvRmT3_T4_T5_mT6_P12ihipStream_tbENKUlT_T0_E_clISt17integral_constantIbLb0EESQ_EEDaSL_SM_EUlSL_E_NS1_11comp_targetILNS1_3genE2ELNS1_11target_archE906ELNS1_3gpuE6ELNS1_3repE0EEENS1_30default_config_static_selectorELNS0_4arch9wavefront6targetE0EEEvT1_,"axG",@progbits,_ZN7rocprim17ROCPRIM_400000_NS6detail17trampoline_kernelINS0_14default_configENS1_20scan_config_selectorIlEEZZNS1_9scan_implILNS1_25lookback_scan_determinismE0ELb0ELb0ES3_PlS8_lN6thrust23THRUST_200600_302600_NS4plusIvEElEEDaPvRmT3_T4_T5_mT6_P12ihipStream_tbENKUlT_T0_E_clISt17integral_constantIbLb0EESQ_EEDaSL_SM_EUlSL_E_NS1_11comp_targetILNS1_3genE2ELNS1_11target_archE906ELNS1_3gpuE6ELNS1_3repE0EEENS1_30default_config_static_selectorELNS0_4arch9wavefront6targetE0EEEvT1_,comdat
	.protected	_ZN7rocprim17ROCPRIM_400000_NS6detail17trampoline_kernelINS0_14default_configENS1_20scan_config_selectorIlEEZZNS1_9scan_implILNS1_25lookback_scan_determinismE0ELb0ELb0ES3_PlS8_lN6thrust23THRUST_200600_302600_NS4plusIvEElEEDaPvRmT3_T4_T5_mT6_P12ihipStream_tbENKUlT_T0_E_clISt17integral_constantIbLb0EESQ_EEDaSL_SM_EUlSL_E_NS1_11comp_targetILNS1_3genE2ELNS1_11target_archE906ELNS1_3gpuE6ELNS1_3repE0EEENS1_30default_config_static_selectorELNS0_4arch9wavefront6targetE0EEEvT1_ ; -- Begin function _ZN7rocprim17ROCPRIM_400000_NS6detail17trampoline_kernelINS0_14default_configENS1_20scan_config_selectorIlEEZZNS1_9scan_implILNS1_25lookback_scan_determinismE0ELb0ELb0ES3_PlS8_lN6thrust23THRUST_200600_302600_NS4plusIvEElEEDaPvRmT3_T4_T5_mT6_P12ihipStream_tbENKUlT_T0_E_clISt17integral_constantIbLb0EESQ_EEDaSL_SM_EUlSL_E_NS1_11comp_targetILNS1_3genE2ELNS1_11target_archE906ELNS1_3gpuE6ELNS1_3repE0EEENS1_30default_config_static_selectorELNS0_4arch9wavefront6targetE0EEEvT1_
	.globl	_ZN7rocprim17ROCPRIM_400000_NS6detail17trampoline_kernelINS0_14default_configENS1_20scan_config_selectorIlEEZZNS1_9scan_implILNS1_25lookback_scan_determinismE0ELb0ELb0ES3_PlS8_lN6thrust23THRUST_200600_302600_NS4plusIvEElEEDaPvRmT3_T4_T5_mT6_P12ihipStream_tbENKUlT_T0_E_clISt17integral_constantIbLb0EESQ_EEDaSL_SM_EUlSL_E_NS1_11comp_targetILNS1_3genE2ELNS1_11target_archE906ELNS1_3gpuE6ELNS1_3repE0EEENS1_30default_config_static_selectorELNS0_4arch9wavefront6targetE0EEEvT1_
	.p2align	8
	.type	_ZN7rocprim17ROCPRIM_400000_NS6detail17trampoline_kernelINS0_14default_configENS1_20scan_config_selectorIlEEZZNS1_9scan_implILNS1_25lookback_scan_determinismE0ELb0ELb0ES3_PlS8_lN6thrust23THRUST_200600_302600_NS4plusIvEElEEDaPvRmT3_T4_T5_mT6_P12ihipStream_tbENKUlT_T0_E_clISt17integral_constantIbLb0EESQ_EEDaSL_SM_EUlSL_E_NS1_11comp_targetILNS1_3genE2ELNS1_11target_archE906ELNS1_3gpuE6ELNS1_3repE0EEENS1_30default_config_static_selectorELNS0_4arch9wavefront6targetE0EEEvT1_,@function
_ZN7rocprim17ROCPRIM_400000_NS6detail17trampoline_kernelINS0_14default_configENS1_20scan_config_selectorIlEEZZNS1_9scan_implILNS1_25lookback_scan_determinismE0ELb0ELb0ES3_PlS8_lN6thrust23THRUST_200600_302600_NS4plusIvEElEEDaPvRmT3_T4_T5_mT6_P12ihipStream_tbENKUlT_T0_E_clISt17integral_constantIbLb0EESQ_EEDaSL_SM_EUlSL_E_NS1_11comp_targetILNS1_3genE2ELNS1_11target_archE906ELNS1_3gpuE6ELNS1_3repE0EEENS1_30default_config_static_selectorELNS0_4arch9wavefront6targetE0EEEvT1_: ; @_ZN7rocprim17ROCPRIM_400000_NS6detail17trampoline_kernelINS0_14default_configENS1_20scan_config_selectorIlEEZZNS1_9scan_implILNS1_25lookback_scan_determinismE0ELb0ELb0ES3_PlS8_lN6thrust23THRUST_200600_302600_NS4plusIvEElEEDaPvRmT3_T4_T5_mT6_P12ihipStream_tbENKUlT_T0_E_clISt17integral_constantIbLb0EESQ_EEDaSL_SM_EUlSL_E_NS1_11comp_targetILNS1_3genE2ELNS1_11target_archE906ELNS1_3gpuE6ELNS1_3repE0EEENS1_30default_config_static_selectorELNS0_4arch9wavefront6targetE0EEEvT1_
; %bb.0:
	.section	.rodata,"a",@progbits
	.p2align	6, 0x0
	.amdhsa_kernel _ZN7rocprim17ROCPRIM_400000_NS6detail17trampoline_kernelINS0_14default_configENS1_20scan_config_selectorIlEEZZNS1_9scan_implILNS1_25lookback_scan_determinismE0ELb0ELb0ES3_PlS8_lN6thrust23THRUST_200600_302600_NS4plusIvEElEEDaPvRmT3_T4_T5_mT6_P12ihipStream_tbENKUlT_T0_E_clISt17integral_constantIbLb0EESQ_EEDaSL_SM_EUlSL_E_NS1_11comp_targetILNS1_3genE2ELNS1_11target_archE906ELNS1_3gpuE6ELNS1_3repE0EEENS1_30default_config_static_selectorELNS0_4arch9wavefront6targetE0EEEvT1_
		.amdhsa_group_segment_fixed_size 0
		.amdhsa_private_segment_fixed_size 0
		.amdhsa_kernarg_size 104
		.amdhsa_user_sgpr_count 15
		.amdhsa_user_sgpr_dispatch_ptr 0
		.amdhsa_user_sgpr_queue_ptr 0
		.amdhsa_user_sgpr_kernarg_segment_ptr 1
		.amdhsa_user_sgpr_dispatch_id 0
		.amdhsa_user_sgpr_private_segment_size 0
		.amdhsa_wavefront_size32 1
		.amdhsa_uses_dynamic_stack 0
		.amdhsa_enable_private_segment 0
		.amdhsa_system_sgpr_workgroup_id_x 1
		.amdhsa_system_sgpr_workgroup_id_y 0
		.amdhsa_system_sgpr_workgroup_id_z 0
		.amdhsa_system_sgpr_workgroup_info 0
		.amdhsa_system_vgpr_workitem_id 0
		.amdhsa_next_free_vgpr 1
		.amdhsa_next_free_sgpr 1
		.amdhsa_reserve_vcc 0
		.amdhsa_float_round_mode_32 0
		.amdhsa_float_round_mode_16_64 0
		.amdhsa_float_denorm_mode_32 3
		.amdhsa_float_denorm_mode_16_64 3
		.amdhsa_dx10_clamp 1
		.amdhsa_ieee_mode 1
		.amdhsa_fp16_overflow 0
		.amdhsa_workgroup_processor_mode 1
		.amdhsa_memory_ordered 1
		.amdhsa_forward_progress 0
		.amdhsa_shared_vgpr_count 0
		.amdhsa_exception_fp_ieee_invalid_op 0
		.amdhsa_exception_fp_denorm_src 0
		.amdhsa_exception_fp_ieee_div_zero 0
		.amdhsa_exception_fp_ieee_overflow 0
		.amdhsa_exception_fp_ieee_underflow 0
		.amdhsa_exception_fp_ieee_inexact 0
		.amdhsa_exception_int_div_zero 0
	.end_amdhsa_kernel
	.section	.text._ZN7rocprim17ROCPRIM_400000_NS6detail17trampoline_kernelINS0_14default_configENS1_20scan_config_selectorIlEEZZNS1_9scan_implILNS1_25lookback_scan_determinismE0ELb0ELb0ES3_PlS8_lN6thrust23THRUST_200600_302600_NS4plusIvEElEEDaPvRmT3_T4_T5_mT6_P12ihipStream_tbENKUlT_T0_E_clISt17integral_constantIbLb0EESQ_EEDaSL_SM_EUlSL_E_NS1_11comp_targetILNS1_3genE2ELNS1_11target_archE906ELNS1_3gpuE6ELNS1_3repE0EEENS1_30default_config_static_selectorELNS0_4arch9wavefront6targetE0EEEvT1_,"axG",@progbits,_ZN7rocprim17ROCPRIM_400000_NS6detail17trampoline_kernelINS0_14default_configENS1_20scan_config_selectorIlEEZZNS1_9scan_implILNS1_25lookback_scan_determinismE0ELb0ELb0ES3_PlS8_lN6thrust23THRUST_200600_302600_NS4plusIvEElEEDaPvRmT3_T4_T5_mT6_P12ihipStream_tbENKUlT_T0_E_clISt17integral_constantIbLb0EESQ_EEDaSL_SM_EUlSL_E_NS1_11comp_targetILNS1_3genE2ELNS1_11target_archE906ELNS1_3gpuE6ELNS1_3repE0EEENS1_30default_config_static_selectorELNS0_4arch9wavefront6targetE0EEEvT1_,comdat
.Lfunc_end88:
	.size	_ZN7rocprim17ROCPRIM_400000_NS6detail17trampoline_kernelINS0_14default_configENS1_20scan_config_selectorIlEEZZNS1_9scan_implILNS1_25lookback_scan_determinismE0ELb0ELb0ES3_PlS8_lN6thrust23THRUST_200600_302600_NS4plusIvEElEEDaPvRmT3_T4_T5_mT6_P12ihipStream_tbENKUlT_T0_E_clISt17integral_constantIbLb0EESQ_EEDaSL_SM_EUlSL_E_NS1_11comp_targetILNS1_3genE2ELNS1_11target_archE906ELNS1_3gpuE6ELNS1_3repE0EEENS1_30default_config_static_selectorELNS0_4arch9wavefront6targetE0EEEvT1_, .Lfunc_end88-_ZN7rocprim17ROCPRIM_400000_NS6detail17trampoline_kernelINS0_14default_configENS1_20scan_config_selectorIlEEZZNS1_9scan_implILNS1_25lookback_scan_determinismE0ELb0ELb0ES3_PlS8_lN6thrust23THRUST_200600_302600_NS4plusIvEElEEDaPvRmT3_T4_T5_mT6_P12ihipStream_tbENKUlT_T0_E_clISt17integral_constantIbLb0EESQ_EEDaSL_SM_EUlSL_E_NS1_11comp_targetILNS1_3genE2ELNS1_11target_archE906ELNS1_3gpuE6ELNS1_3repE0EEENS1_30default_config_static_selectorELNS0_4arch9wavefront6targetE0EEEvT1_
                                        ; -- End function
	.section	.AMDGPU.csdata,"",@progbits
; Kernel info:
; codeLenInByte = 0
; NumSgprs: 0
; NumVgprs: 0
; ScratchSize: 0
; MemoryBound: 0
; FloatMode: 240
; IeeeMode: 1
; LDSByteSize: 0 bytes/workgroup (compile time only)
; SGPRBlocks: 0
; VGPRBlocks: 0
; NumSGPRsForWavesPerEU: 1
; NumVGPRsForWavesPerEU: 1
; Occupancy: 16
; WaveLimiterHint : 0
; COMPUTE_PGM_RSRC2:SCRATCH_EN: 0
; COMPUTE_PGM_RSRC2:USER_SGPR: 15
; COMPUTE_PGM_RSRC2:TRAP_HANDLER: 0
; COMPUTE_PGM_RSRC2:TGID_X_EN: 1
; COMPUTE_PGM_RSRC2:TGID_Y_EN: 0
; COMPUTE_PGM_RSRC2:TGID_Z_EN: 0
; COMPUTE_PGM_RSRC2:TIDIG_COMP_CNT: 0
	.section	.text._ZN7rocprim17ROCPRIM_400000_NS6detail17trampoline_kernelINS0_14default_configENS1_20scan_config_selectorIlEEZZNS1_9scan_implILNS1_25lookback_scan_determinismE0ELb0ELb0ES3_PlS8_lN6thrust23THRUST_200600_302600_NS4plusIvEElEEDaPvRmT3_T4_T5_mT6_P12ihipStream_tbENKUlT_T0_E_clISt17integral_constantIbLb0EESQ_EEDaSL_SM_EUlSL_E_NS1_11comp_targetILNS1_3genE10ELNS1_11target_archE1201ELNS1_3gpuE5ELNS1_3repE0EEENS1_30default_config_static_selectorELNS0_4arch9wavefront6targetE0EEEvT1_,"axG",@progbits,_ZN7rocprim17ROCPRIM_400000_NS6detail17trampoline_kernelINS0_14default_configENS1_20scan_config_selectorIlEEZZNS1_9scan_implILNS1_25lookback_scan_determinismE0ELb0ELb0ES3_PlS8_lN6thrust23THRUST_200600_302600_NS4plusIvEElEEDaPvRmT3_T4_T5_mT6_P12ihipStream_tbENKUlT_T0_E_clISt17integral_constantIbLb0EESQ_EEDaSL_SM_EUlSL_E_NS1_11comp_targetILNS1_3genE10ELNS1_11target_archE1201ELNS1_3gpuE5ELNS1_3repE0EEENS1_30default_config_static_selectorELNS0_4arch9wavefront6targetE0EEEvT1_,comdat
	.protected	_ZN7rocprim17ROCPRIM_400000_NS6detail17trampoline_kernelINS0_14default_configENS1_20scan_config_selectorIlEEZZNS1_9scan_implILNS1_25lookback_scan_determinismE0ELb0ELb0ES3_PlS8_lN6thrust23THRUST_200600_302600_NS4plusIvEElEEDaPvRmT3_T4_T5_mT6_P12ihipStream_tbENKUlT_T0_E_clISt17integral_constantIbLb0EESQ_EEDaSL_SM_EUlSL_E_NS1_11comp_targetILNS1_3genE10ELNS1_11target_archE1201ELNS1_3gpuE5ELNS1_3repE0EEENS1_30default_config_static_selectorELNS0_4arch9wavefront6targetE0EEEvT1_ ; -- Begin function _ZN7rocprim17ROCPRIM_400000_NS6detail17trampoline_kernelINS0_14default_configENS1_20scan_config_selectorIlEEZZNS1_9scan_implILNS1_25lookback_scan_determinismE0ELb0ELb0ES3_PlS8_lN6thrust23THRUST_200600_302600_NS4plusIvEElEEDaPvRmT3_T4_T5_mT6_P12ihipStream_tbENKUlT_T0_E_clISt17integral_constantIbLb0EESQ_EEDaSL_SM_EUlSL_E_NS1_11comp_targetILNS1_3genE10ELNS1_11target_archE1201ELNS1_3gpuE5ELNS1_3repE0EEENS1_30default_config_static_selectorELNS0_4arch9wavefront6targetE0EEEvT1_
	.globl	_ZN7rocprim17ROCPRIM_400000_NS6detail17trampoline_kernelINS0_14default_configENS1_20scan_config_selectorIlEEZZNS1_9scan_implILNS1_25lookback_scan_determinismE0ELb0ELb0ES3_PlS8_lN6thrust23THRUST_200600_302600_NS4plusIvEElEEDaPvRmT3_T4_T5_mT6_P12ihipStream_tbENKUlT_T0_E_clISt17integral_constantIbLb0EESQ_EEDaSL_SM_EUlSL_E_NS1_11comp_targetILNS1_3genE10ELNS1_11target_archE1201ELNS1_3gpuE5ELNS1_3repE0EEENS1_30default_config_static_selectorELNS0_4arch9wavefront6targetE0EEEvT1_
	.p2align	8
	.type	_ZN7rocprim17ROCPRIM_400000_NS6detail17trampoline_kernelINS0_14default_configENS1_20scan_config_selectorIlEEZZNS1_9scan_implILNS1_25lookback_scan_determinismE0ELb0ELb0ES3_PlS8_lN6thrust23THRUST_200600_302600_NS4plusIvEElEEDaPvRmT3_T4_T5_mT6_P12ihipStream_tbENKUlT_T0_E_clISt17integral_constantIbLb0EESQ_EEDaSL_SM_EUlSL_E_NS1_11comp_targetILNS1_3genE10ELNS1_11target_archE1201ELNS1_3gpuE5ELNS1_3repE0EEENS1_30default_config_static_selectorELNS0_4arch9wavefront6targetE0EEEvT1_,@function
_ZN7rocprim17ROCPRIM_400000_NS6detail17trampoline_kernelINS0_14default_configENS1_20scan_config_selectorIlEEZZNS1_9scan_implILNS1_25lookback_scan_determinismE0ELb0ELb0ES3_PlS8_lN6thrust23THRUST_200600_302600_NS4plusIvEElEEDaPvRmT3_T4_T5_mT6_P12ihipStream_tbENKUlT_T0_E_clISt17integral_constantIbLb0EESQ_EEDaSL_SM_EUlSL_E_NS1_11comp_targetILNS1_3genE10ELNS1_11target_archE1201ELNS1_3gpuE5ELNS1_3repE0EEENS1_30default_config_static_selectorELNS0_4arch9wavefront6targetE0EEEvT1_: ; @_ZN7rocprim17ROCPRIM_400000_NS6detail17trampoline_kernelINS0_14default_configENS1_20scan_config_selectorIlEEZZNS1_9scan_implILNS1_25lookback_scan_determinismE0ELb0ELb0ES3_PlS8_lN6thrust23THRUST_200600_302600_NS4plusIvEElEEDaPvRmT3_T4_T5_mT6_P12ihipStream_tbENKUlT_T0_E_clISt17integral_constantIbLb0EESQ_EEDaSL_SM_EUlSL_E_NS1_11comp_targetILNS1_3genE10ELNS1_11target_archE1201ELNS1_3gpuE5ELNS1_3repE0EEENS1_30default_config_static_selectorELNS0_4arch9wavefront6targetE0EEEvT1_
; %bb.0:
	.section	.rodata,"a",@progbits
	.p2align	6, 0x0
	.amdhsa_kernel _ZN7rocprim17ROCPRIM_400000_NS6detail17trampoline_kernelINS0_14default_configENS1_20scan_config_selectorIlEEZZNS1_9scan_implILNS1_25lookback_scan_determinismE0ELb0ELb0ES3_PlS8_lN6thrust23THRUST_200600_302600_NS4plusIvEElEEDaPvRmT3_T4_T5_mT6_P12ihipStream_tbENKUlT_T0_E_clISt17integral_constantIbLb0EESQ_EEDaSL_SM_EUlSL_E_NS1_11comp_targetILNS1_3genE10ELNS1_11target_archE1201ELNS1_3gpuE5ELNS1_3repE0EEENS1_30default_config_static_selectorELNS0_4arch9wavefront6targetE0EEEvT1_
		.amdhsa_group_segment_fixed_size 0
		.amdhsa_private_segment_fixed_size 0
		.amdhsa_kernarg_size 104
		.amdhsa_user_sgpr_count 15
		.amdhsa_user_sgpr_dispatch_ptr 0
		.amdhsa_user_sgpr_queue_ptr 0
		.amdhsa_user_sgpr_kernarg_segment_ptr 1
		.amdhsa_user_sgpr_dispatch_id 0
		.amdhsa_user_sgpr_private_segment_size 0
		.amdhsa_wavefront_size32 1
		.amdhsa_uses_dynamic_stack 0
		.amdhsa_enable_private_segment 0
		.amdhsa_system_sgpr_workgroup_id_x 1
		.amdhsa_system_sgpr_workgroup_id_y 0
		.amdhsa_system_sgpr_workgroup_id_z 0
		.amdhsa_system_sgpr_workgroup_info 0
		.amdhsa_system_vgpr_workitem_id 0
		.amdhsa_next_free_vgpr 1
		.amdhsa_next_free_sgpr 1
		.amdhsa_reserve_vcc 0
		.amdhsa_float_round_mode_32 0
		.amdhsa_float_round_mode_16_64 0
		.amdhsa_float_denorm_mode_32 3
		.amdhsa_float_denorm_mode_16_64 3
		.amdhsa_dx10_clamp 1
		.amdhsa_ieee_mode 1
		.amdhsa_fp16_overflow 0
		.amdhsa_workgroup_processor_mode 1
		.amdhsa_memory_ordered 1
		.amdhsa_forward_progress 0
		.amdhsa_shared_vgpr_count 0
		.amdhsa_exception_fp_ieee_invalid_op 0
		.amdhsa_exception_fp_denorm_src 0
		.amdhsa_exception_fp_ieee_div_zero 0
		.amdhsa_exception_fp_ieee_overflow 0
		.amdhsa_exception_fp_ieee_underflow 0
		.amdhsa_exception_fp_ieee_inexact 0
		.amdhsa_exception_int_div_zero 0
	.end_amdhsa_kernel
	.section	.text._ZN7rocprim17ROCPRIM_400000_NS6detail17trampoline_kernelINS0_14default_configENS1_20scan_config_selectorIlEEZZNS1_9scan_implILNS1_25lookback_scan_determinismE0ELb0ELb0ES3_PlS8_lN6thrust23THRUST_200600_302600_NS4plusIvEElEEDaPvRmT3_T4_T5_mT6_P12ihipStream_tbENKUlT_T0_E_clISt17integral_constantIbLb0EESQ_EEDaSL_SM_EUlSL_E_NS1_11comp_targetILNS1_3genE10ELNS1_11target_archE1201ELNS1_3gpuE5ELNS1_3repE0EEENS1_30default_config_static_selectorELNS0_4arch9wavefront6targetE0EEEvT1_,"axG",@progbits,_ZN7rocprim17ROCPRIM_400000_NS6detail17trampoline_kernelINS0_14default_configENS1_20scan_config_selectorIlEEZZNS1_9scan_implILNS1_25lookback_scan_determinismE0ELb0ELb0ES3_PlS8_lN6thrust23THRUST_200600_302600_NS4plusIvEElEEDaPvRmT3_T4_T5_mT6_P12ihipStream_tbENKUlT_T0_E_clISt17integral_constantIbLb0EESQ_EEDaSL_SM_EUlSL_E_NS1_11comp_targetILNS1_3genE10ELNS1_11target_archE1201ELNS1_3gpuE5ELNS1_3repE0EEENS1_30default_config_static_selectorELNS0_4arch9wavefront6targetE0EEEvT1_,comdat
.Lfunc_end89:
	.size	_ZN7rocprim17ROCPRIM_400000_NS6detail17trampoline_kernelINS0_14default_configENS1_20scan_config_selectorIlEEZZNS1_9scan_implILNS1_25lookback_scan_determinismE0ELb0ELb0ES3_PlS8_lN6thrust23THRUST_200600_302600_NS4plusIvEElEEDaPvRmT3_T4_T5_mT6_P12ihipStream_tbENKUlT_T0_E_clISt17integral_constantIbLb0EESQ_EEDaSL_SM_EUlSL_E_NS1_11comp_targetILNS1_3genE10ELNS1_11target_archE1201ELNS1_3gpuE5ELNS1_3repE0EEENS1_30default_config_static_selectorELNS0_4arch9wavefront6targetE0EEEvT1_, .Lfunc_end89-_ZN7rocprim17ROCPRIM_400000_NS6detail17trampoline_kernelINS0_14default_configENS1_20scan_config_selectorIlEEZZNS1_9scan_implILNS1_25lookback_scan_determinismE0ELb0ELb0ES3_PlS8_lN6thrust23THRUST_200600_302600_NS4plusIvEElEEDaPvRmT3_T4_T5_mT6_P12ihipStream_tbENKUlT_T0_E_clISt17integral_constantIbLb0EESQ_EEDaSL_SM_EUlSL_E_NS1_11comp_targetILNS1_3genE10ELNS1_11target_archE1201ELNS1_3gpuE5ELNS1_3repE0EEENS1_30default_config_static_selectorELNS0_4arch9wavefront6targetE0EEEvT1_
                                        ; -- End function
	.section	.AMDGPU.csdata,"",@progbits
; Kernel info:
; codeLenInByte = 0
; NumSgprs: 0
; NumVgprs: 0
; ScratchSize: 0
; MemoryBound: 0
; FloatMode: 240
; IeeeMode: 1
; LDSByteSize: 0 bytes/workgroup (compile time only)
; SGPRBlocks: 0
; VGPRBlocks: 0
; NumSGPRsForWavesPerEU: 1
; NumVGPRsForWavesPerEU: 1
; Occupancy: 16
; WaveLimiterHint : 0
; COMPUTE_PGM_RSRC2:SCRATCH_EN: 0
; COMPUTE_PGM_RSRC2:USER_SGPR: 15
; COMPUTE_PGM_RSRC2:TRAP_HANDLER: 0
; COMPUTE_PGM_RSRC2:TGID_X_EN: 1
; COMPUTE_PGM_RSRC2:TGID_Y_EN: 0
; COMPUTE_PGM_RSRC2:TGID_Z_EN: 0
; COMPUTE_PGM_RSRC2:TIDIG_COMP_CNT: 0
	.section	.text._ZN7rocprim17ROCPRIM_400000_NS6detail17trampoline_kernelINS0_14default_configENS1_20scan_config_selectorIlEEZZNS1_9scan_implILNS1_25lookback_scan_determinismE0ELb0ELb0ES3_PlS8_lN6thrust23THRUST_200600_302600_NS4plusIvEElEEDaPvRmT3_T4_T5_mT6_P12ihipStream_tbENKUlT_T0_E_clISt17integral_constantIbLb0EESQ_EEDaSL_SM_EUlSL_E_NS1_11comp_targetILNS1_3genE10ELNS1_11target_archE1200ELNS1_3gpuE4ELNS1_3repE0EEENS1_30default_config_static_selectorELNS0_4arch9wavefront6targetE0EEEvT1_,"axG",@progbits,_ZN7rocprim17ROCPRIM_400000_NS6detail17trampoline_kernelINS0_14default_configENS1_20scan_config_selectorIlEEZZNS1_9scan_implILNS1_25lookback_scan_determinismE0ELb0ELb0ES3_PlS8_lN6thrust23THRUST_200600_302600_NS4plusIvEElEEDaPvRmT3_T4_T5_mT6_P12ihipStream_tbENKUlT_T0_E_clISt17integral_constantIbLb0EESQ_EEDaSL_SM_EUlSL_E_NS1_11comp_targetILNS1_3genE10ELNS1_11target_archE1200ELNS1_3gpuE4ELNS1_3repE0EEENS1_30default_config_static_selectorELNS0_4arch9wavefront6targetE0EEEvT1_,comdat
	.protected	_ZN7rocprim17ROCPRIM_400000_NS6detail17trampoline_kernelINS0_14default_configENS1_20scan_config_selectorIlEEZZNS1_9scan_implILNS1_25lookback_scan_determinismE0ELb0ELb0ES3_PlS8_lN6thrust23THRUST_200600_302600_NS4plusIvEElEEDaPvRmT3_T4_T5_mT6_P12ihipStream_tbENKUlT_T0_E_clISt17integral_constantIbLb0EESQ_EEDaSL_SM_EUlSL_E_NS1_11comp_targetILNS1_3genE10ELNS1_11target_archE1200ELNS1_3gpuE4ELNS1_3repE0EEENS1_30default_config_static_selectorELNS0_4arch9wavefront6targetE0EEEvT1_ ; -- Begin function _ZN7rocprim17ROCPRIM_400000_NS6detail17trampoline_kernelINS0_14default_configENS1_20scan_config_selectorIlEEZZNS1_9scan_implILNS1_25lookback_scan_determinismE0ELb0ELb0ES3_PlS8_lN6thrust23THRUST_200600_302600_NS4plusIvEElEEDaPvRmT3_T4_T5_mT6_P12ihipStream_tbENKUlT_T0_E_clISt17integral_constantIbLb0EESQ_EEDaSL_SM_EUlSL_E_NS1_11comp_targetILNS1_3genE10ELNS1_11target_archE1200ELNS1_3gpuE4ELNS1_3repE0EEENS1_30default_config_static_selectorELNS0_4arch9wavefront6targetE0EEEvT1_
	.globl	_ZN7rocprim17ROCPRIM_400000_NS6detail17trampoline_kernelINS0_14default_configENS1_20scan_config_selectorIlEEZZNS1_9scan_implILNS1_25lookback_scan_determinismE0ELb0ELb0ES3_PlS8_lN6thrust23THRUST_200600_302600_NS4plusIvEElEEDaPvRmT3_T4_T5_mT6_P12ihipStream_tbENKUlT_T0_E_clISt17integral_constantIbLb0EESQ_EEDaSL_SM_EUlSL_E_NS1_11comp_targetILNS1_3genE10ELNS1_11target_archE1200ELNS1_3gpuE4ELNS1_3repE0EEENS1_30default_config_static_selectorELNS0_4arch9wavefront6targetE0EEEvT1_
	.p2align	8
	.type	_ZN7rocprim17ROCPRIM_400000_NS6detail17trampoline_kernelINS0_14default_configENS1_20scan_config_selectorIlEEZZNS1_9scan_implILNS1_25lookback_scan_determinismE0ELb0ELb0ES3_PlS8_lN6thrust23THRUST_200600_302600_NS4plusIvEElEEDaPvRmT3_T4_T5_mT6_P12ihipStream_tbENKUlT_T0_E_clISt17integral_constantIbLb0EESQ_EEDaSL_SM_EUlSL_E_NS1_11comp_targetILNS1_3genE10ELNS1_11target_archE1200ELNS1_3gpuE4ELNS1_3repE0EEENS1_30default_config_static_selectorELNS0_4arch9wavefront6targetE0EEEvT1_,@function
_ZN7rocprim17ROCPRIM_400000_NS6detail17trampoline_kernelINS0_14default_configENS1_20scan_config_selectorIlEEZZNS1_9scan_implILNS1_25lookback_scan_determinismE0ELb0ELb0ES3_PlS8_lN6thrust23THRUST_200600_302600_NS4plusIvEElEEDaPvRmT3_T4_T5_mT6_P12ihipStream_tbENKUlT_T0_E_clISt17integral_constantIbLb0EESQ_EEDaSL_SM_EUlSL_E_NS1_11comp_targetILNS1_3genE10ELNS1_11target_archE1200ELNS1_3gpuE4ELNS1_3repE0EEENS1_30default_config_static_selectorELNS0_4arch9wavefront6targetE0EEEvT1_: ; @_ZN7rocprim17ROCPRIM_400000_NS6detail17trampoline_kernelINS0_14default_configENS1_20scan_config_selectorIlEEZZNS1_9scan_implILNS1_25lookback_scan_determinismE0ELb0ELb0ES3_PlS8_lN6thrust23THRUST_200600_302600_NS4plusIvEElEEDaPvRmT3_T4_T5_mT6_P12ihipStream_tbENKUlT_T0_E_clISt17integral_constantIbLb0EESQ_EEDaSL_SM_EUlSL_E_NS1_11comp_targetILNS1_3genE10ELNS1_11target_archE1200ELNS1_3gpuE4ELNS1_3repE0EEENS1_30default_config_static_selectorELNS0_4arch9wavefront6targetE0EEEvT1_
; %bb.0:
	.section	.rodata,"a",@progbits
	.p2align	6, 0x0
	.amdhsa_kernel _ZN7rocprim17ROCPRIM_400000_NS6detail17trampoline_kernelINS0_14default_configENS1_20scan_config_selectorIlEEZZNS1_9scan_implILNS1_25lookback_scan_determinismE0ELb0ELb0ES3_PlS8_lN6thrust23THRUST_200600_302600_NS4plusIvEElEEDaPvRmT3_T4_T5_mT6_P12ihipStream_tbENKUlT_T0_E_clISt17integral_constantIbLb0EESQ_EEDaSL_SM_EUlSL_E_NS1_11comp_targetILNS1_3genE10ELNS1_11target_archE1200ELNS1_3gpuE4ELNS1_3repE0EEENS1_30default_config_static_selectorELNS0_4arch9wavefront6targetE0EEEvT1_
		.amdhsa_group_segment_fixed_size 0
		.amdhsa_private_segment_fixed_size 0
		.amdhsa_kernarg_size 104
		.amdhsa_user_sgpr_count 15
		.amdhsa_user_sgpr_dispatch_ptr 0
		.amdhsa_user_sgpr_queue_ptr 0
		.amdhsa_user_sgpr_kernarg_segment_ptr 1
		.amdhsa_user_sgpr_dispatch_id 0
		.amdhsa_user_sgpr_private_segment_size 0
		.amdhsa_wavefront_size32 1
		.amdhsa_uses_dynamic_stack 0
		.amdhsa_enable_private_segment 0
		.amdhsa_system_sgpr_workgroup_id_x 1
		.amdhsa_system_sgpr_workgroup_id_y 0
		.amdhsa_system_sgpr_workgroup_id_z 0
		.amdhsa_system_sgpr_workgroup_info 0
		.amdhsa_system_vgpr_workitem_id 0
		.amdhsa_next_free_vgpr 1
		.amdhsa_next_free_sgpr 1
		.amdhsa_reserve_vcc 0
		.amdhsa_float_round_mode_32 0
		.amdhsa_float_round_mode_16_64 0
		.amdhsa_float_denorm_mode_32 3
		.amdhsa_float_denorm_mode_16_64 3
		.amdhsa_dx10_clamp 1
		.amdhsa_ieee_mode 1
		.amdhsa_fp16_overflow 0
		.amdhsa_workgroup_processor_mode 1
		.amdhsa_memory_ordered 1
		.amdhsa_forward_progress 0
		.amdhsa_shared_vgpr_count 0
		.amdhsa_exception_fp_ieee_invalid_op 0
		.amdhsa_exception_fp_denorm_src 0
		.amdhsa_exception_fp_ieee_div_zero 0
		.amdhsa_exception_fp_ieee_overflow 0
		.amdhsa_exception_fp_ieee_underflow 0
		.amdhsa_exception_fp_ieee_inexact 0
		.amdhsa_exception_int_div_zero 0
	.end_amdhsa_kernel
	.section	.text._ZN7rocprim17ROCPRIM_400000_NS6detail17trampoline_kernelINS0_14default_configENS1_20scan_config_selectorIlEEZZNS1_9scan_implILNS1_25lookback_scan_determinismE0ELb0ELb0ES3_PlS8_lN6thrust23THRUST_200600_302600_NS4plusIvEElEEDaPvRmT3_T4_T5_mT6_P12ihipStream_tbENKUlT_T0_E_clISt17integral_constantIbLb0EESQ_EEDaSL_SM_EUlSL_E_NS1_11comp_targetILNS1_3genE10ELNS1_11target_archE1200ELNS1_3gpuE4ELNS1_3repE0EEENS1_30default_config_static_selectorELNS0_4arch9wavefront6targetE0EEEvT1_,"axG",@progbits,_ZN7rocprim17ROCPRIM_400000_NS6detail17trampoline_kernelINS0_14default_configENS1_20scan_config_selectorIlEEZZNS1_9scan_implILNS1_25lookback_scan_determinismE0ELb0ELb0ES3_PlS8_lN6thrust23THRUST_200600_302600_NS4plusIvEElEEDaPvRmT3_T4_T5_mT6_P12ihipStream_tbENKUlT_T0_E_clISt17integral_constantIbLb0EESQ_EEDaSL_SM_EUlSL_E_NS1_11comp_targetILNS1_3genE10ELNS1_11target_archE1200ELNS1_3gpuE4ELNS1_3repE0EEENS1_30default_config_static_selectorELNS0_4arch9wavefront6targetE0EEEvT1_,comdat
.Lfunc_end90:
	.size	_ZN7rocprim17ROCPRIM_400000_NS6detail17trampoline_kernelINS0_14default_configENS1_20scan_config_selectorIlEEZZNS1_9scan_implILNS1_25lookback_scan_determinismE0ELb0ELb0ES3_PlS8_lN6thrust23THRUST_200600_302600_NS4plusIvEElEEDaPvRmT3_T4_T5_mT6_P12ihipStream_tbENKUlT_T0_E_clISt17integral_constantIbLb0EESQ_EEDaSL_SM_EUlSL_E_NS1_11comp_targetILNS1_3genE10ELNS1_11target_archE1200ELNS1_3gpuE4ELNS1_3repE0EEENS1_30default_config_static_selectorELNS0_4arch9wavefront6targetE0EEEvT1_, .Lfunc_end90-_ZN7rocprim17ROCPRIM_400000_NS6detail17trampoline_kernelINS0_14default_configENS1_20scan_config_selectorIlEEZZNS1_9scan_implILNS1_25lookback_scan_determinismE0ELb0ELb0ES3_PlS8_lN6thrust23THRUST_200600_302600_NS4plusIvEElEEDaPvRmT3_T4_T5_mT6_P12ihipStream_tbENKUlT_T0_E_clISt17integral_constantIbLb0EESQ_EEDaSL_SM_EUlSL_E_NS1_11comp_targetILNS1_3genE10ELNS1_11target_archE1200ELNS1_3gpuE4ELNS1_3repE0EEENS1_30default_config_static_selectorELNS0_4arch9wavefront6targetE0EEEvT1_
                                        ; -- End function
	.section	.AMDGPU.csdata,"",@progbits
; Kernel info:
; codeLenInByte = 0
; NumSgprs: 0
; NumVgprs: 0
; ScratchSize: 0
; MemoryBound: 0
; FloatMode: 240
; IeeeMode: 1
; LDSByteSize: 0 bytes/workgroup (compile time only)
; SGPRBlocks: 0
; VGPRBlocks: 0
; NumSGPRsForWavesPerEU: 1
; NumVGPRsForWavesPerEU: 1
; Occupancy: 16
; WaveLimiterHint : 0
; COMPUTE_PGM_RSRC2:SCRATCH_EN: 0
; COMPUTE_PGM_RSRC2:USER_SGPR: 15
; COMPUTE_PGM_RSRC2:TRAP_HANDLER: 0
; COMPUTE_PGM_RSRC2:TGID_X_EN: 1
; COMPUTE_PGM_RSRC2:TGID_Y_EN: 0
; COMPUTE_PGM_RSRC2:TGID_Z_EN: 0
; COMPUTE_PGM_RSRC2:TIDIG_COMP_CNT: 0
	.section	.text._ZN7rocprim17ROCPRIM_400000_NS6detail17trampoline_kernelINS0_14default_configENS1_20scan_config_selectorIlEEZZNS1_9scan_implILNS1_25lookback_scan_determinismE0ELb0ELb0ES3_PlS8_lN6thrust23THRUST_200600_302600_NS4plusIvEElEEDaPvRmT3_T4_T5_mT6_P12ihipStream_tbENKUlT_T0_E_clISt17integral_constantIbLb0EESQ_EEDaSL_SM_EUlSL_E_NS1_11comp_targetILNS1_3genE9ELNS1_11target_archE1100ELNS1_3gpuE3ELNS1_3repE0EEENS1_30default_config_static_selectorELNS0_4arch9wavefront6targetE0EEEvT1_,"axG",@progbits,_ZN7rocprim17ROCPRIM_400000_NS6detail17trampoline_kernelINS0_14default_configENS1_20scan_config_selectorIlEEZZNS1_9scan_implILNS1_25lookback_scan_determinismE0ELb0ELb0ES3_PlS8_lN6thrust23THRUST_200600_302600_NS4plusIvEElEEDaPvRmT3_T4_T5_mT6_P12ihipStream_tbENKUlT_T0_E_clISt17integral_constantIbLb0EESQ_EEDaSL_SM_EUlSL_E_NS1_11comp_targetILNS1_3genE9ELNS1_11target_archE1100ELNS1_3gpuE3ELNS1_3repE0EEENS1_30default_config_static_selectorELNS0_4arch9wavefront6targetE0EEEvT1_,comdat
	.protected	_ZN7rocprim17ROCPRIM_400000_NS6detail17trampoline_kernelINS0_14default_configENS1_20scan_config_selectorIlEEZZNS1_9scan_implILNS1_25lookback_scan_determinismE0ELb0ELb0ES3_PlS8_lN6thrust23THRUST_200600_302600_NS4plusIvEElEEDaPvRmT3_T4_T5_mT6_P12ihipStream_tbENKUlT_T0_E_clISt17integral_constantIbLb0EESQ_EEDaSL_SM_EUlSL_E_NS1_11comp_targetILNS1_3genE9ELNS1_11target_archE1100ELNS1_3gpuE3ELNS1_3repE0EEENS1_30default_config_static_selectorELNS0_4arch9wavefront6targetE0EEEvT1_ ; -- Begin function _ZN7rocprim17ROCPRIM_400000_NS6detail17trampoline_kernelINS0_14default_configENS1_20scan_config_selectorIlEEZZNS1_9scan_implILNS1_25lookback_scan_determinismE0ELb0ELb0ES3_PlS8_lN6thrust23THRUST_200600_302600_NS4plusIvEElEEDaPvRmT3_T4_T5_mT6_P12ihipStream_tbENKUlT_T0_E_clISt17integral_constantIbLb0EESQ_EEDaSL_SM_EUlSL_E_NS1_11comp_targetILNS1_3genE9ELNS1_11target_archE1100ELNS1_3gpuE3ELNS1_3repE0EEENS1_30default_config_static_selectorELNS0_4arch9wavefront6targetE0EEEvT1_
	.globl	_ZN7rocprim17ROCPRIM_400000_NS6detail17trampoline_kernelINS0_14default_configENS1_20scan_config_selectorIlEEZZNS1_9scan_implILNS1_25lookback_scan_determinismE0ELb0ELb0ES3_PlS8_lN6thrust23THRUST_200600_302600_NS4plusIvEElEEDaPvRmT3_T4_T5_mT6_P12ihipStream_tbENKUlT_T0_E_clISt17integral_constantIbLb0EESQ_EEDaSL_SM_EUlSL_E_NS1_11comp_targetILNS1_3genE9ELNS1_11target_archE1100ELNS1_3gpuE3ELNS1_3repE0EEENS1_30default_config_static_selectorELNS0_4arch9wavefront6targetE0EEEvT1_
	.p2align	8
	.type	_ZN7rocprim17ROCPRIM_400000_NS6detail17trampoline_kernelINS0_14default_configENS1_20scan_config_selectorIlEEZZNS1_9scan_implILNS1_25lookback_scan_determinismE0ELb0ELb0ES3_PlS8_lN6thrust23THRUST_200600_302600_NS4plusIvEElEEDaPvRmT3_T4_T5_mT6_P12ihipStream_tbENKUlT_T0_E_clISt17integral_constantIbLb0EESQ_EEDaSL_SM_EUlSL_E_NS1_11comp_targetILNS1_3genE9ELNS1_11target_archE1100ELNS1_3gpuE3ELNS1_3repE0EEENS1_30default_config_static_selectorELNS0_4arch9wavefront6targetE0EEEvT1_,@function
_ZN7rocprim17ROCPRIM_400000_NS6detail17trampoline_kernelINS0_14default_configENS1_20scan_config_selectorIlEEZZNS1_9scan_implILNS1_25lookback_scan_determinismE0ELb0ELb0ES3_PlS8_lN6thrust23THRUST_200600_302600_NS4plusIvEElEEDaPvRmT3_T4_T5_mT6_P12ihipStream_tbENKUlT_T0_E_clISt17integral_constantIbLb0EESQ_EEDaSL_SM_EUlSL_E_NS1_11comp_targetILNS1_3genE9ELNS1_11target_archE1100ELNS1_3gpuE3ELNS1_3repE0EEENS1_30default_config_static_selectorELNS0_4arch9wavefront6targetE0EEEvT1_: ; @_ZN7rocprim17ROCPRIM_400000_NS6detail17trampoline_kernelINS0_14default_configENS1_20scan_config_selectorIlEEZZNS1_9scan_implILNS1_25lookback_scan_determinismE0ELb0ELb0ES3_PlS8_lN6thrust23THRUST_200600_302600_NS4plusIvEElEEDaPvRmT3_T4_T5_mT6_P12ihipStream_tbENKUlT_T0_E_clISt17integral_constantIbLb0EESQ_EEDaSL_SM_EUlSL_E_NS1_11comp_targetILNS1_3genE9ELNS1_11target_archE1100ELNS1_3gpuE3ELNS1_3repE0EEENS1_30default_config_static_selectorELNS0_4arch9wavefront6targetE0EEEvT1_
; %bb.0:
	s_clause 0x1
	s_load_b256 s[16:23], s[0:1], 0x0
	s_load_b32 s2, s[0:1], 0x38
	s_mov_b32 s3, 0
	v_lshlrev_b32_e32 v94, 3, v0
	v_lshrrev_b32_e32 v35, 2, v0
	v_or_b32_e32 v93, 0x100, v0
	v_or_b32_e32 v92, 0x200, v0
	;; [unrolled: 1-line block ×15, first 2 shown]
	s_waitcnt lgkmcnt(0)
	s_lshl_b64 s[12:13], s[18:19], 3
	s_delay_alu instid0(SALU_CYCLE_1) | instskip(SKIP_4) | instid1(SALU_CYCLE_1)
	s_add_u32 s4, s16, s12
	s_addc_u32 s5, s17, s13
	s_add_i32 s6, s2, -1
	s_lshl_b32 s2, s15, 12
	s_lshl_b32 s7, s6, 12
	s_sub_u32 s14, s22, s7
	s_subb_u32 s22, s23, 0
	s_cmp_lg_u32 s15, s6
	s_cselect_b32 s23, -1, 0
	s_lshl_b64 s[16:17], s[2:3], 3
	s_mov_b32 s3, -1
	s_add_u32 s4, s4, s16
	s_addc_u32 s5, s5, s17
	s_and_b32 vcc_lo, exec_lo, s23
	s_cbranch_vccz .LBB91_2
; %bb.1:
	v_add_co_u32 v27, s2, s4, v94
	s_delay_alu instid0(VALU_DEP_1)
	v_add_co_ci_u32_e64 v28, null, s5, 0, s2
	s_clause 0x1
	global_load_b64 v[1:2], v94, s[4:5]
	global_load_b64 v[3:4], v94, s[4:5] offset:2048
	v_add_co_u32 v5, vcc_lo, 0x1000, v27
	v_add_co_ci_u32_e32 v6, vcc_lo, 0, v28, vcc_lo
	v_add_co_u32 v7, vcc_lo, v27, 0x2000
	v_add_co_ci_u32_e32 v8, vcc_lo, 0, v28, vcc_lo
	;; [unrolled: 2-line block ×10, first 2 shown]
	s_clause 0xd
	global_load_b64 v[17:18], v[7:8], off offset:-4096
	global_load_b64 v[7:8], v[7:8], off
	global_load_b64 v[19:20], v[13:14], off offset:-4096
	global_load_b64 v[13:14], v[13:14], off
	global_load_b64 v[5:6], v[5:6], off offset:2048
	global_load_b64 v[9:10], v[9:10], off offset:2048
	;; [unrolled: 1-line block ×4, first 2 shown]
	global_load_b64 v[29:30], v[23:24], off offset:-4096
	global_load_b64 v[21:22], v[21:22], off offset:2048
	global_load_b64 v[23:24], v[23:24], off
	global_load_b64 v[25:26], v[25:26], off offset:2048
	global_load_b64 v[31:32], v[27:28], off
	global_load_b64 v[27:28], v[27:28], off offset:2048
	v_lshrrev_b32_e32 v34, 2, v93
	v_lshrrev_b32_e32 v36, 2, v92
	;; [unrolled: 1-line block ×4, first 2 shown]
	v_and_b32_e32 v33, 56, v35
	v_lshrrev_b32_e32 v39, 2, v89
	v_lshrrev_b32_e32 v40, 2, v88
	;; [unrolled: 1-line block ×11, first 2 shown]
	v_and_b32_e32 v34, 0x78, v34
	v_and_b32_e32 v36, 0xb8, v36
	;; [unrolled: 1-line block ×4, first 2 shown]
	v_add_nc_u32_e32 v33, v33, v94
	v_and_b32_e32 v39, 0x178, v39
	v_and_b32_e32 v40, 0x1b8, v40
	;; [unrolled: 1-line block ×11, first 2 shown]
	v_add_nc_u32_e32 v34, v34, v94
	v_add_nc_u32_e32 v36, v36, v94
	;; [unrolled: 1-line block ×4, first 2 shown]
	s_mov_b32 s3, 0
	v_add_nc_u32_e32 v39, v39, v94
	v_add_nc_u32_e32 v40, v40, v94
	;; [unrolled: 1-line block ×11, first 2 shown]
	s_waitcnt vmcnt(15)
	ds_store_b64 v33, v[1:2]
	s_waitcnt vmcnt(14)
	ds_store_b64 v34, v[3:4] offset:2048
	s_waitcnt vmcnt(13)
	ds_store_b64 v36, v[17:18] offset:4096
	;; [unrolled: 2-line block ×3, first 2 shown]
	ds_store_b64 v38, v[7:8] offset:8192
	s_waitcnt vmcnt(8)
	ds_store_b64 v39, v[9:10] offset:10240
	ds_store_b64 v40, v[19:20] offset:12288
	s_waitcnt vmcnt(7)
	ds_store_b64 v41, v[11:12] offset:14336
	;; [unrolled: 3-line block ×3, first 2 shown]
	s_waitcnt vmcnt(5)
	ds_store_b64 v44, v[29:30] offset:20480
	s_waitcnt vmcnt(4)
	ds_store_b64 v45, v[21:22] offset:22528
	;; [unrolled: 2-line block ×6, first 2 shown]
	s_waitcnt lgkmcnt(0)
	s_barrier
.LBB91_2:
	s_load_b64 s[18:19], s[0:1], 0x30
	v_cmp_gt_u32_e64 s2, s14, v0
	s_and_not1_b32 vcc_lo, exec_lo, s3
	s_cbranch_vccnz .LBB91_21
; %bb.3:
	s_load_b64 s[36:37], s[4:5], 0x0
	s_waitcnt lgkmcnt(0)
	s_mov_b32 s38, s36
	s_mov_b32 s39, s37
	;; [unrolled: 1-line block ×30, first 2 shown]
	v_dual_mov_b32 v1, s36 :: v_dual_mov_b32 v2, s37
	v_dual_mov_b32 v3, s38 :: v_dual_mov_b32 v4, s39
	;; [unrolled: 1-line block ×17, first 2 shown]
	s_and_saveexec_b32 s3, s2
	s_cbranch_execnz .LBB91_114
; %bb.4:
	s_or_b32 exec_lo, exec_lo, s3
	s_delay_alu instid0(SALU_CYCLE_1)
	s_mov_b32 s2, exec_lo
	v_cmpx_gt_u32_e64 s14, v93
	s_cbranch_execnz .LBB91_115
.LBB91_5:
	s_or_b32 exec_lo, exec_lo, s2
	s_delay_alu instid0(SALU_CYCLE_1)
	s_mov_b32 s2, exec_lo
	v_cmpx_gt_u32_e64 s14, v92
	s_cbranch_execnz .LBB91_116
.LBB91_6:
	s_or_b32 exec_lo, exec_lo, s2
	s_delay_alu instid0(SALU_CYCLE_1)
	s_mov_b32 s2, exec_lo
	v_cmpx_gt_u32_e64 s14, v91
	s_cbranch_execnz .LBB91_117
.LBB91_7:
	s_or_b32 exec_lo, exec_lo, s2
	s_delay_alu instid0(SALU_CYCLE_1)
	s_mov_b32 s2, exec_lo
	v_cmpx_gt_u32_e64 s14, v90
	s_cbranch_execnz .LBB91_118
.LBB91_8:
	s_or_b32 exec_lo, exec_lo, s2
	s_delay_alu instid0(SALU_CYCLE_1)
	s_mov_b32 s2, exec_lo
	v_cmpx_gt_u32_e64 s14, v89
	s_cbranch_execnz .LBB91_119
.LBB91_9:
	s_or_b32 exec_lo, exec_lo, s2
	s_delay_alu instid0(SALU_CYCLE_1)
	s_mov_b32 s2, exec_lo
	v_cmpx_gt_u32_e64 s14, v88
	s_cbranch_execnz .LBB91_120
.LBB91_10:
	s_or_b32 exec_lo, exec_lo, s2
	s_delay_alu instid0(SALU_CYCLE_1)
	s_mov_b32 s2, exec_lo
	v_cmpx_gt_u32_e64 s14, v87
	s_cbranch_execnz .LBB91_121
.LBB91_11:
	s_or_b32 exec_lo, exec_lo, s2
	s_delay_alu instid0(SALU_CYCLE_1)
	s_mov_b32 s2, exec_lo
	v_cmpx_gt_u32_e64 s14, v86
	s_cbranch_execnz .LBB91_122
.LBB91_12:
	s_or_b32 exec_lo, exec_lo, s2
	s_delay_alu instid0(SALU_CYCLE_1)
	s_mov_b32 s2, exec_lo
	v_cmpx_gt_u32_e64 s14, v85
	s_cbranch_execnz .LBB91_123
.LBB91_13:
	s_or_b32 exec_lo, exec_lo, s2
	s_delay_alu instid0(SALU_CYCLE_1)
	s_mov_b32 s2, exec_lo
	v_cmpx_gt_u32_e64 s14, v84
	s_cbranch_execnz .LBB91_124
.LBB91_14:
	s_or_b32 exec_lo, exec_lo, s2
	s_delay_alu instid0(SALU_CYCLE_1)
	s_mov_b32 s2, exec_lo
	v_cmpx_gt_u32_e64 s14, v83
	s_cbranch_execnz .LBB91_125
.LBB91_15:
	s_or_b32 exec_lo, exec_lo, s2
	s_delay_alu instid0(SALU_CYCLE_1)
	s_mov_b32 s2, exec_lo
	v_cmpx_gt_u32_e64 s14, v82
	s_cbranch_execnz .LBB91_126
.LBB91_16:
	s_or_b32 exec_lo, exec_lo, s2
	s_delay_alu instid0(SALU_CYCLE_1)
	s_mov_b32 s2, exec_lo
	v_cmpx_gt_u32_e64 s14, v81
	s_cbranch_execnz .LBB91_127
.LBB91_17:
	s_or_b32 exec_lo, exec_lo, s2
	s_delay_alu instid0(SALU_CYCLE_1)
	s_mov_b32 s2, exec_lo
	v_cmpx_gt_u32_e64 s14, v80
	s_cbranch_execnz .LBB91_128
.LBB91_18:
	s_or_b32 exec_lo, exec_lo, s2
	s_delay_alu instid0(SALU_CYCLE_1)
	s_mov_b32 s2, exec_lo
	v_cmpx_gt_u32_e64 s14, v79
	s_cbranch_execz .LBB91_20
.LBB91_19:
	v_lshlrev_b32_e32 v1, 3, v79
	global_load_b64 v[31:32], v1, s[4:5]
.LBB91_20:
	s_or_b32 exec_lo, exec_lo, s2
	v_lshrrev_b32_e32 v1, 2, v93
	v_lshrrev_b32_e32 v2, 2, v92
	;; [unrolled: 1-line block ×3, first 2 shown]
	v_and_b32_e32 v35, 56, v35
	v_lshrrev_b32_e32 v37, 2, v90
	v_and_b32_e32 v1, 0x78, v1
	v_and_b32_e32 v2, 0xf8, v2
	;; [unrolled: 1-line block ×3, first 2 shown]
	v_lshrrev_b32_e32 v38, 2, v89
	v_add_nc_u32_e32 v35, v35, v94
	v_add_nc_u32_e32 v1, v1, v94
	v_lshrrev_b32_e32 v39, 2, v88
	v_add_nc_u32_e32 v2, v2, v94
	v_lshrrev_b32_e32 v40, 2, v87
	v_add_nc_u32_e32 v36, v36, v94
	v_and_b32_e32 v37, 0x1f8, v37
	v_and_b32_e32 v38, 0x1f8, v38
	s_waitcnt vmcnt(0)
	ds_store_b64 v35, v[33:34]
	ds_store_b64 v1, v[3:4] offset:2048
	ds_store_b64 v2, v[5:6] offset:4096
	;; [unrolled: 1-line block ×3, first 2 shown]
	v_lshrrev_b32_e32 v5, 2, v86
	v_and_b32_e32 v3, 0x1f8, v39
	v_lshrrev_b32_e32 v6, 2, v85
	v_lshrrev_b32_e32 v7, 2, v84
	v_and_b32_e32 v4, 0x1f8, v40
	v_add_nc_u32_e32 v1, v37, v94
	v_add_nc_u32_e32 v2, v38, v94
	v_and_b32_e32 v5, 0x3f8, v5
	v_add_nc_u32_e32 v3, v3, v94
	v_and_b32_e32 v6, 0x3f8, v6
	v_and_b32_e32 v7, 0x3f8, v7
	v_add_nc_u32_e32 v4, v4, v94
	ds_store_b64 v1, v[9:10] offset:8192
	ds_store_b64 v2, v[11:12] offset:10240
	;; [unrolled: 1-line block ×4, first 2 shown]
	v_lshrrev_b32_e32 v4, 2, v83
	v_add_nc_u32_e32 v1, v5, v94
	v_lshrrev_b32_e32 v5, 2, v82
	v_add_nc_u32_e32 v2, v6, v94
	v_add_nc_u32_e32 v3, v7, v94
	v_lshrrev_b32_e32 v6, 2, v81
	v_lshrrev_b32_e32 v7, 2, v80
	;; [unrolled: 1-line block ×3, first 2 shown]
	v_and_b32_e32 v4, 0x3f8, v4
	v_and_b32_e32 v5, 0x3f8, v5
	;; [unrolled: 1-line block ×5, first 2 shown]
	v_add_nc_u32_e32 v4, v4, v94
	v_add_nc_u32_e32 v5, v5, v94
	;; [unrolled: 1-line block ×5, first 2 shown]
	ds_store_b64 v1, v[17:18] offset:16384
	ds_store_b64 v2, v[19:20] offset:18432
	ds_store_b64 v3, v[21:22] offset:20480
	ds_store_b64 v4, v[23:24] offset:22528
	ds_store_b64 v5, v[25:26] offset:24576
	ds_store_b64 v6, v[27:28] offset:26624
	ds_store_b64 v7, v[29:30] offset:28672
	ds_store_b64 v8, v[31:32] offset:30720
	s_waitcnt lgkmcnt(0)
	s_barrier
.LBB91_21:
	v_lshlrev_b32_e32 v1, 4, v0
	v_lshrrev_b32_e32 v96, 1, v0
	s_waitcnt lgkmcnt(0)
	buffer_gl0_inv
	s_load_b256 s[4:11], s[0:1], 0x40
	v_lshrrev_b32_e32 v95, 5, v0
	v_cmp_gt_u32_e32 vcc_lo, 32, v0
	v_add_lshl_u32 v5, v96, v1, 3
	s_cmp_lg_u32 s15, 0
	ds_load_2addr_b64 v[1:4], v5 offset1:1
	ds_load_2addr_b64 v[29:32], v5 offset0:2 offset1:3
	ds_load_2addr_b64 v[25:28], v5 offset0:4 offset1:5
	;; [unrolled: 1-line block ×7, first 2 shown]
	s_waitcnt lgkmcnt(0)
	s_barrier
	buffer_gl0_inv
	s_cbranch_scc0 .LBB91_73
; %bb.22:
	v_add_co_u32 v33, s0, v3, v1
	s_delay_alu instid0(VALU_DEP_1) | instskip(SKIP_1) | instid1(VALU_DEP_3)
	v_add_co_ci_u32_e64 v34, s0, v4, v2, s0
	v_add_lshl_u32 v35, v95, v0, 3
	v_add_co_u32 v33, s0, v33, v29
	s_delay_alu instid0(VALU_DEP_1) | instskip(NEXT) | instid1(VALU_DEP_2)
	v_add_co_ci_u32_e64 v34, s0, v34, v30, s0
	v_add_co_u32 v33, s0, v33, v31
	s_delay_alu instid0(VALU_DEP_1) | instskip(NEXT) | instid1(VALU_DEP_2)
	v_add_co_ci_u32_e64 v34, s0, v34, v32, s0
	;; [unrolled: 3-line block ×13, first 2 shown]
	v_add_co_u32 v37, s0, v33, v7
	s_delay_alu instid0(VALU_DEP_1)
	v_add_co_ci_u32_e64 v38, s0, v34, v8, s0
	ds_store_b64 v35, v[37:38]
	s_waitcnt lgkmcnt(0)
	s_barrier
	buffer_gl0_inv
	s_and_saveexec_b32 s1, vcc_lo
	s_cbranch_execz .LBB91_32
; %bb.23:
	v_lshlrev_b32_e32 v33, 1, v0
	s_mov_b32 s2, exec_lo
	s_delay_alu instid0(VALU_DEP_1) | instskip(NEXT) | instid1(VALU_DEP_1)
	v_and_b32_e32 v33, 0x1f8, v33
	v_lshl_or_b32 v41, v0, 6, v33
	ds_load_2addr_b64 v[33:36], v41 offset1:1
	ds_load_2addr_b64 v[42:45], v41 offset0:2 offset1:3
	ds_load_2addr_b64 v[46:49], v41 offset0:4 offset1:5
	;; [unrolled: 1-line block ×3, first 2 shown]
	s_waitcnt lgkmcnt(3)
	v_add_co_u32 v35, s0, v35, v33
	s_delay_alu instid0(VALU_DEP_1) | instskip(SKIP_1) | instid1(VALU_DEP_2)
	v_add_co_ci_u32_e64 v36, s0, v36, v34, s0
	s_waitcnt lgkmcnt(2)
	v_add_co_u32 v35, s0, v35, v42
	s_delay_alu instid0(VALU_DEP_1) | instskip(SKIP_1) | instid1(VALU_DEP_3)
	v_add_co_ci_u32_e64 v36, s0, v36, v43, s0
	v_mbcnt_lo_u32_b32 v42, -1, 0
	v_add_co_u32 v35, s0, v35, v44
	s_delay_alu instid0(VALU_DEP_1) | instskip(NEXT) | instid1(VALU_DEP_3)
	v_add_co_ci_u32_e64 v36, s0, v36, v45, s0
	v_and_b32_e32 v43, 15, v42
	s_waitcnt lgkmcnt(1)
	s_delay_alu instid0(VALU_DEP_3) | instskip(NEXT) | instid1(VALU_DEP_1)
	v_add_co_u32 v35, s0, v35, v46
	v_add_co_ci_u32_e64 v36, s0, v36, v47, s0
	s_delay_alu instid0(VALU_DEP_2) | instskip(NEXT) | instid1(VALU_DEP_1)
	v_add_co_u32 v35, s0, v35, v48
	v_add_co_ci_u32_e64 v36, s0, v36, v49, s0
	s_waitcnt lgkmcnt(0)
	s_delay_alu instid0(VALU_DEP_2) | instskip(NEXT) | instid1(VALU_DEP_1)
	v_add_co_u32 v35, s0, v35, v50
	v_add_co_ci_u32_e64 v36, s0, v36, v51, s0
	s_delay_alu instid0(VALU_DEP_2) | instskip(NEXT) | instid1(VALU_DEP_1)
	v_add_co_u32 v35, s0, v35, v52
	v_add_co_ci_u32_e64 v36, s0, v36, v53, s0
	s_delay_alu instid0(VALU_DEP_2) | instskip(NEXT) | instid1(VALU_DEP_2)
	v_mov_b32_dpp v45, v35 row_shr:1 row_mask:0xf bank_mask:0xf
	v_mov_b32_e32 v40, v36
	v_mov_b32_dpp v44, v36 row_shr:1 row_mask:0xf bank_mask:0xf
	v_mov_b32_e32 v39, v35
	v_cmpx_ne_u32_e32 0, v43
; %bb.24:
	v_add_co_u32 v35, s0, v35, v45
	s_delay_alu instid0(VALU_DEP_1) | instskip(NEXT) | instid1(VALU_DEP_2)
	v_add_co_ci_u32_e64 v36, s0, 0, v36, s0
	v_add_co_u32 v39, s0, 0, v35
	s_delay_alu instid0(VALU_DEP_1) | instskip(NEXT) | instid1(VALU_DEP_1)
	v_add_co_ci_u32_e64 v40, s0, v44, v36, s0
	v_mov_b32_e32 v36, v40
; %bb.25:
	s_or_b32 exec_lo, exec_lo, s2
	v_mov_b32_dpp v45, v35 row_shr:2 row_mask:0xf bank_mask:0xf
	s_delay_alu instid0(VALU_DEP_2)
	v_mov_b32_dpp v44, v36 row_shr:2 row_mask:0xf bank_mask:0xf
	s_mov_b32 s2, exec_lo
	v_cmpx_lt_u32_e32 1, v43
; %bb.26:
	s_delay_alu instid0(VALU_DEP_3) | instskip(NEXT) | instid1(VALU_DEP_1)
	v_add_co_u32 v35, s0, v39, v45
	v_add_co_ci_u32_e64 v36, s0, 0, v40, s0
	s_delay_alu instid0(VALU_DEP_2) | instskip(NEXT) | instid1(VALU_DEP_1)
	v_add_co_u32 v39, s0, 0, v35
	v_add_co_ci_u32_e64 v40, s0, v44, v36, s0
	s_delay_alu instid0(VALU_DEP_1)
	v_mov_b32_e32 v36, v40
; %bb.27:
	s_or_b32 exec_lo, exec_lo, s2
	v_mov_b32_dpp v45, v35 row_shr:4 row_mask:0xf bank_mask:0xf
	s_delay_alu instid0(VALU_DEP_2)
	v_mov_b32_dpp v44, v36 row_shr:4 row_mask:0xf bank_mask:0xf
	s_mov_b32 s2, exec_lo
	v_cmpx_lt_u32_e32 3, v43
; %bb.28:
	s_delay_alu instid0(VALU_DEP_3) | instskip(NEXT) | instid1(VALU_DEP_1)
	v_add_co_u32 v35, s0, v39, v45
	v_add_co_ci_u32_e64 v36, s0, 0, v40, s0
	s_delay_alu instid0(VALU_DEP_2) | instskip(NEXT) | instid1(VALU_DEP_1)
	v_add_co_u32 v39, s0, 0, v35
	v_add_co_ci_u32_e64 v40, s0, v44, v36, s0
	s_delay_alu instid0(VALU_DEP_1)
	;; [unrolled: 16-line block ×3, first 2 shown]
	v_mov_b32_e32 v36, v40
; %bb.31:
	s_or_b32 exec_lo, exec_lo, s2
	ds_swizzle_b32 v43, v35 offset:swizzle(BROADCAST,32,15)
	ds_swizzle_b32 v44, v36 offset:swizzle(BROADCAST,32,15)
	v_add_nc_u32_e32 v45, -1, v42
	v_and_b32_e32 v46, 16, v42
	; wave barrier
	s_delay_alu instid0(VALU_DEP_2) | instskip(NEXT) | instid1(VALU_DEP_1)
	v_cmp_gt_i32_e64 s0, 0, v45
	v_cndmask_b32_e64 v42, v45, v42, s0
	s_delay_alu instid0(VALU_DEP_1) | instskip(SKIP_2) | instid1(VALU_DEP_1)
	v_lshlrev_b32_e32 v42, 2, v42
	s_waitcnt lgkmcnt(1)
	v_add_co_u32 v39, s0, v39, v43
	v_add_co_ci_u32_e64 v40, s0, 0, v40, s0
	v_cmp_eq_u32_e64 s0, 0, v46
	s_delay_alu instid0(VALU_DEP_1) | instskip(SKIP_1) | instid1(VALU_DEP_3)
	v_cndmask_b32_e64 v35, v39, v35, s0
	s_waitcnt lgkmcnt(0)
	v_add_nc_u32_e32 v39, v44, v40
	ds_bpermute_b32 v35, v42, v35
	v_cndmask_b32_e64 v36, v39, v36, s0
	ds_bpermute_b32 v36, v42, v36
	s_waitcnt lgkmcnt(1)
	v_add_co_u32 v33, s0, v33, v35
	s_delay_alu instid0(VALU_DEP_1) | instskip(NEXT) | instid1(VALU_DEP_2)
	v_add_co_ci_u32_e64 v34, s0, 0, v34, s0
	v_add_co_u32 v33, s0, v33, 0
	s_waitcnt lgkmcnt(0)
	s_delay_alu instid0(VALU_DEP_2) | instskip(SKIP_1) | instid1(VALU_DEP_1)
	v_add_co_ci_u32_e64 v34, s0, v34, v36, s0
	v_cmp_eq_u32_e64 s0, 0, v0
	v_cndmask_b32_e64 v47, v34, v38, s0
	v_cndmask_b32_e64 v46, v33, v37, s0
	ds_store_b64 v41, v[46:47]
	; wave barrier
	ds_load_2addr_b64 v[33:36], v41 offset0:1 offset1:2
	ds_load_2addr_b64 v[37:40], v41 offset0:3 offset1:4
	;; [unrolled: 1-line block ×3, first 2 shown]
	s_waitcnt lgkmcnt(2)
	v_add_co_u32 v33, s0, v33, v46
	s_delay_alu instid0(VALU_DEP_1) | instskip(SKIP_2) | instid1(VALU_DEP_1)
	v_add_co_ci_u32_e64 v34, s0, v34, v47, s0
	ds_load_b64 v[46:47], v41 offset:56
	v_add_co_u32 v35, s0, v35, v33
	v_add_co_ci_u32_e64 v36, s0, v36, v34, s0
	s_waitcnt lgkmcnt(2)
	s_delay_alu instid0(VALU_DEP_2) | instskip(NEXT) | instid1(VALU_DEP_1)
	v_add_co_u32 v37, s0, v37, v35
	v_add_co_ci_u32_e64 v38, s0, v38, v36, s0
	s_delay_alu instid0(VALU_DEP_2) | instskip(NEXT) | instid1(VALU_DEP_1)
	v_add_co_u32 v39, s0, v39, v37
	v_add_co_ci_u32_e64 v40, s0, v40, v38, s0
	s_waitcnt lgkmcnt(1)
	s_delay_alu instid0(VALU_DEP_2) | instskip(NEXT) | instid1(VALU_DEP_1)
	v_add_co_u32 v42, s0, v42, v39
	v_add_co_ci_u32_e64 v43, s0, v43, v40, s0
	s_delay_alu instid0(VALU_DEP_2) | instskip(NEXT) | instid1(VALU_DEP_1)
	v_add_co_u32 v44, s0, v44, v42
	v_add_co_ci_u32_e64 v45, s0, v45, v43, s0
	s_waitcnt lgkmcnt(0)
	s_delay_alu instid0(VALU_DEP_2) | instskip(NEXT) | instid1(VALU_DEP_1)
	v_add_co_u32 v46, s0, v46, v44
	v_add_co_ci_u32_e64 v47, s0, v47, v45, s0
	ds_store_2addr_b64 v41, v[33:34], v[35:36] offset0:1 offset1:2
	ds_store_2addr_b64 v41, v[37:38], v[39:40] offset0:3 offset1:4
	;; [unrolled: 1-line block ×3, first 2 shown]
	ds_store_b64 v41, v[46:47] offset:56
.LBB91_32:
	s_or_b32 exec_lo, exec_lo, s1
	v_mov_b32_e32 v39, 0
	v_cmp_eq_u32_e64 s0, 0, v0
	v_mov_b32_e32 v40, 0
	s_mov_b32 s2, exec_lo
	s_waitcnt lgkmcnt(0)
	s_barrier
	buffer_gl0_inv
	v_cmpx_ne_u32_e32 0, v0
	s_cbranch_execz .LBB91_34
; %bb.33:
	v_add_nc_u32_e32 v33, -1, v0
	s_delay_alu instid0(VALU_DEP_1) | instskip(NEXT) | instid1(VALU_DEP_1)
	v_lshrrev_b32_e32 v34, 5, v33
	v_add_lshl_u32 v33, v34, v33, 3
	ds_load_b64 v[39:40], v33
.LBB91_34:
	s_or_b32 exec_lo, exec_lo, s2
	s_and_saveexec_b32 s24, vcc_lo
	s_cbranch_execz .LBB91_72
; %bb.35:
	v_mov_b32_e32 v36, 0
	v_mbcnt_lo_u32_b32 v47, -1, 0
	s_mov_b32 s3, 0
	ds_load_b64 v[33:34], v36 offset:2096
	v_cmp_eq_u32_e64 s1, 0, v47
	s_delay_alu instid0(VALU_DEP_1)
	s_and_saveexec_b32 s25, s1
	s_cbranch_execz .LBB91_37
; %bb.36:
	s_add_i32 s2, s15, 32
	s_delay_alu instid0(SALU_CYCLE_1) | instskip(NEXT) | instid1(SALU_CYCLE_1)
	s_lshl_b64 s[26:27], s[2:3], 4
	s_add_u32 s26, s18, s26
	s_addc_u32 s27, s19, s27
	s_delay_alu instid0(SALU_CYCLE_1)
	v_dual_mov_b32 v35, 1 :: v_dual_mov_b32 v38, s27
	v_mov_b32_e32 v37, s26
	s_waitcnt lgkmcnt(0)
	;;#ASMSTART
	global_store_dwordx4 v[37:38], v[33:36] off	
s_waitcnt vmcnt(0)
	;;#ASMEND
.LBB91_37:
	s_or_b32 exec_lo, exec_lo, s25
	v_xad_u32 v41, v47, -1, s15
	s_mov_b32 s2, exec_lo
	s_delay_alu instid0(VALU_DEP_1) | instskip(NEXT) | instid1(VALU_DEP_1)
	v_add_nc_u32_e32 v35, 32, v41
	v_lshlrev_b64 v[35:36], 4, v[35:36]
	s_delay_alu instid0(VALU_DEP_1) | instskip(NEXT) | instid1(VALU_DEP_2)
	v_add_co_u32 v42, vcc_lo, s18, v35
	v_add_co_ci_u32_e32 v43, vcc_lo, s19, v36, vcc_lo
	;;#ASMSTART
	global_load_dwordx4 v[35:38], v[42:43] off glc	
s_waitcnt vmcnt(0)
	;;#ASMEND
	v_and_b32_e32 v38, 0xff, v36
	v_and_b32_e32 v44, 0xff00, v36
	v_or3_b32 v35, v35, 0, 0
	v_and_b32_e32 v45, 0xff000000, v36
	v_and_b32_e32 v36, 0xff0000, v36
	s_delay_alu instid0(VALU_DEP_4) | instskip(SKIP_2) | instid1(VALU_DEP_3)
	v_or3_b32 v38, 0, v38, v44
	v_and_b32_e32 v44, 0xff, v37
	v_or3_b32 v35, v35, 0, 0
	v_or3_b32 v36, v38, v36, v45
	s_delay_alu instid0(VALU_DEP_3)
	v_cmpx_eq_u16_e32 0, v44
	s_cbranch_execz .LBB91_40
.LBB91_38:                              ; =>This Inner Loop Header: Depth=1
	;;#ASMSTART
	global_load_dwordx4 v[35:38], v[42:43] off glc	
s_waitcnt vmcnt(0)
	;;#ASMEND
	v_and_b32_e32 v38, 0xff, v37
	s_delay_alu instid0(VALU_DEP_1) | instskip(SKIP_1) | instid1(SALU_CYCLE_1)
	v_cmp_ne_u16_e32 vcc_lo, 0, v38
	s_or_b32 s3, vcc_lo, s3
	s_and_not1_b32 exec_lo, exec_lo, s3
	s_cbranch_execnz .LBB91_38
; %bb.39:
	s_or_b32 exec_lo, exec_lo, s3
.LBB91_40:
	s_delay_alu instid0(SALU_CYCLE_1)
	s_or_b32 exec_lo, exec_lo, s2
	v_cmp_ne_u32_e32 vcc_lo, 31, v47
	v_and_b32_e32 v42, 0xff, v37
	v_lshlrev_b32_e64 v49, v47, -1
	s_mov_b32 s2, exec_lo
	v_add_co_ci_u32_e32 v38, vcc_lo, 0, v47, vcc_lo
	s_delay_alu instid0(VALU_DEP_3) | instskip(SKIP_1) | instid1(VALU_DEP_3)
	v_cmp_eq_u16_e32 vcc_lo, 2, v42
	v_mov_b32_e32 v42, v35
	v_lshlrev_b32_e32 v48, 2, v38
	v_and_or_b32 v38, vcc_lo, v49, 0x80000000
	ds_bpermute_b32 v44, v48, v35
	ds_bpermute_b32 v43, v48, v36
	v_ctz_i32_b32_e32 v38, v38
	s_delay_alu instid0(VALU_DEP_1)
	v_cmpx_lt_u32_e64 v47, v38
	s_cbranch_execz .LBB91_42
; %bb.41:
	s_waitcnt lgkmcnt(1)
	v_add_co_u32 v42, vcc_lo, v35, v44
	v_add_co_ci_u32_e32 v36, vcc_lo, 0, v36, vcc_lo
	s_delay_alu instid0(VALU_DEP_2) | instskip(SKIP_1) | instid1(VALU_DEP_2)
	v_add_co_u32 v35, vcc_lo, 0, v42
	s_waitcnt lgkmcnt(0)
	v_add_co_ci_u32_e32 v36, vcc_lo, v43, v36, vcc_lo
.LBB91_42:
	s_or_b32 exec_lo, exec_lo, s2
	v_cmp_gt_u32_e32 vcc_lo, 30, v47
	v_add_nc_u32_e32 v51, 2, v47
	s_mov_b32 s2, exec_lo
	s_waitcnt lgkmcnt(0)
	v_cndmask_b32_e64 v43, 0, 1, vcc_lo
	s_delay_alu instid0(VALU_DEP_1) | instskip(NEXT) | instid1(VALU_DEP_1)
	v_lshlrev_b32_e32 v43, 1, v43
	v_add_lshl_u32 v50, v43, v47, 2
	ds_bpermute_b32 v44, v50, v42
	ds_bpermute_b32 v43, v50, v36
	v_cmpx_le_u32_e64 v51, v38
	s_cbranch_execz .LBB91_44
; %bb.43:
	s_waitcnt lgkmcnt(1)
	v_add_co_u32 v42, vcc_lo, v35, v44
	v_add_co_ci_u32_e32 v36, vcc_lo, 0, v36, vcc_lo
	s_delay_alu instid0(VALU_DEP_2) | instskip(SKIP_1) | instid1(VALU_DEP_2)
	v_add_co_u32 v35, vcc_lo, 0, v42
	s_waitcnt lgkmcnt(0)
	v_add_co_ci_u32_e32 v36, vcc_lo, v43, v36, vcc_lo
.LBB91_44:
	s_or_b32 exec_lo, exec_lo, s2
	v_cmp_gt_u32_e32 vcc_lo, 28, v47
	v_add_nc_u32_e32 v53, 4, v47
	s_mov_b32 s2, exec_lo
	s_waitcnt lgkmcnt(0)
	v_cndmask_b32_e64 v43, 0, 1, vcc_lo
	s_delay_alu instid0(VALU_DEP_1) | instskip(NEXT) | instid1(VALU_DEP_1)
	v_lshlrev_b32_e32 v43, 2, v43
	v_add_lshl_u32 v52, v43, v47, 2
	ds_bpermute_b32 v44, v52, v42
	ds_bpermute_b32 v43, v52, v36
	v_cmpx_le_u32_e64 v53, v38
	;; [unrolled: 22-line block ×4, first 2 shown]
	s_cbranch_execz .LBB91_50
; %bb.49:
	s_waitcnt lgkmcnt(1)
	v_add_co_u32 v35, vcc_lo, v35, v43
	v_add_co_ci_u32_e32 v36, vcc_lo, 0, v36, vcc_lo
	s_delay_alu instid0(VALU_DEP_2) | instskip(SKIP_1) | instid1(VALU_DEP_2)
	v_add_co_u32 v35, vcc_lo, v35, 0
	s_waitcnt lgkmcnt(0)
	v_add_co_ci_u32_e32 v36, vcc_lo, v36, v42, vcc_lo
.LBB91_50:
	s_or_b32 exec_lo, exec_lo, s2
	s_waitcnt lgkmcnt(0)
	v_mov_b32_e32 v42, 0
	s_branch .LBB91_52
.LBB91_51:                              ;   in Loop: Header=BB91_52 Depth=1
	s_or_b32 exec_lo, exec_lo, s2
	v_add_co_u32 v35, vcc_lo, v35, v43
	v_subrev_nc_u32_e32 v41, 32, v41
	v_add_co_ci_u32_e32 v36, vcc_lo, v36, v44, vcc_lo
.LBB91_52:                              ; =>This Loop Header: Depth=1
                                        ;     Child Loop BB91_55 Depth 2
	s_delay_alu instid0(VALU_DEP_1) | instskip(NEXT) | instid1(VALU_DEP_4)
	v_dual_mov_b32 v44, v36 :: v_dual_and_b32 v37, 0xff, v37
	v_mov_b32_e32 v43, v35
	s_delay_alu instid0(VALU_DEP_2) | instskip(SKIP_2) | instid1(VALU_DEP_1)
	v_cmp_ne_u16_e32 vcc_lo, 2, v37
	v_cndmask_b32_e64 v37, 0, 1, vcc_lo
	;;#ASMSTART
	;;#ASMEND
	v_cmp_ne_u32_e32 vcc_lo, 0, v37
	s_cmp_lg_u32 vcc_lo, exec_lo
	s_cbranch_scc1 .LBB91_67
; %bb.53:                               ;   in Loop: Header=BB91_52 Depth=1
	v_lshlrev_b64 v[35:36], 4, v[41:42]
	s_mov_b32 s2, exec_lo
	s_waitcnt lgkmcnt(0)
	s_delay_alu instid0(VALU_DEP_1) | instskip(NEXT) | instid1(VALU_DEP_2)
	v_add_co_u32 v45, vcc_lo, s18, v35
	v_add_co_ci_u32_e32 v46, vcc_lo, s19, v36, vcc_lo
	;;#ASMSTART
	global_load_dwordx4 v[35:38], v[45:46] off glc	
s_waitcnt vmcnt(0)
	;;#ASMEND
	v_and_b32_e32 v38, 0xff, v36
	v_and_b32_e32 v58, 0xff00, v36
	v_or3_b32 v35, v35, 0, 0
	v_and_b32_e32 v59, 0xff000000, v36
	v_and_b32_e32 v36, 0xff0000, v36
	s_delay_alu instid0(VALU_DEP_4) | instskip(SKIP_2) | instid1(VALU_DEP_3)
	v_or3_b32 v38, 0, v38, v58
	v_and_b32_e32 v58, 0xff, v37
	v_or3_b32 v35, v35, 0, 0
	v_or3_b32 v36, v38, v36, v59
	s_delay_alu instid0(VALU_DEP_3)
	v_cmpx_eq_u16_e32 0, v58
	s_cbranch_execz .LBB91_57
; %bb.54:                               ;   in Loop: Header=BB91_52 Depth=1
	s_mov_b32 s3, 0
.LBB91_55:                              ;   Parent Loop BB91_52 Depth=1
                                        ; =>  This Inner Loop Header: Depth=2
	;;#ASMSTART
	global_load_dwordx4 v[35:38], v[45:46] off glc	
s_waitcnt vmcnt(0)
	;;#ASMEND
	v_and_b32_e32 v38, 0xff, v37
	s_delay_alu instid0(VALU_DEP_1) | instskip(SKIP_1) | instid1(SALU_CYCLE_1)
	v_cmp_ne_u16_e32 vcc_lo, 0, v38
	s_or_b32 s3, vcc_lo, s3
	s_and_not1_b32 exec_lo, exec_lo, s3
	s_cbranch_execnz .LBB91_55
; %bb.56:                               ;   in Loop: Header=BB91_52 Depth=1
	s_or_b32 exec_lo, exec_lo, s3
.LBB91_57:                              ;   in Loop: Header=BB91_52 Depth=1
	s_delay_alu instid0(SALU_CYCLE_1)
	s_or_b32 exec_lo, exec_lo, s2
	v_dual_mov_b32 v45, v35 :: v_dual_and_b32 v38, 0xff, v37
	ds_bpermute_b32 v58, v48, v35
	ds_bpermute_b32 v46, v48, v36
	s_mov_b32 s2, exec_lo
	v_cmp_eq_u16_e32 vcc_lo, 2, v38
	v_and_or_b32 v38, vcc_lo, v49, 0x80000000
	s_delay_alu instid0(VALU_DEP_1) | instskip(NEXT) | instid1(VALU_DEP_1)
	v_ctz_i32_b32_e32 v38, v38
	v_cmpx_lt_u32_e64 v47, v38
	s_cbranch_execz .LBB91_59
; %bb.58:                               ;   in Loop: Header=BB91_52 Depth=1
	s_waitcnt lgkmcnt(1)
	v_add_co_u32 v45, vcc_lo, v35, v58
	v_add_co_ci_u32_e32 v36, vcc_lo, 0, v36, vcc_lo
	s_delay_alu instid0(VALU_DEP_2) | instskip(SKIP_1) | instid1(VALU_DEP_2)
	v_add_co_u32 v35, vcc_lo, 0, v45
	s_waitcnt lgkmcnt(0)
	v_add_co_ci_u32_e32 v36, vcc_lo, v46, v36, vcc_lo
.LBB91_59:                              ;   in Loop: Header=BB91_52 Depth=1
	s_or_b32 exec_lo, exec_lo, s2
	s_waitcnt lgkmcnt(1)
	ds_bpermute_b32 v58, v50, v45
	s_waitcnt lgkmcnt(1)
	ds_bpermute_b32 v46, v50, v36
	s_mov_b32 s2, exec_lo
	v_cmpx_le_u32_e64 v51, v38
	s_cbranch_execz .LBB91_61
; %bb.60:                               ;   in Loop: Header=BB91_52 Depth=1
	s_waitcnt lgkmcnt(1)
	v_add_co_u32 v45, vcc_lo, v35, v58
	v_add_co_ci_u32_e32 v36, vcc_lo, 0, v36, vcc_lo
	s_delay_alu instid0(VALU_DEP_2) | instskip(SKIP_1) | instid1(VALU_DEP_2)
	v_add_co_u32 v35, vcc_lo, 0, v45
	s_waitcnt lgkmcnt(0)
	v_add_co_ci_u32_e32 v36, vcc_lo, v46, v36, vcc_lo
.LBB91_61:                              ;   in Loop: Header=BB91_52 Depth=1
	s_or_b32 exec_lo, exec_lo, s2
	s_waitcnt lgkmcnt(1)
	ds_bpermute_b32 v58, v52, v45
	s_waitcnt lgkmcnt(1)
	ds_bpermute_b32 v46, v52, v36
	s_mov_b32 s2, exec_lo
	v_cmpx_le_u32_e64 v53, v38
	;; [unrolled: 17-line block ×3, first 2 shown]
	s_cbranch_execz .LBB91_65
; %bb.64:                               ;   in Loop: Header=BB91_52 Depth=1
	s_waitcnt lgkmcnt(1)
	v_add_co_u32 v45, vcc_lo, v35, v58
	v_add_co_ci_u32_e32 v36, vcc_lo, 0, v36, vcc_lo
	s_delay_alu instid0(VALU_DEP_2) | instskip(SKIP_1) | instid1(VALU_DEP_2)
	v_add_co_u32 v35, vcc_lo, 0, v45
	s_waitcnt lgkmcnt(0)
	v_add_co_ci_u32_e32 v36, vcc_lo, v46, v36, vcc_lo
.LBB91_65:                              ;   in Loop: Header=BB91_52 Depth=1
	s_or_b32 exec_lo, exec_lo, s2
	s_waitcnt lgkmcnt(0)
	ds_bpermute_b32 v46, v56, v45
	ds_bpermute_b32 v45, v56, v36
	s_mov_b32 s2, exec_lo
	v_cmpx_le_u32_e64 v57, v38
	s_cbranch_execz .LBB91_51
; %bb.66:                               ;   in Loop: Header=BB91_52 Depth=1
	s_waitcnt lgkmcnt(1)
	v_add_co_u32 v35, vcc_lo, v35, v46
	v_add_co_ci_u32_e32 v36, vcc_lo, 0, v36, vcc_lo
	s_delay_alu instid0(VALU_DEP_2) | instskip(SKIP_1) | instid1(VALU_DEP_2)
	v_add_co_u32 v35, vcc_lo, v35, 0
	s_waitcnt lgkmcnt(0)
	v_add_co_ci_u32_e32 v36, vcc_lo, v36, v45, vcc_lo
	s_branch .LBB91_51
.LBB91_67:                              ;   in Loop: Header=BB91_52 Depth=1
                                        ; implicit-def: $vgpr35_vgpr36
	s_cbranch_execz .LBB91_52
; %bb.68:
	s_and_saveexec_b32 s2, s1
	s_cbranch_execz .LBB91_70
; %bb.69:
	s_add_i32 s26, s15, 32
	s_mov_b32 s27, 0
	v_add_co_u32 v33, vcc_lo, v43, v33
	s_lshl_b64 s[26:27], s[26:27], 4
	v_add_co_ci_u32_e32 v34, vcc_lo, v44, v34, vcc_lo
	s_add_u32 s26, s18, s26
	s_addc_u32 s27, s19, s27
	v_dual_mov_b32 v35, 2 :: v_dual_mov_b32 v36, 0
	v_dual_mov_b32 v38, s27 :: v_dual_mov_b32 v37, s26
	;;#ASMSTART
	global_store_dwordx4 v[37:38], v[33:36] off	
s_waitcnt vmcnt(0)
	;;#ASMEND
.LBB91_70:
	s_or_b32 exec_lo, exec_lo, s2
	s_delay_alu instid0(SALU_CYCLE_1)
	s_and_b32 exec_lo, exec_lo, s0
	s_cbranch_execz .LBB91_72
; %bb.71:
	v_mov_b32_e32 v33, 0
	ds_store_b64 v33, v[43:44]
.LBB91_72:
	s_or_b32 exec_lo, exec_lo, s24
	v_mov_b32_e32 v33, 0
	s_waitcnt lgkmcnt(0)
	s_barrier
	buffer_gl0_inv
	v_add_co_u32 v35, vcc_lo, v39, v1
	ds_load_b64 v[33:34], v33
	v_add_co_ci_u32_e32 v36, vcc_lo, v40, v2, vcc_lo
	s_waitcnt lgkmcnt(0)
	v_add_co_u32 v59, vcc_lo, v35, v33
	s_delay_alu instid0(VALU_DEP_2) | instskip(NEXT) | instid1(VALU_DEP_2)
	v_add_co_ci_u32_e32 v60, vcc_lo, v36, v34, vcc_lo
	v_add_co_u32 v63, vcc_lo, v59, v3
	s_delay_alu instid0(VALU_DEP_2) | instskip(NEXT) | instid1(VALU_DEP_2)
	v_add_co_ci_u32_e32 v64, vcc_lo, v60, v4, vcc_lo
	;; [unrolled: 3-line block ×15, first 2 shown]
	v_add_co_u32 v77, vcc_lo, v57, v7
	s_delay_alu instid0(VALU_DEP_2)
	v_add_co_ci_u32_e32 v78, vcc_lo, v58, v8, vcc_lo
	s_branch .LBB91_93
.LBB91_73:
                                        ; implicit-def: $vgpr57_vgpr58_vgpr59_vgpr60
                                        ; implicit-def: $vgpr77_vgpr78
                                        ; implicit-def: $vgpr75_vgpr76
                                        ; implicit-def: $vgpr73_vgpr74
                                        ; implicit-def: $vgpr71_vgpr72
                                        ; implicit-def: $vgpr69_vgpr70
                                        ; implicit-def: $vgpr67_vgpr68
                                        ; implicit-def: $vgpr65_vgpr66
                                        ; implicit-def: $vgpr63_vgpr64
                                        ; implicit-def: $vgpr53_vgpr54_vgpr55_vgpr56
                                        ; implicit-def: $vgpr49_vgpr50_vgpr51_vgpr52
                                        ; implicit-def: $vgpr45_vgpr46_vgpr47_vgpr48
                                        ; implicit-def: $vgpr41_vgpr42_vgpr43_vgpr44
                                        ; implicit-def: $vgpr37_vgpr38_vgpr39_vgpr40
                                        ; implicit-def: $vgpr33_vgpr34_vgpr35_vgpr36
                                        ; implicit-def: $vgpr59_vgpr60_vgpr61_vgpr62
	s_cbranch_execz .LBB91_93
; %bb.74:
	v_cmp_eq_u32_e64 s0, 0, v0
	s_cmp_lg_u64 s[8:9], 0
	v_cmp_ne_u32_e32 vcc_lo, 0, v0
	s_cselect_b32 s1, -1, 0
	s_delay_alu instid0(VALU_DEP_2) | instid1(SALU_CYCLE_1)
	s_and_b32 s1, s0, s1
	s_delay_alu instid0(SALU_CYCLE_1)
	s_and_saveexec_b32 s2, s1
	s_cbranch_execz .LBB91_76
; %bb.75:
	v_mov_b32_e32 v33, 0
	global_load_b64 v[33:34], v33, s[4:5]
	s_waitcnt vmcnt(0)
	v_add_co_u32 v1, s1, v33, v1
	s_delay_alu instid0(VALU_DEP_1)
	v_add_co_ci_u32_e64 v2, s1, v34, v2, s1
.LBB91_76:
	s_or_b32 exec_lo, exec_lo, s2
	s_delay_alu instid0(VALU_DEP_2) | instskip(NEXT) | instid1(VALU_DEP_1)
	v_add_co_u32 v63, s1, v3, v1
	v_add_co_ci_u32_e64 v64, s1, v4, v2, s1
	v_add_lshl_u32 v35, v95, v0, 3
	s_delay_alu instid0(VALU_DEP_3) | instskip(NEXT) | instid1(VALU_DEP_1)
	v_add_co_u32 v33, s1, v63, v29
	v_add_co_ci_u32_e64 v34, s1, v64, v30, s1
	s_mov_b32 s2, exec_lo
	s_delay_alu instid0(VALU_DEP_2) | instskip(NEXT) | instid1(VALU_DEP_1)
	v_add_co_u32 v65, s1, v33, v31
	v_add_co_ci_u32_e64 v66, s1, v34, v32, s1
	s_delay_alu instid0(VALU_DEP_2) | instskip(NEXT) | instid1(VALU_DEP_1)
	v_add_co_u32 v37, s1, v65, v25
	v_add_co_ci_u32_e64 v38, s1, v66, v26, s1
	;; [unrolled: 3-line block ×13, first 2 shown]
	ds_store_b64 v35, v[77:78]
	s_waitcnt lgkmcnt(0)
	s_barrier
	buffer_gl0_inv
	v_cmpx_gt_u32_e32 32, v0
	s_cbranch_execz .LBB91_86
; %bb.77:
	v_lshlrev_b32_e32 v35, 1, v0
	v_mbcnt_lo_u32_b32 v44, -1, 0
	s_mov_b32 s3, exec_lo
	s_delay_alu instid0(VALU_DEP_2) | instskip(NEXT) | instid1(VALU_DEP_1)
	v_and_b32_e32 v35, 0x1f8, v35
	v_lshl_or_b32 v43, v0, 6, v35
	ds_load_2addr_b64 v[59:62], v43 offset1:1
	ds_load_2addr_b64 v[97:100], v43 offset0:2 offset1:3
	ds_load_2addr_b64 v[101:104], v43 offset0:4 offset1:5
	;; [unrolled: 1-line block ×3, first 2 shown]
	s_waitcnt lgkmcnt(3)
	v_add_co_u32 v35, s1, v61, v59
	s_delay_alu instid0(VALU_DEP_1) | instskip(SKIP_1) | instid1(VALU_DEP_2)
	v_add_co_ci_u32_e64 v36, s1, v62, v60, s1
	s_waitcnt lgkmcnt(2)
	v_add_co_u32 v35, s1, v35, v97
	s_delay_alu instid0(VALU_DEP_1) | instskip(NEXT) | instid1(VALU_DEP_2)
	v_add_co_ci_u32_e64 v36, s1, v36, v98, s1
	v_add_co_u32 v35, s1, v35, v99
	s_delay_alu instid0(VALU_DEP_1) | instskip(SKIP_1) | instid1(VALU_DEP_2)
	v_add_co_ci_u32_e64 v36, s1, v36, v100, s1
	s_waitcnt lgkmcnt(1)
	v_add_co_u32 v35, s1, v35, v101
	s_delay_alu instid0(VALU_DEP_1) | instskip(NEXT) | instid1(VALU_DEP_2)
	v_add_co_ci_u32_e64 v36, s1, v36, v102, s1
	;; [unrolled: 7-line block ×3, first 2 shown]
	v_add_co_u32 v35, s1, v35, v107
	s_delay_alu instid0(VALU_DEP_1) | instskip(SKIP_1) | instid1(VALU_DEP_3)
	v_add_co_ci_u32_e64 v36, s1, v36, v108, s1
	v_and_b32_e32 v47, 15, v44
	v_mov_b32_dpp v51, v35 row_shr:1 row_mask:0xf bank_mask:0xf
	s_delay_alu instid0(VALU_DEP_3)
	v_mov_b32_e32 v40, v36
	v_mov_b32_dpp v48, v36 row_shr:1 row_mask:0xf bank_mask:0xf
	v_mov_b32_e32 v39, v35
	v_cmpx_ne_u32_e32 0, v47
; %bb.78:
	v_add_co_u32 v35, s1, v35, v51
	s_delay_alu instid0(VALU_DEP_1) | instskip(NEXT) | instid1(VALU_DEP_2)
	v_add_co_ci_u32_e64 v36, s1, 0, v36, s1
	v_add_co_u32 v39, s1, 0, v35
	s_delay_alu instid0(VALU_DEP_1) | instskip(NEXT) | instid1(VALU_DEP_1)
	v_add_co_ci_u32_e64 v40, s1, v48, v36, s1
	v_mov_b32_e32 v36, v40
; %bb.79:
	s_or_b32 exec_lo, exec_lo, s3
	v_mov_b32_dpp v51, v35 row_shr:2 row_mask:0xf bank_mask:0xf
	s_delay_alu instid0(VALU_DEP_2)
	v_mov_b32_dpp v48, v36 row_shr:2 row_mask:0xf bank_mask:0xf
	s_mov_b32 s3, exec_lo
	v_cmpx_lt_u32_e32 1, v47
; %bb.80:
	s_delay_alu instid0(VALU_DEP_3) | instskip(NEXT) | instid1(VALU_DEP_1)
	v_add_co_u32 v35, s1, v39, v51
	v_add_co_ci_u32_e64 v36, s1, 0, v40, s1
	s_delay_alu instid0(VALU_DEP_2) | instskip(NEXT) | instid1(VALU_DEP_1)
	v_add_co_u32 v39, s1, 0, v35
	v_add_co_ci_u32_e64 v40, s1, v48, v36, s1
	s_delay_alu instid0(VALU_DEP_1)
	v_mov_b32_e32 v36, v40
; %bb.81:
	s_or_b32 exec_lo, exec_lo, s3
	v_mov_b32_dpp v51, v35 row_shr:4 row_mask:0xf bank_mask:0xf
	s_delay_alu instid0(VALU_DEP_2)
	v_mov_b32_dpp v48, v36 row_shr:4 row_mask:0xf bank_mask:0xf
	s_mov_b32 s3, exec_lo
	v_cmpx_lt_u32_e32 3, v47
; %bb.82:
	s_delay_alu instid0(VALU_DEP_3) | instskip(NEXT) | instid1(VALU_DEP_1)
	v_add_co_u32 v35, s1, v39, v51
	v_add_co_ci_u32_e64 v36, s1, 0, v40, s1
	s_delay_alu instid0(VALU_DEP_2) | instskip(NEXT) | instid1(VALU_DEP_1)
	v_add_co_u32 v39, s1, 0, v35
	v_add_co_ci_u32_e64 v40, s1, v48, v36, s1
	s_delay_alu instid0(VALU_DEP_1)
	;; [unrolled: 16-line block ×3, first 2 shown]
	v_mov_b32_e32 v36, v40
; %bb.85:
	s_or_b32 exec_lo, exec_lo, s3
	ds_swizzle_b32 v47, v35 offset:swizzle(BROADCAST,32,15)
	ds_swizzle_b32 v48, v36 offset:swizzle(BROADCAST,32,15)
	v_add_nc_u32_e32 v51, -1, v44
	v_and_b32_e32 v52, 16, v44
	; wave barrier
	s_delay_alu instid0(VALU_DEP_2) | instskip(NEXT) | instid1(VALU_DEP_1)
	v_cmp_gt_i32_e64 s1, 0, v51
	v_cndmask_b32_e64 v44, v51, v44, s1
	s_delay_alu instid0(VALU_DEP_1) | instskip(SKIP_2) | instid1(VALU_DEP_1)
	v_lshlrev_b32_e32 v44, 2, v44
	s_waitcnt lgkmcnt(1)
	v_add_co_u32 v39, s1, v39, v47
	v_add_co_ci_u32_e64 v40, s1, 0, v40, s1
	v_cmp_eq_u32_e64 s1, 0, v52
	s_delay_alu instid0(VALU_DEP_1) | instskip(SKIP_1) | instid1(VALU_DEP_3)
	v_cndmask_b32_e64 v35, v39, v35, s1
	s_waitcnt lgkmcnt(0)
	v_add_nc_u32_e32 v39, v48, v40
	ds_bpermute_b32 v35, v44, v35
	v_cndmask_b32_e64 v36, v39, v36, s1
	ds_bpermute_b32 v36, v44, v36
	s_waitcnt lgkmcnt(1)
	v_add_co_u32 v35, s1, v59, v35
	s_delay_alu instid0(VALU_DEP_1) | instskip(NEXT) | instid1(VALU_DEP_2)
	v_add_co_ci_u32_e64 v39, s1, 0, v60, s1
	v_add_co_u32 v35, s1, v35, 0
	s_waitcnt lgkmcnt(0)
	s_delay_alu instid0(VALU_DEP_2) | instskip(NEXT) | instid1(VALU_DEP_2)
	v_add_co_ci_u32_e64 v36, s1, v39, v36, s1
	v_cndmask_b32_e64 v35, v35, v77, s0
	s_delay_alu instid0(VALU_DEP_2)
	v_cndmask_b32_e64 v36, v36, v78, s0
	ds_store_b64 v43, v[35:36]
	; wave barrier
	ds_load_2addr_b64 v[59:62], v43 offset0:1 offset1:2
	ds_load_2addr_b64 v[97:100], v43 offset0:3 offset1:4
	ds_load_2addr_b64 v[101:104], v43 offset0:5 offset1:6
	ds_load_b64 v[47:48], v43 offset:56
	s_waitcnt lgkmcnt(3)
	v_add_co_u32 v35, s0, v59, v35
	s_delay_alu instid0(VALU_DEP_1) | instskip(NEXT) | instid1(VALU_DEP_2)
	v_add_co_ci_u32_e64 v36, s0, v60, v36, s0
	v_add_co_u32 v39, s0, v61, v35
	s_delay_alu instid0(VALU_DEP_1) | instskip(SKIP_1) | instid1(VALU_DEP_2)
	v_add_co_ci_u32_e64 v40, s0, v62, v36, s0
	s_waitcnt lgkmcnt(2)
	v_add_co_u32 v51, s0, v97, v39
	s_delay_alu instid0(VALU_DEP_1) | instskip(NEXT) | instid1(VALU_DEP_2)
	v_add_co_ci_u32_e64 v52, s0, v98, v40, s0
	v_add_co_u32 v55, s0, v99, v51
	s_delay_alu instid0(VALU_DEP_1) | instskip(SKIP_1) | instid1(VALU_DEP_2)
	v_add_co_ci_u32_e64 v56, s0, v100, v52, s0
	;; [unrolled: 7-line block ×3, first 2 shown]
	s_waitcnt lgkmcnt(0)
	v_add_co_u32 v47, s0, v47, v61
	s_delay_alu instid0(VALU_DEP_1)
	v_add_co_ci_u32_e64 v48, s0, v48, v62, s0
	ds_store_2addr_b64 v43, v[35:36], v[39:40] offset0:1 offset1:2
	ds_store_2addr_b64 v43, v[51:52], v[55:56] offset0:3 offset1:4
	ds_store_2addr_b64 v43, v[59:60], v[61:62] offset0:5 offset1:6
	ds_store_b64 v43, v[47:48] offset:56
.LBB91_86:
	s_or_b32 exec_lo, exec_lo, s2
	v_dual_mov_b32 v35, v77 :: v_dual_mov_b32 v36, v78
	s_waitcnt lgkmcnt(0)
	s_barrier
	buffer_gl0_inv
	s_and_saveexec_b32 s0, vcc_lo
	s_cbranch_execz .LBB91_88
; %bb.87:
	v_add_nc_u32_e32 v35, -1, v0
	s_delay_alu instid0(VALU_DEP_1) | instskip(NEXT) | instid1(VALU_DEP_1)
	v_lshrrev_b32_e32 v36, 5, v35
	v_add_lshl_u32 v35, v36, v35, 3
	ds_load_b64 v[35:36], v35
.LBB91_88:
	s_or_b32 exec_lo, exec_lo, s0
	s_and_saveexec_b32 s0, vcc_lo
	s_cbranch_execz .LBB91_90
; %bb.89:
	s_waitcnt lgkmcnt(0)
	v_add_co_u32 v1, vcc_lo, v35, v1
	v_add_co_ci_u32_e32 v2, vcc_lo, v36, v2, vcc_lo
	;;#ASMSTART
	;;#ASMEND
	s_delay_alu instid0(VALU_DEP_2) | instskip(NEXT) | instid1(VALU_DEP_2)
	v_add_co_u32 v63, vcc_lo, v1, v3
	v_add_co_ci_u32_e32 v64, vcc_lo, v2, v4, vcc_lo
	s_delay_alu instid0(VALU_DEP_2) | instskip(NEXT) | instid1(VALU_DEP_2)
	v_add_co_u32 v33, vcc_lo, v63, v29
	v_add_co_ci_u32_e32 v34, vcc_lo, v64, v30, vcc_lo
	;; [unrolled: 3-line block ×15, first 2 shown]
.LBB91_90:
	s_or_b32 exec_lo, exec_lo, s0
	s_delay_alu instid0(SALU_CYCLE_1)
	s_mov_b32 s0, exec_lo
	v_cmpx_eq_u32_e32 0xff, v0
	s_cbranch_execz .LBB91_92
; %bb.91:
	s_add_u32 s2, s18, 0x200
	s_addc_u32 s3, s19, 0
	v_dual_mov_b32 v5, 2 :: v_dual_mov_b32 v6, 0
	v_dual_mov_b32 v3, v77 :: v_dual_mov_b32 v4, v78
	;; [unrolled: 1-line block ×3, first 2 shown]
	;;#ASMSTART
	global_store_dwordx4 v[7:8], v[3:6] off	
s_waitcnt vmcnt(0)
	;;#ASMEND
.LBB91_92:
	s_or_b32 exec_lo, exec_lo, s0
	v_dual_mov_b32 v60, v2 :: v_dual_mov_b32 v59, v1
.LBB91_93:
	s_add_u32 s0, s20, s12
	v_lshlrev_b32_e32 v1, 7, v0
	s_addc_u32 s1, s21, s13
	s_add_u32 s0, s0, s16
	s_addc_u32 s1, s1, s17
	s_and_b32 vcc_lo, exec_lo, s23
	s_mov_b32 s2, -1
	s_waitcnt lgkmcnt(0)
	s_barrier
	buffer_gl0_inv
	s_cbranch_vccz .LBB91_95
; %bb.94:
	v_lshl_add_u32 v2, v96, 3, v1
	v_lshrrev_b32_e32 v3, 5, v92
	v_lshrrev_b32_e32 v4, 5, v91
	v_add_lshl_u32 v5, v95, v0, 3
	v_lshrrev_b32_e32 v19, 5, v85
	ds_store_2addr_b64 v2, v[59:60], v[63:64] offset1:1
	ds_store_2addr_b64 v2, v[33:34], v[65:66] offset0:2 offset1:3
	ds_store_2addr_b64 v2, v[37:38], v[67:68] offset0:4 offset1:5
	;; [unrolled: 1-line block ×7, first 2 shown]
	v_lshrrev_b32_e32 v2, 5, v93
	v_add_lshl_u32 v7, v3, v0, 3
	v_add_lshl_u32 v8, v4, v0, 3
	s_waitcnt lgkmcnt(0)
	s_barrier
	v_add_lshl_u32 v6, v2, v0, 3
	buffer_gl0_inv
	v_lshrrev_b32_e32 v20, 5, v84
	ds_load_b64 v[2:3], v5
	ds_load_b64 v[4:5], v6 offset:2048
	ds_load_b64 v[6:7], v7 offset:4096
	;; [unrolled: 1-line block ×3, first 2 shown]
	v_lshrrev_b32_e32 v10, 5, v90
	v_lshrrev_b32_e32 v18, 5, v86
	;; [unrolled: 1-line block ×5, first 2 shown]
	v_add_lshl_u32 v21, v19, v0, 3
	v_lshrrev_b32_e32 v19, 5, v83
	v_add_lshl_u32 v22, v20, v0, 3
	v_lshrrev_b32_e32 v20, 5, v82
	v_lshrrev_b32_e32 v23, 5, v81
	;; [unrolled: 1-line block ×4, first 2 shown]
	v_add_lshl_u32 v10, v10, v0, 3
	v_add_lshl_u32 v18, v18, v0, 3
	;; [unrolled: 1-line block ×10, first 2 shown]
	ds_load_b64 v[10:11], v10 offset:8192
	ds_load_b64 v[12:13], v14 offset:10240
	;; [unrolled: 1-line block ×12, first 2 shown]
	v_add_co_u32 v32, s3, s0, v94
	s_delay_alu instid0(VALU_DEP_1)
	v_add_co_ci_u32_e64 v61, null, s1, 0, s3
	s_waitcnt lgkmcnt(14)
	global_store_b64 v94, v[4:5], s[0:1] offset:2048
	v_add_co_u32 v4, vcc_lo, 0x1000, v32
	v_add_co_ci_u32_e32 v5, vcc_lo, 0, v61, vcc_lo
	v_add_co_u32 v39, vcc_lo, v32, 0x2000
	v_add_co_ci_u32_e32 v40, vcc_lo, 0, v61, vcc_lo
	;; [unrolled: 2-line block ×6, first 2 shown]
	s_waitcnt lgkmcnt(13)
	global_store_b64 v[39:40], v[6:7], off offset:-4096
	s_waitcnt lgkmcnt(11)
	global_store_b64 v[39:40], v[10:11], off
	s_waitcnt lgkmcnt(9)
	global_store_b64 v[51:52], v[14:15], off offset:-4096
	s_waitcnt lgkmcnt(7)
	s_clause 0x3
	global_store_b64 v[51:52], v[18:19], off
	global_store_b64 v[4:5], v[8:9], off offset:2048
	global_store_b64 v[43:44], v[12:13], off offset:2048
	;; [unrolled: 1-line block ×3, first 2 shown]
	s_waitcnt lgkmcnt(6)
	global_store_b64 v[55:56], v[20:21], off offset:2048
	v_add_co_u32 v4, vcc_lo, v32, 0x6000
	v_add_co_ci_u32_e32 v5, vcc_lo, 0, v61, vcc_lo
	v_add_co_u32 v6, vcc_lo, 0x5000, v32
	v_add_co_ci_u32_e32 v7, vcc_lo, 0, v61, vcc_lo
	;; [unrolled: 2-line block ×4, first 2 shown]
	s_mov_b32 s2, 0
	s_waitcnt lgkmcnt(5)
	s_clause 0x1
	global_store_b64 v[4:5], v[22:23], off offset:-4096
	global_store_b64 v94, v[2:3], s[0:1]
	s_waitcnt lgkmcnt(3)
	s_clause 0x1
	global_store_b64 v[4:5], v[26:27], off
	global_store_b64 v[6:7], v[24:25], off offset:2048
	s_waitcnt lgkmcnt(2)
	global_store_b64 v[8:9], v[28:29], off offset:2048
	s_waitcnt lgkmcnt(1)
	global_store_b64 v[10:11], v[30:31], off
	s_waitcnt lgkmcnt(0)
	global_store_b64 v[10:11], v[35:36], off offset:2048
.LBB91_95:
	s_and_not1_b32 vcc_lo, exec_lo, s2
	s_cbranch_vccnz .LBB91_113
; %bb.96:
	v_lshl_add_u32 v1, v96, 3, v1
	v_lshrrev_b32_e32 v2, 5, v92
	v_lshrrev_b32_e32 v3, 5, v91
	v_add_lshl_u32 v4, v95, v0, 3
	v_lshrrev_b32_e32 v10, 5, v90
	ds_store_2addr_b64 v1, v[59:60], v[63:64] offset1:1
	ds_store_2addr_b64 v1, v[33:34], v[65:66] offset0:2 offset1:3
	ds_store_2addr_b64 v1, v[37:38], v[67:68] offset0:4 offset1:5
	;; [unrolled: 1-line block ×7, first 2 shown]
	v_lshrrev_b32_e32 v1, 5, v93
	v_lshrrev_b32_e32 v11, 5, v89
	v_add_lshl_u32 v6, v2, v0, 3
	v_lshrrev_b32_e32 v12, 5, v88
	v_add_lshl_u32 v8, v3, v0, 3
	v_add_lshl_u32 v1, v1, v0, 3
	v_lshrrev_b32_e32 v13, 5, v87
	s_waitcnt lgkmcnt(0)
	s_waitcnt_vscnt null, 0x0
	s_barrier
	buffer_gl0_inv
	ds_load_b64 v[4:5], v4
	ds_load_b64 v[2:3], v1 offset:2048
	ds_load_b64 v[6:7], v6 offset:4096
	;; [unrolled: 1-line block ×3, first 2 shown]
	v_add_lshl_u32 v1, v10, v0, 3
	v_lshrrev_b32_e32 v18, 5, v86
	v_add_lshl_u32 v14, v11, v0, 3
	v_lshrrev_b32_e32 v19, 5, v85
	v_lshrrev_b32_e32 v20, 5, v84
	v_add_lshl_u32 v15, v12, v0, 3
	v_add_lshl_u32 v16, v13, v0, 3
	ds_load_b64 v[10:11], v1 offset:8192
	ds_load_b64 v[12:13], v14 offset:10240
	;; [unrolled: 1-line block ×4, first 2 shown]
	v_add_lshl_u32 v1, v18, v0, 3
	v_lshrrev_b32_e32 v18, 5, v83
	v_add_lshl_u32 v21, v19, v0, 3
	v_add_lshl_u32 v22, v20, v0, 3
	v_lshrrev_b32_e32 v19, 5, v82
	v_lshrrev_b32_e32 v20, 5, v81
	;; [unrolled: 1-line block ×4, first 2 shown]
	v_add_lshl_u32 v25, v18, v0, 3
	v_add_lshl_u32 v26, v19, v0, 3
	;; [unrolled: 1-line block ×5, first 2 shown]
	ds_load_b64 v[18:19], v1 offset:16384
	ds_load_b64 v[20:21], v21 offset:18432
	;; [unrolled: 1-line block ×8, first 2 shown]
	v_add_co_u32 v34, s0, s0, v94
	v_mov_b32_e32 v1, 0
	v_add_co_ci_u32_e64 v35, null, s1, 0, s0
	s_mov_b32 s0, exec_lo
	v_cmpx_gt_u32_e64 s14, v0
	s_cbranch_execnz .LBB91_129
; %bb.97:
	s_or_b32 exec_lo, exec_lo, s0
	s_delay_alu instid0(SALU_CYCLE_1)
	s_mov_b32 s0, exec_lo
	v_cmpx_gt_u32_e64 s14, v93
	s_cbranch_execnz .LBB91_130
.LBB91_98:
	s_or_b32 exec_lo, exec_lo, s0
	s_delay_alu instid0(SALU_CYCLE_1)
	s_mov_b32 s0, exec_lo
	v_cmpx_gt_u32_e64 s14, v92
	s_cbranch_execnz .LBB91_131
.LBB91_99:
	s_or_b32 exec_lo, exec_lo, s0
	s_delay_alu instid0(SALU_CYCLE_1)
	s_mov_b32 s0, exec_lo
	v_cmpx_gt_u32_e64 s14, v91
	s_cbranch_execnz .LBB91_132
.LBB91_100:
	s_or_b32 exec_lo, exec_lo, s0
	s_delay_alu instid0(SALU_CYCLE_1)
	s_mov_b32 s0, exec_lo
	v_cmpx_gt_u32_e64 s14, v90
	s_cbranch_execnz .LBB91_133
.LBB91_101:
	s_or_b32 exec_lo, exec_lo, s0
	s_delay_alu instid0(SALU_CYCLE_1)
	s_mov_b32 s0, exec_lo
	v_cmpx_gt_u32_e64 s14, v89
	s_cbranch_execnz .LBB91_134
.LBB91_102:
	s_or_b32 exec_lo, exec_lo, s0
	s_delay_alu instid0(SALU_CYCLE_1)
	s_mov_b32 s0, exec_lo
	v_cmpx_gt_u32_e64 s14, v88
	s_cbranch_execnz .LBB91_135
.LBB91_103:
	s_or_b32 exec_lo, exec_lo, s0
	s_delay_alu instid0(SALU_CYCLE_1)
	s_mov_b32 s0, exec_lo
	v_cmpx_gt_u32_e64 s14, v87
	s_cbranch_execnz .LBB91_136
.LBB91_104:
	s_or_b32 exec_lo, exec_lo, s0
	s_delay_alu instid0(SALU_CYCLE_1)
	s_mov_b32 s0, exec_lo
	v_cmpx_gt_u32_e64 s14, v86
	s_cbranch_execnz .LBB91_137
.LBB91_105:
	s_or_b32 exec_lo, exec_lo, s0
	s_delay_alu instid0(SALU_CYCLE_1)
	s_mov_b32 s0, exec_lo
	v_cmpx_gt_u32_e64 s14, v85
	s_cbranch_execnz .LBB91_138
.LBB91_106:
	s_or_b32 exec_lo, exec_lo, s0
	s_delay_alu instid0(SALU_CYCLE_1)
	s_mov_b32 s0, exec_lo
	v_cmpx_gt_u32_e64 s14, v84
	s_cbranch_execnz .LBB91_139
.LBB91_107:
	s_or_b32 exec_lo, exec_lo, s0
	s_delay_alu instid0(SALU_CYCLE_1)
	s_mov_b32 s0, exec_lo
	v_cmpx_gt_u32_e64 s14, v83
	s_cbranch_execnz .LBB91_140
.LBB91_108:
	s_or_b32 exec_lo, exec_lo, s0
	s_delay_alu instid0(SALU_CYCLE_1)
	s_mov_b32 s0, exec_lo
	v_cmpx_gt_u32_e64 s14, v82
	s_cbranch_execnz .LBB91_141
.LBB91_109:
	s_or_b32 exec_lo, exec_lo, s0
	s_delay_alu instid0(SALU_CYCLE_1)
	s_mov_b32 s0, exec_lo
	v_cmpx_gt_u32_e64 s14, v81
	s_cbranch_execnz .LBB91_142
.LBB91_110:
	s_or_b32 exec_lo, exec_lo, s0
	s_delay_alu instid0(SALU_CYCLE_1)
	s_mov_b32 s0, exec_lo
	v_cmpx_gt_u32_e64 s14, v80
	s_cbranch_execnz .LBB91_143
.LBB91_111:
	s_or_b32 exec_lo, exec_lo, s0
	s_delay_alu instid0(SALU_CYCLE_1)
	s_mov_b32 s0, exec_lo
	v_cmpx_gt_u32_e64 s14, v79
	s_cbranch_execnz .LBB91_144
.LBB91_112:
	s_or_b32 exec_lo, exec_lo, s0
	v_cmp_lt_u64_e64 s0, s[10:11], 2
	s_delay_alu instid0(VALU_DEP_1)
	s_and_b32 vcc_lo, exec_lo, s0
	s_cbranch_vccz .LBB91_145
.LBB91_113:
	s_nop 0
	s_sendmsg sendmsg(MSG_DEALLOC_VGPRS)
	s_endpgm
.LBB91_114:
	global_load_b64 v[33:34], v94, s[4:5]
	v_dual_mov_b32 v1, s36 :: v_dual_mov_b32 v2, s37
	v_dual_mov_b32 v3, s38 :: v_dual_mov_b32 v4, s39
	v_dual_mov_b32 v5, s40 :: v_dual_mov_b32 v6, s41
	v_dual_mov_b32 v7, s42 :: v_dual_mov_b32 v8, s43
	v_dual_mov_b32 v9, s44 :: v_dual_mov_b32 v10, s45
	v_dual_mov_b32 v11, s46 :: v_dual_mov_b32 v12, s47
	v_dual_mov_b32 v13, s48 :: v_dual_mov_b32 v14, s49
	v_dual_mov_b32 v15, s50 :: v_dual_mov_b32 v16, s51
	v_dual_mov_b32 v17, s52 :: v_dual_mov_b32 v18, s53
	v_dual_mov_b32 v19, s54 :: v_dual_mov_b32 v20, s55
	v_dual_mov_b32 v21, s56 :: v_dual_mov_b32 v22, s57
	v_dual_mov_b32 v23, s58 :: v_dual_mov_b32 v24, s59
	v_dual_mov_b32 v25, s60 :: v_dual_mov_b32 v26, s61
	v_dual_mov_b32 v27, s62 :: v_dual_mov_b32 v28, s63
	v_dual_mov_b32 v29, s64 :: v_dual_mov_b32 v30, s65
	v_dual_mov_b32 v31, s66 :: v_dual_mov_b32 v32, s67
	s_or_b32 exec_lo, exec_lo, s3
	s_delay_alu instid0(SALU_CYCLE_1)
	s_mov_b32 s2, exec_lo
	v_cmpx_gt_u32_e64 s14, v93
	s_cbranch_execz .LBB91_5
.LBB91_115:
	global_load_b64 v[3:4], v94, s[4:5] offset:2048
	s_or_b32 exec_lo, exec_lo, s2
	s_delay_alu instid0(SALU_CYCLE_1)
	s_mov_b32 s2, exec_lo
	v_cmpx_gt_u32_e64 s14, v92
	s_cbranch_execz .LBB91_6
.LBB91_116:
	v_lshlrev_b32_e32 v1, 3, v92
	global_load_b64 v[5:6], v1, s[4:5]
	s_or_b32 exec_lo, exec_lo, s2
	s_delay_alu instid0(SALU_CYCLE_1)
	s_mov_b32 s2, exec_lo
	v_cmpx_gt_u32_e64 s14, v91
	s_cbranch_execz .LBB91_7
.LBB91_117:
	v_lshlrev_b32_e32 v1, 3, v91
	global_load_b64 v[7:8], v1, s[4:5]
	s_or_b32 exec_lo, exec_lo, s2
	s_delay_alu instid0(SALU_CYCLE_1)
	s_mov_b32 s2, exec_lo
	v_cmpx_gt_u32_e64 s14, v90
	s_cbranch_execz .LBB91_8
.LBB91_118:
	v_lshlrev_b32_e32 v1, 3, v90
	global_load_b64 v[9:10], v1, s[4:5]
	s_or_b32 exec_lo, exec_lo, s2
	s_delay_alu instid0(SALU_CYCLE_1)
	s_mov_b32 s2, exec_lo
	v_cmpx_gt_u32_e64 s14, v89
	s_cbranch_execz .LBB91_9
.LBB91_119:
	v_lshlrev_b32_e32 v1, 3, v89
	global_load_b64 v[11:12], v1, s[4:5]
	s_or_b32 exec_lo, exec_lo, s2
	s_delay_alu instid0(SALU_CYCLE_1)
	s_mov_b32 s2, exec_lo
	v_cmpx_gt_u32_e64 s14, v88
	s_cbranch_execz .LBB91_10
.LBB91_120:
	v_lshlrev_b32_e32 v1, 3, v88
	global_load_b64 v[13:14], v1, s[4:5]
	s_or_b32 exec_lo, exec_lo, s2
	s_delay_alu instid0(SALU_CYCLE_1)
	s_mov_b32 s2, exec_lo
	v_cmpx_gt_u32_e64 s14, v87
	s_cbranch_execz .LBB91_11
.LBB91_121:
	v_lshlrev_b32_e32 v1, 3, v87
	global_load_b64 v[15:16], v1, s[4:5]
	s_or_b32 exec_lo, exec_lo, s2
	s_delay_alu instid0(SALU_CYCLE_1)
	s_mov_b32 s2, exec_lo
	v_cmpx_gt_u32_e64 s14, v86
	s_cbranch_execz .LBB91_12
.LBB91_122:
	v_lshlrev_b32_e32 v1, 3, v86
	global_load_b64 v[17:18], v1, s[4:5]
	s_or_b32 exec_lo, exec_lo, s2
	s_delay_alu instid0(SALU_CYCLE_1)
	s_mov_b32 s2, exec_lo
	v_cmpx_gt_u32_e64 s14, v85
	s_cbranch_execz .LBB91_13
.LBB91_123:
	v_lshlrev_b32_e32 v1, 3, v85
	global_load_b64 v[19:20], v1, s[4:5]
	s_or_b32 exec_lo, exec_lo, s2
	s_delay_alu instid0(SALU_CYCLE_1)
	s_mov_b32 s2, exec_lo
	v_cmpx_gt_u32_e64 s14, v84
	s_cbranch_execz .LBB91_14
.LBB91_124:
	v_lshlrev_b32_e32 v1, 3, v84
	global_load_b64 v[21:22], v1, s[4:5]
	s_or_b32 exec_lo, exec_lo, s2
	s_delay_alu instid0(SALU_CYCLE_1)
	s_mov_b32 s2, exec_lo
	v_cmpx_gt_u32_e64 s14, v83
	s_cbranch_execz .LBB91_15
.LBB91_125:
	v_lshlrev_b32_e32 v1, 3, v83
	global_load_b64 v[23:24], v1, s[4:5]
	s_or_b32 exec_lo, exec_lo, s2
	s_delay_alu instid0(SALU_CYCLE_1)
	s_mov_b32 s2, exec_lo
	v_cmpx_gt_u32_e64 s14, v82
	s_cbranch_execz .LBB91_16
.LBB91_126:
	v_lshlrev_b32_e32 v1, 3, v82
	global_load_b64 v[25:26], v1, s[4:5]
	s_or_b32 exec_lo, exec_lo, s2
	s_delay_alu instid0(SALU_CYCLE_1)
	s_mov_b32 s2, exec_lo
	v_cmpx_gt_u32_e64 s14, v81
	s_cbranch_execz .LBB91_17
.LBB91_127:
	v_lshlrev_b32_e32 v1, 3, v81
	global_load_b64 v[27:28], v1, s[4:5]
	s_or_b32 exec_lo, exec_lo, s2
	s_delay_alu instid0(SALU_CYCLE_1)
	s_mov_b32 s2, exec_lo
	v_cmpx_gt_u32_e64 s14, v80
	s_cbranch_execz .LBB91_18
.LBB91_128:
	v_lshlrev_b32_e32 v1, 3, v80
	global_load_b64 v[29:30], v1, s[4:5]
	s_or_b32 exec_lo, exec_lo, s2
	s_delay_alu instid0(SALU_CYCLE_1)
	s_mov_b32 s2, exec_lo
	v_cmpx_gt_u32_e64 s14, v79
	s_cbranch_execnz .LBB91_19
	s_branch .LBB91_20
.LBB91_129:
	s_waitcnt lgkmcnt(15)
	global_store_b64 v[34:35], v[4:5], off
	s_or_b32 exec_lo, exec_lo, s0
	s_delay_alu instid0(SALU_CYCLE_1)
	s_mov_b32 s0, exec_lo
	v_cmpx_gt_u32_e64 s14, v93
	s_cbranch_execz .LBB91_98
.LBB91_130:
	s_waitcnt lgkmcnt(14)
	global_store_b64 v[34:35], v[2:3], off offset:2048
	s_or_b32 exec_lo, exec_lo, s0
	s_delay_alu instid0(SALU_CYCLE_1)
	s_mov_b32 s0, exec_lo
	v_cmpx_gt_u32_e64 s14, v92
	s_cbranch_execz .LBB91_99
.LBB91_131:
	v_add_co_u32 v36, vcc_lo, 0x1000, v34
	v_add_co_ci_u32_e32 v37, vcc_lo, 0, v35, vcc_lo
	s_waitcnt lgkmcnt(13)
	global_store_b64 v[36:37], v[6:7], off
	s_or_b32 exec_lo, exec_lo, s0
	s_delay_alu instid0(SALU_CYCLE_1)
	s_mov_b32 s0, exec_lo
	v_cmpx_gt_u32_e64 s14, v91
	s_cbranch_execz .LBB91_100
.LBB91_132:
	v_add_co_u32 v36, vcc_lo, 0x1000, v34
	v_add_co_ci_u32_e32 v37, vcc_lo, 0, v35, vcc_lo
	s_waitcnt lgkmcnt(12)
	global_store_b64 v[36:37], v[8:9], off offset:2048
	s_or_b32 exec_lo, exec_lo, s0
	s_delay_alu instid0(SALU_CYCLE_1)
	s_mov_b32 s0, exec_lo
	v_cmpx_gt_u32_e64 s14, v90
	s_cbranch_execz .LBB91_101
.LBB91_133:
	v_add_co_u32 v36, vcc_lo, 0x2000, v34
	v_add_co_ci_u32_e32 v37, vcc_lo, 0, v35, vcc_lo
	s_waitcnt lgkmcnt(11)
	global_store_b64 v[36:37], v[10:11], off
	s_or_b32 exec_lo, exec_lo, s0
	s_delay_alu instid0(SALU_CYCLE_1)
	s_mov_b32 s0, exec_lo
	v_cmpx_gt_u32_e64 s14, v89
	s_cbranch_execz .LBB91_102
.LBB91_134:
	v_add_co_u32 v36, vcc_lo, 0x2000, v34
	v_add_co_ci_u32_e32 v37, vcc_lo, 0, v35, vcc_lo
	s_waitcnt lgkmcnt(10)
	global_store_b64 v[36:37], v[12:13], off offset:2048
	s_or_b32 exec_lo, exec_lo, s0
	s_delay_alu instid0(SALU_CYCLE_1)
	s_mov_b32 s0, exec_lo
	v_cmpx_gt_u32_e64 s14, v88
	s_cbranch_execz .LBB91_103
.LBB91_135:
	v_add_co_u32 v36, vcc_lo, 0x3000, v34
	v_add_co_ci_u32_e32 v37, vcc_lo, 0, v35, vcc_lo
	s_waitcnt lgkmcnt(9)
	global_store_b64 v[36:37], v[14:15], off
	s_or_b32 exec_lo, exec_lo, s0
	s_delay_alu instid0(SALU_CYCLE_1)
	s_mov_b32 s0, exec_lo
	v_cmpx_gt_u32_e64 s14, v87
	s_cbranch_execz .LBB91_104
.LBB91_136:
	v_add_co_u32 v36, vcc_lo, 0x3000, v34
	v_add_co_ci_u32_e32 v37, vcc_lo, 0, v35, vcc_lo
	s_waitcnt lgkmcnt(8)
	global_store_b64 v[36:37], v[16:17], off offset:2048
	s_or_b32 exec_lo, exec_lo, s0
	s_delay_alu instid0(SALU_CYCLE_1)
	s_mov_b32 s0, exec_lo
	v_cmpx_gt_u32_e64 s14, v86
	s_cbranch_execz .LBB91_105
.LBB91_137:
	v_add_co_u32 v36, vcc_lo, 0x4000, v34
	v_add_co_ci_u32_e32 v37, vcc_lo, 0, v35, vcc_lo
	s_waitcnt lgkmcnt(7)
	global_store_b64 v[36:37], v[18:19], off
	s_or_b32 exec_lo, exec_lo, s0
	s_delay_alu instid0(SALU_CYCLE_1)
	s_mov_b32 s0, exec_lo
	v_cmpx_gt_u32_e64 s14, v85
	s_cbranch_execz .LBB91_106
.LBB91_138:
	v_add_co_u32 v36, vcc_lo, 0x4000, v34
	v_add_co_ci_u32_e32 v37, vcc_lo, 0, v35, vcc_lo
	s_waitcnt lgkmcnt(6)
	global_store_b64 v[36:37], v[20:21], off offset:2048
	s_or_b32 exec_lo, exec_lo, s0
	s_delay_alu instid0(SALU_CYCLE_1)
	s_mov_b32 s0, exec_lo
	v_cmpx_gt_u32_e64 s14, v84
	s_cbranch_execz .LBB91_107
.LBB91_139:
	v_add_co_u32 v36, vcc_lo, 0x5000, v34
	v_add_co_ci_u32_e32 v37, vcc_lo, 0, v35, vcc_lo
	s_waitcnt lgkmcnt(5)
	global_store_b64 v[36:37], v[22:23], off
	s_or_b32 exec_lo, exec_lo, s0
	s_delay_alu instid0(SALU_CYCLE_1)
	s_mov_b32 s0, exec_lo
	v_cmpx_gt_u32_e64 s14, v83
	s_cbranch_execz .LBB91_108
.LBB91_140:
	v_add_co_u32 v36, vcc_lo, 0x5000, v34
	v_add_co_ci_u32_e32 v37, vcc_lo, 0, v35, vcc_lo
	s_waitcnt lgkmcnt(4)
	global_store_b64 v[36:37], v[24:25], off offset:2048
	s_or_b32 exec_lo, exec_lo, s0
	s_delay_alu instid0(SALU_CYCLE_1)
	s_mov_b32 s0, exec_lo
	v_cmpx_gt_u32_e64 s14, v82
	s_cbranch_execz .LBB91_109
.LBB91_141:
	v_add_co_u32 v36, vcc_lo, 0x6000, v34
	v_add_co_ci_u32_e32 v37, vcc_lo, 0, v35, vcc_lo
	s_waitcnt lgkmcnt(3)
	global_store_b64 v[36:37], v[26:27], off
	s_or_b32 exec_lo, exec_lo, s0
	s_delay_alu instid0(SALU_CYCLE_1)
	s_mov_b32 s0, exec_lo
	v_cmpx_gt_u32_e64 s14, v81
	s_cbranch_execz .LBB91_110
.LBB91_142:
	v_add_co_u32 v36, vcc_lo, 0x6000, v34
	v_add_co_ci_u32_e32 v37, vcc_lo, 0, v35, vcc_lo
	s_waitcnt lgkmcnt(2)
	global_store_b64 v[36:37], v[28:29], off offset:2048
	s_or_b32 exec_lo, exec_lo, s0
	s_delay_alu instid0(SALU_CYCLE_1)
	s_mov_b32 s0, exec_lo
	v_cmpx_gt_u32_e64 s14, v80
	s_cbranch_execz .LBB91_111
.LBB91_143:
	v_add_co_u32 v36, vcc_lo, 0x7000, v34
	v_add_co_ci_u32_e32 v37, vcc_lo, 0, v35, vcc_lo
	s_waitcnt lgkmcnt(1)
	global_store_b64 v[36:37], v[30:31], off
	s_or_b32 exec_lo, exec_lo, s0
	s_delay_alu instid0(SALU_CYCLE_1)
	s_mov_b32 s0, exec_lo
	v_cmpx_gt_u32_e64 s14, v79
	s_cbranch_execz .LBB91_112
.LBB91_144:
	v_add_co_u32 v34, vcc_lo, 0x7000, v34
	v_add_co_ci_u32_e32 v35, vcc_lo, 0, v35, vcc_lo
	s_waitcnt lgkmcnt(0)
	global_store_b64 v[34:35], v[32:33], off offset:2048
	s_or_b32 exec_lo, exec_lo, s0
	v_cmp_lt_u64_e64 s0, s[10:11], 2
	s_delay_alu instid0(VALU_DEP_1)
	s_and_b32 vcc_lo, exec_lo, s0
	s_cbranch_vccnz .LBB91_113
.LBB91_145:
	s_add_u32 s0, s14, -1
	s_addc_u32 s1, s22, -1
	s_delay_alu instid0(SALU_CYCLE_1)
	s_lshr_b64 s[2:3], s[0:1], 4
	s_mov_b32 s1, exec_lo
	v_cmpx_eq_u64_e64 s[2:3], v[0:1]
	s_cbranch_execz .LBB91_113
; %bb.146:
	s_and_b32 s0, s0, 15
	s_mov_b32 s1, 0
	s_delay_alu instid0(SALU_CYCLE_1) | instskip(NEXT) | instid1(VALU_DEP_1)
	v_cmp_lt_i64_e64 s2, s[0:1], 8
	s_and_b32 vcc_lo, exec_lo, s2
	s_mov_b32 s2, -1
	s_cbranch_vccnz .LBB91_173
; %bb.147:
	v_cmp_lt_i64_e64 s2, s[0:1], 12
	s_delay_alu instid0(VALU_DEP_1)
	s_and_b32 vcc_lo, exec_lo, s2
	s_mov_b32 s2, -1
	s_cbranch_vccnz .LBB91_160
; %bb.148:
	v_cmp_lt_i64_e64 s2, s[0:1], 14
	s_delay_alu instid0(VALU_DEP_1)
	s_and_b32 vcc_lo, exec_lo, s2
	s_mov_b32 s2, -1
	s_cbranch_vccnz .LBB91_154
; %bb.149:
	v_cmp_gt_i64_e64 s2, s[0:1], 14
	s_delay_alu instid0(VALU_DEP_1)
	s_and_b32 vcc_lo, exec_lo, s2
	s_mov_b32 s2, -1
	s_cbranch_vccz .LBB91_151
; %bb.150:
	v_mov_b32_e32 v0, 0
	s_mov_b32 s2, 0
	s_waitcnt lgkmcnt(0)
	global_store_b64 v0, v[32:33], s[6:7]
.LBB91_151:
	s_and_not1_b32 vcc_lo, exec_lo, s2
	s_cbranch_vccnz .LBB91_153
; %bb.152:
	v_mov_b32_e32 v0, 0
	s_waitcnt lgkmcnt(1)
	global_store_b64 v0, v[30:31], s[6:7]
.LBB91_153:
	s_mov_b32 s2, 0
.LBB91_154:
	s_delay_alu instid0(SALU_CYCLE_1)
	s_and_not1_b32 vcc_lo, exec_lo, s2
	s_cbranch_vccnz .LBB91_159
; %bb.155:
	v_cmp_gt_i64_e64 s2, s[0:1], 12
	s_delay_alu instid0(VALU_DEP_1)
	s_and_b32 vcc_lo, exec_lo, s2
	s_mov_b32 s2, -1
	s_cbranch_vccz .LBB91_157
; %bb.156:
	v_mov_b32_e32 v0, 0
	s_mov_b32 s2, 0
	s_waitcnt lgkmcnt(2)
	global_store_b64 v0, v[28:29], s[6:7]
.LBB91_157:
	s_and_not1_b32 vcc_lo, exec_lo, s2
	s_cbranch_vccnz .LBB91_159
; %bb.158:
	v_mov_b32_e32 v0, 0
	s_waitcnt lgkmcnt(3)
	global_store_b64 v0, v[26:27], s[6:7]
.LBB91_159:
	s_mov_b32 s2, 0
.LBB91_160:
	s_delay_alu instid0(SALU_CYCLE_1)
	s_and_not1_b32 vcc_lo, exec_lo, s2
	s_cbranch_vccnz .LBB91_172
; %bb.161:
	v_cmp_lt_i64_e64 s2, s[0:1], 10
	s_delay_alu instid0(VALU_DEP_1)
	s_and_b32 vcc_lo, exec_lo, s2
	s_mov_b32 s2, -1
	s_cbranch_vccnz .LBB91_167
; %bb.162:
	v_cmp_gt_i64_e64 s2, s[0:1], 10
	s_delay_alu instid0(VALU_DEP_1)
	s_and_b32 vcc_lo, exec_lo, s2
	s_mov_b32 s2, -1
	s_cbranch_vccz .LBB91_164
; %bb.163:
	v_mov_b32_e32 v0, 0
	s_mov_b32 s2, 0
	s_waitcnt lgkmcnt(4)
	global_store_b64 v0, v[24:25], s[6:7]
.LBB91_164:
	s_and_not1_b32 vcc_lo, exec_lo, s2
	s_cbranch_vccnz .LBB91_166
; %bb.165:
	v_mov_b32_e32 v0, 0
	s_waitcnt lgkmcnt(5)
	global_store_b64 v0, v[22:23], s[6:7]
.LBB91_166:
	s_mov_b32 s2, 0
.LBB91_167:
	s_delay_alu instid0(SALU_CYCLE_1)
	s_and_not1_b32 vcc_lo, exec_lo, s2
	s_cbranch_vccnz .LBB91_172
; %bb.168:
	v_cmp_gt_i64_e64 s2, s[0:1], 8
	s_delay_alu instid0(VALU_DEP_1)
	s_and_b32 vcc_lo, exec_lo, s2
	s_mov_b32 s2, -1
	s_cbranch_vccz .LBB91_170
; %bb.169:
	v_mov_b32_e32 v0, 0
	s_mov_b32 s2, 0
	s_waitcnt lgkmcnt(6)
	global_store_b64 v0, v[20:21], s[6:7]
.LBB91_170:
	s_and_not1_b32 vcc_lo, exec_lo, s2
	s_cbranch_vccnz .LBB91_172
; %bb.171:
	v_mov_b32_e32 v0, 0
	s_waitcnt lgkmcnt(7)
	global_store_b64 v0, v[18:19], s[6:7]
.LBB91_172:
	s_mov_b32 s2, 0
.LBB91_173:
	s_delay_alu instid0(SALU_CYCLE_1)
	s_and_not1_b32 vcc_lo, exec_lo, s2
	s_cbranch_vccnz .LBB91_113
; %bb.174:
	v_cmp_lt_i64_e64 s2, s[0:1], 4
	s_delay_alu instid0(VALU_DEP_1)
	s_and_b32 vcc_lo, exec_lo, s2
	s_mov_b32 s2, -1
	s_cbranch_vccnz .LBB91_187
; %bb.175:
	v_cmp_lt_i64_e64 s2, s[0:1], 6
	s_delay_alu instid0(VALU_DEP_1)
	s_and_b32 vcc_lo, exec_lo, s2
	s_mov_b32 s2, -1
	s_cbranch_vccnz .LBB91_181
; %bb.176:
	v_cmp_gt_i64_e64 s2, s[0:1], 6
	s_delay_alu instid0(VALU_DEP_1)
	s_and_b32 vcc_lo, exec_lo, s2
	s_mov_b32 s2, -1
	s_cbranch_vccz .LBB91_178
; %bb.177:
	v_mov_b32_e32 v0, 0
	s_mov_b32 s2, 0
	s_waitcnt lgkmcnt(8)
	global_store_b64 v0, v[16:17], s[6:7]
.LBB91_178:
	s_and_not1_b32 vcc_lo, exec_lo, s2
	s_cbranch_vccnz .LBB91_180
; %bb.179:
	v_mov_b32_e32 v0, 0
	s_waitcnt lgkmcnt(9)
	global_store_b64 v0, v[14:15], s[6:7]
.LBB91_180:
	s_mov_b32 s2, 0
.LBB91_181:
	s_delay_alu instid0(SALU_CYCLE_1)
	s_and_not1_b32 vcc_lo, exec_lo, s2
	s_cbranch_vccnz .LBB91_186
; %bb.182:
	v_cmp_gt_i64_e64 s2, s[0:1], 4
	s_delay_alu instid0(VALU_DEP_1)
	s_and_b32 vcc_lo, exec_lo, s2
	s_mov_b32 s2, -1
	s_cbranch_vccz .LBB91_184
; %bb.183:
	v_mov_b32_e32 v0, 0
	s_mov_b32 s2, 0
	s_waitcnt lgkmcnt(10)
	global_store_b64 v0, v[12:13], s[6:7]
.LBB91_184:
	s_and_not1_b32 vcc_lo, exec_lo, s2
	s_cbranch_vccnz .LBB91_186
; %bb.185:
	v_mov_b32_e32 v0, 0
	s_waitcnt lgkmcnt(11)
	global_store_b64 v0, v[10:11], s[6:7]
.LBB91_186:
	s_mov_b32 s2, 0
.LBB91_187:
	s_delay_alu instid0(SALU_CYCLE_1)
	s_and_not1_b32 vcc_lo, exec_lo, s2
	s_cbranch_vccnz .LBB91_113
; %bb.188:
	v_cmp_lt_i64_e64 s2, s[0:1], 2
	s_delay_alu instid0(VALU_DEP_1)
	s_and_b32 vcc_lo, exec_lo, s2
	s_mov_b32 s2, -1
	s_cbranch_vccnz .LBB91_194
; %bb.189:
	v_cmp_gt_i64_e64 s2, s[0:1], 2
	s_delay_alu instid0(VALU_DEP_1)
	s_and_b32 vcc_lo, exec_lo, s2
	s_mov_b32 s2, -1
	s_cbranch_vccz .LBB91_191
; %bb.190:
	v_mov_b32_e32 v0, 0
	s_mov_b32 s2, 0
	s_waitcnt lgkmcnt(12)
	global_store_b64 v0, v[8:9], s[6:7]
.LBB91_191:
	s_and_not1_b32 vcc_lo, exec_lo, s2
	s_cbranch_vccnz .LBB91_193
; %bb.192:
	v_mov_b32_e32 v0, 0
	s_waitcnt lgkmcnt(13)
	global_store_b64 v0, v[6:7], s[6:7]
.LBB91_193:
	s_mov_b32 s2, 0
.LBB91_194:
	s_delay_alu instid0(SALU_CYCLE_1)
	s_and_not1_b32 vcc_lo, exec_lo, s2
	s_cbranch_vccnz .LBB91_113
; %bb.195:
	s_cmp_eq_u64 s[0:1], 1
	s_mov_b32 s0, -1
	s_cbranch_scc1 .LBB91_197
; %bb.196:
	v_mov_b32_e32 v0, 0
	s_mov_b32 s0, 0
	s_waitcnt lgkmcnt(15)
	global_store_b64 v0, v[4:5], s[6:7]
.LBB91_197:
	s_and_not1_b32 vcc_lo, exec_lo, s0
	s_cbranch_vccnz .LBB91_113
; %bb.198:
	v_mov_b32_e32 v0, 0
	s_waitcnt lgkmcnt(14)
	global_store_b64 v0, v[2:3], s[6:7]
	s_nop 0
	s_sendmsg sendmsg(MSG_DEALLOC_VGPRS)
	s_endpgm
	.section	.rodata,"a",@progbits
	.p2align	6, 0x0
	.amdhsa_kernel _ZN7rocprim17ROCPRIM_400000_NS6detail17trampoline_kernelINS0_14default_configENS1_20scan_config_selectorIlEEZZNS1_9scan_implILNS1_25lookback_scan_determinismE0ELb0ELb0ES3_PlS8_lN6thrust23THRUST_200600_302600_NS4plusIvEElEEDaPvRmT3_T4_T5_mT6_P12ihipStream_tbENKUlT_T0_E_clISt17integral_constantIbLb0EESQ_EEDaSL_SM_EUlSL_E_NS1_11comp_targetILNS1_3genE9ELNS1_11target_archE1100ELNS1_3gpuE3ELNS1_3repE0EEENS1_30default_config_static_selectorELNS0_4arch9wavefront6targetE0EEEvT1_
		.amdhsa_group_segment_fixed_size 33792
		.amdhsa_private_segment_fixed_size 0
		.amdhsa_kernarg_size 104
		.amdhsa_user_sgpr_count 15
		.amdhsa_user_sgpr_dispatch_ptr 0
		.amdhsa_user_sgpr_queue_ptr 0
		.amdhsa_user_sgpr_kernarg_segment_ptr 1
		.amdhsa_user_sgpr_dispatch_id 0
		.amdhsa_user_sgpr_private_segment_size 0
		.amdhsa_wavefront_size32 1
		.amdhsa_uses_dynamic_stack 0
		.amdhsa_enable_private_segment 0
		.amdhsa_system_sgpr_workgroup_id_x 1
		.amdhsa_system_sgpr_workgroup_id_y 0
		.amdhsa_system_sgpr_workgroup_id_z 0
		.amdhsa_system_sgpr_workgroup_info 0
		.amdhsa_system_vgpr_workitem_id 0
		.amdhsa_next_free_vgpr 109
		.amdhsa_next_free_sgpr 68
		.amdhsa_reserve_vcc 1
		.amdhsa_float_round_mode_32 0
		.amdhsa_float_round_mode_16_64 0
		.amdhsa_float_denorm_mode_32 3
		.amdhsa_float_denorm_mode_16_64 3
		.amdhsa_dx10_clamp 1
		.amdhsa_ieee_mode 1
		.amdhsa_fp16_overflow 0
		.amdhsa_workgroup_processor_mode 1
		.amdhsa_memory_ordered 1
		.amdhsa_forward_progress 0
		.amdhsa_shared_vgpr_count 0
		.amdhsa_exception_fp_ieee_invalid_op 0
		.amdhsa_exception_fp_denorm_src 0
		.amdhsa_exception_fp_ieee_div_zero 0
		.amdhsa_exception_fp_ieee_overflow 0
		.amdhsa_exception_fp_ieee_underflow 0
		.amdhsa_exception_fp_ieee_inexact 0
		.amdhsa_exception_int_div_zero 0
	.end_amdhsa_kernel
	.section	.text._ZN7rocprim17ROCPRIM_400000_NS6detail17trampoline_kernelINS0_14default_configENS1_20scan_config_selectorIlEEZZNS1_9scan_implILNS1_25lookback_scan_determinismE0ELb0ELb0ES3_PlS8_lN6thrust23THRUST_200600_302600_NS4plusIvEElEEDaPvRmT3_T4_T5_mT6_P12ihipStream_tbENKUlT_T0_E_clISt17integral_constantIbLb0EESQ_EEDaSL_SM_EUlSL_E_NS1_11comp_targetILNS1_3genE9ELNS1_11target_archE1100ELNS1_3gpuE3ELNS1_3repE0EEENS1_30default_config_static_selectorELNS0_4arch9wavefront6targetE0EEEvT1_,"axG",@progbits,_ZN7rocprim17ROCPRIM_400000_NS6detail17trampoline_kernelINS0_14default_configENS1_20scan_config_selectorIlEEZZNS1_9scan_implILNS1_25lookback_scan_determinismE0ELb0ELb0ES3_PlS8_lN6thrust23THRUST_200600_302600_NS4plusIvEElEEDaPvRmT3_T4_T5_mT6_P12ihipStream_tbENKUlT_T0_E_clISt17integral_constantIbLb0EESQ_EEDaSL_SM_EUlSL_E_NS1_11comp_targetILNS1_3genE9ELNS1_11target_archE1100ELNS1_3gpuE3ELNS1_3repE0EEENS1_30default_config_static_selectorELNS0_4arch9wavefront6targetE0EEEvT1_,comdat
.Lfunc_end91:
	.size	_ZN7rocprim17ROCPRIM_400000_NS6detail17trampoline_kernelINS0_14default_configENS1_20scan_config_selectorIlEEZZNS1_9scan_implILNS1_25lookback_scan_determinismE0ELb0ELb0ES3_PlS8_lN6thrust23THRUST_200600_302600_NS4plusIvEElEEDaPvRmT3_T4_T5_mT6_P12ihipStream_tbENKUlT_T0_E_clISt17integral_constantIbLb0EESQ_EEDaSL_SM_EUlSL_E_NS1_11comp_targetILNS1_3genE9ELNS1_11target_archE1100ELNS1_3gpuE3ELNS1_3repE0EEENS1_30default_config_static_selectorELNS0_4arch9wavefront6targetE0EEEvT1_, .Lfunc_end91-_ZN7rocprim17ROCPRIM_400000_NS6detail17trampoline_kernelINS0_14default_configENS1_20scan_config_selectorIlEEZZNS1_9scan_implILNS1_25lookback_scan_determinismE0ELb0ELb0ES3_PlS8_lN6thrust23THRUST_200600_302600_NS4plusIvEElEEDaPvRmT3_T4_T5_mT6_P12ihipStream_tbENKUlT_T0_E_clISt17integral_constantIbLb0EESQ_EEDaSL_SM_EUlSL_E_NS1_11comp_targetILNS1_3genE9ELNS1_11target_archE1100ELNS1_3gpuE3ELNS1_3repE0EEENS1_30default_config_static_selectorELNS0_4arch9wavefront6targetE0EEEvT1_
                                        ; -- End function
	.section	.AMDGPU.csdata,"",@progbits
; Kernel info:
; codeLenInByte = 11536
; NumSgprs: 70
; NumVgprs: 109
; ScratchSize: 0
; MemoryBound: 0
; FloatMode: 240
; IeeeMode: 1
; LDSByteSize: 33792 bytes/workgroup (compile time only)
; SGPRBlocks: 8
; VGPRBlocks: 13
; NumSGPRsForWavesPerEU: 70
; NumVGPRsForWavesPerEU: 109
; Occupancy: 6
; WaveLimiterHint : 1
; COMPUTE_PGM_RSRC2:SCRATCH_EN: 0
; COMPUTE_PGM_RSRC2:USER_SGPR: 15
; COMPUTE_PGM_RSRC2:TRAP_HANDLER: 0
; COMPUTE_PGM_RSRC2:TGID_X_EN: 1
; COMPUTE_PGM_RSRC2:TGID_Y_EN: 0
; COMPUTE_PGM_RSRC2:TGID_Z_EN: 0
; COMPUTE_PGM_RSRC2:TIDIG_COMP_CNT: 0
	.section	.text._ZN7rocprim17ROCPRIM_400000_NS6detail17trampoline_kernelINS0_14default_configENS1_20scan_config_selectorIlEEZZNS1_9scan_implILNS1_25lookback_scan_determinismE0ELb0ELb0ES3_PlS8_lN6thrust23THRUST_200600_302600_NS4plusIvEElEEDaPvRmT3_T4_T5_mT6_P12ihipStream_tbENKUlT_T0_E_clISt17integral_constantIbLb0EESQ_EEDaSL_SM_EUlSL_E_NS1_11comp_targetILNS1_3genE8ELNS1_11target_archE1030ELNS1_3gpuE2ELNS1_3repE0EEENS1_30default_config_static_selectorELNS0_4arch9wavefront6targetE0EEEvT1_,"axG",@progbits,_ZN7rocprim17ROCPRIM_400000_NS6detail17trampoline_kernelINS0_14default_configENS1_20scan_config_selectorIlEEZZNS1_9scan_implILNS1_25lookback_scan_determinismE0ELb0ELb0ES3_PlS8_lN6thrust23THRUST_200600_302600_NS4plusIvEElEEDaPvRmT3_T4_T5_mT6_P12ihipStream_tbENKUlT_T0_E_clISt17integral_constantIbLb0EESQ_EEDaSL_SM_EUlSL_E_NS1_11comp_targetILNS1_3genE8ELNS1_11target_archE1030ELNS1_3gpuE2ELNS1_3repE0EEENS1_30default_config_static_selectorELNS0_4arch9wavefront6targetE0EEEvT1_,comdat
	.protected	_ZN7rocprim17ROCPRIM_400000_NS6detail17trampoline_kernelINS0_14default_configENS1_20scan_config_selectorIlEEZZNS1_9scan_implILNS1_25lookback_scan_determinismE0ELb0ELb0ES3_PlS8_lN6thrust23THRUST_200600_302600_NS4plusIvEElEEDaPvRmT3_T4_T5_mT6_P12ihipStream_tbENKUlT_T0_E_clISt17integral_constantIbLb0EESQ_EEDaSL_SM_EUlSL_E_NS1_11comp_targetILNS1_3genE8ELNS1_11target_archE1030ELNS1_3gpuE2ELNS1_3repE0EEENS1_30default_config_static_selectorELNS0_4arch9wavefront6targetE0EEEvT1_ ; -- Begin function _ZN7rocprim17ROCPRIM_400000_NS6detail17trampoline_kernelINS0_14default_configENS1_20scan_config_selectorIlEEZZNS1_9scan_implILNS1_25lookback_scan_determinismE0ELb0ELb0ES3_PlS8_lN6thrust23THRUST_200600_302600_NS4plusIvEElEEDaPvRmT3_T4_T5_mT6_P12ihipStream_tbENKUlT_T0_E_clISt17integral_constantIbLb0EESQ_EEDaSL_SM_EUlSL_E_NS1_11comp_targetILNS1_3genE8ELNS1_11target_archE1030ELNS1_3gpuE2ELNS1_3repE0EEENS1_30default_config_static_selectorELNS0_4arch9wavefront6targetE0EEEvT1_
	.globl	_ZN7rocprim17ROCPRIM_400000_NS6detail17trampoline_kernelINS0_14default_configENS1_20scan_config_selectorIlEEZZNS1_9scan_implILNS1_25lookback_scan_determinismE0ELb0ELb0ES3_PlS8_lN6thrust23THRUST_200600_302600_NS4plusIvEElEEDaPvRmT3_T4_T5_mT6_P12ihipStream_tbENKUlT_T0_E_clISt17integral_constantIbLb0EESQ_EEDaSL_SM_EUlSL_E_NS1_11comp_targetILNS1_3genE8ELNS1_11target_archE1030ELNS1_3gpuE2ELNS1_3repE0EEENS1_30default_config_static_selectorELNS0_4arch9wavefront6targetE0EEEvT1_
	.p2align	8
	.type	_ZN7rocprim17ROCPRIM_400000_NS6detail17trampoline_kernelINS0_14default_configENS1_20scan_config_selectorIlEEZZNS1_9scan_implILNS1_25lookback_scan_determinismE0ELb0ELb0ES3_PlS8_lN6thrust23THRUST_200600_302600_NS4plusIvEElEEDaPvRmT3_T4_T5_mT6_P12ihipStream_tbENKUlT_T0_E_clISt17integral_constantIbLb0EESQ_EEDaSL_SM_EUlSL_E_NS1_11comp_targetILNS1_3genE8ELNS1_11target_archE1030ELNS1_3gpuE2ELNS1_3repE0EEENS1_30default_config_static_selectorELNS0_4arch9wavefront6targetE0EEEvT1_,@function
_ZN7rocprim17ROCPRIM_400000_NS6detail17trampoline_kernelINS0_14default_configENS1_20scan_config_selectorIlEEZZNS1_9scan_implILNS1_25lookback_scan_determinismE0ELb0ELb0ES3_PlS8_lN6thrust23THRUST_200600_302600_NS4plusIvEElEEDaPvRmT3_T4_T5_mT6_P12ihipStream_tbENKUlT_T0_E_clISt17integral_constantIbLb0EESQ_EEDaSL_SM_EUlSL_E_NS1_11comp_targetILNS1_3genE8ELNS1_11target_archE1030ELNS1_3gpuE2ELNS1_3repE0EEENS1_30default_config_static_selectorELNS0_4arch9wavefront6targetE0EEEvT1_: ; @_ZN7rocprim17ROCPRIM_400000_NS6detail17trampoline_kernelINS0_14default_configENS1_20scan_config_selectorIlEEZZNS1_9scan_implILNS1_25lookback_scan_determinismE0ELb0ELb0ES3_PlS8_lN6thrust23THRUST_200600_302600_NS4plusIvEElEEDaPvRmT3_T4_T5_mT6_P12ihipStream_tbENKUlT_T0_E_clISt17integral_constantIbLb0EESQ_EEDaSL_SM_EUlSL_E_NS1_11comp_targetILNS1_3genE8ELNS1_11target_archE1030ELNS1_3gpuE2ELNS1_3repE0EEENS1_30default_config_static_selectorELNS0_4arch9wavefront6targetE0EEEvT1_
; %bb.0:
	.section	.rodata,"a",@progbits
	.p2align	6, 0x0
	.amdhsa_kernel _ZN7rocprim17ROCPRIM_400000_NS6detail17trampoline_kernelINS0_14default_configENS1_20scan_config_selectorIlEEZZNS1_9scan_implILNS1_25lookback_scan_determinismE0ELb0ELb0ES3_PlS8_lN6thrust23THRUST_200600_302600_NS4plusIvEElEEDaPvRmT3_T4_T5_mT6_P12ihipStream_tbENKUlT_T0_E_clISt17integral_constantIbLb0EESQ_EEDaSL_SM_EUlSL_E_NS1_11comp_targetILNS1_3genE8ELNS1_11target_archE1030ELNS1_3gpuE2ELNS1_3repE0EEENS1_30default_config_static_selectorELNS0_4arch9wavefront6targetE0EEEvT1_
		.amdhsa_group_segment_fixed_size 0
		.amdhsa_private_segment_fixed_size 0
		.amdhsa_kernarg_size 104
		.amdhsa_user_sgpr_count 15
		.amdhsa_user_sgpr_dispatch_ptr 0
		.amdhsa_user_sgpr_queue_ptr 0
		.amdhsa_user_sgpr_kernarg_segment_ptr 1
		.amdhsa_user_sgpr_dispatch_id 0
		.amdhsa_user_sgpr_private_segment_size 0
		.amdhsa_wavefront_size32 1
		.amdhsa_uses_dynamic_stack 0
		.amdhsa_enable_private_segment 0
		.amdhsa_system_sgpr_workgroup_id_x 1
		.amdhsa_system_sgpr_workgroup_id_y 0
		.amdhsa_system_sgpr_workgroup_id_z 0
		.amdhsa_system_sgpr_workgroup_info 0
		.amdhsa_system_vgpr_workitem_id 0
		.amdhsa_next_free_vgpr 1
		.amdhsa_next_free_sgpr 1
		.amdhsa_reserve_vcc 0
		.amdhsa_float_round_mode_32 0
		.amdhsa_float_round_mode_16_64 0
		.amdhsa_float_denorm_mode_32 3
		.amdhsa_float_denorm_mode_16_64 3
		.amdhsa_dx10_clamp 1
		.amdhsa_ieee_mode 1
		.amdhsa_fp16_overflow 0
		.amdhsa_workgroup_processor_mode 1
		.amdhsa_memory_ordered 1
		.amdhsa_forward_progress 0
		.amdhsa_shared_vgpr_count 0
		.amdhsa_exception_fp_ieee_invalid_op 0
		.amdhsa_exception_fp_denorm_src 0
		.amdhsa_exception_fp_ieee_div_zero 0
		.amdhsa_exception_fp_ieee_overflow 0
		.amdhsa_exception_fp_ieee_underflow 0
		.amdhsa_exception_fp_ieee_inexact 0
		.amdhsa_exception_int_div_zero 0
	.end_amdhsa_kernel
	.section	.text._ZN7rocprim17ROCPRIM_400000_NS6detail17trampoline_kernelINS0_14default_configENS1_20scan_config_selectorIlEEZZNS1_9scan_implILNS1_25lookback_scan_determinismE0ELb0ELb0ES3_PlS8_lN6thrust23THRUST_200600_302600_NS4plusIvEElEEDaPvRmT3_T4_T5_mT6_P12ihipStream_tbENKUlT_T0_E_clISt17integral_constantIbLb0EESQ_EEDaSL_SM_EUlSL_E_NS1_11comp_targetILNS1_3genE8ELNS1_11target_archE1030ELNS1_3gpuE2ELNS1_3repE0EEENS1_30default_config_static_selectorELNS0_4arch9wavefront6targetE0EEEvT1_,"axG",@progbits,_ZN7rocprim17ROCPRIM_400000_NS6detail17trampoline_kernelINS0_14default_configENS1_20scan_config_selectorIlEEZZNS1_9scan_implILNS1_25lookback_scan_determinismE0ELb0ELb0ES3_PlS8_lN6thrust23THRUST_200600_302600_NS4plusIvEElEEDaPvRmT3_T4_T5_mT6_P12ihipStream_tbENKUlT_T0_E_clISt17integral_constantIbLb0EESQ_EEDaSL_SM_EUlSL_E_NS1_11comp_targetILNS1_3genE8ELNS1_11target_archE1030ELNS1_3gpuE2ELNS1_3repE0EEENS1_30default_config_static_selectorELNS0_4arch9wavefront6targetE0EEEvT1_,comdat
.Lfunc_end92:
	.size	_ZN7rocprim17ROCPRIM_400000_NS6detail17trampoline_kernelINS0_14default_configENS1_20scan_config_selectorIlEEZZNS1_9scan_implILNS1_25lookback_scan_determinismE0ELb0ELb0ES3_PlS8_lN6thrust23THRUST_200600_302600_NS4plusIvEElEEDaPvRmT3_T4_T5_mT6_P12ihipStream_tbENKUlT_T0_E_clISt17integral_constantIbLb0EESQ_EEDaSL_SM_EUlSL_E_NS1_11comp_targetILNS1_3genE8ELNS1_11target_archE1030ELNS1_3gpuE2ELNS1_3repE0EEENS1_30default_config_static_selectorELNS0_4arch9wavefront6targetE0EEEvT1_, .Lfunc_end92-_ZN7rocprim17ROCPRIM_400000_NS6detail17trampoline_kernelINS0_14default_configENS1_20scan_config_selectorIlEEZZNS1_9scan_implILNS1_25lookback_scan_determinismE0ELb0ELb0ES3_PlS8_lN6thrust23THRUST_200600_302600_NS4plusIvEElEEDaPvRmT3_T4_T5_mT6_P12ihipStream_tbENKUlT_T0_E_clISt17integral_constantIbLb0EESQ_EEDaSL_SM_EUlSL_E_NS1_11comp_targetILNS1_3genE8ELNS1_11target_archE1030ELNS1_3gpuE2ELNS1_3repE0EEENS1_30default_config_static_selectorELNS0_4arch9wavefront6targetE0EEEvT1_
                                        ; -- End function
	.section	.AMDGPU.csdata,"",@progbits
; Kernel info:
; codeLenInByte = 0
; NumSgprs: 0
; NumVgprs: 0
; ScratchSize: 0
; MemoryBound: 0
; FloatMode: 240
; IeeeMode: 1
; LDSByteSize: 0 bytes/workgroup (compile time only)
; SGPRBlocks: 0
; VGPRBlocks: 0
; NumSGPRsForWavesPerEU: 1
; NumVGPRsForWavesPerEU: 1
; Occupancy: 16
; WaveLimiterHint : 0
; COMPUTE_PGM_RSRC2:SCRATCH_EN: 0
; COMPUTE_PGM_RSRC2:USER_SGPR: 15
; COMPUTE_PGM_RSRC2:TRAP_HANDLER: 0
; COMPUTE_PGM_RSRC2:TGID_X_EN: 1
; COMPUTE_PGM_RSRC2:TGID_Y_EN: 0
; COMPUTE_PGM_RSRC2:TGID_Z_EN: 0
; COMPUTE_PGM_RSRC2:TIDIG_COMP_CNT: 0
	.section	.text._ZN7rocprim17ROCPRIM_400000_NS6detail17trampoline_kernelINS0_14default_configENS1_20scan_config_selectorIlEEZZNS1_9scan_implILNS1_25lookback_scan_determinismE0ELb0ELb0ES3_PlS8_lN6thrust23THRUST_200600_302600_NS4plusIvEElEEDaPvRmT3_T4_T5_mT6_P12ihipStream_tbENKUlT_T0_E_clISt17integral_constantIbLb0EESQ_EEDaSL_SM_EUlSL_E0_NS1_11comp_targetILNS1_3genE0ELNS1_11target_archE4294967295ELNS1_3gpuE0ELNS1_3repE0EEENS1_30default_config_static_selectorELNS0_4arch9wavefront6targetE0EEEvT1_,"axG",@progbits,_ZN7rocprim17ROCPRIM_400000_NS6detail17trampoline_kernelINS0_14default_configENS1_20scan_config_selectorIlEEZZNS1_9scan_implILNS1_25lookback_scan_determinismE0ELb0ELb0ES3_PlS8_lN6thrust23THRUST_200600_302600_NS4plusIvEElEEDaPvRmT3_T4_T5_mT6_P12ihipStream_tbENKUlT_T0_E_clISt17integral_constantIbLb0EESQ_EEDaSL_SM_EUlSL_E0_NS1_11comp_targetILNS1_3genE0ELNS1_11target_archE4294967295ELNS1_3gpuE0ELNS1_3repE0EEENS1_30default_config_static_selectorELNS0_4arch9wavefront6targetE0EEEvT1_,comdat
	.protected	_ZN7rocprim17ROCPRIM_400000_NS6detail17trampoline_kernelINS0_14default_configENS1_20scan_config_selectorIlEEZZNS1_9scan_implILNS1_25lookback_scan_determinismE0ELb0ELb0ES3_PlS8_lN6thrust23THRUST_200600_302600_NS4plusIvEElEEDaPvRmT3_T4_T5_mT6_P12ihipStream_tbENKUlT_T0_E_clISt17integral_constantIbLb0EESQ_EEDaSL_SM_EUlSL_E0_NS1_11comp_targetILNS1_3genE0ELNS1_11target_archE4294967295ELNS1_3gpuE0ELNS1_3repE0EEENS1_30default_config_static_selectorELNS0_4arch9wavefront6targetE0EEEvT1_ ; -- Begin function _ZN7rocprim17ROCPRIM_400000_NS6detail17trampoline_kernelINS0_14default_configENS1_20scan_config_selectorIlEEZZNS1_9scan_implILNS1_25lookback_scan_determinismE0ELb0ELb0ES3_PlS8_lN6thrust23THRUST_200600_302600_NS4plusIvEElEEDaPvRmT3_T4_T5_mT6_P12ihipStream_tbENKUlT_T0_E_clISt17integral_constantIbLb0EESQ_EEDaSL_SM_EUlSL_E0_NS1_11comp_targetILNS1_3genE0ELNS1_11target_archE4294967295ELNS1_3gpuE0ELNS1_3repE0EEENS1_30default_config_static_selectorELNS0_4arch9wavefront6targetE0EEEvT1_
	.globl	_ZN7rocprim17ROCPRIM_400000_NS6detail17trampoline_kernelINS0_14default_configENS1_20scan_config_selectorIlEEZZNS1_9scan_implILNS1_25lookback_scan_determinismE0ELb0ELb0ES3_PlS8_lN6thrust23THRUST_200600_302600_NS4plusIvEElEEDaPvRmT3_T4_T5_mT6_P12ihipStream_tbENKUlT_T0_E_clISt17integral_constantIbLb0EESQ_EEDaSL_SM_EUlSL_E0_NS1_11comp_targetILNS1_3genE0ELNS1_11target_archE4294967295ELNS1_3gpuE0ELNS1_3repE0EEENS1_30default_config_static_selectorELNS0_4arch9wavefront6targetE0EEEvT1_
	.p2align	8
	.type	_ZN7rocprim17ROCPRIM_400000_NS6detail17trampoline_kernelINS0_14default_configENS1_20scan_config_selectorIlEEZZNS1_9scan_implILNS1_25lookback_scan_determinismE0ELb0ELb0ES3_PlS8_lN6thrust23THRUST_200600_302600_NS4plusIvEElEEDaPvRmT3_T4_T5_mT6_P12ihipStream_tbENKUlT_T0_E_clISt17integral_constantIbLb0EESQ_EEDaSL_SM_EUlSL_E0_NS1_11comp_targetILNS1_3genE0ELNS1_11target_archE4294967295ELNS1_3gpuE0ELNS1_3repE0EEENS1_30default_config_static_selectorELNS0_4arch9wavefront6targetE0EEEvT1_,@function
_ZN7rocprim17ROCPRIM_400000_NS6detail17trampoline_kernelINS0_14default_configENS1_20scan_config_selectorIlEEZZNS1_9scan_implILNS1_25lookback_scan_determinismE0ELb0ELb0ES3_PlS8_lN6thrust23THRUST_200600_302600_NS4plusIvEElEEDaPvRmT3_T4_T5_mT6_P12ihipStream_tbENKUlT_T0_E_clISt17integral_constantIbLb0EESQ_EEDaSL_SM_EUlSL_E0_NS1_11comp_targetILNS1_3genE0ELNS1_11target_archE4294967295ELNS1_3gpuE0ELNS1_3repE0EEENS1_30default_config_static_selectorELNS0_4arch9wavefront6targetE0EEEvT1_: ; @_ZN7rocprim17ROCPRIM_400000_NS6detail17trampoline_kernelINS0_14default_configENS1_20scan_config_selectorIlEEZZNS1_9scan_implILNS1_25lookback_scan_determinismE0ELb0ELb0ES3_PlS8_lN6thrust23THRUST_200600_302600_NS4plusIvEElEEDaPvRmT3_T4_T5_mT6_P12ihipStream_tbENKUlT_T0_E_clISt17integral_constantIbLb0EESQ_EEDaSL_SM_EUlSL_E0_NS1_11comp_targetILNS1_3genE0ELNS1_11target_archE4294967295ELNS1_3gpuE0ELNS1_3repE0EEENS1_30default_config_static_selectorELNS0_4arch9wavefront6targetE0EEEvT1_
; %bb.0:
	.section	.rodata,"a",@progbits
	.p2align	6, 0x0
	.amdhsa_kernel _ZN7rocprim17ROCPRIM_400000_NS6detail17trampoline_kernelINS0_14default_configENS1_20scan_config_selectorIlEEZZNS1_9scan_implILNS1_25lookback_scan_determinismE0ELb0ELb0ES3_PlS8_lN6thrust23THRUST_200600_302600_NS4plusIvEElEEDaPvRmT3_T4_T5_mT6_P12ihipStream_tbENKUlT_T0_E_clISt17integral_constantIbLb0EESQ_EEDaSL_SM_EUlSL_E0_NS1_11comp_targetILNS1_3genE0ELNS1_11target_archE4294967295ELNS1_3gpuE0ELNS1_3repE0EEENS1_30default_config_static_selectorELNS0_4arch9wavefront6targetE0EEEvT1_
		.amdhsa_group_segment_fixed_size 0
		.amdhsa_private_segment_fixed_size 0
		.amdhsa_kernarg_size 40
		.amdhsa_user_sgpr_count 15
		.amdhsa_user_sgpr_dispatch_ptr 0
		.amdhsa_user_sgpr_queue_ptr 0
		.amdhsa_user_sgpr_kernarg_segment_ptr 1
		.amdhsa_user_sgpr_dispatch_id 0
		.amdhsa_user_sgpr_private_segment_size 0
		.amdhsa_wavefront_size32 1
		.amdhsa_uses_dynamic_stack 0
		.amdhsa_enable_private_segment 0
		.amdhsa_system_sgpr_workgroup_id_x 1
		.amdhsa_system_sgpr_workgroup_id_y 0
		.amdhsa_system_sgpr_workgroup_id_z 0
		.amdhsa_system_sgpr_workgroup_info 0
		.amdhsa_system_vgpr_workitem_id 0
		.amdhsa_next_free_vgpr 1
		.amdhsa_next_free_sgpr 1
		.amdhsa_reserve_vcc 0
		.amdhsa_float_round_mode_32 0
		.amdhsa_float_round_mode_16_64 0
		.amdhsa_float_denorm_mode_32 3
		.amdhsa_float_denorm_mode_16_64 3
		.amdhsa_dx10_clamp 1
		.amdhsa_ieee_mode 1
		.amdhsa_fp16_overflow 0
		.amdhsa_workgroup_processor_mode 1
		.amdhsa_memory_ordered 1
		.amdhsa_forward_progress 0
		.amdhsa_shared_vgpr_count 0
		.amdhsa_exception_fp_ieee_invalid_op 0
		.amdhsa_exception_fp_denorm_src 0
		.amdhsa_exception_fp_ieee_div_zero 0
		.amdhsa_exception_fp_ieee_overflow 0
		.amdhsa_exception_fp_ieee_underflow 0
		.amdhsa_exception_fp_ieee_inexact 0
		.amdhsa_exception_int_div_zero 0
	.end_amdhsa_kernel
	.section	.text._ZN7rocprim17ROCPRIM_400000_NS6detail17trampoline_kernelINS0_14default_configENS1_20scan_config_selectorIlEEZZNS1_9scan_implILNS1_25lookback_scan_determinismE0ELb0ELb0ES3_PlS8_lN6thrust23THRUST_200600_302600_NS4plusIvEElEEDaPvRmT3_T4_T5_mT6_P12ihipStream_tbENKUlT_T0_E_clISt17integral_constantIbLb0EESQ_EEDaSL_SM_EUlSL_E0_NS1_11comp_targetILNS1_3genE0ELNS1_11target_archE4294967295ELNS1_3gpuE0ELNS1_3repE0EEENS1_30default_config_static_selectorELNS0_4arch9wavefront6targetE0EEEvT1_,"axG",@progbits,_ZN7rocprim17ROCPRIM_400000_NS6detail17trampoline_kernelINS0_14default_configENS1_20scan_config_selectorIlEEZZNS1_9scan_implILNS1_25lookback_scan_determinismE0ELb0ELb0ES3_PlS8_lN6thrust23THRUST_200600_302600_NS4plusIvEElEEDaPvRmT3_T4_T5_mT6_P12ihipStream_tbENKUlT_T0_E_clISt17integral_constantIbLb0EESQ_EEDaSL_SM_EUlSL_E0_NS1_11comp_targetILNS1_3genE0ELNS1_11target_archE4294967295ELNS1_3gpuE0ELNS1_3repE0EEENS1_30default_config_static_selectorELNS0_4arch9wavefront6targetE0EEEvT1_,comdat
.Lfunc_end93:
	.size	_ZN7rocprim17ROCPRIM_400000_NS6detail17trampoline_kernelINS0_14default_configENS1_20scan_config_selectorIlEEZZNS1_9scan_implILNS1_25lookback_scan_determinismE0ELb0ELb0ES3_PlS8_lN6thrust23THRUST_200600_302600_NS4plusIvEElEEDaPvRmT3_T4_T5_mT6_P12ihipStream_tbENKUlT_T0_E_clISt17integral_constantIbLb0EESQ_EEDaSL_SM_EUlSL_E0_NS1_11comp_targetILNS1_3genE0ELNS1_11target_archE4294967295ELNS1_3gpuE0ELNS1_3repE0EEENS1_30default_config_static_selectorELNS0_4arch9wavefront6targetE0EEEvT1_, .Lfunc_end93-_ZN7rocprim17ROCPRIM_400000_NS6detail17trampoline_kernelINS0_14default_configENS1_20scan_config_selectorIlEEZZNS1_9scan_implILNS1_25lookback_scan_determinismE0ELb0ELb0ES3_PlS8_lN6thrust23THRUST_200600_302600_NS4plusIvEElEEDaPvRmT3_T4_T5_mT6_P12ihipStream_tbENKUlT_T0_E_clISt17integral_constantIbLb0EESQ_EEDaSL_SM_EUlSL_E0_NS1_11comp_targetILNS1_3genE0ELNS1_11target_archE4294967295ELNS1_3gpuE0ELNS1_3repE0EEENS1_30default_config_static_selectorELNS0_4arch9wavefront6targetE0EEEvT1_
                                        ; -- End function
	.section	.AMDGPU.csdata,"",@progbits
; Kernel info:
; codeLenInByte = 0
; NumSgprs: 0
; NumVgprs: 0
; ScratchSize: 0
; MemoryBound: 0
; FloatMode: 240
; IeeeMode: 1
; LDSByteSize: 0 bytes/workgroup (compile time only)
; SGPRBlocks: 0
; VGPRBlocks: 0
; NumSGPRsForWavesPerEU: 1
; NumVGPRsForWavesPerEU: 1
; Occupancy: 16
; WaveLimiterHint : 0
; COMPUTE_PGM_RSRC2:SCRATCH_EN: 0
; COMPUTE_PGM_RSRC2:USER_SGPR: 15
; COMPUTE_PGM_RSRC2:TRAP_HANDLER: 0
; COMPUTE_PGM_RSRC2:TGID_X_EN: 1
; COMPUTE_PGM_RSRC2:TGID_Y_EN: 0
; COMPUTE_PGM_RSRC2:TGID_Z_EN: 0
; COMPUTE_PGM_RSRC2:TIDIG_COMP_CNT: 0
	.section	.text._ZN7rocprim17ROCPRIM_400000_NS6detail17trampoline_kernelINS0_14default_configENS1_20scan_config_selectorIlEEZZNS1_9scan_implILNS1_25lookback_scan_determinismE0ELb0ELb0ES3_PlS8_lN6thrust23THRUST_200600_302600_NS4plusIvEElEEDaPvRmT3_T4_T5_mT6_P12ihipStream_tbENKUlT_T0_E_clISt17integral_constantIbLb0EESQ_EEDaSL_SM_EUlSL_E0_NS1_11comp_targetILNS1_3genE5ELNS1_11target_archE942ELNS1_3gpuE9ELNS1_3repE0EEENS1_30default_config_static_selectorELNS0_4arch9wavefront6targetE0EEEvT1_,"axG",@progbits,_ZN7rocprim17ROCPRIM_400000_NS6detail17trampoline_kernelINS0_14default_configENS1_20scan_config_selectorIlEEZZNS1_9scan_implILNS1_25lookback_scan_determinismE0ELb0ELb0ES3_PlS8_lN6thrust23THRUST_200600_302600_NS4plusIvEElEEDaPvRmT3_T4_T5_mT6_P12ihipStream_tbENKUlT_T0_E_clISt17integral_constantIbLb0EESQ_EEDaSL_SM_EUlSL_E0_NS1_11comp_targetILNS1_3genE5ELNS1_11target_archE942ELNS1_3gpuE9ELNS1_3repE0EEENS1_30default_config_static_selectorELNS0_4arch9wavefront6targetE0EEEvT1_,comdat
	.protected	_ZN7rocprim17ROCPRIM_400000_NS6detail17trampoline_kernelINS0_14default_configENS1_20scan_config_selectorIlEEZZNS1_9scan_implILNS1_25lookback_scan_determinismE0ELb0ELb0ES3_PlS8_lN6thrust23THRUST_200600_302600_NS4plusIvEElEEDaPvRmT3_T4_T5_mT6_P12ihipStream_tbENKUlT_T0_E_clISt17integral_constantIbLb0EESQ_EEDaSL_SM_EUlSL_E0_NS1_11comp_targetILNS1_3genE5ELNS1_11target_archE942ELNS1_3gpuE9ELNS1_3repE0EEENS1_30default_config_static_selectorELNS0_4arch9wavefront6targetE0EEEvT1_ ; -- Begin function _ZN7rocprim17ROCPRIM_400000_NS6detail17trampoline_kernelINS0_14default_configENS1_20scan_config_selectorIlEEZZNS1_9scan_implILNS1_25lookback_scan_determinismE0ELb0ELb0ES3_PlS8_lN6thrust23THRUST_200600_302600_NS4plusIvEElEEDaPvRmT3_T4_T5_mT6_P12ihipStream_tbENKUlT_T0_E_clISt17integral_constantIbLb0EESQ_EEDaSL_SM_EUlSL_E0_NS1_11comp_targetILNS1_3genE5ELNS1_11target_archE942ELNS1_3gpuE9ELNS1_3repE0EEENS1_30default_config_static_selectorELNS0_4arch9wavefront6targetE0EEEvT1_
	.globl	_ZN7rocprim17ROCPRIM_400000_NS6detail17trampoline_kernelINS0_14default_configENS1_20scan_config_selectorIlEEZZNS1_9scan_implILNS1_25lookback_scan_determinismE0ELb0ELb0ES3_PlS8_lN6thrust23THRUST_200600_302600_NS4plusIvEElEEDaPvRmT3_T4_T5_mT6_P12ihipStream_tbENKUlT_T0_E_clISt17integral_constantIbLb0EESQ_EEDaSL_SM_EUlSL_E0_NS1_11comp_targetILNS1_3genE5ELNS1_11target_archE942ELNS1_3gpuE9ELNS1_3repE0EEENS1_30default_config_static_selectorELNS0_4arch9wavefront6targetE0EEEvT1_
	.p2align	8
	.type	_ZN7rocprim17ROCPRIM_400000_NS6detail17trampoline_kernelINS0_14default_configENS1_20scan_config_selectorIlEEZZNS1_9scan_implILNS1_25lookback_scan_determinismE0ELb0ELb0ES3_PlS8_lN6thrust23THRUST_200600_302600_NS4plusIvEElEEDaPvRmT3_T4_T5_mT6_P12ihipStream_tbENKUlT_T0_E_clISt17integral_constantIbLb0EESQ_EEDaSL_SM_EUlSL_E0_NS1_11comp_targetILNS1_3genE5ELNS1_11target_archE942ELNS1_3gpuE9ELNS1_3repE0EEENS1_30default_config_static_selectorELNS0_4arch9wavefront6targetE0EEEvT1_,@function
_ZN7rocprim17ROCPRIM_400000_NS6detail17trampoline_kernelINS0_14default_configENS1_20scan_config_selectorIlEEZZNS1_9scan_implILNS1_25lookback_scan_determinismE0ELb0ELb0ES3_PlS8_lN6thrust23THRUST_200600_302600_NS4plusIvEElEEDaPvRmT3_T4_T5_mT6_P12ihipStream_tbENKUlT_T0_E_clISt17integral_constantIbLb0EESQ_EEDaSL_SM_EUlSL_E0_NS1_11comp_targetILNS1_3genE5ELNS1_11target_archE942ELNS1_3gpuE9ELNS1_3repE0EEENS1_30default_config_static_selectorELNS0_4arch9wavefront6targetE0EEEvT1_: ; @_ZN7rocprim17ROCPRIM_400000_NS6detail17trampoline_kernelINS0_14default_configENS1_20scan_config_selectorIlEEZZNS1_9scan_implILNS1_25lookback_scan_determinismE0ELb0ELb0ES3_PlS8_lN6thrust23THRUST_200600_302600_NS4plusIvEElEEDaPvRmT3_T4_T5_mT6_P12ihipStream_tbENKUlT_T0_E_clISt17integral_constantIbLb0EESQ_EEDaSL_SM_EUlSL_E0_NS1_11comp_targetILNS1_3genE5ELNS1_11target_archE942ELNS1_3gpuE9ELNS1_3repE0EEENS1_30default_config_static_selectorELNS0_4arch9wavefront6targetE0EEEvT1_
; %bb.0:
	.section	.rodata,"a",@progbits
	.p2align	6, 0x0
	.amdhsa_kernel _ZN7rocprim17ROCPRIM_400000_NS6detail17trampoline_kernelINS0_14default_configENS1_20scan_config_selectorIlEEZZNS1_9scan_implILNS1_25lookback_scan_determinismE0ELb0ELb0ES3_PlS8_lN6thrust23THRUST_200600_302600_NS4plusIvEElEEDaPvRmT3_T4_T5_mT6_P12ihipStream_tbENKUlT_T0_E_clISt17integral_constantIbLb0EESQ_EEDaSL_SM_EUlSL_E0_NS1_11comp_targetILNS1_3genE5ELNS1_11target_archE942ELNS1_3gpuE9ELNS1_3repE0EEENS1_30default_config_static_selectorELNS0_4arch9wavefront6targetE0EEEvT1_
		.amdhsa_group_segment_fixed_size 0
		.amdhsa_private_segment_fixed_size 0
		.amdhsa_kernarg_size 40
		.amdhsa_user_sgpr_count 15
		.amdhsa_user_sgpr_dispatch_ptr 0
		.amdhsa_user_sgpr_queue_ptr 0
		.amdhsa_user_sgpr_kernarg_segment_ptr 1
		.amdhsa_user_sgpr_dispatch_id 0
		.amdhsa_user_sgpr_private_segment_size 0
		.amdhsa_wavefront_size32 1
		.amdhsa_uses_dynamic_stack 0
		.amdhsa_enable_private_segment 0
		.amdhsa_system_sgpr_workgroup_id_x 1
		.amdhsa_system_sgpr_workgroup_id_y 0
		.amdhsa_system_sgpr_workgroup_id_z 0
		.amdhsa_system_sgpr_workgroup_info 0
		.amdhsa_system_vgpr_workitem_id 0
		.amdhsa_next_free_vgpr 1
		.amdhsa_next_free_sgpr 1
		.amdhsa_reserve_vcc 0
		.amdhsa_float_round_mode_32 0
		.amdhsa_float_round_mode_16_64 0
		.amdhsa_float_denorm_mode_32 3
		.amdhsa_float_denorm_mode_16_64 3
		.amdhsa_dx10_clamp 1
		.amdhsa_ieee_mode 1
		.amdhsa_fp16_overflow 0
		.amdhsa_workgroup_processor_mode 1
		.amdhsa_memory_ordered 1
		.amdhsa_forward_progress 0
		.amdhsa_shared_vgpr_count 0
		.amdhsa_exception_fp_ieee_invalid_op 0
		.amdhsa_exception_fp_denorm_src 0
		.amdhsa_exception_fp_ieee_div_zero 0
		.amdhsa_exception_fp_ieee_overflow 0
		.amdhsa_exception_fp_ieee_underflow 0
		.amdhsa_exception_fp_ieee_inexact 0
		.amdhsa_exception_int_div_zero 0
	.end_amdhsa_kernel
	.section	.text._ZN7rocprim17ROCPRIM_400000_NS6detail17trampoline_kernelINS0_14default_configENS1_20scan_config_selectorIlEEZZNS1_9scan_implILNS1_25lookback_scan_determinismE0ELb0ELb0ES3_PlS8_lN6thrust23THRUST_200600_302600_NS4plusIvEElEEDaPvRmT3_T4_T5_mT6_P12ihipStream_tbENKUlT_T0_E_clISt17integral_constantIbLb0EESQ_EEDaSL_SM_EUlSL_E0_NS1_11comp_targetILNS1_3genE5ELNS1_11target_archE942ELNS1_3gpuE9ELNS1_3repE0EEENS1_30default_config_static_selectorELNS0_4arch9wavefront6targetE0EEEvT1_,"axG",@progbits,_ZN7rocprim17ROCPRIM_400000_NS6detail17trampoline_kernelINS0_14default_configENS1_20scan_config_selectorIlEEZZNS1_9scan_implILNS1_25lookback_scan_determinismE0ELb0ELb0ES3_PlS8_lN6thrust23THRUST_200600_302600_NS4plusIvEElEEDaPvRmT3_T4_T5_mT6_P12ihipStream_tbENKUlT_T0_E_clISt17integral_constantIbLb0EESQ_EEDaSL_SM_EUlSL_E0_NS1_11comp_targetILNS1_3genE5ELNS1_11target_archE942ELNS1_3gpuE9ELNS1_3repE0EEENS1_30default_config_static_selectorELNS0_4arch9wavefront6targetE0EEEvT1_,comdat
.Lfunc_end94:
	.size	_ZN7rocprim17ROCPRIM_400000_NS6detail17trampoline_kernelINS0_14default_configENS1_20scan_config_selectorIlEEZZNS1_9scan_implILNS1_25lookback_scan_determinismE0ELb0ELb0ES3_PlS8_lN6thrust23THRUST_200600_302600_NS4plusIvEElEEDaPvRmT3_T4_T5_mT6_P12ihipStream_tbENKUlT_T0_E_clISt17integral_constantIbLb0EESQ_EEDaSL_SM_EUlSL_E0_NS1_11comp_targetILNS1_3genE5ELNS1_11target_archE942ELNS1_3gpuE9ELNS1_3repE0EEENS1_30default_config_static_selectorELNS0_4arch9wavefront6targetE0EEEvT1_, .Lfunc_end94-_ZN7rocprim17ROCPRIM_400000_NS6detail17trampoline_kernelINS0_14default_configENS1_20scan_config_selectorIlEEZZNS1_9scan_implILNS1_25lookback_scan_determinismE0ELb0ELb0ES3_PlS8_lN6thrust23THRUST_200600_302600_NS4plusIvEElEEDaPvRmT3_T4_T5_mT6_P12ihipStream_tbENKUlT_T0_E_clISt17integral_constantIbLb0EESQ_EEDaSL_SM_EUlSL_E0_NS1_11comp_targetILNS1_3genE5ELNS1_11target_archE942ELNS1_3gpuE9ELNS1_3repE0EEENS1_30default_config_static_selectorELNS0_4arch9wavefront6targetE0EEEvT1_
                                        ; -- End function
	.section	.AMDGPU.csdata,"",@progbits
; Kernel info:
; codeLenInByte = 0
; NumSgprs: 0
; NumVgprs: 0
; ScratchSize: 0
; MemoryBound: 0
; FloatMode: 240
; IeeeMode: 1
; LDSByteSize: 0 bytes/workgroup (compile time only)
; SGPRBlocks: 0
; VGPRBlocks: 0
; NumSGPRsForWavesPerEU: 1
; NumVGPRsForWavesPerEU: 1
; Occupancy: 16
; WaveLimiterHint : 0
; COMPUTE_PGM_RSRC2:SCRATCH_EN: 0
; COMPUTE_PGM_RSRC2:USER_SGPR: 15
; COMPUTE_PGM_RSRC2:TRAP_HANDLER: 0
; COMPUTE_PGM_RSRC2:TGID_X_EN: 1
; COMPUTE_PGM_RSRC2:TGID_Y_EN: 0
; COMPUTE_PGM_RSRC2:TGID_Z_EN: 0
; COMPUTE_PGM_RSRC2:TIDIG_COMP_CNT: 0
	.section	.text._ZN7rocprim17ROCPRIM_400000_NS6detail17trampoline_kernelINS0_14default_configENS1_20scan_config_selectorIlEEZZNS1_9scan_implILNS1_25lookback_scan_determinismE0ELb0ELb0ES3_PlS8_lN6thrust23THRUST_200600_302600_NS4plusIvEElEEDaPvRmT3_T4_T5_mT6_P12ihipStream_tbENKUlT_T0_E_clISt17integral_constantIbLb0EESQ_EEDaSL_SM_EUlSL_E0_NS1_11comp_targetILNS1_3genE4ELNS1_11target_archE910ELNS1_3gpuE8ELNS1_3repE0EEENS1_30default_config_static_selectorELNS0_4arch9wavefront6targetE0EEEvT1_,"axG",@progbits,_ZN7rocprim17ROCPRIM_400000_NS6detail17trampoline_kernelINS0_14default_configENS1_20scan_config_selectorIlEEZZNS1_9scan_implILNS1_25lookback_scan_determinismE0ELb0ELb0ES3_PlS8_lN6thrust23THRUST_200600_302600_NS4plusIvEElEEDaPvRmT3_T4_T5_mT6_P12ihipStream_tbENKUlT_T0_E_clISt17integral_constantIbLb0EESQ_EEDaSL_SM_EUlSL_E0_NS1_11comp_targetILNS1_3genE4ELNS1_11target_archE910ELNS1_3gpuE8ELNS1_3repE0EEENS1_30default_config_static_selectorELNS0_4arch9wavefront6targetE0EEEvT1_,comdat
	.protected	_ZN7rocprim17ROCPRIM_400000_NS6detail17trampoline_kernelINS0_14default_configENS1_20scan_config_selectorIlEEZZNS1_9scan_implILNS1_25lookback_scan_determinismE0ELb0ELb0ES3_PlS8_lN6thrust23THRUST_200600_302600_NS4plusIvEElEEDaPvRmT3_T4_T5_mT6_P12ihipStream_tbENKUlT_T0_E_clISt17integral_constantIbLb0EESQ_EEDaSL_SM_EUlSL_E0_NS1_11comp_targetILNS1_3genE4ELNS1_11target_archE910ELNS1_3gpuE8ELNS1_3repE0EEENS1_30default_config_static_selectorELNS0_4arch9wavefront6targetE0EEEvT1_ ; -- Begin function _ZN7rocprim17ROCPRIM_400000_NS6detail17trampoline_kernelINS0_14default_configENS1_20scan_config_selectorIlEEZZNS1_9scan_implILNS1_25lookback_scan_determinismE0ELb0ELb0ES3_PlS8_lN6thrust23THRUST_200600_302600_NS4plusIvEElEEDaPvRmT3_T4_T5_mT6_P12ihipStream_tbENKUlT_T0_E_clISt17integral_constantIbLb0EESQ_EEDaSL_SM_EUlSL_E0_NS1_11comp_targetILNS1_3genE4ELNS1_11target_archE910ELNS1_3gpuE8ELNS1_3repE0EEENS1_30default_config_static_selectorELNS0_4arch9wavefront6targetE0EEEvT1_
	.globl	_ZN7rocprim17ROCPRIM_400000_NS6detail17trampoline_kernelINS0_14default_configENS1_20scan_config_selectorIlEEZZNS1_9scan_implILNS1_25lookback_scan_determinismE0ELb0ELb0ES3_PlS8_lN6thrust23THRUST_200600_302600_NS4plusIvEElEEDaPvRmT3_T4_T5_mT6_P12ihipStream_tbENKUlT_T0_E_clISt17integral_constantIbLb0EESQ_EEDaSL_SM_EUlSL_E0_NS1_11comp_targetILNS1_3genE4ELNS1_11target_archE910ELNS1_3gpuE8ELNS1_3repE0EEENS1_30default_config_static_selectorELNS0_4arch9wavefront6targetE0EEEvT1_
	.p2align	8
	.type	_ZN7rocprim17ROCPRIM_400000_NS6detail17trampoline_kernelINS0_14default_configENS1_20scan_config_selectorIlEEZZNS1_9scan_implILNS1_25lookback_scan_determinismE0ELb0ELb0ES3_PlS8_lN6thrust23THRUST_200600_302600_NS4plusIvEElEEDaPvRmT3_T4_T5_mT6_P12ihipStream_tbENKUlT_T0_E_clISt17integral_constantIbLb0EESQ_EEDaSL_SM_EUlSL_E0_NS1_11comp_targetILNS1_3genE4ELNS1_11target_archE910ELNS1_3gpuE8ELNS1_3repE0EEENS1_30default_config_static_selectorELNS0_4arch9wavefront6targetE0EEEvT1_,@function
_ZN7rocprim17ROCPRIM_400000_NS6detail17trampoline_kernelINS0_14default_configENS1_20scan_config_selectorIlEEZZNS1_9scan_implILNS1_25lookback_scan_determinismE0ELb0ELb0ES3_PlS8_lN6thrust23THRUST_200600_302600_NS4plusIvEElEEDaPvRmT3_T4_T5_mT6_P12ihipStream_tbENKUlT_T0_E_clISt17integral_constantIbLb0EESQ_EEDaSL_SM_EUlSL_E0_NS1_11comp_targetILNS1_3genE4ELNS1_11target_archE910ELNS1_3gpuE8ELNS1_3repE0EEENS1_30default_config_static_selectorELNS0_4arch9wavefront6targetE0EEEvT1_: ; @_ZN7rocprim17ROCPRIM_400000_NS6detail17trampoline_kernelINS0_14default_configENS1_20scan_config_selectorIlEEZZNS1_9scan_implILNS1_25lookback_scan_determinismE0ELb0ELb0ES3_PlS8_lN6thrust23THRUST_200600_302600_NS4plusIvEElEEDaPvRmT3_T4_T5_mT6_P12ihipStream_tbENKUlT_T0_E_clISt17integral_constantIbLb0EESQ_EEDaSL_SM_EUlSL_E0_NS1_11comp_targetILNS1_3genE4ELNS1_11target_archE910ELNS1_3gpuE8ELNS1_3repE0EEENS1_30default_config_static_selectorELNS0_4arch9wavefront6targetE0EEEvT1_
; %bb.0:
	.section	.rodata,"a",@progbits
	.p2align	6, 0x0
	.amdhsa_kernel _ZN7rocprim17ROCPRIM_400000_NS6detail17trampoline_kernelINS0_14default_configENS1_20scan_config_selectorIlEEZZNS1_9scan_implILNS1_25lookback_scan_determinismE0ELb0ELb0ES3_PlS8_lN6thrust23THRUST_200600_302600_NS4plusIvEElEEDaPvRmT3_T4_T5_mT6_P12ihipStream_tbENKUlT_T0_E_clISt17integral_constantIbLb0EESQ_EEDaSL_SM_EUlSL_E0_NS1_11comp_targetILNS1_3genE4ELNS1_11target_archE910ELNS1_3gpuE8ELNS1_3repE0EEENS1_30default_config_static_selectorELNS0_4arch9wavefront6targetE0EEEvT1_
		.amdhsa_group_segment_fixed_size 0
		.amdhsa_private_segment_fixed_size 0
		.amdhsa_kernarg_size 40
		.amdhsa_user_sgpr_count 15
		.amdhsa_user_sgpr_dispatch_ptr 0
		.amdhsa_user_sgpr_queue_ptr 0
		.amdhsa_user_sgpr_kernarg_segment_ptr 1
		.amdhsa_user_sgpr_dispatch_id 0
		.amdhsa_user_sgpr_private_segment_size 0
		.amdhsa_wavefront_size32 1
		.amdhsa_uses_dynamic_stack 0
		.amdhsa_enable_private_segment 0
		.amdhsa_system_sgpr_workgroup_id_x 1
		.amdhsa_system_sgpr_workgroup_id_y 0
		.amdhsa_system_sgpr_workgroup_id_z 0
		.amdhsa_system_sgpr_workgroup_info 0
		.amdhsa_system_vgpr_workitem_id 0
		.amdhsa_next_free_vgpr 1
		.amdhsa_next_free_sgpr 1
		.amdhsa_reserve_vcc 0
		.amdhsa_float_round_mode_32 0
		.amdhsa_float_round_mode_16_64 0
		.amdhsa_float_denorm_mode_32 3
		.amdhsa_float_denorm_mode_16_64 3
		.amdhsa_dx10_clamp 1
		.amdhsa_ieee_mode 1
		.amdhsa_fp16_overflow 0
		.amdhsa_workgroup_processor_mode 1
		.amdhsa_memory_ordered 1
		.amdhsa_forward_progress 0
		.amdhsa_shared_vgpr_count 0
		.amdhsa_exception_fp_ieee_invalid_op 0
		.amdhsa_exception_fp_denorm_src 0
		.amdhsa_exception_fp_ieee_div_zero 0
		.amdhsa_exception_fp_ieee_overflow 0
		.amdhsa_exception_fp_ieee_underflow 0
		.amdhsa_exception_fp_ieee_inexact 0
		.amdhsa_exception_int_div_zero 0
	.end_amdhsa_kernel
	.section	.text._ZN7rocprim17ROCPRIM_400000_NS6detail17trampoline_kernelINS0_14default_configENS1_20scan_config_selectorIlEEZZNS1_9scan_implILNS1_25lookback_scan_determinismE0ELb0ELb0ES3_PlS8_lN6thrust23THRUST_200600_302600_NS4plusIvEElEEDaPvRmT3_T4_T5_mT6_P12ihipStream_tbENKUlT_T0_E_clISt17integral_constantIbLb0EESQ_EEDaSL_SM_EUlSL_E0_NS1_11comp_targetILNS1_3genE4ELNS1_11target_archE910ELNS1_3gpuE8ELNS1_3repE0EEENS1_30default_config_static_selectorELNS0_4arch9wavefront6targetE0EEEvT1_,"axG",@progbits,_ZN7rocprim17ROCPRIM_400000_NS6detail17trampoline_kernelINS0_14default_configENS1_20scan_config_selectorIlEEZZNS1_9scan_implILNS1_25lookback_scan_determinismE0ELb0ELb0ES3_PlS8_lN6thrust23THRUST_200600_302600_NS4plusIvEElEEDaPvRmT3_T4_T5_mT6_P12ihipStream_tbENKUlT_T0_E_clISt17integral_constantIbLb0EESQ_EEDaSL_SM_EUlSL_E0_NS1_11comp_targetILNS1_3genE4ELNS1_11target_archE910ELNS1_3gpuE8ELNS1_3repE0EEENS1_30default_config_static_selectorELNS0_4arch9wavefront6targetE0EEEvT1_,comdat
.Lfunc_end95:
	.size	_ZN7rocprim17ROCPRIM_400000_NS6detail17trampoline_kernelINS0_14default_configENS1_20scan_config_selectorIlEEZZNS1_9scan_implILNS1_25lookback_scan_determinismE0ELb0ELb0ES3_PlS8_lN6thrust23THRUST_200600_302600_NS4plusIvEElEEDaPvRmT3_T4_T5_mT6_P12ihipStream_tbENKUlT_T0_E_clISt17integral_constantIbLb0EESQ_EEDaSL_SM_EUlSL_E0_NS1_11comp_targetILNS1_3genE4ELNS1_11target_archE910ELNS1_3gpuE8ELNS1_3repE0EEENS1_30default_config_static_selectorELNS0_4arch9wavefront6targetE0EEEvT1_, .Lfunc_end95-_ZN7rocprim17ROCPRIM_400000_NS6detail17trampoline_kernelINS0_14default_configENS1_20scan_config_selectorIlEEZZNS1_9scan_implILNS1_25lookback_scan_determinismE0ELb0ELb0ES3_PlS8_lN6thrust23THRUST_200600_302600_NS4plusIvEElEEDaPvRmT3_T4_T5_mT6_P12ihipStream_tbENKUlT_T0_E_clISt17integral_constantIbLb0EESQ_EEDaSL_SM_EUlSL_E0_NS1_11comp_targetILNS1_3genE4ELNS1_11target_archE910ELNS1_3gpuE8ELNS1_3repE0EEENS1_30default_config_static_selectorELNS0_4arch9wavefront6targetE0EEEvT1_
                                        ; -- End function
	.section	.AMDGPU.csdata,"",@progbits
; Kernel info:
; codeLenInByte = 0
; NumSgprs: 0
; NumVgprs: 0
; ScratchSize: 0
; MemoryBound: 0
; FloatMode: 240
; IeeeMode: 1
; LDSByteSize: 0 bytes/workgroup (compile time only)
; SGPRBlocks: 0
; VGPRBlocks: 0
; NumSGPRsForWavesPerEU: 1
; NumVGPRsForWavesPerEU: 1
; Occupancy: 16
; WaveLimiterHint : 0
; COMPUTE_PGM_RSRC2:SCRATCH_EN: 0
; COMPUTE_PGM_RSRC2:USER_SGPR: 15
; COMPUTE_PGM_RSRC2:TRAP_HANDLER: 0
; COMPUTE_PGM_RSRC2:TGID_X_EN: 1
; COMPUTE_PGM_RSRC2:TGID_Y_EN: 0
; COMPUTE_PGM_RSRC2:TGID_Z_EN: 0
; COMPUTE_PGM_RSRC2:TIDIG_COMP_CNT: 0
	.section	.text._ZN7rocprim17ROCPRIM_400000_NS6detail17trampoline_kernelINS0_14default_configENS1_20scan_config_selectorIlEEZZNS1_9scan_implILNS1_25lookback_scan_determinismE0ELb0ELb0ES3_PlS8_lN6thrust23THRUST_200600_302600_NS4plusIvEElEEDaPvRmT3_T4_T5_mT6_P12ihipStream_tbENKUlT_T0_E_clISt17integral_constantIbLb0EESQ_EEDaSL_SM_EUlSL_E0_NS1_11comp_targetILNS1_3genE3ELNS1_11target_archE908ELNS1_3gpuE7ELNS1_3repE0EEENS1_30default_config_static_selectorELNS0_4arch9wavefront6targetE0EEEvT1_,"axG",@progbits,_ZN7rocprim17ROCPRIM_400000_NS6detail17trampoline_kernelINS0_14default_configENS1_20scan_config_selectorIlEEZZNS1_9scan_implILNS1_25lookback_scan_determinismE0ELb0ELb0ES3_PlS8_lN6thrust23THRUST_200600_302600_NS4plusIvEElEEDaPvRmT3_T4_T5_mT6_P12ihipStream_tbENKUlT_T0_E_clISt17integral_constantIbLb0EESQ_EEDaSL_SM_EUlSL_E0_NS1_11comp_targetILNS1_3genE3ELNS1_11target_archE908ELNS1_3gpuE7ELNS1_3repE0EEENS1_30default_config_static_selectorELNS0_4arch9wavefront6targetE0EEEvT1_,comdat
	.protected	_ZN7rocprim17ROCPRIM_400000_NS6detail17trampoline_kernelINS0_14default_configENS1_20scan_config_selectorIlEEZZNS1_9scan_implILNS1_25lookback_scan_determinismE0ELb0ELb0ES3_PlS8_lN6thrust23THRUST_200600_302600_NS4plusIvEElEEDaPvRmT3_T4_T5_mT6_P12ihipStream_tbENKUlT_T0_E_clISt17integral_constantIbLb0EESQ_EEDaSL_SM_EUlSL_E0_NS1_11comp_targetILNS1_3genE3ELNS1_11target_archE908ELNS1_3gpuE7ELNS1_3repE0EEENS1_30default_config_static_selectorELNS0_4arch9wavefront6targetE0EEEvT1_ ; -- Begin function _ZN7rocprim17ROCPRIM_400000_NS6detail17trampoline_kernelINS0_14default_configENS1_20scan_config_selectorIlEEZZNS1_9scan_implILNS1_25lookback_scan_determinismE0ELb0ELb0ES3_PlS8_lN6thrust23THRUST_200600_302600_NS4plusIvEElEEDaPvRmT3_T4_T5_mT6_P12ihipStream_tbENKUlT_T0_E_clISt17integral_constantIbLb0EESQ_EEDaSL_SM_EUlSL_E0_NS1_11comp_targetILNS1_3genE3ELNS1_11target_archE908ELNS1_3gpuE7ELNS1_3repE0EEENS1_30default_config_static_selectorELNS0_4arch9wavefront6targetE0EEEvT1_
	.globl	_ZN7rocprim17ROCPRIM_400000_NS6detail17trampoline_kernelINS0_14default_configENS1_20scan_config_selectorIlEEZZNS1_9scan_implILNS1_25lookback_scan_determinismE0ELb0ELb0ES3_PlS8_lN6thrust23THRUST_200600_302600_NS4plusIvEElEEDaPvRmT3_T4_T5_mT6_P12ihipStream_tbENKUlT_T0_E_clISt17integral_constantIbLb0EESQ_EEDaSL_SM_EUlSL_E0_NS1_11comp_targetILNS1_3genE3ELNS1_11target_archE908ELNS1_3gpuE7ELNS1_3repE0EEENS1_30default_config_static_selectorELNS0_4arch9wavefront6targetE0EEEvT1_
	.p2align	8
	.type	_ZN7rocprim17ROCPRIM_400000_NS6detail17trampoline_kernelINS0_14default_configENS1_20scan_config_selectorIlEEZZNS1_9scan_implILNS1_25lookback_scan_determinismE0ELb0ELb0ES3_PlS8_lN6thrust23THRUST_200600_302600_NS4plusIvEElEEDaPvRmT3_T4_T5_mT6_P12ihipStream_tbENKUlT_T0_E_clISt17integral_constantIbLb0EESQ_EEDaSL_SM_EUlSL_E0_NS1_11comp_targetILNS1_3genE3ELNS1_11target_archE908ELNS1_3gpuE7ELNS1_3repE0EEENS1_30default_config_static_selectorELNS0_4arch9wavefront6targetE0EEEvT1_,@function
_ZN7rocprim17ROCPRIM_400000_NS6detail17trampoline_kernelINS0_14default_configENS1_20scan_config_selectorIlEEZZNS1_9scan_implILNS1_25lookback_scan_determinismE0ELb0ELb0ES3_PlS8_lN6thrust23THRUST_200600_302600_NS4plusIvEElEEDaPvRmT3_T4_T5_mT6_P12ihipStream_tbENKUlT_T0_E_clISt17integral_constantIbLb0EESQ_EEDaSL_SM_EUlSL_E0_NS1_11comp_targetILNS1_3genE3ELNS1_11target_archE908ELNS1_3gpuE7ELNS1_3repE0EEENS1_30default_config_static_selectorELNS0_4arch9wavefront6targetE0EEEvT1_: ; @_ZN7rocprim17ROCPRIM_400000_NS6detail17trampoline_kernelINS0_14default_configENS1_20scan_config_selectorIlEEZZNS1_9scan_implILNS1_25lookback_scan_determinismE0ELb0ELb0ES3_PlS8_lN6thrust23THRUST_200600_302600_NS4plusIvEElEEDaPvRmT3_T4_T5_mT6_P12ihipStream_tbENKUlT_T0_E_clISt17integral_constantIbLb0EESQ_EEDaSL_SM_EUlSL_E0_NS1_11comp_targetILNS1_3genE3ELNS1_11target_archE908ELNS1_3gpuE7ELNS1_3repE0EEENS1_30default_config_static_selectorELNS0_4arch9wavefront6targetE0EEEvT1_
; %bb.0:
	.section	.rodata,"a",@progbits
	.p2align	6, 0x0
	.amdhsa_kernel _ZN7rocprim17ROCPRIM_400000_NS6detail17trampoline_kernelINS0_14default_configENS1_20scan_config_selectorIlEEZZNS1_9scan_implILNS1_25lookback_scan_determinismE0ELb0ELb0ES3_PlS8_lN6thrust23THRUST_200600_302600_NS4plusIvEElEEDaPvRmT3_T4_T5_mT6_P12ihipStream_tbENKUlT_T0_E_clISt17integral_constantIbLb0EESQ_EEDaSL_SM_EUlSL_E0_NS1_11comp_targetILNS1_3genE3ELNS1_11target_archE908ELNS1_3gpuE7ELNS1_3repE0EEENS1_30default_config_static_selectorELNS0_4arch9wavefront6targetE0EEEvT1_
		.amdhsa_group_segment_fixed_size 0
		.amdhsa_private_segment_fixed_size 0
		.amdhsa_kernarg_size 40
		.amdhsa_user_sgpr_count 15
		.amdhsa_user_sgpr_dispatch_ptr 0
		.amdhsa_user_sgpr_queue_ptr 0
		.amdhsa_user_sgpr_kernarg_segment_ptr 1
		.amdhsa_user_sgpr_dispatch_id 0
		.amdhsa_user_sgpr_private_segment_size 0
		.amdhsa_wavefront_size32 1
		.amdhsa_uses_dynamic_stack 0
		.amdhsa_enable_private_segment 0
		.amdhsa_system_sgpr_workgroup_id_x 1
		.amdhsa_system_sgpr_workgroup_id_y 0
		.amdhsa_system_sgpr_workgroup_id_z 0
		.amdhsa_system_sgpr_workgroup_info 0
		.amdhsa_system_vgpr_workitem_id 0
		.amdhsa_next_free_vgpr 1
		.amdhsa_next_free_sgpr 1
		.amdhsa_reserve_vcc 0
		.amdhsa_float_round_mode_32 0
		.amdhsa_float_round_mode_16_64 0
		.amdhsa_float_denorm_mode_32 3
		.amdhsa_float_denorm_mode_16_64 3
		.amdhsa_dx10_clamp 1
		.amdhsa_ieee_mode 1
		.amdhsa_fp16_overflow 0
		.amdhsa_workgroup_processor_mode 1
		.amdhsa_memory_ordered 1
		.amdhsa_forward_progress 0
		.amdhsa_shared_vgpr_count 0
		.amdhsa_exception_fp_ieee_invalid_op 0
		.amdhsa_exception_fp_denorm_src 0
		.amdhsa_exception_fp_ieee_div_zero 0
		.amdhsa_exception_fp_ieee_overflow 0
		.amdhsa_exception_fp_ieee_underflow 0
		.amdhsa_exception_fp_ieee_inexact 0
		.amdhsa_exception_int_div_zero 0
	.end_amdhsa_kernel
	.section	.text._ZN7rocprim17ROCPRIM_400000_NS6detail17trampoline_kernelINS0_14default_configENS1_20scan_config_selectorIlEEZZNS1_9scan_implILNS1_25lookback_scan_determinismE0ELb0ELb0ES3_PlS8_lN6thrust23THRUST_200600_302600_NS4plusIvEElEEDaPvRmT3_T4_T5_mT6_P12ihipStream_tbENKUlT_T0_E_clISt17integral_constantIbLb0EESQ_EEDaSL_SM_EUlSL_E0_NS1_11comp_targetILNS1_3genE3ELNS1_11target_archE908ELNS1_3gpuE7ELNS1_3repE0EEENS1_30default_config_static_selectorELNS0_4arch9wavefront6targetE0EEEvT1_,"axG",@progbits,_ZN7rocprim17ROCPRIM_400000_NS6detail17trampoline_kernelINS0_14default_configENS1_20scan_config_selectorIlEEZZNS1_9scan_implILNS1_25lookback_scan_determinismE0ELb0ELb0ES3_PlS8_lN6thrust23THRUST_200600_302600_NS4plusIvEElEEDaPvRmT3_T4_T5_mT6_P12ihipStream_tbENKUlT_T0_E_clISt17integral_constantIbLb0EESQ_EEDaSL_SM_EUlSL_E0_NS1_11comp_targetILNS1_3genE3ELNS1_11target_archE908ELNS1_3gpuE7ELNS1_3repE0EEENS1_30default_config_static_selectorELNS0_4arch9wavefront6targetE0EEEvT1_,comdat
.Lfunc_end96:
	.size	_ZN7rocprim17ROCPRIM_400000_NS6detail17trampoline_kernelINS0_14default_configENS1_20scan_config_selectorIlEEZZNS1_9scan_implILNS1_25lookback_scan_determinismE0ELb0ELb0ES3_PlS8_lN6thrust23THRUST_200600_302600_NS4plusIvEElEEDaPvRmT3_T4_T5_mT6_P12ihipStream_tbENKUlT_T0_E_clISt17integral_constantIbLb0EESQ_EEDaSL_SM_EUlSL_E0_NS1_11comp_targetILNS1_3genE3ELNS1_11target_archE908ELNS1_3gpuE7ELNS1_3repE0EEENS1_30default_config_static_selectorELNS0_4arch9wavefront6targetE0EEEvT1_, .Lfunc_end96-_ZN7rocprim17ROCPRIM_400000_NS6detail17trampoline_kernelINS0_14default_configENS1_20scan_config_selectorIlEEZZNS1_9scan_implILNS1_25lookback_scan_determinismE0ELb0ELb0ES3_PlS8_lN6thrust23THRUST_200600_302600_NS4plusIvEElEEDaPvRmT3_T4_T5_mT6_P12ihipStream_tbENKUlT_T0_E_clISt17integral_constantIbLb0EESQ_EEDaSL_SM_EUlSL_E0_NS1_11comp_targetILNS1_3genE3ELNS1_11target_archE908ELNS1_3gpuE7ELNS1_3repE0EEENS1_30default_config_static_selectorELNS0_4arch9wavefront6targetE0EEEvT1_
                                        ; -- End function
	.section	.AMDGPU.csdata,"",@progbits
; Kernel info:
; codeLenInByte = 0
; NumSgprs: 0
; NumVgprs: 0
; ScratchSize: 0
; MemoryBound: 0
; FloatMode: 240
; IeeeMode: 1
; LDSByteSize: 0 bytes/workgroup (compile time only)
; SGPRBlocks: 0
; VGPRBlocks: 0
; NumSGPRsForWavesPerEU: 1
; NumVGPRsForWavesPerEU: 1
; Occupancy: 16
; WaveLimiterHint : 0
; COMPUTE_PGM_RSRC2:SCRATCH_EN: 0
; COMPUTE_PGM_RSRC2:USER_SGPR: 15
; COMPUTE_PGM_RSRC2:TRAP_HANDLER: 0
; COMPUTE_PGM_RSRC2:TGID_X_EN: 1
; COMPUTE_PGM_RSRC2:TGID_Y_EN: 0
; COMPUTE_PGM_RSRC2:TGID_Z_EN: 0
; COMPUTE_PGM_RSRC2:TIDIG_COMP_CNT: 0
	.section	.text._ZN7rocprim17ROCPRIM_400000_NS6detail17trampoline_kernelINS0_14default_configENS1_20scan_config_selectorIlEEZZNS1_9scan_implILNS1_25lookback_scan_determinismE0ELb0ELb0ES3_PlS8_lN6thrust23THRUST_200600_302600_NS4plusIvEElEEDaPvRmT3_T4_T5_mT6_P12ihipStream_tbENKUlT_T0_E_clISt17integral_constantIbLb0EESQ_EEDaSL_SM_EUlSL_E0_NS1_11comp_targetILNS1_3genE2ELNS1_11target_archE906ELNS1_3gpuE6ELNS1_3repE0EEENS1_30default_config_static_selectorELNS0_4arch9wavefront6targetE0EEEvT1_,"axG",@progbits,_ZN7rocprim17ROCPRIM_400000_NS6detail17trampoline_kernelINS0_14default_configENS1_20scan_config_selectorIlEEZZNS1_9scan_implILNS1_25lookback_scan_determinismE0ELb0ELb0ES3_PlS8_lN6thrust23THRUST_200600_302600_NS4plusIvEElEEDaPvRmT3_T4_T5_mT6_P12ihipStream_tbENKUlT_T0_E_clISt17integral_constantIbLb0EESQ_EEDaSL_SM_EUlSL_E0_NS1_11comp_targetILNS1_3genE2ELNS1_11target_archE906ELNS1_3gpuE6ELNS1_3repE0EEENS1_30default_config_static_selectorELNS0_4arch9wavefront6targetE0EEEvT1_,comdat
	.protected	_ZN7rocprim17ROCPRIM_400000_NS6detail17trampoline_kernelINS0_14default_configENS1_20scan_config_selectorIlEEZZNS1_9scan_implILNS1_25lookback_scan_determinismE0ELb0ELb0ES3_PlS8_lN6thrust23THRUST_200600_302600_NS4plusIvEElEEDaPvRmT3_T4_T5_mT6_P12ihipStream_tbENKUlT_T0_E_clISt17integral_constantIbLb0EESQ_EEDaSL_SM_EUlSL_E0_NS1_11comp_targetILNS1_3genE2ELNS1_11target_archE906ELNS1_3gpuE6ELNS1_3repE0EEENS1_30default_config_static_selectorELNS0_4arch9wavefront6targetE0EEEvT1_ ; -- Begin function _ZN7rocprim17ROCPRIM_400000_NS6detail17trampoline_kernelINS0_14default_configENS1_20scan_config_selectorIlEEZZNS1_9scan_implILNS1_25lookback_scan_determinismE0ELb0ELb0ES3_PlS8_lN6thrust23THRUST_200600_302600_NS4plusIvEElEEDaPvRmT3_T4_T5_mT6_P12ihipStream_tbENKUlT_T0_E_clISt17integral_constantIbLb0EESQ_EEDaSL_SM_EUlSL_E0_NS1_11comp_targetILNS1_3genE2ELNS1_11target_archE906ELNS1_3gpuE6ELNS1_3repE0EEENS1_30default_config_static_selectorELNS0_4arch9wavefront6targetE0EEEvT1_
	.globl	_ZN7rocprim17ROCPRIM_400000_NS6detail17trampoline_kernelINS0_14default_configENS1_20scan_config_selectorIlEEZZNS1_9scan_implILNS1_25lookback_scan_determinismE0ELb0ELb0ES3_PlS8_lN6thrust23THRUST_200600_302600_NS4plusIvEElEEDaPvRmT3_T4_T5_mT6_P12ihipStream_tbENKUlT_T0_E_clISt17integral_constantIbLb0EESQ_EEDaSL_SM_EUlSL_E0_NS1_11comp_targetILNS1_3genE2ELNS1_11target_archE906ELNS1_3gpuE6ELNS1_3repE0EEENS1_30default_config_static_selectorELNS0_4arch9wavefront6targetE0EEEvT1_
	.p2align	8
	.type	_ZN7rocprim17ROCPRIM_400000_NS6detail17trampoline_kernelINS0_14default_configENS1_20scan_config_selectorIlEEZZNS1_9scan_implILNS1_25lookback_scan_determinismE0ELb0ELb0ES3_PlS8_lN6thrust23THRUST_200600_302600_NS4plusIvEElEEDaPvRmT3_T4_T5_mT6_P12ihipStream_tbENKUlT_T0_E_clISt17integral_constantIbLb0EESQ_EEDaSL_SM_EUlSL_E0_NS1_11comp_targetILNS1_3genE2ELNS1_11target_archE906ELNS1_3gpuE6ELNS1_3repE0EEENS1_30default_config_static_selectorELNS0_4arch9wavefront6targetE0EEEvT1_,@function
_ZN7rocprim17ROCPRIM_400000_NS6detail17trampoline_kernelINS0_14default_configENS1_20scan_config_selectorIlEEZZNS1_9scan_implILNS1_25lookback_scan_determinismE0ELb0ELb0ES3_PlS8_lN6thrust23THRUST_200600_302600_NS4plusIvEElEEDaPvRmT3_T4_T5_mT6_P12ihipStream_tbENKUlT_T0_E_clISt17integral_constantIbLb0EESQ_EEDaSL_SM_EUlSL_E0_NS1_11comp_targetILNS1_3genE2ELNS1_11target_archE906ELNS1_3gpuE6ELNS1_3repE0EEENS1_30default_config_static_selectorELNS0_4arch9wavefront6targetE0EEEvT1_: ; @_ZN7rocprim17ROCPRIM_400000_NS6detail17trampoline_kernelINS0_14default_configENS1_20scan_config_selectorIlEEZZNS1_9scan_implILNS1_25lookback_scan_determinismE0ELb0ELb0ES3_PlS8_lN6thrust23THRUST_200600_302600_NS4plusIvEElEEDaPvRmT3_T4_T5_mT6_P12ihipStream_tbENKUlT_T0_E_clISt17integral_constantIbLb0EESQ_EEDaSL_SM_EUlSL_E0_NS1_11comp_targetILNS1_3genE2ELNS1_11target_archE906ELNS1_3gpuE6ELNS1_3repE0EEENS1_30default_config_static_selectorELNS0_4arch9wavefront6targetE0EEEvT1_
; %bb.0:
	.section	.rodata,"a",@progbits
	.p2align	6, 0x0
	.amdhsa_kernel _ZN7rocprim17ROCPRIM_400000_NS6detail17trampoline_kernelINS0_14default_configENS1_20scan_config_selectorIlEEZZNS1_9scan_implILNS1_25lookback_scan_determinismE0ELb0ELb0ES3_PlS8_lN6thrust23THRUST_200600_302600_NS4plusIvEElEEDaPvRmT3_T4_T5_mT6_P12ihipStream_tbENKUlT_T0_E_clISt17integral_constantIbLb0EESQ_EEDaSL_SM_EUlSL_E0_NS1_11comp_targetILNS1_3genE2ELNS1_11target_archE906ELNS1_3gpuE6ELNS1_3repE0EEENS1_30default_config_static_selectorELNS0_4arch9wavefront6targetE0EEEvT1_
		.amdhsa_group_segment_fixed_size 0
		.amdhsa_private_segment_fixed_size 0
		.amdhsa_kernarg_size 40
		.amdhsa_user_sgpr_count 15
		.amdhsa_user_sgpr_dispatch_ptr 0
		.amdhsa_user_sgpr_queue_ptr 0
		.amdhsa_user_sgpr_kernarg_segment_ptr 1
		.amdhsa_user_sgpr_dispatch_id 0
		.amdhsa_user_sgpr_private_segment_size 0
		.amdhsa_wavefront_size32 1
		.amdhsa_uses_dynamic_stack 0
		.amdhsa_enable_private_segment 0
		.amdhsa_system_sgpr_workgroup_id_x 1
		.amdhsa_system_sgpr_workgroup_id_y 0
		.amdhsa_system_sgpr_workgroup_id_z 0
		.amdhsa_system_sgpr_workgroup_info 0
		.amdhsa_system_vgpr_workitem_id 0
		.amdhsa_next_free_vgpr 1
		.amdhsa_next_free_sgpr 1
		.amdhsa_reserve_vcc 0
		.amdhsa_float_round_mode_32 0
		.amdhsa_float_round_mode_16_64 0
		.amdhsa_float_denorm_mode_32 3
		.amdhsa_float_denorm_mode_16_64 3
		.amdhsa_dx10_clamp 1
		.amdhsa_ieee_mode 1
		.amdhsa_fp16_overflow 0
		.amdhsa_workgroup_processor_mode 1
		.amdhsa_memory_ordered 1
		.amdhsa_forward_progress 0
		.amdhsa_shared_vgpr_count 0
		.amdhsa_exception_fp_ieee_invalid_op 0
		.amdhsa_exception_fp_denorm_src 0
		.amdhsa_exception_fp_ieee_div_zero 0
		.amdhsa_exception_fp_ieee_overflow 0
		.amdhsa_exception_fp_ieee_underflow 0
		.amdhsa_exception_fp_ieee_inexact 0
		.amdhsa_exception_int_div_zero 0
	.end_amdhsa_kernel
	.section	.text._ZN7rocprim17ROCPRIM_400000_NS6detail17trampoline_kernelINS0_14default_configENS1_20scan_config_selectorIlEEZZNS1_9scan_implILNS1_25lookback_scan_determinismE0ELb0ELb0ES3_PlS8_lN6thrust23THRUST_200600_302600_NS4plusIvEElEEDaPvRmT3_T4_T5_mT6_P12ihipStream_tbENKUlT_T0_E_clISt17integral_constantIbLb0EESQ_EEDaSL_SM_EUlSL_E0_NS1_11comp_targetILNS1_3genE2ELNS1_11target_archE906ELNS1_3gpuE6ELNS1_3repE0EEENS1_30default_config_static_selectorELNS0_4arch9wavefront6targetE0EEEvT1_,"axG",@progbits,_ZN7rocprim17ROCPRIM_400000_NS6detail17trampoline_kernelINS0_14default_configENS1_20scan_config_selectorIlEEZZNS1_9scan_implILNS1_25lookback_scan_determinismE0ELb0ELb0ES3_PlS8_lN6thrust23THRUST_200600_302600_NS4plusIvEElEEDaPvRmT3_T4_T5_mT6_P12ihipStream_tbENKUlT_T0_E_clISt17integral_constantIbLb0EESQ_EEDaSL_SM_EUlSL_E0_NS1_11comp_targetILNS1_3genE2ELNS1_11target_archE906ELNS1_3gpuE6ELNS1_3repE0EEENS1_30default_config_static_selectorELNS0_4arch9wavefront6targetE0EEEvT1_,comdat
.Lfunc_end97:
	.size	_ZN7rocprim17ROCPRIM_400000_NS6detail17trampoline_kernelINS0_14default_configENS1_20scan_config_selectorIlEEZZNS1_9scan_implILNS1_25lookback_scan_determinismE0ELb0ELb0ES3_PlS8_lN6thrust23THRUST_200600_302600_NS4plusIvEElEEDaPvRmT3_T4_T5_mT6_P12ihipStream_tbENKUlT_T0_E_clISt17integral_constantIbLb0EESQ_EEDaSL_SM_EUlSL_E0_NS1_11comp_targetILNS1_3genE2ELNS1_11target_archE906ELNS1_3gpuE6ELNS1_3repE0EEENS1_30default_config_static_selectorELNS0_4arch9wavefront6targetE0EEEvT1_, .Lfunc_end97-_ZN7rocprim17ROCPRIM_400000_NS6detail17trampoline_kernelINS0_14default_configENS1_20scan_config_selectorIlEEZZNS1_9scan_implILNS1_25lookback_scan_determinismE0ELb0ELb0ES3_PlS8_lN6thrust23THRUST_200600_302600_NS4plusIvEElEEDaPvRmT3_T4_T5_mT6_P12ihipStream_tbENKUlT_T0_E_clISt17integral_constantIbLb0EESQ_EEDaSL_SM_EUlSL_E0_NS1_11comp_targetILNS1_3genE2ELNS1_11target_archE906ELNS1_3gpuE6ELNS1_3repE0EEENS1_30default_config_static_selectorELNS0_4arch9wavefront6targetE0EEEvT1_
                                        ; -- End function
	.section	.AMDGPU.csdata,"",@progbits
; Kernel info:
; codeLenInByte = 0
; NumSgprs: 0
; NumVgprs: 0
; ScratchSize: 0
; MemoryBound: 0
; FloatMode: 240
; IeeeMode: 1
; LDSByteSize: 0 bytes/workgroup (compile time only)
; SGPRBlocks: 0
; VGPRBlocks: 0
; NumSGPRsForWavesPerEU: 1
; NumVGPRsForWavesPerEU: 1
; Occupancy: 16
; WaveLimiterHint : 0
; COMPUTE_PGM_RSRC2:SCRATCH_EN: 0
; COMPUTE_PGM_RSRC2:USER_SGPR: 15
; COMPUTE_PGM_RSRC2:TRAP_HANDLER: 0
; COMPUTE_PGM_RSRC2:TGID_X_EN: 1
; COMPUTE_PGM_RSRC2:TGID_Y_EN: 0
; COMPUTE_PGM_RSRC2:TGID_Z_EN: 0
; COMPUTE_PGM_RSRC2:TIDIG_COMP_CNT: 0
	.section	.text._ZN7rocprim17ROCPRIM_400000_NS6detail17trampoline_kernelINS0_14default_configENS1_20scan_config_selectorIlEEZZNS1_9scan_implILNS1_25lookback_scan_determinismE0ELb0ELb0ES3_PlS8_lN6thrust23THRUST_200600_302600_NS4plusIvEElEEDaPvRmT3_T4_T5_mT6_P12ihipStream_tbENKUlT_T0_E_clISt17integral_constantIbLb0EESQ_EEDaSL_SM_EUlSL_E0_NS1_11comp_targetILNS1_3genE10ELNS1_11target_archE1201ELNS1_3gpuE5ELNS1_3repE0EEENS1_30default_config_static_selectorELNS0_4arch9wavefront6targetE0EEEvT1_,"axG",@progbits,_ZN7rocprim17ROCPRIM_400000_NS6detail17trampoline_kernelINS0_14default_configENS1_20scan_config_selectorIlEEZZNS1_9scan_implILNS1_25lookback_scan_determinismE0ELb0ELb0ES3_PlS8_lN6thrust23THRUST_200600_302600_NS4plusIvEElEEDaPvRmT3_T4_T5_mT6_P12ihipStream_tbENKUlT_T0_E_clISt17integral_constantIbLb0EESQ_EEDaSL_SM_EUlSL_E0_NS1_11comp_targetILNS1_3genE10ELNS1_11target_archE1201ELNS1_3gpuE5ELNS1_3repE0EEENS1_30default_config_static_selectorELNS0_4arch9wavefront6targetE0EEEvT1_,comdat
	.protected	_ZN7rocprim17ROCPRIM_400000_NS6detail17trampoline_kernelINS0_14default_configENS1_20scan_config_selectorIlEEZZNS1_9scan_implILNS1_25lookback_scan_determinismE0ELb0ELb0ES3_PlS8_lN6thrust23THRUST_200600_302600_NS4plusIvEElEEDaPvRmT3_T4_T5_mT6_P12ihipStream_tbENKUlT_T0_E_clISt17integral_constantIbLb0EESQ_EEDaSL_SM_EUlSL_E0_NS1_11comp_targetILNS1_3genE10ELNS1_11target_archE1201ELNS1_3gpuE5ELNS1_3repE0EEENS1_30default_config_static_selectorELNS0_4arch9wavefront6targetE0EEEvT1_ ; -- Begin function _ZN7rocprim17ROCPRIM_400000_NS6detail17trampoline_kernelINS0_14default_configENS1_20scan_config_selectorIlEEZZNS1_9scan_implILNS1_25lookback_scan_determinismE0ELb0ELb0ES3_PlS8_lN6thrust23THRUST_200600_302600_NS4plusIvEElEEDaPvRmT3_T4_T5_mT6_P12ihipStream_tbENKUlT_T0_E_clISt17integral_constantIbLb0EESQ_EEDaSL_SM_EUlSL_E0_NS1_11comp_targetILNS1_3genE10ELNS1_11target_archE1201ELNS1_3gpuE5ELNS1_3repE0EEENS1_30default_config_static_selectorELNS0_4arch9wavefront6targetE0EEEvT1_
	.globl	_ZN7rocprim17ROCPRIM_400000_NS6detail17trampoline_kernelINS0_14default_configENS1_20scan_config_selectorIlEEZZNS1_9scan_implILNS1_25lookback_scan_determinismE0ELb0ELb0ES3_PlS8_lN6thrust23THRUST_200600_302600_NS4plusIvEElEEDaPvRmT3_T4_T5_mT6_P12ihipStream_tbENKUlT_T0_E_clISt17integral_constantIbLb0EESQ_EEDaSL_SM_EUlSL_E0_NS1_11comp_targetILNS1_3genE10ELNS1_11target_archE1201ELNS1_3gpuE5ELNS1_3repE0EEENS1_30default_config_static_selectorELNS0_4arch9wavefront6targetE0EEEvT1_
	.p2align	8
	.type	_ZN7rocprim17ROCPRIM_400000_NS6detail17trampoline_kernelINS0_14default_configENS1_20scan_config_selectorIlEEZZNS1_9scan_implILNS1_25lookback_scan_determinismE0ELb0ELb0ES3_PlS8_lN6thrust23THRUST_200600_302600_NS4plusIvEElEEDaPvRmT3_T4_T5_mT6_P12ihipStream_tbENKUlT_T0_E_clISt17integral_constantIbLb0EESQ_EEDaSL_SM_EUlSL_E0_NS1_11comp_targetILNS1_3genE10ELNS1_11target_archE1201ELNS1_3gpuE5ELNS1_3repE0EEENS1_30default_config_static_selectorELNS0_4arch9wavefront6targetE0EEEvT1_,@function
_ZN7rocprim17ROCPRIM_400000_NS6detail17trampoline_kernelINS0_14default_configENS1_20scan_config_selectorIlEEZZNS1_9scan_implILNS1_25lookback_scan_determinismE0ELb0ELb0ES3_PlS8_lN6thrust23THRUST_200600_302600_NS4plusIvEElEEDaPvRmT3_T4_T5_mT6_P12ihipStream_tbENKUlT_T0_E_clISt17integral_constantIbLb0EESQ_EEDaSL_SM_EUlSL_E0_NS1_11comp_targetILNS1_3genE10ELNS1_11target_archE1201ELNS1_3gpuE5ELNS1_3repE0EEENS1_30default_config_static_selectorELNS0_4arch9wavefront6targetE0EEEvT1_: ; @_ZN7rocprim17ROCPRIM_400000_NS6detail17trampoline_kernelINS0_14default_configENS1_20scan_config_selectorIlEEZZNS1_9scan_implILNS1_25lookback_scan_determinismE0ELb0ELb0ES3_PlS8_lN6thrust23THRUST_200600_302600_NS4plusIvEElEEDaPvRmT3_T4_T5_mT6_P12ihipStream_tbENKUlT_T0_E_clISt17integral_constantIbLb0EESQ_EEDaSL_SM_EUlSL_E0_NS1_11comp_targetILNS1_3genE10ELNS1_11target_archE1201ELNS1_3gpuE5ELNS1_3repE0EEENS1_30default_config_static_selectorELNS0_4arch9wavefront6targetE0EEEvT1_
; %bb.0:
	.section	.rodata,"a",@progbits
	.p2align	6, 0x0
	.amdhsa_kernel _ZN7rocprim17ROCPRIM_400000_NS6detail17trampoline_kernelINS0_14default_configENS1_20scan_config_selectorIlEEZZNS1_9scan_implILNS1_25lookback_scan_determinismE0ELb0ELb0ES3_PlS8_lN6thrust23THRUST_200600_302600_NS4plusIvEElEEDaPvRmT3_T4_T5_mT6_P12ihipStream_tbENKUlT_T0_E_clISt17integral_constantIbLb0EESQ_EEDaSL_SM_EUlSL_E0_NS1_11comp_targetILNS1_3genE10ELNS1_11target_archE1201ELNS1_3gpuE5ELNS1_3repE0EEENS1_30default_config_static_selectorELNS0_4arch9wavefront6targetE0EEEvT1_
		.amdhsa_group_segment_fixed_size 0
		.amdhsa_private_segment_fixed_size 0
		.amdhsa_kernarg_size 40
		.amdhsa_user_sgpr_count 15
		.amdhsa_user_sgpr_dispatch_ptr 0
		.amdhsa_user_sgpr_queue_ptr 0
		.amdhsa_user_sgpr_kernarg_segment_ptr 1
		.amdhsa_user_sgpr_dispatch_id 0
		.amdhsa_user_sgpr_private_segment_size 0
		.amdhsa_wavefront_size32 1
		.amdhsa_uses_dynamic_stack 0
		.amdhsa_enable_private_segment 0
		.amdhsa_system_sgpr_workgroup_id_x 1
		.amdhsa_system_sgpr_workgroup_id_y 0
		.amdhsa_system_sgpr_workgroup_id_z 0
		.amdhsa_system_sgpr_workgroup_info 0
		.amdhsa_system_vgpr_workitem_id 0
		.amdhsa_next_free_vgpr 1
		.amdhsa_next_free_sgpr 1
		.amdhsa_reserve_vcc 0
		.amdhsa_float_round_mode_32 0
		.amdhsa_float_round_mode_16_64 0
		.amdhsa_float_denorm_mode_32 3
		.amdhsa_float_denorm_mode_16_64 3
		.amdhsa_dx10_clamp 1
		.amdhsa_ieee_mode 1
		.amdhsa_fp16_overflow 0
		.amdhsa_workgroup_processor_mode 1
		.amdhsa_memory_ordered 1
		.amdhsa_forward_progress 0
		.amdhsa_shared_vgpr_count 0
		.amdhsa_exception_fp_ieee_invalid_op 0
		.amdhsa_exception_fp_denorm_src 0
		.amdhsa_exception_fp_ieee_div_zero 0
		.amdhsa_exception_fp_ieee_overflow 0
		.amdhsa_exception_fp_ieee_underflow 0
		.amdhsa_exception_fp_ieee_inexact 0
		.amdhsa_exception_int_div_zero 0
	.end_amdhsa_kernel
	.section	.text._ZN7rocprim17ROCPRIM_400000_NS6detail17trampoline_kernelINS0_14default_configENS1_20scan_config_selectorIlEEZZNS1_9scan_implILNS1_25lookback_scan_determinismE0ELb0ELb0ES3_PlS8_lN6thrust23THRUST_200600_302600_NS4plusIvEElEEDaPvRmT3_T4_T5_mT6_P12ihipStream_tbENKUlT_T0_E_clISt17integral_constantIbLb0EESQ_EEDaSL_SM_EUlSL_E0_NS1_11comp_targetILNS1_3genE10ELNS1_11target_archE1201ELNS1_3gpuE5ELNS1_3repE0EEENS1_30default_config_static_selectorELNS0_4arch9wavefront6targetE0EEEvT1_,"axG",@progbits,_ZN7rocprim17ROCPRIM_400000_NS6detail17trampoline_kernelINS0_14default_configENS1_20scan_config_selectorIlEEZZNS1_9scan_implILNS1_25lookback_scan_determinismE0ELb0ELb0ES3_PlS8_lN6thrust23THRUST_200600_302600_NS4plusIvEElEEDaPvRmT3_T4_T5_mT6_P12ihipStream_tbENKUlT_T0_E_clISt17integral_constantIbLb0EESQ_EEDaSL_SM_EUlSL_E0_NS1_11comp_targetILNS1_3genE10ELNS1_11target_archE1201ELNS1_3gpuE5ELNS1_3repE0EEENS1_30default_config_static_selectorELNS0_4arch9wavefront6targetE0EEEvT1_,comdat
.Lfunc_end98:
	.size	_ZN7rocprim17ROCPRIM_400000_NS6detail17trampoline_kernelINS0_14default_configENS1_20scan_config_selectorIlEEZZNS1_9scan_implILNS1_25lookback_scan_determinismE0ELb0ELb0ES3_PlS8_lN6thrust23THRUST_200600_302600_NS4plusIvEElEEDaPvRmT3_T4_T5_mT6_P12ihipStream_tbENKUlT_T0_E_clISt17integral_constantIbLb0EESQ_EEDaSL_SM_EUlSL_E0_NS1_11comp_targetILNS1_3genE10ELNS1_11target_archE1201ELNS1_3gpuE5ELNS1_3repE0EEENS1_30default_config_static_selectorELNS0_4arch9wavefront6targetE0EEEvT1_, .Lfunc_end98-_ZN7rocprim17ROCPRIM_400000_NS6detail17trampoline_kernelINS0_14default_configENS1_20scan_config_selectorIlEEZZNS1_9scan_implILNS1_25lookback_scan_determinismE0ELb0ELb0ES3_PlS8_lN6thrust23THRUST_200600_302600_NS4plusIvEElEEDaPvRmT3_T4_T5_mT6_P12ihipStream_tbENKUlT_T0_E_clISt17integral_constantIbLb0EESQ_EEDaSL_SM_EUlSL_E0_NS1_11comp_targetILNS1_3genE10ELNS1_11target_archE1201ELNS1_3gpuE5ELNS1_3repE0EEENS1_30default_config_static_selectorELNS0_4arch9wavefront6targetE0EEEvT1_
                                        ; -- End function
	.section	.AMDGPU.csdata,"",@progbits
; Kernel info:
; codeLenInByte = 0
; NumSgprs: 0
; NumVgprs: 0
; ScratchSize: 0
; MemoryBound: 0
; FloatMode: 240
; IeeeMode: 1
; LDSByteSize: 0 bytes/workgroup (compile time only)
; SGPRBlocks: 0
; VGPRBlocks: 0
; NumSGPRsForWavesPerEU: 1
; NumVGPRsForWavesPerEU: 1
; Occupancy: 16
; WaveLimiterHint : 0
; COMPUTE_PGM_RSRC2:SCRATCH_EN: 0
; COMPUTE_PGM_RSRC2:USER_SGPR: 15
; COMPUTE_PGM_RSRC2:TRAP_HANDLER: 0
; COMPUTE_PGM_RSRC2:TGID_X_EN: 1
; COMPUTE_PGM_RSRC2:TGID_Y_EN: 0
; COMPUTE_PGM_RSRC2:TGID_Z_EN: 0
; COMPUTE_PGM_RSRC2:TIDIG_COMP_CNT: 0
	.section	.text._ZN7rocprim17ROCPRIM_400000_NS6detail17trampoline_kernelINS0_14default_configENS1_20scan_config_selectorIlEEZZNS1_9scan_implILNS1_25lookback_scan_determinismE0ELb0ELb0ES3_PlS8_lN6thrust23THRUST_200600_302600_NS4plusIvEElEEDaPvRmT3_T4_T5_mT6_P12ihipStream_tbENKUlT_T0_E_clISt17integral_constantIbLb0EESQ_EEDaSL_SM_EUlSL_E0_NS1_11comp_targetILNS1_3genE10ELNS1_11target_archE1200ELNS1_3gpuE4ELNS1_3repE0EEENS1_30default_config_static_selectorELNS0_4arch9wavefront6targetE0EEEvT1_,"axG",@progbits,_ZN7rocprim17ROCPRIM_400000_NS6detail17trampoline_kernelINS0_14default_configENS1_20scan_config_selectorIlEEZZNS1_9scan_implILNS1_25lookback_scan_determinismE0ELb0ELb0ES3_PlS8_lN6thrust23THRUST_200600_302600_NS4plusIvEElEEDaPvRmT3_T4_T5_mT6_P12ihipStream_tbENKUlT_T0_E_clISt17integral_constantIbLb0EESQ_EEDaSL_SM_EUlSL_E0_NS1_11comp_targetILNS1_3genE10ELNS1_11target_archE1200ELNS1_3gpuE4ELNS1_3repE0EEENS1_30default_config_static_selectorELNS0_4arch9wavefront6targetE0EEEvT1_,comdat
	.protected	_ZN7rocprim17ROCPRIM_400000_NS6detail17trampoline_kernelINS0_14default_configENS1_20scan_config_selectorIlEEZZNS1_9scan_implILNS1_25lookback_scan_determinismE0ELb0ELb0ES3_PlS8_lN6thrust23THRUST_200600_302600_NS4plusIvEElEEDaPvRmT3_T4_T5_mT6_P12ihipStream_tbENKUlT_T0_E_clISt17integral_constantIbLb0EESQ_EEDaSL_SM_EUlSL_E0_NS1_11comp_targetILNS1_3genE10ELNS1_11target_archE1200ELNS1_3gpuE4ELNS1_3repE0EEENS1_30default_config_static_selectorELNS0_4arch9wavefront6targetE0EEEvT1_ ; -- Begin function _ZN7rocprim17ROCPRIM_400000_NS6detail17trampoline_kernelINS0_14default_configENS1_20scan_config_selectorIlEEZZNS1_9scan_implILNS1_25lookback_scan_determinismE0ELb0ELb0ES3_PlS8_lN6thrust23THRUST_200600_302600_NS4plusIvEElEEDaPvRmT3_T4_T5_mT6_P12ihipStream_tbENKUlT_T0_E_clISt17integral_constantIbLb0EESQ_EEDaSL_SM_EUlSL_E0_NS1_11comp_targetILNS1_3genE10ELNS1_11target_archE1200ELNS1_3gpuE4ELNS1_3repE0EEENS1_30default_config_static_selectorELNS0_4arch9wavefront6targetE0EEEvT1_
	.globl	_ZN7rocprim17ROCPRIM_400000_NS6detail17trampoline_kernelINS0_14default_configENS1_20scan_config_selectorIlEEZZNS1_9scan_implILNS1_25lookback_scan_determinismE0ELb0ELb0ES3_PlS8_lN6thrust23THRUST_200600_302600_NS4plusIvEElEEDaPvRmT3_T4_T5_mT6_P12ihipStream_tbENKUlT_T0_E_clISt17integral_constantIbLb0EESQ_EEDaSL_SM_EUlSL_E0_NS1_11comp_targetILNS1_3genE10ELNS1_11target_archE1200ELNS1_3gpuE4ELNS1_3repE0EEENS1_30default_config_static_selectorELNS0_4arch9wavefront6targetE0EEEvT1_
	.p2align	8
	.type	_ZN7rocprim17ROCPRIM_400000_NS6detail17trampoline_kernelINS0_14default_configENS1_20scan_config_selectorIlEEZZNS1_9scan_implILNS1_25lookback_scan_determinismE0ELb0ELb0ES3_PlS8_lN6thrust23THRUST_200600_302600_NS4plusIvEElEEDaPvRmT3_T4_T5_mT6_P12ihipStream_tbENKUlT_T0_E_clISt17integral_constantIbLb0EESQ_EEDaSL_SM_EUlSL_E0_NS1_11comp_targetILNS1_3genE10ELNS1_11target_archE1200ELNS1_3gpuE4ELNS1_3repE0EEENS1_30default_config_static_selectorELNS0_4arch9wavefront6targetE0EEEvT1_,@function
_ZN7rocprim17ROCPRIM_400000_NS6detail17trampoline_kernelINS0_14default_configENS1_20scan_config_selectorIlEEZZNS1_9scan_implILNS1_25lookback_scan_determinismE0ELb0ELb0ES3_PlS8_lN6thrust23THRUST_200600_302600_NS4plusIvEElEEDaPvRmT3_T4_T5_mT6_P12ihipStream_tbENKUlT_T0_E_clISt17integral_constantIbLb0EESQ_EEDaSL_SM_EUlSL_E0_NS1_11comp_targetILNS1_3genE10ELNS1_11target_archE1200ELNS1_3gpuE4ELNS1_3repE0EEENS1_30default_config_static_selectorELNS0_4arch9wavefront6targetE0EEEvT1_: ; @_ZN7rocprim17ROCPRIM_400000_NS6detail17trampoline_kernelINS0_14default_configENS1_20scan_config_selectorIlEEZZNS1_9scan_implILNS1_25lookback_scan_determinismE0ELb0ELb0ES3_PlS8_lN6thrust23THRUST_200600_302600_NS4plusIvEElEEDaPvRmT3_T4_T5_mT6_P12ihipStream_tbENKUlT_T0_E_clISt17integral_constantIbLb0EESQ_EEDaSL_SM_EUlSL_E0_NS1_11comp_targetILNS1_3genE10ELNS1_11target_archE1200ELNS1_3gpuE4ELNS1_3repE0EEENS1_30default_config_static_selectorELNS0_4arch9wavefront6targetE0EEEvT1_
; %bb.0:
	.section	.rodata,"a",@progbits
	.p2align	6, 0x0
	.amdhsa_kernel _ZN7rocprim17ROCPRIM_400000_NS6detail17trampoline_kernelINS0_14default_configENS1_20scan_config_selectorIlEEZZNS1_9scan_implILNS1_25lookback_scan_determinismE0ELb0ELb0ES3_PlS8_lN6thrust23THRUST_200600_302600_NS4plusIvEElEEDaPvRmT3_T4_T5_mT6_P12ihipStream_tbENKUlT_T0_E_clISt17integral_constantIbLb0EESQ_EEDaSL_SM_EUlSL_E0_NS1_11comp_targetILNS1_3genE10ELNS1_11target_archE1200ELNS1_3gpuE4ELNS1_3repE0EEENS1_30default_config_static_selectorELNS0_4arch9wavefront6targetE0EEEvT1_
		.amdhsa_group_segment_fixed_size 0
		.amdhsa_private_segment_fixed_size 0
		.amdhsa_kernarg_size 40
		.amdhsa_user_sgpr_count 15
		.amdhsa_user_sgpr_dispatch_ptr 0
		.amdhsa_user_sgpr_queue_ptr 0
		.amdhsa_user_sgpr_kernarg_segment_ptr 1
		.amdhsa_user_sgpr_dispatch_id 0
		.amdhsa_user_sgpr_private_segment_size 0
		.amdhsa_wavefront_size32 1
		.amdhsa_uses_dynamic_stack 0
		.amdhsa_enable_private_segment 0
		.amdhsa_system_sgpr_workgroup_id_x 1
		.amdhsa_system_sgpr_workgroup_id_y 0
		.amdhsa_system_sgpr_workgroup_id_z 0
		.amdhsa_system_sgpr_workgroup_info 0
		.amdhsa_system_vgpr_workitem_id 0
		.amdhsa_next_free_vgpr 1
		.amdhsa_next_free_sgpr 1
		.amdhsa_reserve_vcc 0
		.amdhsa_float_round_mode_32 0
		.amdhsa_float_round_mode_16_64 0
		.amdhsa_float_denorm_mode_32 3
		.amdhsa_float_denorm_mode_16_64 3
		.amdhsa_dx10_clamp 1
		.amdhsa_ieee_mode 1
		.amdhsa_fp16_overflow 0
		.amdhsa_workgroup_processor_mode 1
		.amdhsa_memory_ordered 1
		.amdhsa_forward_progress 0
		.amdhsa_shared_vgpr_count 0
		.amdhsa_exception_fp_ieee_invalid_op 0
		.amdhsa_exception_fp_denorm_src 0
		.amdhsa_exception_fp_ieee_div_zero 0
		.amdhsa_exception_fp_ieee_overflow 0
		.amdhsa_exception_fp_ieee_underflow 0
		.amdhsa_exception_fp_ieee_inexact 0
		.amdhsa_exception_int_div_zero 0
	.end_amdhsa_kernel
	.section	.text._ZN7rocprim17ROCPRIM_400000_NS6detail17trampoline_kernelINS0_14default_configENS1_20scan_config_selectorIlEEZZNS1_9scan_implILNS1_25lookback_scan_determinismE0ELb0ELb0ES3_PlS8_lN6thrust23THRUST_200600_302600_NS4plusIvEElEEDaPvRmT3_T4_T5_mT6_P12ihipStream_tbENKUlT_T0_E_clISt17integral_constantIbLb0EESQ_EEDaSL_SM_EUlSL_E0_NS1_11comp_targetILNS1_3genE10ELNS1_11target_archE1200ELNS1_3gpuE4ELNS1_3repE0EEENS1_30default_config_static_selectorELNS0_4arch9wavefront6targetE0EEEvT1_,"axG",@progbits,_ZN7rocprim17ROCPRIM_400000_NS6detail17trampoline_kernelINS0_14default_configENS1_20scan_config_selectorIlEEZZNS1_9scan_implILNS1_25lookback_scan_determinismE0ELb0ELb0ES3_PlS8_lN6thrust23THRUST_200600_302600_NS4plusIvEElEEDaPvRmT3_T4_T5_mT6_P12ihipStream_tbENKUlT_T0_E_clISt17integral_constantIbLb0EESQ_EEDaSL_SM_EUlSL_E0_NS1_11comp_targetILNS1_3genE10ELNS1_11target_archE1200ELNS1_3gpuE4ELNS1_3repE0EEENS1_30default_config_static_selectorELNS0_4arch9wavefront6targetE0EEEvT1_,comdat
.Lfunc_end99:
	.size	_ZN7rocprim17ROCPRIM_400000_NS6detail17trampoline_kernelINS0_14default_configENS1_20scan_config_selectorIlEEZZNS1_9scan_implILNS1_25lookback_scan_determinismE0ELb0ELb0ES3_PlS8_lN6thrust23THRUST_200600_302600_NS4plusIvEElEEDaPvRmT3_T4_T5_mT6_P12ihipStream_tbENKUlT_T0_E_clISt17integral_constantIbLb0EESQ_EEDaSL_SM_EUlSL_E0_NS1_11comp_targetILNS1_3genE10ELNS1_11target_archE1200ELNS1_3gpuE4ELNS1_3repE0EEENS1_30default_config_static_selectorELNS0_4arch9wavefront6targetE0EEEvT1_, .Lfunc_end99-_ZN7rocprim17ROCPRIM_400000_NS6detail17trampoline_kernelINS0_14default_configENS1_20scan_config_selectorIlEEZZNS1_9scan_implILNS1_25lookback_scan_determinismE0ELb0ELb0ES3_PlS8_lN6thrust23THRUST_200600_302600_NS4plusIvEElEEDaPvRmT3_T4_T5_mT6_P12ihipStream_tbENKUlT_T0_E_clISt17integral_constantIbLb0EESQ_EEDaSL_SM_EUlSL_E0_NS1_11comp_targetILNS1_3genE10ELNS1_11target_archE1200ELNS1_3gpuE4ELNS1_3repE0EEENS1_30default_config_static_selectorELNS0_4arch9wavefront6targetE0EEEvT1_
                                        ; -- End function
	.section	.AMDGPU.csdata,"",@progbits
; Kernel info:
; codeLenInByte = 0
; NumSgprs: 0
; NumVgprs: 0
; ScratchSize: 0
; MemoryBound: 0
; FloatMode: 240
; IeeeMode: 1
; LDSByteSize: 0 bytes/workgroup (compile time only)
; SGPRBlocks: 0
; VGPRBlocks: 0
; NumSGPRsForWavesPerEU: 1
; NumVGPRsForWavesPerEU: 1
; Occupancy: 16
; WaveLimiterHint : 0
; COMPUTE_PGM_RSRC2:SCRATCH_EN: 0
; COMPUTE_PGM_RSRC2:USER_SGPR: 15
; COMPUTE_PGM_RSRC2:TRAP_HANDLER: 0
; COMPUTE_PGM_RSRC2:TGID_X_EN: 1
; COMPUTE_PGM_RSRC2:TGID_Y_EN: 0
; COMPUTE_PGM_RSRC2:TGID_Z_EN: 0
; COMPUTE_PGM_RSRC2:TIDIG_COMP_CNT: 0
	.section	.text._ZN7rocprim17ROCPRIM_400000_NS6detail17trampoline_kernelINS0_14default_configENS1_20scan_config_selectorIlEEZZNS1_9scan_implILNS1_25lookback_scan_determinismE0ELb0ELb0ES3_PlS8_lN6thrust23THRUST_200600_302600_NS4plusIvEElEEDaPvRmT3_T4_T5_mT6_P12ihipStream_tbENKUlT_T0_E_clISt17integral_constantIbLb0EESQ_EEDaSL_SM_EUlSL_E0_NS1_11comp_targetILNS1_3genE9ELNS1_11target_archE1100ELNS1_3gpuE3ELNS1_3repE0EEENS1_30default_config_static_selectorELNS0_4arch9wavefront6targetE0EEEvT1_,"axG",@progbits,_ZN7rocprim17ROCPRIM_400000_NS6detail17trampoline_kernelINS0_14default_configENS1_20scan_config_selectorIlEEZZNS1_9scan_implILNS1_25lookback_scan_determinismE0ELb0ELb0ES3_PlS8_lN6thrust23THRUST_200600_302600_NS4plusIvEElEEDaPvRmT3_T4_T5_mT6_P12ihipStream_tbENKUlT_T0_E_clISt17integral_constantIbLb0EESQ_EEDaSL_SM_EUlSL_E0_NS1_11comp_targetILNS1_3genE9ELNS1_11target_archE1100ELNS1_3gpuE3ELNS1_3repE0EEENS1_30default_config_static_selectorELNS0_4arch9wavefront6targetE0EEEvT1_,comdat
	.protected	_ZN7rocprim17ROCPRIM_400000_NS6detail17trampoline_kernelINS0_14default_configENS1_20scan_config_selectorIlEEZZNS1_9scan_implILNS1_25lookback_scan_determinismE0ELb0ELb0ES3_PlS8_lN6thrust23THRUST_200600_302600_NS4plusIvEElEEDaPvRmT3_T4_T5_mT6_P12ihipStream_tbENKUlT_T0_E_clISt17integral_constantIbLb0EESQ_EEDaSL_SM_EUlSL_E0_NS1_11comp_targetILNS1_3genE9ELNS1_11target_archE1100ELNS1_3gpuE3ELNS1_3repE0EEENS1_30default_config_static_selectorELNS0_4arch9wavefront6targetE0EEEvT1_ ; -- Begin function _ZN7rocprim17ROCPRIM_400000_NS6detail17trampoline_kernelINS0_14default_configENS1_20scan_config_selectorIlEEZZNS1_9scan_implILNS1_25lookback_scan_determinismE0ELb0ELb0ES3_PlS8_lN6thrust23THRUST_200600_302600_NS4plusIvEElEEDaPvRmT3_T4_T5_mT6_P12ihipStream_tbENKUlT_T0_E_clISt17integral_constantIbLb0EESQ_EEDaSL_SM_EUlSL_E0_NS1_11comp_targetILNS1_3genE9ELNS1_11target_archE1100ELNS1_3gpuE3ELNS1_3repE0EEENS1_30default_config_static_selectorELNS0_4arch9wavefront6targetE0EEEvT1_
	.globl	_ZN7rocprim17ROCPRIM_400000_NS6detail17trampoline_kernelINS0_14default_configENS1_20scan_config_selectorIlEEZZNS1_9scan_implILNS1_25lookback_scan_determinismE0ELb0ELb0ES3_PlS8_lN6thrust23THRUST_200600_302600_NS4plusIvEElEEDaPvRmT3_T4_T5_mT6_P12ihipStream_tbENKUlT_T0_E_clISt17integral_constantIbLb0EESQ_EEDaSL_SM_EUlSL_E0_NS1_11comp_targetILNS1_3genE9ELNS1_11target_archE1100ELNS1_3gpuE3ELNS1_3repE0EEENS1_30default_config_static_selectorELNS0_4arch9wavefront6targetE0EEEvT1_
	.p2align	8
	.type	_ZN7rocprim17ROCPRIM_400000_NS6detail17trampoline_kernelINS0_14default_configENS1_20scan_config_selectorIlEEZZNS1_9scan_implILNS1_25lookback_scan_determinismE0ELb0ELb0ES3_PlS8_lN6thrust23THRUST_200600_302600_NS4plusIvEElEEDaPvRmT3_T4_T5_mT6_P12ihipStream_tbENKUlT_T0_E_clISt17integral_constantIbLb0EESQ_EEDaSL_SM_EUlSL_E0_NS1_11comp_targetILNS1_3genE9ELNS1_11target_archE1100ELNS1_3gpuE3ELNS1_3repE0EEENS1_30default_config_static_selectorELNS0_4arch9wavefront6targetE0EEEvT1_,@function
_ZN7rocprim17ROCPRIM_400000_NS6detail17trampoline_kernelINS0_14default_configENS1_20scan_config_selectorIlEEZZNS1_9scan_implILNS1_25lookback_scan_determinismE0ELb0ELb0ES3_PlS8_lN6thrust23THRUST_200600_302600_NS4plusIvEElEEDaPvRmT3_T4_T5_mT6_P12ihipStream_tbENKUlT_T0_E_clISt17integral_constantIbLb0EESQ_EEDaSL_SM_EUlSL_E0_NS1_11comp_targetILNS1_3genE9ELNS1_11target_archE1100ELNS1_3gpuE3ELNS1_3repE0EEENS1_30default_config_static_selectorELNS0_4arch9wavefront6targetE0EEEvT1_: ; @_ZN7rocprim17ROCPRIM_400000_NS6detail17trampoline_kernelINS0_14default_configENS1_20scan_config_selectorIlEEZZNS1_9scan_implILNS1_25lookback_scan_determinismE0ELb0ELb0ES3_PlS8_lN6thrust23THRUST_200600_302600_NS4plusIvEElEEDaPvRmT3_T4_T5_mT6_P12ihipStream_tbENKUlT_T0_E_clISt17integral_constantIbLb0EESQ_EEDaSL_SM_EUlSL_E0_NS1_11comp_targetILNS1_3genE9ELNS1_11target_archE1100ELNS1_3gpuE3ELNS1_3repE0EEENS1_30default_config_static_selectorELNS0_4arch9wavefront6targetE0EEEvT1_
; %bb.0:
	s_load_b128 s[20:23], s[0:1], 0x0
	v_lshlrev_b32_e32 v67, 3, v0
	s_waitcnt lgkmcnt(0)
	s_load_b64 s[18:19], s[20:21], 0x0
	v_cmp_gt_u32_e32 vcc_lo, s22, v0
	s_waitcnt lgkmcnt(0)
	v_dual_mov_b32 v1, s18 :: v_dual_mov_b32 v2, s19
	s_and_saveexec_b32 s2, vcc_lo
	s_cbranch_execz .LBB100_2
; %bb.1:
	global_load_b64 v[1:2], v67, s[20:21]
.LBB100_2:
	s_or_b32 exec_lo, exec_lo, s2
	v_or_b32_e32 v33, 0x100, v0
	v_dual_mov_b32 v3, s18 :: v_dual_mov_b32 v4, s19
	s_delay_alu instid0(VALU_DEP_2) | instskip(NEXT) | instid1(VALU_DEP_1)
	v_cmp_gt_u32_e64 s2, s22, v33
	s_and_saveexec_b32 s3, s2
	s_cbranch_execz .LBB100_4
; %bb.3:
	global_load_b64 v[3:4], v67, s[20:21] offset:2048
.LBB100_4:
	s_or_b32 exec_lo, exec_lo, s3
	v_or_b32_e32 v34, 0x200, v0
	v_dual_mov_b32 v5, s18 :: v_dual_mov_b32 v6, s19
	s_delay_alu instid0(VALU_DEP_2) | instskip(NEXT) | instid1(VALU_DEP_1)
	v_cmp_gt_u32_e64 s3, s22, v34
	s_and_saveexec_b32 s4, s3
	s_cbranch_execz .LBB100_6
; %bb.5:
	v_lshlrev_b32_e32 v5, 3, v34
	global_load_b64 v[5:6], v5, s[20:21]
.LBB100_6:
	s_or_b32 exec_lo, exec_lo, s4
	v_or_b32_e32 v35, 0x300, v0
	v_dual_mov_b32 v9, s18 :: v_dual_mov_b32 v10, s19
	s_delay_alu instid0(VALU_DEP_2) | instskip(NEXT) | instid1(VALU_DEP_1)
	v_cmp_gt_u32_e64 s4, s22, v35
	s_and_saveexec_b32 s5, s4
	s_cbranch_execz .LBB100_8
; %bb.7:
	v_lshlrev_b32_e32 v7, 3, v35
	global_load_b64 v[9:10], v7, s[20:21]
.LBB100_8:
	;; [unrolled: 11-line block ×14, first 2 shown]
	s_or_b32 exec_lo, exec_lo, s17
	v_lshrrev_b32_e32 v48, 2, v0
	v_lshrrev_b32_e32 v34, 2, v34
	;; [unrolled: 1-line block ×5, first 2 shown]
	v_and_b32_e32 v48, 56, v48
	v_and_b32_e32 v34, 0xf8, v34
	;; [unrolled: 1-line block ×4, first 2 shown]
	s_load_b64 s[18:19], s[0:1], 0x20
	v_add_nc_u32_e32 v68, v48, v67
	v_add_nc_u32_e32 v70, v34, v67
	v_and_b32_e32 v34, 0x1f8, v36
	v_lshrrev_b32_e32 v36, 2, v39
	v_add_nc_u32_e32 v69, v33, v67
	v_add_nc_u32_e32 v71, v35, v67
	s_waitcnt vmcnt(0)
	ds_store_b64 v68, v[1:2]
	ds_store_b64 v69, v[3:4] offset:2048
	ds_store_b64 v70, v[5:6] offset:4096
	;; [unrolled: 1-line block ×3, first 2 shown]
	v_and_b32_e32 v1, 0x1f8, v36
	v_lshrrev_b32_e32 v2, 2, v40
	v_lshrrev_b32_e32 v3, 2, v41
	;; [unrolled: 1-line block ×4, first 2 shown]
	v_add_nc_u32_e32 v75, v1, v67
	v_and_b32_e32 v1, 0x3f8, v2
	v_and_b32_e32 v2, 0x3f8, v3
	;; [unrolled: 1-line block ×4, first 2 shown]
	v_lshrrev_b32_e32 v33, 2, v37
	v_add_nc_u32_e32 v76, v1, v67
	v_lshrrev_b32_e32 v1, 2, v44
	v_add_nc_u32_e32 v77, v2, v67
	v_lshrrev_b32_e32 v2, 2, v45
	v_lshrrev_b32_e32 v37, 2, v38
	v_add_nc_u32_e32 v78, v3, v67
	v_lshrrev_b32_e32 v3, 2, v46
	v_add_nc_u32_e32 v79, v4, v67
	v_lshrrev_b32_e32 v4, 2, v47
	v_and_b32_e32 v1, 0x3f8, v1
	v_lshlrev_b32_e32 v5, 4, v0
	v_lshrrev_b32_e32 v6, 1, v0
	v_and_b32_e32 v33, 0x1f8, v33
	v_and_b32_e32 v2, 0x3f8, v2
	;; [unrolled: 1-line block ×5, first 2 shown]
	v_add_nc_u32_e32 v72, v34, v67
	v_add_nc_u32_e32 v80, v1, v67
	v_add_lshl_u32 v84, v6, v5, 3
	v_add_nc_u32_e32 v73, v33, v67
	v_add_nc_u32_e32 v81, v2, v67
	;; [unrolled: 1-line block ×5, first 2 shown]
	ds_store_b64 v72, v[7:8] offset:8192
	ds_store_b64 v73, v[11:12] offset:10240
	;; [unrolled: 1-line block ×12, first 2 shown]
	s_waitcnt lgkmcnt(0)
	s_barrier
	buffer_gl0_inv
	ds_load_2addr_b64 v[1:4], v84 offset1:1
	ds_load_2addr_b64 v[5:8], v84 offset0:2 offset1:3
	ds_load_2addr_b64 v[9:12], v84 offset0:4 offset1:5
	;; [unrolled: 1-line block ×7, first 2 shown]
	s_mov_b32 s1, exec_lo
	s_waitcnt lgkmcnt(0)
	s_barrier
	buffer_gl0_inv
	v_add_co_u32 v85, s17, v3, v1
	s_delay_alu instid0(VALU_DEP_1) | instskip(NEXT) | instid1(VALU_DEP_2)
	v_add_co_ci_u32_e64 v86, s17, v4, v2, s17
	v_add_co_u32 v37, s17, v85, v5
	s_delay_alu instid0(VALU_DEP_1) | instskip(NEXT) | instid1(VALU_DEP_2)
	v_add_co_ci_u32_e64 v38, s17, v86, v6, s17
	;; [unrolled: 3-line block ×14, first 2 shown]
	v_add_co_u32 v63, s0, v59, v31
	s_delay_alu instid0(VALU_DEP_1)
	v_add_co_ci_u32_e64 v64, s0, v60, v32, s0
	ds_store_b64 v68, v[63:64]
	s_waitcnt lgkmcnt(0)
	s_barrier
	buffer_gl0_inv
	v_cmpx_gt_u32_e32 32, v0
	s_cbranch_execz .LBB100_42
; %bb.33:
	v_lshlrev_b32_e32 v33, 1, v0
	s_mov_b32 s17, exec_lo
	s_delay_alu instid0(VALU_DEP_1) | instskip(NEXT) | instid1(VALU_DEP_1)
	v_and_b32_e32 v33, 0x1f8, v33
	v_lshl_or_b32 v87, v0, 6, v33
	ds_load_2addr_b64 v[33:36], v87 offset1:1
	ds_load_2addr_b64 v[88:91], v87 offset0:2 offset1:3
	ds_load_2addr_b64 v[92:95], v87 offset0:4 offset1:5
	ds_load_2addr_b64 v[96:99], v87 offset0:6 offset1:7
	s_waitcnt lgkmcnt(3)
	v_add_co_u32 v35, s0, v35, v33
	s_delay_alu instid0(VALU_DEP_1) | instskip(SKIP_1) | instid1(VALU_DEP_2)
	v_add_co_ci_u32_e64 v36, s0, v36, v34, s0
	s_waitcnt lgkmcnt(2)
	v_add_co_u32 v35, s0, v35, v88
	s_delay_alu instid0(VALU_DEP_1) | instskip(SKIP_1) | instid1(VALU_DEP_3)
	v_add_co_ci_u32_e64 v36, s0, v36, v89, s0
	v_mbcnt_lo_u32_b32 v88, -1, 0
	v_add_co_u32 v35, s0, v35, v90
	s_delay_alu instid0(VALU_DEP_1) | instskip(NEXT) | instid1(VALU_DEP_3)
	v_add_co_ci_u32_e64 v36, s0, v36, v91, s0
	v_and_b32_e32 v89, 15, v88
	s_waitcnt lgkmcnt(1)
	s_delay_alu instid0(VALU_DEP_3) | instskip(NEXT) | instid1(VALU_DEP_1)
	v_add_co_u32 v35, s0, v35, v92
	v_add_co_ci_u32_e64 v36, s0, v36, v93, s0
	s_delay_alu instid0(VALU_DEP_2) | instskip(NEXT) | instid1(VALU_DEP_1)
	v_add_co_u32 v35, s0, v35, v94
	v_add_co_ci_u32_e64 v36, s0, v36, v95, s0
	s_waitcnt lgkmcnt(0)
	s_delay_alu instid0(VALU_DEP_2) | instskip(NEXT) | instid1(VALU_DEP_1)
	v_add_co_u32 v35, s0, v35, v96
	v_add_co_ci_u32_e64 v36, s0, v36, v97, s0
	s_delay_alu instid0(VALU_DEP_2) | instskip(NEXT) | instid1(VALU_DEP_1)
	v_add_co_u32 v35, s0, v35, v98
	v_add_co_ci_u32_e64 v36, s0, v36, v99, s0
	s_delay_alu instid0(VALU_DEP_2) | instskip(NEXT) | instid1(VALU_DEP_2)
	v_mov_b32_dpp v91, v35 row_shr:1 row_mask:0xf bank_mask:0xf
	v_mov_b32_e32 v66, v36
	v_mov_b32_dpp v90, v36 row_shr:1 row_mask:0xf bank_mask:0xf
	v_mov_b32_e32 v65, v35
	v_cmpx_ne_u32_e32 0, v89
; %bb.34:
	v_add_co_u32 v35, s0, v35, v91
	s_delay_alu instid0(VALU_DEP_1) | instskip(NEXT) | instid1(VALU_DEP_2)
	v_add_co_ci_u32_e64 v36, s0, 0, v36, s0
	v_add_co_u32 v65, s0, 0, v35
	s_delay_alu instid0(VALU_DEP_1) | instskip(NEXT) | instid1(VALU_DEP_1)
	v_add_co_ci_u32_e64 v66, s0, v90, v36, s0
	v_mov_b32_e32 v36, v66
; %bb.35:
	s_or_b32 exec_lo, exec_lo, s17
	v_mov_b32_dpp v91, v35 row_shr:2 row_mask:0xf bank_mask:0xf
	s_delay_alu instid0(VALU_DEP_2)
	v_mov_b32_dpp v90, v36 row_shr:2 row_mask:0xf bank_mask:0xf
	s_mov_b32 s17, exec_lo
	v_cmpx_lt_u32_e32 1, v89
; %bb.36:
	s_delay_alu instid0(VALU_DEP_3) | instskip(NEXT) | instid1(VALU_DEP_1)
	v_add_co_u32 v35, s0, v65, v91
	v_add_co_ci_u32_e64 v36, s0, 0, v66, s0
	s_delay_alu instid0(VALU_DEP_2) | instskip(NEXT) | instid1(VALU_DEP_1)
	v_add_co_u32 v65, s0, 0, v35
	v_add_co_ci_u32_e64 v66, s0, v90, v36, s0
	s_delay_alu instid0(VALU_DEP_1)
	v_mov_b32_e32 v36, v66
; %bb.37:
	s_or_b32 exec_lo, exec_lo, s17
	v_mov_b32_dpp v91, v35 row_shr:4 row_mask:0xf bank_mask:0xf
	s_delay_alu instid0(VALU_DEP_2)
	v_mov_b32_dpp v90, v36 row_shr:4 row_mask:0xf bank_mask:0xf
	s_mov_b32 s17, exec_lo
	v_cmpx_lt_u32_e32 3, v89
; %bb.38:
	s_delay_alu instid0(VALU_DEP_3) | instskip(NEXT) | instid1(VALU_DEP_1)
	v_add_co_u32 v35, s0, v65, v91
	v_add_co_ci_u32_e64 v36, s0, 0, v66, s0
	s_delay_alu instid0(VALU_DEP_2) | instskip(NEXT) | instid1(VALU_DEP_1)
	v_add_co_u32 v65, s0, 0, v35
	v_add_co_ci_u32_e64 v66, s0, v90, v36, s0
	s_delay_alu instid0(VALU_DEP_1)
	;; [unrolled: 16-line block ×3, first 2 shown]
	v_mov_b32_e32 v36, v66
; %bb.41:
	s_or_b32 exec_lo, exec_lo, s17
	ds_swizzle_b32 v89, v35 offset:swizzle(BROADCAST,32,15)
	ds_swizzle_b32 v90, v36 offset:swizzle(BROADCAST,32,15)
	v_add_nc_u32_e32 v91, -1, v88
	v_and_b32_e32 v92, 16, v88
	; wave barrier
	s_delay_alu instid0(VALU_DEP_2) | instskip(NEXT) | instid1(VALU_DEP_1)
	v_cmp_gt_i32_e64 s0, 0, v91
	v_cndmask_b32_e64 v88, v91, v88, s0
	s_delay_alu instid0(VALU_DEP_1) | instskip(SKIP_2) | instid1(VALU_DEP_1)
	v_lshlrev_b32_e32 v88, 2, v88
	s_waitcnt lgkmcnt(1)
	v_add_co_u32 v65, s0, v65, v89
	v_add_co_ci_u32_e64 v66, s0, 0, v66, s0
	v_cmp_eq_u32_e64 s0, 0, v92
	s_delay_alu instid0(VALU_DEP_1) | instskip(SKIP_1) | instid1(VALU_DEP_3)
	v_cndmask_b32_e64 v35, v65, v35, s0
	s_waitcnt lgkmcnt(0)
	v_add_nc_u32_e32 v65, v90, v66
	ds_bpermute_b32 v35, v88, v35
	v_cndmask_b32_e64 v36, v65, v36, s0
	ds_bpermute_b32 v36, v88, v36
	s_waitcnt lgkmcnt(1)
	v_add_co_u32 v33, s0, v33, v35
	s_delay_alu instid0(VALU_DEP_1) | instskip(NEXT) | instid1(VALU_DEP_2)
	v_add_co_ci_u32_e64 v34, s0, 0, v34, s0
	v_add_co_u32 v33, s0, v33, 0
	s_waitcnt lgkmcnt(0)
	s_delay_alu instid0(VALU_DEP_2) | instskip(SKIP_1) | instid1(VALU_DEP_1)
	v_add_co_ci_u32_e64 v34, s0, v34, v36, s0
	v_cmp_eq_u32_e64 s0, 0, v0
	v_cndmask_b32_e64 v66, v34, v64, s0
	v_cndmask_b32_e64 v65, v33, v63, s0
	ds_store_b64 v87, v[65:66]
	; wave barrier
	ds_load_2addr_b64 v[33:36], v87 offset0:1 offset1:2
	ds_load_2addr_b64 v[88:91], v87 offset0:3 offset1:4
	;; [unrolled: 1-line block ×3, first 2 shown]
	s_waitcnt lgkmcnt(2)
	v_add_co_u32 v33, s0, v33, v65
	s_delay_alu instid0(VALU_DEP_1) | instskip(SKIP_2) | instid1(VALU_DEP_1)
	v_add_co_ci_u32_e64 v34, s0, v34, v66, s0
	ds_load_b64 v[65:66], v87 offset:56
	v_add_co_u32 v35, s0, v35, v33
	v_add_co_ci_u32_e64 v36, s0, v36, v34, s0
	s_waitcnt lgkmcnt(2)
	s_delay_alu instid0(VALU_DEP_2) | instskip(NEXT) | instid1(VALU_DEP_1)
	v_add_co_u32 v88, s0, v88, v35
	v_add_co_ci_u32_e64 v89, s0, v89, v36, s0
	s_delay_alu instid0(VALU_DEP_2) | instskip(NEXT) | instid1(VALU_DEP_1)
	v_add_co_u32 v90, s0, v90, v88
	v_add_co_ci_u32_e64 v91, s0, v91, v89, s0
	s_waitcnt lgkmcnt(1)
	s_delay_alu instid0(VALU_DEP_2) | instskip(NEXT) | instid1(VALU_DEP_1)
	v_add_co_u32 v92, s0, v92, v90
	v_add_co_ci_u32_e64 v93, s0, v93, v91, s0
	s_delay_alu instid0(VALU_DEP_2) | instskip(NEXT) | instid1(VALU_DEP_1)
	v_add_co_u32 v94, s0, v94, v92
	v_add_co_ci_u32_e64 v95, s0, v95, v93, s0
	s_waitcnt lgkmcnt(0)
	s_delay_alu instid0(VALU_DEP_2) | instskip(NEXT) | instid1(VALU_DEP_1)
	v_add_co_u32 v65, s0, v65, v94
	v_add_co_ci_u32_e64 v66, s0, v66, v95, s0
	ds_store_2addr_b64 v87, v[33:34], v[35:36] offset0:1 offset1:2
	ds_store_2addr_b64 v87, v[88:89], v[90:91] offset0:3 offset1:4
	;; [unrolled: 1-line block ×3, first 2 shown]
	ds_store_b64 v87, v[65:66] offset:56
.LBB100_42:
	s_or_b32 exec_lo, exec_lo, s1
	v_cmp_ne_u32_e64 s0, 0, v0
	v_dual_mov_b32 v33, v63 :: v_dual_mov_b32 v34, v64
	s_waitcnt lgkmcnt(0)
	s_barrier
	buffer_gl0_inv
	s_and_saveexec_b32 s1, s0
	s_cbranch_execz .LBB100_44
; %bb.43:
	v_add_nc_u32_e32 v0, -1, v0
	s_delay_alu instid0(VALU_DEP_1) | instskip(NEXT) | instid1(VALU_DEP_1)
	v_lshrrev_b32_e32 v33, 5, v0
	v_add_lshl_u32 v0, v33, v0, 3
	ds_load_b64 v[33:34], v0
.LBB100_44:
	s_or_b32 exec_lo, exec_lo, s1
	s_and_saveexec_b32 s1, s0
	s_cbranch_execz .LBB100_46
; %bb.45:
	s_waitcnt lgkmcnt(0)
	v_add_co_u32 v1, s0, v33, v1
	s_delay_alu instid0(VALU_DEP_1) | instskip(SKIP_1) | instid1(VALU_DEP_2)
	v_add_co_ci_u32_e64 v2, s0, v34, v2, s0
	;;#ASMSTART
	;;#ASMEND
	v_add_co_u32 v85, s0, v1, v3
	s_delay_alu instid0(VALU_DEP_1) | instskip(NEXT) | instid1(VALU_DEP_2)
	v_add_co_ci_u32_e64 v86, s0, v2, v4, s0
	v_add_co_u32 v37, s0, v85, v5
	s_delay_alu instid0(VALU_DEP_1) | instskip(NEXT) | instid1(VALU_DEP_2)
	v_add_co_ci_u32_e64 v38, s0, v86, v6, s0
	;; [unrolled: 3-line block ×14, first 2 shown]
	v_add_co_u32 v63, s0, v59, v31
	s_delay_alu instid0(VALU_DEP_1)
	v_add_co_ci_u32_e64 v64, s0, v60, v32, s0
.LBB100_46:
	s_or_b32 exec_lo, exec_lo, s1
	v_dual_mov_b32 v3, v85 :: v_dual_mov_b32 v4, v86
	s_waitcnt lgkmcnt(0)
	s_barrier
	buffer_gl0_inv
	ds_store_2addr_b64 v84, v[1:2], v[3:4] offset1:1
	ds_store_2addr_b64 v84, v[37:38], v[41:42] offset0:2 offset1:3
	ds_store_2addr_b64 v84, v[39:40], v[45:46] offset0:4 offset1:5
	;; [unrolled: 1-line block ×7, first 2 shown]
	s_waitcnt lgkmcnt(0)
	s_barrier
	buffer_gl0_inv
	ds_load_b64 v[30:31], v69 offset:2048
	ds_load_b64 v[28:29], v70 offset:4096
	;; [unrolled: 1-line block ×15, first 2 shown]
	v_add_co_u32 v2, s0, s18, v67
	s_delay_alu instid0(VALU_DEP_1)
	v_add_co_ci_u32_e64 v3, null, s19, 0, s0
	s_and_saveexec_b32 s0, vcc_lo
	s_cbranch_execnz .LBB100_63
; %bb.47:
	s_or_b32 exec_lo, exec_lo, s0
	s_and_saveexec_b32 s0, s2
	s_cbranch_execnz .LBB100_64
.LBB100_48:
	s_or_b32 exec_lo, exec_lo, s0
	s_and_saveexec_b32 s0, s3
	s_cbranch_execnz .LBB100_65
.LBB100_49:
	s_or_b32 exec_lo, exec_lo, s0
	s_and_saveexec_b32 s0, s4
	s_cbranch_execnz .LBB100_66
.LBB100_50:
	s_or_b32 exec_lo, exec_lo, s0
	s_and_saveexec_b32 s0, s5
	s_cbranch_execnz .LBB100_67
.LBB100_51:
	s_or_b32 exec_lo, exec_lo, s0
	s_and_saveexec_b32 s0, s6
	s_cbranch_execnz .LBB100_68
.LBB100_52:
	s_or_b32 exec_lo, exec_lo, s0
	s_and_saveexec_b32 s0, s7
	s_cbranch_execnz .LBB100_69
.LBB100_53:
	s_or_b32 exec_lo, exec_lo, s0
	s_and_saveexec_b32 s0, s8
	s_cbranch_execnz .LBB100_70
.LBB100_54:
	s_or_b32 exec_lo, exec_lo, s0
	s_and_saveexec_b32 s0, s9
	s_cbranch_execnz .LBB100_71
.LBB100_55:
	s_or_b32 exec_lo, exec_lo, s0
	s_and_saveexec_b32 s0, s10
	s_cbranch_execnz .LBB100_72
.LBB100_56:
	s_or_b32 exec_lo, exec_lo, s0
	s_and_saveexec_b32 s0, s11
	s_cbranch_execnz .LBB100_73
.LBB100_57:
	s_or_b32 exec_lo, exec_lo, s0
	s_and_saveexec_b32 s0, s12
	s_cbranch_execnz .LBB100_74
.LBB100_58:
	s_or_b32 exec_lo, exec_lo, s0
	s_and_saveexec_b32 s0, s13
	s_cbranch_execnz .LBB100_75
.LBB100_59:
	s_or_b32 exec_lo, exec_lo, s0
	s_and_saveexec_b32 s0, s14
	s_cbranch_execnz .LBB100_76
.LBB100_60:
	s_or_b32 exec_lo, exec_lo, s0
	s_and_saveexec_b32 s0, s15
	s_cbranch_execnz .LBB100_77
.LBB100_61:
	s_or_b32 exec_lo, exec_lo, s0
	s_and_saveexec_b32 s0, s16
	s_cbranch_execnz .LBB100_78
.LBB100_62:
	s_nop 0
	s_sendmsg sendmsg(MSG_DEALLOC_VGPRS)
	s_endpgm
.LBB100_63:
	ds_load_b64 v[32:33], v68
	s_waitcnt lgkmcnt(0)
	global_store_b64 v[2:3], v[32:33], off
	s_or_b32 exec_lo, exec_lo, s0
	s_and_saveexec_b32 s0, s2
	s_cbranch_execz .LBB100_48
.LBB100_64:
	s_waitcnt lgkmcnt(14)
	global_store_b64 v[2:3], v[30:31], off offset:2048
	s_or_b32 exec_lo, exec_lo, s0
	s_and_saveexec_b32 s0, s3
	s_cbranch_execz .LBB100_49
.LBB100_65:
	s_waitcnt lgkmcnt(14)
	v_add_co_u32 v30, vcc_lo, 0x1000, v2
	v_add_co_ci_u32_e32 v31, vcc_lo, 0, v3, vcc_lo
	s_waitcnt lgkmcnt(13)
	global_store_b64 v[30:31], v[28:29], off
	s_or_b32 exec_lo, exec_lo, s0
	s_and_saveexec_b32 s0, s4
	s_cbranch_execz .LBB100_50
.LBB100_66:
	s_waitcnt lgkmcnt(13)
	v_add_co_u32 v28, vcc_lo, 0x1000, v2
	v_add_co_ci_u32_e32 v29, vcc_lo, 0, v3, vcc_lo
	s_waitcnt lgkmcnt(12)
	global_store_b64 v[28:29], v[26:27], off offset:2048
	s_or_b32 exec_lo, exec_lo, s0
	s_and_saveexec_b32 s0, s5
	s_cbranch_execz .LBB100_51
.LBB100_67:
	s_waitcnt lgkmcnt(12)
	v_add_co_u32 v26, vcc_lo, 0x2000, v2
	v_add_co_ci_u32_e32 v27, vcc_lo, 0, v3, vcc_lo
	s_waitcnt lgkmcnt(11)
	global_store_b64 v[26:27], v[24:25], off
	s_or_b32 exec_lo, exec_lo, s0
	s_and_saveexec_b32 s0, s6
	s_cbranch_execz .LBB100_52
.LBB100_68:
	s_waitcnt lgkmcnt(11)
	v_add_co_u32 v24, vcc_lo, 0x2000, v2
	v_add_co_ci_u32_e32 v25, vcc_lo, 0, v3, vcc_lo
	s_waitcnt lgkmcnt(10)
	global_store_b64 v[24:25], v[22:23], off offset:2048
	s_or_b32 exec_lo, exec_lo, s0
	s_and_saveexec_b32 s0, s7
	s_cbranch_execz .LBB100_53
.LBB100_69:
	s_waitcnt lgkmcnt(10)
	v_add_co_u32 v22, vcc_lo, 0x3000, v2
	v_add_co_ci_u32_e32 v23, vcc_lo, 0, v3, vcc_lo
	s_waitcnt lgkmcnt(9)
	global_store_b64 v[22:23], v[20:21], off
	s_or_b32 exec_lo, exec_lo, s0
	s_and_saveexec_b32 s0, s8
	s_cbranch_execz .LBB100_54
.LBB100_70:
	s_waitcnt lgkmcnt(9)
	v_add_co_u32 v20, vcc_lo, 0x3000, v2
	v_add_co_ci_u32_e32 v21, vcc_lo, 0, v3, vcc_lo
	s_waitcnt lgkmcnt(8)
	global_store_b64 v[20:21], v[18:19], off offset:2048
	s_or_b32 exec_lo, exec_lo, s0
	s_and_saveexec_b32 s0, s9
	s_cbranch_execz .LBB100_55
.LBB100_71:
	s_waitcnt lgkmcnt(8)
	v_add_co_u32 v18, vcc_lo, 0x4000, v2
	v_add_co_ci_u32_e32 v19, vcc_lo, 0, v3, vcc_lo
	s_waitcnt lgkmcnt(7)
	global_store_b64 v[18:19], v[16:17], off
	s_or_b32 exec_lo, exec_lo, s0
	s_and_saveexec_b32 s0, s10
	s_cbranch_execz .LBB100_56
.LBB100_72:
	s_waitcnt lgkmcnt(7)
	v_add_co_u32 v16, vcc_lo, 0x4000, v2
	v_add_co_ci_u32_e32 v17, vcc_lo, 0, v3, vcc_lo
	s_waitcnt lgkmcnt(6)
	global_store_b64 v[16:17], v[14:15], off offset:2048
	s_or_b32 exec_lo, exec_lo, s0
	s_and_saveexec_b32 s0, s11
	s_cbranch_execz .LBB100_57
.LBB100_73:
	s_waitcnt lgkmcnt(6)
	v_add_co_u32 v14, vcc_lo, 0x5000, v2
	v_add_co_ci_u32_e32 v15, vcc_lo, 0, v3, vcc_lo
	s_waitcnt lgkmcnt(5)
	global_store_b64 v[14:15], v[12:13], off
	s_or_b32 exec_lo, exec_lo, s0
	s_and_saveexec_b32 s0, s12
	s_cbranch_execz .LBB100_58
.LBB100_74:
	s_waitcnt lgkmcnt(5)
	v_add_co_u32 v12, vcc_lo, 0x5000, v2
	v_add_co_ci_u32_e32 v13, vcc_lo, 0, v3, vcc_lo
	s_waitcnt lgkmcnt(4)
	global_store_b64 v[12:13], v[10:11], off offset:2048
	s_or_b32 exec_lo, exec_lo, s0
	s_and_saveexec_b32 s0, s13
	s_cbranch_execz .LBB100_59
.LBB100_75:
	s_waitcnt lgkmcnt(4)
	v_add_co_u32 v10, vcc_lo, 0x6000, v2
	v_add_co_ci_u32_e32 v11, vcc_lo, 0, v3, vcc_lo
	s_waitcnt lgkmcnt(3)
	global_store_b64 v[10:11], v[8:9], off
	s_or_b32 exec_lo, exec_lo, s0
	s_and_saveexec_b32 s0, s14
	s_cbranch_execz .LBB100_60
.LBB100_76:
	s_waitcnt lgkmcnt(3)
	v_add_co_u32 v8, vcc_lo, 0x6000, v2
	v_add_co_ci_u32_e32 v9, vcc_lo, 0, v3, vcc_lo
	s_waitcnt lgkmcnt(2)
	global_store_b64 v[8:9], v[6:7], off offset:2048
	s_or_b32 exec_lo, exec_lo, s0
	s_and_saveexec_b32 s0, s15
	s_cbranch_execz .LBB100_61
.LBB100_77:
	s_waitcnt lgkmcnt(2)
	v_add_co_u32 v6, vcc_lo, 0x7000, v2
	v_add_co_ci_u32_e32 v7, vcc_lo, 0, v3, vcc_lo
	s_waitcnt lgkmcnt(1)
	global_store_b64 v[6:7], v[4:5], off
	s_or_b32 exec_lo, exec_lo, s0
	s_and_saveexec_b32 s0, s16
	s_cbranch_execz .LBB100_62
.LBB100_78:
	v_add_co_u32 v2, vcc_lo, 0x7000, v2
	v_add_co_ci_u32_e32 v3, vcc_lo, 0, v3, vcc_lo
	s_waitcnt lgkmcnt(0)
	global_store_b64 v[2:3], v[0:1], off offset:2048
	s_nop 0
	s_sendmsg sendmsg(MSG_DEALLOC_VGPRS)
	s_endpgm
	.section	.rodata,"a",@progbits
	.p2align	6, 0x0
	.amdhsa_kernel _ZN7rocprim17ROCPRIM_400000_NS6detail17trampoline_kernelINS0_14default_configENS1_20scan_config_selectorIlEEZZNS1_9scan_implILNS1_25lookback_scan_determinismE0ELb0ELb0ES3_PlS8_lN6thrust23THRUST_200600_302600_NS4plusIvEElEEDaPvRmT3_T4_T5_mT6_P12ihipStream_tbENKUlT_T0_E_clISt17integral_constantIbLb0EESQ_EEDaSL_SM_EUlSL_E0_NS1_11comp_targetILNS1_3genE9ELNS1_11target_archE1100ELNS1_3gpuE3ELNS1_3repE0EEENS1_30default_config_static_selectorELNS0_4arch9wavefront6targetE0EEEvT1_
		.amdhsa_group_segment_fixed_size 33792
		.amdhsa_private_segment_fixed_size 0
		.amdhsa_kernarg_size 40
		.amdhsa_user_sgpr_count 15
		.amdhsa_user_sgpr_dispatch_ptr 0
		.amdhsa_user_sgpr_queue_ptr 0
		.amdhsa_user_sgpr_kernarg_segment_ptr 1
		.amdhsa_user_sgpr_dispatch_id 0
		.amdhsa_user_sgpr_private_segment_size 0
		.amdhsa_wavefront_size32 1
		.amdhsa_uses_dynamic_stack 0
		.amdhsa_enable_private_segment 0
		.amdhsa_system_sgpr_workgroup_id_x 1
		.amdhsa_system_sgpr_workgroup_id_y 0
		.amdhsa_system_sgpr_workgroup_id_z 0
		.amdhsa_system_sgpr_workgroup_info 0
		.amdhsa_system_vgpr_workitem_id 0
		.amdhsa_next_free_vgpr 100
		.amdhsa_next_free_sgpr 24
		.amdhsa_reserve_vcc 1
		.amdhsa_float_round_mode_32 0
		.amdhsa_float_round_mode_16_64 0
		.amdhsa_float_denorm_mode_32 3
		.amdhsa_float_denorm_mode_16_64 3
		.amdhsa_dx10_clamp 1
		.amdhsa_ieee_mode 1
		.amdhsa_fp16_overflow 0
		.amdhsa_workgroup_processor_mode 1
		.amdhsa_memory_ordered 1
		.amdhsa_forward_progress 0
		.amdhsa_shared_vgpr_count 0
		.amdhsa_exception_fp_ieee_invalid_op 0
		.amdhsa_exception_fp_denorm_src 0
		.amdhsa_exception_fp_ieee_div_zero 0
		.amdhsa_exception_fp_ieee_overflow 0
		.amdhsa_exception_fp_ieee_underflow 0
		.amdhsa_exception_fp_ieee_inexact 0
		.amdhsa_exception_int_div_zero 0
	.end_amdhsa_kernel
	.section	.text._ZN7rocprim17ROCPRIM_400000_NS6detail17trampoline_kernelINS0_14default_configENS1_20scan_config_selectorIlEEZZNS1_9scan_implILNS1_25lookback_scan_determinismE0ELb0ELb0ES3_PlS8_lN6thrust23THRUST_200600_302600_NS4plusIvEElEEDaPvRmT3_T4_T5_mT6_P12ihipStream_tbENKUlT_T0_E_clISt17integral_constantIbLb0EESQ_EEDaSL_SM_EUlSL_E0_NS1_11comp_targetILNS1_3genE9ELNS1_11target_archE1100ELNS1_3gpuE3ELNS1_3repE0EEENS1_30default_config_static_selectorELNS0_4arch9wavefront6targetE0EEEvT1_,"axG",@progbits,_ZN7rocprim17ROCPRIM_400000_NS6detail17trampoline_kernelINS0_14default_configENS1_20scan_config_selectorIlEEZZNS1_9scan_implILNS1_25lookback_scan_determinismE0ELb0ELb0ES3_PlS8_lN6thrust23THRUST_200600_302600_NS4plusIvEElEEDaPvRmT3_T4_T5_mT6_P12ihipStream_tbENKUlT_T0_E_clISt17integral_constantIbLb0EESQ_EEDaSL_SM_EUlSL_E0_NS1_11comp_targetILNS1_3genE9ELNS1_11target_archE1100ELNS1_3gpuE3ELNS1_3repE0EEENS1_30default_config_static_selectorELNS0_4arch9wavefront6targetE0EEEvT1_,comdat
.Lfunc_end100:
	.size	_ZN7rocprim17ROCPRIM_400000_NS6detail17trampoline_kernelINS0_14default_configENS1_20scan_config_selectorIlEEZZNS1_9scan_implILNS1_25lookback_scan_determinismE0ELb0ELb0ES3_PlS8_lN6thrust23THRUST_200600_302600_NS4plusIvEElEEDaPvRmT3_T4_T5_mT6_P12ihipStream_tbENKUlT_T0_E_clISt17integral_constantIbLb0EESQ_EEDaSL_SM_EUlSL_E0_NS1_11comp_targetILNS1_3genE9ELNS1_11target_archE1100ELNS1_3gpuE3ELNS1_3repE0EEENS1_30default_config_static_selectorELNS0_4arch9wavefront6targetE0EEEvT1_, .Lfunc_end100-_ZN7rocprim17ROCPRIM_400000_NS6detail17trampoline_kernelINS0_14default_configENS1_20scan_config_selectorIlEEZZNS1_9scan_implILNS1_25lookback_scan_determinismE0ELb0ELb0ES3_PlS8_lN6thrust23THRUST_200600_302600_NS4plusIvEElEEDaPvRmT3_T4_T5_mT6_P12ihipStream_tbENKUlT_T0_E_clISt17integral_constantIbLb0EESQ_EEDaSL_SM_EUlSL_E0_NS1_11comp_targetILNS1_3genE9ELNS1_11target_archE1100ELNS1_3gpuE3ELNS1_3repE0EEENS1_30default_config_static_selectorELNS0_4arch9wavefront6targetE0EEEvT1_
                                        ; -- End function
	.section	.AMDGPU.csdata,"",@progbits
; Kernel info:
; codeLenInByte = 4168
; NumSgprs: 26
; NumVgprs: 100
; ScratchSize: 0
; MemoryBound: 0
; FloatMode: 240
; IeeeMode: 1
; LDSByteSize: 33792 bytes/workgroup (compile time only)
; SGPRBlocks: 3
; VGPRBlocks: 12
; NumSGPRsForWavesPerEU: 26
; NumVGPRsForWavesPerEU: 100
; Occupancy: 6
; WaveLimiterHint : 0
; COMPUTE_PGM_RSRC2:SCRATCH_EN: 0
; COMPUTE_PGM_RSRC2:USER_SGPR: 15
; COMPUTE_PGM_RSRC2:TRAP_HANDLER: 0
; COMPUTE_PGM_RSRC2:TGID_X_EN: 1
; COMPUTE_PGM_RSRC2:TGID_Y_EN: 0
; COMPUTE_PGM_RSRC2:TGID_Z_EN: 0
; COMPUTE_PGM_RSRC2:TIDIG_COMP_CNT: 0
	.section	.text._ZN7rocprim17ROCPRIM_400000_NS6detail17trampoline_kernelINS0_14default_configENS1_20scan_config_selectorIlEEZZNS1_9scan_implILNS1_25lookback_scan_determinismE0ELb0ELb0ES3_PlS8_lN6thrust23THRUST_200600_302600_NS4plusIvEElEEDaPvRmT3_T4_T5_mT6_P12ihipStream_tbENKUlT_T0_E_clISt17integral_constantIbLb0EESQ_EEDaSL_SM_EUlSL_E0_NS1_11comp_targetILNS1_3genE8ELNS1_11target_archE1030ELNS1_3gpuE2ELNS1_3repE0EEENS1_30default_config_static_selectorELNS0_4arch9wavefront6targetE0EEEvT1_,"axG",@progbits,_ZN7rocprim17ROCPRIM_400000_NS6detail17trampoline_kernelINS0_14default_configENS1_20scan_config_selectorIlEEZZNS1_9scan_implILNS1_25lookback_scan_determinismE0ELb0ELb0ES3_PlS8_lN6thrust23THRUST_200600_302600_NS4plusIvEElEEDaPvRmT3_T4_T5_mT6_P12ihipStream_tbENKUlT_T0_E_clISt17integral_constantIbLb0EESQ_EEDaSL_SM_EUlSL_E0_NS1_11comp_targetILNS1_3genE8ELNS1_11target_archE1030ELNS1_3gpuE2ELNS1_3repE0EEENS1_30default_config_static_selectorELNS0_4arch9wavefront6targetE0EEEvT1_,comdat
	.protected	_ZN7rocprim17ROCPRIM_400000_NS6detail17trampoline_kernelINS0_14default_configENS1_20scan_config_selectorIlEEZZNS1_9scan_implILNS1_25lookback_scan_determinismE0ELb0ELb0ES3_PlS8_lN6thrust23THRUST_200600_302600_NS4plusIvEElEEDaPvRmT3_T4_T5_mT6_P12ihipStream_tbENKUlT_T0_E_clISt17integral_constantIbLb0EESQ_EEDaSL_SM_EUlSL_E0_NS1_11comp_targetILNS1_3genE8ELNS1_11target_archE1030ELNS1_3gpuE2ELNS1_3repE0EEENS1_30default_config_static_selectorELNS0_4arch9wavefront6targetE0EEEvT1_ ; -- Begin function _ZN7rocprim17ROCPRIM_400000_NS6detail17trampoline_kernelINS0_14default_configENS1_20scan_config_selectorIlEEZZNS1_9scan_implILNS1_25lookback_scan_determinismE0ELb0ELb0ES3_PlS8_lN6thrust23THRUST_200600_302600_NS4plusIvEElEEDaPvRmT3_T4_T5_mT6_P12ihipStream_tbENKUlT_T0_E_clISt17integral_constantIbLb0EESQ_EEDaSL_SM_EUlSL_E0_NS1_11comp_targetILNS1_3genE8ELNS1_11target_archE1030ELNS1_3gpuE2ELNS1_3repE0EEENS1_30default_config_static_selectorELNS0_4arch9wavefront6targetE0EEEvT1_
	.globl	_ZN7rocprim17ROCPRIM_400000_NS6detail17trampoline_kernelINS0_14default_configENS1_20scan_config_selectorIlEEZZNS1_9scan_implILNS1_25lookback_scan_determinismE0ELb0ELb0ES3_PlS8_lN6thrust23THRUST_200600_302600_NS4plusIvEElEEDaPvRmT3_T4_T5_mT6_P12ihipStream_tbENKUlT_T0_E_clISt17integral_constantIbLb0EESQ_EEDaSL_SM_EUlSL_E0_NS1_11comp_targetILNS1_3genE8ELNS1_11target_archE1030ELNS1_3gpuE2ELNS1_3repE0EEENS1_30default_config_static_selectorELNS0_4arch9wavefront6targetE0EEEvT1_
	.p2align	8
	.type	_ZN7rocprim17ROCPRIM_400000_NS6detail17trampoline_kernelINS0_14default_configENS1_20scan_config_selectorIlEEZZNS1_9scan_implILNS1_25lookback_scan_determinismE0ELb0ELb0ES3_PlS8_lN6thrust23THRUST_200600_302600_NS4plusIvEElEEDaPvRmT3_T4_T5_mT6_P12ihipStream_tbENKUlT_T0_E_clISt17integral_constantIbLb0EESQ_EEDaSL_SM_EUlSL_E0_NS1_11comp_targetILNS1_3genE8ELNS1_11target_archE1030ELNS1_3gpuE2ELNS1_3repE0EEENS1_30default_config_static_selectorELNS0_4arch9wavefront6targetE0EEEvT1_,@function
_ZN7rocprim17ROCPRIM_400000_NS6detail17trampoline_kernelINS0_14default_configENS1_20scan_config_selectorIlEEZZNS1_9scan_implILNS1_25lookback_scan_determinismE0ELb0ELb0ES3_PlS8_lN6thrust23THRUST_200600_302600_NS4plusIvEElEEDaPvRmT3_T4_T5_mT6_P12ihipStream_tbENKUlT_T0_E_clISt17integral_constantIbLb0EESQ_EEDaSL_SM_EUlSL_E0_NS1_11comp_targetILNS1_3genE8ELNS1_11target_archE1030ELNS1_3gpuE2ELNS1_3repE0EEENS1_30default_config_static_selectorELNS0_4arch9wavefront6targetE0EEEvT1_: ; @_ZN7rocprim17ROCPRIM_400000_NS6detail17trampoline_kernelINS0_14default_configENS1_20scan_config_selectorIlEEZZNS1_9scan_implILNS1_25lookback_scan_determinismE0ELb0ELb0ES3_PlS8_lN6thrust23THRUST_200600_302600_NS4plusIvEElEEDaPvRmT3_T4_T5_mT6_P12ihipStream_tbENKUlT_T0_E_clISt17integral_constantIbLb0EESQ_EEDaSL_SM_EUlSL_E0_NS1_11comp_targetILNS1_3genE8ELNS1_11target_archE1030ELNS1_3gpuE2ELNS1_3repE0EEENS1_30default_config_static_selectorELNS0_4arch9wavefront6targetE0EEEvT1_
; %bb.0:
	.section	.rodata,"a",@progbits
	.p2align	6, 0x0
	.amdhsa_kernel _ZN7rocprim17ROCPRIM_400000_NS6detail17trampoline_kernelINS0_14default_configENS1_20scan_config_selectorIlEEZZNS1_9scan_implILNS1_25lookback_scan_determinismE0ELb0ELb0ES3_PlS8_lN6thrust23THRUST_200600_302600_NS4plusIvEElEEDaPvRmT3_T4_T5_mT6_P12ihipStream_tbENKUlT_T0_E_clISt17integral_constantIbLb0EESQ_EEDaSL_SM_EUlSL_E0_NS1_11comp_targetILNS1_3genE8ELNS1_11target_archE1030ELNS1_3gpuE2ELNS1_3repE0EEENS1_30default_config_static_selectorELNS0_4arch9wavefront6targetE0EEEvT1_
		.amdhsa_group_segment_fixed_size 0
		.amdhsa_private_segment_fixed_size 0
		.amdhsa_kernarg_size 40
		.amdhsa_user_sgpr_count 15
		.amdhsa_user_sgpr_dispatch_ptr 0
		.amdhsa_user_sgpr_queue_ptr 0
		.amdhsa_user_sgpr_kernarg_segment_ptr 1
		.amdhsa_user_sgpr_dispatch_id 0
		.amdhsa_user_sgpr_private_segment_size 0
		.amdhsa_wavefront_size32 1
		.amdhsa_uses_dynamic_stack 0
		.amdhsa_enable_private_segment 0
		.amdhsa_system_sgpr_workgroup_id_x 1
		.amdhsa_system_sgpr_workgroup_id_y 0
		.amdhsa_system_sgpr_workgroup_id_z 0
		.amdhsa_system_sgpr_workgroup_info 0
		.amdhsa_system_vgpr_workitem_id 0
		.amdhsa_next_free_vgpr 1
		.amdhsa_next_free_sgpr 1
		.amdhsa_reserve_vcc 0
		.amdhsa_float_round_mode_32 0
		.amdhsa_float_round_mode_16_64 0
		.amdhsa_float_denorm_mode_32 3
		.amdhsa_float_denorm_mode_16_64 3
		.amdhsa_dx10_clamp 1
		.amdhsa_ieee_mode 1
		.amdhsa_fp16_overflow 0
		.amdhsa_workgroup_processor_mode 1
		.amdhsa_memory_ordered 1
		.amdhsa_forward_progress 0
		.amdhsa_shared_vgpr_count 0
		.amdhsa_exception_fp_ieee_invalid_op 0
		.amdhsa_exception_fp_denorm_src 0
		.amdhsa_exception_fp_ieee_div_zero 0
		.amdhsa_exception_fp_ieee_overflow 0
		.amdhsa_exception_fp_ieee_underflow 0
		.amdhsa_exception_fp_ieee_inexact 0
		.amdhsa_exception_int_div_zero 0
	.end_amdhsa_kernel
	.section	.text._ZN7rocprim17ROCPRIM_400000_NS6detail17trampoline_kernelINS0_14default_configENS1_20scan_config_selectorIlEEZZNS1_9scan_implILNS1_25lookback_scan_determinismE0ELb0ELb0ES3_PlS8_lN6thrust23THRUST_200600_302600_NS4plusIvEElEEDaPvRmT3_T4_T5_mT6_P12ihipStream_tbENKUlT_T0_E_clISt17integral_constantIbLb0EESQ_EEDaSL_SM_EUlSL_E0_NS1_11comp_targetILNS1_3genE8ELNS1_11target_archE1030ELNS1_3gpuE2ELNS1_3repE0EEENS1_30default_config_static_selectorELNS0_4arch9wavefront6targetE0EEEvT1_,"axG",@progbits,_ZN7rocprim17ROCPRIM_400000_NS6detail17trampoline_kernelINS0_14default_configENS1_20scan_config_selectorIlEEZZNS1_9scan_implILNS1_25lookback_scan_determinismE0ELb0ELb0ES3_PlS8_lN6thrust23THRUST_200600_302600_NS4plusIvEElEEDaPvRmT3_T4_T5_mT6_P12ihipStream_tbENKUlT_T0_E_clISt17integral_constantIbLb0EESQ_EEDaSL_SM_EUlSL_E0_NS1_11comp_targetILNS1_3genE8ELNS1_11target_archE1030ELNS1_3gpuE2ELNS1_3repE0EEENS1_30default_config_static_selectorELNS0_4arch9wavefront6targetE0EEEvT1_,comdat
.Lfunc_end101:
	.size	_ZN7rocprim17ROCPRIM_400000_NS6detail17trampoline_kernelINS0_14default_configENS1_20scan_config_selectorIlEEZZNS1_9scan_implILNS1_25lookback_scan_determinismE0ELb0ELb0ES3_PlS8_lN6thrust23THRUST_200600_302600_NS4plusIvEElEEDaPvRmT3_T4_T5_mT6_P12ihipStream_tbENKUlT_T0_E_clISt17integral_constantIbLb0EESQ_EEDaSL_SM_EUlSL_E0_NS1_11comp_targetILNS1_3genE8ELNS1_11target_archE1030ELNS1_3gpuE2ELNS1_3repE0EEENS1_30default_config_static_selectorELNS0_4arch9wavefront6targetE0EEEvT1_, .Lfunc_end101-_ZN7rocprim17ROCPRIM_400000_NS6detail17trampoline_kernelINS0_14default_configENS1_20scan_config_selectorIlEEZZNS1_9scan_implILNS1_25lookback_scan_determinismE0ELb0ELb0ES3_PlS8_lN6thrust23THRUST_200600_302600_NS4plusIvEElEEDaPvRmT3_T4_T5_mT6_P12ihipStream_tbENKUlT_T0_E_clISt17integral_constantIbLb0EESQ_EEDaSL_SM_EUlSL_E0_NS1_11comp_targetILNS1_3genE8ELNS1_11target_archE1030ELNS1_3gpuE2ELNS1_3repE0EEENS1_30default_config_static_selectorELNS0_4arch9wavefront6targetE0EEEvT1_
                                        ; -- End function
	.section	.AMDGPU.csdata,"",@progbits
; Kernel info:
; codeLenInByte = 0
; NumSgprs: 0
; NumVgprs: 0
; ScratchSize: 0
; MemoryBound: 0
; FloatMode: 240
; IeeeMode: 1
; LDSByteSize: 0 bytes/workgroup (compile time only)
; SGPRBlocks: 0
; VGPRBlocks: 0
; NumSGPRsForWavesPerEU: 1
; NumVGPRsForWavesPerEU: 1
; Occupancy: 16
; WaveLimiterHint : 0
; COMPUTE_PGM_RSRC2:SCRATCH_EN: 0
; COMPUTE_PGM_RSRC2:USER_SGPR: 15
; COMPUTE_PGM_RSRC2:TRAP_HANDLER: 0
; COMPUTE_PGM_RSRC2:TGID_X_EN: 1
; COMPUTE_PGM_RSRC2:TGID_Y_EN: 0
; COMPUTE_PGM_RSRC2:TGID_Z_EN: 0
; COMPUTE_PGM_RSRC2:TIDIG_COMP_CNT: 0
	.section	.text._ZN7rocprim17ROCPRIM_400000_NS6detail31init_lookback_scan_state_kernelINS1_19lookback_scan_stateIlLb1ELb1EEENS1_16block_id_wrapperIjLb1EEEEEvT_jT0_jPNS7_10value_typeE,"axG",@progbits,_ZN7rocprim17ROCPRIM_400000_NS6detail31init_lookback_scan_state_kernelINS1_19lookback_scan_stateIlLb1ELb1EEENS1_16block_id_wrapperIjLb1EEEEEvT_jT0_jPNS7_10value_typeE,comdat
	.protected	_ZN7rocprim17ROCPRIM_400000_NS6detail31init_lookback_scan_state_kernelINS1_19lookback_scan_stateIlLb1ELb1EEENS1_16block_id_wrapperIjLb1EEEEEvT_jT0_jPNS7_10value_typeE ; -- Begin function _ZN7rocprim17ROCPRIM_400000_NS6detail31init_lookback_scan_state_kernelINS1_19lookback_scan_stateIlLb1ELb1EEENS1_16block_id_wrapperIjLb1EEEEEvT_jT0_jPNS7_10value_typeE
	.globl	_ZN7rocprim17ROCPRIM_400000_NS6detail31init_lookback_scan_state_kernelINS1_19lookback_scan_stateIlLb1ELb1EEENS1_16block_id_wrapperIjLb1EEEEEvT_jT0_jPNS7_10value_typeE
	.p2align	8
	.type	_ZN7rocprim17ROCPRIM_400000_NS6detail31init_lookback_scan_state_kernelINS1_19lookback_scan_stateIlLb1ELb1EEENS1_16block_id_wrapperIjLb1EEEEEvT_jT0_jPNS7_10value_typeE,@function
_ZN7rocprim17ROCPRIM_400000_NS6detail31init_lookback_scan_state_kernelINS1_19lookback_scan_stateIlLb1ELb1EEENS1_16block_id_wrapperIjLb1EEEEEvT_jT0_jPNS7_10value_typeE: ; @_ZN7rocprim17ROCPRIM_400000_NS6detail31init_lookback_scan_state_kernelINS1_19lookback_scan_stateIlLb1ELb1EEENS1_16block_id_wrapperIjLb1EEEEEvT_jT0_jPNS7_10value_typeE
; %bb.0:
	s_clause 0x3
	s_load_b32 s6, s[0:1], 0x34
	s_load_b64 s[4:5], s[0:1], 0x20
	s_load_b64 s[2:3], s[0:1], 0x0
	s_load_b32 s8, s[0:1], 0x8
	s_waitcnt lgkmcnt(0)
	s_and_b32 s6, s6, 0xffff
	s_cmp_eq_u64 s[4:5], 0
	v_mad_u64_u32 v[1:2], null, s15, s6, v[0:1]
	s_cbranch_scc1 .LBB102_10
; %bb.1:
	s_load_b32 s6, s[0:1], 0x18
	s_waitcnt lgkmcnt(0)
	s_cmp_lt_u32 s6, s8
	s_cselect_b32 s7, s6, 0
	s_delay_alu instid0(VALU_DEP_1) | instid1(SALU_CYCLE_1)
	v_cmp_eq_u32_e32 vcc_lo, s7, v1
	s_mov_b32 s7, 0
	s_and_saveexec_b32 s9, vcc_lo
	s_cbranch_execz .LBB102_9
; %bb.2:
	s_add_i32 s6, s6, 32
	s_mov_b32 s10, exec_lo
	s_lshl_b64 s[6:7], s[6:7], 4
	v_mov_b32_e32 v6, 0
	s_add_u32 s6, s2, s6
	s_addc_u32 s7, s3, s7
	s_delay_alu instid0(SALU_CYCLE_1) | instskip(SKIP_2) | instid1(VALU_DEP_1)
	v_dual_mov_b32 v2, s6 :: v_dual_mov_b32 v3, s7
	;;#ASMSTART
	global_load_dwordx4 v[2:5], v[2:3] off glc	
s_waitcnt vmcnt(0)
	;;#ASMEND
	v_and_b32_e32 v5, 0xff, v4
	v_cmpx_eq_u64_e32 0, v[5:6]
	s_cbranch_execz .LBB102_8
; %bb.3:
	v_dual_mov_b32 v8, s7 :: v_dual_mov_b32 v7, s6
	s_mov_b32 s7, 1
	s_mov_b32 s6, 0
	.p2align	6
.LBB102_4:                              ; =>This Loop Header: Depth=1
                                        ;     Child Loop BB102_5 Depth 2
	s_max_u32 s11, s7, 1
.LBB102_5:                              ;   Parent Loop BB102_4 Depth=1
                                        ; =>  This Inner Loop Header: Depth=2
	s_delay_alu instid0(SALU_CYCLE_1)
	s_add_i32 s11, s11, -1
	s_sleep 1
	s_cmp_eq_u32 s11, 0
	s_cbranch_scc0 .LBB102_5
; %bb.6:                                ;   in Loop: Header=BB102_4 Depth=1
	;;#ASMSTART
	global_load_dwordx4 v[2:5], v[7:8] off glc	
s_waitcnt vmcnt(0)
	;;#ASMEND
	v_and_b32_e32 v5, 0xff, v4
	s_cmp_lt_u32 s7, 32
	s_cselect_b32 s11, -1, 0
	s_delay_alu instid0(SALU_CYCLE_1) | instskip(NEXT) | instid1(VALU_DEP_1)
	s_cmp_lg_u32 s11, 0
	v_cmp_ne_u64_e32 vcc_lo, 0, v[5:6]
	s_addc_u32 s7, s7, 0
	s_or_b32 s6, vcc_lo, s6
	s_delay_alu instid0(SALU_CYCLE_1)
	s_and_not1_b32 exec_lo, exec_lo, s6
	s_cbranch_execnz .LBB102_4
; %bb.7:
	s_or_b32 exec_lo, exec_lo, s6
.LBB102_8:
	s_delay_alu instid0(SALU_CYCLE_1)
	s_or_b32 exec_lo, exec_lo, s10
	v_mov_b32_e32 v0, 0
	global_store_b64 v0, v[2:3], s[4:5]
.LBB102_9:
	s_or_b32 exec_lo, exec_lo, s9
.LBB102_10:
	s_delay_alu instid0(SALU_CYCLE_1) | instskip(NEXT) | instid1(VALU_DEP_1)
	s_mov_b32 s4, exec_lo
	v_cmpx_eq_u32_e32 0, v1
	s_cbranch_execz .LBB102_12
; %bb.11:
	s_load_b64 s[0:1], s[0:1], 0x10
	v_mov_b32_e32 v0, 0
	s_waitcnt lgkmcnt(0)
	global_store_b32 v0, v0, s[0:1]
.LBB102_12:
	s_or_b32 exec_lo, exec_lo, s4
	s_delay_alu instid0(SALU_CYCLE_1)
	s_mov_b32 s0, exec_lo
	v_cmpx_gt_u32_e64 s8, v1
	s_cbranch_execz .LBB102_14
; %bb.13:
	v_dual_mov_b32 v3, 0 :: v_dual_add_nc_u32 v2, 32, v1
	s_delay_alu instid0(VALU_DEP_1) | instskip(SKIP_2) | instid1(VALU_DEP_3)
	v_lshlrev_b64 v[5:6], 4, v[2:3]
	v_mov_b32_e32 v2, v3
	v_mov_b32_e32 v4, v3
	v_add_co_u32 v7, vcc_lo, s2, v5
	s_delay_alu instid0(VALU_DEP_4)
	v_add_co_ci_u32_e32 v8, vcc_lo, s3, v6, vcc_lo
	v_mov_b32_e32 v5, v3
	global_store_b128 v[7:8], v[2:5], off
.LBB102_14:
	s_or_b32 exec_lo, exec_lo, s0
	s_delay_alu instid0(SALU_CYCLE_1)
	s_mov_b32 s0, exec_lo
	v_cmpx_gt_u32_e32 32, v1
	s_cbranch_execz .LBB102_16
; %bb.15:
	v_dual_mov_b32 v2, 0 :: v_dual_mov_b32 v3, 0xff
	s_delay_alu instid0(VALU_DEP_1) | instskip(SKIP_1) | instid1(VALU_DEP_2)
	v_lshlrev_b64 v[4:5], 4, v[1:2]
	v_mov_b32_e32 v1, v2
	v_add_co_u32 v6, vcc_lo, s2, v4
	s_delay_alu instid0(VALU_DEP_3)
	v_add_co_ci_u32_e32 v7, vcc_lo, s3, v5, vcc_lo
	v_mov_b32_e32 v4, v2
	global_store_b128 v[6:7], v[1:4], off
.LBB102_16:
	s_nop 0
	s_sendmsg sendmsg(MSG_DEALLOC_VGPRS)
	s_endpgm
	.section	.rodata,"a",@progbits
	.p2align	6, 0x0
	.amdhsa_kernel _ZN7rocprim17ROCPRIM_400000_NS6detail31init_lookback_scan_state_kernelINS1_19lookback_scan_stateIlLb1ELb1EEENS1_16block_id_wrapperIjLb1EEEEEvT_jT0_jPNS7_10value_typeE
		.amdhsa_group_segment_fixed_size 0
		.amdhsa_private_segment_fixed_size 0
		.amdhsa_kernarg_size 296
		.amdhsa_user_sgpr_count 15
		.amdhsa_user_sgpr_dispatch_ptr 0
		.amdhsa_user_sgpr_queue_ptr 0
		.amdhsa_user_sgpr_kernarg_segment_ptr 1
		.amdhsa_user_sgpr_dispatch_id 0
		.amdhsa_user_sgpr_private_segment_size 0
		.amdhsa_wavefront_size32 1
		.amdhsa_uses_dynamic_stack 0
		.amdhsa_enable_private_segment 0
		.amdhsa_system_sgpr_workgroup_id_x 1
		.amdhsa_system_sgpr_workgroup_id_y 0
		.amdhsa_system_sgpr_workgroup_id_z 0
		.amdhsa_system_sgpr_workgroup_info 0
		.amdhsa_system_vgpr_workitem_id 0
		.amdhsa_next_free_vgpr 9
		.amdhsa_next_free_sgpr 16
		.amdhsa_reserve_vcc 1
		.amdhsa_float_round_mode_32 0
		.amdhsa_float_round_mode_16_64 0
		.amdhsa_float_denorm_mode_32 3
		.amdhsa_float_denorm_mode_16_64 3
		.amdhsa_dx10_clamp 1
		.amdhsa_ieee_mode 1
		.amdhsa_fp16_overflow 0
		.amdhsa_workgroup_processor_mode 1
		.amdhsa_memory_ordered 1
		.amdhsa_forward_progress 0
		.amdhsa_shared_vgpr_count 0
		.amdhsa_exception_fp_ieee_invalid_op 0
		.amdhsa_exception_fp_denorm_src 0
		.amdhsa_exception_fp_ieee_div_zero 0
		.amdhsa_exception_fp_ieee_overflow 0
		.amdhsa_exception_fp_ieee_underflow 0
		.amdhsa_exception_fp_ieee_inexact 0
		.amdhsa_exception_int_div_zero 0
	.end_amdhsa_kernel
	.section	.text._ZN7rocprim17ROCPRIM_400000_NS6detail31init_lookback_scan_state_kernelINS1_19lookback_scan_stateIlLb1ELb1EEENS1_16block_id_wrapperIjLb1EEEEEvT_jT0_jPNS7_10value_typeE,"axG",@progbits,_ZN7rocprim17ROCPRIM_400000_NS6detail31init_lookback_scan_state_kernelINS1_19lookback_scan_stateIlLb1ELb1EEENS1_16block_id_wrapperIjLb1EEEEEvT_jT0_jPNS7_10value_typeE,comdat
.Lfunc_end102:
	.size	_ZN7rocprim17ROCPRIM_400000_NS6detail31init_lookback_scan_state_kernelINS1_19lookback_scan_stateIlLb1ELb1EEENS1_16block_id_wrapperIjLb1EEEEEvT_jT0_jPNS7_10value_typeE, .Lfunc_end102-_ZN7rocprim17ROCPRIM_400000_NS6detail31init_lookback_scan_state_kernelINS1_19lookback_scan_stateIlLb1ELb1EEENS1_16block_id_wrapperIjLb1EEEEEvT_jT0_jPNS7_10value_typeE
                                        ; -- End function
	.section	.AMDGPU.csdata,"",@progbits
; Kernel info:
; codeLenInByte = 560
; NumSgprs: 18
; NumVgprs: 9
; ScratchSize: 0
; MemoryBound: 0
; FloatMode: 240
; IeeeMode: 1
; LDSByteSize: 0 bytes/workgroup (compile time only)
; SGPRBlocks: 2
; VGPRBlocks: 1
; NumSGPRsForWavesPerEU: 18
; NumVGPRsForWavesPerEU: 9
; Occupancy: 16
; WaveLimiterHint : 0
; COMPUTE_PGM_RSRC2:SCRATCH_EN: 0
; COMPUTE_PGM_RSRC2:USER_SGPR: 15
; COMPUTE_PGM_RSRC2:TRAP_HANDLER: 0
; COMPUTE_PGM_RSRC2:TGID_X_EN: 1
; COMPUTE_PGM_RSRC2:TGID_Y_EN: 0
; COMPUTE_PGM_RSRC2:TGID_Z_EN: 0
; COMPUTE_PGM_RSRC2:TIDIG_COMP_CNT: 0
	.section	.text._ZN7rocprim17ROCPRIM_400000_NS6detail17trampoline_kernelINS0_14default_configENS1_20scan_config_selectorIlEEZZNS1_9scan_implILNS1_25lookback_scan_determinismE0ELb0ELb0ES3_PlS8_lN6thrust23THRUST_200600_302600_NS4plusIvEElEEDaPvRmT3_T4_T5_mT6_P12ihipStream_tbENKUlT_T0_E_clISt17integral_constantIbLb1EESQ_EEDaSL_SM_EUlSL_E_NS1_11comp_targetILNS1_3genE0ELNS1_11target_archE4294967295ELNS1_3gpuE0ELNS1_3repE0EEENS1_30default_config_static_selectorELNS0_4arch9wavefront6targetE0EEEvT1_,"axG",@progbits,_ZN7rocprim17ROCPRIM_400000_NS6detail17trampoline_kernelINS0_14default_configENS1_20scan_config_selectorIlEEZZNS1_9scan_implILNS1_25lookback_scan_determinismE0ELb0ELb0ES3_PlS8_lN6thrust23THRUST_200600_302600_NS4plusIvEElEEDaPvRmT3_T4_T5_mT6_P12ihipStream_tbENKUlT_T0_E_clISt17integral_constantIbLb1EESQ_EEDaSL_SM_EUlSL_E_NS1_11comp_targetILNS1_3genE0ELNS1_11target_archE4294967295ELNS1_3gpuE0ELNS1_3repE0EEENS1_30default_config_static_selectorELNS0_4arch9wavefront6targetE0EEEvT1_,comdat
	.protected	_ZN7rocprim17ROCPRIM_400000_NS6detail17trampoline_kernelINS0_14default_configENS1_20scan_config_selectorIlEEZZNS1_9scan_implILNS1_25lookback_scan_determinismE0ELb0ELb0ES3_PlS8_lN6thrust23THRUST_200600_302600_NS4plusIvEElEEDaPvRmT3_T4_T5_mT6_P12ihipStream_tbENKUlT_T0_E_clISt17integral_constantIbLb1EESQ_EEDaSL_SM_EUlSL_E_NS1_11comp_targetILNS1_3genE0ELNS1_11target_archE4294967295ELNS1_3gpuE0ELNS1_3repE0EEENS1_30default_config_static_selectorELNS0_4arch9wavefront6targetE0EEEvT1_ ; -- Begin function _ZN7rocprim17ROCPRIM_400000_NS6detail17trampoline_kernelINS0_14default_configENS1_20scan_config_selectorIlEEZZNS1_9scan_implILNS1_25lookback_scan_determinismE0ELb0ELb0ES3_PlS8_lN6thrust23THRUST_200600_302600_NS4plusIvEElEEDaPvRmT3_T4_T5_mT6_P12ihipStream_tbENKUlT_T0_E_clISt17integral_constantIbLb1EESQ_EEDaSL_SM_EUlSL_E_NS1_11comp_targetILNS1_3genE0ELNS1_11target_archE4294967295ELNS1_3gpuE0ELNS1_3repE0EEENS1_30default_config_static_selectorELNS0_4arch9wavefront6targetE0EEEvT1_
	.globl	_ZN7rocprim17ROCPRIM_400000_NS6detail17trampoline_kernelINS0_14default_configENS1_20scan_config_selectorIlEEZZNS1_9scan_implILNS1_25lookback_scan_determinismE0ELb0ELb0ES3_PlS8_lN6thrust23THRUST_200600_302600_NS4plusIvEElEEDaPvRmT3_T4_T5_mT6_P12ihipStream_tbENKUlT_T0_E_clISt17integral_constantIbLb1EESQ_EEDaSL_SM_EUlSL_E_NS1_11comp_targetILNS1_3genE0ELNS1_11target_archE4294967295ELNS1_3gpuE0ELNS1_3repE0EEENS1_30default_config_static_selectorELNS0_4arch9wavefront6targetE0EEEvT1_
	.p2align	8
	.type	_ZN7rocprim17ROCPRIM_400000_NS6detail17trampoline_kernelINS0_14default_configENS1_20scan_config_selectorIlEEZZNS1_9scan_implILNS1_25lookback_scan_determinismE0ELb0ELb0ES3_PlS8_lN6thrust23THRUST_200600_302600_NS4plusIvEElEEDaPvRmT3_T4_T5_mT6_P12ihipStream_tbENKUlT_T0_E_clISt17integral_constantIbLb1EESQ_EEDaSL_SM_EUlSL_E_NS1_11comp_targetILNS1_3genE0ELNS1_11target_archE4294967295ELNS1_3gpuE0ELNS1_3repE0EEENS1_30default_config_static_selectorELNS0_4arch9wavefront6targetE0EEEvT1_,@function
_ZN7rocprim17ROCPRIM_400000_NS6detail17trampoline_kernelINS0_14default_configENS1_20scan_config_selectorIlEEZZNS1_9scan_implILNS1_25lookback_scan_determinismE0ELb0ELb0ES3_PlS8_lN6thrust23THRUST_200600_302600_NS4plusIvEElEEDaPvRmT3_T4_T5_mT6_P12ihipStream_tbENKUlT_T0_E_clISt17integral_constantIbLb1EESQ_EEDaSL_SM_EUlSL_E_NS1_11comp_targetILNS1_3genE0ELNS1_11target_archE4294967295ELNS1_3gpuE0ELNS1_3repE0EEENS1_30default_config_static_selectorELNS0_4arch9wavefront6targetE0EEEvT1_: ; @_ZN7rocprim17ROCPRIM_400000_NS6detail17trampoline_kernelINS0_14default_configENS1_20scan_config_selectorIlEEZZNS1_9scan_implILNS1_25lookback_scan_determinismE0ELb0ELb0ES3_PlS8_lN6thrust23THRUST_200600_302600_NS4plusIvEElEEDaPvRmT3_T4_T5_mT6_P12ihipStream_tbENKUlT_T0_E_clISt17integral_constantIbLb1EESQ_EEDaSL_SM_EUlSL_E_NS1_11comp_targetILNS1_3genE0ELNS1_11target_archE4294967295ELNS1_3gpuE0ELNS1_3repE0EEENS1_30default_config_static_selectorELNS0_4arch9wavefront6targetE0EEEvT1_
; %bb.0:
	.section	.rodata,"a",@progbits
	.p2align	6, 0x0
	.amdhsa_kernel _ZN7rocprim17ROCPRIM_400000_NS6detail17trampoline_kernelINS0_14default_configENS1_20scan_config_selectorIlEEZZNS1_9scan_implILNS1_25lookback_scan_determinismE0ELb0ELb0ES3_PlS8_lN6thrust23THRUST_200600_302600_NS4plusIvEElEEDaPvRmT3_T4_T5_mT6_P12ihipStream_tbENKUlT_T0_E_clISt17integral_constantIbLb1EESQ_EEDaSL_SM_EUlSL_E_NS1_11comp_targetILNS1_3genE0ELNS1_11target_archE4294967295ELNS1_3gpuE0ELNS1_3repE0EEENS1_30default_config_static_selectorELNS0_4arch9wavefront6targetE0EEEvT1_
		.amdhsa_group_segment_fixed_size 0
		.amdhsa_private_segment_fixed_size 0
		.amdhsa_kernarg_size 104
		.amdhsa_user_sgpr_count 15
		.amdhsa_user_sgpr_dispatch_ptr 0
		.amdhsa_user_sgpr_queue_ptr 0
		.amdhsa_user_sgpr_kernarg_segment_ptr 1
		.amdhsa_user_sgpr_dispatch_id 0
		.amdhsa_user_sgpr_private_segment_size 0
		.amdhsa_wavefront_size32 1
		.amdhsa_uses_dynamic_stack 0
		.amdhsa_enable_private_segment 0
		.amdhsa_system_sgpr_workgroup_id_x 1
		.amdhsa_system_sgpr_workgroup_id_y 0
		.amdhsa_system_sgpr_workgroup_id_z 0
		.amdhsa_system_sgpr_workgroup_info 0
		.amdhsa_system_vgpr_workitem_id 0
		.amdhsa_next_free_vgpr 1
		.amdhsa_next_free_sgpr 1
		.amdhsa_reserve_vcc 0
		.amdhsa_float_round_mode_32 0
		.amdhsa_float_round_mode_16_64 0
		.amdhsa_float_denorm_mode_32 3
		.amdhsa_float_denorm_mode_16_64 3
		.amdhsa_dx10_clamp 1
		.amdhsa_ieee_mode 1
		.amdhsa_fp16_overflow 0
		.amdhsa_workgroup_processor_mode 1
		.amdhsa_memory_ordered 1
		.amdhsa_forward_progress 0
		.amdhsa_shared_vgpr_count 0
		.amdhsa_exception_fp_ieee_invalid_op 0
		.amdhsa_exception_fp_denorm_src 0
		.amdhsa_exception_fp_ieee_div_zero 0
		.amdhsa_exception_fp_ieee_overflow 0
		.amdhsa_exception_fp_ieee_underflow 0
		.amdhsa_exception_fp_ieee_inexact 0
		.amdhsa_exception_int_div_zero 0
	.end_amdhsa_kernel
	.section	.text._ZN7rocprim17ROCPRIM_400000_NS6detail17trampoline_kernelINS0_14default_configENS1_20scan_config_selectorIlEEZZNS1_9scan_implILNS1_25lookback_scan_determinismE0ELb0ELb0ES3_PlS8_lN6thrust23THRUST_200600_302600_NS4plusIvEElEEDaPvRmT3_T4_T5_mT6_P12ihipStream_tbENKUlT_T0_E_clISt17integral_constantIbLb1EESQ_EEDaSL_SM_EUlSL_E_NS1_11comp_targetILNS1_3genE0ELNS1_11target_archE4294967295ELNS1_3gpuE0ELNS1_3repE0EEENS1_30default_config_static_selectorELNS0_4arch9wavefront6targetE0EEEvT1_,"axG",@progbits,_ZN7rocprim17ROCPRIM_400000_NS6detail17trampoline_kernelINS0_14default_configENS1_20scan_config_selectorIlEEZZNS1_9scan_implILNS1_25lookback_scan_determinismE0ELb0ELb0ES3_PlS8_lN6thrust23THRUST_200600_302600_NS4plusIvEElEEDaPvRmT3_T4_T5_mT6_P12ihipStream_tbENKUlT_T0_E_clISt17integral_constantIbLb1EESQ_EEDaSL_SM_EUlSL_E_NS1_11comp_targetILNS1_3genE0ELNS1_11target_archE4294967295ELNS1_3gpuE0ELNS1_3repE0EEENS1_30default_config_static_selectorELNS0_4arch9wavefront6targetE0EEEvT1_,comdat
.Lfunc_end103:
	.size	_ZN7rocprim17ROCPRIM_400000_NS6detail17trampoline_kernelINS0_14default_configENS1_20scan_config_selectorIlEEZZNS1_9scan_implILNS1_25lookback_scan_determinismE0ELb0ELb0ES3_PlS8_lN6thrust23THRUST_200600_302600_NS4plusIvEElEEDaPvRmT3_T4_T5_mT6_P12ihipStream_tbENKUlT_T0_E_clISt17integral_constantIbLb1EESQ_EEDaSL_SM_EUlSL_E_NS1_11comp_targetILNS1_3genE0ELNS1_11target_archE4294967295ELNS1_3gpuE0ELNS1_3repE0EEENS1_30default_config_static_selectorELNS0_4arch9wavefront6targetE0EEEvT1_, .Lfunc_end103-_ZN7rocprim17ROCPRIM_400000_NS6detail17trampoline_kernelINS0_14default_configENS1_20scan_config_selectorIlEEZZNS1_9scan_implILNS1_25lookback_scan_determinismE0ELb0ELb0ES3_PlS8_lN6thrust23THRUST_200600_302600_NS4plusIvEElEEDaPvRmT3_T4_T5_mT6_P12ihipStream_tbENKUlT_T0_E_clISt17integral_constantIbLb1EESQ_EEDaSL_SM_EUlSL_E_NS1_11comp_targetILNS1_3genE0ELNS1_11target_archE4294967295ELNS1_3gpuE0ELNS1_3repE0EEENS1_30default_config_static_selectorELNS0_4arch9wavefront6targetE0EEEvT1_
                                        ; -- End function
	.section	.AMDGPU.csdata,"",@progbits
; Kernel info:
; codeLenInByte = 0
; NumSgprs: 0
; NumVgprs: 0
; ScratchSize: 0
; MemoryBound: 0
; FloatMode: 240
; IeeeMode: 1
; LDSByteSize: 0 bytes/workgroup (compile time only)
; SGPRBlocks: 0
; VGPRBlocks: 0
; NumSGPRsForWavesPerEU: 1
; NumVGPRsForWavesPerEU: 1
; Occupancy: 16
; WaveLimiterHint : 0
; COMPUTE_PGM_RSRC2:SCRATCH_EN: 0
; COMPUTE_PGM_RSRC2:USER_SGPR: 15
; COMPUTE_PGM_RSRC2:TRAP_HANDLER: 0
; COMPUTE_PGM_RSRC2:TGID_X_EN: 1
; COMPUTE_PGM_RSRC2:TGID_Y_EN: 0
; COMPUTE_PGM_RSRC2:TGID_Z_EN: 0
; COMPUTE_PGM_RSRC2:TIDIG_COMP_CNT: 0
	.section	.text._ZN7rocprim17ROCPRIM_400000_NS6detail17trampoline_kernelINS0_14default_configENS1_20scan_config_selectorIlEEZZNS1_9scan_implILNS1_25lookback_scan_determinismE0ELb0ELb0ES3_PlS8_lN6thrust23THRUST_200600_302600_NS4plusIvEElEEDaPvRmT3_T4_T5_mT6_P12ihipStream_tbENKUlT_T0_E_clISt17integral_constantIbLb1EESQ_EEDaSL_SM_EUlSL_E_NS1_11comp_targetILNS1_3genE5ELNS1_11target_archE942ELNS1_3gpuE9ELNS1_3repE0EEENS1_30default_config_static_selectorELNS0_4arch9wavefront6targetE0EEEvT1_,"axG",@progbits,_ZN7rocprim17ROCPRIM_400000_NS6detail17trampoline_kernelINS0_14default_configENS1_20scan_config_selectorIlEEZZNS1_9scan_implILNS1_25lookback_scan_determinismE0ELb0ELb0ES3_PlS8_lN6thrust23THRUST_200600_302600_NS4plusIvEElEEDaPvRmT3_T4_T5_mT6_P12ihipStream_tbENKUlT_T0_E_clISt17integral_constantIbLb1EESQ_EEDaSL_SM_EUlSL_E_NS1_11comp_targetILNS1_3genE5ELNS1_11target_archE942ELNS1_3gpuE9ELNS1_3repE0EEENS1_30default_config_static_selectorELNS0_4arch9wavefront6targetE0EEEvT1_,comdat
	.protected	_ZN7rocprim17ROCPRIM_400000_NS6detail17trampoline_kernelINS0_14default_configENS1_20scan_config_selectorIlEEZZNS1_9scan_implILNS1_25lookback_scan_determinismE0ELb0ELb0ES3_PlS8_lN6thrust23THRUST_200600_302600_NS4plusIvEElEEDaPvRmT3_T4_T5_mT6_P12ihipStream_tbENKUlT_T0_E_clISt17integral_constantIbLb1EESQ_EEDaSL_SM_EUlSL_E_NS1_11comp_targetILNS1_3genE5ELNS1_11target_archE942ELNS1_3gpuE9ELNS1_3repE0EEENS1_30default_config_static_selectorELNS0_4arch9wavefront6targetE0EEEvT1_ ; -- Begin function _ZN7rocprim17ROCPRIM_400000_NS6detail17trampoline_kernelINS0_14default_configENS1_20scan_config_selectorIlEEZZNS1_9scan_implILNS1_25lookback_scan_determinismE0ELb0ELb0ES3_PlS8_lN6thrust23THRUST_200600_302600_NS4plusIvEElEEDaPvRmT3_T4_T5_mT6_P12ihipStream_tbENKUlT_T0_E_clISt17integral_constantIbLb1EESQ_EEDaSL_SM_EUlSL_E_NS1_11comp_targetILNS1_3genE5ELNS1_11target_archE942ELNS1_3gpuE9ELNS1_3repE0EEENS1_30default_config_static_selectorELNS0_4arch9wavefront6targetE0EEEvT1_
	.globl	_ZN7rocprim17ROCPRIM_400000_NS6detail17trampoline_kernelINS0_14default_configENS1_20scan_config_selectorIlEEZZNS1_9scan_implILNS1_25lookback_scan_determinismE0ELb0ELb0ES3_PlS8_lN6thrust23THRUST_200600_302600_NS4plusIvEElEEDaPvRmT3_T4_T5_mT6_P12ihipStream_tbENKUlT_T0_E_clISt17integral_constantIbLb1EESQ_EEDaSL_SM_EUlSL_E_NS1_11comp_targetILNS1_3genE5ELNS1_11target_archE942ELNS1_3gpuE9ELNS1_3repE0EEENS1_30default_config_static_selectorELNS0_4arch9wavefront6targetE0EEEvT1_
	.p2align	8
	.type	_ZN7rocprim17ROCPRIM_400000_NS6detail17trampoline_kernelINS0_14default_configENS1_20scan_config_selectorIlEEZZNS1_9scan_implILNS1_25lookback_scan_determinismE0ELb0ELb0ES3_PlS8_lN6thrust23THRUST_200600_302600_NS4plusIvEElEEDaPvRmT3_T4_T5_mT6_P12ihipStream_tbENKUlT_T0_E_clISt17integral_constantIbLb1EESQ_EEDaSL_SM_EUlSL_E_NS1_11comp_targetILNS1_3genE5ELNS1_11target_archE942ELNS1_3gpuE9ELNS1_3repE0EEENS1_30default_config_static_selectorELNS0_4arch9wavefront6targetE0EEEvT1_,@function
_ZN7rocprim17ROCPRIM_400000_NS6detail17trampoline_kernelINS0_14default_configENS1_20scan_config_selectorIlEEZZNS1_9scan_implILNS1_25lookback_scan_determinismE0ELb0ELb0ES3_PlS8_lN6thrust23THRUST_200600_302600_NS4plusIvEElEEDaPvRmT3_T4_T5_mT6_P12ihipStream_tbENKUlT_T0_E_clISt17integral_constantIbLb1EESQ_EEDaSL_SM_EUlSL_E_NS1_11comp_targetILNS1_3genE5ELNS1_11target_archE942ELNS1_3gpuE9ELNS1_3repE0EEENS1_30default_config_static_selectorELNS0_4arch9wavefront6targetE0EEEvT1_: ; @_ZN7rocprim17ROCPRIM_400000_NS6detail17trampoline_kernelINS0_14default_configENS1_20scan_config_selectorIlEEZZNS1_9scan_implILNS1_25lookback_scan_determinismE0ELb0ELb0ES3_PlS8_lN6thrust23THRUST_200600_302600_NS4plusIvEElEEDaPvRmT3_T4_T5_mT6_P12ihipStream_tbENKUlT_T0_E_clISt17integral_constantIbLb1EESQ_EEDaSL_SM_EUlSL_E_NS1_11comp_targetILNS1_3genE5ELNS1_11target_archE942ELNS1_3gpuE9ELNS1_3repE0EEENS1_30default_config_static_selectorELNS0_4arch9wavefront6targetE0EEEvT1_
; %bb.0:
	.section	.rodata,"a",@progbits
	.p2align	6, 0x0
	.amdhsa_kernel _ZN7rocprim17ROCPRIM_400000_NS6detail17trampoline_kernelINS0_14default_configENS1_20scan_config_selectorIlEEZZNS1_9scan_implILNS1_25lookback_scan_determinismE0ELb0ELb0ES3_PlS8_lN6thrust23THRUST_200600_302600_NS4plusIvEElEEDaPvRmT3_T4_T5_mT6_P12ihipStream_tbENKUlT_T0_E_clISt17integral_constantIbLb1EESQ_EEDaSL_SM_EUlSL_E_NS1_11comp_targetILNS1_3genE5ELNS1_11target_archE942ELNS1_3gpuE9ELNS1_3repE0EEENS1_30default_config_static_selectorELNS0_4arch9wavefront6targetE0EEEvT1_
		.amdhsa_group_segment_fixed_size 0
		.amdhsa_private_segment_fixed_size 0
		.amdhsa_kernarg_size 104
		.amdhsa_user_sgpr_count 15
		.amdhsa_user_sgpr_dispatch_ptr 0
		.amdhsa_user_sgpr_queue_ptr 0
		.amdhsa_user_sgpr_kernarg_segment_ptr 1
		.amdhsa_user_sgpr_dispatch_id 0
		.amdhsa_user_sgpr_private_segment_size 0
		.amdhsa_wavefront_size32 1
		.amdhsa_uses_dynamic_stack 0
		.amdhsa_enable_private_segment 0
		.amdhsa_system_sgpr_workgroup_id_x 1
		.amdhsa_system_sgpr_workgroup_id_y 0
		.amdhsa_system_sgpr_workgroup_id_z 0
		.amdhsa_system_sgpr_workgroup_info 0
		.amdhsa_system_vgpr_workitem_id 0
		.amdhsa_next_free_vgpr 1
		.amdhsa_next_free_sgpr 1
		.amdhsa_reserve_vcc 0
		.amdhsa_float_round_mode_32 0
		.amdhsa_float_round_mode_16_64 0
		.amdhsa_float_denorm_mode_32 3
		.amdhsa_float_denorm_mode_16_64 3
		.amdhsa_dx10_clamp 1
		.amdhsa_ieee_mode 1
		.amdhsa_fp16_overflow 0
		.amdhsa_workgroup_processor_mode 1
		.amdhsa_memory_ordered 1
		.amdhsa_forward_progress 0
		.amdhsa_shared_vgpr_count 0
		.amdhsa_exception_fp_ieee_invalid_op 0
		.amdhsa_exception_fp_denorm_src 0
		.amdhsa_exception_fp_ieee_div_zero 0
		.amdhsa_exception_fp_ieee_overflow 0
		.amdhsa_exception_fp_ieee_underflow 0
		.amdhsa_exception_fp_ieee_inexact 0
		.amdhsa_exception_int_div_zero 0
	.end_amdhsa_kernel
	.section	.text._ZN7rocprim17ROCPRIM_400000_NS6detail17trampoline_kernelINS0_14default_configENS1_20scan_config_selectorIlEEZZNS1_9scan_implILNS1_25lookback_scan_determinismE0ELb0ELb0ES3_PlS8_lN6thrust23THRUST_200600_302600_NS4plusIvEElEEDaPvRmT3_T4_T5_mT6_P12ihipStream_tbENKUlT_T0_E_clISt17integral_constantIbLb1EESQ_EEDaSL_SM_EUlSL_E_NS1_11comp_targetILNS1_3genE5ELNS1_11target_archE942ELNS1_3gpuE9ELNS1_3repE0EEENS1_30default_config_static_selectorELNS0_4arch9wavefront6targetE0EEEvT1_,"axG",@progbits,_ZN7rocprim17ROCPRIM_400000_NS6detail17trampoline_kernelINS0_14default_configENS1_20scan_config_selectorIlEEZZNS1_9scan_implILNS1_25lookback_scan_determinismE0ELb0ELb0ES3_PlS8_lN6thrust23THRUST_200600_302600_NS4plusIvEElEEDaPvRmT3_T4_T5_mT6_P12ihipStream_tbENKUlT_T0_E_clISt17integral_constantIbLb1EESQ_EEDaSL_SM_EUlSL_E_NS1_11comp_targetILNS1_3genE5ELNS1_11target_archE942ELNS1_3gpuE9ELNS1_3repE0EEENS1_30default_config_static_selectorELNS0_4arch9wavefront6targetE0EEEvT1_,comdat
.Lfunc_end104:
	.size	_ZN7rocprim17ROCPRIM_400000_NS6detail17trampoline_kernelINS0_14default_configENS1_20scan_config_selectorIlEEZZNS1_9scan_implILNS1_25lookback_scan_determinismE0ELb0ELb0ES3_PlS8_lN6thrust23THRUST_200600_302600_NS4plusIvEElEEDaPvRmT3_T4_T5_mT6_P12ihipStream_tbENKUlT_T0_E_clISt17integral_constantIbLb1EESQ_EEDaSL_SM_EUlSL_E_NS1_11comp_targetILNS1_3genE5ELNS1_11target_archE942ELNS1_3gpuE9ELNS1_3repE0EEENS1_30default_config_static_selectorELNS0_4arch9wavefront6targetE0EEEvT1_, .Lfunc_end104-_ZN7rocprim17ROCPRIM_400000_NS6detail17trampoline_kernelINS0_14default_configENS1_20scan_config_selectorIlEEZZNS1_9scan_implILNS1_25lookback_scan_determinismE0ELb0ELb0ES3_PlS8_lN6thrust23THRUST_200600_302600_NS4plusIvEElEEDaPvRmT3_T4_T5_mT6_P12ihipStream_tbENKUlT_T0_E_clISt17integral_constantIbLb1EESQ_EEDaSL_SM_EUlSL_E_NS1_11comp_targetILNS1_3genE5ELNS1_11target_archE942ELNS1_3gpuE9ELNS1_3repE0EEENS1_30default_config_static_selectorELNS0_4arch9wavefront6targetE0EEEvT1_
                                        ; -- End function
	.section	.AMDGPU.csdata,"",@progbits
; Kernel info:
; codeLenInByte = 0
; NumSgprs: 0
; NumVgprs: 0
; ScratchSize: 0
; MemoryBound: 0
; FloatMode: 240
; IeeeMode: 1
; LDSByteSize: 0 bytes/workgroup (compile time only)
; SGPRBlocks: 0
; VGPRBlocks: 0
; NumSGPRsForWavesPerEU: 1
; NumVGPRsForWavesPerEU: 1
; Occupancy: 16
; WaveLimiterHint : 0
; COMPUTE_PGM_RSRC2:SCRATCH_EN: 0
; COMPUTE_PGM_RSRC2:USER_SGPR: 15
; COMPUTE_PGM_RSRC2:TRAP_HANDLER: 0
; COMPUTE_PGM_RSRC2:TGID_X_EN: 1
; COMPUTE_PGM_RSRC2:TGID_Y_EN: 0
; COMPUTE_PGM_RSRC2:TGID_Z_EN: 0
; COMPUTE_PGM_RSRC2:TIDIG_COMP_CNT: 0
	.section	.text._ZN7rocprim17ROCPRIM_400000_NS6detail17trampoline_kernelINS0_14default_configENS1_20scan_config_selectorIlEEZZNS1_9scan_implILNS1_25lookback_scan_determinismE0ELb0ELb0ES3_PlS8_lN6thrust23THRUST_200600_302600_NS4plusIvEElEEDaPvRmT3_T4_T5_mT6_P12ihipStream_tbENKUlT_T0_E_clISt17integral_constantIbLb1EESQ_EEDaSL_SM_EUlSL_E_NS1_11comp_targetILNS1_3genE4ELNS1_11target_archE910ELNS1_3gpuE8ELNS1_3repE0EEENS1_30default_config_static_selectorELNS0_4arch9wavefront6targetE0EEEvT1_,"axG",@progbits,_ZN7rocprim17ROCPRIM_400000_NS6detail17trampoline_kernelINS0_14default_configENS1_20scan_config_selectorIlEEZZNS1_9scan_implILNS1_25lookback_scan_determinismE0ELb0ELb0ES3_PlS8_lN6thrust23THRUST_200600_302600_NS4plusIvEElEEDaPvRmT3_T4_T5_mT6_P12ihipStream_tbENKUlT_T0_E_clISt17integral_constantIbLb1EESQ_EEDaSL_SM_EUlSL_E_NS1_11comp_targetILNS1_3genE4ELNS1_11target_archE910ELNS1_3gpuE8ELNS1_3repE0EEENS1_30default_config_static_selectorELNS0_4arch9wavefront6targetE0EEEvT1_,comdat
	.protected	_ZN7rocprim17ROCPRIM_400000_NS6detail17trampoline_kernelINS0_14default_configENS1_20scan_config_selectorIlEEZZNS1_9scan_implILNS1_25lookback_scan_determinismE0ELb0ELb0ES3_PlS8_lN6thrust23THRUST_200600_302600_NS4plusIvEElEEDaPvRmT3_T4_T5_mT6_P12ihipStream_tbENKUlT_T0_E_clISt17integral_constantIbLb1EESQ_EEDaSL_SM_EUlSL_E_NS1_11comp_targetILNS1_3genE4ELNS1_11target_archE910ELNS1_3gpuE8ELNS1_3repE0EEENS1_30default_config_static_selectorELNS0_4arch9wavefront6targetE0EEEvT1_ ; -- Begin function _ZN7rocprim17ROCPRIM_400000_NS6detail17trampoline_kernelINS0_14default_configENS1_20scan_config_selectorIlEEZZNS1_9scan_implILNS1_25lookback_scan_determinismE0ELb0ELb0ES3_PlS8_lN6thrust23THRUST_200600_302600_NS4plusIvEElEEDaPvRmT3_T4_T5_mT6_P12ihipStream_tbENKUlT_T0_E_clISt17integral_constantIbLb1EESQ_EEDaSL_SM_EUlSL_E_NS1_11comp_targetILNS1_3genE4ELNS1_11target_archE910ELNS1_3gpuE8ELNS1_3repE0EEENS1_30default_config_static_selectorELNS0_4arch9wavefront6targetE0EEEvT1_
	.globl	_ZN7rocprim17ROCPRIM_400000_NS6detail17trampoline_kernelINS0_14default_configENS1_20scan_config_selectorIlEEZZNS1_9scan_implILNS1_25lookback_scan_determinismE0ELb0ELb0ES3_PlS8_lN6thrust23THRUST_200600_302600_NS4plusIvEElEEDaPvRmT3_T4_T5_mT6_P12ihipStream_tbENKUlT_T0_E_clISt17integral_constantIbLb1EESQ_EEDaSL_SM_EUlSL_E_NS1_11comp_targetILNS1_3genE4ELNS1_11target_archE910ELNS1_3gpuE8ELNS1_3repE0EEENS1_30default_config_static_selectorELNS0_4arch9wavefront6targetE0EEEvT1_
	.p2align	8
	.type	_ZN7rocprim17ROCPRIM_400000_NS6detail17trampoline_kernelINS0_14default_configENS1_20scan_config_selectorIlEEZZNS1_9scan_implILNS1_25lookback_scan_determinismE0ELb0ELb0ES3_PlS8_lN6thrust23THRUST_200600_302600_NS4plusIvEElEEDaPvRmT3_T4_T5_mT6_P12ihipStream_tbENKUlT_T0_E_clISt17integral_constantIbLb1EESQ_EEDaSL_SM_EUlSL_E_NS1_11comp_targetILNS1_3genE4ELNS1_11target_archE910ELNS1_3gpuE8ELNS1_3repE0EEENS1_30default_config_static_selectorELNS0_4arch9wavefront6targetE0EEEvT1_,@function
_ZN7rocprim17ROCPRIM_400000_NS6detail17trampoline_kernelINS0_14default_configENS1_20scan_config_selectorIlEEZZNS1_9scan_implILNS1_25lookback_scan_determinismE0ELb0ELb0ES3_PlS8_lN6thrust23THRUST_200600_302600_NS4plusIvEElEEDaPvRmT3_T4_T5_mT6_P12ihipStream_tbENKUlT_T0_E_clISt17integral_constantIbLb1EESQ_EEDaSL_SM_EUlSL_E_NS1_11comp_targetILNS1_3genE4ELNS1_11target_archE910ELNS1_3gpuE8ELNS1_3repE0EEENS1_30default_config_static_selectorELNS0_4arch9wavefront6targetE0EEEvT1_: ; @_ZN7rocprim17ROCPRIM_400000_NS6detail17trampoline_kernelINS0_14default_configENS1_20scan_config_selectorIlEEZZNS1_9scan_implILNS1_25lookback_scan_determinismE0ELb0ELb0ES3_PlS8_lN6thrust23THRUST_200600_302600_NS4plusIvEElEEDaPvRmT3_T4_T5_mT6_P12ihipStream_tbENKUlT_T0_E_clISt17integral_constantIbLb1EESQ_EEDaSL_SM_EUlSL_E_NS1_11comp_targetILNS1_3genE4ELNS1_11target_archE910ELNS1_3gpuE8ELNS1_3repE0EEENS1_30default_config_static_selectorELNS0_4arch9wavefront6targetE0EEEvT1_
; %bb.0:
	.section	.rodata,"a",@progbits
	.p2align	6, 0x0
	.amdhsa_kernel _ZN7rocprim17ROCPRIM_400000_NS6detail17trampoline_kernelINS0_14default_configENS1_20scan_config_selectorIlEEZZNS1_9scan_implILNS1_25lookback_scan_determinismE0ELb0ELb0ES3_PlS8_lN6thrust23THRUST_200600_302600_NS4plusIvEElEEDaPvRmT3_T4_T5_mT6_P12ihipStream_tbENKUlT_T0_E_clISt17integral_constantIbLb1EESQ_EEDaSL_SM_EUlSL_E_NS1_11comp_targetILNS1_3genE4ELNS1_11target_archE910ELNS1_3gpuE8ELNS1_3repE0EEENS1_30default_config_static_selectorELNS0_4arch9wavefront6targetE0EEEvT1_
		.amdhsa_group_segment_fixed_size 0
		.amdhsa_private_segment_fixed_size 0
		.amdhsa_kernarg_size 104
		.amdhsa_user_sgpr_count 15
		.amdhsa_user_sgpr_dispatch_ptr 0
		.amdhsa_user_sgpr_queue_ptr 0
		.amdhsa_user_sgpr_kernarg_segment_ptr 1
		.amdhsa_user_sgpr_dispatch_id 0
		.amdhsa_user_sgpr_private_segment_size 0
		.amdhsa_wavefront_size32 1
		.amdhsa_uses_dynamic_stack 0
		.amdhsa_enable_private_segment 0
		.amdhsa_system_sgpr_workgroup_id_x 1
		.amdhsa_system_sgpr_workgroup_id_y 0
		.amdhsa_system_sgpr_workgroup_id_z 0
		.amdhsa_system_sgpr_workgroup_info 0
		.amdhsa_system_vgpr_workitem_id 0
		.amdhsa_next_free_vgpr 1
		.amdhsa_next_free_sgpr 1
		.amdhsa_reserve_vcc 0
		.amdhsa_float_round_mode_32 0
		.amdhsa_float_round_mode_16_64 0
		.amdhsa_float_denorm_mode_32 3
		.amdhsa_float_denorm_mode_16_64 3
		.amdhsa_dx10_clamp 1
		.amdhsa_ieee_mode 1
		.amdhsa_fp16_overflow 0
		.amdhsa_workgroup_processor_mode 1
		.amdhsa_memory_ordered 1
		.amdhsa_forward_progress 0
		.amdhsa_shared_vgpr_count 0
		.amdhsa_exception_fp_ieee_invalid_op 0
		.amdhsa_exception_fp_denorm_src 0
		.amdhsa_exception_fp_ieee_div_zero 0
		.amdhsa_exception_fp_ieee_overflow 0
		.amdhsa_exception_fp_ieee_underflow 0
		.amdhsa_exception_fp_ieee_inexact 0
		.amdhsa_exception_int_div_zero 0
	.end_amdhsa_kernel
	.section	.text._ZN7rocprim17ROCPRIM_400000_NS6detail17trampoline_kernelINS0_14default_configENS1_20scan_config_selectorIlEEZZNS1_9scan_implILNS1_25lookback_scan_determinismE0ELb0ELb0ES3_PlS8_lN6thrust23THRUST_200600_302600_NS4plusIvEElEEDaPvRmT3_T4_T5_mT6_P12ihipStream_tbENKUlT_T0_E_clISt17integral_constantIbLb1EESQ_EEDaSL_SM_EUlSL_E_NS1_11comp_targetILNS1_3genE4ELNS1_11target_archE910ELNS1_3gpuE8ELNS1_3repE0EEENS1_30default_config_static_selectorELNS0_4arch9wavefront6targetE0EEEvT1_,"axG",@progbits,_ZN7rocprim17ROCPRIM_400000_NS6detail17trampoline_kernelINS0_14default_configENS1_20scan_config_selectorIlEEZZNS1_9scan_implILNS1_25lookback_scan_determinismE0ELb0ELb0ES3_PlS8_lN6thrust23THRUST_200600_302600_NS4plusIvEElEEDaPvRmT3_T4_T5_mT6_P12ihipStream_tbENKUlT_T0_E_clISt17integral_constantIbLb1EESQ_EEDaSL_SM_EUlSL_E_NS1_11comp_targetILNS1_3genE4ELNS1_11target_archE910ELNS1_3gpuE8ELNS1_3repE0EEENS1_30default_config_static_selectorELNS0_4arch9wavefront6targetE0EEEvT1_,comdat
.Lfunc_end105:
	.size	_ZN7rocprim17ROCPRIM_400000_NS6detail17trampoline_kernelINS0_14default_configENS1_20scan_config_selectorIlEEZZNS1_9scan_implILNS1_25lookback_scan_determinismE0ELb0ELb0ES3_PlS8_lN6thrust23THRUST_200600_302600_NS4plusIvEElEEDaPvRmT3_T4_T5_mT6_P12ihipStream_tbENKUlT_T0_E_clISt17integral_constantIbLb1EESQ_EEDaSL_SM_EUlSL_E_NS1_11comp_targetILNS1_3genE4ELNS1_11target_archE910ELNS1_3gpuE8ELNS1_3repE0EEENS1_30default_config_static_selectorELNS0_4arch9wavefront6targetE0EEEvT1_, .Lfunc_end105-_ZN7rocprim17ROCPRIM_400000_NS6detail17trampoline_kernelINS0_14default_configENS1_20scan_config_selectorIlEEZZNS1_9scan_implILNS1_25lookback_scan_determinismE0ELb0ELb0ES3_PlS8_lN6thrust23THRUST_200600_302600_NS4plusIvEElEEDaPvRmT3_T4_T5_mT6_P12ihipStream_tbENKUlT_T0_E_clISt17integral_constantIbLb1EESQ_EEDaSL_SM_EUlSL_E_NS1_11comp_targetILNS1_3genE4ELNS1_11target_archE910ELNS1_3gpuE8ELNS1_3repE0EEENS1_30default_config_static_selectorELNS0_4arch9wavefront6targetE0EEEvT1_
                                        ; -- End function
	.section	.AMDGPU.csdata,"",@progbits
; Kernel info:
; codeLenInByte = 0
; NumSgprs: 0
; NumVgprs: 0
; ScratchSize: 0
; MemoryBound: 0
; FloatMode: 240
; IeeeMode: 1
; LDSByteSize: 0 bytes/workgroup (compile time only)
; SGPRBlocks: 0
; VGPRBlocks: 0
; NumSGPRsForWavesPerEU: 1
; NumVGPRsForWavesPerEU: 1
; Occupancy: 16
; WaveLimiterHint : 0
; COMPUTE_PGM_RSRC2:SCRATCH_EN: 0
; COMPUTE_PGM_RSRC2:USER_SGPR: 15
; COMPUTE_PGM_RSRC2:TRAP_HANDLER: 0
; COMPUTE_PGM_RSRC2:TGID_X_EN: 1
; COMPUTE_PGM_RSRC2:TGID_Y_EN: 0
; COMPUTE_PGM_RSRC2:TGID_Z_EN: 0
; COMPUTE_PGM_RSRC2:TIDIG_COMP_CNT: 0
	.section	.text._ZN7rocprim17ROCPRIM_400000_NS6detail17trampoline_kernelINS0_14default_configENS1_20scan_config_selectorIlEEZZNS1_9scan_implILNS1_25lookback_scan_determinismE0ELb0ELb0ES3_PlS8_lN6thrust23THRUST_200600_302600_NS4plusIvEElEEDaPvRmT3_T4_T5_mT6_P12ihipStream_tbENKUlT_T0_E_clISt17integral_constantIbLb1EESQ_EEDaSL_SM_EUlSL_E_NS1_11comp_targetILNS1_3genE3ELNS1_11target_archE908ELNS1_3gpuE7ELNS1_3repE0EEENS1_30default_config_static_selectorELNS0_4arch9wavefront6targetE0EEEvT1_,"axG",@progbits,_ZN7rocprim17ROCPRIM_400000_NS6detail17trampoline_kernelINS0_14default_configENS1_20scan_config_selectorIlEEZZNS1_9scan_implILNS1_25lookback_scan_determinismE0ELb0ELb0ES3_PlS8_lN6thrust23THRUST_200600_302600_NS4plusIvEElEEDaPvRmT3_T4_T5_mT6_P12ihipStream_tbENKUlT_T0_E_clISt17integral_constantIbLb1EESQ_EEDaSL_SM_EUlSL_E_NS1_11comp_targetILNS1_3genE3ELNS1_11target_archE908ELNS1_3gpuE7ELNS1_3repE0EEENS1_30default_config_static_selectorELNS0_4arch9wavefront6targetE0EEEvT1_,comdat
	.protected	_ZN7rocprim17ROCPRIM_400000_NS6detail17trampoline_kernelINS0_14default_configENS1_20scan_config_selectorIlEEZZNS1_9scan_implILNS1_25lookback_scan_determinismE0ELb0ELb0ES3_PlS8_lN6thrust23THRUST_200600_302600_NS4plusIvEElEEDaPvRmT3_T4_T5_mT6_P12ihipStream_tbENKUlT_T0_E_clISt17integral_constantIbLb1EESQ_EEDaSL_SM_EUlSL_E_NS1_11comp_targetILNS1_3genE3ELNS1_11target_archE908ELNS1_3gpuE7ELNS1_3repE0EEENS1_30default_config_static_selectorELNS0_4arch9wavefront6targetE0EEEvT1_ ; -- Begin function _ZN7rocprim17ROCPRIM_400000_NS6detail17trampoline_kernelINS0_14default_configENS1_20scan_config_selectorIlEEZZNS1_9scan_implILNS1_25lookback_scan_determinismE0ELb0ELb0ES3_PlS8_lN6thrust23THRUST_200600_302600_NS4plusIvEElEEDaPvRmT3_T4_T5_mT6_P12ihipStream_tbENKUlT_T0_E_clISt17integral_constantIbLb1EESQ_EEDaSL_SM_EUlSL_E_NS1_11comp_targetILNS1_3genE3ELNS1_11target_archE908ELNS1_3gpuE7ELNS1_3repE0EEENS1_30default_config_static_selectorELNS0_4arch9wavefront6targetE0EEEvT1_
	.globl	_ZN7rocprim17ROCPRIM_400000_NS6detail17trampoline_kernelINS0_14default_configENS1_20scan_config_selectorIlEEZZNS1_9scan_implILNS1_25lookback_scan_determinismE0ELb0ELb0ES3_PlS8_lN6thrust23THRUST_200600_302600_NS4plusIvEElEEDaPvRmT3_T4_T5_mT6_P12ihipStream_tbENKUlT_T0_E_clISt17integral_constantIbLb1EESQ_EEDaSL_SM_EUlSL_E_NS1_11comp_targetILNS1_3genE3ELNS1_11target_archE908ELNS1_3gpuE7ELNS1_3repE0EEENS1_30default_config_static_selectorELNS0_4arch9wavefront6targetE0EEEvT1_
	.p2align	8
	.type	_ZN7rocprim17ROCPRIM_400000_NS6detail17trampoline_kernelINS0_14default_configENS1_20scan_config_selectorIlEEZZNS1_9scan_implILNS1_25lookback_scan_determinismE0ELb0ELb0ES3_PlS8_lN6thrust23THRUST_200600_302600_NS4plusIvEElEEDaPvRmT3_T4_T5_mT6_P12ihipStream_tbENKUlT_T0_E_clISt17integral_constantIbLb1EESQ_EEDaSL_SM_EUlSL_E_NS1_11comp_targetILNS1_3genE3ELNS1_11target_archE908ELNS1_3gpuE7ELNS1_3repE0EEENS1_30default_config_static_selectorELNS0_4arch9wavefront6targetE0EEEvT1_,@function
_ZN7rocprim17ROCPRIM_400000_NS6detail17trampoline_kernelINS0_14default_configENS1_20scan_config_selectorIlEEZZNS1_9scan_implILNS1_25lookback_scan_determinismE0ELb0ELb0ES3_PlS8_lN6thrust23THRUST_200600_302600_NS4plusIvEElEEDaPvRmT3_T4_T5_mT6_P12ihipStream_tbENKUlT_T0_E_clISt17integral_constantIbLb1EESQ_EEDaSL_SM_EUlSL_E_NS1_11comp_targetILNS1_3genE3ELNS1_11target_archE908ELNS1_3gpuE7ELNS1_3repE0EEENS1_30default_config_static_selectorELNS0_4arch9wavefront6targetE0EEEvT1_: ; @_ZN7rocprim17ROCPRIM_400000_NS6detail17trampoline_kernelINS0_14default_configENS1_20scan_config_selectorIlEEZZNS1_9scan_implILNS1_25lookback_scan_determinismE0ELb0ELb0ES3_PlS8_lN6thrust23THRUST_200600_302600_NS4plusIvEElEEDaPvRmT3_T4_T5_mT6_P12ihipStream_tbENKUlT_T0_E_clISt17integral_constantIbLb1EESQ_EEDaSL_SM_EUlSL_E_NS1_11comp_targetILNS1_3genE3ELNS1_11target_archE908ELNS1_3gpuE7ELNS1_3repE0EEENS1_30default_config_static_selectorELNS0_4arch9wavefront6targetE0EEEvT1_
; %bb.0:
	.section	.rodata,"a",@progbits
	.p2align	6, 0x0
	.amdhsa_kernel _ZN7rocprim17ROCPRIM_400000_NS6detail17trampoline_kernelINS0_14default_configENS1_20scan_config_selectorIlEEZZNS1_9scan_implILNS1_25lookback_scan_determinismE0ELb0ELb0ES3_PlS8_lN6thrust23THRUST_200600_302600_NS4plusIvEElEEDaPvRmT3_T4_T5_mT6_P12ihipStream_tbENKUlT_T0_E_clISt17integral_constantIbLb1EESQ_EEDaSL_SM_EUlSL_E_NS1_11comp_targetILNS1_3genE3ELNS1_11target_archE908ELNS1_3gpuE7ELNS1_3repE0EEENS1_30default_config_static_selectorELNS0_4arch9wavefront6targetE0EEEvT1_
		.amdhsa_group_segment_fixed_size 0
		.amdhsa_private_segment_fixed_size 0
		.amdhsa_kernarg_size 104
		.amdhsa_user_sgpr_count 15
		.amdhsa_user_sgpr_dispatch_ptr 0
		.amdhsa_user_sgpr_queue_ptr 0
		.amdhsa_user_sgpr_kernarg_segment_ptr 1
		.amdhsa_user_sgpr_dispatch_id 0
		.amdhsa_user_sgpr_private_segment_size 0
		.amdhsa_wavefront_size32 1
		.amdhsa_uses_dynamic_stack 0
		.amdhsa_enable_private_segment 0
		.amdhsa_system_sgpr_workgroup_id_x 1
		.amdhsa_system_sgpr_workgroup_id_y 0
		.amdhsa_system_sgpr_workgroup_id_z 0
		.amdhsa_system_sgpr_workgroup_info 0
		.amdhsa_system_vgpr_workitem_id 0
		.amdhsa_next_free_vgpr 1
		.amdhsa_next_free_sgpr 1
		.amdhsa_reserve_vcc 0
		.amdhsa_float_round_mode_32 0
		.amdhsa_float_round_mode_16_64 0
		.amdhsa_float_denorm_mode_32 3
		.amdhsa_float_denorm_mode_16_64 3
		.amdhsa_dx10_clamp 1
		.amdhsa_ieee_mode 1
		.amdhsa_fp16_overflow 0
		.amdhsa_workgroup_processor_mode 1
		.amdhsa_memory_ordered 1
		.amdhsa_forward_progress 0
		.amdhsa_shared_vgpr_count 0
		.amdhsa_exception_fp_ieee_invalid_op 0
		.amdhsa_exception_fp_denorm_src 0
		.amdhsa_exception_fp_ieee_div_zero 0
		.amdhsa_exception_fp_ieee_overflow 0
		.amdhsa_exception_fp_ieee_underflow 0
		.amdhsa_exception_fp_ieee_inexact 0
		.amdhsa_exception_int_div_zero 0
	.end_amdhsa_kernel
	.section	.text._ZN7rocprim17ROCPRIM_400000_NS6detail17trampoline_kernelINS0_14default_configENS1_20scan_config_selectorIlEEZZNS1_9scan_implILNS1_25lookback_scan_determinismE0ELb0ELb0ES3_PlS8_lN6thrust23THRUST_200600_302600_NS4plusIvEElEEDaPvRmT3_T4_T5_mT6_P12ihipStream_tbENKUlT_T0_E_clISt17integral_constantIbLb1EESQ_EEDaSL_SM_EUlSL_E_NS1_11comp_targetILNS1_3genE3ELNS1_11target_archE908ELNS1_3gpuE7ELNS1_3repE0EEENS1_30default_config_static_selectorELNS0_4arch9wavefront6targetE0EEEvT1_,"axG",@progbits,_ZN7rocprim17ROCPRIM_400000_NS6detail17trampoline_kernelINS0_14default_configENS1_20scan_config_selectorIlEEZZNS1_9scan_implILNS1_25lookback_scan_determinismE0ELb0ELb0ES3_PlS8_lN6thrust23THRUST_200600_302600_NS4plusIvEElEEDaPvRmT3_T4_T5_mT6_P12ihipStream_tbENKUlT_T0_E_clISt17integral_constantIbLb1EESQ_EEDaSL_SM_EUlSL_E_NS1_11comp_targetILNS1_3genE3ELNS1_11target_archE908ELNS1_3gpuE7ELNS1_3repE0EEENS1_30default_config_static_selectorELNS0_4arch9wavefront6targetE0EEEvT1_,comdat
.Lfunc_end106:
	.size	_ZN7rocprim17ROCPRIM_400000_NS6detail17trampoline_kernelINS0_14default_configENS1_20scan_config_selectorIlEEZZNS1_9scan_implILNS1_25lookback_scan_determinismE0ELb0ELb0ES3_PlS8_lN6thrust23THRUST_200600_302600_NS4plusIvEElEEDaPvRmT3_T4_T5_mT6_P12ihipStream_tbENKUlT_T0_E_clISt17integral_constantIbLb1EESQ_EEDaSL_SM_EUlSL_E_NS1_11comp_targetILNS1_3genE3ELNS1_11target_archE908ELNS1_3gpuE7ELNS1_3repE0EEENS1_30default_config_static_selectorELNS0_4arch9wavefront6targetE0EEEvT1_, .Lfunc_end106-_ZN7rocprim17ROCPRIM_400000_NS6detail17trampoline_kernelINS0_14default_configENS1_20scan_config_selectorIlEEZZNS1_9scan_implILNS1_25lookback_scan_determinismE0ELb0ELb0ES3_PlS8_lN6thrust23THRUST_200600_302600_NS4plusIvEElEEDaPvRmT3_T4_T5_mT6_P12ihipStream_tbENKUlT_T0_E_clISt17integral_constantIbLb1EESQ_EEDaSL_SM_EUlSL_E_NS1_11comp_targetILNS1_3genE3ELNS1_11target_archE908ELNS1_3gpuE7ELNS1_3repE0EEENS1_30default_config_static_selectorELNS0_4arch9wavefront6targetE0EEEvT1_
                                        ; -- End function
	.section	.AMDGPU.csdata,"",@progbits
; Kernel info:
; codeLenInByte = 0
; NumSgprs: 0
; NumVgprs: 0
; ScratchSize: 0
; MemoryBound: 0
; FloatMode: 240
; IeeeMode: 1
; LDSByteSize: 0 bytes/workgroup (compile time only)
; SGPRBlocks: 0
; VGPRBlocks: 0
; NumSGPRsForWavesPerEU: 1
; NumVGPRsForWavesPerEU: 1
; Occupancy: 16
; WaveLimiterHint : 0
; COMPUTE_PGM_RSRC2:SCRATCH_EN: 0
; COMPUTE_PGM_RSRC2:USER_SGPR: 15
; COMPUTE_PGM_RSRC2:TRAP_HANDLER: 0
; COMPUTE_PGM_RSRC2:TGID_X_EN: 1
; COMPUTE_PGM_RSRC2:TGID_Y_EN: 0
; COMPUTE_PGM_RSRC2:TGID_Z_EN: 0
; COMPUTE_PGM_RSRC2:TIDIG_COMP_CNT: 0
	.section	.text._ZN7rocprim17ROCPRIM_400000_NS6detail17trampoline_kernelINS0_14default_configENS1_20scan_config_selectorIlEEZZNS1_9scan_implILNS1_25lookback_scan_determinismE0ELb0ELb0ES3_PlS8_lN6thrust23THRUST_200600_302600_NS4plusIvEElEEDaPvRmT3_T4_T5_mT6_P12ihipStream_tbENKUlT_T0_E_clISt17integral_constantIbLb1EESQ_EEDaSL_SM_EUlSL_E_NS1_11comp_targetILNS1_3genE2ELNS1_11target_archE906ELNS1_3gpuE6ELNS1_3repE0EEENS1_30default_config_static_selectorELNS0_4arch9wavefront6targetE0EEEvT1_,"axG",@progbits,_ZN7rocprim17ROCPRIM_400000_NS6detail17trampoline_kernelINS0_14default_configENS1_20scan_config_selectorIlEEZZNS1_9scan_implILNS1_25lookback_scan_determinismE0ELb0ELb0ES3_PlS8_lN6thrust23THRUST_200600_302600_NS4plusIvEElEEDaPvRmT3_T4_T5_mT6_P12ihipStream_tbENKUlT_T0_E_clISt17integral_constantIbLb1EESQ_EEDaSL_SM_EUlSL_E_NS1_11comp_targetILNS1_3genE2ELNS1_11target_archE906ELNS1_3gpuE6ELNS1_3repE0EEENS1_30default_config_static_selectorELNS0_4arch9wavefront6targetE0EEEvT1_,comdat
	.protected	_ZN7rocprim17ROCPRIM_400000_NS6detail17trampoline_kernelINS0_14default_configENS1_20scan_config_selectorIlEEZZNS1_9scan_implILNS1_25lookback_scan_determinismE0ELb0ELb0ES3_PlS8_lN6thrust23THRUST_200600_302600_NS4plusIvEElEEDaPvRmT3_T4_T5_mT6_P12ihipStream_tbENKUlT_T0_E_clISt17integral_constantIbLb1EESQ_EEDaSL_SM_EUlSL_E_NS1_11comp_targetILNS1_3genE2ELNS1_11target_archE906ELNS1_3gpuE6ELNS1_3repE0EEENS1_30default_config_static_selectorELNS0_4arch9wavefront6targetE0EEEvT1_ ; -- Begin function _ZN7rocprim17ROCPRIM_400000_NS6detail17trampoline_kernelINS0_14default_configENS1_20scan_config_selectorIlEEZZNS1_9scan_implILNS1_25lookback_scan_determinismE0ELb0ELb0ES3_PlS8_lN6thrust23THRUST_200600_302600_NS4plusIvEElEEDaPvRmT3_T4_T5_mT6_P12ihipStream_tbENKUlT_T0_E_clISt17integral_constantIbLb1EESQ_EEDaSL_SM_EUlSL_E_NS1_11comp_targetILNS1_3genE2ELNS1_11target_archE906ELNS1_3gpuE6ELNS1_3repE0EEENS1_30default_config_static_selectorELNS0_4arch9wavefront6targetE0EEEvT1_
	.globl	_ZN7rocprim17ROCPRIM_400000_NS6detail17trampoline_kernelINS0_14default_configENS1_20scan_config_selectorIlEEZZNS1_9scan_implILNS1_25lookback_scan_determinismE0ELb0ELb0ES3_PlS8_lN6thrust23THRUST_200600_302600_NS4plusIvEElEEDaPvRmT3_T4_T5_mT6_P12ihipStream_tbENKUlT_T0_E_clISt17integral_constantIbLb1EESQ_EEDaSL_SM_EUlSL_E_NS1_11comp_targetILNS1_3genE2ELNS1_11target_archE906ELNS1_3gpuE6ELNS1_3repE0EEENS1_30default_config_static_selectorELNS0_4arch9wavefront6targetE0EEEvT1_
	.p2align	8
	.type	_ZN7rocprim17ROCPRIM_400000_NS6detail17trampoline_kernelINS0_14default_configENS1_20scan_config_selectorIlEEZZNS1_9scan_implILNS1_25lookback_scan_determinismE0ELb0ELb0ES3_PlS8_lN6thrust23THRUST_200600_302600_NS4plusIvEElEEDaPvRmT3_T4_T5_mT6_P12ihipStream_tbENKUlT_T0_E_clISt17integral_constantIbLb1EESQ_EEDaSL_SM_EUlSL_E_NS1_11comp_targetILNS1_3genE2ELNS1_11target_archE906ELNS1_3gpuE6ELNS1_3repE0EEENS1_30default_config_static_selectorELNS0_4arch9wavefront6targetE0EEEvT1_,@function
_ZN7rocprim17ROCPRIM_400000_NS6detail17trampoline_kernelINS0_14default_configENS1_20scan_config_selectorIlEEZZNS1_9scan_implILNS1_25lookback_scan_determinismE0ELb0ELb0ES3_PlS8_lN6thrust23THRUST_200600_302600_NS4plusIvEElEEDaPvRmT3_T4_T5_mT6_P12ihipStream_tbENKUlT_T0_E_clISt17integral_constantIbLb1EESQ_EEDaSL_SM_EUlSL_E_NS1_11comp_targetILNS1_3genE2ELNS1_11target_archE906ELNS1_3gpuE6ELNS1_3repE0EEENS1_30default_config_static_selectorELNS0_4arch9wavefront6targetE0EEEvT1_: ; @_ZN7rocprim17ROCPRIM_400000_NS6detail17trampoline_kernelINS0_14default_configENS1_20scan_config_selectorIlEEZZNS1_9scan_implILNS1_25lookback_scan_determinismE0ELb0ELb0ES3_PlS8_lN6thrust23THRUST_200600_302600_NS4plusIvEElEEDaPvRmT3_T4_T5_mT6_P12ihipStream_tbENKUlT_T0_E_clISt17integral_constantIbLb1EESQ_EEDaSL_SM_EUlSL_E_NS1_11comp_targetILNS1_3genE2ELNS1_11target_archE906ELNS1_3gpuE6ELNS1_3repE0EEENS1_30default_config_static_selectorELNS0_4arch9wavefront6targetE0EEEvT1_
; %bb.0:
	.section	.rodata,"a",@progbits
	.p2align	6, 0x0
	.amdhsa_kernel _ZN7rocprim17ROCPRIM_400000_NS6detail17trampoline_kernelINS0_14default_configENS1_20scan_config_selectorIlEEZZNS1_9scan_implILNS1_25lookback_scan_determinismE0ELb0ELb0ES3_PlS8_lN6thrust23THRUST_200600_302600_NS4plusIvEElEEDaPvRmT3_T4_T5_mT6_P12ihipStream_tbENKUlT_T0_E_clISt17integral_constantIbLb1EESQ_EEDaSL_SM_EUlSL_E_NS1_11comp_targetILNS1_3genE2ELNS1_11target_archE906ELNS1_3gpuE6ELNS1_3repE0EEENS1_30default_config_static_selectorELNS0_4arch9wavefront6targetE0EEEvT1_
		.amdhsa_group_segment_fixed_size 0
		.amdhsa_private_segment_fixed_size 0
		.amdhsa_kernarg_size 104
		.amdhsa_user_sgpr_count 15
		.amdhsa_user_sgpr_dispatch_ptr 0
		.amdhsa_user_sgpr_queue_ptr 0
		.amdhsa_user_sgpr_kernarg_segment_ptr 1
		.amdhsa_user_sgpr_dispatch_id 0
		.amdhsa_user_sgpr_private_segment_size 0
		.amdhsa_wavefront_size32 1
		.amdhsa_uses_dynamic_stack 0
		.amdhsa_enable_private_segment 0
		.amdhsa_system_sgpr_workgroup_id_x 1
		.amdhsa_system_sgpr_workgroup_id_y 0
		.amdhsa_system_sgpr_workgroup_id_z 0
		.amdhsa_system_sgpr_workgroup_info 0
		.amdhsa_system_vgpr_workitem_id 0
		.amdhsa_next_free_vgpr 1
		.amdhsa_next_free_sgpr 1
		.amdhsa_reserve_vcc 0
		.amdhsa_float_round_mode_32 0
		.amdhsa_float_round_mode_16_64 0
		.amdhsa_float_denorm_mode_32 3
		.amdhsa_float_denorm_mode_16_64 3
		.amdhsa_dx10_clamp 1
		.amdhsa_ieee_mode 1
		.amdhsa_fp16_overflow 0
		.amdhsa_workgroup_processor_mode 1
		.amdhsa_memory_ordered 1
		.amdhsa_forward_progress 0
		.amdhsa_shared_vgpr_count 0
		.amdhsa_exception_fp_ieee_invalid_op 0
		.amdhsa_exception_fp_denorm_src 0
		.amdhsa_exception_fp_ieee_div_zero 0
		.amdhsa_exception_fp_ieee_overflow 0
		.amdhsa_exception_fp_ieee_underflow 0
		.amdhsa_exception_fp_ieee_inexact 0
		.amdhsa_exception_int_div_zero 0
	.end_amdhsa_kernel
	.section	.text._ZN7rocprim17ROCPRIM_400000_NS6detail17trampoline_kernelINS0_14default_configENS1_20scan_config_selectorIlEEZZNS1_9scan_implILNS1_25lookback_scan_determinismE0ELb0ELb0ES3_PlS8_lN6thrust23THRUST_200600_302600_NS4plusIvEElEEDaPvRmT3_T4_T5_mT6_P12ihipStream_tbENKUlT_T0_E_clISt17integral_constantIbLb1EESQ_EEDaSL_SM_EUlSL_E_NS1_11comp_targetILNS1_3genE2ELNS1_11target_archE906ELNS1_3gpuE6ELNS1_3repE0EEENS1_30default_config_static_selectorELNS0_4arch9wavefront6targetE0EEEvT1_,"axG",@progbits,_ZN7rocprim17ROCPRIM_400000_NS6detail17trampoline_kernelINS0_14default_configENS1_20scan_config_selectorIlEEZZNS1_9scan_implILNS1_25lookback_scan_determinismE0ELb0ELb0ES3_PlS8_lN6thrust23THRUST_200600_302600_NS4plusIvEElEEDaPvRmT3_T4_T5_mT6_P12ihipStream_tbENKUlT_T0_E_clISt17integral_constantIbLb1EESQ_EEDaSL_SM_EUlSL_E_NS1_11comp_targetILNS1_3genE2ELNS1_11target_archE906ELNS1_3gpuE6ELNS1_3repE0EEENS1_30default_config_static_selectorELNS0_4arch9wavefront6targetE0EEEvT1_,comdat
.Lfunc_end107:
	.size	_ZN7rocprim17ROCPRIM_400000_NS6detail17trampoline_kernelINS0_14default_configENS1_20scan_config_selectorIlEEZZNS1_9scan_implILNS1_25lookback_scan_determinismE0ELb0ELb0ES3_PlS8_lN6thrust23THRUST_200600_302600_NS4plusIvEElEEDaPvRmT3_T4_T5_mT6_P12ihipStream_tbENKUlT_T0_E_clISt17integral_constantIbLb1EESQ_EEDaSL_SM_EUlSL_E_NS1_11comp_targetILNS1_3genE2ELNS1_11target_archE906ELNS1_3gpuE6ELNS1_3repE0EEENS1_30default_config_static_selectorELNS0_4arch9wavefront6targetE0EEEvT1_, .Lfunc_end107-_ZN7rocprim17ROCPRIM_400000_NS6detail17trampoline_kernelINS0_14default_configENS1_20scan_config_selectorIlEEZZNS1_9scan_implILNS1_25lookback_scan_determinismE0ELb0ELb0ES3_PlS8_lN6thrust23THRUST_200600_302600_NS4plusIvEElEEDaPvRmT3_T4_T5_mT6_P12ihipStream_tbENKUlT_T0_E_clISt17integral_constantIbLb1EESQ_EEDaSL_SM_EUlSL_E_NS1_11comp_targetILNS1_3genE2ELNS1_11target_archE906ELNS1_3gpuE6ELNS1_3repE0EEENS1_30default_config_static_selectorELNS0_4arch9wavefront6targetE0EEEvT1_
                                        ; -- End function
	.section	.AMDGPU.csdata,"",@progbits
; Kernel info:
; codeLenInByte = 0
; NumSgprs: 0
; NumVgprs: 0
; ScratchSize: 0
; MemoryBound: 0
; FloatMode: 240
; IeeeMode: 1
; LDSByteSize: 0 bytes/workgroup (compile time only)
; SGPRBlocks: 0
; VGPRBlocks: 0
; NumSGPRsForWavesPerEU: 1
; NumVGPRsForWavesPerEU: 1
; Occupancy: 16
; WaveLimiterHint : 0
; COMPUTE_PGM_RSRC2:SCRATCH_EN: 0
; COMPUTE_PGM_RSRC2:USER_SGPR: 15
; COMPUTE_PGM_RSRC2:TRAP_HANDLER: 0
; COMPUTE_PGM_RSRC2:TGID_X_EN: 1
; COMPUTE_PGM_RSRC2:TGID_Y_EN: 0
; COMPUTE_PGM_RSRC2:TGID_Z_EN: 0
; COMPUTE_PGM_RSRC2:TIDIG_COMP_CNT: 0
	.section	.text._ZN7rocprim17ROCPRIM_400000_NS6detail17trampoline_kernelINS0_14default_configENS1_20scan_config_selectorIlEEZZNS1_9scan_implILNS1_25lookback_scan_determinismE0ELb0ELb0ES3_PlS8_lN6thrust23THRUST_200600_302600_NS4plusIvEElEEDaPvRmT3_T4_T5_mT6_P12ihipStream_tbENKUlT_T0_E_clISt17integral_constantIbLb1EESQ_EEDaSL_SM_EUlSL_E_NS1_11comp_targetILNS1_3genE10ELNS1_11target_archE1201ELNS1_3gpuE5ELNS1_3repE0EEENS1_30default_config_static_selectorELNS0_4arch9wavefront6targetE0EEEvT1_,"axG",@progbits,_ZN7rocprim17ROCPRIM_400000_NS6detail17trampoline_kernelINS0_14default_configENS1_20scan_config_selectorIlEEZZNS1_9scan_implILNS1_25lookback_scan_determinismE0ELb0ELb0ES3_PlS8_lN6thrust23THRUST_200600_302600_NS4plusIvEElEEDaPvRmT3_T4_T5_mT6_P12ihipStream_tbENKUlT_T0_E_clISt17integral_constantIbLb1EESQ_EEDaSL_SM_EUlSL_E_NS1_11comp_targetILNS1_3genE10ELNS1_11target_archE1201ELNS1_3gpuE5ELNS1_3repE0EEENS1_30default_config_static_selectorELNS0_4arch9wavefront6targetE0EEEvT1_,comdat
	.protected	_ZN7rocprim17ROCPRIM_400000_NS6detail17trampoline_kernelINS0_14default_configENS1_20scan_config_selectorIlEEZZNS1_9scan_implILNS1_25lookback_scan_determinismE0ELb0ELb0ES3_PlS8_lN6thrust23THRUST_200600_302600_NS4plusIvEElEEDaPvRmT3_T4_T5_mT6_P12ihipStream_tbENKUlT_T0_E_clISt17integral_constantIbLb1EESQ_EEDaSL_SM_EUlSL_E_NS1_11comp_targetILNS1_3genE10ELNS1_11target_archE1201ELNS1_3gpuE5ELNS1_3repE0EEENS1_30default_config_static_selectorELNS0_4arch9wavefront6targetE0EEEvT1_ ; -- Begin function _ZN7rocprim17ROCPRIM_400000_NS6detail17trampoline_kernelINS0_14default_configENS1_20scan_config_selectorIlEEZZNS1_9scan_implILNS1_25lookback_scan_determinismE0ELb0ELb0ES3_PlS8_lN6thrust23THRUST_200600_302600_NS4plusIvEElEEDaPvRmT3_T4_T5_mT6_P12ihipStream_tbENKUlT_T0_E_clISt17integral_constantIbLb1EESQ_EEDaSL_SM_EUlSL_E_NS1_11comp_targetILNS1_3genE10ELNS1_11target_archE1201ELNS1_3gpuE5ELNS1_3repE0EEENS1_30default_config_static_selectorELNS0_4arch9wavefront6targetE0EEEvT1_
	.globl	_ZN7rocprim17ROCPRIM_400000_NS6detail17trampoline_kernelINS0_14default_configENS1_20scan_config_selectorIlEEZZNS1_9scan_implILNS1_25lookback_scan_determinismE0ELb0ELb0ES3_PlS8_lN6thrust23THRUST_200600_302600_NS4plusIvEElEEDaPvRmT3_T4_T5_mT6_P12ihipStream_tbENKUlT_T0_E_clISt17integral_constantIbLb1EESQ_EEDaSL_SM_EUlSL_E_NS1_11comp_targetILNS1_3genE10ELNS1_11target_archE1201ELNS1_3gpuE5ELNS1_3repE0EEENS1_30default_config_static_selectorELNS0_4arch9wavefront6targetE0EEEvT1_
	.p2align	8
	.type	_ZN7rocprim17ROCPRIM_400000_NS6detail17trampoline_kernelINS0_14default_configENS1_20scan_config_selectorIlEEZZNS1_9scan_implILNS1_25lookback_scan_determinismE0ELb0ELb0ES3_PlS8_lN6thrust23THRUST_200600_302600_NS4plusIvEElEEDaPvRmT3_T4_T5_mT6_P12ihipStream_tbENKUlT_T0_E_clISt17integral_constantIbLb1EESQ_EEDaSL_SM_EUlSL_E_NS1_11comp_targetILNS1_3genE10ELNS1_11target_archE1201ELNS1_3gpuE5ELNS1_3repE0EEENS1_30default_config_static_selectorELNS0_4arch9wavefront6targetE0EEEvT1_,@function
_ZN7rocprim17ROCPRIM_400000_NS6detail17trampoline_kernelINS0_14default_configENS1_20scan_config_selectorIlEEZZNS1_9scan_implILNS1_25lookback_scan_determinismE0ELb0ELb0ES3_PlS8_lN6thrust23THRUST_200600_302600_NS4plusIvEElEEDaPvRmT3_T4_T5_mT6_P12ihipStream_tbENKUlT_T0_E_clISt17integral_constantIbLb1EESQ_EEDaSL_SM_EUlSL_E_NS1_11comp_targetILNS1_3genE10ELNS1_11target_archE1201ELNS1_3gpuE5ELNS1_3repE0EEENS1_30default_config_static_selectorELNS0_4arch9wavefront6targetE0EEEvT1_: ; @_ZN7rocprim17ROCPRIM_400000_NS6detail17trampoline_kernelINS0_14default_configENS1_20scan_config_selectorIlEEZZNS1_9scan_implILNS1_25lookback_scan_determinismE0ELb0ELb0ES3_PlS8_lN6thrust23THRUST_200600_302600_NS4plusIvEElEEDaPvRmT3_T4_T5_mT6_P12ihipStream_tbENKUlT_T0_E_clISt17integral_constantIbLb1EESQ_EEDaSL_SM_EUlSL_E_NS1_11comp_targetILNS1_3genE10ELNS1_11target_archE1201ELNS1_3gpuE5ELNS1_3repE0EEENS1_30default_config_static_selectorELNS0_4arch9wavefront6targetE0EEEvT1_
; %bb.0:
	.section	.rodata,"a",@progbits
	.p2align	6, 0x0
	.amdhsa_kernel _ZN7rocprim17ROCPRIM_400000_NS6detail17trampoline_kernelINS0_14default_configENS1_20scan_config_selectorIlEEZZNS1_9scan_implILNS1_25lookback_scan_determinismE0ELb0ELb0ES3_PlS8_lN6thrust23THRUST_200600_302600_NS4plusIvEElEEDaPvRmT3_T4_T5_mT6_P12ihipStream_tbENKUlT_T0_E_clISt17integral_constantIbLb1EESQ_EEDaSL_SM_EUlSL_E_NS1_11comp_targetILNS1_3genE10ELNS1_11target_archE1201ELNS1_3gpuE5ELNS1_3repE0EEENS1_30default_config_static_selectorELNS0_4arch9wavefront6targetE0EEEvT1_
		.amdhsa_group_segment_fixed_size 0
		.amdhsa_private_segment_fixed_size 0
		.amdhsa_kernarg_size 104
		.amdhsa_user_sgpr_count 15
		.amdhsa_user_sgpr_dispatch_ptr 0
		.amdhsa_user_sgpr_queue_ptr 0
		.amdhsa_user_sgpr_kernarg_segment_ptr 1
		.amdhsa_user_sgpr_dispatch_id 0
		.amdhsa_user_sgpr_private_segment_size 0
		.amdhsa_wavefront_size32 1
		.amdhsa_uses_dynamic_stack 0
		.amdhsa_enable_private_segment 0
		.amdhsa_system_sgpr_workgroup_id_x 1
		.amdhsa_system_sgpr_workgroup_id_y 0
		.amdhsa_system_sgpr_workgroup_id_z 0
		.amdhsa_system_sgpr_workgroup_info 0
		.amdhsa_system_vgpr_workitem_id 0
		.amdhsa_next_free_vgpr 1
		.amdhsa_next_free_sgpr 1
		.amdhsa_reserve_vcc 0
		.amdhsa_float_round_mode_32 0
		.amdhsa_float_round_mode_16_64 0
		.amdhsa_float_denorm_mode_32 3
		.amdhsa_float_denorm_mode_16_64 3
		.amdhsa_dx10_clamp 1
		.amdhsa_ieee_mode 1
		.amdhsa_fp16_overflow 0
		.amdhsa_workgroup_processor_mode 1
		.amdhsa_memory_ordered 1
		.amdhsa_forward_progress 0
		.amdhsa_shared_vgpr_count 0
		.amdhsa_exception_fp_ieee_invalid_op 0
		.amdhsa_exception_fp_denorm_src 0
		.amdhsa_exception_fp_ieee_div_zero 0
		.amdhsa_exception_fp_ieee_overflow 0
		.amdhsa_exception_fp_ieee_underflow 0
		.amdhsa_exception_fp_ieee_inexact 0
		.amdhsa_exception_int_div_zero 0
	.end_amdhsa_kernel
	.section	.text._ZN7rocprim17ROCPRIM_400000_NS6detail17trampoline_kernelINS0_14default_configENS1_20scan_config_selectorIlEEZZNS1_9scan_implILNS1_25lookback_scan_determinismE0ELb0ELb0ES3_PlS8_lN6thrust23THRUST_200600_302600_NS4plusIvEElEEDaPvRmT3_T4_T5_mT6_P12ihipStream_tbENKUlT_T0_E_clISt17integral_constantIbLb1EESQ_EEDaSL_SM_EUlSL_E_NS1_11comp_targetILNS1_3genE10ELNS1_11target_archE1201ELNS1_3gpuE5ELNS1_3repE0EEENS1_30default_config_static_selectorELNS0_4arch9wavefront6targetE0EEEvT1_,"axG",@progbits,_ZN7rocprim17ROCPRIM_400000_NS6detail17trampoline_kernelINS0_14default_configENS1_20scan_config_selectorIlEEZZNS1_9scan_implILNS1_25lookback_scan_determinismE0ELb0ELb0ES3_PlS8_lN6thrust23THRUST_200600_302600_NS4plusIvEElEEDaPvRmT3_T4_T5_mT6_P12ihipStream_tbENKUlT_T0_E_clISt17integral_constantIbLb1EESQ_EEDaSL_SM_EUlSL_E_NS1_11comp_targetILNS1_3genE10ELNS1_11target_archE1201ELNS1_3gpuE5ELNS1_3repE0EEENS1_30default_config_static_selectorELNS0_4arch9wavefront6targetE0EEEvT1_,comdat
.Lfunc_end108:
	.size	_ZN7rocprim17ROCPRIM_400000_NS6detail17trampoline_kernelINS0_14default_configENS1_20scan_config_selectorIlEEZZNS1_9scan_implILNS1_25lookback_scan_determinismE0ELb0ELb0ES3_PlS8_lN6thrust23THRUST_200600_302600_NS4plusIvEElEEDaPvRmT3_T4_T5_mT6_P12ihipStream_tbENKUlT_T0_E_clISt17integral_constantIbLb1EESQ_EEDaSL_SM_EUlSL_E_NS1_11comp_targetILNS1_3genE10ELNS1_11target_archE1201ELNS1_3gpuE5ELNS1_3repE0EEENS1_30default_config_static_selectorELNS0_4arch9wavefront6targetE0EEEvT1_, .Lfunc_end108-_ZN7rocprim17ROCPRIM_400000_NS6detail17trampoline_kernelINS0_14default_configENS1_20scan_config_selectorIlEEZZNS1_9scan_implILNS1_25lookback_scan_determinismE0ELb0ELb0ES3_PlS8_lN6thrust23THRUST_200600_302600_NS4plusIvEElEEDaPvRmT3_T4_T5_mT6_P12ihipStream_tbENKUlT_T0_E_clISt17integral_constantIbLb1EESQ_EEDaSL_SM_EUlSL_E_NS1_11comp_targetILNS1_3genE10ELNS1_11target_archE1201ELNS1_3gpuE5ELNS1_3repE0EEENS1_30default_config_static_selectorELNS0_4arch9wavefront6targetE0EEEvT1_
                                        ; -- End function
	.section	.AMDGPU.csdata,"",@progbits
; Kernel info:
; codeLenInByte = 0
; NumSgprs: 0
; NumVgprs: 0
; ScratchSize: 0
; MemoryBound: 0
; FloatMode: 240
; IeeeMode: 1
; LDSByteSize: 0 bytes/workgroup (compile time only)
; SGPRBlocks: 0
; VGPRBlocks: 0
; NumSGPRsForWavesPerEU: 1
; NumVGPRsForWavesPerEU: 1
; Occupancy: 16
; WaveLimiterHint : 0
; COMPUTE_PGM_RSRC2:SCRATCH_EN: 0
; COMPUTE_PGM_RSRC2:USER_SGPR: 15
; COMPUTE_PGM_RSRC2:TRAP_HANDLER: 0
; COMPUTE_PGM_RSRC2:TGID_X_EN: 1
; COMPUTE_PGM_RSRC2:TGID_Y_EN: 0
; COMPUTE_PGM_RSRC2:TGID_Z_EN: 0
; COMPUTE_PGM_RSRC2:TIDIG_COMP_CNT: 0
	.section	.text._ZN7rocprim17ROCPRIM_400000_NS6detail17trampoline_kernelINS0_14default_configENS1_20scan_config_selectorIlEEZZNS1_9scan_implILNS1_25lookback_scan_determinismE0ELb0ELb0ES3_PlS8_lN6thrust23THRUST_200600_302600_NS4plusIvEElEEDaPvRmT3_T4_T5_mT6_P12ihipStream_tbENKUlT_T0_E_clISt17integral_constantIbLb1EESQ_EEDaSL_SM_EUlSL_E_NS1_11comp_targetILNS1_3genE10ELNS1_11target_archE1200ELNS1_3gpuE4ELNS1_3repE0EEENS1_30default_config_static_selectorELNS0_4arch9wavefront6targetE0EEEvT1_,"axG",@progbits,_ZN7rocprim17ROCPRIM_400000_NS6detail17trampoline_kernelINS0_14default_configENS1_20scan_config_selectorIlEEZZNS1_9scan_implILNS1_25lookback_scan_determinismE0ELb0ELb0ES3_PlS8_lN6thrust23THRUST_200600_302600_NS4plusIvEElEEDaPvRmT3_T4_T5_mT6_P12ihipStream_tbENKUlT_T0_E_clISt17integral_constantIbLb1EESQ_EEDaSL_SM_EUlSL_E_NS1_11comp_targetILNS1_3genE10ELNS1_11target_archE1200ELNS1_3gpuE4ELNS1_3repE0EEENS1_30default_config_static_selectorELNS0_4arch9wavefront6targetE0EEEvT1_,comdat
	.protected	_ZN7rocprim17ROCPRIM_400000_NS6detail17trampoline_kernelINS0_14default_configENS1_20scan_config_selectorIlEEZZNS1_9scan_implILNS1_25lookback_scan_determinismE0ELb0ELb0ES3_PlS8_lN6thrust23THRUST_200600_302600_NS4plusIvEElEEDaPvRmT3_T4_T5_mT6_P12ihipStream_tbENKUlT_T0_E_clISt17integral_constantIbLb1EESQ_EEDaSL_SM_EUlSL_E_NS1_11comp_targetILNS1_3genE10ELNS1_11target_archE1200ELNS1_3gpuE4ELNS1_3repE0EEENS1_30default_config_static_selectorELNS0_4arch9wavefront6targetE0EEEvT1_ ; -- Begin function _ZN7rocprim17ROCPRIM_400000_NS6detail17trampoline_kernelINS0_14default_configENS1_20scan_config_selectorIlEEZZNS1_9scan_implILNS1_25lookback_scan_determinismE0ELb0ELb0ES3_PlS8_lN6thrust23THRUST_200600_302600_NS4plusIvEElEEDaPvRmT3_T4_T5_mT6_P12ihipStream_tbENKUlT_T0_E_clISt17integral_constantIbLb1EESQ_EEDaSL_SM_EUlSL_E_NS1_11comp_targetILNS1_3genE10ELNS1_11target_archE1200ELNS1_3gpuE4ELNS1_3repE0EEENS1_30default_config_static_selectorELNS0_4arch9wavefront6targetE0EEEvT1_
	.globl	_ZN7rocprim17ROCPRIM_400000_NS6detail17trampoline_kernelINS0_14default_configENS1_20scan_config_selectorIlEEZZNS1_9scan_implILNS1_25lookback_scan_determinismE0ELb0ELb0ES3_PlS8_lN6thrust23THRUST_200600_302600_NS4plusIvEElEEDaPvRmT3_T4_T5_mT6_P12ihipStream_tbENKUlT_T0_E_clISt17integral_constantIbLb1EESQ_EEDaSL_SM_EUlSL_E_NS1_11comp_targetILNS1_3genE10ELNS1_11target_archE1200ELNS1_3gpuE4ELNS1_3repE0EEENS1_30default_config_static_selectorELNS0_4arch9wavefront6targetE0EEEvT1_
	.p2align	8
	.type	_ZN7rocprim17ROCPRIM_400000_NS6detail17trampoline_kernelINS0_14default_configENS1_20scan_config_selectorIlEEZZNS1_9scan_implILNS1_25lookback_scan_determinismE0ELb0ELb0ES3_PlS8_lN6thrust23THRUST_200600_302600_NS4plusIvEElEEDaPvRmT3_T4_T5_mT6_P12ihipStream_tbENKUlT_T0_E_clISt17integral_constantIbLb1EESQ_EEDaSL_SM_EUlSL_E_NS1_11comp_targetILNS1_3genE10ELNS1_11target_archE1200ELNS1_3gpuE4ELNS1_3repE0EEENS1_30default_config_static_selectorELNS0_4arch9wavefront6targetE0EEEvT1_,@function
_ZN7rocprim17ROCPRIM_400000_NS6detail17trampoline_kernelINS0_14default_configENS1_20scan_config_selectorIlEEZZNS1_9scan_implILNS1_25lookback_scan_determinismE0ELb0ELb0ES3_PlS8_lN6thrust23THRUST_200600_302600_NS4plusIvEElEEDaPvRmT3_T4_T5_mT6_P12ihipStream_tbENKUlT_T0_E_clISt17integral_constantIbLb1EESQ_EEDaSL_SM_EUlSL_E_NS1_11comp_targetILNS1_3genE10ELNS1_11target_archE1200ELNS1_3gpuE4ELNS1_3repE0EEENS1_30default_config_static_selectorELNS0_4arch9wavefront6targetE0EEEvT1_: ; @_ZN7rocprim17ROCPRIM_400000_NS6detail17trampoline_kernelINS0_14default_configENS1_20scan_config_selectorIlEEZZNS1_9scan_implILNS1_25lookback_scan_determinismE0ELb0ELb0ES3_PlS8_lN6thrust23THRUST_200600_302600_NS4plusIvEElEEDaPvRmT3_T4_T5_mT6_P12ihipStream_tbENKUlT_T0_E_clISt17integral_constantIbLb1EESQ_EEDaSL_SM_EUlSL_E_NS1_11comp_targetILNS1_3genE10ELNS1_11target_archE1200ELNS1_3gpuE4ELNS1_3repE0EEENS1_30default_config_static_selectorELNS0_4arch9wavefront6targetE0EEEvT1_
; %bb.0:
	.section	.rodata,"a",@progbits
	.p2align	6, 0x0
	.amdhsa_kernel _ZN7rocprim17ROCPRIM_400000_NS6detail17trampoline_kernelINS0_14default_configENS1_20scan_config_selectorIlEEZZNS1_9scan_implILNS1_25lookback_scan_determinismE0ELb0ELb0ES3_PlS8_lN6thrust23THRUST_200600_302600_NS4plusIvEElEEDaPvRmT3_T4_T5_mT6_P12ihipStream_tbENKUlT_T0_E_clISt17integral_constantIbLb1EESQ_EEDaSL_SM_EUlSL_E_NS1_11comp_targetILNS1_3genE10ELNS1_11target_archE1200ELNS1_3gpuE4ELNS1_3repE0EEENS1_30default_config_static_selectorELNS0_4arch9wavefront6targetE0EEEvT1_
		.amdhsa_group_segment_fixed_size 0
		.amdhsa_private_segment_fixed_size 0
		.amdhsa_kernarg_size 104
		.amdhsa_user_sgpr_count 15
		.amdhsa_user_sgpr_dispatch_ptr 0
		.amdhsa_user_sgpr_queue_ptr 0
		.amdhsa_user_sgpr_kernarg_segment_ptr 1
		.amdhsa_user_sgpr_dispatch_id 0
		.amdhsa_user_sgpr_private_segment_size 0
		.amdhsa_wavefront_size32 1
		.amdhsa_uses_dynamic_stack 0
		.amdhsa_enable_private_segment 0
		.amdhsa_system_sgpr_workgroup_id_x 1
		.amdhsa_system_sgpr_workgroup_id_y 0
		.amdhsa_system_sgpr_workgroup_id_z 0
		.amdhsa_system_sgpr_workgroup_info 0
		.amdhsa_system_vgpr_workitem_id 0
		.amdhsa_next_free_vgpr 1
		.amdhsa_next_free_sgpr 1
		.amdhsa_reserve_vcc 0
		.amdhsa_float_round_mode_32 0
		.amdhsa_float_round_mode_16_64 0
		.amdhsa_float_denorm_mode_32 3
		.amdhsa_float_denorm_mode_16_64 3
		.amdhsa_dx10_clamp 1
		.amdhsa_ieee_mode 1
		.amdhsa_fp16_overflow 0
		.amdhsa_workgroup_processor_mode 1
		.amdhsa_memory_ordered 1
		.amdhsa_forward_progress 0
		.amdhsa_shared_vgpr_count 0
		.amdhsa_exception_fp_ieee_invalid_op 0
		.amdhsa_exception_fp_denorm_src 0
		.amdhsa_exception_fp_ieee_div_zero 0
		.amdhsa_exception_fp_ieee_overflow 0
		.amdhsa_exception_fp_ieee_underflow 0
		.amdhsa_exception_fp_ieee_inexact 0
		.amdhsa_exception_int_div_zero 0
	.end_amdhsa_kernel
	.section	.text._ZN7rocprim17ROCPRIM_400000_NS6detail17trampoline_kernelINS0_14default_configENS1_20scan_config_selectorIlEEZZNS1_9scan_implILNS1_25lookback_scan_determinismE0ELb0ELb0ES3_PlS8_lN6thrust23THRUST_200600_302600_NS4plusIvEElEEDaPvRmT3_T4_T5_mT6_P12ihipStream_tbENKUlT_T0_E_clISt17integral_constantIbLb1EESQ_EEDaSL_SM_EUlSL_E_NS1_11comp_targetILNS1_3genE10ELNS1_11target_archE1200ELNS1_3gpuE4ELNS1_3repE0EEENS1_30default_config_static_selectorELNS0_4arch9wavefront6targetE0EEEvT1_,"axG",@progbits,_ZN7rocprim17ROCPRIM_400000_NS6detail17trampoline_kernelINS0_14default_configENS1_20scan_config_selectorIlEEZZNS1_9scan_implILNS1_25lookback_scan_determinismE0ELb0ELb0ES3_PlS8_lN6thrust23THRUST_200600_302600_NS4plusIvEElEEDaPvRmT3_T4_T5_mT6_P12ihipStream_tbENKUlT_T0_E_clISt17integral_constantIbLb1EESQ_EEDaSL_SM_EUlSL_E_NS1_11comp_targetILNS1_3genE10ELNS1_11target_archE1200ELNS1_3gpuE4ELNS1_3repE0EEENS1_30default_config_static_selectorELNS0_4arch9wavefront6targetE0EEEvT1_,comdat
.Lfunc_end109:
	.size	_ZN7rocprim17ROCPRIM_400000_NS6detail17trampoline_kernelINS0_14default_configENS1_20scan_config_selectorIlEEZZNS1_9scan_implILNS1_25lookback_scan_determinismE0ELb0ELb0ES3_PlS8_lN6thrust23THRUST_200600_302600_NS4plusIvEElEEDaPvRmT3_T4_T5_mT6_P12ihipStream_tbENKUlT_T0_E_clISt17integral_constantIbLb1EESQ_EEDaSL_SM_EUlSL_E_NS1_11comp_targetILNS1_3genE10ELNS1_11target_archE1200ELNS1_3gpuE4ELNS1_3repE0EEENS1_30default_config_static_selectorELNS0_4arch9wavefront6targetE0EEEvT1_, .Lfunc_end109-_ZN7rocprim17ROCPRIM_400000_NS6detail17trampoline_kernelINS0_14default_configENS1_20scan_config_selectorIlEEZZNS1_9scan_implILNS1_25lookback_scan_determinismE0ELb0ELb0ES3_PlS8_lN6thrust23THRUST_200600_302600_NS4plusIvEElEEDaPvRmT3_T4_T5_mT6_P12ihipStream_tbENKUlT_T0_E_clISt17integral_constantIbLb1EESQ_EEDaSL_SM_EUlSL_E_NS1_11comp_targetILNS1_3genE10ELNS1_11target_archE1200ELNS1_3gpuE4ELNS1_3repE0EEENS1_30default_config_static_selectorELNS0_4arch9wavefront6targetE0EEEvT1_
                                        ; -- End function
	.section	.AMDGPU.csdata,"",@progbits
; Kernel info:
; codeLenInByte = 0
; NumSgprs: 0
; NumVgprs: 0
; ScratchSize: 0
; MemoryBound: 0
; FloatMode: 240
; IeeeMode: 1
; LDSByteSize: 0 bytes/workgroup (compile time only)
; SGPRBlocks: 0
; VGPRBlocks: 0
; NumSGPRsForWavesPerEU: 1
; NumVGPRsForWavesPerEU: 1
; Occupancy: 16
; WaveLimiterHint : 0
; COMPUTE_PGM_RSRC2:SCRATCH_EN: 0
; COMPUTE_PGM_RSRC2:USER_SGPR: 15
; COMPUTE_PGM_RSRC2:TRAP_HANDLER: 0
; COMPUTE_PGM_RSRC2:TGID_X_EN: 1
; COMPUTE_PGM_RSRC2:TGID_Y_EN: 0
; COMPUTE_PGM_RSRC2:TGID_Z_EN: 0
; COMPUTE_PGM_RSRC2:TIDIG_COMP_CNT: 0
	.section	.text._ZN7rocprim17ROCPRIM_400000_NS6detail17trampoline_kernelINS0_14default_configENS1_20scan_config_selectorIlEEZZNS1_9scan_implILNS1_25lookback_scan_determinismE0ELb0ELb0ES3_PlS8_lN6thrust23THRUST_200600_302600_NS4plusIvEElEEDaPvRmT3_T4_T5_mT6_P12ihipStream_tbENKUlT_T0_E_clISt17integral_constantIbLb1EESQ_EEDaSL_SM_EUlSL_E_NS1_11comp_targetILNS1_3genE9ELNS1_11target_archE1100ELNS1_3gpuE3ELNS1_3repE0EEENS1_30default_config_static_selectorELNS0_4arch9wavefront6targetE0EEEvT1_,"axG",@progbits,_ZN7rocprim17ROCPRIM_400000_NS6detail17trampoline_kernelINS0_14default_configENS1_20scan_config_selectorIlEEZZNS1_9scan_implILNS1_25lookback_scan_determinismE0ELb0ELb0ES3_PlS8_lN6thrust23THRUST_200600_302600_NS4plusIvEElEEDaPvRmT3_T4_T5_mT6_P12ihipStream_tbENKUlT_T0_E_clISt17integral_constantIbLb1EESQ_EEDaSL_SM_EUlSL_E_NS1_11comp_targetILNS1_3genE9ELNS1_11target_archE1100ELNS1_3gpuE3ELNS1_3repE0EEENS1_30default_config_static_selectorELNS0_4arch9wavefront6targetE0EEEvT1_,comdat
	.protected	_ZN7rocprim17ROCPRIM_400000_NS6detail17trampoline_kernelINS0_14default_configENS1_20scan_config_selectorIlEEZZNS1_9scan_implILNS1_25lookback_scan_determinismE0ELb0ELb0ES3_PlS8_lN6thrust23THRUST_200600_302600_NS4plusIvEElEEDaPvRmT3_T4_T5_mT6_P12ihipStream_tbENKUlT_T0_E_clISt17integral_constantIbLb1EESQ_EEDaSL_SM_EUlSL_E_NS1_11comp_targetILNS1_3genE9ELNS1_11target_archE1100ELNS1_3gpuE3ELNS1_3repE0EEENS1_30default_config_static_selectorELNS0_4arch9wavefront6targetE0EEEvT1_ ; -- Begin function _ZN7rocprim17ROCPRIM_400000_NS6detail17trampoline_kernelINS0_14default_configENS1_20scan_config_selectorIlEEZZNS1_9scan_implILNS1_25lookback_scan_determinismE0ELb0ELb0ES3_PlS8_lN6thrust23THRUST_200600_302600_NS4plusIvEElEEDaPvRmT3_T4_T5_mT6_P12ihipStream_tbENKUlT_T0_E_clISt17integral_constantIbLb1EESQ_EEDaSL_SM_EUlSL_E_NS1_11comp_targetILNS1_3genE9ELNS1_11target_archE1100ELNS1_3gpuE3ELNS1_3repE0EEENS1_30default_config_static_selectorELNS0_4arch9wavefront6targetE0EEEvT1_
	.globl	_ZN7rocprim17ROCPRIM_400000_NS6detail17trampoline_kernelINS0_14default_configENS1_20scan_config_selectorIlEEZZNS1_9scan_implILNS1_25lookback_scan_determinismE0ELb0ELb0ES3_PlS8_lN6thrust23THRUST_200600_302600_NS4plusIvEElEEDaPvRmT3_T4_T5_mT6_P12ihipStream_tbENKUlT_T0_E_clISt17integral_constantIbLb1EESQ_EEDaSL_SM_EUlSL_E_NS1_11comp_targetILNS1_3genE9ELNS1_11target_archE1100ELNS1_3gpuE3ELNS1_3repE0EEENS1_30default_config_static_selectorELNS0_4arch9wavefront6targetE0EEEvT1_
	.p2align	8
	.type	_ZN7rocprim17ROCPRIM_400000_NS6detail17trampoline_kernelINS0_14default_configENS1_20scan_config_selectorIlEEZZNS1_9scan_implILNS1_25lookback_scan_determinismE0ELb0ELb0ES3_PlS8_lN6thrust23THRUST_200600_302600_NS4plusIvEElEEDaPvRmT3_T4_T5_mT6_P12ihipStream_tbENKUlT_T0_E_clISt17integral_constantIbLb1EESQ_EEDaSL_SM_EUlSL_E_NS1_11comp_targetILNS1_3genE9ELNS1_11target_archE1100ELNS1_3gpuE3ELNS1_3repE0EEENS1_30default_config_static_selectorELNS0_4arch9wavefront6targetE0EEEvT1_,@function
_ZN7rocprim17ROCPRIM_400000_NS6detail17trampoline_kernelINS0_14default_configENS1_20scan_config_selectorIlEEZZNS1_9scan_implILNS1_25lookback_scan_determinismE0ELb0ELb0ES3_PlS8_lN6thrust23THRUST_200600_302600_NS4plusIvEElEEDaPvRmT3_T4_T5_mT6_P12ihipStream_tbENKUlT_T0_E_clISt17integral_constantIbLb1EESQ_EEDaSL_SM_EUlSL_E_NS1_11comp_targetILNS1_3genE9ELNS1_11target_archE1100ELNS1_3gpuE3ELNS1_3repE0EEENS1_30default_config_static_selectorELNS0_4arch9wavefront6targetE0EEEvT1_: ; @_ZN7rocprim17ROCPRIM_400000_NS6detail17trampoline_kernelINS0_14default_configENS1_20scan_config_selectorIlEEZZNS1_9scan_implILNS1_25lookback_scan_determinismE0ELb0ELb0ES3_PlS8_lN6thrust23THRUST_200600_302600_NS4plusIvEElEEDaPvRmT3_T4_T5_mT6_P12ihipStream_tbENKUlT_T0_E_clISt17integral_constantIbLb1EESQ_EEDaSL_SM_EUlSL_E_NS1_11comp_targetILNS1_3genE9ELNS1_11target_archE1100ELNS1_3gpuE3ELNS1_3repE0EEENS1_30default_config_static_selectorELNS0_4arch9wavefront6targetE0EEEvT1_
; %bb.0:
	s_load_b64 s[20:21], s[0:1], 0x30
	v_cmp_ne_u32_e64 s2, 0, v0
	v_cmp_eq_u32_e64 s3, 0, v0
	s_delay_alu instid0(VALU_DEP_1)
	s_and_saveexec_b32 s4, s3
	s_cbranch_execz .LBB110_4
; %bb.1:
	s_mov_b32 s6, exec_lo
	s_mov_b32 s5, exec_lo
	v_mbcnt_lo_u32_b32 v1, s6, 0
                                        ; implicit-def: $vgpr2
	s_delay_alu instid0(VALU_DEP_1)
	v_cmpx_eq_u32_e32 0, v1
	s_cbranch_execz .LBB110_3
; %bb.2:
	s_load_b64 s[8:9], s[0:1], 0x60
	s_bcnt1_i32_b32 s6, s6
	s_delay_alu instid0(SALU_CYCLE_1)
	v_dual_mov_b32 v2, 0 :: v_dual_mov_b32 v3, s6
	s_waitcnt lgkmcnt(0)
	global_atomic_add_u32 v2, v2, v3, s[8:9] glc
.LBB110_3:
	s_or_b32 exec_lo, exec_lo, s5
	s_waitcnt vmcnt(0)
	v_readfirstlane_b32 s5, v2
	s_delay_alu instid0(VALU_DEP_1)
	v_dual_mov_b32 v2, 0 :: v_dual_add_nc_u32 v1, s5, v1
	ds_store_b32 v2, v1
.LBB110_4:
	s_or_b32 exec_lo, exec_lo, s4
	v_dual_mov_b32 v1, 0 :: v_dual_lshlrev_b32 v94, 3, v0
	s_clause 0x2
	s_load_b256 s[12:19], s[0:1], 0x0
	s_load_b32 s22, s[0:1], 0x38
	s_load_b256 s[4:11], s[0:1], 0x40
	s_waitcnt lgkmcnt(0)
	s_barrier
	buffer_gl0_inv
	ds_load_b32 v1, v1
	s_mov_b32 s27, 0
	v_lshrrev_b32_e32 v33, 2, v0
	v_or_b32_e32 v93, 0x100, v0
	v_or_b32_e32 v92, 0x200, v0
	;; [unrolled: 1-line block ×11, first 2 shown]
	s_lshl_b64 s[14:15], s[14:15], 3
	v_or_b32_e32 v83, 0xc00, v0
	s_add_u32 s1, s12, s14
	s_addc_u32 s25, s13, s15
	s_add_i32 s22, s22, -1
	v_or_b32_e32 v81, 0xd00, v0
	s_waitcnt lgkmcnt(0)
	v_readfirstlane_b32 s24, v1
	s_lshl_b32 s12, s22, 12
	v_cmp_ne_u32_e64 s0, s22, v1
	v_or_b32_e32 v80, 0xe00, v0
	v_or_b32_e32 v79, 0xf00, v0
	s_lshl_b32 s26, s24, 12
	s_sub_u32 s22, s18, s12
	s_subb_u32 s23, s19, 0
	s_lshl_b64 s[12:13], s[26:27], 3
	s_delay_alu instid0(SALU_CYCLE_1)
	s_add_u32 s18, s1, s12
	s_addc_u32 s19, s25, s13
	s_and_b32 vcc_lo, exec_lo, s0
	s_mov_b32 s25, -1
	s_barrier
	buffer_gl0_inv
	s_cbranch_vccz .LBB110_6
; %bb.5:
	v_add_co_u32 v27, s1, s18, v94
	s_delay_alu instid0(VALU_DEP_1)
	v_add_co_ci_u32_e64 v28, null, s19, 0, s1
	s_clause 0x1
	global_load_b64 v[1:2], v94, s[18:19]
	global_load_b64 v[3:4], v94, s[18:19] offset:2048
	v_add_co_u32 v5, vcc_lo, 0x1000, v27
	v_add_co_ci_u32_e32 v6, vcc_lo, 0, v28, vcc_lo
	v_add_co_u32 v7, vcc_lo, v27, 0x2000
	v_add_co_ci_u32_e32 v8, vcc_lo, 0, v28, vcc_lo
	;; [unrolled: 2-line block ×10, first 2 shown]
	s_clause 0xd
	global_load_b64 v[17:18], v[7:8], off offset:-4096
	global_load_b64 v[7:8], v[7:8], off
	global_load_b64 v[19:20], v[13:14], off offset:-4096
	global_load_b64 v[13:14], v[13:14], off
	global_load_b64 v[5:6], v[5:6], off offset:2048
	global_load_b64 v[9:10], v[9:10], off offset:2048
	;; [unrolled: 1-line block ×4, first 2 shown]
	global_load_b64 v[29:30], v[23:24], off offset:-4096
	global_load_b64 v[21:22], v[21:22], off offset:2048
	global_load_b64 v[23:24], v[23:24], off
	global_load_b64 v[25:26], v[25:26], off offset:2048
	global_load_b64 v[31:32], v[27:28], off
	global_load_b64 v[27:28], v[27:28], off offset:2048
	v_lshrrev_b32_e32 v35, 2, v93
	v_lshrrev_b32_e32 v36, 2, v92
	;; [unrolled: 1-line block ×4, first 2 shown]
	v_and_b32_e32 v34, 56, v33
	v_lshrrev_b32_e32 v39, 2, v89
	v_lshrrev_b32_e32 v40, 2, v88
	;; [unrolled: 1-line block ×11, first 2 shown]
	v_and_b32_e32 v35, 0x78, v35
	v_and_b32_e32 v36, 0xb8, v36
	;; [unrolled: 1-line block ×4, first 2 shown]
	v_add_nc_u32_e32 v34, v34, v94
	v_and_b32_e32 v39, 0x178, v39
	v_and_b32_e32 v40, 0x1b8, v40
	v_and_b32_e32 v41, 0x1f8, v41
	v_and_b32_e32 v42, 0x238, v42
	v_and_b32_e32 v43, 0x278, v43
	v_and_b32_e32 v44, 0x2b8, v44
	v_and_b32_e32 v45, 0x2f8, v45
	v_and_b32_e32 v46, 0x338, v46
	v_and_b32_e32 v47, 0x378, v47
	v_and_b32_e32 v48, 0x3b8, v48
	v_and_b32_e32 v49, 0x3f8, v49
	v_add_nc_u32_e32 v35, v35, v94
	v_add_nc_u32_e32 v36, v36, v94
	;; [unrolled: 1-line block ×4, first 2 shown]
	s_mov_b32 s25, 0
	v_add_nc_u32_e32 v39, v39, v94
	v_add_nc_u32_e32 v40, v40, v94
	v_add_nc_u32_e32 v41, v41, v94
	v_add_nc_u32_e32 v42, v42, v94
	v_add_nc_u32_e32 v43, v43, v94
	v_add_nc_u32_e32 v44, v44, v94
	v_add_nc_u32_e32 v45, v45, v94
	v_add_nc_u32_e32 v46, v46, v94
	v_add_nc_u32_e32 v47, v47, v94
	v_add_nc_u32_e32 v48, v48, v94
	v_add_nc_u32_e32 v49, v49, v94
	s_waitcnt vmcnt(15)
	ds_store_b64 v34, v[1:2]
	s_waitcnt vmcnt(14)
	ds_store_b64 v35, v[3:4] offset:2048
	s_waitcnt vmcnt(13)
	ds_store_b64 v36, v[17:18] offset:4096
	;; [unrolled: 2-line block ×3, first 2 shown]
	ds_store_b64 v38, v[7:8] offset:8192
	s_waitcnt vmcnt(8)
	ds_store_b64 v39, v[9:10] offset:10240
	ds_store_b64 v40, v[19:20] offset:12288
	s_waitcnt vmcnt(7)
	ds_store_b64 v41, v[11:12] offset:14336
	ds_store_b64 v42, v[13:14] offset:16384
	s_waitcnt vmcnt(6)
	ds_store_b64 v43, v[15:16] offset:18432
	s_waitcnt vmcnt(5)
	ds_store_b64 v44, v[29:30] offset:20480
	s_waitcnt vmcnt(4)
	ds_store_b64 v45, v[21:22] offset:22528
	;; [unrolled: 2-line block ×6, first 2 shown]
	s_waitcnt lgkmcnt(0)
	s_barrier
.LBB110_6:
	v_cmp_gt_u32_e64 s1, s22, v0
	s_and_not1_b32 vcc_lo, exec_lo, s25
	s_cbranch_vccnz .LBB110_25
; %bb.7:
	v_mov_b32_e32 v1, 0
	global_load_b64 v[25:26], v1, s[18:19]
	s_waitcnt vmcnt(0)
	v_dual_mov_b32 v28, v26 :: v_dual_mov_b32 v15, v25
	v_dual_mov_b32 v32, v26 :: v_dual_mov_b32 v27, v25
	;; [unrolled: 1-line block ×15, first 2 shown]
	s_and_saveexec_b32 s25, s1
	s_cbranch_execnz .LBB110_123
; %bb.8:
	s_or_b32 exec_lo, exec_lo, s25
	s_delay_alu instid0(SALU_CYCLE_1)
	s_mov_b32 s1, exec_lo
	v_cmpx_gt_u32_e64 s22, v93
	s_cbranch_execnz .LBB110_124
.LBB110_9:
	s_or_b32 exec_lo, exec_lo, s1
	s_delay_alu instid0(SALU_CYCLE_1)
	s_mov_b32 s1, exec_lo
	v_cmpx_gt_u32_e64 s22, v92
	s_cbranch_execnz .LBB110_125
.LBB110_10:
	s_or_b32 exec_lo, exec_lo, s1
	s_delay_alu instid0(SALU_CYCLE_1)
	s_mov_b32 s1, exec_lo
	v_cmpx_gt_u32_e64 s22, v91
	s_cbranch_execnz .LBB110_126
.LBB110_11:
	s_or_b32 exec_lo, exec_lo, s1
	s_delay_alu instid0(SALU_CYCLE_1)
	s_mov_b32 s1, exec_lo
	v_cmpx_gt_u32_e64 s22, v90
	s_cbranch_execnz .LBB110_127
.LBB110_12:
	s_or_b32 exec_lo, exec_lo, s1
	s_delay_alu instid0(SALU_CYCLE_1)
	s_mov_b32 s1, exec_lo
	v_cmpx_gt_u32_e64 s22, v89
	s_cbranch_execnz .LBB110_128
.LBB110_13:
	s_or_b32 exec_lo, exec_lo, s1
	s_delay_alu instid0(SALU_CYCLE_1)
	s_mov_b32 s1, exec_lo
	v_cmpx_gt_u32_e64 s22, v88
	s_cbranch_execnz .LBB110_129
.LBB110_14:
	s_or_b32 exec_lo, exec_lo, s1
	s_delay_alu instid0(SALU_CYCLE_1)
	s_mov_b32 s1, exec_lo
	v_cmpx_gt_u32_e64 s22, v87
	s_cbranch_execnz .LBB110_130
.LBB110_15:
	s_or_b32 exec_lo, exec_lo, s1
	s_delay_alu instid0(SALU_CYCLE_1)
	s_mov_b32 s1, exec_lo
	v_cmpx_gt_u32_e64 s22, v86
	s_cbranch_execnz .LBB110_131
.LBB110_16:
	s_or_b32 exec_lo, exec_lo, s1
	s_delay_alu instid0(SALU_CYCLE_1)
	s_mov_b32 s1, exec_lo
	v_cmpx_gt_u32_e64 s22, v85
	s_cbranch_execnz .LBB110_132
.LBB110_17:
	s_or_b32 exec_lo, exec_lo, s1
	s_delay_alu instid0(SALU_CYCLE_1)
	s_mov_b32 s1, exec_lo
	v_cmpx_gt_u32_e64 s22, v84
	s_cbranch_execnz .LBB110_133
.LBB110_18:
	s_or_b32 exec_lo, exec_lo, s1
	s_delay_alu instid0(SALU_CYCLE_1)
	s_mov_b32 s1, exec_lo
	v_cmpx_gt_u32_e64 s22, v82
	s_cbranch_execnz .LBB110_134
.LBB110_19:
	s_or_b32 exec_lo, exec_lo, s1
	s_delay_alu instid0(SALU_CYCLE_1)
	s_mov_b32 s1, exec_lo
	v_cmpx_gt_u32_e64 s22, v83
	s_cbranch_execnz .LBB110_135
.LBB110_20:
	s_or_b32 exec_lo, exec_lo, s1
	s_delay_alu instid0(SALU_CYCLE_1)
	s_mov_b32 s1, exec_lo
	v_cmpx_gt_u32_e64 s22, v81
	s_cbranch_execnz .LBB110_136
.LBB110_21:
	s_or_b32 exec_lo, exec_lo, s1
	s_delay_alu instid0(SALU_CYCLE_1)
	s_mov_b32 s1, exec_lo
	v_cmpx_gt_u32_e64 s22, v80
	s_cbranch_execnz .LBB110_137
.LBB110_22:
	s_or_b32 exec_lo, exec_lo, s1
	s_delay_alu instid0(SALU_CYCLE_1)
	s_mov_b32 s1, exec_lo
	v_cmpx_gt_u32_e64 s22, v79
	s_cbranch_execz .LBB110_24
.LBB110_23:
	v_lshlrev_b32_e32 v15, 3, v79
	global_load_b64 v[15:16], v15, s[18:19]
.LBB110_24:
	s_or_b32 exec_lo, exec_lo, s1
	v_lshrrev_b32_e32 v34, 2, v93
	v_lshrrev_b32_e32 v35, 2, v92
	;; [unrolled: 1-line block ×3, first 2 shown]
	v_and_b32_e32 v33, 56, v33
	v_lshrrev_b32_e32 v37, 2, v90
	v_and_b32_e32 v34, 0x78, v34
	v_and_b32_e32 v35, 0xf8, v35
	;; [unrolled: 1-line block ×3, first 2 shown]
	v_lshrrev_b32_e32 v38, 2, v89
	v_add_nc_u32_e32 v33, v33, v94
	v_lshrrev_b32_e32 v39, 2, v88
	v_add_nc_u32_e32 v34, v34, v94
	;; [unrolled: 2-line block ×3, first 2 shown]
	v_add_nc_u32_e32 v36, v36, v94
	v_and_b32_e32 v37, 0x1f8, v37
	v_and_b32_e32 v38, 0x1f8, v38
	s_waitcnt vmcnt(0)
	ds_store_b64 v33, v[31:32]
	ds_store_b64 v34, v[25:26] offset:2048
	ds_store_b64 v35, v[27:28] offset:4096
	;; [unrolled: 1-line block ×3, first 2 shown]
	v_and_b32_e32 v27, 0x1f8, v39
	v_and_b32_e32 v28, 0x1f8, v40
	v_add_nc_u32_e32 v25, v37, v94
	v_add_nc_u32_e32 v26, v38, v94
	v_lshrrev_b32_e32 v29, 2, v86
	v_add_nc_u32_e32 v27, v27, v94
	v_lshrrev_b32_e32 v30, 2, v85
	;; [unrolled: 2-line block ×3, first 2 shown]
	ds_store_b64 v25, v[17:18] offset:8192
	ds_store_b64 v26, v[19:20] offset:10240
	;; [unrolled: 1-line block ×4, first 2 shown]
	v_lshrrev_b32_e32 v20, 2, v82
	v_lshrrev_b32_e32 v21, 2, v83
	v_and_b32_e32 v29, 0x3f8, v29
	v_lshrrev_b32_e32 v22, 2, v81
	v_lshrrev_b32_e32 v23, 2, v80
	;; [unrolled: 1-line block ×3, first 2 shown]
	v_and_b32_e32 v30, 0x3f8, v30
	v_and_b32_e32 v31, 0x3f8, v31
	;; [unrolled: 1-line block ×4, first 2 shown]
	v_add_nc_u32_e32 v17, v29, v94
	v_and_b32_e32 v22, 0x3f8, v22
	v_and_b32_e32 v23, 0x3f8, v23
	;; [unrolled: 1-line block ×3, first 2 shown]
	v_add_nc_u32_e32 v18, v30, v94
	v_add_nc_u32_e32 v19, v31, v94
	;; [unrolled: 1-line block ×7, first 2 shown]
	ds_store_b64 v17, v[1:2] offset:16384
	ds_store_b64 v18, v[3:4] offset:18432
	;; [unrolled: 1-line block ×8, first 2 shown]
	s_waitcnt lgkmcnt(0)
	s_barrier
.LBB110_25:
	v_lshlrev_b32_e32 v1, 4, v0
	v_lshrrev_b32_e32 v96, 1, v0
	buffer_gl0_inv
	v_lshrrev_b32_e32 v95, 5, v0
	v_cmp_gt_u32_e32 vcc_lo, 32, v0
	s_cmp_lg_u32 s24, 0
	v_add_lshl_u32 v5, v96, v1, 3
	ds_load_2addr_b64 v[1:4], v5 offset1:1
	ds_load_2addr_b64 v[29:32], v5 offset0:2 offset1:3
	ds_load_2addr_b64 v[25:28], v5 offset0:4 offset1:5
	;; [unrolled: 1-line block ×7, first 2 shown]
	s_waitcnt lgkmcnt(0)
	s_barrier
	buffer_gl0_inv
	s_cbranch_scc0 .LBB110_82
; %bb.26:
	v_add_co_u32 v33, s1, v3, v1
	s_delay_alu instid0(VALU_DEP_1) | instskip(SKIP_1) | instid1(VALU_DEP_3)
	v_add_co_ci_u32_e64 v34, s1, v4, v2, s1
	v_add_lshl_u32 v35, v95, v0, 3
	v_add_co_u32 v33, s1, v33, v29
	s_delay_alu instid0(VALU_DEP_1) | instskip(NEXT) | instid1(VALU_DEP_2)
	v_add_co_ci_u32_e64 v34, s1, v34, v30, s1
	v_add_co_u32 v33, s1, v33, v31
	s_delay_alu instid0(VALU_DEP_1) | instskip(NEXT) | instid1(VALU_DEP_2)
	v_add_co_ci_u32_e64 v34, s1, v34, v32, s1
	;; [unrolled: 3-line block ×13, first 2 shown]
	v_add_co_u32 v37, s1, v33, v7
	s_delay_alu instid0(VALU_DEP_1)
	v_add_co_ci_u32_e64 v38, s1, v34, v8, s1
	ds_store_b64 v35, v[37:38]
	s_waitcnt lgkmcnt(0)
	s_barrier
	buffer_gl0_inv
	s_and_saveexec_b32 s18, vcc_lo
	s_cbranch_execz .LBB110_36
; %bb.27:
	v_lshlrev_b32_e32 v33, 1, v0
	s_mov_b32 s19, exec_lo
	s_delay_alu instid0(VALU_DEP_1) | instskip(NEXT) | instid1(VALU_DEP_1)
	v_and_b32_e32 v33, 0x1f8, v33
	v_lshl_or_b32 v41, v0, 6, v33
	ds_load_2addr_b64 v[33:36], v41 offset1:1
	ds_load_2addr_b64 v[42:45], v41 offset0:2 offset1:3
	ds_load_2addr_b64 v[46:49], v41 offset0:4 offset1:5
	;; [unrolled: 1-line block ×3, first 2 shown]
	s_waitcnt lgkmcnt(3)
	v_add_co_u32 v35, s1, v35, v33
	s_delay_alu instid0(VALU_DEP_1) | instskip(SKIP_1) | instid1(VALU_DEP_2)
	v_add_co_ci_u32_e64 v36, s1, v36, v34, s1
	s_waitcnt lgkmcnt(2)
	v_add_co_u32 v35, s1, v35, v42
	s_delay_alu instid0(VALU_DEP_1) | instskip(SKIP_1) | instid1(VALU_DEP_3)
	v_add_co_ci_u32_e64 v36, s1, v36, v43, s1
	v_mbcnt_lo_u32_b32 v42, -1, 0
	v_add_co_u32 v35, s1, v35, v44
	s_delay_alu instid0(VALU_DEP_1) | instskip(NEXT) | instid1(VALU_DEP_3)
	v_add_co_ci_u32_e64 v36, s1, v36, v45, s1
	v_and_b32_e32 v43, 15, v42
	s_waitcnt lgkmcnt(1)
	s_delay_alu instid0(VALU_DEP_3) | instskip(NEXT) | instid1(VALU_DEP_1)
	v_add_co_u32 v35, s1, v35, v46
	v_add_co_ci_u32_e64 v36, s1, v36, v47, s1
	s_delay_alu instid0(VALU_DEP_2) | instskip(NEXT) | instid1(VALU_DEP_1)
	v_add_co_u32 v35, s1, v35, v48
	v_add_co_ci_u32_e64 v36, s1, v36, v49, s1
	s_waitcnt lgkmcnt(0)
	s_delay_alu instid0(VALU_DEP_2) | instskip(NEXT) | instid1(VALU_DEP_1)
	v_add_co_u32 v35, s1, v35, v50
	v_add_co_ci_u32_e64 v36, s1, v36, v51, s1
	s_delay_alu instid0(VALU_DEP_2) | instskip(NEXT) | instid1(VALU_DEP_1)
	v_add_co_u32 v35, s1, v35, v52
	v_add_co_ci_u32_e64 v36, s1, v36, v53, s1
	s_delay_alu instid0(VALU_DEP_2) | instskip(NEXT) | instid1(VALU_DEP_2)
	v_mov_b32_dpp v45, v35 row_shr:1 row_mask:0xf bank_mask:0xf
	v_mov_b32_e32 v40, v36
	v_mov_b32_dpp v44, v36 row_shr:1 row_mask:0xf bank_mask:0xf
	v_mov_b32_e32 v39, v35
	v_cmpx_ne_u32_e32 0, v43
; %bb.28:
	v_add_co_u32 v35, s1, v35, v45
	s_delay_alu instid0(VALU_DEP_1) | instskip(NEXT) | instid1(VALU_DEP_2)
	v_add_co_ci_u32_e64 v36, s1, 0, v36, s1
	v_add_co_u32 v39, s1, 0, v35
	s_delay_alu instid0(VALU_DEP_1) | instskip(NEXT) | instid1(VALU_DEP_1)
	v_add_co_ci_u32_e64 v40, s1, v44, v36, s1
	v_mov_b32_e32 v36, v40
; %bb.29:
	s_or_b32 exec_lo, exec_lo, s19
	v_mov_b32_dpp v45, v35 row_shr:2 row_mask:0xf bank_mask:0xf
	s_delay_alu instid0(VALU_DEP_2)
	v_mov_b32_dpp v44, v36 row_shr:2 row_mask:0xf bank_mask:0xf
	s_mov_b32 s19, exec_lo
	v_cmpx_lt_u32_e32 1, v43
; %bb.30:
	s_delay_alu instid0(VALU_DEP_3) | instskip(NEXT) | instid1(VALU_DEP_1)
	v_add_co_u32 v35, s1, v39, v45
	v_add_co_ci_u32_e64 v36, s1, 0, v40, s1
	s_delay_alu instid0(VALU_DEP_2) | instskip(NEXT) | instid1(VALU_DEP_1)
	v_add_co_u32 v39, s1, 0, v35
	v_add_co_ci_u32_e64 v40, s1, v44, v36, s1
	s_delay_alu instid0(VALU_DEP_1)
	v_mov_b32_e32 v36, v40
; %bb.31:
	s_or_b32 exec_lo, exec_lo, s19
	v_mov_b32_dpp v45, v35 row_shr:4 row_mask:0xf bank_mask:0xf
	s_delay_alu instid0(VALU_DEP_2)
	v_mov_b32_dpp v44, v36 row_shr:4 row_mask:0xf bank_mask:0xf
	s_mov_b32 s19, exec_lo
	v_cmpx_lt_u32_e32 3, v43
; %bb.32:
	s_delay_alu instid0(VALU_DEP_3) | instskip(NEXT) | instid1(VALU_DEP_1)
	v_add_co_u32 v35, s1, v39, v45
	v_add_co_ci_u32_e64 v36, s1, 0, v40, s1
	s_delay_alu instid0(VALU_DEP_2) | instskip(NEXT) | instid1(VALU_DEP_1)
	v_add_co_u32 v39, s1, 0, v35
	v_add_co_ci_u32_e64 v40, s1, v44, v36, s1
	s_delay_alu instid0(VALU_DEP_1)
	;; [unrolled: 16-line block ×3, first 2 shown]
	v_mov_b32_e32 v36, v40
; %bb.35:
	s_or_b32 exec_lo, exec_lo, s19
	ds_swizzle_b32 v43, v35 offset:swizzle(BROADCAST,32,15)
	ds_swizzle_b32 v44, v36 offset:swizzle(BROADCAST,32,15)
	v_add_nc_u32_e32 v45, -1, v42
	v_and_b32_e32 v46, 16, v42
	; wave barrier
	s_delay_alu instid0(VALU_DEP_2) | instskip(NEXT) | instid1(VALU_DEP_1)
	v_cmp_gt_i32_e64 s1, 0, v45
	v_cndmask_b32_e64 v42, v45, v42, s1
	s_delay_alu instid0(VALU_DEP_1) | instskip(SKIP_2) | instid1(VALU_DEP_1)
	v_lshlrev_b32_e32 v42, 2, v42
	s_waitcnt lgkmcnt(1)
	v_add_co_u32 v39, s1, v39, v43
	v_add_co_ci_u32_e64 v40, s1, 0, v40, s1
	v_cmp_eq_u32_e64 s1, 0, v46
	s_delay_alu instid0(VALU_DEP_1) | instskip(SKIP_1) | instid1(VALU_DEP_3)
	v_cndmask_b32_e64 v35, v39, v35, s1
	s_waitcnt lgkmcnt(0)
	v_add_nc_u32_e32 v39, v44, v40
	ds_bpermute_b32 v35, v42, v35
	v_cndmask_b32_e64 v36, v39, v36, s1
	ds_bpermute_b32 v36, v42, v36
	s_waitcnt lgkmcnt(1)
	v_add_co_u32 v33, s1, v33, v35
	s_delay_alu instid0(VALU_DEP_1) | instskip(NEXT) | instid1(VALU_DEP_2)
	v_add_co_ci_u32_e64 v34, s1, 0, v34, s1
	v_add_co_u32 v33, s1, v33, 0
	s_waitcnt lgkmcnt(0)
	s_delay_alu instid0(VALU_DEP_2) | instskip(NEXT) | instid1(VALU_DEP_2)
	v_add_co_ci_u32_e64 v34, s1, v34, v36, s1
	v_cndmask_b32_e64 v46, v33, v37, s3
	s_delay_alu instid0(VALU_DEP_2)
	v_cndmask_b32_e64 v47, v34, v38, s3
	ds_store_b64 v41, v[46:47]
	; wave barrier
	ds_load_2addr_b64 v[33:36], v41 offset0:1 offset1:2
	ds_load_2addr_b64 v[37:40], v41 offset0:3 offset1:4
	;; [unrolled: 1-line block ×3, first 2 shown]
	s_waitcnt lgkmcnt(2)
	v_add_co_u32 v33, s1, v33, v46
	s_delay_alu instid0(VALU_DEP_1) | instskip(SKIP_2) | instid1(VALU_DEP_1)
	v_add_co_ci_u32_e64 v34, s1, v34, v47, s1
	ds_load_b64 v[46:47], v41 offset:56
	v_add_co_u32 v35, s1, v35, v33
	v_add_co_ci_u32_e64 v36, s1, v36, v34, s1
	s_waitcnt lgkmcnt(2)
	s_delay_alu instid0(VALU_DEP_2) | instskip(NEXT) | instid1(VALU_DEP_1)
	v_add_co_u32 v37, s1, v37, v35
	v_add_co_ci_u32_e64 v38, s1, v38, v36, s1
	s_delay_alu instid0(VALU_DEP_2) | instskip(NEXT) | instid1(VALU_DEP_1)
	v_add_co_u32 v39, s1, v39, v37
	v_add_co_ci_u32_e64 v40, s1, v40, v38, s1
	s_waitcnt lgkmcnt(1)
	s_delay_alu instid0(VALU_DEP_2) | instskip(NEXT) | instid1(VALU_DEP_1)
	v_add_co_u32 v42, s1, v42, v39
	v_add_co_ci_u32_e64 v43, s1, v43, v40, s1
	s_delay_alu instid0(VALU_DEP_2) | instskip(NEXT) | instid1(VALU_DEP_1)
	v_add_co_u32 v44, s1, v44, v42
	v_add_co_ci_u32_e64 v45, s1, v45, v43, s1
	s_waitcnt lgkmcnt(0)
	s_delay_alu instid0(VALU_DEP_2) | instskip(NEXT) | instid1(VALU_DEP_1)
	v_add_co_u32 v46, s1, v46, v44
	v_add_co_ci_u32_e64 v47, s1, v47, v45, s1
	ds_store_2addr_b64 v41, v[33:34], v[35:36] offset0:1 offset1:2
	ds_store_2addr_b64 v41, v[37:38], v[39:40] offset0:3 offset1:4
	ds_store_2addr_b64 v41, v[42:43], v[44:45] offset0:5 offset1:6
	ds_store_b64 v41, v[46:47] offset:56
.LBB110_36:
	s_or_b32 exec_lo, exec_lo, s18
	v_mov_b32_e32 v39, 0
	v_mov_b32_e32 v40, 0
	s_waitcnt lgkmcnt(0)
	s_barrier
	buffer_gl0_inv
	s_and_saveexec_b32 s1, s2
	s_cbranch_execz .LBB110_38
; %bb.37:
	v_add_nc_u32_e32 v33, -1, v0
	s_delay_alu instid0(VALU_DEP_1) | instskip(NEXT) | instid1(VALU_DEP_1)
	v_lshrrev_b32_e32 v34, 5, v33
	v_add_lshl_u32 v33, v34, v33, 3
	ds_load_b64 v[39:40], v33
.LBB110_38:
	s_or_b32 exec_lo, exec_lo, s1
	s_and_saveexec_b32 s25, vcc_lo
	s_cbranch_execz .LBB110_81
; %bb.39:
	v_mov_b32_e32 v36, 0
	v_mbcnt_lo_u32_b32 v47, -1, 0
	s_mov_b32 s19, 0
	ds_load_b64 v[33:34], v36 offset:2096
	v_cmp_eq_u32_e64 s1, 0, v47
	s_delay_alu instid0(VALU_DEP_1)
	s_and_saveexec_b32 s26, s1
	s_cbranch_execz .LBB110_41
; %bb.40:
	s_add_i32 s18, s24, 32
	s_delay_alu instid0(SALU_CYCLE_1) | instskip(NEXT) | instid1(SALU_CYCLE_1)
	s_lshl_b64 s[28:29], s[18:19], 4
	s_add_u32 s28, s20, s28
	s_addc_u32 s29, s21, s29
	s_delay_alu instid0(SALU_CYCLE_1)
	v_dual_mov_b32 v35, 1 :: v_dual_mov_b32 v38, s29
	v_mov_b32_e32 v37, s28
	s_waitcnt lgkmcnt(0)
	;;#ASMSTART
	global_store_dwordx4 v[37:38], v[33:36] off	
s_waitcnt vmcnt(0)
	;;#ASMEND
.LBB110_41:
	s_or_b32 exec_lo, exec_lo, s26
	v_xad_u32 v41, v47, -1, s24
	s_mov_b32 s18, exec_lo
	s_delay_alu instid0(VALU_DEP_1) | instskip(NEXT) | instid1(VALU_DEP_1)
	v_add_nc_u32_e32 v35, 32, v41
	v_lshlrev_b64 v[35:36], 4, v[35:36]
	s_delay_alu instid0(VALU_DEP_1) | instskip(NEXT) | instid1(VALU_DEP_2)
	v_add_co_u32 v42, vcc_lo, s20, v35
	v_add_co_ci_u32_e32 v43, vcc_lo, s21, v36, vcc_lo
	;;#ASMSTART
	global_load_dwordx4 v[35:38], v[42:43] off glc	
s_waitcnt vmcnt(0)
	;;#ASMEND
	v_and_b32_e32 v38, 0xff, v36
	v_and_b32_e32 v44, 0xff00, v36
	v_or3_b32 v35, v35, 0, 0
	v_and_b32_e32 v45, 0xff000000, v36
	v_and_b32_e32 v36, 0xff0000, v36
	s_delay_alu instid0(VALU_DEP_4) | instskip(SKIP_2) | instid1(VALU_DEP_3)
	v_or3_b32 v38, 0, v38, v44
	v_and_b32_e32 v44, 0xff, v37
	v_or3_b32 v35, v35, 0, 0
	v_or3_b32 v36, v38, v36, v45
	s_delay_alu instid0(VALU_DEP_3)
	v_cmpx_eq_u16_e32 0, v44
	s_cbranch_execz .LBB110_47
; %bb.42:
	s_mov_b32 s26, 1
	.p2align	6
.LBB110_43:                             ; =>This Loop Header: Depth=1
                                        ;     Child Loop BB110_44 Depth 2
	s_delay_alu instid0(SALU_CYCLE_1)
	s_max_u32 s27, s26, 1
.LBB110_44:                             ;   Parent Loop BB110_43 Depth=1
                                        ; =>  This Inner Loop Header: Depth=2
	s_delay_alu instid0(SALU_CYCLE_1)
	s_add_i32 s27, s27, -1
	s_sleep 1
	s_cmp_eq_u32 s27, 0
	s_cbranch_scc0 .LBB110_44
; %bb.45:                               ;   in Loop: Header=BB110_43 Depth=1
	;;#ASMSTART
	global_load_dwordx4 v[35:38], v[42:43] off glc	
s_waitcnt vmcnt(0)
	;;#ASMEND
	v_and_b32_e32 v38, 0xff, v37
	s_cmp_lt_u32 s26, 32
	s_cselect_b32 s27, -1, 0
	s_delay_alu instid0(SALU_CYCLE_1) | instskip(NEXT) | instid1(VALU_DEP_1)
	s_cmp_lg_u32 s27, 0
	v_cmp_ne_u16_e32 vcc_lo, 0, v38
	s_addc_u32 s26, s26, 0
	s_or_b32 s19, vcc_lo, s19
	s_delay_alu instid0(SALU_CYCLE_1)
	s_and_not1_b32 exec_lo, exec_lo, s19
	s_cbranch_execnz .LBB110_43
; %bb.46:
	s_or_b32 exec_lo, exec_lo, s19
.LBB110_47:
	s_delay_alu instid0(SALU_CYCLE_1)
	s_or_b32 exec_lo, exec_lo, s18
	v_cmp_ne_u32_e32 vcc_lo, 31, v47
	v_and_b32_e32 v42, 0xff, v37
	v_lshlrev_b32_e64 v49, v47, -1
	s_mov_b32 s18, exec_lo
	v_add_co_ci_u32_e32 v38, vcc_lo, 0, v47, vcc_lo
	s_delay_alu instid0(VALU_DEP_3) | instskip(SKIP_1) | instid1(VALU_DEP_3)
	v_cmp_eq_u16_e32 vcc_lo, 2, v42
	v_mov_b32_e32 v42, v35
	v_lshlrev_b32_e32 v48, 2, v38
	v_and_or_b32 v38, vcc_lo, v49, 0x80000000
	ds_bpermute_b32 v44, v48, v35
	ds_bpermute_b32 v43, v48, v36
	v_ctz_i32_b32_e32 v38, v38
	s_delay_alu instid0(VALU_DEP_1)
	v_cmpx_lt_u32_e64 v47, v38
	s_cbranch_execz .LBB110_49
; %bb.48:
	s_waitcnt lgkmcnt(1)
	v_add_co_u32 v42, vcc_lo, v35, v44
	v_add_co_ci_u32_e32 v36, vcc_lo, 0, v36, vcc_lo
	s_delay_alu instid0(VALU_DEP_2) | instskip(SKIP_1) | instid1(VALU_DEP_2)
	v_add_co_u32 v35, vcc_lo, 0, v42
	s_waitcnt lgkmcnt(0)
	v_add_co_ci_u32_e32 v36, vcc_lo, v43, v36, vcc_lo
.LBB110_49:
	s_or_b32 exec_lo, exec_lo, s18
	v_cmp_gt_u32_e32 vcc_lo, 30, v47
	v_add_nc_u32_e32 v51, 2, v47
	s_mov_b32 s18, exec_lo
	s_waitcnt lgkmcnt(0)
	v_cndmask_b32_e64 v43, 0, 1, vcc_lo
	s_delay_alu instid0(VALU_DEP_1) | instskip(NEXT) | instid1(VALU_DEP_1)
	v_lshlrev_b32_e32 v43, 1, v43
	v_add_lshl_u32 v50, v43, v47, 2
	ds_bpermute_b32 v44, v50, v42
	ds_bpermute_b32 v43, v50, v36
	v_cmpx_le_u32_e64 v51, v38
	s_cbranch_execz .LBB110_51
; %bb.50:
	s_waitcnt lgkmcnt(1)
	v_add_co_u32 v42, vcc_lo, v35, v44
	v_add_co_ci_u32_e32 v36, vcc_lo, 0, v36, vcc_lo
	s_delay_alu instid0(VALU_DEP_2) | instskip(SKIP_1) | instid1(VALU_DEP_2)
	v_add_co_u32 v35, vcc_lo, 0, v42
	s_waitcnt lgkmcnt(0)
	v_add_co_ci_u32_e32 v36, vcc_lo, v43, v36, vcc_lo
.LBB110_51:
	s_or_b32 exec_lo, exec_lo, s18
	v_cmp_gt_u32_e32 vcc_lo, 28, v47
	v_add_nc_u32_e32 v53, 4, v47
	s_mov_b32 s18, exec_lo
	s_waitcnt lgkmcnt(0)
	v_cndmask_b32_e64 v43, 0, 1, vcc_lo
	s_delay_alu instid0(VALU_DEP_1) | instskip(NEXT) | instid1(VALU_DEP_1)
	v_lshlrev_b32_e32 v43, 2, v43
	v_add_lshl_u32 v52, v43, v47, 2
	ds_bpermute_b32 v44, v52, v42
	ds_bpermute_b32 v43, v52, v36
	v_cmpx_le_u32_e64 v53, v38
	;; [unrolled: 22-line block ×4, first 2 shown]
	s_cbranch_execz .LBB110_57
; %bb.56:
	s_waitcnt lgkmcnt(1)
	v_add_co_u32 v35, vcc_lo, v35, v43
	v_add_co_ci_u32_e32 v36, vcc_lo, 0, v36, vcc_lo
	s_delay_alu instid0(VALU_DEP_2) | instskip(SKIP_1) | instid1(VALU_DEP_2)
	v_add_co_u32 v35, vcc_lo, v35, 0
	s_waitcnt lgkmcnt(0)
	v_add_co_ci_u32_e32 v36, vcc_lo, v36, v42, vcc_lo
.LBB110_57:
	s_or_b32 exec_lo, exec_lo, s18
	s_waitcnt lgkmcnt(0)
	v_mov_b32_e32 v42, 0
	s_branch .LBB110_59
.LBB110_58:                             ;   in Loop: Header=BB110_59 Depth=1
	s_or_b32 exec_lo, exec_lo, s18
	v_add_co_u32 v35, vcc_lo, v35, v43
	v_subrev_nc_u32_e32 v41, 32, v41
	v_add_co_ci_u32_e32 v36, vcc_lo, v36, v44, vcc_lo
.LBB110_59:                             ; =>This Loop Header: Depth=1
                                        ;     Child Loop BB110_62 Depth 2
                                        ;       Child Loop BB110_63 Depth 3
	s_delay_alu instid0(VALU_DEP_1) | instskip(NEXT) | instid1(VALU_DEP_4)
	v_dual_mov_b32 v44, v36 :: v_dual_and_b32 v37, 0xff, v37
	v_mov_b32_e32 v43, v35
	s_delay_alu instid0(VALU_DEP_2) | instskip(SKIP_2) | instid1(VALU_DEP_1)
	v_cmp_ne_u16_e32 vcc_lo, 2, v37
	v_cndmask_b32_e64 v37, 0, 1, vcc_lo
	;;#ASMSTART
	;;#ASMEND
	v_cmp_ne_u32_e32 vcc_lo, 0, v37
	s_cmp_lg_u32 vcc_lo, exec_lo
	s_cbranch_scc1 .LBB110_76
; %bb.60:                               ;   in Loop: Header=BB110_59 Depth=1
	v_lshlrev_b64 v[35:36], 4, v[41:42]
	s_mov_b32 s18, exec_lo
	s_waitcnt lgkmcnt(0)
	s_delay_alu instid0(VALU_DEP_1) | instskip(NEXT) | instid1(VALU_DEP_2)
	v_add_co_u32 v45, vcc_lo, s20, v35
	v_add_co_ci_u32_e32 v46, vcc_lo, s21, v36, vcc_lo
	;;#ASMSTART
	global_load_dwordx4 v[35:38], v[45:46] off glc	
s_waitcnt vmcnt(0)
	;;#ASMEND
	v_and_b32_e32 v38, 0xff, v36
	v_and_b32_e32 v58, 0xff00, v36
	v_or3_b32 v35, v35, 0, 0
	v_and_b32_e32 v59, 0xff000000, v36
	v_and_b32_e32 v36, 0xff0000, v36
	s_delay_alu instid0(VALU_DEP_4) | instskip(SKIP_2) | instid1(VALU_DEP_3)
	v_or3_b32 v38, 0, v38, v58
	v_and_b32_e32 v58, 0xff, v37
	v_or3_b32 v35, v35, 0, 0
	v_or3_b32 v36, v38, v36, v59
	s_delay_alu instid0(VALU_DEP_3)
	v_cmpx_eq_u16_e32 0, v58
	s_cbranch_execz .LBB110_66
; %bb.61:                               ;   in Loop: Header=BB110_59 Depth=1
	s_mov_b32 s26, 1
	s_mov_b32 s19, 0
	.p2align	6
.LBB110_62:                             ;   Parent Loop BB110_59 Depth=1
                                        ; =>  This Loop Header: Depth=2
                                        ;       Child Loop BB110_63 Depth 3
	s_max_u32 s27, s26, 1
.LBB110_63:                             ;   Parent Loop BB110_59 Depth=1
                                        ;     Parent Loop BB110_62 Depth=2
                                        ; =>    This Inner Loop Header: Depth=3
	s_delay_alu instid0(SALU_CYCLE_1)
	s_add_i32 s27, s27, -1
	s_sleep 1
	s_cmp_eq_u32 s27, 0
	s_cbranch_scc0 .LBB110_63
; %bb.64:                               ;   in Loop: Header=BB110_62 Depth=2
	;;#ASMSTART
	global_load_dwordx4 v[35:38], v[45:46] off glc	
s_waitcnt vmcnt(0)
	;;#ASMEND
	v_and_b32_e32 v38, 0xff, v37
	s_cmp_lt_u32 s26, 32
	s_cselect_b32 s27, -1, 0
	s_delay_alu instid0(SALU_CYCLE_1) | instskip(NEXT) | instid1(VALU_DEP_1)
	s_cmp_lg_u32 s27, 0
	v_cmp_ne_u16_e32 vcc_lo, 0, v38
	s_addc_u32 s26, s26, 0
	s_or_b32 s19, vcc_lo, s19
	s_delay_alu instid0(SALU_CYCLE_1)
	s_and_not1_b32 exec_lo, exec_lo, s19
	s_cbranch_execnz .LBB110_62
; %bb.65:                               ;   in Loop: Header=BB110_59 Depth=1
	s_or_b32 exec_lo, exec_lo, s19
.LBB110_66:                             ;   in Loop: Header=BB110_59 Depth=1
	s_delay_alu instid0(SALU_CYCLE_1)
	s_or_b32 exec_lo, exec_lo, s18
	v_dual_mov_b32 v45, v35 :: v_dual_and_b32 v38, 0xff, v37
	ds_bpermute_b32 v58, v48, v35
	ds_bpermute_b32 v46, v48, v36
	s_mov_b32 s18, exec_lo
	v_cmp_eq_u16_e32 vcc_lo, 2, v38
	v_and_or_b32 v38, vcc_lo, v49, 0x80000000
	s_delay_alu instid0(VALU_DEP_1) | instskip(NEXT) | instid1(VALU_DEP_1)
	v_ctz_i32_b32_e32 v38, v38
	v_cmpx_lt_u32_e64 v47, v38
	s_cbranch_execz .LBB110_68
; %bb.67:                               ;   in Loop: Header=BB110_59 Depth=1
	s_waitcnt lgkmcnt(1)
	v_add_co_u32 v45, vcc_lo, v35, v58
	v_add_co_ci_u32_e32 v36, vcc_lo, 0, v36, vcc_lo
	s_delay_alu instid0(VALU_DEP_2) | instskip(SKIP_1) | instid1(VALU_DEP_2)
	v_add_co_u32 v35, vcc_lo, 0, v45
	s_waitcnt lgkmcnt(0)
	v_add_co_ci_u32_e32 v36, vcc_lo, v46, v36, vcc_lo
.LBB110_68:                             ;   in Loop: Header=BB110_59 Depth=1
	s_or_b32 exec_lo, exec_lo, s18
	s_waitcnt lgkmcnt(1)
	ds_bpermute_b32 v58, v50, v45
	s_waitcnt lgkmcnt(1)
	ds_bpermute_b32 v46, v50, v36
	s_mov_b32 s18, exec_lo
	v_cmpx_le_u32_e64 v51, v38
	s_cbranch_execz .LBB110_70
; %bb.69:                               ;   in Loop: Header=BB110_59 Depth=1
	s_waitcnt lgkmcnt(1)
	v_add_co_u32 v45, vcc_lo, v35, v58
	v_add_co_ci_u32_e32 v36, vcc_lo, 0, v36, vcc_lo
	s_delay_alu instid0(VALU_DEP_2) | instskip(SKIP_1) | instid1(VALU_DEP_2)
	v_add_co_u32 v35, vcc_lo, 0, v45
	s_waitcnt lgkmcnt(0)
	v_add_co_ci_u32_e32 v36, vcc_lo, v46, v36, vcc_lo
.LBB110_70:                             ;   in Loop: Header=BB110_59 Depth=1
	s_or_b32 exec_lo, exec_lo, s18
	s_waitcnt lgkmcnt(1)
	ds_bpermute_b32 v58, v52, v45
	s_waitcnt lgkmcnt(1)
	ds_bpermute_b32 v46, v52, v36
	s_mov_b32 s18, exec_lo
	v_cmpx_le_u32_e64 v53, v38
	;; [unrolled: 17-line block ×3, first 2 shown]
	s_cbranch_execz .LBB110_74
; %bb.73:                               ;   in Loop: Header=BB110_59 Depth=1
	s_waitcnt lgkmcnt(1)
	v_add_co_u32 v45, vcc_lo, v35, v58
	v_add_co_ci_u32_e32 v36, vcc_lo, 0, v36, vcc_lo
	s_delay_alu instid0(VALU_DEP_2) | instskip(SKIP_1) | instid1(VALU_DEP_2)
	v_add_co_u32 v35, vcc_lo, 0, v45
	s_waitcnt lgkmcnt(0)
	v_add_co_ci_u32_e32 v36, vcc_lo, v46, v36, vcc_lo
.LBB110_74:                             ;   in Loop: Header=BB110_59 Depth=1
	s_or_b32 exec_lo, exec_lo, s18
	s_waitcnt lgkmcnt(0)
	ds_bpermute_b32 v46, v56, v45
	ds_bpermute_b32 v45, v56, v36
	s_mov_b32 s18, exec_lo
	v_cmpx_le_u32_e64 v57, v38
	s_cbranch_execz .LBB110_58
; %bb.75:                               ;   in Loop: Header=BB110_59 Depth=1
	s_waitcnt lgkmcnt(1)
	v_add_co_u32 v35, vcc_lo, v35, v46
	v_add_co_ci_u32_e32 v36, vcc_lo, 0, v36, vcc_lo
	s_delay_alu instid0(VALU_DEP_2) | instskip(SKIP_1) | instid1(VALU_DEP_2)
	v_add_co_u32 v35, vcc_lo, v35, 0
	s_waitcnt lgkmcnt(0)
	v_add_co_ci_u32_e32 v36, vcc_lo, v36, v45, vcc_lo
	s_branch .LBB110_58
.LBB110_76:                             ;   in Loop: Header=BB110_59 Depth=1
                                        ; implicit-def: $vgpr35_vgpr36
	s_cbranch_execz .LBB110_59
; %bb.77:
	s_and_saveexec_b32 s18, s1
	s_cbranch_execz .LBB110_79
; %bb.78:
	s_add_i32 s26, s24, 32
	s_mov_b32 s27, 0
	v_add_co_u32 v33, vcc_lo, v43, v33
	s_lshl_b64 s[26:27], s[26:27], 4
	v_add_co_ci_u32_e32 v34, vcc_lo, v44, v34, vcc_lo
	s_add_u32 s26, s20, s26
	s_addc_u32 s27, s21, s27
	v_dual_mov_b32 v35, 2 :: v_dual_mov_b32 v36, 0
	v_dual_mov_b32 v38, s27 :: v_dual_mov_b32 v37, s26
	;;#ASMSTART
	global_store_dwordx4 v[37:38], v[33:36] off	
s_waitcnt vmcnt(0)
	;;#ASMEND
.LBB110_79:
	s_or_b32 exec_lo, exec_lo, s18
	s_delay_alu instid0(SALU_CYCLE_1)
	s_and_b32 exec_lo, exec_lo, s3
	s_cbranch_execz .LBB110_81
; %bb.80:
	v_mov_b32_e32 v33, 0
	ds_store_b64 v33, v[43:44]
.LBB110_81:
	s_or_b32 exec_lo, exec_lo, s25
	v_mov_b32_e32 v33, 0
	s_waitcnt lgkmcnt(0)
	s_barrier
	buffer_gl0_inv
	v_add_co_u32 v35, vcc_lo, v39, v1
	ds_load_b64 v[33:34], v33
	v_add_co_ci_u32_e32 v36, vcc_lo, v40, v2, vcc_lo
	s_waitcnt lgkmcnt(0)
	v_add_co_u32 v59, vcc_lo, v35, v33
	s_delay_alu instid0(VALU_DEP_2) | instskip(NEXT) | instid1(VALU_DEP_2)
	v_add_co_ci_u32_e32 v60, vcc_lo, v36, v34, vcc_lo
	v_add_co_u32 v63, vcc_lo, v59, v3
	s_delay_alu instid0(VALU_DEP_2) | instskip(NEXT) | instid1(VALU_DEP_2)
	v_add_co_ci_u32_e32 v64, vcc_lo, v60, v4, vcc_lo
	;; [unrolled: 3-line block ×15, first 2 shown]
	v_add_co_u32 v77, vcc_lo, v57, v7
	s_delay_alu instid0(VALU_DEP_2)
	v_add_co_ci_u32_e32 v78, vcc_lo, v58, v8, vcc_lo
	s_branch .LBB110_102
.LBB110_82:
                                        ; implicit-def: $vgpr57_vgpr58_vgpr59_vgpr60
                                        ; implicit-def: $vgpr77_vgpr78
                                        ; implicit-def: $vgpr75_vgpr76
                                        ; implicit-def: $vgpr73_vgpr74
                                        ; implicit-def: $vgpr71_vgpr72
                                        ; implicit-def: $vgpr69_vgpr70
                                        ; implicit-def: $vgpr67_vgpr68
                                        ; implicit-def: $vgpr65_vgpr66
                                        ; implicit-def: $vgpr63_vgpr64
                                        ; implicit-def: $vgpr53_vgpr54_vgpr55_vgpr56
                                        ; implicit-def: $vgpr49_vgpr50_vgpr51_vgpr52
                                        ; implicit-def: $vgpr45_vgpr46_vgpr47_vgpr48
                                        ; implicit-def: $vgpr41_vgpr42_vgpr43_vgpr44
                                        ; implicit-def: $vgpr37_vgpr38_vgpr39_vgpr40
                                        ; implicit-def: $vgpr33_vgpr34_vgpr35_vgpr36
                                        ; implicit-def: $vgpr59_vgpr60_vgpr61_vgpr62
	s_cbranch_execz .LBB110_102
; %bb.83:
	s_cmp_lg_u64 s[8:9], 0
	s_cselect_b32 s1, -1, 0
	s_delay_alu instid0(SALU_CYCLE_1) | instskip(NEXT) | instid1(SALU_CYCLE_1)
	s_and_b32 s8, s3, s1
	s_and_saveexec_b32 s1, s8
	s_cbranch_execz .LBB110_85
; %bb.84:
	v_mov_b32_e32 v33, 0
	global_load_b64 v[33:34], v33, s[4:5]
	s_waitcnt vmcnt(0)
	v_add_co_u32 v1, vcc_lo, v33, v1
	v_add_co_ci_u32_e32 v2, vcc_lo, v34, v2, vcc_lo
.LBB110_85:
	s_or_b32 exec_lo, exec_lo, s1
	s_delay_alu instid0(VALU_DEP_2) | instskip(NEXT) | instid1(VALU_DEP_2)
	v_add_co_u32 v63, vcc_lo, v3, v1
	v_add_co_ci_u32_e32 v64, vcc_lo, v4, v2, vcc_lo
	v_add_lshl_u32 v35, v95, v0, 3
	s_delay_alu instid0(VALU_DEP_3) | instskip(NEXT) | instid1(VALU_DEP_3)
	v_add_co_u32 v33, vcc_lo, v63, v29
	v_add_co_ci_u32_e32 v34, vcc_lo, v64, v30, vcc_lo
	s_mov_b32 s1, exec_lo
	s_delay_alu instid0(VALU_DEP_2) | instskip(NEXT) | instid1(VALU_DEP_2)
	v_add_co_u32 v65, vcc_lo, v33, v31
	v_add_co_ci_u32_e32 v66, vcc_lo, v34, v32, vcc_lo
	s_delay_alu instid0(VALU_DEP_2) | instskip(NEXT) | instid1(VALU_DEP_2)
	v_add_co_u32 v37, vcc_lo, v65, v25
	v_add_co_ci_u32_e32 v38, vcc_lo, v66, v26, vcc_lo
	;; [unrolled: 3-line block ×13, first 2 shown]
	ds_store_b64 v35, v[77:78]
	s_waitcnt lgkmcnt(0)
	s_barrier
	buffer_gl0_inv
	v_cmpx_gt_u32_e32 32, v0
	s_cbranch_execz .LBB110_95
; %bb.86:
	v_lshlrev_b32_e32 v35, 1, v0
	v_mbcnt_lo_u32_b32 v44, -1, 0
	s_mov_b32 s4, exec_lo
	s_delay_alu instid0(VALU_DEP_2) | instskip(NEXT) | instid1(VALU_DEP_1)
	v_and_b32_e32 v35, 0x1f8, v35
	v_lshl_or_b32 v43, v0, 6, v35
	ds_load_2addr_b64 v[59:62], v43 offset1:1
	ds_load_2addr_b64 v[97:100], v43 offset0:2 offset1:3
	ds_load_2addr_b64 v[101:104], v43 offset0:4 offset1:5
	;; [unrolled: 1-line block ×3, first 2 shown]
	s_waitcnt lgkmcnt(3)
	v_add_co_u32 v35, vcc_lo, v61, v59
	v_add_co_ci_u32_e32 v36, vcc_lo, v62, v60, vcc_lo
	s_waitcnt lgkmcnt(2)
	s_delay_alu instid0(VALU_DEP_2) | instskip(NEXT) | instid1(VALU_DEP_2)
	v_add_co_u32 v35, vcc_lo, v35, v97
	v_add_co_ci_u32_e32 v36, vcc_lo, v36, v98, vcc_lo
	s_delay_alu instid0(VALU_DEP_2) | instskip(NEXT) | instid1(VALU_DEP_2)
	v_add_co_u32 v35, vcc_lo, v35, v99
	v_add_co_ci_u32_e32 v36, vcc_lo, v36, v100, vcc_lo
	s_waitcnt lgkmcnt(1)
	s_delay_alu instid0(VALU_DEP_2) | instskip(NEXT) | instid1(VALU_DEP_2)
	v_add_co_u32 v35, vcc_lo, v35, v101
	v_add_co_ci_u32_e32 v36, vcc_lo, v36, v102, vcc_lo
	s_delay_alu instid0(VALU_DEP_2) | instskip(NEXT) | instid1(VALU_DEP_2)
	;; [unrolled: 7-line block ×3, first 2 shown]
	v_add_co_u32 v35, vcc_lo, v35, v107
	v_add_co_ci_u32_e32 v36, vcc_lo, v36, v108, vcc_lo
	v_and_b32_e32 v47, 15, v44
	s_delay_alu instid0(VALU_DEP_3) | instskip(NEXT) | instid1(VALU_DEP_3)
	v_mov_b32_dpp v51, v35 row_shr:1 row_mask:0xf bank_mask:0xf
	v_mov_b32_e32 v40, v36
	v_mov_b32_dpp v48, v36 row_shr:1 row_mask:0xf bank_mask:0xf
	v_mov_b32_e32 v39, v35
	v_cmpx_ne_u32_e32 0, v47
; %bb.87:
	v_add_co_u32 v35, vcc_lo, v35, v51
	v_add_co_ci_u32_e32 v36, vcc_lo, 0, v36, vcc_lo
	s_delay_alu instid0(VALU_DEP_2) | instskip(NEXT) | instid1(VALU_DEP_2)
	v_add_co_u32 v39, vcc_lo, 0, v35
	v_add_co_ci_u32_e32 v40, vcc_lo, v48, v36, vcc_lo
	s_delay_alu instid0(VALU_DEP_1)
	v_mov_b32_e32 v36, v40
; %bb.88:
	s_or_b32 exec_lo, exec_lo, s4
	v_mov_b32_dpp v51, v35 row_shr:2 row_mask:0xf bank_mask:0xf
	s_delay_alu instid0(VALU_DEP_2)
	v_mov_b32_dpp v48, v36 row_shr:2 row_mask:0xf bank_mask:0xf
	s_mov_b32 s4, exec_lo
	v_cmpx_lt_u32_e32 1, v47
; %bb.89:
	s_delay_alu instid0(VALU_DEP_3) | instskip(SKIP_1) | instid1(VALU_DEP_2)
	v_add_co_u32 v35, vcc_lo, v39, v51
	v_add_co_ci_u32_e32 v36, vcc_lo, 0, v40, vcc_lo
	v_add_co_u32 v39, vcc_lo, 0, v35
	s_delay_alu instid0(VALU_DEP_2) | instskip(NEXT) | instid1(VALU_DEP_1)
	v_add_co_ci_u32_e32 v40, vcc_lo, v48, v36, vcc_lo
	v_mov_b32_e32 v36, v40
; %bb.90:
	s_or_b32 exec_lo, exec_lo, s4
	v_mov_b32_dpp v51, v35 row_shr:4 row_mask:0xf bank_mask:0xf
	s_delay_alu instid0(VALU_DEP_2)
	v_mov_b32_dpp v48, v36 row_shr:4 row_mask:0xf bank_mask:0xf
	s_mov_b32 s4, exec_lo
	v_cmpx_lt_u32_e32 3, v47
; %bb.91:
	s_delay_alu instid0(VALU_DEP_3) | instskip(SKIP_1) | instid1(VALU_DEP_2)
	v_add_co_u32 v35, vcc_lo, v39, v51
	v_add_co_ci_u32_e32 v36, vcc_lo, 0, v40, vcc_lo
	v_add_co_u32 v39, vcc_lo, 0, v35
	s_delay_alu instid0(VALU_DEP_2) | instskip(NEXT) | instid1(VALU_DEP_1)
	v_add_co_ci_u32_e32 v40, vcc_lo, v48, v36, vcc_lo
	;; [unrolled: 15-line block ×3, first 2 shown]
	v_mov_b32_e32 v36, v40
; %bb.94:
	s_or_b32 exec_lo, exec_lo, s4
	ds_swizzle_b32 v47, v35 offset:swizzle(BROADCAST,32,15)
	ds_swizzle_b32 v48, v36 offset:swizzle(BROADCAST,32,15)
	v_add_nc_u32_e32 v51, -1, v44
	v_and_b32_e32 v52, 16, v44
	; wave barrier
	s_delay_alu instid0(VALU_DEP_2) | instskip(SKIP_1) | instid1(VALU_DEP_1)
	v_cmp_gt_i32_e32 vcc_lo, 0, v51
	v_cndmask_b32_e32 v44, v51, v44, vcc_lo
	v_lshlrev_b32_e32 v44, 2, v44
	s_waitcnt lgkmcnt(1)
	v_add_co_u32 v39, vcc_lo, v39, v47
	v_add_co_ci_u32_e32 v40, vcc_lo, 0, v40, vcc_lo
	v_cmp_eq_u32_e32 vcc_lo, 0, v52
	s_delay_alu instid0(VALU_DEP_3) | instskip(SKIP_1) | instid1(VALU_DEP_3)
	v_cndmask_b32_e32 v35, v39, v35, vcc_lo
	s_waitcnt lgkmcnt(0)
	v_add_nc_u32_e32 v39, v48, v40
	ds_bpermute_b32 v35, v44, v35
	v_cndmask_b32_e32 v36, v39, v36, vcc_lo
	ds_bpermute_b32 v36, v44, v36
	s_waitcnt lgkmcnt(1)
	v_add_co_u32 v35, vcc_lo, v59, v35
	v_add_co_ci_u32_e32 v39, vcc_lo, 0, v60, vcc_lo
	s_delay_alu instid0(VALU_DEP_2) | instskip(SKIP_1) | instid1(VALU_DEP_2)
	v_add_co_u32 v35, vcc_lo, v35, 0
	s_waitcnt lgkmcnt(0)
	v_add_co_ci_u32_e32 v36, vcc_lo, v39, v36, vcc_lo
	s_delay_alu instid0(VALU_DEP_2) | instskip(NEXT) | instid1(VALU_DEP_2)
	v_cndmask_b32_e64 v35, v35, v77, s3
	v_cndmask_b32_e64 v36, v36, v78, s3
	ds_store_b64 v43, v[35:36]
	; wave barrier
	ds_load_2addr_b64 v[59:62], v43 offset0:1 offset1:2
	ds_load_2addr_b64 v[97:100], v43 offset0:3 offset1:4
	ds_load_2addr_b64 v[101:104], v43 offset0:5 offset1:6
	ds_load_b64 v[47:48], v43 offset:56
	s_waitcnt lgkmcnt(3)
	v_add_co_u32 v35, vcc_lo, v59, v35
	v_add_co_ci_u32_e32 v36, vcc_lo, v60, v36, vcc_lo
	s_delay_alu instid0(VALU_DEP_2) | instskip(NEXT) | instid1(VALU_DEP_2)
	v_add_co_u32 v39, vcc_lo, v61, v35
	v_add_co_ci_u32_e32 v40, vcc_lo, v62, v36, vcc_lo
	s_waitcnt lgkmcnt(2)
	s_delay_alu instid0(VALU_DEP_2) | instskip(NEXT) | instid1(VALU_DEP_2)
	v_add_co_u32 v51, vcc_lo, v97, v39
	v_add_co_ci_u32_e32 v52, vcc_lo, v98, v40, vcc_lo
	s_delay_alu instid0(VALU_DEP_2) | instskip(NEXT) | instid1(VALU_DEP_2)
	v_add_co_u32 v55, vcc_lo, v99, v51
	v_add_co_ci_u32_e32 v56, vcc_lo, v100, v52, vcc_lo
	s_waitcnt lgkmcnt(1)
	s_delay_alu instid0(VALU_DEP_2) | instskip(NEXT) | instid1(VALU_DEP_2)
	;; [unrolled: 7-line block ×3, first 2 shown]
	v_add_co_u32 v47, vcc_lo, v47, v61
	v_add_co_ci_u32_e32 v48, vcc_lo, v48, v62, vcc_lo
	ds_store_2addr_b64 v43, v[35:36], v[39:40] offset0:1 offset1:2
	ds_store_2addr_b64 v43, v[51:52], v[55:56] offset0:3 offset1:4
	;; [unrolled: 1-line block ×3, first 2 shown]
	ds_store_b64 v43, v[47:48] offset:56
.LBB110_95:
	s_or_b32 exec_lo, exec_lo, s1
	v_dual_mov_b32 v35, v77 :: v_dual_mov_b32 v36, v78
	s_waitcnt lgkmcnt(0)
	s_barrier
	buffer_gl0_inv
	s_and_saveexec_b32 s1, s2
	s_cbranch_execz .LBB110_97
; %bb.96:
	v_add_nc_u32_e32 v35, -1, v0
	s_delay_alu instid0(VALU_DEP_1) | instskip(NEXT) | instid1(VALU_DEP_1)
	v_lshrrev_b32_e32 v36, 5, v35
	v_add_lshl_u32 v35, v36, v35, 3
	ds_load_b64 v[35:36], v35
.LBB110_97:
	s_or_b32 exec_lo, exec_lo, s1
	s_and_saveexec_b32 s1, s2
	s_cbranch_execz .LBB110_99
; %bb.98:
	s_waitcnt lgkmcnt(0)
	v_add_co_u32 v1, vcc_lo, v35, v1
	v_add_co_ci_u32_e32 v2, vcc_lo, v36, v2, vcc_lo
	;;#ASMSTART
	;;#ASMEND
	s_delay_alu instid0(VALU_DEP_2) | instskip(NEXT) | instid1(VALU_DEP_2)
	v_add_co_u32 v63, vcc_lo, v1, v3
	v_add_co_ci_u32_e32 v64, vcc_lo, v2, v4, vcc_lo
	s_delay_alu instid0(VALU_DEP_2) | instskip(NEXT) | instid1(VALU_DEP_2)
	v_add_co_u32 v33, vcc_lo, v63, v29
	v_add_co_ci_u32_e32 v34, vcc_lo, v64, v30, vcc_lo
	;; [unrolled: 3-line block ×15, first 2 shown]
.LBB110_99:
	s_or_b32 exec_lo, exec_lo, s1
	s_delay_alu instid0(SALU_CYCLE_1)
	s_mov_b32 s1, exec_lo
	v_cmpx_eq_u32_e32 0xff, v0
	s_cbranch_execz .LBB110_101
; %bb.100:
	s_add_u32 s2, s20, 0x200
	s_addc_u32 s3, s21, 0
	v_dual_mov_b32 v5, 2 :: v_dual_mov_b32 v6, 0
	v_dual_mov_b32 v3, v77 :: v_dual_mov_b32 v4, v78
	;; [unrolled: 1-line block ×3, first 2 shown]
	;;#ASMSTART
	global_store_dwordx4 v[7:8], v[3:6] off	
s_waitcnt vmcnt(0)
	;;#ASMEND
.LBB110_101:
	s_or_b32 exec_lo, exec_lo, s1
	v_dual_mov_b32 v60, v2 :: v_dual_mov_b32 v59, v1
.LBB110_102:
	s_add_u32 s1, s16, s14
	v_lshlrev_b32_e32 v1, 7, v0
	s_addc_u32 s3, s17, s15
	s_add_u32 s2, s1, s12
	s_addc_u32 s3, s3, s13
	s_and_b32 vcc_lo, exec_lo, s0
	s_mov_b32 s0, -1
	s_waitcnt lgkmcnt(0)
	s_barrier
	buffer_gl0_inv
	s_cbranch_vccz .LBB110_104
; %bb.103:
	v_lshl_add_u32 v2, v96, 3, v1
	v_lshrrev_b32_e32 v3, 5, v92
	v_lshrrev_b32_e32 v4, 5, v91
	v_add_lshl_u32 v5, v95, v0, 3
	v_lshrrev_b32_e32 v19, 5, v85
	ds_store_2addr_b64 v2, v[59:60], v[63:64] offset1:1
	ds_store_2addr_b64 v2, v[33:34], v[65:66] offset0:2 offset1:3
	ds_store_2addr_b64 v2, v[37:38], v[67:68] offset0:4 offset1:5
	;; [unrolled: 1-line block ×7, first 2 shown]
	v_lshrrev_b32_e32 v2, 5, v93
	v_add_lshl_u32 v7, v3, v0, 3
	v_add_lshl_u32 v8, v4, v0, 3
	s_waitcnt lgkmcnt(0)
	s_barrier
	v_add_lshl_u32 v6, v2, v0, 3
	buffer_gl0_inv
	v_lshrrev_b32_e32 v20, 5, v84
	ds_load_b64 v[2:3], v5
	ds_load_b64 v[4:5], v6 offset:2048
	ds_load_b64 v[6:7], v7 offset:4096
	;; [unrolled: 1-line block ×3, first 2 shown]
	v_lshrrev_b32_e32 v10, 5, v90
	v_lshrrev_b32_e32 v18, 5, v86
	;; [unrolled: 1-line block ×5, first 2 shown]
	v_add_lshl_u32 v21, v19, v0, 3
	v_lshrrev_b32_e32 v19, 5, v82
	v_add_lshl_u32 v22, v20, v0, 3
	v_lshrrev_b32_e32 v20, 5, v83
	v_lshrrev_b32_e32 v23, 5, v81
	v_lshrrev_b32_e32 v24, 5, v80
	v_lshrrev_b32_e32 v25, 5, v79
	v_add_lshl_u32 v10, v10, v0, 3
	v_add_lshl_u32 v18, v18, v0, 3
	;; [unrolled: 1-line block ×10, first 2 shown]
	ds_load_b64 v[10:11], v10 offset:8192
	ds_load_b64 v[12:13], v14 offset:10240
	;; [unrolled: 1-line block ×12, first 2 shown]
	v_add_co_u32 v32, s1, s2, v94
	s_delay_alu instid0(VALU_DEP_1)
	v_add_co_ci_u32_e64 v61, null, s3, 0, s1
	s_waitcnt lgkmcnt(14)
	global_store_b64 v94, v[4:5], s[2:3] offset:2048
	v_add_co_u32 v4, vcc_lo, 0x1000, v32
	v_add_co_ci_u32_e32 v5, vcc_lo, 0, v61, vcc_lo
	v_add_co_u32 v39, vcc_lo, v32, 0x2000
	v_add_co_ci_u32_e32 v40, vcc_lo, 0, v61, vcc_lo
	;; [unrolled: 2-line block ×6, first 2 shown]
	s_waitcnt lgkmcnt(13)
	global_store_b64 v[39:40], v[6:7], off offset:-4096
	s_waitcnt lgkmcnt(11)
	global_store_b64 v[39:40], v[10:11], off
	s_waitcnt lgkmcnt(9)
	global_store_b64 v[51:52], v[14:15], off offset:-4096
	s_waitcnt lgkmcnt(7)
	s_clause 0x3
	global_store_b64 v[51:52], v[18:19], off
	global_store_b64 v[4:5], v[8:9], off offset:2048
	global_store_b64 v[43:44], v[12:13], off offset:2048
	;; [unrolled: 1-line block ×3, first 2 shown]
	s_waitcnt lgkmcnt(6)
	global_store_b64 v[55:56], v[20:21], off offset:2048
	v_add_co_u32 v4, vcc_lo, v32, 0x6000
	v_add_co_ci_u32_e32 v5, vcc_lo, 0, v61, vcc_lo
	v_add_co_u32 v6, vcc_lo, 0x5000, v32
	v_add_co_ci_u32_e32 v7, vcc_lo, 0, v61, vcc_lo
	;; [unrolled: 2-line block ×4, first 2 shown]
	s_mov_b32 s0, 0
	s_waitcnt lgkmcnt(5)
	s_clause 0x1
	global_store_b64 v[4:5], v[22:23], off offset:-4096
	global_store_b64 v94, v[2:3], s[2:3]
	s_waitcnt lgkmcnt(3)
	s_clause 0x1
	global_store_b64 v[4:5], v[26:27], off
	global_store_b64 v[6:7], v[24:25], off offset:2048
	s_waitcnt lgkmcnt(2)
	global_store_b64 v[8:9], v[28:29], off offset:2048
	s_waitcnt lgkmcnt(1)
	global_store_b64 v[10:11], v[30:31], off
	s_waitcnt lgkmcnt(0)
	global_store_b64 v[10:11], v[35:36], off offset:2048
.LBB110_104:
	s_and_not1_b32 vcc_lo, exec_lo, s0
	s_cbranch_vccnz .LBB110_122
; %bb.105:
	v_lshl_add_u32 v1, v96, 3, v1
	v_lshrrev_b32_e32 v2, 5, v92
	v_lshrrev_b32_e32 v3, 5, v91
	v_add_lshl_u32 v4, v95, v0, 3
	v_lshrrev_b32_e32 v10, 5, v90
	ds_store_2addr_b64 v1, v[59:60], v[63:64] offset1:1
	ds_store_2addr_b64 v1, v[33:34], v[65:66] offset0:2 offset1:3
	ds_store_2addr_b64 v1, v[37:38], v[67:68] offset0:4 offset1:5
	;; [unrolled: 1-line block ×7, first 2 shown]
	v_lshrrev_b32_e32 v1, 5, v93
	v_lshrrev_b32_e32 v11, 5, v89
	v_add_lshl_u32 v6, v2, v0, 3
	v_lshrrev_b32_e32 v12, 5, v88
	v_add_lshl_u32 v8, v3, v0, 3
	v_add_lshl_u32 v1, v1, v0, 3
	v_lshrrev_b32_e32 v13, 5, v87
	s_waitcnt lgkmcnt(0)
	s_waitcnt_vscnt null, 0x0
	s_barrier
	buffer_gl0_inv
	ds_load_b64 v[4:5], v4
	ds_load_b64 v[2:3], v1 offset:2048
	ds_load_b64 v[6:7], v6 offset:4096
	;; [unrolled: 1-line block ×3, first 2 shown]
	v_add_lshl_u32 v1, v10, v0, 3
	v_lshrrev_b32_e32 v18, 5, v86
	v_add_lshl_u32 v14, v11, v0, 3
	v_lshrrev_b32_e32 v19, 5, v85
	v_lshrrev_b32_e32 v20, 5, v84
	v_add_lshl_u32 v15, v12, v0, 3
	v_add_lshl_u32 v16, v13, v0, 3
	ds_load_b64 v[10:11], v1 offset:8192
	ds_load_b64 v[12:13], v14 offset:10240
	;; [unrolled: 1-line block ×4, first 2 shown]
	v_add_lshl_u32 v1, v18, v0, 3
	v_lshrrev_b32_e32 v18, 5, v82
	v_add_lshl_u32 v21, v19, v0, 3
	v_add_lshl_u32 v22, v20, v0, 3
	v_lshrrev_b32_e32 v19, 5, v83
	v_lshrrev_b32_e32 v20, 5, v81
	;; [unrolled: 1-line block ×4, first 2 shown]
	v_add_lshl_u32 v25, v18, v0, 3
	v_add_lshl_u32 v26, v19, v0, 3
	;; [unrolled: 1-line block ×5, first 2 shown]
	ds_load_b64 v[18:19], v1 offset:16384
	ds_load_b64 v[20:21], v21 offset:18432
	;; [unrolled: 1-line block ×8, first 2 shown]
	v_add_co_u32 v34, s0, s2, v94
	v_mov_b32_e32 v1, 0
	v_add_co_ci_u32_e64 v35, null, s3, 0, s0
	s_mov_b32 s0, exec_lo
	v_cmpx_gt_u32_e64 s22, v0
	s_cbranch_execnz .LBB110_138
; %bb.106:
	s_or_b32 exec_lo, exec_lo, s0
	s_delay_alu instid0(SALU_CYCLE_1)
	s_mov_b32 s0, exec_lo
	v_cmpx_gt_u32_e64 s22, v93
	s_cbranch_execnz .LBB110_139
.LBB110_107:
	s_or_b32 exec_lo, exec_lo, s0
	s_delay_alu instid0(SALU_CYCLE_1)
	s_mov_b32 s0, exec_lo
	v_cmpx_gt_u32_e64 s22, v92
	s_cbranch_execnz .LBB110_140
.LBB110_108:
	s_or_b32 exec_lo, exec_lo, s0
	s_delay_alu instid0(SALU_CYCLE_1)
	s_mov_b32 s0, exec_lo
	v_cmpx_gt_u32_e64 s22, v91
	s_cbranch_execnz .LBB110_141
.LBB110_109:
	s_or_b32 exec_lo, exec_lo, s0
	s_delay_alu instid0(SALU_CYCLE_1)
	s_mov_b32 s0, exec_lo
	v_cmpx_gt_u32_e64 s22, v90
	s_cbranch_execnz .LBB110_142
.LBB110_110:
	s_or_b32 exec_lo, exec_lo, s0
	s_delay_alu instid0(SALU_CYCLE_1)
	s_mov_b32 s0, exec_lo
	v_cmpx_gt_u32_e64 s22, v89
	s_cbranch_execnz .LBB110_143
.LBB110_111:
	s_or_b32 exec_lo, exec_lo, s0
	s_delay_alu instid0(SALU_CYCLE_1)
	s_mov_b32 s0, exec_lo
	v_cmpx_gt_u32_e64 s22, v88
	s_cbranch_execnz .LBB110_144
.LBB110_112:
	s_or_b32 exec_lo, exec_lo, s0
	s_delay_alu instid0(SALU_CYCLE_1)
	s_mov_b32 s0, exec_lo
	v_cmpx_gt_u32_e64 s22, v87
	s_cbranch_execnz .LBB110_145
.LBB110_113:
	s_or_b32 exec_lo, exec_lo, s0
	s_delay_alu instid0(SALU_CYCLE_1)
	s_mov_b32 s0, exec_lo
	v_cmpx_gt_u32_e64 s22, v86
	s_cbranch_execnz .LBB110_146
.LBB110_114:
	s_or_b32 exec_lo, exec_lo, s0
	s_delay_alu instid0(SALU_CYCLE_1)
	s_mov_b32 s0, exec_lo
	v_cmpx_gt_u32_e64 s22, v85
	s_cbranch_execnz .LBB110_147
.LBB110_115:
	s_or_b32 exec_lo, exec_lo, s0
	s_delay_alu instid0(SALU_CYCLE_1)
	s_mov_b32 s0, exec_lo
	v_cmpx_gt_u32_e64 s22, v84
	s_cbranch_execnz .LBB110_148
.LBB110_116:
	s_or_b32 exec_lo, exec_lo, s0
	s_delay_alu instid0(SALU_CYCLE_1)
	s_mov_b32 s0, exec_lo
	v_cmpx_gt_u32_e64 s22, v82
	s_cbranch_execnz .LBB110_149
.LBB110_117:
	s_or_b32 exec_lo, exec_lo, s0
	s_delay_alu instid0(SALU_CYCLE_1)
	s_mov_b32 s0, exec_lo
	v_cmpx_gt_u32_e64 s22, v83
	s_cbranch_execnz .LBB110_150
.LBB110_118:
	s_or_b32 exec_lo, exec_lo, s0
	s_delay_alu instid0(SALU_CYCLE_1)
	s_mov_b32 s0, exec_lo
	v_cmpx_gt_u32_e64 s22, v81
	s_cbranch_execnz .LBB110_151
.LBB110_119:
	s_or_b32 exec_lo, exec_lo, s0
	s_delay_alu instid0(SALU_CYCLE_1)
	s_mov_b32 s0, exec_lo
	v_cmpx_gt_u32_e64 s22, v80
	s_cbranch_execnz .LBB110_152
.LBB110_120:
	s_or_b32 exec_lo, exec_lo, s0
	s_delay_alu instid0(SALU_CYCLE_1)
	s_mov_b32 s0, exec_lo
	v_cmpx_gt_u32_e64 s22, v79
	s_cbranch_execnz .LBB110_153
.LBB110_121:
	s_or_b32 exec_lo, exec_lo, s0
	v_cmp_lt_u64_e64 s0, s[10:11], 2
	s_delay_alu instid0(VALU_DEP_1)
	s_and_b32 vcc_lo, exec_lo, s0
	s_cbranch_vccz .LBB110_154
.LBB110_122:
	s_nop 0
	s_sendmsg sendmsg(MSG_DEALLOC_VGPRS)
	s_endpgm
.LBB110_123:
	global_load_b64 v[31:32], v94, s[18:19]
	s_or_b32 exec_lo, exec_lo, s25
	s_delay_alu instid0(SALU_CYCLE_1)
	s_mov_b32 s1, exec_lo
	v_cmpx_gt_u32_e64 s22, v93
	s_cbranch_execz .LBB110_9
.LBB110_124:
	global_load_b64 v[25:26], v94, s[18:19] offset:2048
	s_or_b32 exec_lo, exec_lo, s1
	s_delay_alu instid0(SALU_CYCLE_1)
	s_mov_b32 s1, exec_lo
	v_cmpx_gt_u32_e64 s22, v92
	s_cbranch_execz .LBB110_10
.LBB110_125:
	v_lshlrev_b32_e32 v27, 3, v92
	global_load_b64 v[27:28], v27, s[18:19]
	s_or_b32 exec_lo, exec_lo, s1
	s_delay_alu instid0(SALU_CYCLE_1)
	s_mov_b32 s1, exec_lo
	v_cmpx_gt_u32_e64 s22, v91
	s_cbranch_execz .LBB110_11
.LBB110_126:
	v_lshlrev_b32_e32 v29, 3, v91
	global_load_b64 v[29:30], v29, s[18:19]
	s_or_b32 exec_lo, exec_lo, s1
	s_delay_alu instid0(SALU_CYCLE_1)
	s_mov_b32 s1, exec_lo
	v_cmpx_gt_u32_e64 s22, v90
	s_cbranch_execz .LBB110_12
.LBB110_127:
	v_lshlrev_b32_e32 v17, 3, v90
	global_load_b64 v[17:18], v17, s[18:19]
	s_or_b32 exec_lo, exec_lo, s1
	s_delay_alu instid0(SALU_CYCLE_1)
	s_mov_b32 s1, exec_lo
	v_cmpx_gt_u32_e64 s22, v89
	s_cbranch_execz .LBB110_13
.LBB110_128:
	v_lshlrev_b32_e32 v19, 3, v89
	global_load_b64 v[19:20], v19, s[18:19]
	s_or_b32 exec_lo, exec_lo, s1
	s_delay_alu instid0(SALU_CYCLE_1)
	s_mov_b32 s1, exec_lo
	v_cmpx_gt_u32_e64 s22, v88
	s_cbranch_execz .LBB110_14
.LBB110_129:
	v_lshlrev_b32_e32 v21, 3, v88
	global_load_b64 v[21:22], v21, s[18:19]
	s_or_b32 exec_lo, exec_lo, s1
	s_delay_alu instid0(SALU_CYCLE_1)
	s_mov_b32 s1, exec_lo
	v_cmpx_gt_u32_e64 s22, v87
	s_cbranch_execz .LBB110_15
.LBB110_130:
	v_lshlrev_b32_e32 v23, 3, v87
	global_load_b64 v[23:24], v23, s[18:19]
	s_or_b32 exec_lo, exec_lo, s1
	s_delay_alu instid0(SALU_CYCLE_1)
	s_mov_b32 s1, exec_lo
	v_cmpx_gt_u32_e64 s22, v86
	s_cbranch_execz .LBB110_16
.LBB110_131:
	v_lshlrev_b32_e32 v1, 3, v86
	global_load_b64 v[1:2], v1, s[18:19]
	s_or_b32 exec_lo, exec_lo, s1
	s_delay_alu instid0(SALU_CYCLE_1)
	s_mov_b32 s1, exec_lo
	v_cmpx_gt_u32_e64 s22, v85
	s_cbranch_execz .LBB110_17
.LBB110_132:
	v_lshlrev_b32_e32 v3, 3, v85
	global_load_b64 v[3:4], v3, s[18:19]
	s_or_b32 exec_lo, exec_lo, s1
	s_delay_alu instid0(SALU_CYCLE_1)
	s_mov_b32 s1, exec_lo
	v_cmpx_gt_u32_e64 s22, v84
	s_cbranch_execz .LBB110_18
.LBB110_133:
	v_lshlrev_b32_e32 v5, 3, v84
	global_load_b64 v[5:6], v5, s[18:19]
	s_or_b32 exec_lo, exec_lo, s1
	s_delay_alu instid0(SALU_CYCLE_1)
	s_mov_b32 s1, exec_lo
	v_cmpx_gt_u32_e64 s22, v82
	s_cbranch_execz .LBB110_19
.LBB110_134:
	v_lshlrev_b32_e32 v7, 3, v82
	global_load_b64 v[7:8], v7, s[18:19]
	s_or_b32 exec_lo, exec_lo, s1
	s_delay_alu instid0(SALU_CYCLE_1)
	s_mov_b32 s1, exec_lo
	v_cmpx_gt_u32_e64 s22, v83
	s_cbranch_execz .LBB110_20
.LBB110_135:
	v_lshlrev_b32_e32 v9, 3, v83
	global_load_b64 v[9:10], v9, s[18:19]
	s_or_b32 exec_lo, exec_lo, s1
	s_delay_alu instid0(SALU_CYCLE_1)
	s_mov_b32 s1, exec_lo
	v_cmpx_gt_u32_e64 s22, v81
	s_cbranch_execz .LBB110_21
.LBB110_136:
	v_lshlrev_b32_e32 v11, 3, v81
	global_load_b64 v[11:12], v11, s[18:19]
	s_or_b32 exec_lo, exec_lo, s1
	s_delay_alu instid0(SALU_CYCLE_1)
	s_mov_b32 s1, exec_lo
	v_cmpx_gt_u32_e64 s22, v80
	s_cbranch_execz .LBB110_22
.LBB110_137:
	v_lshlrev_b32_e32 v13, 3, v80
	global_load_b64 v[13:14], v13, s[18:19]
	s_or_b32 exec_lo, exec_lo, s1
	s_delay_alu instid0(SALU_CYCLE_1)
	s_mov_b32 s1, exec_lo
	v_cmpx_gt_u32_e64 s22, v79
	s_cbranch_execnz .LBB110_23
	s_branch .LBB110_24
.LBB110_138:
	s_waitcnt lgkmcnt(15)
	global_store_b64 v[34:35], v[4:5], off
	s_or_b32 exec_lo, exec_lo, s0
	s_delay_alu instid0(SALU_CYCLE_1)
	s_mov_b32 s0, exec_lo
	v_cmpx_gt_u32_e64 s22, v93
	s_cbranch_execz .LBB110_107
.LBB110_139:
	s_waitcnt lgkmcnt(14)
	global_store_b64 v[34:35], v[2:3], off offset:2048
	s_or_b32 exec_lo, exec_lo, s0
	s_delay_alu instid0(SALU_CYCLE_1)
	s_mov_b32 s0, exec_lo
	v_cmpx_gt_u32_e64 s22, v92
	s_cbranch_execz .LBB110_108
.LBB110_140:
	v_add_co_u32 v36, vcc_lo, 0x1000, v34
	v_add_co_ci_u32_e32 v37, vcc_lo, 0, v35, vcc_lo
	s_waitcnt lgkmcnt(13)
	global_store_b64 v[36:37], v[6:7], off
	s_or_b32 exec_lo, exec_lo, s0
	s_delay_alu instid0(SALU_CYCLE_1)
	s_mov_b32 s0, exec_lo
	v_cmpx_gt_u32_e64 s22, v91
	s_cbranch_execz .LBB110_109
.LBB110_141:
	v_add_co_u32 v36, vcc_lo, 0x1000, v34
	v_add_co_ci_u32_e32 v37, vcc_lo, 0, v35, vcc_lo
	s_waitcnt lgkmcnt(12)
	global_store_b64 v[36:37], v[8:9], off offset:2048
	s_or_b32 exec_lo, exec_lo, s0
	s_delay_alu instid0(SALU_CYCLE_1)
	s_mov_b32 s0, exec_lo
	v_cmpx_gt_u32_e64 s22, v90
	s_cbranch_execz .LBB110_110
.LBB110_142:
	v_add_co_u32 v36, vcc_lo, 0x2000, v34
	v_add_co_ci_u32_e32 v37, vcc_lo, 0, v35, vcc_lo
	s_waitcnt lgkmcnt(11)
	global_store_b64 v[36:37], v[10:11], off
	s_or_b32 exec_lo, exec_lo, s0
	s_delay_alu instid0(SALU_CYCLE_1)
	s_mov_b32 s0, exec_lo
	v_cmpx_gt_u32_e64 s22, v89
	s_cbranch_execz .LBB110_111
.LBB110_143:
	v_add_co_u32 v36, vcc_lo, 0x2000, v34
	v_add_co_ci_u32_e32 v37, vcc_lo, 0, v35, vcc_lo
	s_waitcnt lgkmcnt(10)
	global_store_b64 v[36:37], v[12:13], off offset:2048
	s_or_b32 exec_lo, exec_lo, s0
	s_delay_alu instid0(SALU_CYCLE_1)
	s_mov_b32 s0, exec_lo
	v_cmpx_gt_u32_e64 s22, v88
	s_cbranch_execz .LBB110_112
.LBB110_144:
	v_add_co_u32 v36, vcc_lo, 0x3000, v34
	v_add_co_ci_u32_e32 v37, vcc_lo, 0, v35, vcc_lo
	s_waitcnt lgkmcnt(9)
	global_store_b64 v[36:37], v[14:15], off
	s_or_b32 exec_lo, exec_lo, s0
	s_delay_alu instid0(SALU_CYCLE_1)
	s_mov_b32 s0, exec_lo
	v_cmpx_gt_u32_e64 s22, v87
	s_cbranch_execz .LBB110_113
.LBB110_145:
	v_add_co_u32 v36, vcc_lo, 0x3000, v34
	v_add_co_ci_u32_e32 v37, vcc_lo, 0, v35, vcc_lo
	s_waitcnt lgkmcnt(8)
	global_store_b64 v[36:37], v[16:17], off offset:2048
	s_or_b32 exec_lo, exec_lo, s0
	s_delay_alu instid0(SALU_CYCLE_1)
	s_mov_b32 s0, exec_lo
	v_cmpx_gt_u32_e64 s22, v86
	s_cbranch_execz .LBB110_114
.LBB110_146:
	v_add_co_u32 v36, vcc_lo, 0x4000, v34
	v_add_co_ci_u32_e32 v37, vcc_lo, 0, v35, vcc_lo
	s_waitcnt lgkmcnt(7)
	global_store_b64 v[36:37], v[18:19], off
	s_or_b32 exec_lo, exec_lo, s0
	s_delay_alu instid0(SALU_CYCLE_1)
	s_mov_b32 s0, exec_lo
	v_cmpx_gt_u32_e64 s22, v85
	s_cbranch_execz .LBB110_115
.LBB110_147:
	v_add_co_u32 v36, vcc_lo, 0x4000, v34
	v_add_co_ci_u32_e32 v37, vcc_lo, 0, v35, vcc_lo
	s_waitcnt lgkmcnt(6)
	global_store_b64 v[36:37], v[20:21], off offset:2048
	s_or_b32 exec_lo, exec_lo, s0
	s_delay_alu instid0(SALU_CYCLE_1)
	s_mov_b32 s0, exec_lo
	v_cmpx_gt_u32_e64 s22, v84
	s_cbranch_execz .LBB110_116
.LBB110_148:
	v_add_co_u32 v36, vcc_lo, 0x5000, v34
	v_add_co_ci_u32_e32 v37, vcc_lo, 0, v35, vcc_lo
	s_waitcnt lgkmcnt(5)
	global_store_b64 v[36:37], v[22:23], off
	s_or_b32 exec_lo, exec_lo, s0
	s_delay_alu instid0(SALU_CYCLE_1)
	s_mov_b32 s0, exec_lo
	v_cmpx_gt_u32_e64 s22, v82
	s_cbranch_execz .LBB110_117
.LBB110_149:
	v_add_co_u32 v36, vcc_lo, 0x5000, v34
	v_add_co_ci_u32_e32 v37, vcc_lo, 0, v35, vcc_lo
	s_waitcnt lgkmcnt(4)
	global_store_b64 v[36:37], v[24:25], off offset:2048
	s_or_b32 exec_lo, exec_lo, s0
	s_delay_alu instid0(SALU_CYCLE_1)
	s_mov_b32 s0, exec_lo
	v_cmpx_gt_u32_e64 s22, v83
	s_cbranch_execz .LBB110_118
.LBB110_150:
	v_add_co_u32 v36, vcc_lo, 0x6000, v34
	v_add_co_ci_u32_e32 v37, vcc_lo, 0, v35, vcc_lo
	s_waitcnt lgkmcnt(3)
	global_store_b64 v[36:37], v[26:27], off
	s_or_b32 exec_lo, exec_lo, s0
	s_delay_alu instid0(SALU_CYCLE_1)
	s_mov_b32 s0, exec_lo
	v_cmpx_gt_u32_e64 s22, v81
	s_cbranch_execz .LBB110_119
.LBB110_151:
	v_add_co_u32 v36, vcc_lo, 0x6000, v34
	v_add_co_ci_u32_e32 v37, vcc_lo, 0, v35, vcc_lo
	s_waitcnt lgkmcnt(2)
	global_store_b64 v[36:37], v[28:29], off offset:2048
	s_or_b32 exec_lo, exec_lo, s0
	s_delay_alu instid0(SALU_CYCLE_1)
	s_mov_b32 s0, exec_lo
	v_cmpx_gt_u32_e64 s22, v80
	s_cbranch_execz .LBB110_120
.LBB110_152:
	v_add_co_u32 v36, vcc_lo, 0x7000, v34
	v_add_co_ci_u32_e32 v37, vcc_lo, 0, v35, vcc_lo
	s_waitcnt lgkmcnt(1)
	global_store_b64 v[36:37], v[30:31], off
	s_or_b32 exec_lo, exec_lo, s0
	s_delay_alu instid0(SALU_CYCLE_1)
	s_mov_b32 s0, exec_lo
	v_cmpx_gt_u32_e64 s22, v79
	s_cbranch_execz .LBB110_121
.LBB110_153:
	v_add_co_u32 v34, vcc_lo, 0x7000, v34
	v_add_co_ci_u32_e32 v35, vcc_lo, 0, v35, vcc_lo
	s_waitcnt lgkmcnt(0)
	global_store_b64 v[34:35], v[32:33], off offset:2048
	s_or_b32 exec_lo, exec_lo, s0
	v_cmp_lt_u64_e64 s0, s[10:11], 2
	s_delay_alu instid0(VALU_DEP_1)
	s_and_b32 vcc_lo, exec_lo, s0
	s_cbranch_vccnz .LBB110_122
.LBB110_154:
	s_add_u32 s0, s22, -1
	s_addc_u32 s1, s23, -1
	s_delay_alu instid0(SALU_CYCLE_1)
	s_lshr_b64 s[2:3], s[0:1], 4
	s_mov_b32 s1, exec_lo
	v_cmpx_eq_u64_e64 s[2:3], v[0:1]
	s_cbranch_execz .LBB110_122
; %bb.155:
	s_and_b32 s0, s0, 15
	s_mov_b32 s1, 0
	s_delay_alu instid0(SALU_CYCLE_1) | instskip(NEXT) | instid1(VALU_DEP_1)
	v_cmp_lt_i64_e64 s2, s[0:1], 8
	s_and_b32 vcc_lo, exec_lo, s2
	s_mov_b32 s2, -1
	s_cbranch_vccnz .LBB110_182
; %bb.156:
	v_cmp_lt_i64_e64 s2, s[0:1], 12
	s_delay_alu instid0(VALU_DEP_1)
	s_and_b32 vcc_lo, exec_lo, s2
	s_mov_b32 s2, -1
	s_cbranch_vccnz .LBB110_169
; %bb.157:
	v_cmp_lt_i64_e64 s2, s[0:1], 14
	s_delay_alu instid0(VALU_DEP_1)
	s_and_b32 vcc_lo, exec_lo, s2
	s_mov_b32 s2, -1
	s_cbranch_vccnz .LBB110_163
; %bb.158:
	v_cmp_gt_i64_e64 s2, s[0:1], 14
	s_delay_alu instid0(VALU_DEP_1)
	s_and_b32 vcc_lo, exec_lo, s2
	s_mov_b32 s2, -1
	s_cbranch_vccz .LBB110_160
; %bb.159:
	v_mov_b32_e32 v0, 0
	s_mov_b32 s2, 0
	s_waitcnt lgkmcnt(0)
	global_store_b64 v0, v[32:33], s[6:7]
.LBB110_160:
	s_and_not1_b32 vcc_lo, exec_lo, s2
	s_cbranch_vccnz .LBB110_162
; %bb.161:
	v_mov_b32_e32 v0, 0
	s_waitcnt lgkmcnt(1)
	global_store_b64 v0, v[30:31], s[6:7]
.LBB110_162:
	s_mov_b32 s2, 0
.LBB110_163:
	s_delay_alu instid0(SALU_CYCLE_1)
	s_and_not1_b32 vcc_lo, exec_lo, s2
	s_cbranch_vccnz .LBB110_168
; %bb.164:
	v_cmp_gt_i64_e64 s2, s[0:1], 12
	s_delay_alu instid0(VALU_DEP_1)
	s_and_b32 vcc_lo, exec_lo, s2
	s_mov_b32 s2, -1
	s_cbranch_vccz .LBB110_166
; %bb.165:
	v_mov_b32_e32 v0, 0
	s_mov_b32 s2, 0
	s_waitcnt lgkmcnt(2)
	global_store_b64 v0, v[28:29], s[6:7]
.LBB110_166:
	s_and_not1_b32 vcc_lo, exec_lo, s2
	s_cbranch_vccnz .LBB110_168
; %bb.167:
	v_mov_b32_e32 v0, 0
	s_waitcnt lgkmcnt(3)
	global_store_b64 v0, v[26:27], s[6:7]
.LBB110_168:
	s_mov_b32 s2, 0
.LBB110_169:
	s_delay_alu instid0(SALU_CYCLE_1)
	s_and_not1_b32 vcc_lo, exec_lo, s2
	s_cbranch_vccnz .LBB110_181
; %bb.170:
	v_cmp_lt_i64_e64 s2, s[0:1], 10
	s_delay_alu instid0(VALU_DEP_1)
	s_and_b32 vcc_lo, exec_lo, s2
	s_mov_b32 s2, -1
	s_cbranch_vccnz .LBB110_176
; %bb.171:
	v_cmp_gt_i64_e64 s2, s[0:1], 10
	s_delay_alu instid0(VALU_DEP_1)
	s_and_b32 vcc_lo, exec_lo, s2
	s_mov_b32 s2, -1
	s_cbranch_vccz .LBB110_173
; %bb.172:
	v_mov_b32_e32 v0, 0
	s_mov_b32 s2, 0
	s_waitcnt lgkmcnt(4)
	global_store_b64 v0, v[24:25], s[6:7]
.LBB110_173:
	s_and_not1_b32 vcc_lo, exec_lo, s2
	s_cbranch_vccnz .LBB110_175
; %bb.174:
	v_mov_b32_e32 v0, 0
	s_waitcnt lgkmcnt(5)
	global_store_b64 v0, v[22:23], s[6:7]
.LBB110_175:
	s_mov_b32 s2, 0
.LBB110_176:
	s_delay_alu instid0(SALU_CYCLE_1)
	s_and_not1_b32 vcc_lo, exec_lo, s2
	s_cbranch_vccnz .LBB110_181
; %bb.177:
	v_cmp_gt_i64_e64 s2, s[0:1], 8
	s_delay_alu instid0(VALU_DEP_1)
	s_and_b32 vcc_lo, exec_lo, s2
	s_mov_b32 s2, -1
	s_cbranch_vccz .LBB110_179
; %bb.178:
	v_mov_b32_e32 v0, 0
	s_mov_b32 s2, 0
	s_waitcnt lgkmcnt(6)
	global_store_b64 v0, v[20:21], s[6:7]
.LBB110_179:
	s_and_not1_b32 vcc_lo, exec_lo, s2
	s_cbranch_vccnz .LBB110_181
; %bb.180:
	v_mov_b32_e32 v0, 0
	s_waitcnt lgkmcnt(7)
	global_store_b64 v0, v[18:19], s[6:7]
.LBB110_181:
	s_mov_b32 s2, 0
.LBB110_182:
	s_delay_alu instid0(SALU_CYCLE_1)
	s_and_not1_b32 vcc_lo, exec_lo, s2
	s_cbranch_vccnz .LBB110_122
; %bb.183:
	v_cmp_lt_i64_e64 s2, s[0:1], 4
	s_delay_alu instid0(VALU_DEP_1)
	s_and_b32 vcc_lo, exec_lo, s2
	s_mov_b32 s2, -1
	s_cbranch_vccnz .LBB110_196
; %bb.184:
	v_cmp_lt_i64_e64 s2, s[0:1], 6
	s_delay_alu instid0(VALU_DEP_1)
	s_and_b32 vcc_lo, exec_lo, s2
	s_mov_b32 s2, -1
	s_cbranch_vccnz .LBB110_190
; %bb.185:
	v_cmp_gt_i64_e64 s2, s[0:1], 6
	s_delay_alu instid0(VALU_DEP_1)
	s_and_b32 vcc_lo, exec_lo, s2
	s_mov_b32 s2, -1
	s_cbranch_vccz .LBB110_187
; %bb.186:
	v_mov_b32_e32 v0, 0
	s_mov_b32 s2, 0
	s_waitcnt lgkmcnt(8)
	global_store_b64 v0, v[16:17], s[6:7]
.LBB110_187:
	s_and_not1_b32 vcc_lo, exec_lo, s2
	s_cbranch_vccnz .LBB110_189
; %bb.188:
	v_mov_b32_e32 v0, 0
	s_waitcnt lgkmcnt(9)
	global_store_b64 v0, v[14:15], s[6:7]
.LBB110_189:
	s_mov_b32 s2, 0
.LBB110_190:
	s_delay_alu instid0(SALU_CYCLE_1)
	s_and_not1_b32 vcc_lo, exec_lo, s2
	s_cbranch_vccnz .LBB110_195
; %bb.191:
	v_cmp_gt_i64_e64 s2, s[0:1], 4
	s_delay_alu instid0(VALU_DEP_1)
	s_and_b32 vcc_lo, exec_lo, s2
	s_mov_b32 s2, -1
	s_cbranch_vccz .LBB110_193
; %bb.192:
	v_mov_b32_e32 v0, 0
	s_mov_b32 s2, 0
	s_waitcnt lgkmcnt(10)
	global_store_b64 v0, v[12:13], s[6:7]
.LBB110_193:
	s_and_not1_b32 vcc_lo, exec_lo, s2
	s_cbranch_vccnz .LBB110_195
; %bb.194:
	v_mov_b32_e32 v0, 0
	s_waitcnt lgkmcnt(11)
	global_store_b64 v0, v[10:11], s[6:7]
.LBB110_195:
	s_mov_b32 s2, 0
.LBB110_196:
	s_delay_alu instid0(SALU_CYCLE_1)
	s_and_not1_b32 vcc_lo, exec_lo, s2
	s_cbranch_vccnz .LBB110_122
; %bb.197:
	v_cmp_lt_i64_e64 s2, s[0:1], 2
	s_delay_alu instid0(VALU_DEP_1)
	s_and_b32 vcc_lo, exec_lo, s2
	s_mov_b32 s2, -1
	s_cbranch_vccnz .LBB110_203
; %bb.198:
	v_cmp_gt_i64_e64 s2, s[0:1], 2
	s_delay_alu instid0(VALU_DEP_1)
	s_and_b32 vcc_lo, exec_lo, s2
	s_mov_b32 s2, -1
	s_cbranch_vccz .LBB110_200
; %bb.199:
	v_mov_b32_e32 v0, 0
	s_mov_b32 s2, 0
	s_waitcnt lgkmcnt(12)
	global_store_b64 v0, v[8:9], s[6:7]
.LBB110_200:
	s_and_not1_b32 vcc_lo, exec_lo, s2
	s_cbranch_vccnz .LBB110_202
; %bb.201:
	v_mov_b32_e32 v0, 0
	s_waitcnt lgkmcnt(13)
	global_store_b64 v0, v[6:7], s[6:7]
.LBB110_202:
	s_mov_b32 s2, 0
.LBB110_203:
	s_delay_alu instid0(SALU_CYCLE_1)
	s_and_not1_b32 vcc_lo, exec_lo, s2
	s_cbranch_vccnz .LBB110_122
; %bb.204:
	s_cmp_eq_u64 s[0:1], 1
	s_mov_b32 s0, -1
	s_cbranch_scc1 .LBB110_206
; %bb.205:
	v_mov_b32_e32 v0, 0
	s_mov_b32 s0, 0
	s_waitcnt lgkmcnt(15)
	global_store_b64 v0, v[4:5], s[6:7]
.LBB110_206:
	s_and_not1_b32 vcc_lo, exec_lo, s0
	s_cbranch_vccnz .LBB110_122
; %bb.207:
	v_mov_b32_e32 v0, 0
	s_waitcnt lgkmcnt(14)
	global_store_b64 v0, v[2:3], s[6:7]
	s_nop 0
	s_sendmsg sendmsg(MSG_DEALLOC_VGPRS)
	s_endpgm
	.section	.rodata,"a",@progbits
	.p2align	6, 0x0
	.amdhsa_kernel _ZN7rocprim17ROCPRIM_400000_NS6detail17trampoline_kernelINS0_14default_configENS1_20scan_config_selectorIlEEZZNS1_9scan_implILNS1_25lookback_scan_determinismE0ELb0ELb0ES3_PlS8_lN6thrust23THRUST_200600_302600_NS4plusIvEElEEDaPvRmT3_T4_T5_mT6_P12ihipStream_tbENKUlT_T0_E_clISt17integral_constantIbLb1EESQ_EEDaSL_SM_EUlSL_E_NS1_11comp_targetILNS1_3genE9ELNS1_11target_archE1100ELNS1_3gpuE3ELNS1_3repE0EEENS1_30default_config_static_selectorELNS0_4arch9wavefront6targetE0EEEvT1_
		.amdhsa_group_segment_fixed_size 33792
		.amdhsa_private_segment_fixed_size 0
		.amdhsa_kernarg_size 104
		.amdhsa_user_sgpr_count 15
		.amdhsa_user_sgpr_dispatch_ptr 0
		.amdhsa_user_sgpr_queue_ptr 0
		.amdhsa_user_sgpr_kernarg_segment_ptr 1
		.amdhsa_user_sgpr_dispatch_id 0
		.amdhsa_user_sgpr_private_segment_size 0
		.amdhsa_wavefront_size32 1
		.amdhsa_uses_dynamic_stack 0
		.amdhsa_enable_private_segment 0
		.amdhsa_system_sgpr_workgroup_id_x 1
		.amdhsa_system_sgpr_workgroup_id_y 0
		.amdhsa_system_sgpr_workgroup_id_z 0
		.amdhsa_system_sgpr_workgroup_info 0
		.amdhsa_system_vgpr_workitem_id 0
		.amdhsa_next_free_vgpr 109
		.amdhsa_next_free_sgpr 30
		.amdhsa_reserve_vcc 1
		.amdhsa_float_round_mode_32 0
		.amdhsa_float_round_mode_16_64 0
		.amdhsa_float_denorm_mode_32 3
		.amdhsa_float_denorm_mode_16_64 3
		.amdhsa_dx10_clamp 1
		.amdhsa_ieee_mode 1
		.amdhsa_fp16_overflow 0
		.amdhsa_workgroup_processor_mode 1
		.amdhsa_memory_ordered 1
		.amdhsa_forward_progress 0
		.amdhsa_shared_vgpr_count 0
		.amdhsa_exception_fp_ieee_invalid_op 0
		.amdhsa_exception_fp_denorm_src 0
		.amdhsa_exception_fp_ieee_div_zero 0
		.amdhsa_exception_fp_ieee_overflow 0
		.amdhsa_exception_fp_ieee_underflow 0
		.amdhsa_exception_fp_ieee_inexact 0
		.amdhsa_exception_int_div_zero 0
	.end_amdhsa_kernel
	.section	.text._ZN7rocprim17ROCPRIM_400000_NS6detail17trampoline_kernelINS0_14default_configENS1_20scan_config_selectorIlEEZZNS1_9scan_implILNS1_25lookback_scan_determinismE0ELb0ELb0ES3_PlS8_lN6thrust23THRUST_200600_302600_NS4plusIvEElEEDaPvRmT3_T4_T5_mT6_P12ihipStream_tbENKUlT_T0_E_clISt17integral_constantIbLb1EESQ_EEDaSL_SM_EUlSL_E_NS1_11comp_targetILNS1_3genE9ELNS1_11target_archE1100ELNS1_3gpuE3ELNS1_3repE0EEENS1_30default_config_static_selectorELNS0_4arch9wavefront6targetE0EEEvT1_,"axG",@progbits,_ZN7rocprim17ROCPRIM_400000_NS6detail17trampoline_kernelINS0_14default_configENS1_20scan_config_selectorIlEEZZNS1_9scan_implILNS1_25lookback_scan_determinismE0ELb0ELb0ES3_PlS8_lN6thrust23THRUST_200600_302600_NS4plusIvEElEEDaPvRmT3_T4_T5_mT6_P12ihipStream_tbENKUlT_T0_E_clISt17integral_constantIbLb1EESQ_EEDaSL_SM_EUlSL_E_NS1_11comp_targetILNS1_3genE9ELNS1_11target_archE1100ELNS1_3gpuE3ELNS1_3repE0EEENS1_30default_config_static_selectorELNS0_4arch9wavefront6targetE0EEEvT1_,comdat
.Lfunc_end110:
	.size	_ZN7rocprim17ROCPRIM_400000_NS6detail17trampoline_kernelINS0_14default_configENS1_20scan_config_selectorIlEEZZNS1_9scan_implILNS1_25lookback_scan_determinismE0ELb0ELb0ES3_PlS8_lN6thrust23THRUST_200600_302600_NS4plusIvEElEEDaPvRmT3_T4_T5_mT6_P12ihipStream_tbENKUlT_T0_E_clISt17integral_constantIbLb1EESQ_EEDaSL_SM_EUlSL_E_NS1_11comp_targetILNS1_3genE9ELNS1_11target_archE1100ELNS1_3gpuE3ELNS1_3repE0EEENS1_30default_config_static_selectorELNS0_4arch9wavefront6targetE0EEEvT1_, .Lfunc_end110-_ZN7rocprim17ROCPRIM_400000_NS6detail17trampoline_kernelINS0_14default_configENS1_20scan_config_selectorIlEEZZNS1_9scan_implILNS1_25lookback_scan_determinismE0ELb0ELb0ES3_PlS8_lN6thrust23THRUST_200600_302600_NS4plusIvEElEEDaPvRmT3_T4_T5_mT6_P12ihipStream_tbENKUlT_T0_E_clISt17integral_constantIbLb1EESQ_EEDaSL_SM_EUlSL_E_NS1_11comp_targetILNS1_3genE9ELNS1_11target_archE1100ELNS1_3gpuE3ELNS1_3repE0EEENS1_30default_config_static_selectorELNS0_4arch9wavefront6targetE0EEEvT1_
                                        ; -- End function
	.section	.AMDGPU.csdata,"",@progbits
; Kernel info:
; codeLenInByte = 11296
; NumSgprs: 32
; NumVgprs: 109
; ScratchSize: 0
; MemoryBound: 0
; FloatMode: 240
; IeeeMode: 1
; LDSByteSize: 33792 bytes/workgroup (compile time only)
; SGPRBlocks: 3
; VGPRBlocks: 13
; NumSGPRsForWavesPerEU: 32
; NumVGPRsForWavesPerEU: 109
; Occupancy: 6
; WaveLimiterHint : 1
; COMPUTE_PGM_RSRC2:SCRATCH_EN: 0
; COMPUTE_PGM_RSRC2:USER_SGPR: 15
; COMPUTE_PGM_RSRC2:TRAP_HANDLER: 0
; COMPUTE_PGM_RSRC2:TGID_X_EN: 1
; COMPUTE_PGM_RSRC2:TGID_Y_EN: 0
; COMPUTE_PGM_RSRC2:TGID_Z_EN: 0
; COMPUTE_PGM_RSRC2:TIDIG_COMP_CNT: 0
	.section	.text._ZN7rocprim17ROCPRIM_400000_NS6detail17trampoline_kernelINS0_14default_configENS1_20scan_config_selectorIlEEZZNS1_9scan_implILNS1_25lookback_scan_determinismE0ELb0ELb0ES3_PlS8_lN6thrust23THRUST_200600_302600_NS4plusIvEElEEDaPvRmT3_T4_T5_mT6_P12ihipStream_tbENKUlT_T0_E_clISt17integral_constantIbLb1EESQ_EEDaSL_SM_EUlSL_E_NS1_11comp_targetILNS1_3genE8ELNS1_11target_archE1030ELNS1_3gpuE2ELNS1_3repE0EEENS1_30default_config_static_selectorELNS0_4arch9wavefront6targetE0EEEvT1_,"axG",@progbits,_ZN7rocprim17ROCPRIM_400000_NS6detail17trampoline_kernelINS0_14default_configENS1_20scan_config_selectorIlEEZZNS1_9scan_implILNS1_25lookback_scan_determinismE0ELb0ELb0ES3_PlS8_lN6thrust23THRUST_200600_302600_NS4plusIvEElEEDaPvRmT3_T4_T5_mT6_P12ihipStream_tbENKUlT_T0_E_clISt17integral_constantIbLb1EESQ_EEDaSL_SM_EUlSL_E_NS1_11comp_targetILNS1_3genE8ELNS1_11target_archE1030ELNS1_3gpuE2ELNS1_3repE0EEENS1_30default_config_static_selectorELNS0_4arch9wavefront6targetE0EEEvT1_,comdat
	.protected	_ZN7rocprim17ROCPRIM_400000_NS6detail17trampoline_kernelINS0_14default_configENS1_20scan_config_selectorIlEEZZNS1_9scan_implILNS1_25lookback_scan_determinismE0ELb0ELb0ES3_PlS8_lN6thrust23THRUST_200600_302600_NS4plusIvEElEEDaPvRmT3_T4_T5_mT6_P12ihipStream_tbENKUlT_T0_E_clISt17integral_constantIbLb1EESQ_EEDaSL_SM_EUlSL_E_NS1_11comp_targetILNS1_3genE8ELNS1_11target_archE1030ELNS1_3gpuE2ELNS1_3repE0EEENS1_30default_config_static_selectorELNS0_4arch9wavefront6targetE0EEEvT1_ ; -- Begin function _ZN7rocprim17ROCPRIM_400000_NS6detail17trampoline_kernelINS0_14default_configENS1_20scan_config_selectorIlEEZZNS1_9scan_implILNS1_25lookback_scan_determinismE0ELb0ELb0ES3_PlS8_lN6thrust23THRUST_200600_302600_NS4plusIvEElEEDaPvRmT3_T4_T5_mT6_P12ihipStream_tbENKUlT_T0_E_clISt17integral_constantIbLb1EESQ_EEDaSL_SM_EUlSL_E_NS1_11comp_targetILNS1_3genE8ELNS1_11target_archE1030ELNS1_3gpuE2ELNS1_3repE0EEENS1_30default_config_static_selectorELNS0_4arch9wavefront6targetE0EEEvT1_
	.globl	_ZN7rocprim17ROCPRIM_400000_NS6detail17trampoline_kernelINS0_14default_configENS1_20scan_config_selectorIlEEZZNS1_9scan_implILNS1_25lookback_scan_determinismE0ELb0ELb0ES3_PlS8_lN6thrust23THRUST_200600_302600_NS4plusIvEElEEDaPvRmT3_T4_T5_mT6_P12ihipStream_tbENKUlT_T0_E_clISt17integral_constantIbLb1EESQ_EEDaSL_SM_EUlSL_E_NS1_11comp_targetILNS1_3genE8ELNS1_11target_archE1030ELNS1_3gpuE2ELNS1_3repE0EEENS1_30default_config_static_selectorELNS0_4arch9wavefront6targetE0EEEvT1_
	.p2align	8
	.type	_ZN7rocprim17ROCPRIM_400000_NS6detail17trampoline_kernelINS0_14default_configENS1_20scan_config_selectorIlEEZZNS1_9scan_implILNS1_25lookback_scan_determinismE0ELb0ELb0ES3_PlS8_lN6thrust23THRUST_200600_302600_NS4plusIvEElEEDaPvRmT3_T4_T5_mT6_P12ihipStream_tbENKUlT_T0_E_clISt17integral_constantIbLb1EESQ_EEDaSL_SM_EUlSL_E_NS1_11comp_targetILNS1_3genE8ELNS1_11target_archE1030ELNS1_3gpuE2ELNS1_3repE0EEENS1_30default_config_static_selectorELNS0_4arch9wavefront6targetE0EEEvT1_,@function
_ZN7rocprim17ROCPRIM_400000_NS6detail17trampoline_kernelINS0_14default_configENS1_20scan_config_selectorIlEEZZNS1_9scan_implILNS1_25lookback_scan_determinismE0ELb0ELb0ES3_PlS8_lN6thrust23THRUST_200600_302600_NS4plusIvEElEEDaPvRmT3_T4_T5_mT6_P12ihipStream_tbENKUlT_T0_E_clISt17integral_constantIbLb1EESQ_EEDaSL_SM_EUlSL_E_NS1_11comp_targetILNS1_3genE8ELNS1_11target_archE1030ELNS1_3gpuE2ELNS1_3repE0EEENS1_30default_config_static_selectorELNS0_4arch9wavefront6targetE0EEEvT1_: ; @_ZN7rocprim17ROCPRIM_400000_NS6detail17trampoline_kernelINS0_14default_configENS1_20scan_config_selectorIlEEZZNS1_9scan_implILNS1_25lookback_scan_determinismE0ELb0ELb0ES3_PlS8_lN6thrust23THRUST_200600_302600_NS4plusIvEElEEDaPvRmT3_T4_T5_mT6_P12ihipStream_tbENKUlT_T0_E_clISt17integral_constantIbLb1EESQ_EEDaSL_SM_EUlSL_E_NS1_11comp_targetILNS1_3genE8ELNS1_11target_archE1030ELNS1_3gpuE2ELNS1_3repE0EEENS1_30default_config_static_selectorELNS0_4arch9wavefront6targetE0EEEvT1_
; %bb.0:
	.section	.rodata,"a",@progbits
	.p2align	6, 0x0
	.amdhsa_kernel _ZN7rocprim17ROCPRIM_400000_NS6detail17trampoline_kernelINS0_14default_configENS1_20scan_config_selectorIlEEZZNS1_9scan_implILNS1_25lookback_scan_determinismE0ELb0ELb0ES3_PlS8_lN6thrust23THRUST_200600_302600_NS4plusIvEElEEDaPvRmT3_T4_T5_mT6_P12ihipStream_tbENKUlT_T0_E_clISt17integral_constantIbLb1EESQ_EEDaSL_SM_EUlSL_E_NS1_11comp_targetILNS1_3genE8ELNS1_11target_archE1030ELNS1_3gpuE2ELNS1_3repE0EEENS1_30default_config_static_selectorELNS0_4arch9wavefront6targetE0EEEvT1_
		.amdhsa_group_segment_fixed_size 0
		.amdhsa_private_segment_fixed_size 0
		.amdhsa_kernarg_size 104
		.amdhsa_user_sgpr_count 15
		.amdhsa_user_sgpr_dispatch_ptr 0
		.amdhsa_user_sgpr_queue_ptr 0
		.amdhsa_user_sgpr_kernarg_segment_ptr 1
		.amdhsa_user_sgpr_dispatch_id 0
		.amdhsa_user_sgpr_private_segment_size 0
		.amdhsa_wavefront_size32 1
		.amdhsa_uses_dynamic_stack 0
		.amdhsa_enable_private_segment 0
		.amdhsa_system_sgpr_workgroup_id_x 1
		.amdhsa_system_sgpr_workgroup_id_y 0
		.amdhsa_system_sgpr_workgroup_id_z 0
		.amdhsa_system_sgpr_workgroup_info 0
		.amdhsa_system_vgpr_workitem_id 0
		.amdhsa_next_free_vgpr 1
		.amdhsa_next_free_sgpr 1
		.amdhsa_reserve_vcc 0
		.amdhsa_float_round_mode_32 0
		.amdhsa_float_round_mode_16_64 0
		.amdhsa_float_denorm_mode_32 3
		.amdhsa_float_denorm_mode_16_64 3
		.amdhsa_dx10_clamp 1
		.amdhsa_ieee_mode 1
		.amdhsa_fp16_overflow 0
		.amdhsa_workgroup_processor_mode 1
		.amdhsa_memory_ordered 1
		.amdhsa_forward_progress 0
		.amdhsa_shared_vgpr_count 0
		.amdhsa_exception_fp_ieee_invalid_op 0
		.amdhsa_exception_fp_denorm_src 0
		.amdhsa_exception_fp_ieee_div_zero 0
		.amdhsa_exception_fp_ieee_overflow 0
		.amdhsa_exception_fp_ieee_underflow 0
		.amdhsa_exception_fp_ieee_inexact 0
		.amdhsa_exception_int_div_zero 0
	.end_amdhsa_kernel
	.section	.text._ZN7rocprim17ROCPRIM_400000_NS6detail17trampoline_kernelINS0_14default_configENS1_20scan_config_selectorIlEEZZNS1_9scan_implILNS1_25lookback_scan_determinismE0ELb0ELb0ES3_PlS8_lN6thrust23THRUST_200600_302600_NS4plusIvEElEEDaPvRmT3_T4_T5_mT6_P12ihipStream_tbENKUlT_T0_E_clISt17integral_constantIbLb1EESQ_EEDaSL_SM_EUlSL_E_NS1_11comp_targetILNS1_3genE8ELNS1_11target_archE1030ELNS1_3gpuE2ELNS1_3repE0EEENS1_30default_config_static_selectorELNS0_4arch9wavefront6targetE0EEEvT1_,"axG",@progbits,_ZN7rocprim17ROCPRIM_400000_NS6detail17trampoline_kernelINS0_14default_configENS1_20scan_config_selectorIlEEZZNS1_9scan_implILNS1_25lookback_scan_determinismE0ELb0ELb0ES3_PlS8_lN6thrust23THRUST_200600_302600_NS4plusIvEElEEDaPvRmT3_T4_T5_mT6_P12ihipStream_tbENKUlT_T0_E_clISt17integral_constantIbLb1EESQ_EEDaSL_SM_EUlSL_E_NS1_11comp_targetILNS1_3genE8ELNS1_11target_archE1030ELNS1_3gpuE2ELNS1_3repE0EEENS1_30default_config_static_selectorELNS0_4arch9wavefront6targetE0EEEvT1_,comdat
.Lfunc_end111:
	.size	_ZN7rocprim17ROCPRIM_400000_NS6detail17trampoline_kernelINS0_14default_configENS1_20scan_config_selectorIlEEZZNS1_9scan_implILNS1_25lookback_scan_determinismE0ELb0ELb0ES3_PlS8_lN6thrust23THRUST_200600_302600_NS4plusIvEElEEDaPvRmT3_T4_T5_mT6_P12ihipStream_tbENKUlT_T0_E_clISt17integral_constantIbLb1EESQ_EEDaSL_SM_EUlSL_E_NS1_11comp_targetILNS1_3genE8ELNS1_11target_archE1030ELNS1_3gpuE2ELNS1_3repE0EEENS1_30default_config_static_selectorELNS0_4arch9wavefront6targetE0EEEvT1_, .Lfunc_end111-_ZN7rocprim17ROCPRIM_400000_NS6detail17trampoline_kernelINS0_14default_configENS1_20scan_config_selectorIlEEZZNS1_9scan_implILNS1_25lookback_scan_determinismE0ELb0ELb0ES3_PlS8_lN6thrust23THRUST_200600_302600_NS4plusIvEElEEDaPvRmT3_T4_T5_mT6_P12ihipStream_tbENKUlT_T0_E_clISt17integral_constantIbLb1EESQ_EEDaSL_SM_EUlSL_E_NS1_11comp_targetILNS1_3genE8ELNS1_11target_archE1030ELNS1_3gpuE2ELNS1_3repE0EEENS1_30default_config_static_selectorELNS0_4arch9wavefront6targetE0EEEvT1_
                                        ; -- End function
	.section	.AMDGPU.csdata,"",@progbits
; Kernel info:
; codeLenInByte = 0
; NumSgprs: 0
; NumVgprs: 0
; ScratchSize: 0
; MemoryBound: 0
; FloatMode: 240
; IeeeMode: 1
; LDSByteSize: 0 bytes/workgroup (compile time only)
; SGPRBlocks: 0
; VGPRBlocks: 0
; NumSGPRsForWavesPerEU: 1
; NumVGPRsForWavesPerEU: 1
; Occupancy: 16
; WaveLimiterHint : 0
; COMPUTE_PGM_RSRC2:SCRATCH_EN: 0
; COMPUTE_PGM_RSRC2:USER_SGPR: 15
; COMPUTE_PGM_RSRC2:TRAP_HANDLER: 0
; COMPUTE_PGM_RSRC2:TGID_X_EN: 1
; COMPUTE_PGM_RSRC2:TGID_Y_EN: 0
; COMPUTE_PGM_RSRC2:TGID_Z_EN: 0
; COMPUTE_PGM_RSRC2:TIDIG_COMP_CNT: 0
	.section	.text._ZN7rocprim17ROCPRIM_400000_NS6detail17trampoline_kernelINS0_14default_configENS1_20scan_config_selectorIlEEZZNS1_9scan_implILNS1_25lookback_scan_determinismE0ELb0ELb0ES3_PlS8_lN6thrust23THRUST_200600_302600_NS4plusIvEElEEDaPvRmT3_T4_T5_mT6_P12ihipStream_tbENKUlT_T0_E_clISt17integral_constantIbLb1EESQ_EEDaSL_SM_EUlSL_E0_NS1_11comp_targetILNS1_3genE0ELNS1_11target_archE4294967295ELNS1_3gpuE0ELNS1_3repE0EEENS1_30default_config_static_selectorELNS0_4arch9wavefront6targetE0EEEvT1_,"axG",@progbits,_ZN7rocprim17ROCPRIM_400000_NS6detail17trampoline_kernelINS0_14default_configENS1_20scan_config_selectorIlEEZZNS1_9scan_implILNS1_25lookback_scan_determinismE0ELb0ELb0ES3_PlS8_lN6thrust23THRUST_200600_302600_NS4plusIvEElEEDaPvRmT3_T4_T5_mT6_P12ihipStream_tbENKUlT_T0_E_clISt17integral_constantIbLb1EESQ_EEDaSL_SM_EUlSL_E0_NS1_11comp_targetILNS1_3genE0ELNS1_11target_archE4294967295ELNS1_3gpuE0ELNS1_3repE0EEENS1_30default_config_static_selectorELNS0_4arch9wavefront6targetE0EEEvT1_,comdat
	.protected	_ZN7rocprim17ROCPRIM_400000_NS6detail17trampoline_kernelINS0_14default_configENS1_20scan_config_selectorIlEEZZNS1_9scan_implILNS1_25lookback_scan_determinismE0ELb0ELb0ES3_PlS8_lN6thrust23THRUST_200600_302600_NS4plusIvEElEEDaPvRmT3_T4_T5_mT6_P12ihipStream_tbENKUlT_T0_E_clISt17integral_constantIbLb1EESQ_EEDaSL_SM_EUlSL_E0_NS1_11comp_targetILNS1_3genE0ELNS1_11target_archE4294967295ELNS1_3gpuE0ELNS1_3repE0EEENS1_30default_config_static_selectorELNS0_4arch9wavefront6targetE0EEEvT1_ ; -- Begin function _ZN7rocprim17ROCPRIM_400000_NS6detail17trampoline_kernelINS0_14default_configENS1_20scan_config_selectorIlEEZZNS1_9scan_implILNS1_25lookback_scan_determinismE0ELb0ELb0ES3_PlS8_lN6thrust23THRUST_200600_302600_NS4plusIvEElEEDaPvRmT3_T4_T5_mT6_P12ihipStream_tbENKUlT_T0_E_clISt17integral_constantIbLb1EESQ_EEDaSL_SM_EUlSL_E0_NS1_11comp_targetILNS1_3genE0ELNS1_11target_archE4294967295ELNS1_3gpuE0ELNS1_3repE0EEENS1_30default_config_static_selectorELNS0_4arch9wavefront6targetE0EEEvT1_
	.globl	_ZN7rocprim17ROCPRIM_400000_NS6detail17trampoline_kernelINS0_14default_configENS1_20scan_config_selectorIlEEZZNS1_9scan_implILNS1_25lookback_scan_determinismE0ELb0ELb0ES3_PlS8_lN6thrust23THRUST_200600_302600_NS4plusIvEElEEDaPvRmT3_T4_T5_mT6_P12ihipStream_tbENKUlT_T0_E_clISt17integral_constantIbLb1EESQ_EEDaSL_SM_EUlSL_E0_NS1_11comp_targetILNS1_3genE0ELNS1_11target_archE4294967295ELNS1_3gpuE0ELNS1_3repE0EEENS1_30default_config_static_selectorELNS0_4arch9wavefront6targetE0EEEvT1_
	.p2align	8
	.type	_ZN7rocprim17ROCPRIM_400000_NS6detail17trampoline_kernelINS0_14default_configENS1_20scan_config_selectorIlEEZZNS1_9scan_implILNS1_25lookback_scan_determinismE0ELb0ELb0ES3_PlS8_lN6thrust23THRUST_200600_302600_NS4plusIvEElEEDaPvRmT3_T4_T5_mT6_P12ihipStream_tbENKUlT_T0_E_clISt17integral_constantIbLb1EESQ_EEDaSL_SM_EUlSL_E0_NS1_11comp_targetILNS1_3genE0ELNS1_11target_archE4294967295ELNS1_3gpuE0ELNS1_3repE0EEENS1_30default_config_static_selectorELNS0_4arch9wavefront6targetE0EEEvT1_,@function
_ZN7rocprim17ROCPRIM_400000_NS6detail17trampoline_kernelINS0_14default_configENS1_20scan_config_selectorIlEEZZNS1_9scan_implILNS1_25lookback_scan_determinismE0ELb0ELb0ES3_PlS8_lN6thrust23THRUST_200600_302600_NS4plusIvEElEEDaPvRmT3_T4_T5_mT6_P12ihipStream_tbENKUlT_T0_E_clISt17integral_constantIbLb1EESQ_EEDaSL_SM_EUlSL_E0_NS1_11comp_targetILNS1_3genE0ELNS1_11target_archE4294967295ELNS1_3gpuE0ELNS1_3repE0EEENS1_30default_config_static_selectorELNS0_4arch9wavefront6targetE0EEEvT1_: ; @_ZN7rocprim17ROCPRIM_400000_NS6detail17trampoline_kernelINS0_14default_configENS1_20scan_config_selectorIlEEZZNS1_9scan_implILNS1_25lookback_scan_determinismE0ELb0ELb0ES3_PlS8_lN6thrust23THRUST_200600_302600_NS4plusIvEElEEDaPvRmT3_T4_T5_mT6_P12ihipStream_tbENKUlT_T0_E_clISt17integral_constantIbLb1EESQ_EEDaSL_SM_EUlSL_E0_NS1_11comp_targetILNS1_3genE0ELNS1_11target_archE4294967295ELNS1_3gpuE0ELNS1_3repE0EEENS1_30default_config_static_selectorELNS0_4arch9wavefront6targetE0EEEvT1_
; %bb.0:
	.section	.rodata,"a",@progbits
	.p2align	6, 0x0
	.amdhsa_kernel _ZN7rocprim17ROCPRIM_400000_NS6detail17trampoline_kernelINS0_14default_configENS1_20scan_config_selectorIlEEZZNS1_9scan_implILNS1_25lookback_scan_determinismE0ELb0ELb0ES3_PlS8_lN6thrust23THRUST_200600_302600_NS4plusIvEElEEDaPvRmT3_T4_T5_mT6_P12ihipStream_tbENKUlT_T0_E_clISt17integral_constantIbLb1EESQ_EEDaSL_SM_EUlSL_E0_NS1_11comp_targetILNS1_3genE0ELNS1_11target_archE4294967295ELNS1_3gpuE0ELNS1_3repE0EEENS1_30default_config_static_selectorELNS0_4arch9wavefront6targetE0EEEvT1_
		.amdhsa_group_segment_fixed_size 0
		.amdhsa_private_segment_fixed_size 0
		.amdhsa_kernarg_size 40
		.amdhsa_user_sgpr_count 15
		.amdhsa_user_sgpr_dispatch_ptr 0
		.amdhsa_user_sgpr_queue_ptr 0
		.amdhsa_user_sgpr_kernarg_segment_ptr 1
		.amdhsa_user_sgpr_dispatch_id 0
		.amdhsa_user_sgpr_private_segment_size 0
		.amdhsa_wavefront_size32 1
		.amdhsa_uses_dynamic_stack 0
		.amdhsa_enable_private_segment 0
		.amdhsa_system_sgpr_workgroup_id_x 1
		.amdhsa_system_sgpr_workgroup_id_y 0
		.amdhsa_system_sgpr_workgroup_id_z 0
		.amdhsa_system_sgpr_workgroup_info 0
		.amdhsa_system_vgpr_workitem_id 0
		.amdhsa_next_free_vgpr 1
		.amdhsa_next_free_sgpr 1
		.amdhsa_reserve_vcc 0
		.amdhsa_float_round_mode_32 0
		.amdhsa_float_round_mode_16_64 0
		.amdhsa_float_denorm_mode_32 3
		.amdhsa_float_denorm_mode_16_64 3
		.amdhsa_dx10_clamp 1
		.amdhsa_ieee_mode 1
		.amdhsa_fp16_overflow 0
		.amdhsa_workgroup_processor_mode 1
		.amdhsa_memory_ordered 1
		.amdhsa_forward_progress 0
		.amdhsa_shared_vgpr_count 0
		.amdhsa_exception_fp_ieee_invalid_op 0
		.amdhsa_exception_fp_denorm_src 0
		.amdhsa_exception_fp_ieee_div_zero 0
		.amdhsa_exception_fp_ieee_overflow 0
		.amdhsa_exception_fp_ieee_underflow 0
		.amdhsa_exception_fp_ieee_inexact 0
		.amdhsa_exception_int_div_zero 0
	.end_amdhsa_kernel
	.section	.text._ZN7rocprim17ROCPRIM_400000_NS6detail17trampoline_kernelINS0_14default_configENS1_20scan_config_selectorIlEEZZNS1_9scan_implILNS1_25lookback_scan_determinismE0ELb0ELb0ES3_PlS8_lN6thrust23THRUST_200600_302600_NS4plusIvEElEEDaPvRmT3_T4_T5_mT6_P12ihipStream_tbENKUlT_T0_E_clISt17integral_constantIbLb1EESQ_EEDaSL_SM_EUlSL_E0_NS1_11comp_targetILNS1_3genE0ELNS1_11target_archE4294967295ELNS1_3gpuE0ELNS1_3repE0EEENS1_30default_config_static_selectorELNS0_4arch9wavefront6targetE0EEEvT1_,"axG",@progbits,_ZN7rocprim17ROCPRIM_400000_NS6detail17trampoline_kernelINS0_14default_configENS1_20scan_config_selectorIlEEZZNS1_9scan_implILNS1_25lookback_scan_determinismE0ELb0ELb0ES3_PlS8_lN6thrust23THRUST_200600_302600_NS4plusIvEElEEDaPvRmT3_T4_T5_mT6_P12ihipStream_tbENKUlT_T0_E_clISt17integral_constantIbLb1EESQ_EEDaSL_SM_EUlSL_E0_NS1_11comp_targetILNS1_3genE0ELNS1_11target_archE4294967295ELNS1_3gpuE0ELNS1_3repE0EEENS1_30default_config_static_selectorELNS0_4arch9wavefront6targetE0EEEvT1_,comdat
.Lfunc_end112:
	.size	_ZN7rocprim17ROCPRIM_400000_NS6detail17trampoline_kernelINS0_14default_configENS1_20scan_config_selectorIlEEZZNS1_9scan_implILNS1_25lookback_scan_determinismE0ELb0ELb0ES3_PlS8_lN6thrust23THRUST_200600_302600_NS4plusIvEElEEDaPvRmT3_T4_T5_mT6_P12ihipStream_tbENKUlT_T0_E_clISt17integral_constantIbLb1EESQ_EEDaSL_SM_EUlSL_E0_NS1_11comp_targetILNS1_3genE0ELNS1_11target_archE4294967295ELNS1_3gpuE0ELNS1_3repE0EEENS1_30default_config_static_selectorELNS0_4arch9wavefront6targetE0EEEvT1_, .Lfunc_end112-_ZN7rocprim17ROCPRIM_400000_NS6detail17trampoline_kernelINS0_14default_configENS1_20scan_config_selectorIlEEZZNS1_9scan_implILNS1_25lookback_scan_determinismE0ELb0ELb0ES3_PlS8_lN6thrust23THRUST_200600_302600_NS4plusIvEElEEDaPvRmT3_T4_T5_mT6_P12ihipStream_tbENKUlT_T0_E_clISt17integral_constantIbLb1EESQ_EEDaSL_SM_EUlSL_E0_NS1_11comp_targetILNS1_3genE0ELNS1_11target_archE4294967295ELNS1_3gpuE0ELNS1_3repE0EEENS1_30default_config_static_selectorELNS0_4arch9wavefront6targetE0EEEvT1_
                                        ; -- End function
	.section	.AMDGPU.csdata,"",@progbits
; Kernel info:
; codeLenInByte = 0
; NumSgprs: 0
; NumVgprs: 0
; ScratchSize: 0
; MemoryBound: 0
; FloatMode: 240
; IeeeMode: 1
; LDSByteSize: 0 bytes/workgroup (compile time only)
; SGPRBlocks: 0
; VGPRBlocks: 0
; NumSGPRsForWavesPerEU: 1
; NumVGPRsForWavesPerEU: 1
; Occupancy: 16
; WaveLimiterHint : 0
; COMPUTE_PGM_RSRC2:SCRATCH_EN: 0
; COMPUTE_PGM_RSRC2:USER_SGPR: 15
; COMPUTE_PGM_RSRC2:TRAP_HANDLER: 0
; COMPUTE_PGM_RSRC2:TGID_X_EN: 1
; COMPUTE_PGM_RSRC2:TGID_Y_EN: 0
; COMPUTE_PGM_RSRC2:TGID_Z_EN: 0
; COMPUTE_PGM_RSRC2:TIDIG_COMP_CNT: 0
	.section	.text._ZN7rocprim17ROCPRIM_400000_NS6detail17trampoline_kernelINS0_14default_configENS1_20scan_config_selectorIlEEZZNS1_9scan_implILNS1_25lookback_scan_determinismE0ELb0ELb0ES3_PlS8_lN6thrust23THRUST_200600_302600_NS4plusIvEElEEDaPvRmT3_T4_T5_mT6_P12ihipStream_tbENKUlT_T0_E_clISt17integral_constantIbLb1EESQ_EEDaSL_SM_EUlSL_E0_NS1_11comp_targetILNS1_3genE5ELNS1_11target_archE942ELNS1_3gpuE9ELNS1_3repE0EEENS1_30default_config_static_selectorELNS0_4arch9wavefront6targetE0EEEvT1_,"axG",@progbits,_ZN7rocprim17ROCPRIM_400000_NS6detail17trampoline_kernelINS0_14default_configENS1_20scan_config_selectorIlEEZZNS1_9scan_implILNS1_25lookback_scan_determinismE0ELb0ELb0ES3_PlS8_lN6thrust23THRUST_200600_302600_NS4plusIvEElEEDaPvRmT3_T4_T5_mT6_P12ihipStream_tbENKUlT_T0_E_clISt17integral_constantIbLb1EESQ_EEDaSL_SM_EUlSL_E0_NS1_11comp_targetILNS1_3genE5ELNS1_11target_archE942ELNS1_3gpuE9ELNS1_3repE0EEENS1_30default_config_static_selectorELNS0_4arch9wavefront6targetE0EEEvT1_,comdat
	.protected	_ZN7rocprim17ROCPRIM_400000_NS6detail17trampoline_kernelINS0_14default_configENS1_20scan_config_selectorIlEEZZNS1_9scan_implILNS1_25lookback_scan_determinismE0ELb0ELb0ES3_PlS8_lN6thrust23THRUST_200600_302600_NS4plusIvEElEEDaPvRmT3_T4_T5_mT6_P12ihipStream_tbENKUlT_T0_E_clISt17integral_constantIbLb1EESQ_EEDaSL_SM_EUlSL_E0_NS1_11comp_targetILNS1_3genE5ELNS1_11target_archE942ELNS1_3gpuE9ELNS1_3repE0EEENS1_30default_config_static_selectorELNS0_4arch9wavefront6targetE0EEEvT1_ ; -- Begin function _ZN7rocprim17ROCPRIM_400000_NS6detail17trampoline_kernelINS0_14default_configENS1_20scan_config_selectorIlEEZZNS1_9scan_implILNS1_25lookback_scan_determinismE0ELb0ELb0ES3_PlS8_lN6thrust23THRUST_200600_302600_NS4plusIvEElEEDaPvRmT3_T4_T5_mT6_P12ihipStream_tbENKUlT_T0_E_clISt17integral_constantIbLb1EESQ_EEDaSL_SM_EUlSL_E0_NS1_11comp_targetILNS1_3genE5ELNS1_11target_archE942ELNS1_3gpuE9ELNS1_3repE0EEENS1_30default_config_static_selectorELNS0_4arch9wavefront6targetE0EEEvT1_
	.globl	_ZN7rocprim17ROCPRIM_400000_NS6detail17trampoline_kernelINS0_14default_configENS1_20scan_config_selectorIlEEZZNS1_9scan_implILNS1_25lookback_scan_determinismE0ELb0ELb0ES3_PlS8_lN6thrust23THRUST_200600_302600_NS4plusIvEElEEDaPvRmT3_T4_T5_mT6_P12ihipStream_tbENKUlT_T0_E_clISt17integral_constantIbLb1EESQ_EEDaSL_SM_EUlSL_E0_NS1_11comp_targetILNS1_3genE5ELNS1_11target_archE942ELNS1_3gpuE9ELNS1_3repE0EEENS1_30default_config_static_selectorELNS0_4arch9wavefront6targetE0EEEvT1_
	.p2align	8
	.type	_ZN7rocprim17ROCPRIM_400000_NS6detail17trampoline_kernelINS0_14default_configENS1_20scan_config_selectorIlEEZZNS1_9scan_implILNS1_25lookback_scan_determinismE0ELb0ELb0ES3_PlS8_lN6thrust23THRUST_200600_302600_NS4plusIvEElEEDaPvRmT3_T4_T5_mT6_P12ihipStream_tbENKUlT_T0_E_clISt17integral_constantIbLb1EESQ_EEDaSL_SM_EUlSL_E0_NS1_11comp_targetILNS1_3genE5ELNS1_11target_archE942ELNS1_3gpuE9ELNS1_3repE0EEENS1_30default_config_static_selectorELNS0_4arch9wavefront6targetE0EEEvT1_,@function
_ZN7rocprim17ROCPRIM_400000_NS6detail17trampoline_kernelINS0_14default_configENS1_20scan_config_selectorIlEEZZNS1_9scan_implILNS1_25lookback_scan_determinismE0ELb0ELb0ES3_PlS8_lN6thrust23THRUST_200600_302600_NS4plusIvEElEEDaPvRmT3_T4_T5_mT6_P12ihipStream_tbENKUlT_T0_E_clISt17integral_constantIbLb1EESQ_EEDaSL_SM_EUlSL_E0_NS1_11comp_targetILNS1_3genE5ELNS1_11target_archE942ELNS1_3gpuE9ELNS1_3repE0EEENS1_30default_config_static_selectorELNS0_4arch9wavefront6targetE0EEEvT1_: ; @_ZN7rocprim17ROCPRIM_400000_NS6detail17trampoline_kernelINS0_14default_configENS1_20scan_config_selectorIlEEZZNS1_9scan_implILNS1_25lookback_scan_determinismE0ELb0ELb0ES3_PlS8_lN6thrust23THRUST_200600_302600_NS4plusIvEElEEDaPvRmT3_T4_T5_mT6_P12ihipStream_tbENKUlT_T0_E_clISt17integral_constantIbLb1EESQ_EEDaSL_SM_EUlSL_E0_NS1_11comp_targetILNS1_3genE5ELNS1_11target_archE942ELNS1_3gpuE9ELNS1_3repE0EEENS1_30default_config_static_selectorELNS0_4arch9wavefront6targetE0EEEvT1_
; %bb.0:
	.section	.rodata,"a",@progbits
	.p2align	6, 0x0
	.amdhsa_kernel _ZN7rocprim17ROCPRIM_400000_NS6detail17trampoline_kernelINS0_14default_configENS1_20scan_config_selectorIlEEZZNS1_9scan_implILNS1_25lookback_scan_determinismE0ELb0ELb0ES3_PlS8_lN6thrust23THRUST_200600_302600_NS4plusIvEElEEDaPvRmT3_T4_T5_mT6_P12ihipStream_tbENKUlT_T0_E_clISt17integral_constantIbLb1EESQ_EEDaSL_SM_EUlSL_E0_NS1_11comp_targetILNS1_3genE5ELNS1_11target_archE942ELNS1_3gpuE9ELNS1_3repE0EEENS1_30default_config_static_selectorELNS0_4arch9wavefront6targetE0EEEvT1_
		.amdhsa_group_segment_fixed_size 0
		.amdhsa_private_segment_fixed_size 0
		.amdhsa_kernarg_size 40
		.amdhsa_user_sgpr_count 15
		.amdhsa_user_sgpr_dispatch_ptr 0
		.amdhsa_user_sgpr_queue_ptr 0
		.amdhsa_user_sgpr_kernarg_segment_ptr 1
		.amdhsa_user_sgpr_dispatch_id 0
		.amdhsa_user_sgpr_private_segment_size 0
		.amdhsa_wavefront_size32 1
		.amdhsa_uses_dynamic_stack 0
		.amdhsa_enable_private_segment 0
		.amdhsa_system_sgpr_workgroup_id_x 1
		.amdhsa_system_sgpr_workgroup_id_y 0
		.amdhsa_system_sgpr_workgroup_id_z 0
		.amdhsa_system_sgpr_workgroup_info 0
		.amdhsa_system_vgpr_workitem_id 0
		.amdhsa_next_free_vgpr 1
		.amdhsa_next_free_sgpr 1
		.amdhsa_reserve_vcc 0
		.amdhsa_float_round_mode_32 0
		.amdhsa_float_round_mode_16_64 0
		.amdhsa_float_denorm_mode_32 3
		.amdhsa_float_denorm_mode_16_64 3
		.amdhsa_dx10_clamp 1
		.amdhsa_ieee_mode 1
		.amdhsa_fp16_overflow 0
		.amdhsa_workgroup_processor_mode 1
		.amdhsa_memory_ordered 1
		.amdhsa_forward_progress 0
		.amdhsa_shared_vgpr_count 0
		.amdhsa_exception_fp_ieee_invalid_op 0
		.amdhsa_exception_fp_denorm_src 0
		.amdhsa_exception_fp_ieee_div_zero 0
		.amdhsa_exception_fp_ieee_overflow 0
		.amdhsa_exception_fp_ieee_underflow 0
		.amdhsa_exception_fp_ieee_inexact 0
		.amdhsa_exception_int_div_zero 0
	.end_amdhsa_kernel
	.section	.text._ZN7rocprim17ROCPRIM_400000_NS6detail17trampoline_kernelINS0_14default_configENS1_20scan_config_selectorIlEEZZNS1_9scan_implILNS1_25lookback_scan_determinismE0ELb0ELb0ES3_PlS8_lN6thrust23THRUST_200600_302600_NS4plusIvEElEEDaPvRmT3_T4_T5_mT6_P12ihipStream_tbENKUlT_T0_E_clISt17integral_constantIbLb1EESQ_EEDaSL_SM_EUlSL_E0_NS1_11comp_targetILNS1_3genE5ELNS1_11target_archE942ELNS1_3gpuE9ELNS1_3repE0EEENS1_30default_config_static_selectorELNS0_4arch9wavefront6targetE0EEEvT1_,"axG",@progbits,_ZN7rocprim17ROCPRIM_400000_NS6detail17trampoline_kernelINS0_14default_configENS1_20scan_config_selectorIlEEZZNS1_9scan_implILNS1_25lookback_scan_determinismE0ELb0ELb0ES3_PlS8_lN6thrust23THRUST_200600_302600_NS4plusIvEElEEDaPvRmT3_T4_T5_mT6_P12ihipStream_tbENKUlT_T0_E_clISt17integral_constantIbLb1EESQ_EEDaSL_SM_EUlSL_E0_NS1_11comp_targetILNS1_3genE5ELNS1_11target_archE942ELNS1_3gpuE9ELNS1_3repE0EEENS1_30default_config_static_selectorELNS0_4arch9wavefront6targetE0EEEvT1_,comdat
.Lfunc_end113:
	.size	_ZN7rocprim17ROCPRIM_400000_NS6detail17trampoline_kernelINS0_14default_configENS1_20scan_config_selectorIlEEZZNS1_9scan_implILNS1_25lookback_scan_determinismE0ELb0ELb0ES3_PlS8_lN6thrust23THRUST_200600_302600_NS4plusIvEElEEDaPvRmT3_T4_T5_mT6_P12ihipStream_tbENKUlT_T0_E_clISt17integral_constantIbLb1EESQ_EEDaSL_SM_EUlSL_E0_NS1_11comp_targetILNS1_3genE5ELNS1_11target_archE942ELNS1_3gpuE9ELNS1_3repE0EEENS1_30default_config_static_selectorELNS0_4arch9wavefront6targetE0EEEvT1_, .Lfunc_end113-_ZN7rocprim17ROCPRIM_400000_NS6detail17trampoline_kernelINS0_14default_configENS1_20scan_config_selectorIlEEZZNS1_9scan_implILNS1_25lookback_scan_determinismE0ELb0ELb0ES3_PlS8_lN6thrust23THRUST_200600_302600_NS4plusIvEElEEDaPvRmT3_T4_T5_mT6_P12ihipStream_tbENKUlT_T0_E_clISt17integral_constantIbLb1EESQ_EEDaSL_SM_EUlSL_E0_NS1_11comp_targetILNS1_3genE5ELNS1_11target_archE942ELNS1_3gpuE9ELNS1_3repE0EEENS1_30default_config_static_selectorELNS0_4arch9wavefront6targetE0EEEvT1_
                                        ; -- End function
	.section	.AMDGPU.csdata,"",@progbits
; Kernel info:
; codeLenInByte = 0
; NumSgprs: 0
; NumVgprs: 0
; ScratchSize: 0
; MemoryBound: 0
; FloatMode: 240
; IeeeMode: 1
; LDSByteSize: 0 bytes/workgroup (compile time only)
; SGPRBlocks: 0
; VGPRBlocks: 0
; NumSGPRsForWavesPerEU: 1
; NumVGPRsForWavesPerEU: 1
; Occupancy: 16
; WaveLimiterHint : 0
; COMPUTE_PGM_RSRC2:SCRATCH_EN: 0
; COMPUTE_PGM_RSRC2:USER_SGPR: 15
; COMPUTE_PGM_RSRC2:TRAP_HANDLER: 0
; COMPUTE_PGM_RSRC2:TGID_X_EN: 1
; COMPUTE_PGM_RSRC2:TGID_Y_EN: 0
; COMPUTE_PGM_RSRC2:TGID_Z_EN: 0
; COMPUTE_PGM_RSRC2:TIDIG_COMP_CNT: 0
	.section	.text._ZN7rocprim17ROCPRIM_400000_NS6detail17trampoline_kernelINS0_14default_configENS1_20scan_config_selectorIlEEZZNS1_9scan_implILNS1_25lookback_scan_determinismE0ELb0ELb0ES3_PlS8_lN6thrust23THRUST_200600_302600_NS4plusIvEElEEDaPvRmT3_T4_T5_mT6_P12ihipStream_tbENKUlT_T0_E_clISt17integral_constantIbLb1EESQ_EEDaSL_SM_EUlSL_E0_NS1_11comp_targetILNS1_3genE4ELNS1_11target_archE910ELNS1_3gpuE8ELNS1_3repE0EEENS1_30default_config_static_selectorELNS0_4arch9wavefront6targetE0EEEvT1_,"axG",@progbits,_ZN7rocprim17ROCPRIM_400000_NS6detail17trampoline_kernelINS0_14default_configENS1_20scan_config_selectorIlEEZZNS1_9scan_implILNS1_25lookback_scan_determinismE0ELb0ELb0ES3_PlS8_lN6thrust23THRUST_200600_302600_NS4plusIvEElEEDaPvRmT3_T4_T5_mT6_P12ihipStream_tbENKUlT_T0_E_clISt17integral_constantIbLb1EESQ_EEDaSL_SM_EUlSL_E0_NS1_11comp_targetILNS1_3genE4ELNS1_11target_archE910ELNS1_3gpuE8ELNS1_3repE0EEENS1_30default_config_static_selectorELNS0_4arch9wavefront6targetE0EEEvT1_,comdat
	.protected	_ZN7rocprim17ROCPRIM_400000_NS6detail17trampoline_kernelINS0_14default_configENS1_20scan_config_selectorIlEEZZNS1_9scan_implILNS1_25lookback_scan_determinismE0ELb0ELb0ES3_PlS8_lN6thrust23THRUST_200600_302600_NS4plusIvEElEEDaPvRmT3_T4_T5_mT6_P12ihipStream_tbENKUlT_T0_E_clISt17integral_constantIbLb1EESQ_EEDaSL_SM_EUlSL_E0_NS1_11comp_targetILNS1_3genE4ELNS1_11target_archE910ELNS1_3gpuE8ELNS1_3repE0EEENS1_30default_config_static_selectorELNS0_4arch9wavefront6targetE0EEEvT1_ ; -- Begin function _ZN7rocprim17ROCPRIM_400000_NS6detail17trampoline_kernelINS0_14default_configENS1_20scan_config_selectorIlEEZZNS1_9scan_implILNS1_25lookback_scan_determinismE0ELb0ELb0ES3_PlS8_lN6thrust23THRUST_200600_302600_NS4plusIvEElEEDaPvRmT3_T4_T5_mT6_P12ihipStream_tbENKUlT_T0_E_clISt17integral_constantIbLb1EESQ_EEDaSL_SM_EUlSL_E0_NS1_11comp_targetILNS1_3genE4ELNS1_11target_archE910ELNS1_3gpuE8ELNS1_3repE0EEENS1_30default_config_static_selectorELNS0_4arch9wavefront6targetE0EEEvT1_
	.globl	_ZN7rocprim17ROCPRIM_400000_NS6detail17trampoline_kernelINS0_14default_configENS1_20scan_config_selectorIlEEZZNS1_9scan_implILNS1_25lookback_scan_determinismE0ELb0ELb0ES3_PlS8_lN6thrust23THRUST_200600_302600_NS4plusIvEElEEDaPvRmT3_T4_T5_mT6_P12ihipStream_tbENKUlT_T0_E_clISt17integral_constantIbLb1EESQ_EEDaSL_SM_EUlSL_E0_NS1_11comp_targetILNS1_3genE4ELNS1_11target_archE910ELNS1_3gpuE8ELNS1_3repE0EEENS1_30default_config_static_selectorELNS0_4arch9wavefront6targetE0EEEvT1_
	.p2align	8
	.type	_ZN7rocprim17ROCPRIM_400000_NS6detail17trampoline_kernelINS0_14default_configENS1_20scan_config_selectorIlEEZZNS1_9scan_implILNS1_25lookback_scan_determinismE0ELb0ELb0ES3_PlS8_lN6thrust23THRUST_200600_302600_NS4plusIvEElEEDaPvRmT3_T4_T5_mT6_P12ihipStream_tbENKUlT_T0_E_clISt17integral_constantIbLb1EESQ_EEDaSL_SM_EUlSL_E0_NS1_11comp_targetILNS1_3genE4ELNS1_11target_archE910ELNS1_3gpuE8ELNS1_3repE0EEENS1_30default_config_static_selectorELNS0_4arch9wavefront6targetE0EEEvT1_,@function
_ZN7rocprim17ROCPRIM_400000_NS6detail17trampoline_kernelINS0_14default_configENS1_20scan_config_selectorIlEEZZNS1_9scan_implILNS1_25lookback_scan_determinismE0ELb0ELb0ES3_PlS8_lN6thrust23THRUST_200600_302600_NS4plusIvEElEEDaPvRmT3_T4_T5_mT6_P12ihipStream_tbENKUlT_T0_E_clISt17integral_constantIbLb1EESQ_EEDaSL_SM_EUlSL_E0_NS1_11comp_targetILNS1_3genE4ELNS1_11target_archE910ELNS1_3gpuE8ELNS1_3repE0EEENS1_30default_config_static_selectorELNS0_4arch9wavefront6targetE0EEEvT1_: ; @_ZN7rocprim17ROCPRIM_400000_NS6detail17trampoline_kernelINS0_14default_configENS1_20scan_config_selectorIlEEZZNS1_9scan_implILNS1_25lookback_scan_determinismE0ELb0ELb0ES3_PlS8_lN6thrust23THRUST_200600_302600_NS4plusIvEElEEDaPvRmT3_T4_T5_mT6_P12ihipStream_tbENKUlT_T0_E_clISt17integral_constantIbLb1EESQ_EEDaSL_SM_EUlSL_E0_NS1_11comp_targetILNS1_3genE4ELNS1_11target_archE910ELNS1_3gpuE8ELNS1_3repE0EEENS1_30default_config_static_selectorELNS0_4arch9wavefront6targetE0EEEvT1_
; %bb.0:
	.section	.rodata,"a",@progbits
	.p2align	6, 0x0
	.amdhsa_kernel _ZN7rocprim17ROCPRIM_400000_NS6detail17trampoline_kernelINS0_14default_configENS1_20scan_config_selectorIlEEZZNS1_9scan_implILNS1_25lookback_scan_determinismE0ELb0ELb0ES3_PlS8_lN6thrust23THRUST_200600_302600_NS4plusIvEElEEDaPvRmT3_T4_T5_mT6_P12ihipStream_tbENKUlT_T0_E_clISt17integral_constantIbLb1EESQ_EEDaSL_SM_EUlSL_E0_NS1_11comp_targetILNS1_3genE4ELNS1_11target_archE910ELNS1_3gpuE8ELNS1_3repE0EEENS1_30default_config_static_selectorELNS0_4arch9wavefront6targetE0EEEvT1_
		.amdhsa_group_segment_fixed_size 0
		.amdhsa_private_segment_fixed_size 0
		.amdhsa_kernarg_size 40
		.amdhsa_user_sgpr_count 15
		.amdhsa_user_sgpr_dispatch_ptr 0
		.amdhsa_user_sgpr_queue_ptr 0
		.amdhsa_user_sgpr_kernarg_segment_ptr 1
		.amdhsa_user_sgpr_dispatch_id 0
		.amdhsa_user_sgpr_private_segment_size 0
		.amdhsa_wavefront_size32 1
		.amdhsa_uses_dynamic_stack 0
		.amdhsa_enable_private_segment 0
		.amdhsa_system_sgpr_workgroup_id_x 1
		.amdhsa_system_sgpr_workgroup_id_y 0
		.amdhsa_system_sgpr_workgroup_id_z 0
		.amdhsa_system_sgpr_workgroup_info 0
		.amdhsa_system_vgpr_workitem_id 0
		.amdhsa_next_free_vgpr 1
		.amdhsa_next_free_sgpr 1
		.amdhsa_reserve_vcc 0
		.amdhsa_float_round_mode_32 0
		.amdhsa_float_round_mode_16_64 0
		.amdhsa_float_denorm_mode_32 3
		.amdhsa_float_denorm_mode_16_64 3
		.amdhsa_dx10_clamp 1
		.amdhsa_ieee_mode 1
		.amdhsa_fp16_overflow 0
		.amdhsa_workgroup_processor_mode 1
		.amdhsa_memory_ordered 1
		.amdhsa_forward_progress 0
		.amdhsa_shared_vgpr_count 0
		.amdhsa_exception_fp_ieee_invalid_op 0
		.amdhsa_exception_fp_denorm_src 0
		.amdhsa_exception_fp_ieee_div_zero 0
		.amdhsa_exception_fp_ieee_overflow 0
		.amdhsa_exception_fp_ieee_underflow 0
		.amdhsa_exception_fp_ieee_inexact 0
		.amdhsa_exception_int_div_zero 0
	.end_amdhsa_kernel
	.section	.text._ZN7rocprim17ROCPRIM_400000_NS6detail17trampoline_kernelINS0_14default_configENS1_20scan_config_selectorIlEEZZNS1_9scan_implILNS1_25lookback_scan_determinismE0ELb0ELb0ES3_PlS8_lN6thrust23THRUST_200600_302600_NS4plusIvEElEEDaPvRmT3_T4_T5_mT6_P12ihipStream_tbENKUlT_T0_E_clISt17integral_constantIbLb1EESQ_EEDaSL_SM_EUlSL_E0_NS1_11comp_targetILNS1_3genE4ELNS1_11target_archE910ELNS1_3gpuE8ELNS1_3repE0EEENS1_30default_config_static_selectorELNS0_4arch9wavefront6targetE0EEEvT1_,"axG",@progbits,_ZN7rocprim17ROCPRIM_400000_NS6detail17trampoline_kernelINS0_14default_configENS1_20scan_config_selectorIlEEZZNS1_9scan_implILNS1_25lookback_scan_determinismE0ELb0ELb0ES3_PlS8_lN6thrust23THRUST_200600_302600_NS4plusIvEElEEDaPvRmT3_T4_T5_mT6_P12ihipStream_tbENKUlT_T0_E_clISt17integral_constantIbLb1EESQ_EEDaSL_SM_EUlSL_E0_NS1_11comp_targetILNS1_3genE4ELNS1_11target_archE910ELNS1_3gpuE8ELNS1_3repE0EEENS1_30default_config_static_selectorELNS0_4arch9wavefront6targetE0EEEvT1_,comdat
.Lfunc_end114:
	.size	_ZN7rocprim17ROCPRIM_400000_NS6detail17trampoline_kernelINS0_14default_configENS1_20scan_config_selectorIlEEZZNS1_9scan_implILNS1_25lookback_scan_determinismE0ELb0ELb0ES3_PlS8_lN6thrust23THRUST_200600_302600_NS4plusIvEElEEDaPvRmT3_T4_T5_mT6_P12ihipStream_tbENKUlT_T0_E_clISt17integral_constantIbLb1EESQ_EEDaSL_SM_EUlSL_E0_NS1_11comp_targetILNS1_3genE4ELNS1_11target_archE910ELNS1_3gpuE8ELNS1_3repE0EEENS1_30default_config_static_selectorELNS0_4arch9wavefront6targetE0EEEvT1_, .Lfunc_end114-_ZN7rocprim17ROCPRIM_400000_NS6detail17trampoline_kernelINS0_14default_configENS1_20scan_config_selectorIlEEZZNS1_9scan_implILNS1_25lookback_scan_determinismE0ELb0ELb0ES3_PlS8_lN6thrust23THRUST_200600_302600_NS4plusIvEElEEDaPvRmT3_T4_T5_mT6_P12ihipStream_tbENKUlT_T0_E_clISt17integral_constantIbLb1EESQ_EEDaSL_SM_EUlSL_E0_NS1_11comp_targetILNS1_3genE4ELNS1_11target_archE910ELNS1_3gpuE8ELNS1_3repE0EEENS1_30default_config_static_selectorELNS0_4arch9wavefront6targetE0EEEvT1_
                                        ; -- End function
	.section	.AMDGPU.csdata,"",@progbits
; Kernel info:
; codeLenInByte = 0
; NumSgprs: 0
; NumVgprs: 0
; ScratchSize: 0
; MemoryBound: 0
; FloatMode: 240
; IeeeMode: 1
; LDSByteSize: 0 bytes/workgroup (compile time only)
; SGPRBlocks: 0
; VGPRBlocks: 0
; NumSGPRsForWavesPerEU: 1
; NumVGPRsForWavesPerEU: 1
; Occupancy: 16
; WaveLimiterHint : 0
; COMPUTE_PGM_RSRC2:SCRATCH_EN: 0
; COMPUTE_PGM_RSRC2:USER_SGPR: 15
; COMPUTE_PGM_RSRC2:TRAP_HANDLER: 0
; COMPUTE_PGM_RSRC2:TGID_X_EN: 1
; COMPUTE_PGM_RSRC2:TGID_Y_EN: 0
; COMPUTE_PGM_RSRC2:TGID_Z_EN: 0
; COMPUTE_PGM_RSRC2:TIDIG_COMP_CNT: 0
	.section	.text._ZN7rocprim17ROCPRIM_400000_NS6detail17trampoline_kernelINS0_14default_configENS1_20scan_config_selectorIlEEZZNS1_9scan_implILNS1_25lookback_scan_determinismE0ELb0ELb0ES3_PlS8_lN6thrust23THRUST_200600_302600_NS4plusIvEElEEDaPvRmT3_T4_T5_mT6_P12ihipStream_tbENKUlT_T0_E_clISt17integral_constantIbLb1EESQ_EEDaSL_SM_EUlSL_E0_NS1_11comp_targetILNS1_3genE3ELNS1_11target_archE908ELNS1_3gpuE7ELNS1_3repE0EEENS1_30default_config_static_selectorELNS0_4arch9wavefront6targetE0EEEvT1_,"axG",@progbits,_ZN7rocprim17ROCPRIM_400000_NS6detail17trampoline_kernelINS0_14default_configENS1_20scan_config_selectorIlEEZZNS1_9scan_implILNS1_25lookback_scan_determinismE0ELb0ELb0ES3_PlS8_lN6thrust23THRUST_200600_302600_NS4plusIvEElEEDaPvRmT3_T4_T5_mT6_P12ihipStream_tbENKUlT_T0_E_clISt17integral_constantIbLb1EESQ_EEDaSL_SM_EUlSL_E0_NS1_11comp_targetILNS1_3genE3ELNS1_11target_archE908ELNS1_3gpuE7ELNS1_3repE0EEENS1_30default_config_static_selectorELNS0_4arch9wavefront6targetE0EEEvT1_,comdat
	.protected	_ZN7rocprim17ROCPRIM_400000_NS6detail17trampoline_kernelINS0_14default_configENS1_20scan_config_selectorIlEEZZNS1_9scan_implILNS1_25lookback_scan_determinismE0ELb0ELb0ES3_PlS8_lN6thrust23THRUST_200600_302600_NS4plusIvEElEEDaPvRmT3_T4_T5_mT6_P12ihipStream_tbENKUlT_T0_E_clISt17integral_constantIbLb1EESQ_EEDaSL_SM_EUlSL_E0_NS1_11comp_targetILNS1_3genE3ELNS1_11target_archE908ELNS1_3gpuE7ELNS1_3repE0EEENS1_30default_config_static_selectorELNS0_4arch9wavefront6targetE0EEEvT1_ ; -- Begin function _ZN7rocprim17ROCPRIM_400000_NS6detail17trampoline_kernelINS0_14default_configENS1_20scan_config_selectorIlEEZZNS1_9scan_implILNS1_25lookback_scan_determinismE0ELb0ELb0ES3_PlS8_lN6thrust23THRUST_200600_302600_NS4plusIvEElEEDaPvRmT3_T4_T5_mT6_P12ihipStream_tbENKUlT_T0_E_clISt17integral_constantIbLb1EESQ_EEDaSL_SM_EUlSL_E0_NS1_11comp_targetILNS1_3genE3ELNS1_11target_archE908ELNS1_3gpuE7ELNS1_3repE0EEENS1_30default_config_static_selectorELNS0_4arch9wavefront6targetE0EEEvT1_
	.globl	_ZN7rocprim17ROCPRIM_400000_NS6detail17trampoline_kernelINS0_14default_configENS1_20scan_config_selectorIlEEZZNS1_9scan_implILNS1_25lookback_scan_determinismE0ELb0ELb0ES3_PlS8_lN6thrust23THRUST_200600_302600_NS4plusIvEElEEDaPvRmT3_T4_T5_mT6_P12ihipStream_tbENKUlT_T0_E_clISt17integral_constantIbLb1EESQ_EEDaSL_SM_EUlSL_E0_NS1_11comp_targetILNS1_3genE3ELNS1_11target_archE908ELNS1_3gpuE7ELNS1_3repE0EEENS1_30default_config_static_selectorELNS0_4arch9wavefront6targetE0EEEvT1_
	.p2align	8
	.type	_ZN7rocprim17ROCPRIM_400000_NS6detail17trampoline_kernelINS0_14default_configENS1_20scan_config_selectorIlEEZZNS1_9scan_implILNS1_25lookback_scan_determinismE0ELb0ELb0ES3_PlS8_lN6thrust23THRUST_200600_302600_NS4plusIvEElEEDaPvRmT3_T4_T5_mT6_P12ihipStream_tbENKUlT_T0_E_clISt17integral_constantIbLb1EESQ_EEDaSL_SM_EUlSL_E0_NS1_11comp_targetILNS1_3genE3ELNS1_11target_archE908ELNS1_3gpuE7ELNS1_3repE0EEENS1_30default_config_static_selectorELNS0_4arch9wavefront6targetE0EEEvT1_,@function
_ZN7rocprim17ROCPRIM_400000_NS6detail17trampoline_kernelINS0_14default_configENS1_20scan_config_selectorIlEEZZNS1_9scan_implILNS1_25lookback_scan_determinismE0ELb0ELb0ES3_PlS8_lN6thrust23THRUST_200600_302600_NS4plusIvEElEEDaPvRmT3_T4_T5_mT6_P12ihipStream_tbENKUlT_T0_E_clISt17integral_constantIbLb1EESQ_EEDaSL_SM_EUlSL_E0_NS1_11comp_targetILNS1_3genE3ELNS1_11target_archE908ELNS1_3gpuE7ELNS1_3repE0EEENS1_30default_config_static_selectorELNS0_4arch9wavefront6targetE0EEEvT1_: ; @_ZN7rocprim17ROCPRIM_400000_NS6detail17trampoline_kernelINS0_14default_configENS1_20scan_config_selectorIlEEZZNS1_9scan_implILNS1_25lookback_scan_determinismE0ELb0ELb0ES3_PlS8_lN6thrust23THRUST_200600_302600_NS4plusIvEElEEDaPvRmT3_T4_T5_mT6_P12ihipStream_tbENKUlT_T0_E_clISt17integral_constantIbLb1EESQ_EEDaSL_SM_EUlSL_E0_NS1_11comp_targetILNS1_3genE3ELNS1_11target_archE908ELNS1_3gpuE7ELNS1_3repE0EEENS1_30default_config_static_selectorELNS0_4arch9wavefront6targetE0EEEvT1_
; %bb.0:
	.section	.rodata,"a",@progbits
	.p2align	6, 0x0
	.amdhsa_kernel _ZN7rocprim17ROCPRIM_400000_NS6detail17trampoline_kernelINS0_14default_configENS1_20scan_config_selectorIlEEZZNS1_9scan_implILNS1_25lookback_scan_determinismE0ELb0ELb0ES3_PlS8_lN6thrust23THRUST_200600_302600_NS4plusIvEElEEDaPvRmT3_T4_T5_mT6_P12ihipStream_tbENKUlT_T0_E_clISt17integral_constantIbLb1EESQ_EEDaSL_SM_EUlSL_E0_NS1_11comp_targetILNS1_3genE3ELNS1_11target_archE908ELNS1_3gpuE7ELNS1_3repE0EEENS1_30default_config_static_selectorELNS0_4arch9wavefront6targetE0EEEvT1_
		.amdhsa_group_segment_fixed_size 0
		.amdhsa_private_segment_fixed_size 0
		.amdhsa_kernarg_size 40
		.amdhsa_user_sgpr_count 15
		.amdhsa_user_sgpr_dispatch_ptr 0
		.amdhsa_user_sgpr_queue_ptr 0
		.amdhsa_user_sgpr_kernarg_segment_ptr 1
		.amdhsa_user_sgpr_dispatch_id 0
		.amdhsa_user_sgpr_private_segment_size 0
		.amdhsa_wavefront_size32 1
		.amdhsa_uses_dynamic_stack 0
		.amdhsa_enable_private_segment 0
		.amdhsa_system_sgpr_workgroup_id_x 1
		.amdhsa_system_sgpr_workgroup_id_y 0
		.amdhsa_system_sgpr_workgroup_id_z 0
		.amdhsa_system_sgpr_workgroup_info 0
		.amdhsa_system_vgpr_workitem_id 0
		.amdhsa_next_free_vgpr 1
		.amdhsa_next_free_sgpr 1
		.amdhsa_reserve_vcc 0
		.amdhsa_float_round_mode_32 0
		.amdhsa_float_round_mode_16_64 0
		.amdhsa_float_denorm_mode_32 3
		.amdhsa_float_denorm_mode_16_64 3
		.amdhsa_dx10_clamp 1
		.amdhsa_ieee_mode 1
		.amdhsa_fp16_overflow 0
		.amdhsa_workgroup_processor_mode 1
		.amdhsa_memory_ordered 1
		.amdhsa_forward_progress 0
		.amdhsa_shared_vgpr_count 0
		.amdhsa_exception_fp_ieee_invalid_op 0
		.amdhsa_exception_fp_denorm_src 0
		.amdhsa_exception_fp_ieee_div_zero 0
		.amdhsa_exception_fp_ieee_overflow 0
		.amdhsa_exception_fp_ieee_underflow 0
		.amdhsa_exception_fp_ieee_inexact 0
		.amdhsa_exception_int_div_zero 0
	.end_amdhsa_kernel
	.section	.text._ZN7rocprim17ROCPRIM_400000_NS6detail17trampoline_kernelINS0_14default_configENS1_20scan_config_selectorIlEEZZNS1_9scan_implILNS1_25lookback_scan_determinismE0ELb0ELb0ES3_PlS8_lN6thrust23THRUST_200600_302600_NS4plusIvEElEEDaPvRmT3_T4_T5_mT6_P12ihipStream_tbENKUlT_T0_E_clISt17integral_constantIbLb1EESQ_EEDaSL_SM_EUlSL_E0_NS1_11comp_targetILNS1_3genE3ELNS1_11target_archE908ELNS1_3gpuE7ELNS1_3repE0EEENS1_30default_config_static_selectorELNS0_4arch9wavefront6targetE0EEEvT1_,"axG",@progbits,_ZN7rocprim17ROCPRIM_400000_NS6detail17trampoline_kernelINS0_14default_configENS1_20scan_config_selectorIlEEZZNS1_9scan_implILNS1_25lookback_scan_determinismE0ELb0ELb0ES3_PlS8_lN6thrust23THRUST_200600_302600_NS4plusIvEElEEDaPvRmT3_T4_T5_mT6_P12ihipStream_tbENKUlT_T0_E_clISt17integral_constantIbLb1EESQ_EEDaSL_SM_EUlSL_E0_NS1_11comp_targetILNS1_3genE3ELNS1_11target_archE908ELNS1_3gpuE7ELNS1_3repE0EEENS1_30default_config_static_selectorELNS0_4arch9wavefront6targetE0EEEvT1_,comdat
.Lfunc_end115:
	.size	_ZN7rocprim17ROCPRIM_400000_NS6detail17trampoline_kernelINS0_14default_configENS1_20scan_config_selectorIlEEZZNS1_9scan_implILNS1_25lookback_scan_determinismE0ELb0ELb0ES3_PlS8_lN6thrust23THRUST_200600_302600_NS4plusIvEElEEDaPvRmT3_T4_T5_mT6_P12ihipStream_tbENKUlT_T0_E_clISt17integral_constantIbLb1EESQ_EEDaSL_SM_EUlSL_E0_NS1_11comp_targetILNS1_3genE3ELNS1_11target_archE908ELNS1_3gpuE7ELNS1_3repE0EEENS1_30default_config_static_selectorELNS0_4arch9wavefront6targetE0EEEvT1_, .Lfunc_end115-_ZN7rocprim17ROCPRIM_400000_NS6detail17trampoline_kernelINS0_14default_configENS1_20scan_config_selectorIlEEZZNS1_9scan_implILNS1_25lookback_scan_determinismE0ELb0ELb0ES3_PlS8_lN6thrust23THRUST_200600_302600_NS4plusIvEElEEDaPvRmT3_T4_T5_mT6_P12ihipStream_tbENKUlT_T0_E_clISt17integral_constantIbLb1EESQ_EEDaSL_SM_EUlSL_E0_NS1_11comp_targetILNS1_3genE3ELNS1_11target_archE908ELNS1_3gpuE7ELNS1_3repE0EEENS1_30default_config_static_selectorELNS0_4arch9wavefront6targetE0EEEvT1_
                                        ; -- End function
	.section	.AMDGPU.csdata,"",@progbits
; Kernel info:
; codeLenInByte = 0
; NumSgprs: 0
; NumVgprs: 0
; ScratchSize: 0
; MemoryBound: 0
; FloatMode: 240
; IeeeMode: 1
; LDSByteSize: 0 bytes/workgroup (compile time only)
; SGPRBlocks: 0
; VGPRBlocks: 0
; NumSGPRsForWavesPerEU: 1
; NumVGPRsForWavesPerEU: 1
; Occupancy: 16
; WaveLimiterHint : 0
; COMPUTE_PGM_RSRC2:SCRATCH_EN: 0
; COMPUTE_PGM_RSRC2:USER_SGPR: 15
; COMPUTE_PGM_RSRC2:TRAP_HANDLER: 0
; COMPUTE_PGM_RSRC2:TGID_X_EN: 1
; COMPUTE_PGM_RSRC2:TGID_Y_EN: 0
; COMPUTE_PGM_RSRC2:TGID_Z_EN: 0
; COMPUTE_PGM_RSRC2:TIDIG_COMP_CNT: 0
	.section	.text._ZN7rocprim17ROCPRIM_400000_NS6detail17trampoline_kernelINS0_14default_configENS1_20scan_config_selectorIlEEZZNS1_9scan_implILNS1_25lookback_scan_determinismE0ELb0ELb0ES3_PlS8_lN6thrust23THRUST_200600_302600_NS4plusIvEElEEDaPvRmT3_T4_T5_mT6_P12ihipStream_tbENKUlT_T0_E_clISt17integral_constantIbLb1EESQ_EEDaSL_SM_EUlSL_E0_NS1_11comp_targetILNS1_3genE2ELNS1_11target_archE906ELNS1_3gpuE6ELNS1_3repE0EEENS1_30default_config_static_selectorELNS0_4arch9wavefront6targetE0EEEvT1_,"axG",@progbits,_ZN7rocprim17ROCPRIM_400000_NS6detail17trampoline_kernelINS0_14default_configENS1_20scan_config_selectorIlEEZZNS1_9scan_implILNS1_25lookback_scan_determinismE0ELb0ELb0ES3_PlS8_lN6thrust23THRUST_200600_302600_NS4plusIvEElEEDaPvRmT3_T4_T5_mT6_P12ihipStream_tbENKUlT_T0_E_clISt17integral_constantIbLb1EESQ_EEDaSL_SM_EUlSL_E0_NS1_11comp_targetILNS1_3genE2ELNS1_11target_archE906ELNS1_3gpuE6ELNS1_3repE0EEENS1_30default_config_static_selectorELNS0_4arch9wavefront6targetE0EEEvT1_,comdat
	.protected	_ZN7rocprim17ROCPRIM_400000_NS6detail17trampoline_kernelINS0_14default_configENS1_20scan_config_selectorIlEEZZNS1_9scan_implILNS1_25lookback_scan_determinismE0ELb0ELb0ES3_PlS8_lN6thrust23THRUST_200600_302600_NS4plusIvEElEEDaPvRmT3_T4_T5_mT6_P12ihipStream_tbENKUlT_T0_E_clISt17integral_constantIbLb1EESQ_EEDaSL_SM_EUlSL_E0_NS1_11comp_targetILNS1_3genE2ELNS1_11target_archE906ELNS1_3gpuE6ELNS1_3repE0EEENS1_30default_config_static_selectorELNS0_4arch9wavefront6targetE0EEEvT1_ ; -- Begin function _ZN7rocprim17ROCPRIM_400000_NS6detail17trampoline_kernelINS0_14default_configENS1_20scan_config_selectorIlEEZZNS1_9scan_implILNS1_25lookback_scan_determinismE0ELb0ELb0ES3_PlS8_lN6thrust23THRUST_200600_302600_NS4plusIvEElEEDaPvRmT3_T4_T5_mT6_P12ihipStream_tbENKUlT_T0_E_clISt17integral_constantIbLb1EESQ_EEDaSL_SM_EUlSL_E0_NS1_11comp_targetILNS1_3genE2ELNS1_11target_archE906ELNS1_3gpuE6ELNS1_3repE0EEENS1_30default_config_static_selectorELNS0_4arch9wavefront6targetE0EEEvT1_
	.globl	_ZN7rocprim17ROCPRIM_400000_NS6detail17trampoline_kernelINS0_14default_configENS1_20scan_config_selectorIlEEZZNS1_9scan_implILNS1_25lookback_scan_determinismE0ELb0ELb0ES3_PlS8_lN6thrust23THRUST_200600_302600_NS4plusIvEElEEDaPvRmT3_T4_T5_mT6_P12ihipStream_tbENKUlT_T0_E_clISt17integral_constantIbLb1EESQ_EEDaSL_SM_EUlSL_E0_NS1_11comp_targetILNS1_3genE2ELNS1_11target_archE906ELNS1_3gpuE6ELNS1_3repE0EEENS1_30default_config_static_selectorELNS0_4arch9wavefront6targetE0EEEvT1_
	.p2align	8
	.type	_ZN7rocprim17ROCPRIM_400000_NS6detail17trampoline_kernelINS0_14default_configENS1_20scan_config_selectorIlEEZZNS1_9scan_implILNS1_25lookback_scan_determinismE0ELb0ELb0ES3_PlS8_lN6thrust23THRUST_200600_302600_NS4plusIvEElEEDaPvRmT3_T4_T5_mT6_P12ihipStream_tbENKUlT_T0_E_clISt17integral_constantIbLb1EESQ_EEDaSL_SM_EUlSL_E0_NS1_11comp_targetILNS1_3genE2ELNS1_11target_archE906ELNS1_3gpuE6ELNS1_3repE0EEENS1_30default_config_static_selectorELNS0_4arch9wavefront6targetE0EEEvT1_,@function
_ZN7rocprim17ROCPRIM_400000_NS6detail17trampoline_kernelINS0_14default_configENS1_20scan_config_selectorIlEEZZNS1_9scan_implILNS1_25lookback_scan_determinismE0ELb0ELb0ES3_PlS8_lN6thrust23THRUST_200600_302600_NS4plusIvEElEEDaPvRmT3_T4_T5_mT6_P12ihipStream_tbENKUlT_T0_E_clISt17integral_constantIbLb1EESQ_EEDaSL_SM_EUlSL_E0_NS1_11comp_targetILNS1_3genE2ELNS1_11target_archE906ELNS1_3gpuE6ELNS1_3repE0EEENS1_30default_config_static_selectorELNS0_4arch9wavefront6targetE0EEEvT1_: ; @_ZN7rocprim17ROCPRIM_400000_NS6detail17trampoline_kernelINS0_14default_configENS1_20scan_config_selectorIlEEZZNS1_9scan_implILNS1_25lookback_scan_determinismE0ELb0ELb0ES3_PlS8_lN6thrust23THRUST_200600_302600_NS4plusIvEElEEDaPvRmT3_T4_T5_mT6_P12ihipStream_tbENKUlT_T0_E_clISt17integral_constantIbLb1EESQ_EEDaSL_SM_EUlSL_E0_NS1_11comp_targetILNS1_3genE2ELNS1_11target_archE906ELNS1_3gpuE6ELNS1_3repE0EEENS1_30default_config_static_selectorELNS0_4arch9wavefront6targetE0EEEvT1_
; %bb.0:
	.section	.rodata,"a",@progbits
	.p2align	6, 0x0
	.amdhsa_kernel _ZN7rocprim17ROCPRIM_400000_NS6detail17trampoline_kernelINS0_14default_configENS1_20scan_config_selectorIlEEZZNS1_9scan_implILNS1_25lookback_scan_determinismE0ELb0ELb0ES3_PlS8_lN6thrust23THRUST_200600_302600_NS4plusIvEElEEDaPvRmT3_T4_T5_mT6_P12ihipStream_tbENKUlT_T0_E_clISt17integral_constantIbLb1EESQ_EEDaSL_SM_EUlSL_E0_NS1_11comp_targetILNS1_3genE2ELNS1_11target_archE906ELNS1_3gpuE6ELNS1_3repE0EEENS1_30default_config_static_selectorELNS0_4arch9wavefront6targetE0EEEvT1_
		.amdhsa_group_segment_fixed_size 0
		.amdhsa_private_segment_fixed_size 0
		.amdhsa_kernarg_size 40
		.amdhsa_user_sgpr_count 15
		.amdhsa_user_sgpr_dispatch_ptr 0
		.amdhsa_user_sgpr_queue_ptr 0
		.amdhsa_user_sgpr_kernarg_segment_ptr 1
		.amdhsa_user_sgpr_dispatch_id 0
		.amdhsa_user_sgpr_private_segment_size 0
		.amdhsa_wavefront_size32 1
		.amdhsa_uses_dynamic_stack 0
		.amdhsa_enable_private_segment 0
		.amdhsa_system_sgpr_workgroup_id_x 1
		.amdhsa_system_sgpr_workgroup_id_y 0
		.amdhsa_system_sgpr_workgroup_id_z 0
		.amdhsa_system_sgpr_workgroup_info 0
		.amdhsa_system_vgpr_workitem_id 0
		.amdhsa_next_free_vgpr 1
		.amdhsa_next_free_sgpr 1
		.amdhsa_reserve_vcc 0
		.amdhsa_float_round_mode_32 0
		.amdhsa_float_round_mode_16_64 0
		.amdhsa_float_denorm_mode_32 3
		.amdhsa_float_denorm_mode_16_64 3
		.amdhsa_dx10_clamp 1
		.amdhsa_ieee_mode 1
		.amdhsa_fp16_overflow 0
		.amdhsa_workgroup_processor_mode 1
		.amdhsa_memory_ordered 1
		.amdhsa_forward_progress 0
		.amdhsa_shared_vgpr_count 0
		.amdhsa_exception_fp_ieee_invalid_op 0
		.amdhsa_exception_fp_denorm_src 0
		.amdhsa_exception_fp_ieee_div_zero 0
		.amdhsa_exception_fp_ieee_overflow 0
		.amdhsa_exception_fp_ieee_underflow 0
		.amdhsa_exception_fp_ieee_inexact 0
		.amdhsa_exception_int_div_zero 0
	.end_amdhsa_kernel
	.section	.text._ZN7rocprim17ROCPRIM_400000_NS6detail17trampoline_kernelINS0_14default_configENS1_20scan_config_selectorIlEEZZNS1_9scan_implILNS1_25lookback_scan_determinismE0ELb0ELb0ES3_PlS8_lN6thrust23THRUST_200600_302600_NS4plusIvEElEEDaPvRmT3_T4_T5_mT6_P12ihipStream_tbENKUlT_T0_E_clISt17integral_constantIbLb1EESQ_EEDaSL_SM_EUlSL_E0_NS1_11comp_targetILNS1_3genE2ELNS1_11target_archE906ELNS1_3gpuE6ELNS1_3repE0EEENS1_30default_config_static_selectorELNS0_4arch9wavefront6targetE0EEEvT1_,"axG",@progbits,_ZN7rocprim17ROCPRIM_400000_NS6detail17trampoline_kernelINS0_14default_configENS1_20scan_config_selectorIlEEZZNS1_9scan_implILNS1_25lookback_scan_determinismE0ELb0ELb0ES3_PlS8_lN6thrust23THRUST_200600_302600_NS4plusIvEElEEDaPvRmT3_T4_T5_mT6_P12ihipStream_tbENKUlT_T0_E_clISt17integral_constantIbLb1EESQ_EEDaSL_SM_EUlSL_E0_NS1_11comp_targetILNS1_3genE2ELNS1_11target_archE906ELNS1_3gpuE6ELNS1_3repE0EEENS1_30default_config_static_selectorELNS0_4arch9wavefront6targetE0EEEvT1_,comdat
.Lfunc_end116:
	.size	_ZN7rocprim17ROCPRIM_400000_NS6detail17trampoline_kernelINS0_14default_configENS1_20scan_config_selectorIlEEZZNS1_9scan_implILNS1_25lookback_scan_determinismE0ELb0ELb0ES3_PlS8_lN6thrust23THRUST_200600_302600_NS4plusIvEElEEDaPvRmT3_T4_T5_mT6_P12ihipStream_tbENKUlT_T0_E_clISt17integral_constantIbLb1EESQ_EEDaSL_SM_EUlSL_E0_NS1_11comp_targetILNS1_3genE2ELNS1_11target_archE906ELNS1_3gpuE6ELNS1_3repE0EEENS1_30default_config_static_selectorELNS0_4arch9wavefront6targetE0EEEvT1_, .Lfunc_end116-_ZN7rocprim17ROCPRIM_400000_NS6detail17trampoline_kernelINS0_14default_configENS1_20scan_config_selectorIlEEZZNS1_9scan_implILNS1_25lookback_scan_determinismE0ELb0ELb0ES3_PlS8_lN6thrust23THRUST_200600_302600_NS4plusIvEElEEDaPvRmT3_T4_T5_mT6_P12ihipStream_tbENKUlT_T0_E_clISt17integral_constantIbLb1EESQ_EEDaSL_SM_EUlSL_E0_NS1_11comp_targetILNS1_3genE2ELNS1_11target_archE906ELNS1_3gpuE6ELNS1_3repE0EEENS1_30default_config_static_selectorELNS0_4arch9wavefront6targetE0EEEvT1_
                                        ; -- End function
	.section	.AMDGPU.csdata,"",@progbits
; Kernel info:
; codeLenInByte = 0
; NumSgprs: 0
; NumVgprs: 0
; ScratchSize: 0
; MemoryBound: 0
; FloatMode: 240
; IeeeMode: 1
; LDSByteSize: 0 bytes/workgroup (compile time only)
; SGPRBlocks: 0
; VGPRBlocks: 0
; NumSGPRsForWavesPerEU: 1
; NumVGPRsForWavesPerEU: 1
; Occupancy: 16
; WaveLimiterHint : 0
; COMPUTE_PGM_RSRC2:SCRATCH_EN: 0
; COMPUTE_PGM_RSRC2:USER_SGPR: 15
; COMPUTE_PGM_RSRC2:TRAP_HANDLER: 0
; COMPUTE_PGM_RSRC2:TGID_X_EN: 1
; COMPUTE_PGM_RSRC2:TGID_Y_EN: 0
; COMPUTE_PGM_RSRC2:TGID_Z_EN: 0
; COMPUTE_PGM_RSRC2:TIDIG_COMP_CNT: 0
	.section	.text._ZN7rocprim17ROCPRIM_400000_NS6detail17trampoline_kernelINS0_14default_configENS1_20scan_config_selectorIlEEZZNS1_9scan_implILNS1_25lookback_scan_determinismE0ELb0ELb0ES3_PlS8_lN6thrust23THRUST_200600_302600_NS4plusIvEElEEDaPvRmT3_T4_T5_mT6_P12ihipStream_tbENKUlT_T0_E_clISt17integral_constantIbLb1EESQ_EEDaSL_SM_EUlSL_E0_NS1_11comp_targetILNS1_3genE10ELNS1_11target_archE1201ELNS1_3gpuE5ELNS1_3repE0EEENS1_30default_config_static_selectorELNS0_4arch9wavefront6targetE0EEEvT1_,"axG",@progbits,_ZN7rocprim17ROCPRIM_400000_NS6detail17trampoline_kernelINS0_14default_configENS1_20scan_config_selectorIlEEZZNS1_9scan_implILNS1_25lookback_scan_determinismE0ELb0ELb0ES3_PlS8_lN6thrust23THRUST_200600_302600_NS4plusIvEElEEDaPvRmT3_T4_T5_mT6_P12ihipStream_tbENKUlT_T0_E_clISt17integral_constantIbLb1EESQ_EEDaSL_SM_EUlSL_E0_NS1_11comp_targetILNS1_3genE10ELNS1_11target_archE1201ELNS1_3gpuE5ELNS1_3repE0EEENS1_30default_config_static_selectorELNS0_4arch9wavefront6targetE0EEEvT1_,comdat
	.protected	_ZN7rocprim17ROCPRIM_400000_NS6detail17trampoline_kernelINS0_14default_configENS1_20scan_config_selectorIlEEZZNS1_9scan_implILNS1_25lookback_scan_determinismE0ELb0ELb0ES3_PlS8_lN6thrust23THRUST_200600_302600_NS4plusIvEElEEDaPvRmT3_T4_T5_mT6_P12ihipStream_tbENKUlT_T0_E_clISt17integral_constantIbLb1EESQ_EEDaSL_SM_EUlSL_E0_NS1_11comp_targetILNS1_3genE10ELNS1_11target_archE1201ELNS1_3gpuE5ELNS1_3repE0EEENS1_30default_config_static_selectorELNS0_4arch9wavefront6targetE0EEEvT1_ ; -- Begin function _ZN7rocprim17ROCPRIM_400000_NS6detail17trampoline_kernelINS0_14default_configENS1_20scan_config_selectorIlEEZZNS1_9scan_implILNS1_25lookback_scan_determinismE0ELb0ELb0ES3_PlS8_lN6thrust23THRUST_200600_302600_NS4plusIvEElEEDaPvRmT3_T4_T5_mT6_P12ihipStream_tbENKUlT_T0_E_clISt17integral_constantIbLb1EESQ_EEDaSL_SM_EUlSL_E0_NS1_11comp_targetILNS1_3genE10ELNS1_11target_archE1201ELNS1_3gpuE5ELNS1_3repE0EEENS1_30default_config_static_selectorELNS0_4arch9wavefront6targetE0EEEvT1_
	.globl	_ZN7rocprim17ROCPRIM_400000_NS6detail17trampoline_kernelINS0_14default_configENS1_20scan_config_selectorIlEEZZNS1_9scan_implILNS1_25lookback_scan_determinismE0ELb0ELb0ES3_PlS8_lN6thrust23THRUST_200600_302600_NS4plusIvEElEEDaPvRmT3_T4_T5_mT6_P12ihipStream_tbENKUlT_T0_E_clISt17integral_constantIbLb1EESQ_EEDaSL_SM_EUlSL_E0_NS1_11comp_targetILNS1_3genE10ELNS1_11target_archE1201ELNS1_3gpuE5ELNS1_3repE0EEENS1_30default_config_static_selectorELNS0_4arch9wavefront6targetE0EEEvT1_
	.p2align	8
	.type	_ZN7rocprim17ROCPRIM_400000_NS6detail17trampoline_kernelINS0_14default_configENS1_20scan_config_selectorIlEEZZNS1_9scan_implILNS1_25lookback_scan_determinismE0ELb0ELb0ES3_PlS8_lN6thrust23THRUST_200600_302600_NS4plusIvEElEEDaPvRmT3_T4_T5_mT6_P12ihipStream_tbENKUlT_T0_E_clISt17integral_constantIbLb1EESQ_EEDaSL_SM_EUlSL_E0_NS1_11comp_targetILNS1_3genE10ELNS1_11target_archE1201ELNS1_3gpuE5ELNS1_3repE0EEENS1_30default_config_static_selectorELNS0_4arch9wavefront6targetE0EEEvT1_,@function
_ZN7rocprim17ROCPRIM_400000_NS6detail17trampoline_kernelINS0_14default_configENS1_20scan_config_selectorIlEEZZNS1_9scan_implILNS1_25lookback_scan_determinismE0ELb0ELb0ES3_PlS8_lN6thrust23THRUST_200600_302600_NS4plusIvEElEEDaPvRmT3_T4_T5_mT6_P12ihipStream_tbENKUlT_T0_E_clISt17integral_constantIbLb1EESQ_EEDaSL_SM_EUlSL_E0_NS1_11comp_targetILNS1_3genE10ELNS1_11target_archE1201ELNS1_3gpuE5ELNS1_3repE0EEENS1_30default_config_static_selectorELNS0_4arch9wavefront6targetE0EEEvT1_: ; @_ZN7rocprim17ROCPRIM_400000_NS6detail17trampoline_kernelINS0_14default_configENS1_20scan_config_selectorIlEEZZNS1_9scan_implILNS1_25lookback_scan_determinismE0ELb0ELb0ES3_PlS8_lN6thrust23THRUST_200600_302600_NS4plusIvEElEEDaPvRmT3_T4_T5_mT6_P12ihipStream_tbENKUlT_T0_E_clISt17integral_constantIbLb1EESQ_EEDaSL_SM_EUlSL_E0_NS1_11comp_targetILNS1_3genE10ELNS1_11target_archE1201ELNS1_3gpuE5ELNS1_3repE0EEENS1_30default_config_static_selectorELNS0_4arch9wavefront6targetE0EEEvT1_
; %bb.0:
	.section	.rodata,"a",@progbits
	.p2align	6, 0x0
	.amdhsa_kernel _ZN7rocprim17ROCPRIM_400000_NS6detail17trampoline_kernelINS0_14default_configENS1_20scan_config_selectorIlEEZZNS1_9scan_implILNS1_25lookback_scan_determinismE0ELb0ELb0ES3_PlS8_lN6thrust23THRUST_200600_302600_NS4plusIvEElEEDaPvRmT3_T4_T5_mT6_P12ihipStream_tbENKUlT_T0_E_clISt17integral_constantIbLb1EESQ_EEDaSL_SM_EUlSL_E0_NS1_11comp_targetILNS1_3genE10ELNS1_11target_archE1201ELNS1_3gpuE5ELNS1_3repE0EEENS1_30default_config_static_selectorELNS0_4arch9wavefront6targetE0EEEvT1_
		.amdhsa_group_segment_fixed_size 0
		.amdhsa_private_segment_fixed_size 0
		.amdhsa_kernarg_size 40
		.amdhsa_user_sgpr_count 15
		.amdhsa_user_sgpr_dispatch_ptr 0
		.amdhsa_user_sgpr_queue_ptr 0
		.amdhsa_user_sgpr_kernarg_segment_ptr 1
		.amdhsa_user_sgpr_dispatch_id 0
		.amdhsa_user_sgpr_private_segment_size 0
		.amdhsa_wavefront_size32 1
		.amdhsa_uses_dynamic_stack 0
		.amdhsa_enable_private_segment 0
		.amdhsa_system_sgpr_workgroup_id_x 1
		.amdhsa_system_sgpr_workgroup_id_y 0
		.amdhsa_system_sgpr_workgroup_id_z 0
		.amdhsa_system_sgpr_workgroup_info 0
		.amdhsa_system_vgpr_workitem_id 0
		.amdhsa_next_free_vgpr 1
		.amdhsa_next_free_sgpr 1
		.amdhsa_reserve_vcc 0
		.amdhsa_float_round_mode_32 0
		.amdhsa_float_round_mode_16_64 0
		.amdhsa_float_denorm_mode_32 3
		.amdhsa_float_denorm_mode_16_64 3
		.amdhsa_dx10_clamp 1
		.amdhsa_ieee_mode 1
		.amdhsa_fp16_overflow 0
		.amdhsa_workgroup_processor_mode 1
		.amdhsa_memory_ordered 1
		.amdhsa_forward_progress 0
		.amdhsa_shared_vgpr_count 0
		.amdhsa_exception_fp_ieee_invalid_op 0
		.amdhsa_exception_fp_denorm_src 0
		.amdhsa_exception_fp_ieee_div_zero 0
		.amdhsa_exception_fp_ieee_overflow 0
		.amdhsa_exception_fp_ieee_underflow 0
		.amdhsa_exception_fp_ieee_inexact 0
		.amdhsa_exception_int_div_zero 0
	.end_amdhsa_kernel
	.section	.text._ZN7rocprim17ROCPRIM_400000_NS6detail17trampoline_kernelINS0_14default_configENS1_20scan_config_selectorIlEEZZNS1_9scan_implILNS1_25lookback_scan_determinismE0ELb0ELb0ES3_PlS8_lN6thrust23THRUST_200600_302600_NS4plusIvEElEEDaPvRmT3_T4_T5_mT6_P12ihipStream_tbENKUlT_T0_E_clISt17integral_constantIbLb1EESQ_EEDaSL_SM_EUlSL_E0_NS1_11comp_targetILNS1_3genE10ELNS1_11target_archE1201ELNS1_3gpuE5ELNS1_3repE0EEENS1_30default_config_static_selectorELNS0_4arch9wavefront6targetE0EEEvT1_,"axG",@progbits,_ZN7rocprim17ROCPRIM_400000_NS6detail17trampoline_kernelINS0_14default_configENS1_20scan_config_selectorIlEEZZNS1_9scan_implILNS1_25lookback_scan_determinismE0ELb0ELb0ES3_PlS8_lN6thrust23THRUST_200600_302600_NS4plusIvEElEEDaPvRmT3_T4_T5_mT6_P12ihipStream_tbENKUlT_T0_E_clISt17integral_constantIbLb1EESQ_EEDaSL_SM_EUlSL_E0_NS1_11comp_targetILNS1_3genE10ELNS1_11target_archE1201ELNS1_3gpuE5ELNS1_3repE0EEENS1_30default_config_static_selectorELNS0_4arch9wavefront6targetE0EEEvT1_,comdat
.Lfunc_end117:
	.size	_ZN7rocprim17ROCPRIM_400000_NS6detail17trampoline_kernelINS0_14default_configENS1_20scan_config_selectorIlEEZZNS1_9scan_implILNS1_25lookback_scan_determinismE0ELb0ELb0ES3_PlS8_lN6thrust23THRUST_200600_302600_NS4plusIvEElEEDaPvRmT3_T4_T5_mT6_P12ihipStream_tbENKUlT_T0_E_clISt17integral_constantIbLb1EESQ_EEDaSL_SM_EUlSL_E0_NS1_11comp_targetILNS1_3genE10ELNS1_11target_archE1201ELNS1_3gpuE5ELNS1_3repE0EEENS1_30default_config_static_selectorELNS0_4arch9wavefront6targetE0EEEvT1_, .Lfunc_end117-_ZN7rocprim17ROCPRIM_400000_NS6detail17trampoline_kernelINS0_14default_configENS1_20scan_config_selectorIlEEZZNS1_9scan_implILNS1_25lookback_scan_determinismE0ELb0ELb0ES3_PlS8_lN6thrust23THRUST_200600_302600_NS4plusIvEElEEDaPvRmT3_T4_T5_mT6_P12ihipStream_tbENKUlT_T0_E_clISt17integral_constantIbLb1EESQ_EEDaSL_SM_EUlSL_E0_NS1_11comp_targetILNS1_3genE10ELNS1_11target_archE1201ELNS1_3gpuE5ELNS1_3repE0EEENS1_30default_config_static_selectorELNS0_4arch9wavefront6targetE0EEEvT1_
                                        ; -- End function
	.section	.AMDGPU.csdata,"",@progbits
; Kernel info:
; codeLenInByte = 0
; NumSgprs: 0
; NumVgprs: 0
; ScratchSize: 0
; MemoryBound: 0
; FloatMode: 240
; IeeeMode: 1
; LDSByteSize: 0 bytes/workgroup (compile time only)
; SGPRBlocks: 0
; VGPRBlocks: 0
; NumSGPRsForWavesPerEU: 1
; NumVGPRsForWavesPerEU: 1
; Occupancy: 16
; WaveLimiterHint : 0
; COMPUTE_PGM_RSRC2:SCRATCH_EN: 0
; COMPUTE_PGM_RSRC2:USER_SGPR: 15
; COMPUTE_PGM_RSRC2:TRAP_HANDLER: 0
; COMPUTE_PGM_RSRC2:TGID_X_EN: 1
; COMPUTE_PGM_RSRC2:TGID_Y_EN: 0
; COMPUTE_PGM_RSRC2:TGID_Z_EN: 0
; COMPUTE_PGM_RSRC2:TIDIG_COMP_CNT: 0
	.section	.text._ZN7rocprim17ROCPRIM_400000_NS6detail17trampoline_kernelINS0_14default_configENS1_20scan_config_selectorIlEEZZNS1_9scan_implILNS1_25lookback_scan_determinismE0ELb0ELb0ES3_PlS8_lN6thrust23THRUST_200600_302600_NS4plusIvEElEEDaPvRmT3_T4_T5_mT6_P12ihipStream_tbENKUlT_T0_E_clISt17integral_constantIbLb1EESQ_EEDaSL_SM_EUlSL_E0_NS1_11comp_targetILNS1_3genE10ELNS1_11target_archE1200ELNS1_3gpuE4ELNS1_3repE0EEENS1_30default_config_static_selectorELNS0_4arch9wavefront6targetE0EEEvT1_,"axG",@progbits,_ZN7rocprim17ROCPRIM_400000_NS6detail17trampoline_kernelINS0_14default_configENS1_20scan_config_selectorIlEEZZNS1_9scan_implILNS1_25lookback_scan_determinismE0ELb0ELb0ES3_PlS8_lN6thrust23THRUST_200600_302600_NS4plusIvEElEEDaPvRmT3_T4_T5_mT6_P12ihipStream_tbENKUlT_T0_E_clISt17integral_constantIbLb1EESQ_EEDaSL_SM_EUlSL_E0_NS1_11comp_targetILNS1_3genE10ELNS1_11target_archE1200ELNS1_3gpuE4ELNS1_3repE0EEENS1_30default_config_static_selectorELNS0_4arch9wavefront6targetE0EEEvT1_,comdat
	.protected	_ZN7rocprim17ROCPRIM_400000_NS6detail17trampoline_kernelINS0_14default_configENS1_20scan_config_selectorIlEEZZNS1_9scan_implILNS1_25lookback_scan_determinismE0ELb0ELb0ES3_PlS8_lN6thrust23THRUST_200600_302600_NS4plusIvEElEEDaPvRmT3_T4_T5_mT6_P12ihipStream_tbENKUlT_T0_E_clISt17integral_constantIbLb1EESQ_EEDaSL_SM_EUlSL_E0_NS1_11comp_targetILNS1_3genE10ELNS1_11target_archE1200ELNS1_3gpuE4ELNS1_3repE0EEENS1_30default_config_static_selectorELNS0_4arch9wavefront6targetE0EEEvT1_ ; -- Begin function _ZN7rocprim17ROCPRIM_400000_NS6detail17trampoline_kernelINS0_14default_configENS1_20scan_config_selectorIlEEZZNS1_9scan_implILNS1_25lookback_scan_determinismE0ELb0ELb0ES3_PlS8_lN6thrust23THRUST_200600_302600_NS4plusIvEElEEDaPvRmT3_T4_T5_mT6_P12ihipStream_tbENKUlT_T0_E_clISt17integral_constantIbLb1EESQ_EEDaSL_SM_EUlSL_E0_NS1_11comp_targetILNS1_3genE10ELNS1_11target_archE1200ELNS1_3gpuE4ELNS1_3repE0EEENS1_30default_config_static_selectorELNS0_4arch9wavefront6targetE0EEEvT1_
	.globl	_ZN7rocprim17ROCPRIM_400000_NS6detail17trampoline_kernelINS0_14default_configENS1_20scan_config_selectorIlEEZZNS1_9scan_implILNS1_25lookback_scan_determinismE0ELb0ELb0ES3_PlS8_lN6thrust23THRUST_200600_302600_NS4plusIvEElEEDaPvRmT3_T4_T5_mT6_P12ihipStream_tbENKUlT_T0_E_clISt17integral_constantIbLb1EESQ_EEDaSL_SM_EUlSL_E0_NS1_11comp_targetILNS1_3genE10ELNS1_11target_archE1200ELNS1_3gpuE4ELNS1_3repE0EEENS1_30default_config_static_selectorELNS0_4arch9wavefront6targetE0EEEvT1_
	.p2align	8
	.type	_ZN7rocprim17ROCPRIM_400000_NS6detail17trampoline_kernelINS0_14default_configENS1_20scan_config_selectorIlEEZZNS1_9scan_implILNS1_25lookback_scan_determinismE0ELb0ELb0ES3_PlS8_lN6thrust23THRUST_200600_302600_NS4plusIvEElEEDaPvRmT3_T4_T5_mT6_P12ihipStream_tbENKUlT_T0_E_clISt17integral_constantIbLb1EESQ_EEDaSL_SM_EUlSL_E0_NS1_11comp_targetILNS1_3genE10ELNS1_11target_archE1200ELNS1_3gpuE4ELNS1_3repE0EEENS1_30default_config_static_selectorELNS0_4arch9wavefront6targetE0EEEvT1_,@function
_ZN7rocprim17ROCPRIM_400000_NS6detail17trampoline_kernelINS0_14default_configENS1_20scan_config_selectorIlEEZZNS1_9scan_implILNS1_25lookback_scan_determinismE0ELb0ELb0ES3_PlS8_lN6thrust23THRUST_200600_302600_NS4plusIvEElEEDaPvRmT3_T4_T5_mT6_P12ihipStream_tbENKUlT_T0_E_clISt17integral_constantIbLb1EESQ_EEDaSL_SM_EUlSL_E0_NS1_11comp_targetILNS1_3genE10ELNS1_11target_archE1200ELNS1_3gpuE4ELNS1_3repE0EEENS1_30default_config_static_selectorELNS0_4arch9wavefront6targetE0EEEvT1_: ; @_ZN7rocprim17ROCPRIM_400000_NS6detail17trampoline_kernelINS0_14default_configENS1_20scan_config_selectorIlEEZZNS1_9scan_implILNS1_25lookback_scan_determinismE0ELb0ELb0ES3_PlS8_lN6thrust23THRUST_200600_302600_NS4plusIvEElEEDaPvRmT3_T4_T5_mT6_P12ihipStream_tbENKUlT_T0_E_clISt17integral_constantIbLb1EESQ_EEDaSL_SM_EUlSL_E0_NS1_11comp_targetILNS1_3genE10ELNS1_11target_archE1200ELNS1_3gpuE4ELNS1_3repE0EEENS1_30default_config_static_selectorELNS0_4arch9wavefront6targetE0EEEvT1_
; %bb.0:
	.section	.rodata,"a",@progbits
	.p2align	6, 0x0
	.amdhsa_kernel _ZN7rocprim17ROCPRIM_400000_NS6detail17trampoline_kernelINS0_14default_configENS1_20scan_config_selectorIlEEZZNS1_9scan_implILNS1_25lookback_scan_determinismE0ELb0ELb0ES3_PlS8_lN6thrust23THRUST_200600_302600_NS4plusIvEElEEDaPvRmT3_T4_T5_mT6_P12ihipStream_tbENKUlT_T0_E_clISt17integral_constantIbLb1EESQ_EEDaSL_SM_EUlSL_E0_NS1_11comp_targetILNS1_3genE10ELNS1_11target_archE1200ELNS1_3gpuE4ELNS1_3repE0EEENS1_30default_config_static_selectorELNS0_4arch9wavefront6targetE0EEEvT1_
		.amdhsa_group_segment_fixed_size 0
		.amdhsa_private_segment_fixed_size 0
		.amdhsa_kernarg_size 40
		.amdhsa_user_sgpr_count 15
		.amdhsa_user_sgpr_dispatch_ptr 0
		.amdhsa_user_sgpr_queue_ptr 0
		.amdhsa_user_sgpr_kernarg_segment_ptr 1
		.amdhsa_user_sgpr_dispatch_id 0
		.amdhsa_user_sgpr_private_segment_size 0
		.amdhsa_wavefront_size32 1
		.amdhsa_uses_dynamic_stack 0
		.amdhsa_enable_private_segment 0
		.amdhsa_system_sgpr_workgroup_id_x 1
		.amdhsa_system_sgpr_workgroup_id_y 0
		.amdhsa_system_sgpr_workgroup_id_z 0
		.amdhsa_system_sgpr_workgroup_info 0
		.amdhsa_system_vgpr_workitem_id 0
		.amdhsa_next_free_vgpr 1
		.amdhsa_next_free_sgpr 1
		.amdhsa_reserve_vcc 0
		.amdhsa_float_round_mode_32 0
		.amdhsa_float_round_mode_16_64 0
		.amdhsa_float_denorm_mode_32 3
		.amdhsa_float_denorm_mode_16_64 3
		.amdhsa_dx10_clamp 1
		.amdhsa_ieee_mode 1
		.amdhsa_fp16_overflow 0
		.amdhsa_workgroup_processor_mode 1
		.amdhsa_memory_ordered 1
		.amdhsa_forward_progress 0
		.amdhsa_shared_vgpr_count 0
		.amdhsa_exception_fp_ieee_invalid_op 0
		.amdhsa_exception_fp_denorm_src 0
		.amdhsa_exception_fp_ieee_div_zero 0
		.amdhsa_exception_fp_ieee_overflow 0
		.amdhsa_exception_fp_ieee_underflow 0
		.amdhsa_exception_fp_ieee_inexact 0
		.amdhsa_exception_int_div_zero 0
	.end_amdhsa_kernel
	.section	.text._ZN7rocprim17ROCPRIM_400000_NS6detail17trampoline_kernelINS0_14default_configENS1_20scan_config_selectorIlEEZZNS1_9scan_implILNS1_25lookback_scan_determinismE0ELb0ELb0ES3_PlS8_lN6thrust23THRUST_200600_302600_NS4plusIvEElEEDaPvRmT3_T4_T5_mT6_P12ihipStream_tbENKUlT_T0_E_clISt17integral_constantIbLb1EESQ_EEDaSL_SM_EUlSL_E0_NS1_11comp_targetILNS1_3genE10ELNS1_11target_archE1200ELNS1_3gpuE4ELNS1_3repE0EEENS1_30default_config_static_selectorELNS0_4arch9wavefront6targetE0EEEvT1_,"axG",@progbits,_ZN7rocprim17ROCPRIM_400000_NS6detail17trampoline_kernelINS0_14default_configENS1_20scan_config_selectorIlEEZZNS1_9scan_implILNS1_25lookback_scan_determinismE0ELb0ELb0ES3_PlS8_lN6thrust23THRUST_200600_302600_NS4plusIvEElEEDaPvRmT3_T4_T5_mT6_P12ihipStream_tbENKUlT_T0_E_clISt17integral_constantIbLb1EESQ_EEDaSL_SM_EUlSL_E0_NS1_11comp_targetILNS1_3genE10ELNS1_11target_archE1200ELNS1_3gpuE4ELNS1_3repE0EEENS1_30default_config_static_selectorELNS0_4arch9wavefront6targetE0EEEvT1_,comdat
.Lfunc_end118:
	.size	_ZN7rocprim17ROCPRIM_400000_NS6detail17trampoline_kernelINS0_14default_configENS1_20scan_config_selectorIlEEZZNS1_9scan_implILNS1_25lookback_scan_determinismE0ELb0ELb0ES3_PlS8_lN6thrust23THRUST_200600_302600_NS4plusIvEElEEDaPvRmT3_T4_T5_mT6_P12ihipStream_tbENKUlT_T0_E_clISt17integral_constantIbLb1EESQ_EEDaSL_SM_EUlSL_E0_NS1_11comp_targetILNS1_3genE10ELNS1_11target_archE1200ELNS1_3gpuE4ELNS1_3repE0EEENS1_30default_config_static_selectorELNS0_4arch9wavefront6targetE0EEEvT1_, .Lfunc_end118-_ZN7rocprim17ROCPRIM_400000_NS6detail17trampoline_kernelINS0_14default_configENS1_20scan_config_selectorIlEEZZNS1_9scan_implILNS1_25lookback_scan_determinismE0ELb0ELb0ES3_PlS8_lN6thrust23THRUST_200600_302600_NS4plusIvEElEEDaPvRmT3_T4_T5_mT6_P12ihipStream_tbENKUlT_T0_E_clISt17integral_constantIbLb1EESQ_EEDaSL_SM_EUlSL_E0_NS1_11comp_targetILNS1_3genE10ELNS1_11target_archE1200ELNS1_3gpuE4ELNS1_3repE0EEENS1_30default_config_static_selectorELNS0_4arch9wavefront6targetE0EEEvT1_
                                        ; -- End function
	.section	.AMDGPU.csdata,"",@progbits
; Kernel info:
; codeLenInByte = 0
; NumSgprs: 0
; NumVgprs: 0
; ScratchSize: 0
; MemoryBound: 0
; FloatMode: 240
; IeeeMode: 1
; LDSByteSize: 0 bytes/workgroup (compile time only)
; SGPRBlocks: 0
; VGPRBlocks: 0
; NumSGPRsForWavesPerEU: 1
; NumVGPRsForWavesPerEU: 1
; Occupancy: 16
; WaveLimiterHint : 0
; COMPUTE_PGM_RSRC2:SCRATCH_EN: 0
; COMPUTE_PGM_RSRC2:USER_SGPR: 15
; COMPUTE_PGM_RSRC2:TRAP_HANDLER: 0
; COMPUTE_PGM_RSRC2:TGID_X_EN: 1
; COMPUTE_PGM_RSRC2:TGID_Y_EN: 0
; COMPUTE_PGM_RSRC2:TGID_Z_EN: 0
; COMPUTE_PGM_RSRC2:TIDIG_COMP_CNT: 0
	.section	.text._ZN7rocprim17ROCPRIM_400000_NS6detail17trampoline_kernelINS0_14default_configENS1_20scan_config_selectorIlEEZZNS1_9scan_implILNS1_25lookback_scan_determinismE0ELb0ELb0ES3_PlS8_lN6thrust23THRUST_200600_302600_NS4plusIvEElEEDaPvRmT3_T4_T5_mT6_P12ihipStream_tbENKUlT_T0_E_clISt17integral_constantIbLb1EESQ_EEDaSL_SM_EUlSL_E0_NS1_11comp_targetILNS1_3genE9ELNS1_11target_archE1100ELNS1_3gpuE3ELNS1_3repE0EEENS1_30default_config_static_selectorELNS0_4arch9wavefront6targetE0EEEvT1_,"axG",@progbits,_ZN7rocprim17ROCPRIM_400000_NS6detail17trampoline_kernelINS0_14default_configENS1_20scan_config_selectorIlEEZZNS1_9scan_implILNS1_25lookback_scan_determinismE0ELb0ELb0ES3_PlS8_lN6thrust23THRUST_200600_302600_NS4plusIvEElEEDaPvRmT3_T4_T5_mT6_P12ihipStream_tbENKUlT_T0_E_clISt17integral_constantIbLb1EESQ_EEDaSL_SM_EUlSL_E0_NS1_11comp_targetILNS1_3genE9ELNS1_11target_archE1100ELNS1_3gpuE3ELNS1_3repE0EEENS1_30default_config_static_selectorELNS0_4arch9wavefront6targetE0EEEvT1_,comdat
	.protected	_ZN7rocprim17ROCPRIM_400000_NS6detail17trampoline_kernelINS0_14default_configENS1_20scan_config_selectorIlEEZZNS1_9scan_implILNS1_25lookback_scan_determinismE0ELb0ELb0ES3_PlS8_lN6thrust23THRUST_200600_302600_NS4plusIvEElEEDaPvRmT3_T4_T5_mT6_P12ihipStream_tbENKUlT_T0_E_clISt17integral_constantIbLb1EESQ_EEDaSL_SM_EUlSL_E0_NS1_11comp_targetILNS1_3genE9ELNS1_11target_archE1100ELNS1_3gpuE3ELNS1_3repE0EEENS1_30default_config_static_selectorELNS0_4arch9wavefront6targetE0EEEvT1_ ; -- Begin function _ZN7rocprim17ROCPRIM_400000_NS6detail17trampoline_kernelINS0_14default_configENS1_20scan_config_selectorIlEEZZNS1_9scan_implILNS1_25lookback_scan_determinismE0ELb0ELb0ES3_PlS8_lN6thrust23THRUST_200600_302600_NS4plusIvEElEEDaPvRmT3_T4_T5_mT6_P12ihipStream_tbENKUlT_T0_E_clISt17integral_constantIbLb1EESQ_EEDaSL_SM_EUlSL_E0_NS1_11comp_targetILNS1_3genE9ELNS1_11target_archE1100ELNS1_3gpuE3ELNS1_3repE0EEENS1_30default_config_static_selectorELNS0_4arch9wavefront6targetE0EEEvT1_
	.globl	_ZN7rocprim17ROCPRIM_400000_NS6detail17trampoline_kernelINS0_14default_configENS1_20scan_config_selectorIlEEZZNS1_9scan_implILNS1_25lookback_scan_determinismE0ELb0ELb0ES3_PlS8_lN6thrust23THRUST_200600_302600_NS4plusIvEElEEDaPvRmT3_T4_T5_mT6_P12ihipStream_tbENKUlT_T0_E_clISt17integral_constantIbLb1EESQ_EEDaSL_SM_EUlSL_E0_NS1_11comp_targetILNS1_3genE9ELNS1_11target_archE1100ELNS1_3gpuE3ELNS1_3repE0EEENS1_30default_config_static_selectorELNS0_4arch9wavefront6targetE0EEEvT1_
	.p2align	8
	.type	_ZN7rocprim17ROCPRIM_400000_NS6detail17trampoline_kernelINS0_14default_configENS1_20scan_config_selectorIlEEZZNS1_9scan_implILNS1_25lookback_scan_determinismE0ELb0ELb0ES3_PlS8_lN6thrust23THRUST_200600_302600_NS4plusIvEElEEDaPvRmT3_T4_T5_mT6_P12ihipStream_tbENKUlT_T0_E_clISt17integral_constantIbLb1EESQ_EEDaSL_SM_EUlSL_E0_NS1_11comp_targetILNS1_3genE9ELNS1_11target_archE1100ELNS1_3gpuE3ELNS1_3repE0EEENS1_30default_config_static_selectorELNS0_4arch9wavefront6targetE0EEEvT1_,@function
_ZN7rocprim17ROCPRIM_400000_NS6detail17trampoline_kernelINS0_14default_configENS1_20scan_config_selectorIlEEZZNS1_9scan_implILNS1_25lookback_scan_determinismE0ELb0ELb0ES3_PlS8_lN6thrust23THRUST_200600_302600_NS4plusIvEElEEDaPvRmT3_T4_T5_mT6_P12ihipStream_tbENKUlT_T0_E_clISt17integral_constantIbLb1EESQ_EEDaSL_SM_EUlSL_E0_NS1_11comp_targetILNS1_3genE9ELNS1_11target_archE1100ELNS1_3gpuE3ELNS1_3repE0EEENS1_30default_config_static_selectorELNS0_4arch9wavefront6targetE0EEEvT1_: ; @_ZN7rocprim17ROCPRIM_400000_NS6detail17trampoline_kernelINS0_14default_configENS1_20scan_config_selectorIlEEZZNS1_9scan_implILNS1_25lookback_scan_determinismE0ELb0ELb0ES3_PlS8_lN6thrust23THRUST_200600_302600_NS4plusIvEElEEDaPvRmT3_T4_T5_mT6_P12ihipStream_tbENKUlT_T0_E_clISt17integral_constantIbLb1EESQ_EEDaSL_SM_EUlSL_E0_NS1_11comp_targetILNS1_3genE9ELNS1_11target_archE1100ELNS1_3gpuE3ELNS1_3repE0EEENS1_30default_config_static_selectorELNS0_4arch9wavefront6targetE0EEEvT1_
; %bb.0:
	s_load_b128 s[20:23], s[0:1], 0x0
	v_lshlrev_b32_e32 v67, 3, v0
	s_waitcnt lgkmcnt(0)
	s_load_b64 s[18:19], s[20:21], 0x0
	v_cmp_gt_u32_e32 vcc_lo, s22, v0
	s_waitcnt lgkmcnt(0)
	v_dual_mov_b32 v1, s18 :: v_dual_mov_b32 v2, s19
	s_and_saveexec_b32 s2, vcc_lo
	s_cbranch_execz .LBB119_2
; %bb.1:
	global_load_b64 v[1:2], v67, s[20:21]
.LBB119_2:
	s_or_b32 exec_lo, exec_lo, s2
	v_or_b32_e32 v33, 0x100, v0
	v_dual_mov_b32 v3, s18 :: v_dual_mov_b32 v4, s19
	s_delay_alu instid0(VALU_DEP_2) | instskip(NEXT) | instid1(VALU_DEP_1)
	v_cmp_gt_u32_e64 s2, s22, v33
	s_and_saveexec_b32 s3, s2
	s_cbranch_execz .LBB119_4
; %bb.3:
	global_load_b64 v[3:4], v67, s[20:21] offset:2048
.LBB119_4:
	s_or_b32 exec_lo, exec_lo, s3
	v_or_b32_e32 v34, 0x200, v0
	v_dual_mov_b32 v5, s18 :: v_dual_mov_b32 v6, s19
	s_delay_alu instid0(VALU_DEP_2) | instskip(NEXT) | instid1(VALU_DEP_1)
	v_cmp_gt_u32_e64 s3, s22, v34
	s_and_saveexec_b32 s4, s3
	s_cbranch_execz .LBB119_6
; %bb.5:
	v_lshlrev_b32_e32 v5, 3, v34
	global_load_b64 v[5:6], v5, s[20:21]
.LBB119_6:
	s_or_b32 exec_lo, exec_lo, s4
	v_or_b32_e32 v35, 0x300, v0
	v_dual_mov_b32 v9, s18 :: v_dual_mov_b32 v10, s19
	s_delay_alu instid0(VALU_DEP_2) | instskip(NEXT) | instid1(VALU_DEP_1)
	v_cmp_gt_u32_e64 s4, s22, v35
	s_and_saveexec_b32 s5, s4
	s_cbranch_execz .LBB119_8
; %bb.7:
	v_lshlrev_b32_e32 v7, 3, v35
	global_load_b64 v[9:10], v7, s[20:21]
.LBB119_8:
	;; [unrolled: 11-line block ×14, first 2 shown]
	s_or_b32 exec_lo, exec_lo, s17
	v_lshrrev_b32_e32 v48, 2, v0
	v_lshrrev_b32_e32 v34, 2, v34
	;; [unrolled: 1-line block ×5, first 2 shown]
	v_and_b32_e32 v48, 56, v48
	v_and_b32_e32 v34, 0xf8, v34
	;; [unrolled: 1-line block ×4, first 2 shown]
	s_load_b64 s[18:19], s[0:1], 0x20
	v_add_nc_u32_e32 v68, v48, v67
	v_add_nc_u32_e32 v70, v34, v67
	v_and_b32_e32 v34, 0x1f8, v36
	v_lshrrev_b32_e32 v36, 2, v39
	v_add_nc_u32_e32 v69, v33, v67
	v_add_nc_u32_e32 v71, v35, v67
	s_waitcnt vmcnt(0)
	ds_store_b64 v68, v[1:2]
	ds_store_b64 v69, v[3:4] offset:2048
	ds_store_b64 v70, v[5:6] offset:4096
	;; [unrolled: 1-line block ×3, first 2 shown]
	v_and_b32_e32 v1, 0x1f8, v36
	v_lshrrev_b32_e32 v2, 2, v40
	v_lshrrev_b32_e32 v3, 2, v41
	;; [unrolled: 1-line block ×4, first 2 shown]
	v_add_nc_u32_e32 v75, v1, v67
	v_and_b32_e32 v1, 0x3f8, v2
	v_and_b32_e32 v2, 0x3f8, v3
	;; [unrolled: 1-line block ×4, first 2 shown]
	v_lshrrev_b32_e32 v33, 2, v37
	v_add_nc_u32_e32 v76, v1, v67
	v_lshrrev_b32_e32 v1, 2, v44
	v_add_nc_u32_e32 v77, v2, v67
	v_lshrrev_b32_e32 v2, 2, v45
	v_lshrrev_b32_e32 v37, 2, v38
	v_add_nc_u32_e32 v78, v3, v67
	v_lshrrev_b32_e32 v3, 2, v46
	v_add_nc_u32_e32 v79, v4, v67
	v_lshrrev_b32_e32 v4, 2, v47
	v_and_b32_e32 v1, 0x3f8, v1
	v_lshlrev_b32_e32 v5, 4, v0
	v_lshrrev_b32_e32 v6, 1, v0
	v_and_b32_e32 v33, 0x1f8, v33
	v_and_b32_e32 v2, 0x3f8, v2
	;; [unrolled: 1-line block ×5, first 2 shown]
	v_add_nc_u32_e32 v72, v34, v67
	v_add_nc_u32_e32 v80, v1, v67
	v_add_lshl_u32 v84, v6, v5, 3
	v_add_nc_u32_e32 v73, v33, v67
	v_add_nc_u32_e32 v81, v2, v67
	;; [unrolled: 1-line block ×5, first 2 shown]
	ds_store_b64 v72, v[7:8] offset:8192
	ds_store_b64 v73, v[11:12] offset:10240
	;; [unrolled: 1-line block ×12, first 2 shown]
	s_waitcnt lgkmcnt(0)
	s_barrier
	buffer_gl0_inv
	ds_load_2addr_b64 v[1:4], v84 offset1:1
	ds_load_2addr_b64 v[5:8], v84 offset0:2 offset1:3
	ds_load_2addr_b64 v[9:12], v84 offset0:4 offset1:5
	;; [unrolled: 1-line block ×7, first 2 shown]
	s_mov_b32 s1, exec_lo
	s_waitcnt lgkmcnt(0)
	s_barrier
	buffer_gl0_inv
	v_add_co_u32 v85, s17, v3, v1
	s_delay_alu instid0(VALU_DEP_1) | instskip(NEXT) | instid1(VALU_DEP_2)
	v_add_co_ci_u32_e64 v86, s17, v4, v2, s17
	v_add_co_u32 v37, s17, v85, v5
	s_delay_alu instid0(VALU_DEP_1) | instskip(NEXT) | instid1(VALU_DEP_2)
	v_add_co_ci_u32_e64 v38, s17, v86, v6, s17
	;; [unrolled: 3-line block ×14, first 2 shown]
	v_add_co_u32 v63, s0, v59, v31
	s_delay_alu instid0(VALU_DEP_1)
	v_add_co_ci_u32_e64 v64, s0, v60, v32, s0
	ds_store_b64 v68, v[63:64]
	s_waitcnt lgkmcnt(0)
	s_barrier
	buffer_gl0_inv
	v_cmpx_gt_u32_e32 32, v0
	s_cbranch_execz .LBB119_42
; %bb.33:
	v_lshlrev_b32_e32 v33, 1, v0
	s_mov_b32 s17, exec_lo
	s_delay_alu instid0(VALU_DEP_1) | instskip(NEXT) | instid1(VALU_DEP_1)
	v_and_b32_e32 v33, 0x1f8, v33
	v_lshl_or_b32 v87, v0, 6, v33
	ds_load_2addr_b64 v[33:36], v87 offset1:1
	ds_load_2addr_b64 v[88:91], v87 offset0:2 offset1:3
	ds_load_2addr_b64 v[92:95], v87 offset0:4 offset1:5
	;; [unrolled: 1-line block ×3, first 2 shown]
	s_waitcnt lgkmcnt(3)
	v_add_co_u32 v35, s0, v35, v33
	s_delay_alu instid0(VALU_DEP_1) | instskip(SKIP_1) | instid1(VALU_DEP_2)
	v_add_co_ci_u32_e64 v36, s0, v36, v34, s0
	s_waitcnt lgkmcnt(2)
	v_add_co_u32 v35, s0, v35, v88
	s_delay_alu instid0(VALU_DEP_1) | instskip(SKIP_1) | instid1(VALU_DEP_3)
	v_add_co_ci_u32_e64 v36, s0, v36, v89, s0
	v_mbcnt_lo_u32_b32 v88, -1, 0
	v_add_co_u32 v35, s0, v35, v90
	s_delay_alu instid0(VALU_DEP_1) | instskip(NEXT) | instid1(VALU_DEP_3)
	v_add_co_ci_u32_e64 v36, s0, v36, v91, s0
	v_and_b32_e32 v89, 15, v88
	s_waitcnt lgkmcnt(1)
	s_delay_alu instid0(VALU_DEP_3) | instskip(NEXT) | instid1(VALU_DEP_1)
	v_add_co_u32 v35, s0, v35, v92
	v_add_co_ci_u32_e64 v36, s0, v36, v93, s0
	s_delay_alu instid0(VALU_DEP_2) | instskip(NEXT) | instid1(VALU_DEP_1)
	v_add_co_u32 v35, s0, v35, v94
	v_add_co_ci_u32_e64 v36, s0, v36, v95, s0
	s_waitcnt lgkmcnt(0)
	s_delay_alu instid0(VALU_DEP_2) | instskip(NEXT) | instid1(VALU_DEP_1)
	v_add_co_u32 v35, s0, v35, v96
	v_add_co_ci_u32_e64 v36, s0, v36, v97, s0
	s_delay_alu instid0(VALU_DEP_2) | instskip(NEXT) | instid1(VALU_DEP_1)
	v_add_co_u32 v35, s0, v35, v98
	v_add_co_ci_u32_e64 v36, s0, v36, v99, s0
	s_delay_alu instid0(VALU_DEP_2) | instskip(NEXT) | instid1(VALU_DEP_2)
	v_mov_b32_dpp v91, v35 row_shr:1 row_mask:0xf bank_mask:0xf
	v_mov_b32_e32 v66, v36
	v_mov_b32_dpp v90, v36 row_shr:1 row_mask:0xf bank_mask:0xf
	v_mov_b32_e32 v65, v35
	v_cmpx_ne_u32_e32 0, v89
; %bb.34:
	v_add_co_u32 v35, s0, v35, v91
	s_delay_alu instid0(VALU_DEP_1) | instskip(NEXT) | instid1(VALU_DEP_2)
	v_add_co_ci_u32_e64 v36, s0, 0, v36, s0
	v_add_co_u32 v65, s0, 0, v35
	s_delay_alu instid0(VALU_DEP_1) | instskip(NEXT) | instid1(VALU_DEP_1)
	v_add_co_ci_u32_e64 v66, s0, v90, v36, s0
	v_mov_b32_e32 v36, v66
; %bb.35:
	s_or_b32 exec_lo, exec_lo, s17
	v_mov_b32_dpp v91, v35 row_shr:2 row_mask:0xf bank_mask:0xf
	s_delay_alu instid0(VALU_DEP_2)
	v_mov_b32_dpp v90, v36 row_shr:2 row_mask:0xf bank_mask:0xf
	s_mov_b32 s17, exec_lo
	v_cmpx_lt_u32_e32 1, v89
; %bb.36:
	s_delay_alu instid0(VALU_DEP_3) | instskip(NEXT) | instid1(VALU_DEP_1)
	v_add_co_u32 v35, s0, v65, v91
	v_add_co_ci_u32_e64 v36, s0, 0, v66, s0
	s_delay_alu instid0(VALU_DEP_2) | instskip(NEXT) | instid1(VALU_DEP_1)
	v_add_co_u32 v65, s0, 0, v35
	v_add_co_ci_u32_e64 v66, s0, v90, v36, s0
	s_delay_alu instid0(VALU_DEP_1)
	v_mov_b32_e32 v36, v66
; %bb.37:
	s_or_b32 exec_lo, exec_lo, s17
	v_mov_b32_dpp v91, v35 row_shr:4 row_mask:0xf bank_mask:0xf
	s_delay_alu instid0(VALU_DEP_2)
	v_mov_b32_dpp v90, v36 row_shr:4 row_mask:0xf bank_mask:0xf
	s_mov_b32 s17, exec_lo
	v_cmpx_lt_u32_e32 3, v89
; %bb.38:
	s_delay_alu instid0(VALU_DEP_3) | instskip(NEXT) | instid1(VALU_DEP_1)
	v_add_co_u32 v35, s0, v65, v91
	v_add_co_ci_u32_e64 v36, s0, 0, v66, s0
	s_delay_alu instid0(VALU_DEP_2) | instskip(NEXT) | instid1(VALU_DEP_1)
	v_add_co_u32 v65, s0, 0, v35
	v_add_co_ci_u32_e64 v66, s0, v90, v36, s0
	s_delay_alu instid0(VALU_DEP_1)
	;; [unrolled: 16-line block ×3, first 2 shown]
	v_mov_b32_e32 v36, v66
; %bb.41:
	s_or_b32 exec_lo, exec_lo, s17
	ds_swizzle_b32 v89, v35 offset:swizzle(BROADCAST,32,15)
	ds_swizzle_b32 v90, v36 offset:swizzle(BROADCAST,32,15)
	v_add_nc_u32_e32 v91, -1, v88
	v_and_b32_e32 v92, 16, v88
	; wave barrier
	s_delay_alu instid0(VALU_DEP_2) | instskip(NEXT) | instid1(VALU_DEP_1)
	v_cmp_gt_i32_e64 s0, 0, v91
	v_cndmask_b32_e64 v88, v91, v88, s0
	s_delay_alu instid0(VALU_DEP_1) | instskip(SKIP_2) | instid1(VALU_DEP_1)
	v_lshlrev_b32_e32 v88, 2, v88
	s_waitcnt lgkmcnt(1)
	v_add_co_u32 v65, s0, v65, v89
	v_add_co_ci_u32_e64 v66, s0, 0, v66, s0
	v_cmp_eq_u32_e64 s0, 0, v92
	s_delay_alu instid0(VALU_DEP_1) | instskip(SKIP_1) | instid1(VALU_DEP_3)
	v_cndmask_b32_e64 v35, v65, v35, s0
	s_waitcnt lgkmcnt(0)
	v_add_nc_u32_e32 v65, v90, v66
	ds_bpermute_b32 v35, v88, v35
	v_cndmask_b32_e64 v36, v65, v36, s0
	ds_bpermute_b32 v36, v88, v36
	s_waitcnt lgkmcnt(1)
	v_add_co_u32 v33, s0, v33, v35
	s_delay_alu instid0(VALU_DEP_1) | instskip(NEXT) | instid1(VALU_DEP_2)
	v_add_co_ci_u32_e64 v34, s0, 0, v34, s0
	v_add_co_u32 v33, s0, v33, 0
	s_waitcnt lgkmcnt(0)
	s_delay_alu instid0(VALU_DEP_2) | instskip(SKIP_1) | instid1(VALU_DEP_1)
	v_add_co_ci_u32_e64 v34, s0, v34, v36, s0
	v_cmp_eq_u32_e64 s0, 0, v0
	v_cndmask_b32_e64 v66, v34, v64, s0
	v_cndmask_b32_e64 v65, v33, v63, s0
	ds_store_b64 v87, v[65:66]
	; wave barrier
	ds_load_2addr_b64 v[33:36], v87 offset0:1 offset1:2
	ds_load_2addr_b64 v[88:91], v87 offset0:3 offset1:4
	;; [unrolled: 1-line block ×3, first 2 shown]
	s_waitcnt lgkmcnt(2)
	v_add_co_u32 v33, s0, v33, v65
	s_delay_alu instid0(VALU_DEP_1) | instskip(SKIP_2) | instid1(VALU_DEP_1)
	v_add_co_ci_u32_e64 v34, s0, v34, v66, s0
	ds_load_b64 v[65:66], v87 offset:56
	v_add_co_u32 v35, s0, v35, v33
	v_add_co_ci_u32_e64 v36, s0, v36, v34, s0
	s_waitcnt lgkmcnt(2)
	s_delay_alu instid0(VALU_DEP_2) | instskip(NEXT) | instid1(VALU_DEP_1)
	v_add_co_u32 v88, s0, v88, v35
	v_add_co_ci_u32_e64 v89, s0, v89, v36, s0
	s_delay_alu instid0(VALU_DEP_2) | instskip(NEXT) | instid1(VALU_DEP_1)
	v_add_co_u32 v90, s0, v90, v88
	v_add_co_ci_u32_e64 v91, s0, v91, v89, s0
	s_waitcnt lgkmcnt(1)
	s_delay_alu instid0(VALU_DEP_2) | instskip(NEXT) | instid1(VALU_DEP_1)
	v_add_co_u32 v92, s0, v92, v90
	v_add_co_ci_u32_e64 v93, s0, v93, v91, s0
	s_delay_alu instid0(VALU_DEP_2) | instskip(NEXT) | instid1(VALU_DEP_1)
	v_add_co_u32 v94, s0, v94, v92
	v_add_co_ci_u32_e64 v95, s0, v95, v93, s0
	s_waitcnt lgkmcnt(0)
	s_delay_alu instid0(VALU_DEP_2) | instskip(NEXT) | instid1(VALU_DEP_1)
	v_add_co_u32 v65, s0, v65, v94
	v_add_co_ci_u32_e64 v66, s0, v66, v95, s0
	ds_store_2addr_b64 v87, v[33:34], v[35:36] offset0:1 offset1:2
	ds_store_2addr_b64 v87, v[88:89], v[90:91] offset0:3 offset1:4
	;; [unrolled: 1-line block ×3, first 2 shown]
	ds_store_b64 v87, v[65:66] offset:56
.LBB119_42:
	s_or_b32 exec_lo, exec_lo, s1
	v_cmp_ne_u32_e64 s0, 0, v0
	v_dual_mov_b32 v33, v63 :: v_dual_mov_b32 v34, v64
	s_waitcnt lgkmcnt(0)
	s_barrier
	buffer_gl0_inv
	s_and_saveexec_b32 s1, s0
	s_cbranch_execz .LBB119_44
; %bb.43:
	v_add_nc_u32_e32 v0, -1, v0
	s_delay_alu instid0(VALU_DEP_1) | instskip(NEXT) | instid1(VALU_DEP_1)
	v_lshrrev_b32_e32 v33, 5, v0
	v_add_lshl_u32 v0, v33, v0, 3
	ds_load_b64 v[33:34], v0
.LBB119_44:
	s_or_b32 exec_lo, exec_lo, s1
	s_and_saveexec_b32 s1, s0
	s_cbranch_execz .LBB119_46
; %bb.45:
	s_waitcnt lgkmcnt(0)
	v_add_co_u32 v1, s0, v33, v1
	s_delay_alu instid0(VALU_DEP_1) | instskip(SKIP_1) | instid1(VALU_DEP_2)
	v_add_co_ci_u32_e64 v2, s0, v34, v2, s0
	;;#ASMSTART
	;;#ASMEND
	v_add_co_u32 v85, s0, v1, v3
	s_delay_alu instid0(VALU_DEP_1) | instskip(NEXT) | instid1(VALU_DEP_2)
	v_add_co_ci_u32_e64 v86, s0, v2, v4, s0
	v_add_co_u32 v37, s0, v85, v5
	s_delay_alu instid0(VALU_DEP_1) | instskip(NEXT) | instid1(VALU_DEP_2)
	v_add_co_ci_u32_e64 v38, s0, v86, v6, s0
	;; [unrolled: 3-line block ×14, first 2 shown]
	v_add_co_u32 v63, s0, v59, v31
	s_delay_alu instid0(VALU_DEP_1)
	v_add_co_ci_u32_e64 v64, s0, v60, v32, s0
.LBB119_46:
	s_or_b32 exec_lo, exec_lo, s1
	v_dual_mov_b32 v3, v85 :: v_dual_mov_b32 v4, v86
	s_waitcnt lgkmcnt(0)
	s_barrier
	buffer_gl0_inv
	ds_store_2addr_b64 v84, v[1:2], v[3:4] offset1:1
	ds_store_2addr_b64 v84, v[37:38], v[41:42] offset0:2 offset1:3
	ds_store_2addr_b64 v84, v[39:40], v[45:46] offset0:4 offset1:5
	;; [unrolled: 1-line block ×7, first 2 shown]
	s_waitcnt lgkmcnt(0)
	s_barrier
	buffer_gl0_inv
	ds_load_b64 v[30:31], v69 offset:2048
	ds_load_b64 v[28:29], v70 offset:4096
	;; [unrolled: 1-line block ×15, first 2 shown]
	v_add_co_u32 v2, s0, s18, v67
	s_delay_alu instid0(VALU_DEP_1)
	v_add_co_ci_u32_e64 v3, null, s19, 0, s0
	s_and_saveexec_b32 s0, vcc_lo
	s_cbranch_execnz .LBB119_63
; %bb.47:
	s_or_b32 exec_lo, exec_lo, s0
	s_and_saveexec_b32 s0, s2
	s_cbranch_execnz .LBB119_64
.LBB119_48:
	s_or_b32 exec_lo, exec_lo, s0
	s_and_saveexec_b32 s0, s3
	s_cbranch_execnz .LBB119_65
.LBB119_49:
	s_or_b32 exec_lo, exec_lo, s0
	s_and_saveexec_b32 s0, s4
	s_cbranch_execnz .LBB119_66
.LBB119_50:
	s_or_b32 exec_lo, exec_lo, s0
	s_and_saveexec_b32 s0, s5
	s_cbranch_execnz .LBB119_67
.LBB119_51:
	s_or_b32 exec_lo, exec_lo, s0
	s_and_saveexec_b32 s0, s6
	s_cbranch_execnz .LBB119_68
.LBB119_52:
	s_or_b32 exec_lo, exec_lo, s0
	s_and_saveexec_b32 s0, s7
	s_cbranch_execnz .LBB119_69
.LBB119_53:
	s_or_b32 exec_lo, exec_lo, s0
	s_and_saveexec_b32 s0, s8
	s_cbranch_execnz .LBB119_70
.LBB119_54:
	s_or_b32 exec_lo, exec_lo, s0
	s_and_saveexec_b32 s0, s9
	s_cbranch_execnz .LBB119_71
.LBB119_55:
	s_or_b32 exec_lo, exec_lo, s0
	s_and_saveexec_b32 s0, s10
	s_cbranch_execnz .LBB119_72
.LBB119_56:
	s_or_b32 exec_lo, exec_lo, s0
	s_and_saveexec_b32 s0, s11
	s_cbranch_execnz .LBB119_73
.LBB119_57:
	s_or_b32 exec_lo, exec_lo, s0
	s_and_saveexec_b32 s0, s12
	s_cbranch_execnz .LBB119_74
.LBB119_58:
	s_or_b32 exec_lo, exec_lo, s0
	s_and_saveexec_b32 s0, s13
	s_cbranch_execnz .LBB119_75
.LBB119_59:
	s_or_b32 exec_lo, exec_lo, s0
	s_and_saveexec_b32 s0, s14
	s_cbranch_execnz .LBB119_76
.LBB119_60:
	s_or_b32 exec_lo, exec_lo, s0
	s_and_saveexec_b32 s0, s15
	s_cbranch_execnz .LBB119_77
.LBB119_61:
	s_or_b32 exec_lo, exec_lo, s0
	s_and_saveexec_b32 s0, s16
	s_cbranch_execnz .LBB119_78
.LBB119_62:
	s_nop 0
	s_sendmsg sendmsg(MSG_DEALLOC_VGPRS)
	s_endpgm
.LBB119_63:
	ds_load_b64 v[32:33], v68
	s_waitcnt lgkmcnt(0)
	global_store_b64 v[2:3], v[32:33], off
	s_or_b32 exec_lo, exec_lo, s0
	s_and_saveexec_b32 s0, s2
	s_cbranch_execz .LBB119_48
.LBB119_64:
	s_waitcnt lgkmcnt(14)
	global_store_b64 v[2:3], v[30:31], off offset:2048
	s_or_b32 exec_lo, exec_lo, s0
	s_and_saveexec_b32 s0, s3
	s_cbranch_execz .LBB119_49
.LBB119_65:
	s_waitcnt lgkmcnt(14)
	v_add_co_u32 v30, vcc_lo, 0x1000, v2
	v_add_co_ci_u32_e32 v31, vcc_lo, 0, v3, vcc_lo
	s_waitcnt lgkmcnt(13)
	global_store_b64 v[30:31], v[28:29], off
	s_or_b32 exec_lo, exec_lo, s0
	s_and_saveexec_b32 s0, s4
	s_cbranch_execz .LBB119_50
.LBB119_66:
	s_waitcnt lgkmcnt(13)
	v_add_co_u32 v28, vcc_lo, 0x1000, v2
	v_add_co_ci_u32_e32 v29, vcc_lo, 0, v3, vcc_lo
	s_waitcnt lgkmcnt(12)
	global_store_b64 v[28:29], v[26:27], off offset:2048
	s_or_b32 exec_lo, exec_lo, s0
	s_and_saveexec_b32 s0, s5
	s_cbranch_execz .LBB119_51
.LBB119_67:
	s_waitcnt lgkmcnt(12)
	v_add_co_u32 v26, vcc_lo, 0x2000, v2
	v_add_co_ci_u32_e32 v27, vcc_lo, 0, v3, vcc_lo
	s_waitcnt lgkmcnt(11)
	global_store_b64 v[26:27], v[24:25], off
	s_or_b32 exec_lo, exec_lo, s0
	s_and_saveexec_b32 s0, s6
	s_cbranch_execz .LBB119_52
.LBB119_68:
	s_waitcnt lgkmcnt(11)
	v_add_co_u32 v24, vcc_lo, 0x2000, v2
	v_add_co_ci_u32_e32 v25, vcc_lo, 0, v3, vcc_lo
	s_waitcnt lgkmcnt(10)
	global_store_b64 v[24:25], v[22:23], off offset:2048
	s_or_b32 exec_lo, exec_lo, s0
	s_and_saveexec_b32 s0, s7
	s_cbranch_execz .LBB119_53
.LBB119_69:
	s_waitcnt lgkmcnt(10)
	v_add_co_u32 v22, vcc_lo, 0x3000, v2
	v_add_co_ci_u32_e32 v23, vcc_lo, 0, v3, vcc_lo
	s_waitcnt lgkmcnt(9)
	global_store_b64 v[22:23], v[20:21], off
	s_or_b32 exec_lo, exec_lo, s0
	s_and_saveexec_b32 s0, s8
	s_cbranch_execz .LBB119_54
.LBB119_70:
	s_waitcnt lgkmcnt(9)
	v_add_co_u32 v20, vcc_lo, 0x3000, v2
	v_add_co_ci_u32_e32 v21, vcc_lo, 0, v3, vcc_lo
	s_waitcnt lgkmcnt(8)
	global_store_b64 v[20:21], v[18:19], off offset:2048
	s_or_b32 exec_lo, exec_lo, s0
	s_and_saveexec_b32 s0, s9
	s_cbranch_execz .LBB119_55
.LBB119_71:
	s_waitcnt lgkmcnt(8)
	v_add_co_u32 v18, vcc_lo, 0x4000, v2
	v_add_co_ci_u32_e32 v19, vcc_lo, 0, v3, vcc_lo
	s_waitcnt lgkmcnt(7)
	global_store_b64 v[18:19], v[16:17], off
	s_or_b32 exec_lo, exec_lo, s0
	s_and_saveexec_b32 s0, s10
	s_cbranch_execz .LBB119_56
.LBB119_72:
	s_waitcnt lgkmcnt(7)
	v_add_co_u32 v16, vcc_lo, 0x4000, v2
	v_add_co_ci_u32_e32 v17, vcc_lo, 0, v3, vcc_lo
	s_waitcnt lgkmcnt(6)
	global_store_b64 v[16:17], v[14:15], off offset:2048
	s_or_b32 exec_lo, exec_lo, s0
	s_and_saveexec_b32 s0, s11
	s_cbranch_execz .LBB119_57
.LBB119_73:
	s_waitcnt lgkmcnt(6)
	v_add_co_u32 v14, vcc_lo, 0x5000, v2
	v_add_co_ci_u32_e32 v15, vcc_lo, 0, v3, vcc_lo
	s_waitcnt lgkmcnt(5)
	global_store_b64 v[14:15], v[12:13], off
	s_or_b32 exec_lo, exec_lo, s0
	s_and_saveexec_b32 s0, s12
	s_cbranch_execz .LBB119_58
.LBB119_74:
	s_waitcnt lgkmcnt(5)
	v_add_co_u32 v12, vcc_lo, 0x5000, v2
	v_add_co_ci_u32_e32 v13, vcc_lo, 0, v3, vcc_lo
	s_waitcnt lgkmcnt(4)
	global_store_b64 v[12:13], v[10:11], off offset:2048
	s_or_b32 exec_lo, exec_lo, s0
	s_and_saveexec_b32 s0, s13
	s_cbranch_execz .LBB119_59
.LBB119_75:
	s_waitcnt lgkmcnt(4)
	v_add_co_u32 v10, vcc_lo, 0x6000, v2
	v_add_co_ci_u32_e32 v11, vcc_lo, 0, v3, vcc_lo
	s_waitcnt lgkmcnt(3)
	global_store_b64 v[10:11], v[8:9], off
	s_or_b32 exec_lo, exec_lo, s0
	s_and_saveexec_b32 s0, s14
	s_cbranch_execz .LBB119_60
.LBB119_76:
	s_waitcnt lgkmcnt(3)
	v_add_co_u32 v8, vcc_lo, 0x6000, v2
	v_add_co_ci_u32_e32 v9, vcc_lo, 0, v3, vcc_lo
	s_waitcnt lgkmcnt(2)
	global_store_b64 v[8:9], v[6:7], off offset:2048
	s_or_b32 exec_lo, exec_lo, s0
	s_and_saveexec_b32 s0, s15
	s_cbranch_execz .LBB119_61
.LBB119_77:
	s_waitcnt lgkmcnt(2)
	v_add_co_u32 v6, vcc_lo, 0x7000, v2
	v_add_co_ci_u32_e32 v7, vcc_lo, 0, v3, vcc_lo
	s_waitcnt lgkmcnt(1)
	global_store_b64 v[6:7], v[4:5], off
	s_or_b32 exec_lo, exec_lo, s0
	s_and_saveexec_b32 s0, s16
	s_cbranch_execz .LBB119_62
.LBB119_78:
	v_add_co_u32 v2, vcc_lo, 0x7000, v2
	v_add_co_ci_u32_e32 v3, vcc_lo, 0, v3, vcc_lo
	s_waitcnt lgkmcnt(0)
	global_store_b64 v[2:3], v[0:1], off offset:2048
	s_nop 0
	s_sendmsg sendmsg(MSG_DEALLOC_VGPRS)
	s_endpgm
	.section	.rodata,"a",@progbits
	.p2align	6, 0x0
	.amdhsa_kernel _ZN7rocprim17ROCPRIM_400000_NS6detail17trampoline_kernelINS0_14default_configENS1_20scan_config_selectorIlEEZZNS1_9scan_implILNS1_25lookback_scan_determinismE0ELb0ELb0ES3_PlS8_lN6thrust23THRUST_200600_302600_NS4plusIvEElEEDaPvRmT3_T4_T5_mT6_P12ihipStream_tbENKUlT_T0_E_clISt17integral_constantIbLb1EESQ_EEDaSL_SM_EUlSL_E0_NS1_11comp_targetILNS1_3genE9ELNS1_11target_archE1100ELNS1_3gpuE3ELNS1_3repE0EEENS1_30default_config_static_selectorELNS0_4arch9wavefront6targetE0EEEvT1_
		.amdhsa_group_segment_fixed_size 33792
		.amdhsa_private_segment_fixed_size 0
		.amdhsa_kernarg_size 40
		.amdhsa_user_sgpr_count 15
		.amdhsa_user_sgpr_dispatch_ptr 0
		.amdhsa_user_sgpr_queue_ptr 0
		.amdhsa_user_sgpr_kernarg_segment_ptr 1
		.amdhsa_user_sgpr_dispatch_id 0
		.amdhsa_user_sgpr_private_segment_size 0
		.amdhsa_wavefront_size32 1
		.amdhsa_uses_dynamic_stack 0
		.amdhsa_enable_private_segment 0
		.amdhsa_system_sgpr_workgroup_id_x 1
		.amdhsa_system_sgpr_workgroup_id_y 0
		.amdhsa_system_sgpr_workgroup_id_z 0
		.amdhsa_system_sgpr_workgroup_info 0
		.amdhsa_system_vgpr_workitem_id 0
		.amdhsa_next_free_vgpr 100
		.amdhsa_next_free_sgpr 24
		.amdhsa_reserve_vcc 1
		.amdhsa_float_round_mode_32 0
		.amdhsa_float_round_mode_16_64 0
		.amdhsa_float_denorm_mode_32 3
		.amdhsa_float_denorm_mode_16_64 3
		.amdhsa_dx10_clamp 1
		.amdhsa_ieee_mode 1
		.amdhsa_fp16_overflow 0
		.amdhsa_workgroup_processor_mode 1
		.amdhsa_memory_ordered 1
		.amdhsa_forward_progress 0
		.amdhsa_shared_vgpr_count 0
		.amdhsa_exception_fp_ieee_invalid_op 0
		.amdhsa_exception_fp_denorm_src 0
		.amdhsa_exception_fp_ieee_div_zero 0
		.amdhsa_exception_fp_ieee_overflow 0
		.amdhsa_exception_fp_ieee_underflow 0
		.amdhsa_exception_fp_ieee_inexact 0
		.amdhsa_exception_int_div_zero 0
	.end_amdhsa_kernel
	.section	.text._ZN7rocprim17ROCPRIM_400000_NS6detail17trampoline_kernelINS0_14default_configENS1_20scan_config_selectorIlEEZZNS1_9scan_implILNS1_25lookback_scan_determinismE0ELb0ELb0ES3_PlS8_lN6thrust23THRUST_200600_302600_NS4plusIvEElEEDaPvRmT3_T4_T5_mT6_P12ihipStream_tbENKUlT_T0_E_clISt17integral_constantIbLb1EESQ_EEDaSL_SM_EUlSL_E0_NS1_11comp_targetILNS1_3genE9ELNS1_11target_archE1100ELNS1_3gpuE3ELNS1_3repE0EEENS1_30default_config_static_selectorELNS0_4arch9wavefront6targetE0EEEvT1_,"axG",@progbits,_ZN7rocprim17ROCPRIM_400000_NS6detail17trampoline_kernelINS0_14default_configENS1_20scan_config_selectorIlEEZZNS1_9scan_implILNS1_25lookback_scan_determinismE0ELb0ELb0ES3_PlS8_lN6thrust23THRUST_200600_302600_NS4plusIvEElEEDaPvRmT3_T4_T5_mT6_P12ihipStream_tbENKUlT_T0_E_clISt17integral_constantIbLb1EESQ_EEDaSL_SM_EUlSL_E0_NS1_11comp_targetILNS1_3genE9ELNS1_11target_archE1100ELNS1_3gpuE3ELNS1_3repE0EEENS1_30default_config_static_selectorELNS0_4arch9wavefront6targetE0EEEvT1_,comdat
.Lfunc_end119:
	.size	_ZN7rocprim17ROCPRIM_400000_NS6detail17trampoline_kernelINS0_14default_configENS1_20scan_config_selectorIlEEZZNS1_9scan_implILNS1_25lookback_scan_determinismE0ELb0ELb0ES3_PlS8_lN6thrust23THRUST_200600_302600_NS4plusIvEElEEDaPvRmT3_T4_T5_mT6_P12ihipStream_tbENKUlT_T0_E_clISt17integral_constantIbLb1EESQ_EEDaSL_SM_EUlSL_E0_NS1_11comp_targetILNS1_3genE9ELNS1_11target_archE1100ELNS1_3gpuE3ELNS1_3repE0EEENS1_30default_config_static_selectorELNS0_4arch9wavefront6targetE0EEEvT1_, .Lfunc_end119-_ZN7rocprim17ROCPRIM_400000_NS6detail17trampoline_kernelINS0_14default_configENS1_20scan_config_selectorIlEEZZNS1_9scan_implILNS1_25lookback_scan_determinismE0ELb0ELb0ES3_PlS8_lN6thrust23THRUST_200600_302600_NS4plusIvEElEEDaPvRmT3_T4_T5_mT6_P12ihipStream_tbENKUlT_T0_E_clISt17integral_constantIbLb1EESQ_EEDaSL_SM_EUlSL_E0_NS1_11comp_targetILNS1_3genE9ELNS1_11target_archE1100ELNS1_3gpuE3ELNS1_3repE0EEENS1_30default_config_static_selectorELNS0_4arch9wavefront6targetE0EEEvT1_
                                        ; -- End function
	.section	.AMDGPU.csdata,"",@progbits
; Kernel info:
; codeLenInByte = 4168
; NumSgprs: 26
; NumVgprs: 100
; ScratchSize: 0
; MemoryBound: 0
; FloatMode: 240
; IeeeMode: 1
; LDSByteSize: 33792 bytes/workgroup (compile time only)
; SGPRBlocks: 3
; VGPRBlocks: 12
; NumSGPRsForWavesPerEU: 26
; NumVGPRsForWavesPerEU: 100
; Occupancy: 6
; WaveLimiterHint : 0
; COMPUTE_PGM_RSRC2:SCRATCH_EN: 0
; COMPUTE_PGM_RSRC2:USER_SGPR: 15
; COMPUTE_PGM_RSRC2:TRAP_HANDLER: 0
; COMPUTE_PGM_RSRC2:TGID_X_EN: 1
; COMPUTE_PGM_RSRC2:TGID_Y_EN: 0
; COMPUTE_PGM_RSRC2:TGID_Z_EN: 0
; COMPUTE_PGM_RSRC2:TIDIG_COMP_CNT: 0
	.section	.text._ZN7rocprim17ROCPRIM_400000_NS6detail17trampoline_kernelINS0_14default_configENS1_20scan_config_selectorIlEEZZNS1_9scan_implILNS1_25lookback_scan_determinismE0ELb0ELb0ES3_PlS8_lN6thrust23THRUST_200600_302600_NS4plusIvEElEEDaPvRmT3_T4_T5_mT6_P12ihipStream_tbENKUlT_T0_E_clISt17integral_constantIbLb1EESQ_EEDaSL_SM_EUlSL_E0_NS1_11comp_targetILNS1_3genE8ELNS1_11target_archE1030ELNS1_3gpuE2ELNS1_3repE0EEENS1_30default_config_static_selectorELNS0_4arch9wavefront6targetE0EEEvT1_,"axG",@progbits,_ZN7rocprim17ROCPRIM_400000_NS6detail17trampoline_kernelINS0_14default_configENS1_20scan_config_selectorIlEEZZNS1_9scan_implILNS1_25lookback_scan_determinismE0ELb0ELb0ES3_PlS8_lN6thrust23THRUST_200600_302600_NS4plusIvEElEEDaPvRmT3_T4_T5_mT6_P12ihipStream_tbENKUlT_T0_E_clISt17integral_constantIbLb1EESQ_EEDaSL_SM_EUlSL_E0_NS1_11comp_targetILNS1_3genE8ELNS1_11target_archE1030ELNS1_3gpuE2ELNS1_3repE0EEENS1_30default_config_static_selectorELNS0_4arch9wavefront6targetE0EEEvT1_,comdat
	.protected	_ZN7rocprim17ROCPRIM_400000_NS6detail17trampoline_kernelINS0_14default_configENS1_20scan_config_selectorIlEEZZNS1_9scan_implILNS1_25lookback_scan_determinismE0ELb0ELb0ES3_PlS8_lN6thrust23THRUST_200600_302600_NS4plusIvEElEEDaPvRmT3_T4_T5_mT6_P12ihipStream_tbENKUlT_T0_E_clISt17integral_constantIbLb1EESQ_EEDaSL_SM_EUlSL_E0_NS1_11comp_targetILNS1_3genE8ELNS1_11target_archE1030ELNS1_3gpuE2ELNS1_3repE0EEENS1_30default_config_static_selectorELNS0_4arch9wavefront6targetE0EEEvT1_ ; -- Begin function _ZN7rocprim17ROCPRIM_400000_NS6detail17trampoline_kernelINS0_14default_configENS1_20scan_config_selectorIlEEZZNS1_9scan_implILNS1_25lookback_scan_determinismE0ELb0ELb0ES3_PlS8_lN6thrust23THRUST_200600_302600_NS4plusIvEElEEDaPvRmT3_T4_T5_mT6_P12ihipStream_tbENKUlT_T0_E_clISt17integral_constantIbLb1EESQ_EEDaSL_SM_EUlSL_E0_NS1_11comp_targetILNS1_3genE8ELNS1_11target_archE1030ELNS1_3gpuE2ELNS1_3repE0EEENS1_30default_config_static_selectorELNS0_4arch9wavefront6targetE0EEEvT1_
	.globl	_ZN7rocprim17ROCPRIM_400000_NS6detail17trampoline_kernelINS0_14default_configENS1_20scan_config_selectorIlEEZZNS1_9scan_implILNS1_25lookback_scan_determinismE0ELb0ELb0ES3_PlS8_lN6thrust23THRUST_200600_302600_NS4plusIvEElEEDaPvRmT3_T4_T5_mT6_P12ihipStream_tbENKUlT_T0_E_clISt17integral_constantIbLb1EESQ_EEDaSL_SM_EUlSL_E0_NS1_11comp_targetILNS1_3genE8ELNS1_11target_archE1030ELNS1_3gpuE2ELNS1_3repE0EEENS1_30default_config_static_selectorELNS0_4arch9wavefront6targetE0EEEvT1_
	.p2align	8
	.type	_ZN7rocprim17ROCPRIM_400000_NS6detail17trampoline_kernelINS0_14default_configENS1_20scan_config_selectorIlEEZZNS1_9scan_implILNS1_25lookback_scan_determinismE0ELb0ELb0ES3_PlS8_lN6thrust23THRUST_200600_302600_NS4plusIvEElEEDaPvRmT3_T4_T5_mT6_P12ihipStream_tbENKUlT_T0_E_clISt17integral_constantIbLb1EESQ_EEDaSL_SM_EUlSL_E0_NS1_11comp_targetILNS1_3genE8ELNS1_11target_archE1030ELNS1_3gpuE2ELNS1_3repE0EEENS1_30default_config_static_selectorELNS0_4arch9wavefront6targetE0EEEvT1_,@function
_ZN7rocprim17ROCPRIM_400000_NS6detail17trampoline_kernelINS0_14default_configENS1_20scan_config_selectorIlEEZZNS1_9scan_implILNS1_25lookback_scan_determinismE0ELb0ELb0ES3_PlS8_lN6thrust23THRUST_200600_302600_NS4plusIvEElEEDaPvRmT3_T4_T5_mT6_P12ihipStream_tbENKUlT_T0_E_clISt17integral_constantIbLb1EESQ_EEDaSL_SM_EUlSL_E0_NS1_11comp_targetILNS1_3genE8ELNS1_11target_archE1030ELNS1_3gpuE2ELNS1_3repE0EEENS1_30default_config_static_selectorELNS0_4arch9wavefront6targetE0EEEvT1_: ; @_ZN7rocprim17ROCPRIM_400000_NS6detail17trampoline_kernelINS0_14default_configENS1_20scan_config_selectorIlEEZZNS1_9scan_implILNS1_25lookback_scan_determinismE0ELb0ELb0ES3_PlS8_lN6thrust23THRUST_200600_302600_NS4plusIvEElEEDaPvRmT3_T4_T5_mT6_P12ihipStream_tbENKUlT_T0_E_clISt17integral_constantIbLb1EESQ_EEDaSL_SM_EUlSL_E0_NS1_11comp_targetILNS1_3genE8ELNS1_11target_archE1030ELNS1_3gpuE2ELNS1_3repE0EEENS1_30default_config_static_selectorELNS0_4arch9wavefront6targetE0EEEvT1_
; %bb.0:
	.section	.rodata,"a",@progbits
	.p2align	6, 0x0
	.amdhsa_kernel _ZN7rocprim17ROCPRIM_400000_NS6detail17trampoline_kernelINS0_14default_configENS1_20scan_config_selectorIlEEZZNS1_9scan_implILNS1_25lookback_scan_determinismE0ELb0ELb0ES3_PlS8_lN6thrust23THRUST_200600_302600_NS4plusIvEElEEDaPvRmT3_T4_T5_mT6_P12ihipStream_tbENKUlT_T0_E_clISt17integral_constantIbLb1EESQ_EEDaSL_SM_EUlSL_E0_NS1_11comp_targetILNS1_3genE8ELNS1_11target_archE1030ELNS1_3gpuE2ELNS1_3repE0EEENS1_30default_config_static_selectorELNS0_4arch9wavefront6targetE0EEEvT1_
		.amdhsa_group_segment_fixed_size 0
		.amdhsa_private_segment_fixed_size 0
		.amdhsa_kernarg_size 40
		.amdhsa_user_sgpr_count 15
		.amdhsa_user_sgpr_dispatch_ptr 0
		.amdhsa_user_sgpr_queue_ptr 0
		.amdhsa_user_sgpr_kernarg_segment_ptr 1
		.amdhsa_user_sgpr_dispatch_id 0
		.amdhsa_user_sgpr_private_segment_size 0
		.amdhsa_wavefront_size32 1
		.amdhsa_uses_dynamic_stack 0
		.amdhsa_enable_private_segment 0
		.amdhsa_system_sgpr_workgroup_id_x 1
		.amdhsa_system_sgpr_workgroup_id_y 0
		.amdhsa_system_sgpr_workgroup_id_z 0
		.amdhsa_system_sgpr_workgroup_info 0
		.amdhsa_system_vgpr_workitem_id 0
		.amdhsa_next_free_vgpr 1
		.amdhsa_next_free_sgpr 1
		.amdhsa_reserve_vcc 0
		.amdhsa_float_round_mode_32 0
		.amdhsa_float_round_mode_16_64 0
		.amdhsa_float_denorm_mode_32 3
		.amdhsa_float_denorm_mode_16_64 3
		.amdhsa_dx10_clamp 1
		.amdhsa_ieee_mode 1
		.amdhsa_fp16_overflow 0
		.amdhsa_workgroup_processor_mode 1
		.amdhsa_memory_ordered 1
		.amdhsa_forward_progress 0
		.amdhsa_shared_vgpr_count 0
		.amdhsa_exception_fp_ieee_invalid_op 0
		.amdhsa_exception_fp_denorm_src 0
		.amdhsa_exception_fp_ieee_div_zero 0
		.amdhsa_exception_fp_ieee_overflow 0
		.amdhsa_exception_fp_ieee_underflow 0
		.amdhsa_exception_fp_ieee_inexact 0
		.amdhsa_exception_int_div_zero 0
	.end_amdhsa_kernel
	.section	.text._ZN7rocprim17ROCPRIM_400000_NS6detail17trampoline_kernelINS0_14default_configENS1_20scan_config_selectorIlEEZZNS1_9scan_implILNS1_25lookback_scan_determinismE0ELb0ELb0ES3_PlS8_lN6thrust23THRUST_200600_302600_NS4plusIvEElEEDaPvRmT3_T4_T5_mT6_P12ihipStream_tbENKUlT_T0_E_clISt17integral_constantIbLb1EESQ_EEDaSL_SM_EUlSL_E0_NS1_11comp_targetILNS1_3genE8ELNS1_11target_archE1030ELNS1_3gpuE2ELNS1_3repE0EEENS1_30default_config_static_selectorELNS0_4arch9wavefront6targetE0EEEvT1_,"axG",@progbits,_ZN7rocprim17ROCPRIM_400000_NS6detail17trampoline_kernelINS0_14default_configENS1_20scan_config_selectorIlEEZZNS1_9scan_implILNS1_25lookback_scan_determinismE0ELb0ELb0ES3_PlS8_lN6thrust23THRUST_200600_302600_NS4plusIvEElEEDaPvRmT3_T4_T5_mT6_P12ihipStream_tbENKUlT_T0_E_clISt17integral_constantIbLb1EESQ_EEDaSL_SM_EUlSL_E0_NS1_11comp_targetILNS1_3genE8ELNS1_11target_archE1030ELNS1_3gpuE2ELNS1_3repE0EEENS1_30default_config_static_selectorELNS0_4arch9wavefront6targetE0EEEvT1_,comdat
.Lfunc_end120:
	.size	_ZN7rocprim17ROCPRIM_400000_NS6detail17trampoline_kernelINS0_14default_configENS1_20scan_config_selectorIlEEZZNS1_9scan_implILNS1_25lookback_scan_determinismE0ELb0ELb0ES3_PlS8_lN6thrust23THRUST_200600_302600_NS4plusIvEElEEDaPvRmT3_T4_T5_mT6_P12ihipStream_tbENKUlT_T0_E_clISt17integral_constantIbLb1EESQ_EEDaSL_SM_EUlSL_E0_NS1_11comp_targetILNS1_3genE8ELNS1_11target_archE1030ELNS1_3gpuE2ELNS1_3repE0EEENS1_30default_config_static_selectorELNS0_4arch9wavefront6targetE0EEEvT1_, .Lfunc_end120-_ZN7rocprim17ROCPRIM_400000_NS6detail17trampoline_kernelINS0_14default_configENS1_20scan_config_selectorIlEEZZNS1_9scan_implILNS1_25lookback_scan_determinismE0ELb0ELb0ES3_PlS8_lN6thrust23THRUST_200600_302600_NS4plusIvEElEEDaPvRmT3_T4_T5_mT6_P12ihipStream_tbENKUlT_T0_E_clISt17integral_constantIbLb1EESQ_EEDaSL_SM_EUlSL_E0_NS1_11comp_targetILNS1_3genE8ELNS1_11target_archE1030ELNS1_3gpuE2ELNS1_3repE0EEENS1_30default_config_static_selectorELNS0_4arch9wavefront6targetE0EEEvT1_
                                        ; -- End function
	.section	.AMDGPU.csdata,"",@progbits
; Kernel info:
; codeLenInByte = 0
; NumSgprs: 0
; NumVgprs: 0
; ScratchSize: 0
; MemoryBound: 0
; FloatMode: 240
; IeeeMode: 1
; LDSByteSize: 0 bytes/workgroup (compile time only)
; SGPRBlocks: 0
; VGPRBlocks: 0
; NumSGPRsForWavesPerEU: 1
; NumVGPRsForWavesPerEU: 1
; Occupancy: 16
; WaveLimiterHint : 0
; COMPUTE_PGM_RSRC2:SCRATCH_EN: 0
; COMPUTE_PGM_RSRC2:USER_SGPR: 15
; COMPUTE_PGM_RSRC2:TRAP_HANDLER: 0
; COMPUTE_PGM_RSRC2:TGID_X_EN: 1
; COMPUTE_PGM_RSRC2:TGID_Y_EN: 0
; COMPUTE_PGM_RSRC2:TGID_Z_EN: 0
; COMPUTE_PGM_RSRC2:TIDIG_COMP_CNT: 0
	.section	.text._ZN7rocprim17ROCPRIM_400000_NS6detail31init_lookback_scan_state_kernelINS1_19lookback_scan_stateIlLb1ELb1EEENS1_16block_id_wrapperIjLb0EEEEEvT_jT0_jPNS7_10value_typeE,"axG",@progbits,_ZN7rocprim17ROCPRIM_400000_NS6detail31init_lookback_scan_state_kernelINS1_19lookback_scan_stateIlLb1ELb1EEENS1_16block_id_wrapperIjLb0EEEEEvT_jT0_jPNS7_10value_typeE,comdat
	.protected	_ZN7rocprim17ROCPRIM_400000_NS6detail31init_lookback_scan_state_kernelINS1_19lookback_scan_stateIlLb1ELb1EEENS1_16block_id_wrapperIjLb0EEEEEvT_jT0_jPNS7_10value_typeE ; -- Begin function _ZN7rocprim17ROCPRIM_400000_NS6detail31init_lookback_scan_state_kernelINS1_19lookback_scan_stateIlLb1ELb1EEENS1_16block_id_wrapperIjLb0EEEEEvT_jT0_jPNS7_10value_typeE
	.globl	_ZN7rocprim17ROCPRIM_400000_NS6detail31init_lookback_scan_state_kernelINS1_19lookback_scan_stateIlLb1ELb1EEENS1_16block_id_wrapperIjLb0EEEEEvT_jT0_jPNS7_10value_typeE
	.p2align	8
	.type	_ZN7rocprim17ROCPRIM_400000_NS6detail31init_lookback_scan_state_kernelINS1_19lookback_scan_stateIlLb1ELb1EEENS1_16block_id_wrapperIjLb0EEEEEvT_jT0_jPNS7_10value_typeE,@function
_ZN7rocprim17ROCPRIM_400000_NS6detail31init_lookback_scan_state_kernelINS1_19lookback_scan_stateIlLb1ELb1EEENS1_16block_id_wrapperIjLb0EEEEEvT_jT0_jPNS7_10value_typeE: ; @_ZN7rocprim17ROCPRIM_400000_NS6detail31init_lookback_scan_state_kernelINS1_19lookback_scan_stateIlLb1ELb1EEENS1_16block_id_wrapperIjLb0EEEEEvT_jT0_jPNS7_10value_typeE
; %bb.0:
	s_clause 0x3
	s_load_b32 s7, s[0:1], 0x2c
	s_load_b64 s[4:5], s[0:1], 0x18
	s_load_b64 s[2:3], s[0:1], 0x0
	s_load_b32 s6, s[0:1], 0x8
	s_waitcnt lgkmcnt(0)
	s_and_b32 s7, s7, 0xffff
	s_cmp_eq_u64 s[4:5], 0
	v_mad_u64_u32 v[1:2], null, s15, s7, v[0:1]
	s_cbranch_scc1 .LBB121_10
; %bb.1:
	s_load_b32 s0, s[0:1], 0x10
	s_waitcnt lgkmcnt(0)
	s_cmp_lt_u32 s0, s6
	s_cselect_b32 s1, s0, 0
	s_delay_alu instid0(VALU_DEP_1) | instid1(SALU_CYCLE_1)
	v_cmp_eq_u32_e32 vcc_lo, s1, v1
	s_mov_b32 s1, 0
	s_and_saveexec_b32 s7, vcc_lo
	s_cbranch_execz .LBB121_9
; %bb.2:
	s_add_i32 s0, s0, 32
	s_mov_b32 s8, exec_lo
	s_lshl_b64 s[0:1], s[0:1], 4
	v_mov_b32_e32 v6, 0
	s_add_u32 s0, s2, s0
	s_addc_u32 s1, s3, s1
	s_delay_alu instid0(SALU_CYCLE_1) | instskip(SKIP_2) | instid1(VALU_DEP_1)
	v_dual_mov_b32 v3, s1 :: v_dual_mov_b32 v2, s0
	;;#ASMSTART
	global_load_dwordx4 v[2:5], v[2:3] off glc	
s_waitcnt vmcnt(0)
	;;#ASMEND
	v_and_b32_e32 v5, 0xff, v4
	v_cmpx_eq_u64_e32 0, v[5:6]
	s_cbranch_execz .LBB121_8
; %bb.3:
	v_dual_mov_b32 v8, s1 :: v_dual_mov_b32 v7, s0
	s_mov_b32 s1, 1
	s_mov_b32 s0, 0
	.p2align	6
.LBB121_4:                              ; =>This Loop Header: Depth=1
                                        ;     Child Loop BB121_5 Depth 2
	s_max_u32 s9, s1, 1
.LBB121_5:                              ;   Parent Loop BB121_4 Depth=1
                                        ; =>  This Inner Loop Header: Depth=2
	s_delay_alu instid0(SALU_CYCLE_1)
	s_add_i32 s9, s9, -1
	s_sleep 1
	s_cmp_eq_u32 s9, 0
	s_cbranch_scc0 .LBB121_5
; %bb.6:                                ;   in Loop: Header=BB121_4 Depth=1
	;;#ASMSTART
	global_load_dwordx4 v[2:5], v[7:8] off glc	
s_waitcnt vmcnt(0)
	;;#ASMEND
	v_and_b32_e32 v5, 0xff, v4
	s_cmp_lt_u32 s1, 32
	s_cselect_b32 s9, -1, 0
	s_delay_alu instid0(SALU_CYCLE_1) | instskip(NEXT) | instid1(VALU_DEP_1)
	s_cmp_lg_u32 s9, 0
	v_cmp_ne_u64_e32 vcc_lo, 0, v[5:6]
	s_addc_u32 s1, s1, 0
	s_or_b32 s0, vcc_lo, s0
	s_delay_alu instid0(SALU_CYCLE_1)
	s_and_not1_b32 exec_lo, exec_lo, s0
	s_cbranch_execnz .LBB121_4
; %bb.7:
	s_or_b32 exec_lo, exec_lo, s0
.LBB121_8:
	s_delay_alu instid0(SALU_CYCLE_1)
	s_or_b32 exec_lo, exec_lo, s8
	v_mov_b32_e32 v0, 0
	global_store_b64 v0, v[2:3], s[4:5]
.LBB121_9:
	s_or_b32 exec_lo, exec_lo, s7
.LBB121_10:
	s_delay_alu instid0(SALU_CYCLE_1) | instskip(NEXT) | instid1(VALU_DEP_1)
	s_mov_b32 s0, exec_lo
	v_cmpx_gt_u32_e64 s6, v1
	s_cbranch_execz .LBB121_12
; %bb.11:
	v_dual_mov_b32 v3, 0 :: v_dual_add_nc_u32 v2, 32, v1
	s_delay_alu instid0(VALU_DEP_1) | instskip(SKIP_2) | instid1(VALU_DEP_3)
	v_lshlrev_b64 v[5:6], 4, v[2:3]
	v_mov_b32_e32 v2, v3
	v_mov_b32_e32 v4, v3
	v_add_co_u32 v7, vcc_lo, s2, v5
	s_delay_alu instid0(VALU_DEP_4)
	v_add_co_ci_u32_e32 v8, vcc_lo, s3, v6, vcc_lo
	v_mov_b32_e32 v5, v3
	global_store_b128 v[7:8], v[2:5], off
.LBB121_12:
	s_or_b32 exec_lo, exec_lo, s0
	s_delay_alu instid0(SALU_CYCLE_1)
	s_mov_b32 s0, exec_lo
	v_cmpx_gt_u32_e32 32, v1
	s_cbranch_execz .LBB121_14
; %bb.13:
	v_dual_mov_b32 v2, 0 :: v_dual_mov_b32 v3, 0xff
	s_delay_alu instid0(VALU_DEP_1) | instskip(SKIP_1) | instid1(VALU_DEP_2)
	v_lshlrev_b64 v[4:5], 4, v[1:2]
	v_mov_b32_e32 v1, v2
	v_add_co_u32 v6, vcc_lo, s2, v4
	s_delay_alu instid0(VALU_DEP_3)
	v_add_co_ci_u32_e32 v7, vcc_lo, s3, v5, vcc_lo
	v_mov_b32_e32 v4, v2
	global_store_b128 v[6:7], v[1:4], off
.LBB121_14:
	s_nop 0
	s_sendmsg sendmsg(MSG_DEALLOC_VGPRS)
	s_endpgm
	.section	.rodata,"a",@progbits
	.p2align	6, 0x0
	.amdhsa_kernel _ZN7rocprim17ROCPRIM_400000_NS6detail31init_lookback_scan_state_kernelINS1_19lookback_scan_stateIlLb1ELb1EEENS1_16block_id_wrapperIjLb0EEEEEvT_jT0_jPNS7_10value_typeE
		.amdhsa_group_segment_fixed_size 0
		.amdhsa_private_segment_fixed_size 0
		.amdhsa_kernarg_size 288
		.amdhsa_user_sgpr_count 15
		.amdhsa_user_sgpr_dispatch_ptr 0
		.amdhsa_user_sgpr_queue_ptr 0
		.amdhsa_user_sgpr_kernarg_segment_ptr 1
		.amdhsa_user_sgpr_dispatch_id 0
		.amdhsa_user_sgpr_private_segment_size 0
		.amdhsa_wavefront_size32 1
		.amdhsa_uses_dynamic_stack 0
		.amdhsa_enable_private_segment 0
		.amdhsa_system_sgpr_workgroup_id_x 1
		.amdhsa_system_sgpr_workgroup_id_y 0
		.amdhsa_system_sgpr_workgroup_id_z 0
		.amdhsa_system_sgpr_workgroup_info 0
		.amdhsa_system_vgpr_workitem_id 0
		.amdhsa_next_free_vgpr 9
		.amdhsa_next_free_sgpr 16
		.amdhsa_reserve_vcc 1
		.amdhsa_float_round_mode_32 0
		.amdhsa_float_round_mode_16_64 0
		.amdhsa_float_denorm_mode_32 3
		.amdhsa_float_denorm_mode_16_64 3
		.amdhsa_dx10_clamp 1
		.amdhsa_ieee_mode 1
		.amdhsa_fp16_overflow 0
		.amdhsa_workgroup_processor_mode 1
		.amdhsa_memory_ordered 1
		.amdhsa_forward_progress 0
		.amdhsa_shared_vgpr_count 0
		.amdhsa_exception_fp_ieee_invalid_op 0
		.amdhsa_exception_fp_denorm_src 0
		.amdhsa_exception_fp_ieee_div_zero 0
		.amdhsa_exception_fp_ieee_overflow 0
		.amdhsa_exception_fp_ieee_underflow 0
		.amdhsa_exception_fp_ieee_inexact 0
		.amdhsa_exception_int_div_zero 0
	.end_amdhsa_kernel
	.section	.text._ZN7rocprim17ROCPRIM_400000_NS6detail31init_lookback_scan_state_kernelINS1_19lookback_scan_stateIlLb1ELb1EEENS1_16block_id_wrapperIjLb0EEEEEvT_jT0_jPNS7_10value_typeE,"axG",@progbits,_ZN7rocprim17ROCPRIM_400000_NS6detail31init_lookback_scan_state_kernelINS1_19lookback_scan_stateIlLb1ELb1EEENS1_16block_id_wrapperIjLb0EEEEEvT_jT0_jPNS7_10value_typeE,comdat
.Lfunc_end121:
	.size	_ZN7rocprim17ROCPRIM_400000_NS6detail31init_lookback_scan_state_kernelINS1_19lookback_scan_stateIlLb1ELb1EEENS1_16block_id_wrapperIjLb0EEEEEvT_jT0_jPNS7_10value_typeE, .Lfunc_end121-_ZN7rocprim17ROCPRIM_400000_NS6detail31init_lookback_scan_state_kernelINS1_19lookback_scan_stateIlLb1ELb1EEENS1_16block_id_wrapperIjLb0EEEEEvT_jT0_jPNS7_10value_typeE
                                        ; -- End function
	.section	.AMDGPU.csdata,"",@progbits
; Kernel info:
; codeLenInByte = 516
; NumSgprs: 18
; NumVgprs: 9
; ScratchSize: 0
; MemoryBound: 0
; FloatMode: 240
; IeeeMode: 1
; LDSByteSize: 0 bytes/workgroup (compile time only)
; SGPRBlocks: 2
; VGPRBlocks: 1
; NumSGPRsForWavesPerEU: 18
; NumVGPRsForWavesPerEU: 9
; Occupancy: 16
; WaveLimiterHint : 0
; COMPUTE_PGM_RSRC2:SCRATCH_EN: 0
; COMPUTE_PGM_RSRC2:USER_SGPR: 15
; COMPUTE_PGM_RSRC2:TRAP_HANDLER: 0
; COMPUTE_PGM_RSRC2:TGID_X_EN: 1
; COMPUTE_PGM_RSRC2:TGID_Y_EN: 0
; COMPUTE_PGM_RSRC2:TGID_Z_EN: 0
; COMPUTE_PGM_RSRC2:TIDIG_COMP_CNT: 0
	.section	.text._ZN7rocprim17ROCPRIM_400000_NS6detail17trampoline_kernelINS0_14default_configENS1_20scan_config_selectorIlEEZZNS1_9scan_implILNS1_25lookback_scan_determinismE0ELb0ELb0ES3_PlS8_lN6thrust23THRUST_200600_302600_NS4plusIvEElEEDaPvRmT3_T4_T5_mT6_P12ihipStream_tbENKUlT_T0_E_clISt17integral_constantIbLb1EESP_IbLb0EEEEDaSL_SM_EUlSL_E_NS1_11comp_targetILNS1_3genE0ELNS1_11target_archE4294967295ELNS1_3gpuE0ELNS1_3repE0EEENS1_30default_config_static_selectorELNS0_4arch9wavefront6targetE0EEEvT1_,"axG",@progbits,_ZN7rocprim17ROCPRIM_400000_NS6detail17trampoline_kernelINS0_14default_configENS1_20scan_config_selectorIlEEZZNS1_9scan_implILNS1_25lookback_scan_determinismE0ELb0ELb0ES3_PlS8_lN6thrust23THRUST_200600_302600_NS4plusIvEElEEDaPvRmT3_T4_T5_mT6_P12ihipStream_tbENKUlT_T0_E_clISt17integral_constantIbLb1EESP_IbLb0EEEEDaSL_SM_EUlSL_E_NS1_11comp_targetILNS1_3genE0ELNS1_11target_archE4294967295ELNS1_3gpuE0ELNS1_3repE0EEENS1_30default_config_static_selectorELNS0_4arch9wavefront6targetE0EEEvT1_,comdat
	.protected	_ZN7rocprim17ROCPRIM_400000_NS6detail17trampoline_kernelINS0_14default_configENS1_20scan_config_selectorIlEEZZNS1_9scan_implILNS1_25lookback_scan_determinismE0ELb0ELb0ES3_PlS8_lN6thrust23THRUST_200600_302600_NS4plusIvEElEEDaPvRmT3_T4_T5_mT6_P12ihipStream_tbENKUlT_T0_E_clISt17integral_constantIbLb1EESP_IbLb0EEEEDaSL_SM_EUlSL_E_NS1_11comp_targetILNS1_3genE0ELNS1_11target_archE4294967295ELNS1_3gpuE0ELNS1_3repE0EEENS1_30default_config_static_selectorELNS0_4arch9wavefront6targetE0EEEvT1_ ; -- Begin function _ZN7rocprim17ROCPRIM_400000_NS6detail17trampoline_kernelINS0_14default_configENS1_20scan_config_selectorIlEEZZNS1_9scan_implILNS1_25lookback_scan_determinismE0ELb0ELb0ES3_PlS8_lN6thrust23THRUST_200600_302600_NS4plusIvEElEEDaPvRmT3_T4_T5_mT6_P12ihipStream_tbENKUlT_T0_E_clISt17integral_constantIbLb1EESP_IbLb0EEEEDaSL_SM_EUlSL_E_NS1_11comp_targetILNS1_3genE0ELNS1_11target_archE4294967295ELNS1_3gpuE0ELNS1_3repE0EEENS1_30default_config_static_selectorELNS0_4arch9wavefront6targetE0EEEvT1_
	.globl	_ZN7rocprim17ROCPRIM_400000_NS6detail17trampoline_kernelINS0_14default_configENS1_20scan_config_selectorIlEEZZNS1_9scan_implILNS1_25lookback_scan_determinismE0ELb0ELb0ES3_PlS8_lN6thrust23THRUST_200600_302600_NS4plusIvEElEEDaPvRmT3_T4_T5_mT6_P12ihipStream_tbENKUlT_T0_E_clISt17integral_constantIbLb1EESP_IbLb0EEEEDaSL_SM_EUlSL_E_NS1_11comp_targetILNS1_3genE0ELNS1_11target_archE4294967295ELNS1_3gpuE0ELNS1_3repE0EEENS1_30default_config_static_selectorELNS0_4arch9wavefront6targetE0EEEvT1_
	.p2align	8
	.type	_ZN7rocprim17ROCPRIM_400000_NS6detail17trampoline_kernelINS0_14default_configENS1_20scan_config_selectorIlEEZZNS1_9scan_implILNS1_25lookback_scan_determinismE0ELb0ELb0ES3_PlS8_lN6thrust23THRUST_200600_302600_NS4plusIvEElEEDaPvRmT3_T4_T5_mT6_P12ihipStream_tbENKUlT_T0_E_clISt17integral_constantIbLb1EESP_IbLb0EEEEDaSL_SM_EUlSL_E_NS1_11comp_targetILNS1_3genE0ELNS1_11target_archE4294967295ELNS1_3gpuE0ELNS1_3repE0EEENS1_30default_config_static_selectorELNS0_4arch9wavefront6targetE0EEEvT1_,@function
_ZN7rocprim17ROCPRIM_400000_NS6detail17trampoline_kernelINS0_14default_configENS1_20scan_config_selectorIlEEZZNS1_9scan_implILNS1_25lookback_scan_determinismE0ELb0ELb0ES3_PlS8_lN6thrust23THRUST_200600_302600_NS4plusIvEElEEDaPvRmT3_T4_T5_mT6_P12ihipStream_tbENKUlT_T0_E_clISt17integral_constantIbLb1EESP_IbLb0EEEEDaSL_SM_EUlSL_E_NS1_11comp_targetILNS1_3genE0ELNS1_11target_archE4294967295ELNS1_3gpuE0ELNS1_3repE0EEENS1_30default_config_static_selectorELNS0_4arch9wavefront6targetE0EEEvT1_: ; @_ZN7rocprim17ROCPRIM_400000_NS6detail17trampoline_kernelINS0_14default_configENS1_20scan_config_selectorIlEEZZNS1_9scan_implILNS1_25lookback_scan_determinismE0ELb0ELb0ES3_PlS8_lN6thrust23THRUST_200600_302600_NS4plusIvEElEEDaPvRmT3_T4_T5_mT6_P12ihipStream_tbENKUlT_T0_E_clISt17integral_constantIbLb1EESP_IbLb0EEEEDaSL_SM_EUlSL_E_NS1_11comp_targetILNS1_3genE0ELNS1_11target_archE4294967295ELNS1_3gpuE0ELNS1_3repE0EEENS1_30default_config_static_selectorELNS0_4arch9wavefront6targetE0EEEvT1_
; %bb.0:
	.section	.rodata,"a",@progbits
	.p2align	6, 0x0
	.amdhsa_kernel _ZN7rocprim17ROCPRIM_400000_NS6detail17trampoline_kernelINS0_14default_configENS1_20scan_config_selectorIlEEZZNS1_9scan_implILNS1_25lookback_scan_determinismE0ELb0ELb0ES3_PlS8_lN6thrust23THRUST_200600_302600_NS4plusIvEElEEDaPvRmT3_T4_T5_mT6_P12ihipStream_tbENKUlT_T0_E_clISt17integral_constantIbLb1EESP_IbLb0EEEEDaSL_SM_EUlSL_E_NS1_11comp_targetILNS1_3genE0ELNS1_11target_archE4294967295ELNS1_3gpuE0ELNS1_3repE0EEENS1_30default_config_static_selectorELNS0_4arch9wavefront6targetE0EEEvT1_
		.amdhsa_group_segment_fixed_size 0
		.amdhsa_private_segment_fixed_size 0
		.amdhsa_kernarg_size 104
		.amdhsa_user_sgpr_count 15
		.amdhsa_user_sgpr_dispatch_ptr 0
		.amdhsa_user_sgpr_queue_ptr 0
		.amdhsa_user_sgpr_kernarg_segment_ptr 1
		.amdhsa_user_sgpr_dispatch_id 0
		.amdhsa_user_sgpr_private_segment_size 0
		.amdhsa_wavefront_size32 1
		.amdhsa_uses_dynamic_stack 0
		.amdhsa_enable_private_segment 0
		.amdhsa_system_sgpr_workgroup_id_x 1
		.amdhsa_system_sgpr_workgroup_id_y 0
		.amdhsa_system_sgpr_workgroup_id_z 0
		.amdhsa_system_sgpr_workgroup_info 0
		.amdhsa_system_vgpr_workitem_id 0
		.amdhsa_next_free_vgpr 1
		.amdhsa_next_free_sgpr 1
		.amdhsa_reserve_vcc 0
		.amdhsa_float_round_mode_32 0
		.amdhsa_float_round_mode_16_64 0
		.amdhsa_float_denorm_mode_32 3
		.amdhsa_float_denorm_mode_16_64 3
		.amdhsa_dx10_clamp 1
		.amdhsa_ieee_mode 1
		.amdhsa_fp16_overflow 0
		.amdhsa_workgroup_processor_mode 1
		.amdhsa_memory_ordered 1
		.amdhsa_forward_progress 0
		.amdhsa_shared_vgpr_count 0
		.amdhsa_exception_fp_ieee_invalid_op 0
		.amdhsa_exception_fp_denorm_src 0
		.amdhsa_exception_fp_ieee_div_zero 0
		.amdhsa_exception_fp_ieee_overflow 0
		.amdhsa_exception_fp_ieee_underflow 0
		.amdhsa_exception_fp_ieee_inexact 0
		.amdhsa_exception_int_div_zero 0
	.end_amdhsa_kernel
	.section	.text._ZN7rocprim17ROCPRIM_400000_NS6detail17trampoline_kernelINS0_14default_configENS1_20scan_config_selectorIlEEZZNS1_9scan_implILNS1_25lookback_scan_determinismE0ELb0ELb0ES3_PlS8_lN6thrust23THRUST_200600_302600_NS4plusIvEElEEDaPvRmT3_T4_T5_mT6_P12ihipStream_tbENKUlT_T0_E_clISt17integral_constantIbLb1EESP_IbLb0EEEEDaSL_SM_EUlSL_E_NS1_11comp_targetILNS1_3genE0ELNS1_11target_archE4294967295ELNS1_3gpuE0ELNS1_3repE0EEENS1_30default_config_static_selectorELNS0_4arch9wavefront6targetE0EEEvT1_,"axG",@progbits,_ZN7rocprim17ROCPRIM_400000_NS6detail17trampoline_kernelINS0_14default_configENS1_20scan_config_selectorIlEEZZNS1_9scan_implILNS1_25lookback_scan_determinismE0ELb0ELb0ES3_PlS8_lN6thrust23THRUST_200600_302600_NS4plusIvEElEEDaPvRmT3_T4_T5_mT6_P12ihipStream_tbENKUlT_T0_E_clISt17integral_constantIbLb1EESP_IbLb0EEEEDaSL_SM_EUlSL_E_NS1_11comp_targetILNS1_3genE0ELNS1_11target_archE4294967295ELNS1_3gpuE0ELNS1_3repE0EEENS1_30default_config_static_selectorELNS0_4arch9wavefront6targetE0EEEvT1_,comdat
.Lfunc_end122:
	.size	_ZN7rocprim17ROCPRIM_400000_NS6detail17trampoline_kernelINS0_14default_configENS1_20scan_config_selectorIlEEZZNS1_9scan_implILNS1_25lookback_scan_determinismE0ELb0ELb0ES3_PlS8_lN6thrust23THRUST_200600_302600_NS4plusIvEElEEDaPvRmT3_T4_T5_mT6_P12ihipStream_tbENKUlT_T0_E_clISt17integral_constantIbLb1EESP_IbLb0EEEEDaSL_SM_EUlSL_E_NS1_11comp_targetILNS1_3genE0ELNS1_11target_archE4294967295ELNS1_3gpuE0ELNS1_3repE0EEENS1_30default_config_static_selectorELNS0_4arch9wavefront6targetE0EEEvT1_, .Lfunc_end122-_ZN7rocprim17ROCPRIM_400000_NS6detail17trampoline_kernelINS0_14default_configENS1_20scan_config_selectorIlEEZZNS1_9scan_implILNS1_25lookback_scan_determinismE0ELb0ELb0ES3_PlS8_lN6thrust23THRUST_200600_302600_NS4plusIvEElEEDaPvRmT3_T4_T5_mT6_P12ihipStream_tbENKUlT_T0_E_clISt17integral_constantIbLb1EESP_IbLb0EEEEDaSL_SM_EUlSL_E_NS1_11comp_targetILNS1_3genE0ELNS1_11target_archE4294967295ELNS1_3gpuE0ELNS1_3repE0EEENS1_30default_config_static_selectorELNS0_4arch9wavefront6targetE0EEEvT1_
                                        ; -- End function
	.section	.AMDGPU.csdata,"",@progbits
; Kernel info:
; codeLenInByte = 0
; NumSgprs: 0
; NumVgprs: 0
; ScratchSize: 0
; MemoryBound: 0
; FloatMode: 240
; IeeeMode: 1
; LDSByteSize: 0 bytes/workgroup (compile time only)
; SGPRBlocks: 0
; VGPRBlocks: 0
; NumSGPRsForWavesPerEU: 1
; NumVGPRsForWavesPerEU: 1
; Occupancy: 16
; WaveLimiterHint : 0
; COMPUTE_PGM_RSRC2:SCRATCH_EN: 0
; COMPUTE_PGM_RSRC2:USER_SGPR: 15
; COMPUTE_PGM_RSRC2:TRAP_HANDLER: 0
; COMPUTE_PGM_RSRC2:TGID_X_EN: 1
; COMPUTE_PGM_RSRC2:TGID_Y_EN: 0
; COMPUTE_PGM_RSRC2:TGID_Z_EN: 0
; COMPUTE_PGM_RSRC2:TIDIG_COMP_CNT: 0
	.section	.text._ZN7rocprim17ROCPRIM_400000_NS6detail17trampoline_kernelINS0_14default_configENS1_20scan_config_selectorIlEEZZNS1_9scan_implILNS1_25lookback_scan_determinismE0ELb0ELb0ES3_PlS8_lN6thrust23THRUST_200600_302600_NS4plusIvEElEEDaPvRmT3_T4_T5_mT6_P12ihipStream_tbENKUlT_T0_E_clISt17integral_constantIbLb1EESP_IbLb0EEEEDaSL_SM_EUlSL_E_NS1_11comp_targetILNS1_3genE5ELNS1_11target_archE942ELNS1_3gpuE9ELNS1_3repE0EEENS1_30default_config_static_selectorELNS0_4arch9wavefront6targetE0EEEvT1_,"axG",@progbits,_ZN7rocprim17ROCPRIM_400000_NS6detail17trampoline_kernelINS0_14default_configENS1_20scan_config_selectorIlEEZZNS1_9scan_implILNS1_25lookback_scan_determinismE0ELb0ELb0ES3_PlS8_lN6thrust23THRUST_200600_302600_NS4plusIvEElEEDaPvRmT3_T4_T5_mT6_P12ihipStream_tbENKUlT_T0_E_clISt17integral_constantIbLb1EESP_IbLb0EEEEDaSL_SM_EUlSL_E_NS1_11comp_targetILNS1_3genE5ELNS1_11target_archE942ELNS1_3gpuE9ELNS1_3repE0EEENS1_30default_config_static_selectorELNS0_4arch9wavefront6targetE0EEEvT1_,comdat
	.protected	_ZN7rocprim17ROCPRIM_400000_NS6detail17trampoline_kernelINS0_14default_configENS1_20scan_config_selectorIlEEZZNS1_9scan_implILNS1_25lookback_scan_determinismE0ELb0ELb0ES3_PlS8_lN6thrust23THRUST_200600_302600_NS4plusIvEElEEDaPvRmT3_T4_T5_mT6_P12ihipStream_tbENKUlT_T0_E_clISt17integral_constantIbLb1EESP_IbLb0EEEEDaSL_SM_EUlSL_E_NS1_11comp_targetILNS1_3genE5ELNS1_11target_archE942ELNS1_3gpuE9ELNS1_3repE0EEENS1_30default_config_static_selectorELNS0_4arch9wavefront6targetE0EEEvT1_ ; -- Begin function _ZN7rocprim17ROCPRIM_400000_NS6detail17trampoline_kernelINS0_14default_configENS1_20scan_config_selectorIlEEZZNS1_9scan_implILNS1_25lookback_scan_determinismE0ELb0ELb0ES3_PlS8_lN6thrust23THRUST_200600_302600_NS4plusIvEElEEDaPvRmT3_T4_T5_mT6_P12ihipStream_tbENKUlT_T0_E_clISt17integral_constantIbLb1EESP_IbLb0EEEEDaSL_SM_EUlSL_E_NS1_11comp_targetILNS1_3genE5ELNS1_11target_archE942ELNS1_3gpuE9ELNS1_3repE0EEENS1_30default_config_static_selectorELNS0_4arch9wavefront6targetE0EEEvT1_
	.globl	_ZN7rocprim17ROCPRIM_400000_NS6detail17trampoline_kernelINS0_14default_configENS1_20scan_config_selectorIlEEZZNS1_9scan_implILNS1_25lookback_scan_determinismE0ELb0ELb0ES3_PlS8_lN6thrust23THRUST_200600_302600_NS4plusIvEElEEDaPvRmT3_T4_T5_mT6_P12ihipStream_tbENKUlT_T0_E_clISt17integral_constantIbLb1EESP_IbLb0EEEEDaSL_SM_EUlSL_E_NS1_11comp_targetILNS1_3genE5ELNS1_11target_archE942ELNS1_3gpuE9ELNS1_3repE0EEENS1_30default_config_static_selectorELNS0_4arch9wavefront6targetE0EEEvT1_
	.p2align	8
	.type	_ZN7rocprim17ROCPRIM_400000_NS6detail17trampoline_kernelINS0_14default_configENS1_20scan_config_selectorIlEEZZNS1_9scan_implILNS1_25lookback_scan_determinismE0ELb0ELb0ES3_PlS8_lN6thrust23THRUST_200600_302600_NS4plusIvEElEEDaPvRmT3_T4_T5_mT6_P12ihipStream_tbENKUlT_T0_E_clISt17integral_constantIbLb1EESP_IbLb0EEEEDaSL_SM_EUlSL_E_NS1_11comp_targetILNS1_3genE5ELNS1_11target_archE942ELNS1_3gpuE9ELNS1_3repE0EEENS1_30default_config_static_selectorELNS0_4arch9wavefront6targetE0EEEvT1_,@function
_ZN7rocprim17ROCPRIM_400000_NS6detail17trampoline_kernelINS0_14default_configENS1_20scan_config_selectorIlEEZZNS1_9scan_implILNS1_25lookback_scan_determinismE0ELb0ELb0ES3_PlS8_lN6thrust23THRUST_200600_302600_NS4plusIvEElEEDaPvRmT3_T4_T5_mT6_P12ihipStream_tbENKUlT_T0_E_clISt17integral_constantIbLb1EESP_IbLb0EEEEDaSL_SM_EUlSL_E_NS1_11comp_targetILNS1_3genE5ELNS1_11target_archE942ELNS1_3gpuE9ELNS1_3repE0EEENS1_30default_config_static_selectorELNS0_4arch9wavefront6targetE0EEEvT1_: ; @_ZN7rocprim17ROCPRIM_400000_NS6detail17trampoline_kernelINS0_14default_configENS1_20scan_config_selectorIlEEZZNS1_9scan_implILNS1_25lookback_scan_determinismE0ELb0ELb0ES3_PlS8_lN6thrust23THRUST_200600_302600_NS4plusIvEElEEDaPvRmT3_T4_T5_mT6_P12ihipStream_tbENKUlT_T0_E_clISt17integral_constantIbLb1EESP_IbLb0EEEEDaSL_SM_EUlSL_E_NS1_11comp_targetILNS1_3genE5ELNS1_11target_archE942ELNS1_3gpuE9ELNS1_3repE0EEENS1_30default_config_static_selectorELNS0_4arch9wavefront6targetE0EEEvT1_
; %bb.0:
	.section	.rodata,"a",@progbits
	.p2align	6, 0x0
	.amdhsa_kernel _ZN7rocprim17ROCPRIM_400000_NS6detail17trampoline_kernelINS0_14default_configENS1_20scan_config_selectorIlEEZZNS1_9scan_implILNS1_25lookback_scan_determinismE0ELb0ELb0ES3_PlS8_lN6thrust23THRUST_200600_302600_NS4plusIvEElEEDaPvRmT3_T4_T5_mT6_P12ihipStream_tbENKUlT_T0_E_clISt17integral_constantIbLb1EESP_IbLb0EEEEDaSL_SM_EUlSL_E_NS1_11comp_targetILNS1_3genE5ELNS1_11target_archE942ELNS1_3gpuE9ELNS1_3repE0EEENS1_30default_config_static_selectorELNS0_4arch9wavefront6targetE0EEEvT1_
		.amdhsa_group_segment_fixed_size 0
		.amdhsa_private_segment_fixed_size 0
		.amdhsa_kernarg_size 104
		.amdhsa_user_sgpr_count 15
		.amdhsa_user_sgpr_dispatch_ptr 0
		.amdhsa_user_sgpr_queue_ptr 0
		.amdhsa_user_sgpr_kernarg_segment_ptr 1
		.amdhsa_user_sgpr_dispatch_id 0
		.amdhsa_user_sgpr_private_segment_size 0
		.amdhsa_wavefront_size32 1
		.amdhsa_uses_dynamic_stack 0
		.amdhsa_enable_private_segment 0
		.amdhsa_system_sgpr_workgroup_id_x 1
		.amdhsa_system_sgpr_workgroup_id_y 0
		.amdhsa_system_sgpr_workgroup_id_z 0
		.amdhsa_system_sgpr_workgroup_info 0
		.amdhsa_system_vgpr_workitem_id 0
		.amdhsa_next_free_vgpr 1
		.amdhsa_next_free_sgpr 1
		.amdhsa_reserve_vcc 0
		.amdhsa_float_round_mode_32 0
		.amdhsa_float_round_mode_16_64 0
		.amdhsa_float_denorm_mode_32 3
		.amdhsa_float_denorm_mode_16_64 3
		.amdhsa_dx10_clamp 1
		.amdhsa_ieee_mode 1
		.amdhsa_fp16_overflow 0
		.amdhsa_workgroup_processor_mode 1
		.amdhsa_memory_ordered 1
		.amdhsa_forward_progress 0
		.amdhsa_shared_vgpr_count 0
		.amdhsa_exception_fp_ieee_invalid_op 0
		.amdhsa_exception_fp_denorm_src 0
		.amdhsa_exception_fp_ieee_div_zero 0
		.amdhsa_exception_fp_ieee_overflow 0
		.amdhsa_exception_fp_ieee_underflow 0
		.amdhsa_exception_fp_ieee_inexact 0
		.amdhsa_exception_int_div_zero 0
	.end_amdhsa_kernel
	.section	.text._ZN7rocprim17ROCPRIM_400000_NS6detail17trampoline_kernelINS0_14default_configENS1_20scan_config_selectorIlEEZZNS1_9scan_implILNS1_25lookback_scan_determinismE0ELb0ELb0ES3_PlS8_lN6thrust23THRUST_200600_302600_NS4plusIvEElEEDaPvRmT3_T4_T5_mT6_P12ihipStream_tbENKUlT_T0_E_clISt17integral_constantIbLb1EESP_IbLb0EEEEDaSL_SM_EUlSL_E_NS1_11comp_targetILNS1_3genE5ELNS1_11target_archE942ELNS1_3gpuE9ELNS1_3repE0EEENS1_30default_config_static_selectorELNS0_4arch9wavefront6targetE0EEEvT1_,"axG",@progbits,_ZN7rocprim17ROCPRIM_400000_NS6detail17trampoline_kernelINS0_14default_configENS1_20scan_config_selectorIlEEZZNS1_9scan_implILNS1_25lookback_scan_determinismE0ELb0ELb0ES3_PlS8_lN6thrust23THRUST_200600_302600_NS4plusIvEElEEDaPvRmT3_T4_T5_mT6_P12ihipStream_tbENKUlT_T0_E_clISt17integral_constantIbLb1EESP_IbLb0EEEEDaSL_SM_EUlSL_E_NS1_11comp_targetILNS1_3genE5ELNS1_11target_archE942ELNS1_3gpuE9ELNS1_3repE0EEENS1_30default_config_static_selectorELNS0_4arch9wavefront6targetE0EEEvT1_,comdat
.Lfunc_end123:
	.size	_ZN7rocprim17ROCPRIM_400000_NS6detail17trampoline_kernelINS0_14default_configENS1_20scan_config_selectorIlEEZZNS1_9scan_implILNS1_25lookback_scan_determinismE0ELb0ELb0ES3_PlS8_lN6thrust23THRUST_200600_302600_NS4plusIvEElEEDaPvRmT3_T4_T5_mT6_P12ihipStream_tbENKUlT_T0_E_clISt17integral_constantIbLb1EESP_IbLb0EEEEDaSL_SM_EUlSL_E_NS1_11comp_targetILNS1_3genE5ELNS1_11target_archE942ELNS1_3gpuE9ELNS1_3repE0EEENS1_30default_config_static_selectorELNS0_4arch9wavefront6targetE0EEEvT1_, .Lfunc_end123-_ZN7rocprim17ROCPRIM_400000_NS6detail17trampoline_kernelINS0_14default_configENS1_20scan_config_selectorIlEEZZNS1_9scan_implILNS1_25lookback_scan_determinismE0ELb0ELb0ES3_PlS8_lN6thrust23THRUST_200600_302600_NS4plusIvEElEEDaPvRmT3_T4_T5_mT6_P12ihipStream_tbENKUlT_T0_E_clISt17integral_constantIbLb1EESP_IbLb0EEEEDaSL_SM_EUlSL_E_NS1_11comp_targetILNS1_3genE5ELNS1_11target_archE942ELNS1_3gpuE9ELNS1_3repE0EEENS1_30default_config_static_selectorELNS0_4arch9wavefront6targetE0EEEvT1_
                                        ; -- End function
	.section	.AMDGPU.csdata,"",@progbits
; Kernel info:
; codeLenInByte = 0
; NumSgprs: 0
; NumVgprs: 0
; ScratchSize: 0
; MemoryBound: 0
; FloatMode: 240
; IeeeMode: 1
; LDSByteSize: 0 bytes/workgroup (compile time only)
; SGPRBlocks: 0
; VGPRBlocks: 0
; NumSGPRsForWavesPerEU: 1
; NumVGPRsForWavesPerEU: 1
; Occupancy: 16
; WaveLimiterHint : 0
; COMPUTE_PGM_RSRC2:SCRATCH_EN: 0
; COMPUTE_PGM_RSRC2:USER_SGPR: 15
; COMPUTE_PGM_RSRC2:TRAP_HANDLER: 0
; COMPUTE_PGM_RSRC2:TGID_X_EN: 1
; COMPUTE_PGM_RSRC2:TGID_Y_EN: 0
; COMPUTE_PGM_RSRC2:TGID_Z_EN: 0
; COMPUTE_PGM_RSRC2:TIDIG_COMP_CNT: 0
	.section	.text._ZN7rocprim17ROCPRIM_400000_NS6detail17trampoline_kernelINS0_14default_configENS1_20scan_config_selectorIlEEZZNS1_9scan_implILNS1_25lookback_scan_determinismE0ELb0ELb0ES3_PlS8_lN6thrust23THRUST_200600_302600_NS4plusIvEElEEDaPvRmT3_T4_T5_mT6_P12ihipStream_tbENKUlT_T0_E_clISt17integral_constantIbLb1EESP_IbLb0EEEEDaSL_SM_EUlSL_E_NS1_11comp_targetILNS1_3genE4ELNS1_11target_archE910ELNS1_3gpuE8ELNS1_3repE0EEENS1_30default_config_static_selectorELNS0_4arch9wavefront6targetE0EEEvT1_,"axG",@progbits,_ZN7rocprim17ROCPRIM_400000_NS6detail17trampoline_kernelINS0_14default_configENS1_20scan_config_selectorIlEEZZNS1_9scan_implILNS1_25lookback_scan_determinismE0ELb0ELb0ES3_PlS8_lN6thrust23THRUST_200600_302600_NS4plusIvEElEEDaPvRmT3_T4_T5_mT6_P12ihipStream_tbENKUlT_T0_E_clISt17integral_constantIbLb1EESP_IbLb0EEEEDaSL_SM_EUlSL_E_NS1_11comp_targetILNS1_3genE4ELNS1_11target_archE910ELNS1_3gpuE8ELNS1_3repE0EEENS1_30default_config_static_selectorELNS0_4arch9wavefront6targetE0EEEvT1_,comdat
	.protected	_ZN7rocprim17ROCPRIM_400000_NS6detail17trampoline_kernelINS0_14default_configENS1_20scan_config_selectorIlEEZZNS1_9scan_implILNS1_25lookback_scan_determinismE0ELb0ELb0ES3_PlS8_lN6thrust23THRUST_200600_302600_NS4plusIvEElEEDaPvRmT3_T4_T5_mT6_P12ihipStream_tbENKUlT_T0_E_clISt17integral_constantIbLb1EESP_IbLb0EEEEDaSL_SM_EUlSL_E_NS1_11comp_targetILNS1_3genE4ELNS1_11target_archE910ELNS1_3gpuE8ELNS1_3repE0EEENS1_30default_config_static_selectorELNS0_4arch9wavefront6targetE0EEEvT1_ ; -- Begin function _ZN7rocprim17ROCPRIM_400000_NS6detail17trampoline_kernelINS0_14default_configENS1_20scan_config_selectorIlEEZZNS1_9scan_implILNS1_25lookback_scan_determinismE0ELb0ELb0ES3_PlS8_lN6thrust23THRUST_200600_302600_NS4plusIvEElEEDaPvRmT3_T4_T5_mT6_P12ihipStream_tbENKUlT_T0_E_clISt17integral_constantIbLb1EESP_IbLb0EEEEDaSL_SM_EUlSL_E_NS1_11comp_targetILNS1_3genE4ELNS1_11target_archE910ELNS1_3gpuE8ELNS1_3repE0EEENS1_30default_config_static_selectorELNS0_4arch9wavefront6targetE0EEEvT1_
	.globl	_ZN7rocprim17ROCPRIM_400000_NS6detail17trampoline_kernelINS0_14default_configENS1_20scan_config_selectorIlEEZZNS1_9scan_implILNS1_25lookback_scan_determinismE0ELb0ELb0ES3_PlS8_lN6thrust23THRUST_200600_302600_NS4plusIvEElEEDaPvRmT3_T4_T5_mT6_P12ihipStream_tbENKUlT_T0_E_clISt17integral_constantIbLb1EESP_IbLb0EEEEDaSL_SM_EUlSL_E_NS1_11comp_targetILNS1_3genE4ELNS1_11target_archE910ELNS1_3gpuE8ELNS1_3repE0EEENS1_30default_config_static_selectorELNS0_4arch9wavefront6targetE0EEEvT1_
	.p2align	8
	.type	_ZN7rocprim17ROCPRIM_400000_NS6detail17trampoline_kernelINS0_14default_configENS1_20scan_config_selectorIlEEZZNS1_9scan_implILNS1_25lookback_scan_determinismE0ELb0ELb0ES3_PlS8_lN6thrust23THRUST_200600_302600_NS4plusIvEElEEDaPvRmT3_T4_T5_mT6_P12ihipStream_tbENKUlT_T0_E_clISt17integral_constantIbLb1EESP_IbLb0EEEEDaSL_SM_EUlSL_E_NS1_11comp_targetILNS1_3genE4ELNS1_11target_archE910ELNS1_3gpuE8ELNS1_3repE0EEENS1_30default_config_static_selectorELNS0_4arch9wavefront6targetE0EEEvT1_,@function
_ZN7rocprim17ROCPRIM_400000_NS6detail17trampoline_kernelINS0_14default_configENS1_20scan_config_selectorIlEEZZNS1_9scan_implILNS1_25lookback_scan_determinismE0ELb0ELb0ES3_PlS8_lN6thrust23THRUST_200600_302600_NS4plusIvEElEEDaPvRmT3_T4_T5_mT6_P12ihipStream_tbENKUlT_T0_E_clISt17integral_constantIbLb1EESP_IbLb0EEEEDaSL_SM_EUlSL_E_NS1_11comp_targetILNS1_3genE4ELNS1_11target_archE910ELNS1_3gpuE8ELNS1_3repE0EEENS1_30default_config_static_selectorELNS0_4arch9wavefront6targetE0EEEvT1_: ; @_ZN7rocprim17ROCPRIM_400000_NS6detail17trampoline_kernelINS0_14default_configENS1_20scan_config_selectorIlEEZZNS1_9scan_implILNS1_25lookback_scan_determinismE0ELb0ELb0ES3_PlS8_lN6thrust23THRUST_200600_302600_NS4plusIvEElEEDaPvRmT3_T4_T5_mT6_P12ihipStream_tbENKUlT_T0_E_clISt17integral_constantIbLb1EESP_IbLb0EEEEDaSL_SM_EUlSL_E_NS1_11comp_targetILNS1_3genE4ELNS1_11target_archE910ELNS1_3gpuE8ELNS1_3repE0EEENS1_30default_config_static_selectorELNS0_4arch9wavefront6targetE0EEEvT1_
; %bb.0:
	.section	.rodata,"a",@progbits
	.p2align	6, 0x0
	.amdhsa_kernel _ZN7rocprim17ROCPRIM_400000_NS6detail17trampoline_kernelINS0_14default_configENS1_20scan_config_selectorIlEEZZNS1_9scan_implILNS1_25lookback_scan_determinismE0ELb0ELb0ES3_PlS8_lN6thrust23THRUST_200600_302600_NS4plusIvEElEEDaPvRmT3_T4_T5_mT6_P12ihipStream_tbENKUlT_T0_E_clISt17integral_constantIbLb1EESP_IbLb0EEEEDaSL_SM_EUlSL_E_NS1_11comp_targetILNS1_3genE4ELNS1_11target_archE910ELNS1_3gpuE8ELNS1_3repE0EEENS1_30default_config_static_selectorELNS0_4arch9wavefront6targetE0EEEvT1_
		.amdhsa_group_segment_fixed_size 0
		.amdhsa_private_segment_fixed_size 0
		.amdhsa_kernarg_size 104
		.amdhsa_user_sgpr_count 15
		.amdhsa_user_sgpr_dispatch_ptr 0
		.amdhsa_user_sgpr_queue_ptr 0
		.amdhsa_user_sgpr_kernarg_segment_ptr 1
		.amdhsa_user_sgpr_dispatch_id 0
		.amdhsa_user_sgpr_private_segment_size 0
		.amdhsa_wavefront_size32 1
		.amdhsa_uses_dynamic_stack 0
		.amdhsa_enable_private_segment 0
		.amdhsa_system_sgpr_workgroup_id_x 1
		.amdhsa_system_sgpr_workgroup_id_y 0
		.amdhsa_system_sgpr_workgroup_id_z 0
		.amdhsa_system_sgpr_workgroup_info 0
		.amdhsa_system_vgpr_workitem_id 0
		.amdhsa_next_free_vgpr 1
		.amdhsa_next_free_sgpr 1
		.amdhsa_reserve_vcc 0
		.amdhsa_float_round_mode_32 0
		.amdhsa_float_round_mode_16_64 0
		.amdhsa_float_denorm_mode_32 3
		.amdhsa_float_denorm_mode_16_64 3
		.amdhsa_dx10_clamp 1
		.amdhsa_ieee_mode 1
		.amdhsa_fp16_overflow 0
		.amdhsa_workgroup_processor_mode 1
		.amdhsa_memory_ordered 1
		.amdhsa_forward_progress 0
		.amdhsa_shared_vgpr_count 0
		.amdhsa_exception_fp_ieee_invalid_op 0
		.amdhsa_exception_fp_denorm_src 0
		.amdhsa_exception_fp_ieee_div_zero 0
		.amdhsa_exception_fp_ieee_overflow 0
		.amdhsa_exception_fp_ieee_underflow 0
		.amdhsa_exception_fp_ieee_inexact 0
		.amdhsa_exception_int_div_zero 0
	.end_amdhsa_kernel
	.section	.text._ZN7rocprim17ROCPRIM_400000_NS6detail17trampoline_kernelINS0_14default_configENS1_20scan_config_selectorIlEEZZNS1_9scan_implILNS1_25lookback_scan_determinismE0ELb0ELb0ES3_PlS8_lN6thrust23THRUST_200600_302600_NS4plusIvEElEEDaPvRmT3_T4_T5_mT6_P12ihipStream_tbENKUlT_T0_E_clISt17integral_constantIbLb1EESP_IbLb0EEEEDaSL_SM_EUlSL_E_NS1_11comp_targetILNS1_3genE4ELNS1_11target_archE910ELNS1_3gpuE8ELNS1_3repE0EEENS1_30default_config_static_selectorELNS0_4arch9wavefront6targetE0EEEvT1_,"axG",@progbits,_ZN7rocprim17ROCPRIM_400000_NS6detail17trampoline_kernelINS0_14default_configENS1_20scan_config_selectorIlEEZZNS1_9scan_implILNS1_25lookback_scan_determinismE0ELb0ELb0ES3_PlS8_lN6thrust23THRUST_200600_302600_NS4plusIvEElEEDaPvRmT3_T4_T5_mT6_P12ihipStream_tbENKUlT_T0_E_clISt17integral_constantIbLb1EESP_IbLb0EEEEDaSL_SM_EUlSL_E_NS1_11comp_targetILNS1_3genE4ELNS1_11target_archE910ELNS1_3gpuE8ELNS1_3repE0EEENS1_30default_config_static_selectorELNS0_4arch9wavefront6targetE0EEEvT1_,comdat
.Lfunc_end124:
	.size	_ZN7rocprim17ROCPRIM_400000_NS6detail17trampoline_kernelINS0_14default_configENS1_20scan_config_selectorIlEEZZNS1_9scan_implILNS1_25lookback_scan_determinismE0ELb0ELb0ES3_PlS8_lN6thrust23THRUST_200600_302600_NS4plusIvEElEEDaPvRmT3_T4_T5_mT6_P12ihipStream_tbENKUlT_T0_E_clISt17integral_constantIbLb1EESP_IbLb0EEEEDaSL_SM_EUlSL_E_NS1_11comp_targetILNS1_3genE4ELNS1_11target_archE910ELNS1_3gpuE8ELNS1_3repE0EEENS1_30default_config_static_selectorELNS0_4arch9wavefront6targetE0EEEvT1_, .Lfunc_end124-_ZN7rocprim17ROCPRIM_400000_NS6detail17trampoline_kernelINS0_14default_configENS1_20scan_config_selectorIlEEZZNS1_9scan_implILNS1_25lookback_scan_determinismE0ELb0ELb0ES3_PlS8_lN6thrust23THRUST_200600_302600_NS4plusIvEElEEDaPvRmT3_T4_T5_mT6_P12ihipStream_tbENKUlT_T0_E_clISt17integral_constantIbLb1EESP_IbLb0EEEEDaSL_SM_EUlSL_E_NS1_11comp_targetILNS1_3genE4ELNS1_11target_archE910ELNS1_3gpuE8ELNS1_3repE0EEENS1_30default_config_static_selectorELNS0_4arch9wavefront6targetE0EEEvT1_
                                        ; -- End function
	.section	.AMDGPU.csdata,"",@progbits
; Kernel info:
; codeLenInByte = 0
; NumSgprs: 0
; NumVgprs: 0
; ScratchSize: 0
; MemoryBound: 0
; FloatMode: 240
; IeeeMode: 1
; LDSByteSize: 0 bytes/workgroup (compile time only)
; SGPRBlocks: 0
; VGPRBlocks: 0
; NumSGPRsForWavesPerEU: 1
; NumVGPRsForWavesPerEU: 1
; Occupancy: 16
; WaveLimiterHint : 0
; COMPUTE_PGM_RSRC2:SCRATCH_EN: 0
; COMPUTE_PGM_RSRC2:USER_SGPR: 15
; COMPUTE_PGM_RSRC2:TRAP_HANDLER: 0
; COMPUTE_PGM_RSRC2:TGID_X_EN: 1
; COMPUTE_PGM_RSRC2:TGID_Y_EN: 0
; COMPUTE_PGM_RSRC2:TGID_Z_EN: 0
; COMPUTE_PGM_RSRC2:TIDIG_COMP_CNT: 0
	.section	.text._ZN7rocprim17ROCPRIM_400000_NS6detail17trampoline_kernelINS0_14default_configENS1_20scan_config_selectorIlEEZZNS1_9scan_implILNS1_25lookback_scan_determinismE0ELb0ELb0ES3_PlS8_lN6thrust23THRUST_200600_302600_NS4plusIvEElEEDaPvRmT3_T4_T5_mT6_P12ihipStream_tbENKUlT_T0_E_clISt17integral_constantIbLb1EESP_IbLb0EEEEDaSL_SM_EUlSL_E_NS1_11comp_targetILNS1_3genE3ELNS1_11target_archE908ELNS1_3gpuE7ELNS1_3repE0EEENS1_30default_config_static_selectorELNS0_4arch9wavefront6targetE0EEEvT1_,"axG",@progbits,_ZN7rocprim17ROCPRIM_400000_NS6detail17trampoline_kernelINS0_14default_configENS1_20scan_config_selectorIlEEZZNS1_9scan_implILNS1_25lookback_scan_determinismE0ELb0ELb0ES3_PlS8_lN6thrust23THRUST_200600_302600_NS4plusIvEElEEDaPvRmT3_T4_T5_mT6_P12ihipStream_tbENKUlT_T0_E_clISt17integral_constantIbLb1EESP_IbLb0EEEEDaSL_SM_EUlSL_E_NS1_11comp_targetILNS1_3genE3ELNS1_11target_archE908ELNS1_3gpuE7ELNS1_3repE0EEENS1_30default_config_static_selectorELNS0_4arch9wavefront6targetE0EEEvT1_,comdat
	.protected	_ZN7rocprim17ROCPRIM_400000_NS6detail17trampoline_kernelINS0_14default_configENS1_20scan_config_selectorIlEEZZNS1_9scan_implILNS1_25lookback_scan_determinismE0ELb0ELb0ES3_PlS8_lN6thrust23THRUST_200600_302600_NS4plusIvEElEEDaPvRmT3_T4_T5_mT6_P12ihipStream_tbENKUlT_T0_E_clISt17integral_constantIbLb1EESP_IbLb0EEEEDaSL_SM_EUlSL_E_NS1_11comp_targetILNS1_3genE3ELNS1_11target_archE908ELNS1_3gpuE7ELNS1_3repE0EEENS1_30default_config_static_selectorELNS0_4arch9wavefront6targetE0EEEvT1_ ; -- Begin function _ZN7rocprim17ROCPRIM_400000_NS6detail17trampoline_kernelINS0_14default_configENS1_20scan_config_selectorIlEEZZNS1_9scan_implILNS1_25lookback_scan_determinismE0ELb0ELb0ES3_PlS8_lN6thrust23THRUST_200600_302600_NS4plusIvEElEEDaPvRmT3_T4_T5_mT6_P12ihipStream_tbENKUlT_T0_E_clISt17integral_constantIbLb1EESP_IbLb0EEEEDaSL_SM_EUlSL_E_NS1_11comp_targetILNS1_3genE3ELNS1_11target_archE908ELNS1_3gpuE7ELNS1_3repE0EEENS1_30default_config_static_selectorELNS0_4arch9wavefront6targetE0EEEvT1_
	.globl	_ZN7rocprim17ROCPRIM_400000_NS6detail17trampoline_kernelINS0_14default_configENS1_20scan_config_selectorIlEEZZNS1_9scan_implILNS1_25lookback_scan_determinismE0ELb0ELb0ES3_PlS8_lN6thrust23THRUST_200600_302600_NS4plusIvEElEEDaPvRmT3_T4_T5_mT6_P12ihipStream_tbENKUlT_T0_E_clISt17integral_constantIbLb1EESP_IbLb0EEEEDaSL_SM_EUlSL_E_NS1_11comp_targetILNS1_3genE3ELNS1_11target_archE908ELNS1_3gpuE7ELNS1_3repE0EEENS1_30default_config_static_selectorELNS0_4arch9wavefront6targetE0EEEvT1_
	.p2align	8
	.type	_ZN7rocprim17ROCPRIM_400000_NS6detail17trampoline_kernelINS0_14default_configENS1_20scan_config_selectorIlEEZZNS1_9scan_implILNS1_25lookback_scan_determinismE0ELb0ELb0ES3_PlS8_lN6thrust23THRUST_200600_302600_NS4plusIvEElEEDaPvRmT3_T4_T5_mT6_P12ihipStream_tbENKUlT_T0_E_clISt17integral_constantIbLb1EESP_IbLb0EEEEDaSL_SM_EUlSL_E_NS1_11comp_targetILNS1_3genE3ELNS1_11target_archE908ELNS1_3gpuE7ELNS1_3repE0EEENS1_30default_config_static_selectorELNS0_4arch9wavefront6targetE0EEEvT1_,@function
_ZN7rocprim17ROCPRIM_400000_NS6detail17trampoline_kernelINS0_14default_configENS1_20scan_config_selectorIlEEZZNS1_9scan_implILNS1_25lookback_scan_determinismE0ELb0ELb0ES3_PlS8_lN6thrust23THRUST_200600_302600_NS4plusIvEElEEDaPvRmT3_T4_T5_mT6_P12ihipStream_tbENKUlT_T0_E_clISt17integral_constantIbLb1EESP_IbLb0EEEEDaSL_SM_EUlSL_E_NS1_11comp_targetILNS1_3genE3ELNS1_11target_archE908ELNS1_3gpuE7ELNS1_3repE0EEENS1_30default_config_static_selectorELNS0_4arch9wavefront6targetE0EEEvT1_: ; @_ZN7rocprim17ROCPRIM_400000_NS6detail17trampoline_kernelINS0_14default_configENS1_20scan_config_selectorIlEEZZNS1_9scan_implILNS1_25lookback_scan_determinismE0ELb0ELb0ES3_PlS8_lN6thrust23THRUST_200600_302600_NS4plusIvEElEEDaPvRmT3_T4_T5_mT6_P12ihipStream_tbENKUlT_T0_E_clISt17integral_constantIbLb1EESP_IbLb0EEEEDaSL_SM_EUlSL_E_NS1_11comp_targetILNS1_3genE3ELNS1_11target_archE908ELNS1_3gpuE7ELNS1_3repE0EEENS1_30default_config_static_selectorELNS0_4arch9wavefront6targetE0EEEvT1_
; %bb.0:
	.section	.rodata,"a",@progbits
	.p2align	6, 0x0
	.amdhsa_kernel _ZN7rocprim17ROCPRIM_400000_NS6detail17trampoline_kernelINS0_14default_configENS1_20scan_config_selectorIlEEZZNS1_9scan_implILNS1_25lookback_scan_determinismE0ELb0ELb0ES3_PlS8_lN6thrust23THRUST_200600_302600_NS4plusIvEElEEDaPvRmT3_T4_T5_mT6_P12ihipStream_tbENKUlT_T0_E_clISt17integral_constantIbLb1EESP_IbLb0EEEEDaSL_SM_EUlSL_E_NS1_11comp_targetILNS1_3genE3ELNS1_11target_archE908ELNS1_3gpuE7ELNS1_3repE0EEENS1_30default_config_static_selectorELNS0_4arch9wavefront6targetE0EEEvT1_
		.amdhsa_group_segment_fixed_size 0
		.amdhsa_private_segment_fixed_size 0
		.amdhsa_kernarg_size 104
		.amdhsa_user_sgpr_count 15
		.amdhsa_user_sgpr_dispatch_ptr 0
		.amdhsa_user_sgpr_queue_ptr 0
		.amdhsa_user_sgpr_kernarg_segment_ptr 1
		.amdhsa_user_sgpr_dispatch_id 0
		.amdhsa_user_sgpr_private_segment_size 0
		.amdhsa_wavefront_size32 1
		.amdhsa_uses_dynamic_stack 0
		.amdhsa_enable_private_segment 0
		.amdhsa_system_sgpr_workgroup_id_x 1
		.amdhsa_system_sgpr_workgroup_id_y 0
		.amdhsa_system_sgpr_workgroup_id_z 0
		.amdhsa_system_sgpr_workgroup_info 0
		.amdhsa_system_vgpr_workitem_id 0
		.amdhsa_next_free_vgpr 1
		.amdhsa_next_free_sgpr 1
		.amdhsa_reserve_vcc 0
		.amdhsa_float_round_mode_32 0
		.amdhsa_float_round_mode_16_64 0
		.amdhsa_float_denorm_mode_32 3
		.amdhsa_float_denorm_mode_16_64 3
		.amdhsa_dx10_clamp 1
		.amdhsa_ieee_mode 1
		.amdhsa_fp16_overflow 0
		.amdhsa_workgroup_processor_mode 1
		.amdhsa_memory_ordered 1
		.amdhsa_forward_progress 0
		.amdhsa_shared_vgpr_count 0
		.amdhsa_exception_fp_ieee_invalid_op 0
		.amdhsa_exception_fp_denorm_src 0
		.amdhsa_exception_fp_ieee_div_zero 0
		.amdhsa_exception_fp_ieee_overflow 0
		.amdhsa_exception_fp_ieee_underflow 0
		.amdhsa_exception_fp_ieee_inexact 0
		.amdhsa_exception_int_div_zero 0
	.end_amdhsa_kernel
	.section	.text._ZN7rocprim17ROCPRIM_400000_NS6detail17trampoline_kernelINS0_14default_configENS1_20scan_config_selectorIlEEZZNS1_9scan_implILNS1_25lookback_scan_determinismE0ELb0ELb0ES3_PlS8_lN6thrust23THRUST_200600_302600_NS4plusIvEElEEDaPvRmT3_T4_T5_mT6_P12ihipStream_tbENKUlT_T0_E_clISt17integral_constantIbLb1EESP_IbLb0EEEEDaSL_SM_EUlSL_E_NS1_11comp_targetILNS1_3genE3ELNS1_11target_archE908ELNS1_3gpuE7ELNS1_3repE0EEENS1_30default_config_static_selectorELNS0_4arch9wavefront6targetE0EEEvT1_,"axG",@progbits,_ZN7rocprim17ROCPRIM_400000_NS6detail17trampoline_kernelINS0_14default_configENS1_20scan_config_selectorIlEEZZNS1_9scan_implILNS1_25lookback_scan_determinismE0ELb0ELb0ES3_PlS8_lN6thrust23THRUST_200600_302600_NS4plusIvEElEEDaPvRmT3_T4_T5_mT6_P12ihipStream_tbENKUlT_T0_E_clISt17integral_constantIbLb1EESP_IbLb0EEEEDaSL_SM_EUlSL_E_NS1_11comp_targetILNS1_3genE3ELNS1_11target_archE908ELNS1_3gpuE7ELNS1_3repE0EEENS1_30default_config_static_selectorELNS0_4arch9wavefront6targetE0EEEvT1_,comdat
.Lfunc_end125:
	.size	_ZN7rocprim17ROCPRIM_400000_NS6detail17trampoline_kernelINS0_14default_configENS1_20scan_config_selectorIlEEZZNS1_9scan_implILNS1_25lookback_scan_determinismE0ELb0ELb0ES3_PlS8_lN6thrust23THRUST_200600_302600_NS4plusIvEElEEDaPvRmT3_T4_T5_mT6_P12ihipStream_tbENKUlT_T0_E_clISt17integral_constantIbLb1EESP_IbLb0EEEEDaSL_SM_EUlSL_E_NS1_11comp_targetILNS1_3genE3ELNS1_11target_archE908ELNS1_3gpuE7ELNS1_3repE0EEENS1_30default_config_static_selectorELNS0_4arch9wavefront6targetE0EEEvT1_, .Lfunc_end125-_ZN7rocprim17ROCPRIM_400000_NS6detail17trampoline_kernelINS0_14default_configENS1_20scan_config_selectorIlEEZZNS1_9scan_implILNS1_25lookback_scan_determinismE0ELb0ELb0ES3_PlS8_lN6thrust23THRUST_200600_302600_NS4plusIvEElEEDaPvRmT3_T4_T5_mT6_P12ihipStream_tbENKUlT_T0_E_clISt17integral_constantIbLb1EESP_IbLb0EEEEDaSL_SM_EUlSL_E_NS1_11comp_targetILNS1_3genE3ELNS1_11target_archE908ELNS1_3gpuE7ELNS1_3repE0EEENS1_30default_config_static_selectorELNS0_4arch9wavefront6targetE0EEEvT1_
                                        ; -- End function
	.section	.AMDGPU.csdata,"",@progbits
; Kernel info:
; codeLenInByte = 0
; NumSgprs: 0
; NumVgprs: 0
; ScratchSize: 0
; MemoryBound: 0
; FloatMode: 240
; IeeeMode: 1
; LDSByteSize: 0 bytes/workgroup (compile time only)
; SGPRBlocks: 0
; VGPRBlocks: 0
; NumSGPRsForWavesPerEU: 1
; NumVGPRsForWavesPerEU: 1
; Occupancy: 16
; WaveLimiterHint : 0
; COMPUTE_PGM_RSRC2:SCRATCH_EN: 0
; COMPUTE_PGM_RSRC2:USER_SGPR: 15
; COMPUTE_PGM_RSRC2:TRAP_HANDLER: 0
; COMPUTE_PGM_RSRC2:TGID_X_EN: 1
; COMPUTE_PGM_RSRC2:TGID_Y_EN: 0
; COMPUTE_PGM_RSRC2:TGID_Z_EN: 0
; COMPUTE_PGM_RSRC2:TIDIG_COMP_CNT: 0
	.section	.text._ZN7rocprim17ROCPRIM_400000_NS6detail17trampoline_kernelINS0_14default_configENS1_20scan_config_selectorIlEEZZNS1_9scan_implILNS1_25lookback_scan_determinismE0ELb0ELb0ES3_PlS8_lN6thrust23THRUST_200600_302600_NS4plusIvEElEEDaPvRmT3_T4_T5_mT6_P12ihipStream_tbENKUlT_T0_E_clISt17integral_constantIbLb1EESP_IbLb0EEEEDaSL_SM_EUlSL_E_NS1_11comp_targetILNS1_3genE2ELNS1_11target_archE906ELNS1_3gpuE6ELNS1_3repE0EEENS1_30default_config_static_selectorELNS0_4arch9wavefront6targetE0EEEvT1_,"axG",@progbits,_ZN7rocprim17ROCPRIM_400000_NS6detail17trampoline_kernelINS0_14default_configENS1_20scan_config_selectorIlEEZZNS1_9scan_implILNS1_25lookback_scan_determinismE0ELb0ELb0ES3_PlS8_lN6thrust23THRUST_200600_302600_NS4plusIvEElEEDaPvRmT3_T4_T5_mT6_P12ihipStream_tbENKUlT_T0_E_clISt17integral_constantIbLb1EESP_IbLb0EEEEDaSL_SM_EUlSL_E_NS1_11comp_targetILNS1_3genE2ELNS1_11target_archE906ELNS1_3gpuE6ELNS1_3repE0EEENS1_30default_config_static_selectorELNS0_4arch9wavefront6targetE0EEEvT1_,comdat
	.protected	_ZN7rocprim17ROCPRIM_400000_NS6detail17trampoline_kernelINS0_14default_configENS1_20scan_config_selectorIlEEZZNS1_9scan_implILNS1_25lookback_scan_determinismE0ELb0ELb0ES3_PlS8_lN6thrust23THRUST_200600_302600_NS4plusIvEElEEDaPvRmT3_T4_T5_mT6_P12ihipStream_tbENKUlT_T0_E_clISt17integral_constantIbLb1EESP_IbLb0EEEEDaSL_SM_EUlSL_E_NS1_11comp_targetILNS1_3genE2ELNS1_11target_archE906ELNS1_3gpuE6ELNS1_3repE0EEENS1_30default_config_static_selectorELNS0_4arch9wavefront6targetE0EEEvT1_ ; -- Begin function _ZN7rocprim17ROCPRIM_400000_NS6detail17trampoline_kernelINS0_14default_configENS1_20scan_config_selectorIlEEZZNS1_9scan_implILNS1_25lookback_scan_determinismE0ELb0ELb0ES3_PlS8_lN6thrust23THRUST_200600_302600_NS4plusIvEElEEDaPvRmT3_T4_T5_mT6_P12ihipStream_tbENKUlT_T0_E_clISt17integral_constantIbLb1EESP_IbLb0EEEEDaSL_SM_EUlSL_E_NS1_11comp_targetILNS1_3genE2ELNS1_11target_archE906ELNS1_3gpuE6ELNS1_3repE0EEENS1_30default_config_static_selectorELNS0_4arch9wavefront6targetE0EEEvT1_
	.globl	_ZN7rocprim17ROCPRIM_400000_NS6detail17trampoline_kernelINS0_14default_configENS1_20scan_config_selectorIlEEZZNS1_9scan_implILNS1_25lookback_scan_determinismE0ELb0ELb0ES3_PlS8_lN6thrust23THRUST_200600_302600_NS4plusIvEElEEDaPvRmT3_T4_T5_mT6_P12ihipStream_tbENKUlT_T0_E_clISt17integral_constantIbLb1EESP_IbLb0EEEEDaSL_SM_EUlSL_E_NS1_11comp_targetILNS1_3genE2ELNS1_11target_archE906ELNS1_3gpuE6ELNS1_3repE0EEENS1_30default_config_static_selectorELNS0_4arch9wavefront6targetE0EEEvT1_
	.p2align	8
	.type	_ZN7rocprim17ROCPRIM_400000_NS6detail17trampoline_kernelINS0_14default_configENS1_20scan_config_selectorIlEEZZNS1_9scan_implILNS1_25lookback_scan_determinismE0ELb0ELb0ES3_PlS8_lN6thrust23THRUST_200600_302600_NS4plusIvEElEEDaPvRmT3_T4_T5_mT6_P12ihipStream_tbENKUlT_T0_E_clISt17integral_constantIbLb1EESP_IbLb0EEEEDaSL_SM_EUlSL_E_NS1_11comp_targetILNS1_3genE2ELNS1_11target_archE906ELNS1_3gpuE6ELNS1_3repE0EEENS1_30default_config_static_selectorELNS0_4arch9wavefront6targetE0EEEvT1_,@function
_ZN7rocprim17ROCPRIM_400000_NS6detail17trampoline_kernelINS0_14default_configENS1_20scan_config_selectorIlEEZZNS1_9scan_implILNS1_25lookback_scan_determinismE0ELb0ELb0ES3_PlS8_lN6thrust23THRUST_200600_302600_NS4plusIvEElEEDaPvRmT3_T4_T5_mT6_P12ihipStream_tbENKUlT_T0_E_clISt17integral_constantIbLb1EESP_IbLb0EEEEDaSL_SM_EUlSL_E_NS1_11comp_targetILNS1_3genE2ELNS1_11target_archE906ELNS1_3gpuE6ELNS1_3repE0EEENS1_30default_config_static_selectorELNS0_4arch9wavefront6targetE0EEEvT1_: ; @_ZN7rocprim17ROCPRIM_400000_NS6detail17trampoline_kernelINS0_14default_configENS1_20scan_config_selectorIlEEZZNS1_9scan_implILNS1_25lookback_scan_determinismE0ELb0ELb0ES3_PlS8_lN6thrust23THRUST_200600_302600_NS4plusIvEElEEDaPvRmT3_T4_T5_mT6_P12ihipStream_tbENKUlT_T0_E_clISt17integral_constantIbLb1EESP_IbLb0EEEEDaSL_SM_EUlSL_E_NS1_11comp_targetILNS1_3genE2ELNS1_11target_archE906ELNS1_3gpuE6ELNS1_3repE0EEENS1_30default_config_static_selectorELNS0_4arch9wavefront6targetE0EEEvT1_
; %bb.0:
	.section	.rodata,"a",@progbits
	.p2align	6, 0x0
	.amdhsa_kernel _ZN7rocprim17ROCPRIM_400000_NS6detail17trampoline_kernelINS0_14default_configENS1_20scan_config_selectorIlEEZZNS1_9scan_implILNS1_25lookback_scan_determinismE0ELb0ELb0ES3_PlS8_lN6thrust23THRUST_200600_302600_NS4plusIvEElEEDaPvRmT3_T4_T5_mT6_P12ihipStream_tbENKUlT_T0_E_clISt17integral_constantIbLb1EESP_IbLb0EEEEDaSL_SM_EUlSL_E_NS1_11comp_targetILNS1_3genE2ELNS1_11target_archE906ELNS1_3gpuE6ELNS1_3repE0EEENS1_30default_config_static_selectorELNS0_4arch9wavefront6targetE0EEEvT1_
		.amdhsa_group_segment_fixed_size 0
		.amdhsa_private_segment_fixed_size 0
		.amdhsa_kernarg_size 104
		.amdhsa_user_sgpr_count 15
		.amdhsa_user_sgpr_dispatch_ptr 0
		.amdhsa_user_sgpr_queue_ptr 0
		.amdhsa_user_sgpr_kernarg_segment_ptr 1
		.amdhsa_user_sgpr_dispatch_id 0
		.amdhsa_user_sgpr_private_segment_size 0
		.amdhsa_wavefront_size32 1
		.amdhsa_uses_dynamic_stack 0
		.amdhsa_enable_private_segment 0
		.amdhsa_system_sgpr_workgroup_id_x 1
		.amdhsa_system_sgpr_workgroup_id_y 0
		.amdhsa_system_sgpr_workgroup_id_z 0
		.amdhsa_system_sgpr_workgroup_info 0
		.amdhsa_system_vgpr_workitem_id 0
		.amdhsa_next_free_vgpr 1
		.amdhsa_next_free_sgpr 1
		.amdhsa_reserve_vcc 0
		.amdhsa_float_round_mode_32 0
		.amdhsa_float_round_mode_16_64 0
		.amdhsa_float_denorm_mode_32 3
		.amdhsa_float_denorm_mode_16_64 3
		.amdhsa_dx10_clamp 1
		.amdhsa_ieee_mode 1
		.amdhsa_fp16_overflow 0
		.amdhsa_workgroup_processor_mode 1
		.amdhsa_memory_ordered 1
		.amdhsa_forward_progress 0
		.amdhsa_shared_vgpr_count 0
		.amdhsa_exception_fp_ieee_invalid_op 0
		.amdhsa_exception_fp_denorm_src 0
		.amdhsa_exception_fp_ieee_div_zero 0
		.amdhsa_exception_fp_ieee_overflow 0
		.amdhsa_exception_fp_ieee_underflow 0
		.amdhsa_exception_fp_ieee_inexact 0
		.amdhsa_exception_int_div_zero 0
	.end_amdhsa_kernel
	.section	.text._ZN7rocprim17ROCPRIM_400000_NS6detail17trampoline_kernelINS0_14default_configENS1_20scan_config_selectorIlEEZZNS1_9scan_implILNS1_25lookback_scan_determinismE0ELb0ELb0ES3_PlS8_lN6thrust23THRUST_200600_302600_NS4plusIvEElEEDaPvRmT3_T4_T5_mT6_P12ihipStream_tbENKUlT_T0_E_clISt17integral_constantIbLb1EESP_IbLb0EEEEDaSL_SM_EUlSL_E_NS1_11comp_targetILNS1_3genE2ELNS1_11target_archE906ELNS1_3gpuE6ELNS1_3repE0EEENS1_30default_config_static_selectorELNS0_4arch9wavefront6targetE0EEEvT1_,"axG",@progbits,_ZN7rocprim17ROCPRIM_400000_NS6detail17trampoline_kernelINS0_14default_configENS1_20scan_config_selectorIlEEZZNS1_9scan_implILNS1_25lookback_scan_determinismE0ELb0ELb0ES3_PlS8_lN6thrust23THRUST_200600_302600_NS4plusIvEElEEDaPvRmT3_T4_T5_mT6_P12ihipStream_tbENKUlT_T0_E_clISt17integral_constantIbLb1EESP_IbLb0EEEEDaSL_SM_EUlSL_E_NS1_11comp_targetILNS1_3genE2ELNS1_11target_archE906ELNS1_3gpuE6ELNS1_3repE0EEENS1_30default_config_static_selectorELNS0_4arch9wavefront6targetE0EEEvT1_,comdat
.Lfunc_end126:
	.size	_ZN7rocprim17ROCPRIM_400000_NS6detail17trampoline_kernelINS0_14default_configENS1_20scan_config_selectorIlEEZZNS1_9scan_implILNS1_25lookback_scan_determinismE0ELb0ELb0ES3_PlS8_lN6thrust23THRUST_200600_302600_NS4plusIvEElEEDaPvRmT3_T4_T5_mT6_P12ihipStream_tbENKUlT_T0_E_clISt17integral_constantIbLb1EESP_IbLb0EEEEDaSL_SM_EUlSL_E_NS1_11comp_targetILNS1_3genE2ELNS1_11target_archE906ELNS1_3gpuE6ELNS1_3repE0EEENS1_30default_config_static_selectorELNS0_4arch9wavefront6targetE0EEEvT1_, .Lfunc_end126-_ZN7rocprim17ROCPRIM_400000_NS6detail17trampoline_kernelINS0_14default_configENS1_20scan_config_selectorIlEEZZNS1_9scan_implILNS1_25lookback_scan_determinismE0ELb0ELb0ES3_PlS8_lN6thrust23THRUST_200600_302600_NS4plusIvEElEEDaPvRmT3_T4_T5_mT6_P12ihipStream_tbENKUlT_T0_E_clISt17integral_constantIbLb1EESP_IbLb0EEEEDaSL_SM_EUlSL_E_NS1_11comp_targetILNS1_3genE2ELNS1_11target_archE906ELNS1_3gpuE6ELNS1_3repE0EEENS1_30default_config_static_selectorELNS0_4arch9wavefront6targetE0EEEvT1_
                                        ; -- End function
	.section	.AMDGPU.csdata,"",@progbits
; Kernel info:
; codeLenInByte = 0
; NumSgprs: 0
; NumVgprs: 0
; ScratchSize: 0
; MemoryBound: 0
; FloatMode: 240
; IeeeMode: 1
; LDSByteSize: 0 bytes/workgroup (compile time only)
; SGPRBlocks: 0
; VGPRBlocks: 0
; NumSGPRsForWavesPerEU: 1
; NumVGPRsForWavesPerEU: 1
; Occupancy: 16
; WaveLimiterHint : 0
; COMPUTE_PGM_RSRC2:SCRATCH_EN: 0
; COMPUTE_PGM_RSRC2:USER_SGPR: 15
; COMPUTE_PGM_RSRC2:TRAP_HANDLER: 0
; COMPUTE_PGM_RSRC2:TGID_X_EN: 1
; COMPUTE_PGM_RSRC2:TGID_Y_EN: 0
; COMPUTE_PGM_RSRC2:TGID_Z_EN: 0
; COMPUTE_PGM_RSRC2:TIDIG_COMP_CNT: 0
	.section	.text._ZN7rocprim17ROCPRIM_400000_NS6detail17trampoline_kernelINS0_14default_configENS1_20scan_config_selectorIlEEZZNS1_9scan_implILNS1_25lookback_scan_determinismE0ELb0ELb0ES3_PlS8_lN6thrust23THRUST_200600_302600_NS4plusIvEElEEDaPvRmT3_T4_T5_mT6_P12ihipStream_tbENKUlT_T0_E_clISt17integral_constantIbLb1EESP_IbLb0EEEEDaSL_SM_EUlSL_E_NS1_11comp_targetILNS1_3genE10ELNS1_11target_archE1201ELNS1_3gpuE5ELNS1_3repE0EEENS1_30default_config_static_selectorELNS0_4arch9wavefront6targetE0EEEvT1_,"axG",@progbits,_ZN7rocprim17ROCPRIM_400000_NS6detail17trampoline_kernelINS0_14default_configENS1_20scan_config_selectorIlEEZZNS1_9scan_implILNS1_25lookback_scan_determinismE0ELb0ELb0ES3_PlS8_lN6thrust23THRUST_200600_302600_NS4plusIvEElEEDaPvRmT3_T4_T5_mT6_P12ihipStream_tbENKUlT_T0_E_clISt17integral_constantIbLb1EESP_IbLb0EEEEDaSL_SM_EUlSL_E_NS1_11comp_targetILNS1_3genE10ELNS1_11target_archE1201ELNS1_3gpuE5ELNS1_3repE0EEENS1_30default_config_static_selectorELNS0_4arch9wavefront6targetE0EEEvT1_,comdat
	.protected	_ZN7rocprim17ROCPRIM_400000_NS6detail17trampoline_kernelINS0_14default_configENS1_20scan_config_selectorIlEEZZNS1_9scan_implILNS1_25lookback_scan_determinismE0ELb0ELb0ES3_PlS8_lN6thrust23THRUST_200600_302600_NS4plusIvEElEEDaPvRmT3_T4_T5_mT6_P12ihipStream_tbENKUlT_T0_E_clISt17integral_constantIbLb1EESP_IbLb0EEEEDaSL_SM_EUlSL_E_NS1_11comp_targetILNS1_3genE10ELNS1_11target_archE1201ELNS1_3gpuE5ELNS1_3repE0EEENS1_30default_config_static_selectorELNS0_4arch9wavefront6targetE0EEEvT1_ ; -- Begin function _ZN7rocprim17ROCPRIM_400000_NS6detail17trampoline_kernelINS0_14default_configENS1_20scan_config_selectorIlEEZZNS1_9scan_implILNS1_25lookback_scan_determinismE0ELb0ELb0ES3_PlS8_lN6thrust23THRUST_200600_302600_NS4plusIvEElEEDaPvRmT3_T4_T5_mT6_P12ihipStream_tbENKUlT_T0_E_clISt17integral_constantIbLb1EESP_IbLb0EEEEDaSL_SM_EUlSL_E_NS1_11comp_targetILNS1_3genE10ELNS1_11target_archE1201ELNS1_3gpuE5ELNS1_3repE0EEENS1_30default_config_static_selectorELNS0_4arch9wavefront6targetE0EEEvT1_
	.globl	_ZN7rocprim17ROCPRIM_400000_NS6detail17trampoline_kernelINS0_14default_configENS1_20scan_config_selectorIlEEZZNS1_9scan_implILNS1_25lookback_scan_determinismE0ELb0ELb0ES3_PlS8_lN6thrust23THRUST_200600_302600_NS4plusIvEElEEDaPvRmT3_T4_T5_mT6_P12ihipStream_tbENKUlT_T0_E_clISt17integral_constantIbLb1EESP_IbLb0EEEEDaSL_SM_EUlSL_E_NS1_11comp_targetILNS1_3genE10ELNS1_11target_archE1201ELNS1_3gpuE5ELNS1_3repE0EEENS1_30default_config_static_selectorELNS0_4arch9wavefront6targetE0EEEvT1_
	.p2align	8
	.type	_ZN7rocprim17ROCPRIM_400000_NS6detail17trampoline_kernelINS0_14default_configENS1_20scan_config_selectorIlEEZZNS1_9scan_implILNS1_25lookback_scan_determinismE0ELb0ELb0ES3_PlS8_lN6thrust23THRUST_200600_302600_NS4plusIvEElEEDaPvRmT3_T4_T5_mT6_P12ihipStream_tbENKUlT_T0_E_clISt17integral_constantIbLb1EESP_IbLb0EEEEDaSL_SM_EUlSL_E_NS1_11comp_targetILNS1_3genE10ELNS1_11target_archE1201ELNS1_3gpuE5ELNS1_3repE0EEENS1_30default_config_static_selectorELNS0_4arch9wavefront6targetE0EEEvT1_,@function
_ZN7rocprim17ROCPRIM_400000_NS6detail17trampoline_kernelINS0_14default_configENS1_20scan_config_selectorIlEEZZNS1_9scan_implILNS1_25lookback_scan_determinismE0ELb0ELb0ES3_PlS8_lN6thrust23THRUST_200600_302600_NS4plusIvEElEEDaPvRmT3_T4_T5_mT6_P12ihipStream_tbENKUlT_T0_E_clISt17integral_constantIbLb1EESP_IbLb0EEEEDaSL_SM_EUlSL_E_NS1_11comp_targetILNS1_3genE10ELNS1_11target_archE1201ELNS1_3gpuE5ELNS1_3repE0EEENS1_30default_config_static_selectorELNS0_4arch9wavefront6targetE0EEEvT1_: ; @_ZN7rocprim17ROCPRIM_400000_NS6detail17trampoline_kernelINS0_14default_configENS1_20scan_config_selectorIlEEZZNS1_9scan_implILNS1_25lookback_scan_determinismE0ELb0ELb0ES3_PlS8_lN6thrust23THRUST_200600_302600_NS4plusIvEElEEDaPvRmT3_T4_T5_mT6_P12ihipStream_tbENKUlT_T0_E_clISt17integral_constantIbLb1EESP_IbLb0EEEEDaSL_SM_EUlSL_E_NS1_11comp_targetILNS1_3genE10ELNS1_11target_archE1201ELNS1_3gpuE5ELNS1_3repE0EEENS1_30default_config_static_selectorELNS0_4arch9wavefront6targetE0EEEvT1_
; %bb.0:
	.section	.rodata,"a",@progbits
	.p2align	6, 0x0
	.amdhsa_kernel _ZN7rocprim17ROCPRIM_400000_NS6detail17trampoline_kernelINS0_14default_configENS1_20scan_config_selectorIlEEZZNS1_9scan_implILNS1_25lookback_scan_determinismE0ELb0ELb0ES3_PlS8_lN6thrust23THRUST_200600_302600_NS4plusIvEElEEDaPvRmT3_T4_T5_mT6_P12ihipStream_tbENKUlT_T0_E_clISt17integral_constantIbLb1EESP_IbLb0EEEEDaSL_SM_EUlSL_E_NS1_11comp_targetILNS1_3genE10ELNS1_11target_archE1201ELNS1_3gpuE5ELNS1_3repE0EEENS1_30default_config_static_selectorELNS0_4arch9wavefront6targetE0EEEvT1_
		.amdhsa_group_segment_fixed_size 0
		.amdhsa_private_segment_fixed_size 0
		.amdhsa_kernarg_size 104
		.amdhsa_user_sgpr_count 15
		.amdhsa_user_sgpr_dispatch_ptr 0
		.amdhsa_user_sgpr_queue_ptr 0
		.amdhsa_user_sgpr_kernarg_segment_ptr 1
		.amdhsa_user_sgpr_dispatch_id 0
		.amdhsa_user_sgpr_private_segment_size 0
		.amdhsa_wavefront_size32 1
		.amdhsa_uses_dynamic_stack 0
		.amdhsa_enable_private_segment 0
		.amdhsa_system_sgpr_workgroup_id_x 1
		.amdhsa_system_sgpr_workgroup_id_y 0
		.amdhsa_system_sgpr_workgroup_id_z 0
		.amdhsa_system_sgpr_workgroup_info 0
		.amdhsa_system_vgpr_workitem_id 0
		.amdhsa_next_free_vgpr 1
		.amdhsa_next_free_sgpr 1
		.amdhsa_reserve_vcc 0
		.amdhsa_float_round_mode_32 0
		.amdhsa_float_round_mode_16_64 0
		.amdhsa_float_denorm_mode_32 3
		.amdhsa_float_denorm_mode_16_64 3
		.amdhsa_dx10_clamp 1
		.amdhsa_ieee_mode 1
		.amdhsa_fp16_overflow 0
		.amdhsa_workgroup_processor_mode 1
		.amdhsa_memory_ordered 1
		.amdhsa_forward_progress 0
		.amdhsa_shared_vgpr_count 0
		.amdhsa_exception_fp_ieee_invalid_op 0
		.amdhsa_exception_fp_denorm_src 0
		.amdhsa_exception_fp_ieee_div_zero 0
		.amdhsa_exception_fp_ieee_overflow 0
		.amdhsa_exception_fp_ieee_underflow 0
		.amdhsa_exception_fp_ieee_inexact 0
		.amdhsa_exception_int_div_zero 0
	.end_amdhsa_kernel
	.section	.text._ZN7rocprim17ROCPRIM_400000_NS6detail17trampoline_kernelINS0_14default_configENS1_20scan_config_selectorIlEEZZNS1_9scan_implILNS1_25lookback_scan_determinismE0ELb0ELb0ES3_PlS8_lN6thrust23THRUST_200600_302600_NS4plusIvEElEEDaPvRmT3_T4_T5_mT6_P12ihipStream_tbENKUlT_T0_E_clISt17integral_constantIbLb1EESP_IbLb0EEEEDaSL_SM_EUlSL_E_NS1_11comp_targetILNS1_3genE10ELNS1_11target_archE1201ELNS1_3gpuE5ELNS1_3repE0EEENS1_30default_config_static_selectorELNS0_4arch9wavefront6targetE0EEEvT1_,"axG",@progbits,_ZN7rocprim17ROCPRIM_400000_NS6detail17trampoline_kernelINS0_14default_configENS1_20scan_config_selectorIlEEZZNS1_9scan_implILNS1_25lookback_scan_determinismE0ELb0ELb0ES3_PlS8_lN6thrust23THRUST_200600_302600_NS4plusIvEElEEDaPvRmT3_T4_T5_mT6_P12ihipStream_tbENKUlT_T0_E_clISt17integral_constantIbLb1EESP_IbLb0EEEEDaSL_SM_EUlSL_E_NS1_11comp_targetILNS1_3genE10ELNS1_11target_archE1201ELNS1_3gpuE5ELNS1_3repE0EEENS1_30default_config_static_selectorELNS0_4arch9wavefront6targetE0EEEvT1_,comdat
.Lfunc_end127:
	.size	_ZN7rocprim17ROCPRIM_400000_NS6detail17trampoline_kernelINS0_14default_configENS1_20scan_config_selectorIlEEZZNS1_9scan_implILNS1_25lookback_scan_determinismE0ELb0ELb0ES3_PlS8_lN6thrust23THRUST_200600_302600_NS4plusIvEElEEDaPvRmT3_T4_T5_mT6_P12ihipStream_tbENKUlT_T0_E_clISt17integral_constantIbLb1EESP_IbLb0EEEEDaSL_SM_EUlSL_E_NS1_11comp_targetILNS1_3genE10ELNS1_11target_archE1201ELNS1_3gpuE5ELNS1_3repE0EEENS1_30default_config_static_selectorELNS0_4arch9wavefront6targetE0EEEvT1_, .Lfunc_end127-_ZN7rocprim17ROCPRIM_400000_NS6detail17trampoline_kernelINS0_14default_configENS1_20scan_config_selectorIlEEZZNS1_9scan_implILNS1_25lookback_scan_determinismE0ELb0ELb0ES3_PlS8_lN6thrust23THRUST_200600_302600_NS4plusIvEElEEDaPvRmT3_T4_T5_mT6_P12ihipStream_tbENKUlT_T0_E_clISt17integral_constantIbLb1EESP_IbLb0EEEEDaSL_SM_EUlSL_E_NS1_11comp_targetILNS1_3genE10ELNS1_11target_archE1201ELNS1_3gpuE5ELNS1_3repE0EEENS1_30default_config_static_selectorELNS0_4arch9wavefront6targetE0EEEvT1_
                                        ; -- End function
	.section	.AMDGPU.csdata,"",@progbits
; Kernel info:
; codeLenInByte = 0
; NumSgprs: 0
; NumVgprs: 0
; ScratchSize: 0
; MemoryBound: 0
; FloatMode: 240
; IeeeMode: 1
; LDSByteSize: 0 bytes/workgroup (compile time only)
; SGPRBlocks: 0
; VGPRBlocks: 0
; NumSGPRsForWavesPerEU: 1
; NumVGPRsForWavesPerEU: 1
; Occupancy: 16
; WaveLimiterHint : 0
; COMPUTE_PGM_RSRC2:SCRATCH_EN: 0
; COMPUTE_PGM_RSRC2:USER_SGPR: 15
; COMPUTE_PGM_RSRC2:TRAP_HANDLER: 0
; COMPUTE_PGM_RSRC2:TGID_X_EN: 1
; COMPUTE_PGM_RSRC2:TGID_Y_EN: 0
; COMPUTE_PGM_RSRC2:TGID_Z_EN: 0
; COMPUTE_PGM_RSRC2:TIDIG_COMP_CNT: 0
	.section	.text._ZN7rocprim17ROCPRIM_400000_NS6detail17trampoline_kernelINS0_14default_configENS1_20scan_config_selectorIlEEZZNS1_9scan_implILNS1_25lookback_scan_determinismE0ELb0ELb0ES3_PlS8_lN6thrust23THRUST_200600_302600_NS4plusIvEElEEDaPvRmT3_T4_T5_mT6_P12ihipStream_tbENKUlT_T0_E_clISt17integral_constantIbLb1EESP_IbLb0EEEEDaSL_SM_EUlSL_E_NS1_11comp_targetILNS1_3genE10ELNS1_11target_archE1200ELNS1_3gpuE4ELNS1_3repE0EEENS1_30default_config_static_selectorELNS0_4arch9wavefront6targetE0EEEvT1_,"axG",@progbits,_ZN7rocprim17ROCPRIM_400000_NS6detail17trampoline_kernelINS0_14default_configENS1_20scan_config_selectorIlEEZZNS1_9scan_implILNS1_25lookback_scan_determinismE0ELb0ELb0ES3_PlS8_lN6thrust23THRUST_200600_302600_NS4plusIvEElEEDaPvRmT3_T4_T5_mT6_P12ihipStream_tbENKUlT_T0_E_clISt17integral_constantIbLb1EESP_IbLb0EEEEDaSL_SM_EUlSL_E_NS1_11comp_targetILNS1_3genE10ELNS1_11target_archE1200ELNS1_3gpuE4ELNS1_3repE0EEENS1_30default_config_static_selectorELNS0_4arch9wavefront6targetE0EEEvT1_,comdat
	.protected	_ZN7rocprim17ROCPRIM_400000_NS6detail17trampoline_kernelINS0_14default_configENS1_20scan_config_selectorIlEEZZNS1_9scan_implILNS1_25lookback_scan_determinismE0ELb0ELb0ES3_PlS8_lN6thrust23THRUST_200600_302600_NS4plusIvEElEEDaPvRmT3_T4_T5_mT6_P12ihipStream_tbENKUlT_T0_E_clISt17integral_constantIbLb1EESP_IbLb0EEEEDaSL_SM_EUlSL_E_NS1_11comp_targetILNS1_3genE10ELNS1_11target_archE1200ELNS1_3gpuE4ELNS1_3repE0EEENS1_30default_config_static_selectorELNS0_4arch9wavefront6targetE0EEEvT1_ ; -- Begin function _ZN7rocprim17ROCPRIM_400000_NS6detail17trampoline_kernelINS0_14default_configENS1_20scan_config_selectorIlEEZZNS1_9scan_implILNS1_25lookback_scan_determinismE0ELb0ELb0ES3_PlS8_lN6thrust23THRUST_200600_302600_NS4plusIvEElEEDaPvRmT3_T4_T5_mT6_P12ihipStream_tbENKUlT_T0_E_clISt17integral_constantIbLb1EESP_IbLb0EEEEDaSL_SM_EUlSL_E_NS1_11comp_targetILNS1_3genE10ELNS1_11target_archE1200ELNS1_3gpuE4ELNS1_3repE0EEENS1_30default_config_static_selectorELNS0_4arch9wavefront6targetE0EEEvT1_
	.globl	_ZN7rocprim17ROCPRIM_400000_NS6detail17trampoline_kernelINS0_14default_configENS1_20scan_config_selectorIlEEZZNS1_9scan_implILNS1_25lookback_scan_determinismE0ELb0ELb0ES3_PlS8_lN6thrust23THRUST_200600_302600_NS4plusIvEElEEDaPvRmT3_T4_T5_mT6_P12ihipStream_tbENKUlT_T0_E_clISt17integral_constantIbLb1EESP_IbLb0EEEEDaSL_SM_EUlSL_E_NS1_11comp_targetILNS1_3genE10ELNS1_11target_archE1200ELNS1_3gpuE4ELNS1_3repE0EEENS1_30default_config_static_selectorELNS0_4arch9wavefront6targetE0EEEvT1_
	.p2align	8
	.type	_ZN7rocprim17ROCPRIM_400000_NS6detail17trampoline_kernelINS0_14default_configENS1_20scan_config_selectorIlEEZZNS1_9scan_implILNS1_25lookback_scan_determinismE0ELb0ELb0ES3_PlS8_lN6thrust23THRUST_200600_302600_NS4plusIvEElEEDaPvRmT3_T4_T5_mT6_P12ihipStream_tbENKUlT_T0_E_clISt17integral_constantIbLb1EESP_IbLb0EEEEDaSL_SM_EUlSL_E_NS1_11comp_targetILNS1_3genE10ELNS1_11target_archE1200ELNS1_3gpuE4ELNS1_3repE0EEENS1_30default_config_static_selectorELNS0_4arch9wavefront6targetE0EEEvT1_,@function
_ZN7rocprim17ROCPRIM_400000_NS6detail17trampoline_kernelINS0_14default_configENS1_20scan_config_selectorIlEEZZNS1_9scan_implILNS1_25lookback_scan_determinismE0ELb0ELb0ES3_PlS8_lN6thrust23THRUST_200600_302600_NS4plusIvEElEEDaPvRmT3_T4_T5_mT6_P12ihipStream_tbENKUlT_T0_E_clISt17integral_constantIbLb1EESP_IbLb0EEEEDaSL_SM_EUlSL_E_NS1_11comp_targetILNS1_3genE10ELNS1_11target_archE1200ELNS1_3gpuE4ELNS1_3repE0EEENS1_30default_config_static_selectorELNS0_4arch9wavefront6targetE0EEEvT1_: ; @_ZN7rocprim17ROCPRIM_400000_NS6detail17trampoline_kernelINS0_14default_configENS1_20scan_config_selectorIlEEZZNS1_9scan_implILNS1_25lookback_scan_determinismE0ELb0ELb0ES3_PlS8_lN6thrust23THRUST_200600_302600_NS4plusIvEElEEDaPvRmT3_T4_T5_mT6_P12ihipStream_tbENKUlT_T0_E_clISt17integral_constantIbLb1EESP_IbLb0EEEEDaSL_SM_EUlSL_E_NS1_11comp_targetILNS1_3genE10ELNS1_11target_archE1200ELNS1_3gpuE4ELNS1_3repE0EEENS1_30default_config_static_selectorELNS0_4arch9wavefront6targetE0EEEvT1_
; %bb.0:
	.section	.rodata,"a",@progbits
	.p2align	6, 0x0
	.amdhsa_kernel _ZN7rocprim17ROCPRIM_400000_NS6detail17trampoline_kernelINS0_14default_configENS1_20scan_config_selectorIlEEZZNS1_9scan_implILNS1_25lookback_scan_determinismE0ELb0ELb0ES3_PlS8_lN6thrust23THRUST_200600_302600_NS4plusIvEElEEDaPvRmT3_T4_T5_mT6_P12ihipStream_tbENKUlT_T0_E_clISt17integral_constantIbLb1EESP_IbLb0EEEEDaSL_SM_EUlSL_E_NS1_11comp_targetILNS1_3genE10ELNS1_11target_archE1200ELNS1_3gpuE4ELNS1_3repE0EEENS1_30default_config_static_selectorELNS0_4arch9wavefront6targetE0EEEvT1_
		.amdhsa_group_segment_fixed_size 0
		.amdhsa_private_segment_fixed_size 0
		.amdhsa_kernarg_size 104
		.amdhsa_user_sgpr_count 15
		.amdhsa_user_sgpr_dispatch_ptr 0
		.amdhsa_user_sgpr_queue_ptr 0
		.amdhsa_user_sgpr_kernarg_segment_ptr 1
		.amdhsa_user_sgpr_dispatch_id 0
		.amdhsa_user_sgpr_private_segment_size 0
		.amdhsa_wavefront_size32 1
		.amdhsa_uses_dynamic_stack 0
		.amdhsa_enable_private_segment 0
		.amdhsa_system_sgpr_workgroup_id_x 1
		.amdhsa_system_sgpr_workgroup_id_y 0
		.amdhsa_system_sgpr_workgroup_id_z 0
		.amdhsa_system_sgpr_workgroup_info 0
		.amdhsa_system_vgpr_workitem_id 0
		.amdhsa_next_free_vgpr 1
		.amdhsa_next_free_sgpr 1
		.amdhsa_reserve_vcc 0
		.amdhsa_float_round_mode_32 0
		.amdhsa_float_round_mode_16_64 0
		.amdhsa_float_denorm_mode_32 3
		.amdhsa_float_denorm_mode_16_64 3
		.amdhsa_dx10_clamp 1
		.amdhsa_ieee_mode 1
		.amdhsa_fp16_overflow 0
		.amdhsa_workgroup_processor_mode 1
		.amdhsa_memory_ordered 1
		.amdhsa_forward_progress 0
		.amdhsa_shared_vgpr_count 0
		.amdhsa_exception_fp_ieee_invalid_op 0
		.amdhsa_exception_fp_denorm_src 0
		.amdhsa_exception_fp_ieee_div_zero 0
		.amdhsa_exception_fp_ieee_overflow 0
		.amdhsa_exception_fp_ieee_underflow 0
		.amdhsa_exception_fp_ieee_inexact 0
		.amdhsa_exception_int_div_zero 0
	.end_amdhsa_kernel
	.section	.text._ZN7rocprim17ROCPRIM_400000_NS6detail17trampoline_kernelINS0_14default_configENS1_20scan_config_selectorIlEEZZNS1_9scan_implILNS1_25lookback_scan_determinismE0ELb0ELb0ES3_PlS8_lN6thrust23THRUST_200600_302600_NS4plusIvEElEEDaPvRmT3_T4_T5_mT6_P12ihipStream_tbENKUlT_T0_E_clISt17integral_constantIbLb1EESP_IbLb0EEEEDaSL_SM_EUlSL_E_NS1_11comp_targetILNS1_3genE10ELNS1_11target_archE1200ELNS1_3gpuE4ELNS1_3repE0EEENS1_30default_config_static_selectorELNS0_4arch9wavefront6targetE0EEEvT1_,"axG",@progbits,_ZN7rocprim17ROCPRIM_400000_NS6detail17trampoline_kernelINS0_14default_configENS1_20scan_config_selectorIlEEZZNS1_9scan_implILNS1_25lookback_scan_determinismE0ELb0ELb0ES3_PlS8_lN6thrust23THRUST_200600_302600_NS4plusIvEElEEDaPvRmT3_T4_T5_mT6_P12ihipStream_tbENKUlT_T0_E_clISt17integral_constantIbLb1EESP_IbLb0EEEEDaSL_SM_EUlSL_E_NS1_11comp_targetILNS1_3genE10ELNS1_11target_archE1200ELNS1_3gpuE4ELNS1_3repE0EEENS1_30default_config_static_selectorELNS0_4arch9wavefront6targetE0EEEvT1_,comdat
.Lfunc_end128:
	.size	_ZN7rocprim17ROCPRIM_400000_NS6detail17trampoline_kernelINS0_14default_configENS1_20scan_config_selectorIlEEZZNS1_9scan_implILNS1_25lookback_scan_determinismE0ELb0ELb0ES3_PlS8_lN6thrust23THRUST_200600_302600_NS4plusIvEElEEDaPvRmT3_T4_T5_mT6_P12ihipStream_tbENKUlT_T0_E_clISt17integral_constantIbLb1EESP_IbLb0EEEEDaSL_SM_EUlSL_E_NS1_11comp_targetILNS1_3genE10ELNS1_11target_archE1200ELNS1_3gpuE4ELNS1_3repE0EEENS1_30default_config_static_selectorELNS0_4arch9wavefront6targetE0EEEvT1_, .Lfunc_end128-_ZN7rocprim17ROCPRIM_400000_NS6detail17trampoline_kernelINS0_14default_configENS1_20scan_config_selectorIlEEZZNS1_9scan_implILNS1_25lookback_scan_determinismE0ELb0ELb0ES3_PlS8_lN6thrust23THRUST_200600_302600_NS4plusIvEElEEDaPvRmT3_T4_T5_mT6_P12ihipStream_tbENKUlT_T0_E_clISt17integral_constantIbLb1EESP_IbLb0EEEEDaSL_SM_EUlSL_E_NS1_11comp_targetILNS1_3genE10ELNS1_11target_archE1200ELNS1_3gpuE4ELNS1_3repE0EEENS1_30default_config_static_selectorELNS0_4arch9wavefront6targetE0EEEvT1_
                                        ; -- End function
	.section	.AMDGPU.csdata,"",@progbits
; Kernel info:
; codeLenInByte = 0
; NumSgprs: 0
; NumVgprs: 0
; ScratchSize: 0
; MemoryBound: 0
; FloatMode: 240
; IeeeMode: 1
; LDSByteSize: 0 bytes/workgroup (compile time only)
; SGPRBlocks: 0
; VGPRBlocks: 0
; NumSGPRsForWavesPerEU: 1
; NumVGPRsForWavesPerEU: 1
; Occupancy: 16
; WaveLimiterHint : 0
; COMPUTE_PGM_RSRC2:SCRATCH_EN: 0
; COMPUTE_PGM_RSRC2:USER_SGPR: 15
; COMPUTE_PGM_RSRC2:TRAP_HANDLER: 0
; COMPUTE_PGM_RSRC2:TGID_X_EN: 1
; COMPUTE_PGM_RSRC2:TGID_Y_EN: 0
; COMPUTE_PGM_RSRC2:TGID_Z_EN: 0
; COMPUTE_PGM_RSRC2:TIDIG_COMP_CNT: 0
	.section	.text._ZN7rocprim17ROCPRIM_400000_NS6detail17trampoline_kernelINS0_14default_configENS1_20scan_config_selectorIlEEZZNS1_9scan_implILNS1_25lookback_scan_determinismE0ELb0ELb0ES3_PlS8_lN6thrust23THRUST_200600_302600_NS4plusIvEElEEDaPvRmT3_T4_T5_mT6_P12ihipStream_tbENKUlT_T0_E_clISt17integral_constantIbLb1EESP_IbLb0EEEEDaSL_SM_EUlSL_E_NS1_11comp_targetILNS1_3genE9ELNS1_11target_archE1100ELNS1_3gpuE3ELNS1_3repE0EEENS1_30default_config_static_selectorELNS0_4arch9wavefront6targetE0EEEvT1_,"axG",@progbits,_ZN7rocprim17ROCPRIM_400000_NS6detail17trampoline_kernelINS0_14default_configENS1_20scan_config_selectorIlEEZZNS1_9scan_implILNS1_25lookback_scan_determinismE0ELb0ELb0ES3_PlS8_lN6thrust23THRUST_200600_302600_NS4plusIvEElEEDaPvRmT3_T4_T5_mT6_P12ihipStream_tbENKUlT_T0_E_clISt17integral_constantIbLb1EESP_IbLb0EEEEDaSL_SM_EUlSL_E_NS1_11comp_targetILNS1_3genE9ELNS1_11target_archE1100ELNS1_3gpuE3ELNS1_3repE0EEENS1_30default_config_static_selectorELNS0_4arch9wavefront6targetE0EEEvT1_,comdat
	.protected	_ZN7rocprim17ROCPRIM_400000_NS6detail17trampoline_kernelINS0_14default_configENS1_20scan_config_selectorIlEEZZNS1_9scan_implILNS1_25lookback_scan_determinismE0ELb0ELb0ES3_PlS8_lN6thrust23THRUST_200600_302600_NS4plusIvEElEEDaPvRmT3_T4_T5_mT6_P12ihipStream_tbENKUlT_T0_E_clISt17integral_constantIbLb1EESP_IbLb0EEEEDaSL_SM_EUlSL_E_NS1_11comp_targetILNS1_3genE9ELNS1_11target_archE1100ELNS1_3gpuE3ELNS1_3repE0EEENS1_30default_config_static_selectorELNS0_4arch9wavefront6targetE0EEEvT1_ ; -- Begin function _ZN7rocprim17ROCPRIM_400000_NS6detail17trampoline_kernelINS0_14default_configENS1_20scan_config_selectorIlEEZZNS1_9scan_implILNS1_25lookback_scan_determinismE0ELb0ELb0ES3_PlS8_lN6thrust23THRUST_200600_302600_NS4plusIvEElEEDaPvRmT3_T4_T5_mT6_P12ihipStream_tbENKUlT_T0_E_clISt17integral_constantIbLb1EESP_IbLb0EEEEDaSL_SM_EUlSL_E_NS1_11comp_targetILNS1_3genE9ELNS1_11target_archE1100ELNS1_3gpuE3ELNS1_3repE0EEENS1_30default_config_static_selectorELNS0_4arch9wavefront6targetE0EEEvT1_
	.globl	_ZN7rocprim17ROCPRIM_400000_NS6detail17trampoline_kernelINS0_14default_configENS1_20scan_config_selectorIlEEZZNS1_9scan_implILNS1_25lookback_scan_determinismE0ELb0ELb0ES3_PlS8_lN6thrust23THRUST_200600_302600_NS4plusIvEElEEDaPvRmT3_T4_T5_mT6_P12ihipStream_tbENKUlT_T0_E_clISt17integral_constantIbLb1EESP_IbLb0EEEEDaSL_SM_EUlSL_E_NS1_11comp_targetILNS1_3genE9ELNS1_11target_archE1100ELNS1_3gpuE3ELNS1_3repE0EEENS1_30default_config_static_selectorELNS0_4arch9wavefront6targetE0EEEvT1_
	.p2align	8
	.type	_ZN7rocprim17ROCPRIM_400000_NS6detail17trampoline_kernelINS0_14default_configENS1_20scan_config_selectorIlEEZZNS1_9scan_implILNS1_25lookback_scan_determinismE0ELb0ELb0ES3_PlS8_lN6thrust23THRUST_200600_302600_NS4plusIvEElEEDaPvRmT3_T4_T5_mT6_P12ihipStream_tbENKUlT_T0_E_clISt17integral_constantIbLb1EESP_IbLb0EEEEDaSL_SM_EUlSL_E_NS1_11comp_targetILNS1_3genE9ELNS1_11target_archE1100ELNS1_3gpuE3ELNS1_3repE0EEENS1_30default_config_static_selectorELNS0_4arch9wavefront6targetE0EEEvT1_,@function
_ZN7rocprim17ROCPRIM_400000_NS6detail17trampoline_kernelINS0_14default_configENS1_20scan_config_selectorIlEEZZNS1_9scan_implILNS1_25lookback_scan_determinismE0ELb0ELb0ES3_PlS8_lN6thrust23THRUST_200600_302600_NS4plusIvEElEEDaPvRmT3_T4_T5_mT6_P12ihipStream_tbENKUlT_T0_E_clISt17integral_constantIbLb1EESP_IbLb0EEEEDaSL_SM_EUlSL_E_NS1_11comp_targetILNS1_3genE9ELNS1_11target_archE1100ELNS1_3gpuE3ELNS1_3repE0EEENS1_30default_config_static_selectorELNS0_4arch9wavefront6targetE0EEEvT1_: ; @_ZN7rocprim17ROCPRIM_400000_NS6detail17trampoline_kernelINS0_14default_configENS1_20scan_config_selectorIlEEZZNS1_9scan_implILNS1_25lookback_scan_determinismE0ELb0ELb0ES3_PlS8_lN6thrust23THRUST_200600_302600_NS4plusIvEElEEDaPvRmT3_T4_T5_mT6_P12ihipStream_tbENKUlT_T0_E_clISt17integral_constantIbLb1EESP_IbLb0EEEEDaSL_SM_EUlSL_E_NS1_11comp_targetILNS1_3genE9ELNS1_11target_archE1100ELNS1_3gpuE3ELNS1_3repE0EEENS1_30default_config_static_selectorELNS0_4arch9wavefront6targetE0EEEvT1_
; %bb.0:
	s_clause 0x1
	s_load_b256 s[16:23], s[0:1], 0x0
	s_load_b32 s2, s[0:1], 0x38
	s_mov_b32 s3, 0
	v_lshlrev_b32_e32 v94, 3, v0
	v_lshrrev_b32_e32 v35, 2, v0
	v_or_b32_e32 v93, 0x100, v0
	v_or_b32_e32 v92, 0x200, v0
	;; [unrolled: 1-line block ×15, first 2 shown]
	s_waitcnt lgkmcnt(0)
	s_lshl_b64 s[12:13], s[18:19], 3
	s_delay_alu instid0(SALU_CYCLE_1) | instskip(SKIP_4) | instid1(SALU_CYCLE_1)
	s_add_u32 s4, s16, s12
	s_addc_u32 s5, s17, s13
	s_add_i32 s6, s2, -1
	s_lshl_b32 s2, s15, 12
	s_lshl_b32 s7, s6, 12
	s_sub_u32 s14, s22, s7
	s_subb_u32 s22, s23, 0
	s_cmp_lg_u32 s15, s6
	s_cselect_b32 s23, -1, 0
	s_lshl_b64 s[16:17], s[2:3], 3
	s_mov_b32 s3, -1
	s_add_u32 s4, s4, s16
	s_addc_u32 s5, s5, s17
	s_and_b32 vcc_lo, exec_lo, s23
	s_cbranch_vccz .LBB129_2
; %bb.1:
	v_add_co_u32 v27, s2, s4, v94
	s_delay_alu instid0(VALU_DEP_1)
	v_add_co_ci_u32_e64 v28, null, s5, 0, s2
	s_clause 0x1
	global_load_b64 v[1:2], v94, s[4:5]
	global_load_b64 v[3:4], v94, s[4:5] offset:2048
	v_add_co_u32 v5, vcc_lo, 0x1000, v27
	v_add_co_ci_u32_e32 v6, vcc_lo, 0, v28, vcc_lo
	v_add_co_u32 v7, vcc_lo, v27, 0x2000
	v_add_co_ci_u32_e32 v8, vcc_lo, 0, v28, vcc_lo
	;; [unrolled: 2-line block ×10, first 2 shown]
	s_clause 0xd
	global_load_b64 v[17:18], v[7:8], off offset:-4096
	global_load_b64 v[7:8], v[7:8], off
	global_load_b64 v[19:20], v[13:14], off offset:-4096
	global_load_b64 v[13:14], v[13:14], off
	global_load_b64 v[5:6], v[5:6], off offset:2048
	global_load_b64 v[9:10], v[9:10], off offset:2048
	;; [unrolled: 1-line block ×4, first 2 shown]
	global_load_b64 v[29:30], v[23:24], off offset:-4096
	global_load_b64 v[21:22], v[21:22], off offset:2048
	global_load_b64 v[23:24], v[23:24], off
	global_load_b64 v[25:26], v[25:26], off offset:2048
	global_load_b64 v[31:32], v[27:28], off
	global_load_b64 v[27:28], v[27:28], off offset:2048
	v_lshrrev_b32_e32 v34, 2, v93
	v_lshrrev_b32_e32 v36, 2, v92
	;; [unrolled: 1-line block ×4, first 2 shown]
	v_and_b32_e32 v33, 56, v35
	v_lshrrev_b32_e32 v39, 2, v89
	v_lshrrev_b32_e32 v40, 2, v88
	;; [unrolled: 1-line block ×11, first 2 shown]
	v_and_b32_e32 v34, 0x78, v34
	v_and_b32_e32 v36, 0xb8, v36
	;; [unrolled: 1-line block ×4, first 2 shown]
	v_add_nc_u32_e32 v33, v33, v94
	v_and_b32_e32 v39, 0x178, v39
	v_and_b32_e32 v40, 0x1b8, v40
	;; [unrolled: 1-line block ×11, first 2 shown]
	v_add_nc_u32_e32 v34, v34, v94
	v_add_nc_u32_e32 v36, v36, v94
	;; [unrolled: 1-line block ×4, first 2 shown]
	s_mov_b32 s3, 0
	v_add_nc_u32_e32 v39, v39, v94
	v_add_nc_u32_e32 v40, v40, v94
	;; [unrolled: 1-line block ×11, first 2 shown]
	s_waitcnt vmcnt(15)
	ds_store_b64 v33, v[1:2]
	s_waitcnt vmcnt(14)
	ds_store_b64 v34, v[3:4] offset:2048
	s_waitcnt vmcnt(13)
	ds_store_b64 v36, v[17:18] offset:4096
	;; [unrolled: 2-line block ×3, first 2 shown]
	ds_store_b64 v38, v[7:8] offset:8192
	s_waitcnt vmcnt(8)
	ds_store_b64 v39, v[9:10] offset:10240
	ds_store_b64 v40, v[19:20] offset:12288
	s_waitcnt vmcnt(7)
	ds_store_b64 v41, v[11:12] offset:14336
	;; [unrolled: 3-line block ×3, first 2 shown]
	s_waitcnt vmcnt(5)
	ds_store_b64 v44, v[29:30] offset:20480
	s_waitcnt vmcnt(4)
	ds_store_b64 v45, v[21:22] offset:22528
	;; [unrolled: 2-line block ×6, first 2 shown]
	s_waitcnt lgkmcnt(0)
	s_barrier
.LBB129_2:
	s_load_b64 s[18:19], s[0:1], 0x30
	v_cmp_gt_u32_e64 s2, s14, v0
	s_and_not1_b32 vcc_lo, exec_lo, s3
	s_cbranch_vccnz .LBB129_21
; %bb.3:
	s_load_b64 s[36:37], s[4:5], 0x0
	s_waitcnt lgkmcnt(0)
	s_mov_b32 s38, s36
	s_mov_b32 s39, s37
	s_mov_b32 s40, s36
	s_mov_b32 s41, s37
	s_mov_b32 s42, s36
	s_mov_b32 s43, s37
	s_mov_b32 s44, s36
	s_mov_b32 s45, s37
	s_mov_b32 s46, s36
	s_mov_b32 s47, s37
	s_mov_b32 s48, s36
	s_mov_b32 s49, s37
	s_mov_b32 s50, s36
	s_mov_b32 s51, s37
	s_mov_b32 s52, s36
	s_mov_b32 s53, s37
	s_mov_b32 s54, s36
	s_mov_b32 s55, s37
	s_mov_b32 s56, s36
	s_mov_b32 s57, s37
	s_mov_b32 s58, s36
	s_mov_b32 s59, s37
	s_mov_b32 s60, s36
	s_mov_b32 s61, s37
	s_mov_b32 s62, s36
	s_mov_b32 s63, s37
	s_mov_b32 s64, s36
	s_mov_b32 s65, s37
	s_mov_b32 s66, s36
	s_mov_b32 s67, s37
	v_dual_mov_b32 v1, s36 :: v_dual_mov_b32 v2, s37
	v_dual_mov_b32 v3, s38 :: v_dual_mov_b32 v4, s39
	;; [unrolled: 1-line block ×17, first 2 shown]
	s_and_saveexec_b32 s3, s2
	s_cbranch_execnz .LBB129_119
; %bb.4:
	s_or_b32 exec_lo, exec_lo, s3
	s_delay_alu instid0(SALU_CYCLE_1)
	s_mov_b32 s2, exec_lo
	v_cmpx_gt_u32_e64 s14, v93
	s_cbranch_execnz .LBB129_120
.LBB129_5:
	s_or_b32 exec_lo, exec_lo, s2
	s_delay_alu instid0(SALU_CYCLE_1)
	s_mov_b32 s2, exec_lo
	v_cmpx_gt_u32_e64 s14, v92
	s_cbranch_execnz .LBB129_121
.LBB129_6:
	s_or_b32 exec_lo, exec_lo, s2
	s_delay_alu instid0(SALU_CYCLE_1)
	s_mov_b32 s2, exec_lo
	v_cmpx_gt_u32_e64 s14, v91
	s_cbranch_execnz .LBB129_122
.LBB129_7:
	s_or_b32 exec_lo, exec_lo, s2
	s_delay_alu instid0(SALU_CYCLE_1)
	s_mov_b32 s2, exec_lo
	v_cmpx_gt_u32_e64 s14, v90
	s_cbranch_execnz .LBB129_123
.LBB129_8:
	s_or_b32 exec_lo, exec_lo, s2
	s_delay_alu instid0(SALU_CYCLE_1)
	s_mov_b32 s2, exec_lo
	v_cmpx_gt_u32_e64 s14, v89
	s_cbranch_execnz .LBB129_124
.LBB129_9:
	s_or_b32 exec_lo, exec_lo, s2
	s_delay_alu instid0(SALU_CYCLE_1)
	s_mov_b32 s2, exec_lo
	v_cmpx_gt_u32_e64 s14, v88
	s_cbranch_execnz .LBB129_125
.LBB129_10:
	s_or_b32 exec_lo, exec_lo, s2
	s_delay_alu instid0(SALU_CYCLE_1)
	s_mov_b32 s2, exec_lo
	v_cmpx_gt_u32_e64 s14, v87
	s_cbranch_execnz .LBB129_126
.LBB129_11:
	s_or_b32 exec_lo, exec_lo, s2
	s_delay_alu instid0(SALU_CYCLE_1)
	s_mov_b32 s2, exec_lo
	v_cmpx_gt_u32_e64 s14, v86
	s_cbranch_execnz .LBB129_127
.LBB129_12:
	s_or_b32 exec_lo, exec_lo, s2
	s_delay_alu instid0(SALU_CYCLE_1)
	s_mov_b32 s2, exec_lo
	v_cmpx_gt_u32_e64 s14, v85
	s_cbranch_execnz .LBB129_128
.LBB129_13:
	s_or_b32 exec_lo, exec_lo, s2
	s_delay_alu instid0(SALU_CYCLE_1)
	s_mov_b32 s2, exec_lo
	v_cmpx_gt_u32_e64 s14, v84
	s_cbranch_execnz .LBB129_129
.LBB129_14:
	s_or_b32 exec_lo, exec_lo, s2
	s_delay_alu instid0(SALU_CYCLE_1)
	s_mov_b32 s2, exec_lo
	v_cmpx_gt_u32_e64 s14, v83
	s_cbranch_execnz .LBB129_130
.LBB129_15:
	s_or_b32 exec_lo, exec_lo, s2
	s_delay_alu instid0(SALU_CYCLE_1)
	s_mov_b32 s2, exec_lo
	v_cmpx_gt_u32_e64 s14, v82
	s_cbranch_execnz .LBB129_131
.LBB129_16:
	s_or_b32 exec_lo, exec_lo, s2
	s_delay_alu instid0(SALU_CYCLE_1)
	s_mov_b32 s2, exec_lo
	v_cmpx_gt_u32_e64 s14, v81
	s_cbranch_execnz .LBB129_132
.LBB129_17:
	s_or_b32 exec_lo, exec_lo, s2
	s_delay_alu instid0(SALU_CYCLE_1)
	s_mov_b32 s2, exec_lo
	v_cmpx_gt_u32_e64 s14, v80
	s_cbranch_execnz .LBB129_133
.LBB129_18:
	s_or_b32 exec_lo, exec_lo, s2
	s_delay_alu instid0(SALU_CYCLE_1)
	s_mov_b32 s2, exec_lo
	v_cmpx_gt_u32_e64 s14, v79
	s_cbranch_execz .LBB129_20
.LBB129_19:
	v_lshlrev_b32_e32 v1, 3, v79
	global_load_b64 v[31:32], v1, s[4:5]
.LBB129_20:
	s_or_b32 exec_lo, exec_lo, s2
	v_lshrrev_b32_e32 v1, 2, v93
	v_lshrrev_b32_e32 v2, 2, v92
	;; [unrolled: 1-line block ×3, first 2 shown]
	v_and_b32_e32 v35, 56, v35
	v_lshrrev_b32_e32 v37, 2, v90
	v_and_b32_e32 v1, 0x78, v1
	v_and_b32_e32 v2, 0xf8, v2
	;; [unrolled: 1-line block ×3, first 2 shown]
	v_lshrrev_b32_e32 v38, 2, v89
	v_add_nc_u32_e32 v35, v35, v94
	v_add_nc_u32_e32 v1, v1, v94
	v_lshrrev_b32_e32 v39, 2, v88
	v_add_nc_u32_e32 v2, v2, v94
	v_lshrrev_b32_e32 v40, 2, v87
	v_add_nc_u32_e32 v36, v36, v94
	v_and_b32_e32 v37, 0x1f8, v37
	v_and_b32_e32 v38, 0x1f8, v38
	s_waitcnt vmcnt(0)
	ds_store_b64 v35, v[33:34]
	ds_store_b64 v1, v[3:4] offset:2048
	ds_store_b64 v2, v[5:6] offset:4096
	;; [unrolled: 1-line block ×3, first 2 shown]
	v_lshrrev_b32_e32 v5, 2, v86
	v_and_b32_e32 v3, 0x1f8, v39
	v_lshrrev_b32_e32 v6, 2, v85
	v_lshrrev_b32_e32 v7, 2, v84
	v_and_b32_e32 v4, 0x1f8, v40
	v_add_nc_u32_e32 v1, v37, v94
	v_add_nc_u32_e32 v2, v38, v94
	v_and_b32_e32 v5, 0x3f8, v5
	v_add_nc_u32_e32 v3, v3, v94
	v_and_b32_e32 v6, 0x3f8, v6
	v_and_b32_e32 v7, 0x3f8, v7
	v_add_nc_u32_e32 v4, v4, v94
	ds_store_b64 v1, v[9:10] offset:8192
	ds_store_b64 v2, v[11:12] offset:10240
	;; [unrolled: 1-line block ×4, first 2 shown]
	v_lshrrev_b32_e32 v4, 2, v83
	v_add_nc_u32_e32 v1, v5, v94
	v_lshrrev_b32_e32 v5, 2, v82
	v_add_nc_u32_e32 v2, v6, v94
	v_add_nc_u32_e32 v3, v7, v94
	v_lshrrev_b32_e32 v6, 2, v81
	v_lshrrev_b32_e32 v7, 2, v80
	;; [unrolled: 1-line block ×3, first 2 shown]
	v_and_b32_e32 v4, 0x3f8, v4
	v_and_b32_e32 v5, 0x3f8, v5
	;; [unrolled: 1-line block ×5, first 2 shown]
	v_add_nc_u32_e32 v4, v4, v94
	v_add_nc_u32_e32 v5, v5, v94
	v_add_nc_u32_e32 v6, v6, v94
	v_add_nc_u32_e32 v7, v7, v94
	v_add_nc_u32_e32 v8, v8, v94
	ds_store_b64 v1, v[17:18] offset:16384
	ds_store_b64 v2, v[19:20] offset:18432
	;; [unrolled: 1-line block ×8, first 2 shown]
	s_waitcnt lgkmcnt(0)
	s_barrier
.LBB129_21:
	v_lshlrev_b32_e32 v1, 4, v0
	v_lshrrev_b32_e32 v96, 1, v0
	s_waitcnt lgkmcnt(0)
	buffer_gl0_inv
	s_load_b256 s[4:11], s[0:1], 0x40
	v_lshrrev_b32_e32 v95, 5, v0
	v_cmp_gt_u32_e32 vcc_lo, 32, v0
	v_add_lshl_u32 v5, v96, v1, 3
	s_cmp_lg_u32 s15, 0
	ds_load_2addr_b64 v[1:4], v5 offset1:1
	ds_load_2addr_b64 v[29:32], v5 offset0:2 offset1:3
	ds_load_2addr_b64 v[25:28], v5 offset0:4 offset1:5
	ds_load_2addr_b64 v[21:24], v5 offset0:6 offset1:7
	ds_load_2addr_b64 v[17:20], v5 offset0:8 offset1:9
	ds_load_2addr_b64 v[13:16], v5 offset0:10 offset1:11
	ds_load_2addr_b64 v[9:12], v5 offset0:12 offset1:13
	ds_load_2addr_b64 v[5:8], v5 offset0:14 offset1:15
	s_waitcnt lgkmcnt(0)
	s_barrier
	buffer_gl0_inv
	s_cbranch_scc0 .LBB129_78
; %bb.22:
	v_add_co_u32 v33, s0, v3, v1
	s_delay_alu instid0(VALU_DEP_1) | instskip(SKIP_1) | instid1(VALU_DEP_3)
	v_add_co_ci_u32_e64 v34, s0, v4, v2, s0
	v_add_lshl_u32 v35, v95, v0, 3
	v_add_co_u32 v33, s0, v33, v29
	s_delay_alu instid0(VALU_DEP_1) | instskip(NEXT) | instid1(VALU_DEP_2)
	v_add_co_ci_u32_e64 v34, s0, v34, v30, s0
	v_add_co_u32 v33, s0, v33, v31
	s_delay_alu instid0(VALU_DEP_1) | instskip(NEXT) | instid1(VALU_DEP_2)
	v_add_co_ci_u32_e64 v34, s0, v34, v32, s0
	;; [unrolled: 3-line block ×13, first 2 shown]
	v_add_co_u32 v37, s0, v33, v7
	s_delay_alu instid0(VALU_DEP_1)
	v_add_co_ci_u32_e64 v38, s0, v34, v8, s0
	ds_store_b64 v35, v[37:38]
	s_waitcnt lgkmcnt(0)
	s_barrier
	buffer_gl0_inv
	s_and_saveexec_b32 s1, vcc_lo
	s_cbranch_execz .LBB129_32
; %bb.23:
	v_lshlrev_b32_e32 v33, 1, v0
	s_mov_b32 s2, exec_lo
	s_delay_alu instid0(VALU_DEP_1) | instskip(NEXT) | instid1(VALU_DEP_1)
	v_and_b32_e32 v33, 0x1f8, v33
	v_lshl_or_b32 v41, v0, 6, v33
	ds_load_2addr_b64 v[33:36], v41 offset1:1
	ds_load_2addr_b64 v[42:45], v41 offset0:2 offset1:3
	ds_load_2addr_b64 v[46:49], v41 offset0:4 offset1:5
	;; [unrolled: 1-line block ×3, first 2 shown]
	s_waitcnt lgkmcnt(3)
	v_add_co_u32 v35, s0, v35, v33
	s_delay_alu instid0(VALU_DEP_1) | instskip(SKIP_1) | instid1(VALU_DEP_2)
	v_add_co_ci_u32_e64 v36, s0, v36, v34, s0
	s_waitcnt lgkmcnt(2)
	v_add_co_u32 v35, s0, v35, v42
	s_delay_alu instid0(VALU_DEP_1) | instskip(SKIP_1) | instid1(VALU_DEP_3)
	v_add_co_ci_u32_e64 v36, s0, v36, v43, s0
	v_mbcnt_lo_u32_b32 v42, -1, 0
	v_add_co_u32 v35, s0, v35, v44
	s_delay_alu instid0(VALU_DEP_1) | instskip(NEXT) | instid1(VALU_DEP_3)
	v_add_co_ci_u32_e64 v36, s0, v36, v45, s0
	v_and_b32_e32 v43, 15, v42
	s_waitcnt lgkmcnt(1)
	s_delay_alu instid0(VALU_DEP_3) | instskip(NEXT) | instid1(VALU_DEP_1)
	v_add_co_u32 v35, s0, v35, v46
	v_add_co_ci_u32_e64 v36, s0, v36, v47, s0
	s_delay_alu instid0(VALU_DEP_2) | instskip(NEXT) | instid1(VALU_DEP_1)
	v_add_co_u32 v35, s0, v35, v48
	v_add_co_ci_u32_e64 v36, s0, v36, v49, s0
	s_waitcnt lgkmcnt(0)
	s_delay_alu instid0(VALU_DEP_2) | instskip(NEXT) | instid1(VALU_DEP_1)
	v_add_co_u32 v35, s0, v35, v50
	v_add_co_ci_u32_e64 v36, s0, v36, v51, s0
	s_delay_alu instid0(VALU_DEP_2) | instskip(NEXT) | instid1(VALU_DEP_1)
	v_add_co_u32 v35, s0, v35, v52
	v_add_co_ci_u32_e64 v36, s0, v36, v53, s0
	s_delay_alu instid0(VALU_DEP_2) | instskip(NEXT) | instid1(VALU_DEP_2)
	v_mov_b32_dpp v45, v35 row_shr:1 row_mask:0xf bank_mask:0xf
	v_mov_b32_e32 v40, v36
	v_mov_b32_dpp v44, v36 row_shr:1 row_mask:0xf bank_mask:0xf
	v_mov_b32_e32 v39, v35
	v_cmpx_ne_u32_e32 0, v43
; %bb.24:
	v_add_co_u32 v35, s0, v35, v45
	s_delay_alu instid0(VALU_DEP_1) | instskip(NEXT) | instid1(VALU_DEP_2)
	v_add_co_ci_u32_e64 v36, s0, 0, v36, s0
	v_add_co_u32 v39, s0, 0, v35
	s_delay_alu instid0(VALU_DEP_1) | instskip(NEXT) | instid1(VALU_DEP_1)
	v_add_co_ci_u32_e64 v40, s0, v44, v36, s0
	v_mov_b32_e32 v36, v40
; %bb.25:
	s_or_b32 exec_lo, exec_lo, s2
	v_mov_b32_dpp v45, v35 row_shr:2 row_mask:0xf bank_mask:0xf
	s_delay_alu instid0(VALU_DEP_2)
	v_mov_b32_dpp v44, v36 row_shr:2 row_mask:0xf bank_mask:0xf
	s_mov_b32 s2, exec_lo
	v_cmpx_lt_u32_e32 1, v43
; %bb.26:
	s_delay_alu instid0(VALU_DEP_3) | instskip(NEXT) | instid1(VALU_DEP_1)
	v_add_co_u32 v35, s0, v39, v45
	v_add_co_ci_u32_e64 v36, s0, 0, v40, s0
	s_delay_alu instid0(VALU_DEP_2) | instskip(NEXT) | instid1(VALU_DEP_1)
	v_add_co_u32 v39, s0, 0, v35
	v_add_co_ci_u32_e64 v40, s0, v44, v36, s0
	s_delay_alu instid0(VALU_DEP_1)
	v_mov_b32_e32 v36, v40
; %bb.27:
	s_or_b32 exec_lo, exec_lo, s2
	v_mov_b32_dpp v45, v35 row_shr:4 row_mask:0xf bank_mask:0xf
	s_delay_alu instid0(VALU_DEP_2)
	v_mov_b32_dpp v44, v36 row_shr:4 row_mask:0xf bank_mask:0xf
	s_mov_b32 s2, exec_lo
	v_cmpx_lt_u32_e32 3, v43
; %bb.28:
	s_delay_alu instid0(VALU_DEP_3) | instskip(NEXT) | instid1(VALU_DEP_1)
	v_add_co_u32 v35, s0, v39, v45
	v_add_co_ci_u32_e64 v36, s0, 0, v40, s0
	s_delay_alu instid0(VALU_DEP_2) | instskip(NEXT) | instid1(VALU_DEP_1)
	v_add_co_u32 v39, s0, 0, v35
	v_add_co_ci_u32_e64 v40, s0, v44, v36, s0
	s_delay_alu instid0(VALU_DEP_1)
	;; [unrolled: 16-line block ×3, first 2 shown]
	v_mov_b32_e32 v36, v40
; %bb.31:
	s_or_b32 exec_lo, exec_lo, s2
	ds_swizzle_b32 v43, v35 offset:swizzle(BROADCAST,32,15)
	ds_swizzle_b32 v44, v36 offset:swizzle(BROADCAST,32,15)
	v_add_nc_u32_e32 v45, -1, v42
	v_and_b32_e32 v46, 16, v42
	; wave barrier
	s_delay_alu instid0(VALU_DEP_2) | instskip(NEXT) | instid1(VALU_DEP_1)
	v_cmp_gt_i32_e64 s0, 0, v45
	v_cndmask_b32_e64 v42, v45, v42, s0
	s_delay_alu instid0(VALU_DEP_1) | instskip(SKIP_2) | instid1(VALU_DEP_1)
	v_lshlrev_b32_e32 v42, 2, v42
	s_waitcnt lgkmcnt(1)
	v_add_co_u32 v39, s0, v39, v43
	v_add_co_ci_u32_e64 v40, s0, 0, v40, s0
	v_cmp_eq_u32_e64 s0, 0, v46
	s_delay_alu instid0(VALU_DEP_1) | instskip(SKIP_1) | instid1(VALU_DEP_3)
	v_cndmask_b32_e64 v35, v39, v35, s0
	s_waitcnt lgkmcnt(0)
	v_add_nc_u32_e32 v39, v44, v40
	ds_bpermute_b32 v35, v42, v35
	v_cndmask_b32_e64 v36, v39, v36, s0
	ds_bpermute_b32 v36, v42, v36
	s_waitcnt lgkmcnt(1)
	v_add_co_u32 v33, s0, v33, v35
	s_delay_alu instid0(VALU_DEP_1) | instskip(NEXT) | instid1(VALU_DEP_2)
	v_add_co_ci_u32_e64 v34, s0, 0, v34, s0
	v_add_co_u32 v33, s0, v33, 0
	s_waitcnt lgkmcnt(0)
	s_delay_alu instid0(VALU_DEP_2) | instskip(SKIP_1) | instid1(VALU_DEP_1)
	v_add_co_ci_u32_e64 v34, s0, v34, v36, s0
	v_cmp_eq_u32_e64 s0, 0, v0
	v_cndmask_b32_e64 v47, v34, v38, s0
	v_cndmask_b32_e64 v46, v33, v37, s0
	ds_store_b64 v41, v[46:47]
	; wave barrier
	ds_load_2addr_b64 v[33:36], v41 offset0:1 offset1:2
	ds_load_2addr_b64 v[37:40], v41 offset0:3 offset1:4
	;; [unrolled: 1-line block ×3, first 2 shown]
	s_waitcnt lgkmcnt(2)
	v_add_co_u32 v33, s0, v33, v46
	s_delay_alu instid0(VALU_DEP_1) | instskip(SKIP_2) | instid1(VALU_DEP_1)
	v_add_co_ci_u32_e64 v34, s0, v34, v47, s0
	ds_load_b64 v[46:47], v41 offset:56
	v_add_co_u32 v35, s0, v35, v33
	v_add_co_ci_u32_e64 v36, s0, v36, v34, s0
	s_waitcnt lgkmcnt(2)
	s_delay_alu instid0(VALU_DEP_2) | instskip(NEXT) | instid1(VALU_DEP_1)
	v_add_co_u32 v37, s0, v37, v35
	v_add_co_ci_u32_e64 v38, s0, v38, v36, s0
	s_delay_alu instid0(VALU_DEP_2) | instskip(NEXT) | instid1(VALU_DEP_1)
	v_add_co_u32 v39, s0, v39, v37
	v_add_co_ci_u32_e64 v40, s0, v40, v38, s0
	s_waitcnt lgkmcnt(1)
	s_delay_alu instid0(VALU_DEP_2) | instskip(NEXT) | instid1(VALU_DEP_1)
	v_add_co_u32 v42, s0, v42, v39
	v_add_co_ci_u32_e64 v43, s0, v43, v40, s0
	s_delay_alu instid0(VALU_DEP_2) | instskip(NEXT) | instid1(VALU_DEP_1)
	v_add_co_u32 v44, s0, v44, v42
	v_add_co_ci_u32_e64 v45, s0, v45, v43, s0
	s_waitcnt lgkmcnt(0)
	s_delay_alu instid0(VALU_DEP_2) | instskip(NEXT) | instid1(VALU_DEP_1)
	v_add_co_u32 v46, s0, v46, v44
	v_add_co_ci_u32_e64 v47, s0, v47, v45, s0
	ds_store_2addr_b64 v41, v[33:34], v[35:36] offset0:1 offset1:2
	ds_store_2addr_b64 v41, v[37:38], v[39:40] offset0:3 offset1:4
	;; [unrolled: 1-line block ×3, first 2 shown]
	ds_store_b64 v41, v[46:47] offset:56
.LBB129_32:
	s_or_b32 exec_lo, exec_lo, s1
	v_mov_b32_e32 v39, 0
	v_cmp_eq_u32_e64 s0, 0, v0
	v_mov_b32_e32 v40, 0
	s_mov_b32 s2, exec_lo
	s_waitcnt lgkmcnt(0)
	s_barrier
	buffer_gl0_inv
	v_cmpx_ne_u32_e32 0, v0
	s_cbranch_execz .LBB129_34
; %bb.33:
	v_add_nc_u32_e32 v33, -1, v0
	s_delay_alu instid0(VALU_DEP_1) | instskip(NEXT) | instid1(VALU_DEP_1)
	v_lshrrev_b32_e32 v34, 5, v33
	v_add_lshl_u32 v33, v34, v33, 3
	ds_load_b64 v[39:40], v33
.LBB129_34:
	s_or_b32 exec_lo, exec_lo, s2
	s_and_saveexec_b32 s24, vcc_lo
	s_cbranch_execz .LBB129_77
; %bb.35:
	v_mov_b32_e32 v36, 0
	v_mbcnt_lo_u32_b32 v47, -1, 0
	s_mov_b32 s3, 0
	ds_load_b64 v[33:34], v36 offset:2096
	v_cmp_eq_u32_e64 s1, 0, v47
	s_delay_alu instid0(VALU_DEP_1)
	s_and_saveexec_b32 s25, s1
	s_cbranch_execz .LBB129_37
; %bb.36:
	s_add_i32 s2, s15, 32
	s_delay_alu instid0(SALU_CYCLE_1) | instskip(NEXT) | instid1(SALU_CYCLE_1)
	s_lshl_b64 s[26:27], s[2:3], 4
	s_add_u32 s26, s18, s26
	s_addc_u32 s27, s19, s27
	s_delay_alu instid0(SALU_CYCLE_1)
	v_dual_mov_b32 v35, 1 :: v_dual_mov_b32 v38, s27
	v_mov_b32_e32 v37, s26
	s_waitcnt lgkmcnt(0)
	;;#ASMSTART
	global_store_dwordx4 v[37:38], v[33:36] off	
s_waitcnt vmcnt(0)
	;;#ASMEND
.LBB129_37:
	s_or_b32 exec_lo, exec_lo, s25
	v_xad_u32 v41, v47, -1, s15
	s_mov_b32 s2, exec_lo
	s_delay_alu instid0(VALU_DEP_1) | instskip(NEXT) | instid1(VALU_DEP_1)
	v_add_nc_u32_e32 v35, 32, v41
	v_lshlrev_b64 v[35:36], 4, v[35:36]
	s_delay_alu instid0(VALU_DEP_1) | instskip(NEXT) | instid1(VALU_DEP_2)
	v_add_co_u32 v42, vcc_lo, s18, v35
	v_add_co_ci_u32_e32 v43, vcc_lo, s19, v36, vcc_lo
	;;#ASMSTART
	global_load_dwordx4 v[35:38], v[42:43] off glc	
s_waitcnt vmcnt(0)
	;;#ASMEND
	v_and_b32_e32 v38, 0xff, v36
	v_and_b32_e32 v44, 0xff00, v36
	v_or3_b32 v35, v35, 0, 0
	v_and_b32_e32 v45, 0xff000000, v36
	v_and_b32_e32 v36, 0xff0000, v36
	s_delay_alu instid0(VALU_DEP_4) | instskip(SKIP_2) | instid1(VALU_DEP_3)
	v_or3_b32 v38, 0, v38, v44
	v_and_b32_e32 v44, 0xff, v37
	v_or3_b32 v35, v35, 0, 0
	v_or3_b32 v36, v38, v36, v45
	s_delay_alu instid0(VALU_DEP_3)
	v_cmpx_eq_u16_e32 0, v44
	s_cbranch_execz .LBB129_43
; %bb.38:
	s_mov_b32 s25, 1
	.p2align	6
.LBB129_39:                             ; =>This Loop Header: Depth=1
                                        ;     Child Loop BB129_40 Depth 2
	s_delay_alu instid0(SALU_CYCLE_1)
	s_max_u32 s26, s25, 1
.LBB129_40:                             ;   Parent Loop BB129_39 Depth=1
                                        ; =>  This Inner Loop Header: Depth=2
	s_delay_alu instid0(SALU_CYCLE_1)
	s_add_i32 s26, s26, -1
	s_sleep 1
	s_cmp_eq_u32 s26, 0
	s_cbranch_scc0 .LBB129_40
; %bb.41:                               ;   in Loop: Header=BB129_39 Depth=1
	;;#ASMSTART
	global_load_dwordx4 v[35:38], v[42:43] off glc	
s_waitcnt vmcnt(0)
	;;#ASMEND
	v_and_b32_e32 v38, 0xff, v37
	s_cmp_lt_u32 s25, 32
	s_cselect_b32 s26, -1, 0
	s_delay_alu instid0(SALU_CYCLE_1) | instskip(NEXT) | instid1(VALU_DEP_1)
	s_cmp_lg_u32 s26, 0
	v_cmp_ne_u16_e32 vcc_lo, 0, v38
	s_addc_u32 s25, s25, 0
	s_or_b32 s3, vcc_lo, s3
	s_delay_alu instid0(SALU_CYCLE_1)
	s_and_not1_b32 exec_lo, exec_lo, s3
	s_cbranch_execnz .LBB129_39
; %bb.42:
	s_or_b32 exec_lo, exec_lo, s3
.LBB129_43:
	s_delay_alu instid0(SALU_CYCLE_1)
	s_or_b32 exec_lo, exec_lo, s2
	v_cmp_ne_u32_e32 vcc_lo, 31, v47
	v_and_b32_e32 v42, 0xff, v37
	v_lshlrev_b32_e64 v49, v47, -1
	s_mov_b32 s2, exec_lo
	v_add_co_ci_u32_e32 v38, vcc_lo, 0, v47, vcc_lo
	s_delay_alu instid0(VALU_DEP_3) | instskip(SKIP_1) | instid1(VALU_DEP_3)
	v_cmp_eq_u16_e32 vcc_lo, 2, v42
	v_mov_b32_e32 v42, v35
	v_lshlrev_b32_e32 v48, 2, v38
	v_and_or_b32 v38, vcc_lo, v49, 0x80000000
	ds_bpermute_b32 v44, v48, v35
	ds_bpermute_b32 v43, v48, v36
	v_ctz_i32_b32_e32 v38, v38
	s_delay_alu instid0(VALU_DEP_1)
	v_cmpx_lt_u32_e64 v47, v38
	s_cbranch_execz .LBB129_45
; %bb.44:
	s_waitcnt lgkmcnt(1)
	v_add_co_u32 v42, vcc_lo, v35, v44
	v_add_co_ci_u32_e32 v36, vcc_lo, 0, v36, vcc_lo
	s_delay_alu instid0(VALU_DEP_2) | instskip(SKIP_1) | instid1(VALU_DEP_2)
	v_add_co_u32 v35, vcc_lo, 0, v42
	s_waitcnt lgkmcnt(0)
	v_add_co_ci_u32_e32 v36, vcc_lo, v43, v36, vcc_lo
.LBB129_45:
	s_or_b32 exec_lo, exec_lo, s2
	v_cmp_gt_u32_e32 vcc_lo, 30, v47
	v_add_nc_u32_e32 v51, 2, v47
	s_mov_b32 s2, exec_lo
	s_waitcnt lgkmcnt(0)
	v_cndmask_b32_e64 v43, 0, 1, vcc_lo
	s_delay_alu instid0(VALU_DEP_1) | instskip(NEXT) | instid1(VALU_DEP_1)
	v_lshlrev_b32_e32 v43, 1, v43
	v_add_lshl_u32 v50, v43, v47, 2
	ds_bpermute_b32 v44, v50, v42
	ds_bpermute_b32 v43, v50, v36
	v_cmpx_le_u32_e64 v51, v38
	s_cbranch_execz .LBB129_47
; %bb.46:
	s_waitcnt lgkmcnt(1)
	v_add_co_u32 v42, vcc_lo, v35, v44
	v_add_co_ci_u32_e32 v36, vcc_lo, 0, v36, vcc_lo
	s_delay_alu instid0(VALU_DEP_2) | instskip(SKIP_1) | instid1(VALU_DEP_2)
	v_add_co_u32 v35, vcc_lo, 0, v42
	s_waitcnt lgkmcnt(0)
	v_add_co_ci_u32_e32 v36, vcc_lo, v43, v36, vcc_lo
.LBB129_47:
	s_or_b32 exec_lo, exec_lo, s2
	v_cmp_gt_u32_e32 vcc_lo, 28, v47
	v_add_nc_u32_e32 v53, 4, v47
	s_mov_b32 s2, exec_lo
	s_waitcnt lgkmcnt(0)
	v_cndmask_b32_e64 v43, 0, 1, vcc_lo
	s_delay_alu instid0(VALU_DEP_1) | instskip(NEXT) | instid1(VALU_DEP_1)
	v_lshlrev_b32_e32 v43, 2, v43
	v_add_lshl_u32 v52, v43, v47, 2
	ds_bpermute_b32 v44, v52, v42
	ds_bpermute_b32 v43, v52, v36
	v_cmpx_le_u32_e64 v53, v38
	s_cbranch_execz .LBB129_49
; %bb.48:
	s_waitcnt lgkmcnt(1)
	v_add_co_u32 v42, vcc_lo, v35, v44
	v_add_co_ci_u32_e32 v36, vcc_lo, 0, v36, vcc_lo
	s_delay_alu instid0(VALU_DEP_2) | instskip(SKIP_1) | instid1(VALU_DEP_2)
	v_add_co_u32 v35, vcc_lo, 0, v42
	s_waitcnt lgkmcnt(0)
	v_add_co_ci_u32_e32 v36, vcc_lo, v43, v36, vcc_lo
.LBB129_49:
	s_or_b32 exec_lo, exec_lo, s2
	v_cmp_gt_u32_e32 vcc_lo, 24, v47
	v_add_nc_u32_e32 v55, 8, v47
	s_mov_b32 s2, exec_lo
	s_waitcnt lgkmcnt(0)
	v_cndmask_b32_e64 v43, 0, 1, vcc_lo
	s_delay_alu instid0(VALU_DEP_1) | instskip(NEXT) | instid1(VALU_DEP_1)
	v_lshlrev_b32_e32 v43, 3, v43
	v_add_lshl_u32 v54, v43, v47, 2
	ds_bpermute_b32 v44, v54, v42
	ds_bpermute_b32 v43, v54, v36
	v_cmpx_le_u32_e64 v55, v38
	s_cbranch_execz .LBB129_51
; %bb.50:
	s_waitcnt lgkmcnt(1)
	v_add_co_u32 v42, vcc_lo, v35, v44
	v_add_co_ci_u32_e32 v36, vcc_lo, 0, v36, vcc_lo
	s_delay_alu instid0(VALU_DEP_2) | instskip(SKIP_1) | instid1(VALU_DEP_2)
	v_add_co_u32 v35, vcc_lo, 0, v42
	s_waitcnt lgkmcnt(0)
	v_add_co_ci_u32_e32 v36, vcc_lo, v43, v36, vcc_lo
.LBB129_51:
	s_or_b32 exec_lo, exec_lo, s2
	v_cmp_gt_u32_e32 vcc_lo, 16, v47
	v_add_nc_u32_e32 v57, 16, v47
	s_mov_b32 s2, exec_lo
	s_waitcnt lgkmcnt(0)
	v_cndmask_b32_e64 v43, 0, 1, vcc_lo
	s_delay_alu instid0(VALU_DEP_1) | instskip(NEXT) | instid1(VALU_DEP_1)
	v_lshlrev_b32_e32 v43, 4, v43
	v_add_lshl_u32 v56, v43, v47, 2
	ds_bpermute_b32 v43, v56, v42
	ds_bpermute_b32 v42, v56, v36
	v_cmpx_le_u32_e64 v57, v38
	s_cbranch_execz .LBB129_53
; %bb.52:
	s_waitcnt lgkmcnt(1)
	v_add_co_u32 v35, vcc_lo, v35, v43
	v_add_co_ci_u32_e32 v36, vcc_lo, 0, v36, vcc_lo
	s_delay_alu instid0(VALU_DEP_2) | instskip(SKIP_1) | instid1(VALU_DEP_2)
	v_add_co_u32 v35, vcc_lo, v35, 0
	s_waitcnt lgkmcnt(0)
	v_add_co_ci_u32_e32 v36, vcc_lo, v36, v42, vcc_lo
.LBB129_53:
	s_or_b32 exec_lo, exec_lo, s2
	s_waitcnt lgkmcnt(0)
	v_mov_b32_e32 v42, 0
	s_branch .LBB129_55
.LBB129_54:                             ;   in Loop: Header=BB129_55 Depth=1
	s_or_b32 exec_lo, exec_lo, s2
	v_add_co_u32 v35, vcc_lo, v35, v43
	v_subrev_nc_u32_e32 v41, 32, v41
	v_add_co_ci_u32_e32 v36, vcc_lo, v36, v44, vcc_lo
.LBB129_55:                             ; =>This Loop Header: Depth=1
                                        ;     Child Loop BB129_58 Depth 2
                                        ;       Child Loop BB129_59 Depth 3
	s_delay_alu instid0(VALU_DEP_1) | instskip(NEXT) | instid1(VALU_DEP_4)
	v_dual_mov_b32 v44, v36 :: v_dual_and_b32 v37, 0xff, v37
	v_mov_b32_e32 v43, v35
	s_delay_alu instid0(VALU_DEP_2) | instskip(SKIP_2) | instid1(VALU_DEP_1)
	v_cmp_ne_u16_e32 vcc_lo, 2, v37
	v_cndmask_b32_e64 v37, 0, 1, vcc_lo
	;;#ASMSTART
	;;#ASMEND
	v_cmp_ne_u32_e32 vcc_lo, 0, v37
	s_cmp_lg_u32 vcc_lo, exec_lo
	s_cbranch_scc1 .LBB129_72
; %bb.56:                               ;   in Loop: Header=BB129_55 Depth=1
	v_lshlrev_b64 v[35:36], 4, v[41:42]
	s_mov_b32 s2, exec_lo
	s_waitcnt lgkmcnt(0)
	s_delay_alu instid0(VALU_DEP_1) | instskip(NEXT) | instid1(VALU_DEP_2)
	v_add_co_u32 v45, vcc_lo, s18, v35
	v_add_co_ci_u32_e32 v46, vcc_lo, s19, v36, vcc_lo
	;;#ASMSTART
	global_load_dwordx4 v[35:38], v[45:46] off glc	
s_waitcnt vmcnt(0)
	;;#ASMEND
	v_and_b32_e32 v38, 0xff, v36
	v_and_b32_e32 v58, 0xff00, v36
	v_or3_b32 v35, v35, 0, 0
	v_and_b32_e32 v59, 0xff000000, v36
	v_and_b32_e32 v36, 0xff0000, v36
	s_delay_alu instid0(VALU_DEP_4) | instskip(SKIP_2) | instid1(VALU_DEP_3)
	v_or3_b32 v38, 0, v38, v58
	v_and_b32_e32 v58, 0xff, v37
	v_or3_b32 v35, v35, 0, 0
	v_or3_b32 v36, v38, v36, v59
	s_delay_alu instid0(VALU_DEP_3)
	v_cmpx_eq_u16_e32 0, v58
	s_cbranch_execz .LBB129_62
; %bb.57:                               ;   in Loop: Header=BB129_55 Depth=1
	s_mov_b32 s25, 1
	s_mov_b32 s3, 0
	.p2align	6
.LBB129_58:                             ;   Parent Loop BB129_55 Depth=1
                                        ; =>  This Loop Header: Depth=2
                                        ;       Child Loop BB129_59 Depth 3
	s_max_u32 s26, s25, 1
.LBB129_59:                             ;   Parent Loop BB129_55 Depth=1
                                        ;     Parent Loop BB129_58 Depth=2
                                        ; =>    This Inner Loop Header: Depth=3
	s_delay_alu instid0(SALU_CYCLE_1)
	s_add_i32 s26, s26, -1
	s_sleep 1
	s_cmp_eq_u32 s26, 0
	s_cbranch_scc0 .LBB129_59
; %bb.60:                               ;   in Loop: Header=BB129_58 Depth=2
	;;#ASMSTART
	global_load_dwordx4 v[35:38], v[45:46] off glc	
s_waitcnt vmcnt(0)
	;;#ASMEND
	v_and_b32_e32 v38, 0xff, v37
	s_cmp_lt_u32 s25, 32
	s_cselect_b32 s26, -1, 0
	s_delay_alu instid0(SALU_CYCLE_1) | instskip(NEXT) | instid1(VALU_DEP_1)
	s_cmp_lg_u32 s26, 0
	v_cmp_ne_u16_e32 vcc_lo, 0, v38
	s_addc_u32 s25, s25, 0
	s_or_b32 s3, vcc_lo, s3
	s_delay_alu instid0(SALU_CYCLE_1)
	s_and_not1_b32 exec_lo, exec_lo, s3
	s_cbranch_execnz .LBB129_58
; %bb.61:                               ;   in Loop: Header=BB129_55 Depth=1
	s_or_b32 exec_lo, exec_lo, s3
.LBB129_62:                             ;   in Loop: Header=BB129_55 Depth=1
	s_delay_alu instid0(SALU_CYCLE_1)
	s_or_b32 exec_lo, exec_lo, s2
	v_dual_mov_b32 v45, v35 :: v_dual_and_b32 v38, 0xff, v37
	ds_bpermute_b32 v58, v48, v35
	ds_bpermute_b32 v46, v48, v36
	s_mov_b32 s2, exec_lo
	v_cmp_eq_u16_e32 vcc_lo, 2, v38
	v_and_or_b32 v38, vcc_lo, v49, 0x80000000
	s_delay_alu instid0(VALU_DEP_1) | instskip(NEXT) | instid1(VALU_DEP_1)
	v_ctz_i32_b32_e32 v38, v38
	v_cmpx_lt_u32_e64 v47, v38
	s_cbranch_execz .LBB129_64
; %bb.63:                               ;   in Loop: Header=BB129_55 Depth=1
	s_waitcnt lgkmcnt(1)
	v_add_co_u32 v45, vcc_lo, v35, v58
	v_add_co_ci_u32_e32 v36, vcc_lo, 0, v36, vcc_lo
	s_delay_alu instid0(VALU_DEP_2) | instskip(SKIP_1) | instid1(VALU_DEP_2)
	v_add_co_u32 v35, vcc_lo, 0, v45
	s_waitcnt lgkmcnt(0)
	v_add_co_ci_u32_e32 v36, vcc_lo, v46, v36, vcc_lo
.LBB129_64:                             ;   in Loop: Header=BB129_55 Depth=1
	s_or_b32 exec_lo, exec_lo, s2
	s_waitcnt lgkmcnt(1)
	ds_bpermute_b32 v58, v50, v45
	s_waitcnt lgkmcnt(1)
	ds_bpermute_b32 v46, v50, v36
	s_mov_b32 s2, exec_lo
	v_cmpx_le_u32_e64 v51, v38
	s_cbranch_execz .LBB129_66
; %bb.65:                               ;   in Loop: Header=BB129_55 Depth=1
	s_waitcnt lgkmcnt(1)
	v_add_co_u32 v45, vcc_lo, v35, v58
	v_add_co_ci_u32_e32 v36, vcc_lo, 0, v36, vcc_lo
	s_delay_alu instid0(VALU_DEP_2) | instskip(SKIP_1) | instid1(VALU_DEP_2)
	v_add_co_u32 v35, vcc_lo, 0, v45
	s_waitcnt lgkmcnt(0)
	v_add_co_ci_u32_e32 v36, vcc_lo, v46, v36, vcc_lo
.LBB129_66:                             ;   in Loop: Header=BB129_55 Depth=1
	s_or_b32 exec_lo, exec_lo, s2
	s_waitcnt lgkmcnt(1)
	ds_bpermute_b32 v58, v52, v45
	s_waitcnt lgkmcnt(1)
	ds_bpermute_b32 v46, v52, v36
	s_mov_b32 s2, exec_lo
	v_cmpx_le_u32_e64 v53, v38
	;; [unrolled: 17-line block ×3, first 2 shown]
	s_cbranch_execz .LBB129_70
; %bb.69:                               ;   in Loop: Header=BB129_55 Depth=1
	s_waitcnt lgkmcnt(1)
	v_add_co_u32 v45, vcc_lo, v35, v58
	v_add_co_ci_u32_e32 v36, vcc_lo, 0, v36, vcc_lo
	s_delay_alu instid0(VALU_DEP_2) | instskip(SKIP_1) | instid1(VALU_DEP_2)
	v_add_co_u32 v35, vcc_lo, 0, v45
	s_waitcnt lgkmcnt(0)
	v_add_co_ci_u32_e32 v36, vcc_lo, v46, v36, vcc_lo
.LBB129_70:                             ;   in Loop: Header=BB129_55 Depth=1
	s_or_b32 exec_lo, exec_lo, s2
	s_waitcnt lgkmcnt(0)
	ds_bpermute_b32 v46, v56, v45
	ds_bpermute_b32 v45, v56, v36
	s_mov_b32 s2, exec_lo
	v_cmpx_le_u32_e64 v57, v38
	s_cbranch_execz .LBB129_54
; %bb.71:                               ;   in Loop: Header=BB129_55 Depth=1
	s_waitcnt lgkmcnt(1)
	v_add_co_u32 v35, vcc_lo, v35, v46
	v_add_co_ci_u32_e32 v36, vcc_lo, 0, v36, vcc_lo
	s_delay_alu instid0(VALU_DEP_2) | instskip(SKIP_1) | instid1(VALU_DEP_2)
	v_add_co_u32 v35, vcc_lo, v35, 0
	s_waitcnt lgkmcnt(0)
	v_add_co_ci_u32_e32 v36, vcc_lo, v36, v45, vcc_lo
	s_branch .LBB129_54
.LBB129_72:                             ;   in Loop: Header=BB129_55 Depth=1
                                        ; implicit-def: $vgpr35_vgpr36
	s_cbranch_execz .LBB129_55
; %bb.73:
	s_and_saveexec_b32 s2, s1
	s_cbranch_execz .LBB129_75
; %bb.74:
	s_add_i32 s26, s15, 32
	s_mov_b32 s27, 0
	v_add_co_u32 v33, vcc_lo, v43, v33
	s_lshl_b64 s[26:27], s[26:27], 4
	v_add_co_ci_u32_e32 v34, vcc_lo, v44, v34, vcc_lo
	s_add_u32 s26, s18, s26
	s_addc_u32 s27, s19, s27
	v_dual_mov_b32 v35, 2 :: v_dual_mov_b32 v36, 0
	v_dual_mov_b32 v38, s27 :: v_dual_mov_b32 v37, s26
	;;#ASMSTART
	global_store_dwordx4 v[37:38], v[33:36] off	
s_waitcnt vmcnt(0)
	;;#ASMEND
.LBB129_75:
	s_or_b32 exec_lo, exec_lo, s2
	s_delay_alu instid0(SALU_CYCLE_1)
	s_and_b32 exec_lo, exec_lo, s0
	s_cbranch_execz .LBB129_77
; %bb.76:
	v_mov_b32_e32 v33, 0
	ds_store_b64 v33, v[43:44]
.LBB129_77:
	s_or_b32 exec_lo, exec_lo, s24
	v_mov_b32_e32 v33, 0
	s_waitcnt lgkmcnt(0)
	s_barrier
	buffer_gl0_inv
	v_add_co_u32 v35, vcc_lo, v39, v1
	ds_load_b64 v[33:34], v33
	v_add_co_ci_u32_e32 v36, vcc_lo, v40, v2, vcc_lo
	s_waitcnt lgkmcnt(0)
	v_add_co_u32 v59, vcc_lo, v35, v33
	s_delay_alu instid0(VALU_DEP_2) | instskip(NEXT) | instid1(VALU_DEP_2)
	v_add_co_ci_u32_e32 v60, vcc_lo, v36, v34, vcc_lo
	v_add_co_u32 v63, vcc_lo, v59, v3
	s_delay_alu instid0(VALU_DEP_2) | instskip(NEXT) | instid1(VALU_DEP_2)
	v_add_co_ci_u32_e32 v64, vcc_lo, v60, v4, vcc_lo
	;; [unrolled: 3-line block ×15, first 2 shown]
	v_add_co_u32 v77, vcc_lo, v57, v7
	s_delay_alu instid0(VALU_DEP_2)
	v_add_co_ci_u32_e32 v78, vcc_lo, v58, v8, vcc_lo
	s_branch .LBB129_98
.LBB129_78:
                                        ; implicit-def: $vgpr57_vgpr58_vgpr59_vgpr60
                                        ; implicit-def: $vgpr77_vgpr78
                                        ; implicit-def: $vgpr75_vgpr76
                                        ; implicit-def: $vgpr73_vgpr74
                                        ; implicit-def: $vgpr71_vgpr72
                                        ; implicit-def: $vgpr69_vgpr70
                                        ; implicit-def: $vgpr67_vgpr68
                                        ; implicit-def: $vgpr65_vgpr66
                                        ; implicit-def: $vgpr63_vgpr64
                                        ; implicit-def: $vgpr53_vgpr54_vgpr55_vgpr56
                                        ; implicit-def: $vgpr49_vgpr50_vgpr51_vgpr52
                                        ; implicit-def: $vgpr45_vgpr46_vgpr47_vgpr48
                                        ; implicit-def: $vgpr41_vgpr42_vgpr43_vgpr44
                                        ; implicit-def: $vgpr37_vgpr38_vgpr39_vgpr40
                                        ; implicit-def: $vgpr33_vgpr34_vgpr35_vgpr36
                                        ; implicit-def: $vgpr59_vgpr60_vgpr61_vgpr62
	s_cbranch_execz .LBB129_98
; %bb.79:
	v_cmp_eq_u32_e64 s0, 0, v0
	s_cmp_lg_u64 s[8:9], 0
	v_cmp_ne_u32_e32 vcc_lo, 0, v0
	s_cselect_b32 s1, -1, 0
	s_delay_alu instid0(VALU_DEP_2) | instid1(SALU_CYCLE_1)
	s_and_b32 s1, s0, s1
	s_delay_alu instid0(SALU_CYCLE_1)
	s_and_saveexec_b32 s2, s1
	s_cbranch_execz .LBB129_81
; %bb.80:
	v_mov_b32_e32 v33, 0
	global_load_b64 v[33:34], v33, s[4:5]
	s_waitcnt vmcnt(0)
	v_add_co_u32 v1, s1, v33, v1
	s_delay_alu instid0(VALU_DEP_1)
	v_add_co_ci_u32_e64 v2, s1, v34, v2, s1
.LBB129_81:
	s_or_b32 exec_lo, exec_lo, s2
	s_delay_alu instid0(VALU_DEP_2) | instskip(NEXT) | instid1(VALU_DEP_1)
	v_add_co_u32 v63, s1, v3, v1
	v_add_co_ci_u32_e64 v64, s1, v4, v2, s1
	v_add_lshl_u32 v35, v95, v0, 3
	s_delay_alu instid0(VALU_DEP_3) | instskip(NEXT) | instid1(VALU_DEP_1)
	v_add_co_u32 v33, s1, v63, v29
	v_add_co_ci_u32_e64 v34, s1, v64, v30, s1
	s_mov_b32 s2, exec_lo
	s_delay_alu instid0(VALU_DEP_2) | instskip(NEXT) | instid1(VALU_DEP_1)
	v_add_co_u32 v65, s1, v33, v31
	v_add_co_ci_u32_e64 v66, s1, v34, v32, s1
	s_delay_alu instid0(VALU_DEP_2) | instskip(NEXT) | instid1(VALU_DEP_1)
	v_add_co_u32 v37, s1, v65, v25
	v_add_co_ci_u32_e64 v38, s1, v66, v26, s1
	s_delay_alu instid0(VALU_DEP_2) | instskip(NEXT) | instid1(VALU_DEP_1)
	v_add_co_u32 v67, s1, v37, v27
	v_add_co_ci_u32_e64 v68, s1, v38, v28, s1
	s_delay_alu instid0(VALU_DEP_2) | instskip(NEXT) | instid1(VALU_DEP_1)
	v_add_co_u32 v41, s1, v67, v21
	v_add_co_ci_u32_e64 v42, s1, v68, v22, s1
	s_delay_alu instid0(VALU_DEP_2) | instskip(NEXT) | instid1(VALU_DEP_1)
	v_add_co_u32 v69, s1, v41, v23
	v_add_co_ci_u32_e64 v70, s1, v42, v24, s1
	s_delay_alu instid0(VALU_DEP_2) | instskip(NEXT) | instid1(VALU_DEP_1)
	v_add_co_u32 v45, s1, v69, v17
	v_add_co_ci_u32_e64 v46, s1, v70, v18, s1
	s_delay_alu instid0(VALU_DEP_2) | instskip(NEXT) | instid1(VALU_DEP_1)
	v_add_co_u32 v71, s1, v45, v19
	v_add_co_ci_u32_e64 v72, s1, v46, v20, s1
	s_delay_alu instid0(VALU_DEP_2) | instskip(NEXT) | instid1(VALU_DEP_1)
	v_add_co_u32 v49, s1, v71, v13
	v_add_co_ci_u32_e64 v50, s1, v72, v14, s1
	s_delay_alu instid0(VALU_DEP_2) | instskip(NEXT) | instid1(VALU_DEP_1)
	v_add_co_u32 v73, s1, v49, v15
	v_add_co_ci_u32_e64 v74, s1, v50, v16, s1
	s_delay_alu instid0(VALU_DEP_2) | instskip(NEXT) | instid1(VALU_DEP_1)
	v_add_co_u32 v53, s1, v73, v9
	v_add_co_ci_u32_e64 v54, s1, v74, v10, s1
	s_delay_alu instid0(VALU_DEP_2) | instskip(NEXT) | instid1(VALU_DEP_1)
	v_add_co_u32 v75, s1, v53, v11
	v_add_co_ci_u32_e64 v76, s1, v54, v12, s1
	s_delay_alu instid0(VALU_DEP_2) | instskip(NEXT) | instid1(VALU_DEP_1)
	v_add_co_u32 v57, s1, v75, v5
	v_add_co_ci_u32_e64 v58, s1, v76, v6, s1
	s_delay_alu instid0(VALU_DEP_2) | instskip(NEXT) | instid1(VALU_DEP_1)
	v_add_co_u32 v77, s1, v57, v7
	v_add_co_ci_u32_e64 v78, s1, v58, v8, s1
	ds_store_b64 v35, v[77:78]
	s_waitcnt lgkmcnt(0)
	s_barrier
	buffer_gl0_inv
	v_cmpx_gt_u32_e32 32, v0
	s_cbranch_execz .LBB129_91
; %bb.82:
	v_lshlrev_b32_e32 v35, 1, v0
	v_mbcnt_lo_u32_b32 v44, -1, 0
	s_mov_b32 s3, exec_lo
	s_delay_alu instid0(VALU_DEP_2) | instskip(NEXT) | instid1(VALU_DEP_1)
	v_and_b32_e32 v35, 0x1f8, v35
	v_lshl_or_b32 v43, v0, 6, v35
	ds_load_2addr_b64 v[59:62], v43 offset1:1
	ds_load_2addr_b64 v[97:100], v43 offset0:2 offset1:3
	ds_load_2addr_b64 v[101:104], v43 offset0:4 offset1:5
	;; [unrolled: 1-line block ×3, first 2 shown]
	s_waitcnt lgkmcnt(3)
	v_add_co_u32 v35, s1, v61, v59
	s_delay_alu instid0(VALU_DEP_1) | instskip(SKIP_1) | instid1(VALU_DEP_2)
	v_add_co_ci_u32_e64 v36, s1, v62, v60, s1
	s_waitcnt lgkmcnt(2)
	v_add_co_u32 v35, s1, v35, v97
	s_delay_alu instid0(VALU_DEP_1) | instskip(NEXT) | instid1(VALU_DEP_2)
	v_add_co_ci_u32_e64 v36, s1, v36, v98, s1
	v_add_co_u32 v35, s1, v35, v99
	s_delay_alu instid0(VALU_DEP_1) | instskip(SKIP_1) | instid1(VALU_DEP_2)
	v_add_co_ci_u32_e64 v36, s1, v36, v100, s1
	s_waitcnt lgkmcnt(1)
	v_add_co_u32 v35, s1, v35, v101
	s_delay_alu instid0(VALU_DEP_1) | instskip(NEXT) | instid1(VALU_DEP_2)
	v_add_co_ci_u32_e64 v36, s1, v36, v102, s1
	v_add_co_u32 v35, s1, v35, v103
	s_delay_alu instid0(VALU_DEP_1) | instskip(SKIP_1) | instid1(VALU_DEP_2)
	v_add_co_ci_u32_e64 v36, s1, v36, v104, s1
	s_waitcnt lgkmcnt(0)
	v_add_co_u32 v35, s1, v35, v105
	s_delay_alu instid0(VALU_DEP_1) | instskip(NEXT) | instid1(VALU_DEP_2)
	v_add_co_ci_u32_e64 v36, s1, v36, v106, s1
	v_add_co_u32 v35, s1, v35, v107
	s_delay_alu instid0(VALU_DEP_1) | instskip(SKIP_1) | instid1(VALU_DEP_3)
	v_add_co_ci_u32_e64 v36, s1, v36, v108, s1
	v_and_b32_e32 v47, 15, v44
	v_mov_b32_dpp v51, v35 row_shr:1 row_mask:0xf bank_mask:0xf
	s_delay_alu instid0(VALU_DEP_3)
	v_mov_b32_e32 v40, v36
	v_mov_b32_dpp v48, v36 row_shr:1 row_mask:0xf bank_mask:0xf
	v_mov_b32_e32 v39, v35
	v_cmpx_ne_u32_e32 0, v47
; %bb.83:
	v_add_co_u32 v35, s1, v35, v51
	s_delay_alu instid0(VALU_DEP_1) | instskip(NEXT) | instid1(VALU_DEP_2)
	v_add_co_ci_u32_e64 v36, s1, 0, v36, s1
	v_add_co_u32 v39, s1, 0, v35
	s_delay_alu instid0(VALU_DEP_1) | instskip(NEXT) | instid1(VALU_DEP_1)
	v_add_co_ci_u32_e64 v40, s1, v48, v36, s1
	v_mov_b32_e32 v36, v40
; %bb.84:
	s_or_b32 exec_lo, exec_lo, s3
	v_mov_b32_dpp v51, v35 row_shr:2 row_mask:0xf bank_mask:0xf
	s_delay_alu instid0(VALU_DEP_2)
	v_mov_b32_dpp v48, v36 row_shr:2 row_mask:0xf bank_mask:0xf
	s_mov_b32 s3, exec_lo
	v_cmpx_lt_u32_e32 1, v47
; %bb.85:
	s_delay_alu instid0(VALU_DEP_3) | instskip(NEXT) | instid1(VALU_DEP_1)
	v_add_co_u32 v35, s1, v39, v51
	v_add_co_ci_u32_e64 v36, s1, 0, v40, s1
	s_delay_alu instid0(VALU_DEP_2) | instskip(NEXT) | instid1(VALU_DEP_1)
	v_add_co_u32 v39, s1, 0, v35
	v_add_co_ci_u32_e64 v40, s1, v48, v36, s1
	s_delay_alu instid0(VALU_DEP_1)
	v_mov_b32_e32 v36, v40
; %bb.86:
	s_or_b32 exec_lo, exec_lo, s3
	v_mov_b32_dpp v51, v35 row_shr:4 row_mask:0xf bank_mask:0xf
	s_delay_alu instid0(VALU_DEP_2)
	v_mov_b32_dpp v48, v36 row_shr:4 row_mask:0xf bank_mask:0xf
	s_mov_b32 s3, exec_lo
	v_cmpx_lt_u32_e32 3, v47
; %bb.87:
	s_delay_alu instid0(VALU_DEP_3) | instskip(NEXT) | instid1(VALU_DEP_1)
	v_add_co_u32 v35, s1, v39, v51
	v_add_co_ci_u32_e64 v36, s1, 0, v40, s1
	s_delay_alu instid0(VALU_DEP_2) | instskip(NEXT) | instid1(VALU_DEP_1)
	v_add_co_u32 v39, s1, 0, v35
	v_add_co_ci_u32_e64 v40, s1, v48, v36, s1
	s_delay_alu instid0(VALU_DEP_1)
	;; [unrolled: 16-line block ×3, first 2 shown]
	v_mov_b32_e32 v36, v40
; %bb.90:
	s_or_b32 exec_lo, exec_lo, s3
	ds_swizzle_b32 v47, v35 offset:swizzle(BROADCAST,32,15)
	ds_swizzle_b32 v48, v36 offset:swizzle(BROADCAST,32,15)
	v_add_nc_u32_e32 v51, -1, v44
	v_and_b32_e32 v52, 16, v44
	; wave barrier
	s_delay_alu instid0(VALU_DEP_2) | instskip(NEXT) | instid1(VALU_DEP_1)
	v_cmp_gt_i32_e64 s1, 0, v51
	v_cndmask_b32_e64 v44, v51, v44, s1
	s_delay_alu instid0(VALU_DEP_1) | instskip(SKIP_2) | instid1(VALU_DEP_1)
	v_lshlrev_b32_e32 v44, 2, v44
	s_waitcnt lgkmcnt(1)
	v_add_co_u32 v39, s1, v39, v47
	v_add_co_ci_u32_e64 v40, s1, 0, v40, s1
	v_cmp_eq_u32_e64 s1, 0, v52
	s_delay_alu instid0(VALU_DEP_1) | instskip(SKIP_1) | instid1(VALU_DEP_3)
	v_cndmask_b32_e64 v35, v39, v35, s1
	s_waitcnt lgkmcnt(0)
	v_add_nc_u32_e32 v39, v48, v40
	ds_bpermute_b32 v35, v44, v35
	v_cndmask_b32_e64 v36, v39, v36, s1
	ds_bpermute_b32 v36, v44, v36
	s_waitcnt lgkmcnt(1)
	v_add_co_u32 v35, s1, v59, v35
	s_delay_alu instid0(VALU_DEP_1) | instskip(NEXT) | instid1(VALU_DEP_2)
	v_add_co_ci_u32_e64 v39, s1, 0, v60, s1
	v_add_co_u32 v35, s1, v35, 0
	s_waitcnt lgkmcnt(0)
	s_delay_alu instid0(VALU_DEP_2) | instskip(NEXT) | instid1(VALU_DEP_2)
	v_add_co_ci_u32_e64 v36, s1, v39, v36, s1
	v_cndmask_b32_e64 v35, v35, v77, s0
	s_delay_alu instid0(VALU_DEP_2)
	v_cndmask_b32_e64 v36, v36, v78, s0
	ds_store_b64 v43, v[35:36]
	; wave barrier
	ds_load_2addr_b64 v[59:62], v43 offset0:1 offset1:2
	ds_load_2addr_b64 v[97:100], v43 offset0:3 offset1:4
	;; [unrolled: 1-line block ×3, first 2 shown]
	ds_load_b64 v[47:48], v43 offset:56
	s_waitcnt lgkmcnt(3)
	v_add_co_u32 v35, s0, v59, v35
	s_delay_alu instid0(VALU_DEP_1) | instskip(NEXT) | instid1(VALU_DEP_2)
	v_add_co_ci_u32_e64 v36, s0, v60, v36, s0
	v_add_co_u32 v39, s0, v61, v35
	s_delay_alu instid0(VALU_DEP_1) | instskip(SKIP_1) | instid1(VALU_DEP_2)
	v_add_co_ci_u32_e64 v40, s0, v62, v36, s0
	s_waitcnt lgkmcnt(2)
	v_add_co_u32 v51, s0, v97, v39
	s_delay_alu instid0(VALU_DEP_1) | instskip(NEXT) | instid1(VALU_DEP_2)
	v_add_co_ci_u32_e64 v52, s0, v98, v40, s0
	v_add_co_u32 v55, s0, v99, v51
	s_delay_alu instid0(VALU_DEP_1) | instskip(SKIP_1) | instid1(VALU_DEP_2)
	v_add_co_ci_u32_e64 v56, s0, v100, v52, s0
	;; [unrolled: 7-line block ×3, first 2 shown]
	s_waitcnt lgkmcnt(0)
	v_add_co_u32 v47, s0, v47, v61
	s_delay_alu instid0(VALU_DEP_1)
	v_add_co_ci_u32_e64 v48, s0, v48, v62, s0
	ds_store_2addr_b64 v43, v[35:36], v[39:40] offset0:1 offset1:2
	ds_store_2addr_b64 v43, v[51:52], v[55:56] offset0:3 offset1:4
	;; [unrolled: 1-line block ×3, first 2 shown]
	ds_store_b64 v43, v[47:48] offset:56
.LBB129_91:
	s_or_b32 exec_lo, exec_lo, s2
	v_dual_mov_b32 v35, v77 :: v_dual_mov_b32 v36, v78
	s_waitcnt lgkmcnt(0)
	s_barrier
	buffer_gl0_inv
	s_and_saveexec_b32 s0, vcc_lo
	s_cbranch_execz .LBB129_93
; %bb.92:
	v_add_nc_u32_e32 v35, -1, v0
	s_delay_alu instid0(VALU_DEP_1) | instskip(NEXT) | instid1(VALU_DEP_1)
	v_lshrrev_b32_e32 v36, 5, v35
	v_add_lshl_u32 v35, v36, v35, 3
	ds_load_b64 v[35:36], v35
.LBB129_93:
	s_or_b32 exec_lo, exec_lo, s0
	s_and_saveexec_b32 s0, vcc_lo
	s_cbranch_execz .LBB129_95
; %bb.94:
	s_waitcnt lgkmcnt(0)
	v_add_co_u32 v1, vcc_lo, v35, v1
	v_add_co_ci_u32_e32 v2, vcc_lo, v36, v2, vcc_lo
	;;#ASMSTART
	;;#ASMEND
	s_delay_alu instid0(VALU_DEP_2) | instskip(NEXT) | instid1(VALU_DEP_2)
	v_add_co_u32 v63, vcc_lo, v1, v3
	v_add_co_ci_u32_e32 v64, vcc_lo, v2, v4, vcc_lo
	s_delay_alu instid0(VALU_DEP_2) | instskip(NEXT) | instid1(VALU_DEP_2)
	v_add_co_u32 v33, vcc_lo, v63, v29
	v_add_co_ci_u32_e32 v34, vcc_lo, v64, v30, vcc_lo
	;; [unrolled: 3-line block ×15, first 2 shown]
.LBB129_95:
	s_or_b32 exec_lo, exec_lo, s0
	s_delay_alu instid0(SALU_CYCLE_1)
	s_mov_b32 s0, exec_lo
	v_cmpx_eq_u32_e32 0xff, v0
	s_cbranch_execz .LBB129_97
; %bb.96:
	s_add_u32 s2, s18, 0x200
	s_addc_u32 s3, s19, 0
	v_dual_mov_b32 v5, 2 :: v_dual_mov_b32 v6, 0
	v_dual_mov_b32 v3, v77 :: v_dual_mov_b32 v4, v78
	;; [unrolled: 1-line block ×3, first 2 shown]
	;;#ASMSTART
	global_store_dwordx4 v[7:8], v[3:6] off	
s_waitcnt vmcnt(0)
	;;#ASMEND
.LBB129_97:
	s_or_b32 exec_lo, exec_lo, s0
	v_dual_mov_b32 v60, v2 :: v_dual_mov_b32 v59, v1
.LBB129_98:
	s_add_u32 s0, s20, s12
	v_lshlrev_b32_e32 v1, 7, v0
	s_addc_u32 s1, s21, s13
	s_add_u32 s0, s0, s16
	s_addc_u32 s1, s1, s17
	s_and_b32 vcc_lo, exec_lo, s23
	s_mov_b32 s2, -1
	s_waitcnt lgkmcnt(0)
	s_barrier
	buffer_gl0_inv
	s_cbranch_vccz .LBB129_100
; %bb.99:
	v_lshl_add_u32 v2, v96, 3, v1
	v_lshrrev_b32_e32 v3, 5, v92
	v_lshrrev_b32_e32 v4, 5, v91
	v_add_lshl_u32 v5, v95, v0, 3
	v_lshrrev_b32_e32 v19, 5, v85
	ds_store_2addr_b64 v2, v[59:60], v[63:64] offset1:1
	ds_store_2addr_b64 v2, v[33:34], v[65:66] offset0:2 offset1:3
	ds_store_2addr_b64 v2, v[37:38], v[67:68] offset0:4 offset1:5
	;; [unrolled: 1-line block ×7, first 2 shown]
	v_lshrrev_b32_e32 v2, 5, v93
	v_add_lshl_u32 v7, v3, v0, 3
	v_add_lshl_u32 v8, v4, v0, 3
	s_waitcnt lgkmcnt(0)
	s_barrier
	v_add_lshl_u32 v6, v2, v0, 3
	buffer_gl0_inv
	v_lshrrev_b32_e32 v20, 5, v84
	ds_load_b64 v[2:3], v5
	ds_load_b64 v[4:5], v6 offset:2048
	ds_load_b64 v[6:7], v7 offset:4096
	;; [unrolled: 1-line block ×3, first 2 shown]
	v_lshrrev_b32_e32 v10, 5, v90
	v_lshrrev_b32_e32 v18, 5, v86
	;; [unrolled: 1-line block ×5, first 2 shown]
	v_add_lshl_u32 v21, v19, v0, 3
	v_lshrrev_b32_e32 v19, 5, v83
	v_add_lshl_u32 v22, v20, v0, 3
	v_lshrrev_b32_e32 v20, 5, v82
	v_lshrrev_b32_e32 v23, 5, v81
	;; [unrolled: 1-line block ×4, first 2 shown]
	v_add_lshl_u32 v10, v10, v0, 3
	v_add_lshl_u32 v18, v18, v0, 3
	;; [unrolled: 1-line block ×10, first 2 shown]
	ds_load_b64 v[10:11], v10 offset:8192
	ds_load_b64 v[12:13], v14 offset:10240
	;; [unrolled: 1-line block ×12, first 2 shown]
	v_add_co_u32 v32, s3, s0, v94
	s_delay_alu instid0(VALU_DEP_1)
	v_add_co_ci_u32_e64 v61, null, s1, 0, s3
	s_waitcnt lgkmcnt(14)
	global_store_b64 v94, v[4:5], s[0:1] offset:2048
	v_add_co_u32 v4, vcc_lo, 0x1000, v32
	v_add_co_ci_u32_e32 v5, vcc_lo, 0, v61, vcc_lo
	v_add_co_u32 v39, vcc_lo, v32, 0x2000
	v_add_co_ci_u32_e32 v40, vcc_lo, 0, v61, vcc_lo
	;; [unrolled: 2-line block ×6, first 2 shown]
	s_waitcnt lgkmcnt(13)
	global_store_b64 v[39:40], v[6:7], off offset:-4096
	s_waitcnt lgkmcnt(11)
	global_store_b64 v[39:40], v[10:11], off
	s_waitcnt lgkmcnt(9)
	global_store_b64 v[51:52], v[14:15], off offset:-4096
	s_waitcnt lgkmcnt(7)
	s_clause 0x3
	global_store_b64 v[51:52], v[18:19], off
	global_store_b64 v[4:5], v[8:9], off offset:2048
	global_store_b64 v[43:44], v[12:13], off offset:2048
	;; [unrolled: 1-line block ×3, first 2 shown]
	s_waitcnt lgkmcnt(6)
	global_store_b64 v[55:56], v[20:21], off offset:2048
	v_add_co_u32 v4, vcc_lo, v32, 0x6000
	v_add_co_ci_u32_e32 v5, vcc_lo, 0, v61, vcc_lo
	v_add_co_u32 v6, vcc_lo, 0x5000, v32
	v_add_co_ci_u32_e32 v7, vcc_lo, 0, v61, vcc_lo
	;; [unrolled: 2-line block ×4, first 2 shown]
	s_mov_b32 s2, 0
	s_waitcnt lgkmcnt(5)
	s_clause 0x1
	global_store_b64 v[4:5], v[22:23], off offset:-4096
	global_store_b64 v94, v[2:3], s[0:1]
	s_waitcnt lgkmcnt(3)
	s_clause 0x1
	global_store_b64 v[4:5], v[26:27], off
	global_store_b64 v[6:7], v[24:25], off offset:2048
	s_waitcnt lgkmcnt(2)
	global_store_b64 v[8:9], v[28:29], off offset:2048
	s_waitcnt lgkmcnt(1)
	global_store_b64 v[10:11], v[30:31], off
	s_waitcnt lgkmcnt(0)
	global_store_b64 v[10:11], v[35:36], off offset:2048
.LBB129_100:
	s_and_not1_b32 vcc_lo, exec_lo, s2
	s_cbranch_vccnz .LBB129_118
; %bb.101:
	v_lshl_add_u32 v1, v96, 3, v1
	v_lshrrev_b32_e32 v2, 5, v92
	v_lshrrev_b32_e32 v3, 5, v91
	v_add_lshl_u32 v4, v95, v0, 3
	v_lshrrev_b32_e32 v10, 5, v90
	ds_store_2addr_b64 v1, v[59:60], v[63:64] offset1:1
	ds_store_2addr_b64 v1, v[33:34], v[65:66] offset0:2 offset1:3
	ds_store_2addr_b64 v1, v[37:38], v[67:68] offset0:4 offset1:5
	;; [unrolled: 1-line block ×7, first 2 shown]
	v_lshrrev_b32_e32 v1, 5, v93
	v_lshrrev_b32_e32 v11, 5, v89
	v_add_lshl_u32 v6, v2, v0, 3
	v_lshrrev_b32_e32 v12, 5, v88
	v_add_lshl_u32 v8, v3, v0, 3
	v_add_lshl_u32 v1, v1, v0, 3
	v_lshrrev_b32_e32 v13, 5, v87
	s_waitcnt lgkmcnt(0)
	s_waitcnt_vscnt null, 0x0
	s_barrier
	buffer_gl0_inv
	ds_load_b64 v[4:5], v4
	ds_load_b64 v[2:3], v1 offset:2048
	ds_load_b64 v[6:7], v6 offset:4096
	;; [unrolled: 1-line block ×3, first 2 shown]
	v_add_lshl_u32 v1, v10, v0, 3
	v_lshrrev_b32_e32 v18, 5, v86
	v_add_lshl_u32 v14, v11, v0, 3
	v_lshrrev_b32_e32 v19, 5, v85
	v_lshrrev_b32_e32 v20, 5, v84
	v_add_lshl_u32 v15, v12, v0, 3
	v_add_lshl_u32 v16, v13, v0, 3
	ds_load_b64 v[10:11], v1 offset:8192
	ds_load_b64 v[12:13], v14 offset:10240
	;; [unrolled: 1-line block ×4, first 2 shown]
	v_add_lshl_u32 v1, v18, v0, 3
	v_lshrrev_b32_e32 v18, 5, v83
	v_add_lshl_u32 v21, v19, v0, 3
	v_add_lshl_u32 v22, v20, v0, 3
	v_lshrrev_b32_e32 v19, 5, v82
	v_lshrrev_b32_e32 v20, 5, v81
	;; [unrolled: 1-line block ×4, first 2 shown]
	v_add_lshl_u32 v25, v18, v0, 3
	v_add_lshl_u32 v26, v19, v0, 3
	;; [unrolled: 1-line block ×5, first 2 shown]
	ds_load_b64 v[18:19], v1 offset:16384
	ds_load_b64 v[20:21], v21 offset:18432
	;; [unrolled: 1-line block ×8, first 2 shown]
	v_add_co_u32 v34, s0, s0, v94
	v_mov_b32_e32 v1, 0
	v_add_co_ci_u32_e64 v35, null, s1, 0, s0
	s_mov_b32 s0, exec_lo
	v_cmpx_gt_u32_e64 s14, v0
	s_cbranch_execnz .LBB129_134
; %bb.102:
	s_or_b32 exec_lo, exec_lo, s0
	s_delay_alu instid0(SALU_CYCLE_1)
	s_mov_b32 s0, exec_lo
	v_cmpx_gt_u32_e64 s14, v93
	s_cbranch_execnz .LBB129_135
.LBB129_103:
	s_or_b32 exec_lo, exec_lo, s0
	s_delay_alu instid0(SALU_CYCLE_1)
	s_mov_b32 s0, exec_lo
	v_cmpx_gt_u32_e64 s14, v92
	s_cbranch_execnz .LBB129_136
.LBB129_104:
	s_or_b32 exec_lo, exec_lo, s0
	s_delay_alu instid0(SALU_CYCLE_1)
	s_mov_b32 s0, exec_lo
	v_cmpx_gt_u32_e64 s14, v91
	s_cbranch_execnz .LBB129_137
.LBB129_105:
	s_or_b32 exec_lo, exec_lo, s0
	s_delay_alu instid0(SALU_CYCLE_1)
	s_mov_b32 s0, exec_lo
	v_cmpx_gt_u32_e64 s14, v90
	s_cbranch_execnz .LBB129_138
.LBB129_106:
	s_or_b32 exec_lo, exec_lo, s0
	s_delay_alu instid0(SALU_CYCLE_1)
	s_mov_b32 s0, exec_lo
	v_cmpx_gt_u32_e64 s14, v89
	s_cbranch_execnz .LBB129_139
.LBB129_107:
	s_or_b32 exec_lo, exec_lo, s0
	s_delay_alu instid0(SALU_CYCLE_1)
	s_mov_b32 s0, exec_lo
	v_cmpx_gt_u32_e64 s14, v88
	s_cbranch_execnz .LBB129_140
.LBB129_108:
	s_or_b32 exec_lo, exec_lo, s0
	s_delay_alu instid0(SALU_CYCLE_1)
	s_mov_b32 s0, exec_lo
	v_cmpx_gt_u32_e64 s14, v87
	s_cbranch_execnz .LBB129_141
.LBB129_109:
	s_or_b32 exec_lo, exec_lo, s0
	s_delay_alu instid0(SALU_CYCLE_1)
	s_mov_b32 s0, exec_lo
	v_cmpx_gt_u32_e64 s14, v86
	s_cbranch_execnz .LBB129_142
.LBB129_110:
	s_or_b32 exec_lo, exec_lo, s0
	s_delay_alu instid0(SALU_CYCLE_1)
	s_mov_b32 s0, exec_lo
	v_cmpx_gt_u32_e64 s14, v85
	s_cbranch_execnz .LBB129_143
.LBB129_111:
	s_or_b32 exec_lo, exec_lo, s0
	s_delay_alu instid0(SALU_CYCLE_1)
	s_mov_b32 s0, exec_lo
	v_cmpx_gt_u32_e64 s14, v84
	s_cbranch_execnz .LBB129_144
.LBB129_112:
	s_or_b32 exec_lo, exec_lo, s0
	s_delay_alu instid0(SALU_CYCLE_1)
	s_mov_b32 s0, exec_lo
	v_cmpx_gt_u32_e64 s14, v83
	s_cbranch_execnz .LBB129_145
.LBB129_113:
	s_or_b32 exec_lo, exec_lo, s0
	s_delay_alu instid0(SALU_CYCLE_1)
	s_mov_b32 s0, exec_lo
	v_cmpx_gt_u32_e64 s14, v82
	s_cbranch_execnz .LBB129_146
.LBB129_114:
	s_or_b32 exec_lo, exec_lo, s0
	s_delay_alu instid0(SALU_CYCLE_1)
	s_mov_b32 s0, exec_lo
	v_cmpx_gt_u32_e64 s14, v81
	s_cbranch_execnz .LBB129_147
.LBB129_115:
	s_or_b32 exec_lo, exec_lo, s0
	s_delay_alu instid0(SALU_CYCLE_1)
	s_mov_b32 s0, exec_lo
	v_cmpx_gt_u32_e64 s14, v80
	s_cbranch_execnz .LBB129_148
.LBB129_116:
	s_or_b32 exec_lo, exec_lo, s0
	s_delay_alu instid0(SALU_CYCLE_1)
	s_mov_b32 s0, exec_lo
	v_cmpx_gt_u32_e64 s14, v79
	s_cbranch_execnz .LBB129_149
.LBB129_117:
	s_or_b32 exec_lo, exec_lo, s0
	v_cmp_lt_u64_e64 s0, s[10:11], 2
	s_delay_alu instid0(VALU_DEP_1)
	s_and_b32 vcc_lo, exec_lo, s0
	s_cbranch_vccz .LBB129_150
.LBB129_118:
	s_nop 0
	s_sendmsg sendmsg(MSG_DEALLOC_VGPRS)
	s_endpgm
.LBB129_119:
	global_load_b64 v[33:34], v94, s[4:5]
	v_dual_mov_b32 v1, s36 :: v_dual_mov_b32 v2, s37
	v_dual_mov_b32 v3, s38 :: v_dual_mov_b32 v4, s39
	;; [unrolled: 1-line block ×16, first 2 shown]
	s_or_b32 exec_lo, exec_lo, s3
	s_delay_alu instid0(SALU_CYCLE_1)
	s_mov_b32 s2, exec_lo
	v_cmpx_gt_u32_e64 s14, v93
	s_cbranch_execz .LBB129_5
.LBB129_120:
	global_load_b64 v[3:4], v94, s[4:5] offset:2048
	s_or_b32 exec_lo, exec_lo, s2
	s_delay_alu instid0(SALU_CYCLE_1)
	s_mov_b32 s2, exec_lo
	v_cmpx_gt_u32_e64 s14, v92
	s_cbranch_execz .LBB129_6
.LBB129_121:
	v_lshlrev_b32_e32 v1, 3, v92
	global_load_b64 v[5:6], v1, s[4:5]
	s_or_b32 exec_lo, exec_lo, s2
	s_delay_alu instid0(SALU_CYCLE_1)
	s_mov_b32 s2, exec_lo
	v_cmpx_gt_u32_e64 s14, v91
	s_cbranch_execz .LBB129_7
.LBB129_122:
	v_lshlrev_b32_e32 v1, 3, v91
	global_load_b64 v[7:8], v1, s[4:5]
	s_or_b32 exec_lo, exec_lo, s2
	s_delay_alu instid0(SALU_CYCLE_1)
	s_mov_b32 s2, exec_lo
	v_cmpx_gt_u32_e64 s14, v90
	s_cbranch_execz .LBB129_8
.LBB129_123:
	v_lshlrev_b32_e32 v1, 3, v90
	global_load_b64 v[9:10], v1, s[4:5]
	s_or_b32 exec_lo, exec_lo, s2
	s_delay_alu instid0(SALU_CYCLE_1)
	s_mov_b32 s2, exec_lo
	v_cmpx_gt_u32_e64 s14, v89
	s_cbranch_execz .LBB129_9
.LBB129_124:
	v_lshlrev_b32_e32 v1, 3, v89
	global_load_b64 v[11:12], v1, s[4:5]
	s_or_b32 exec_lo, exec_lo, s2
	s_delay_alu instid0(SALU_CYCLE_1)
	s_mov_b32 s2, exec_lo
	v_cmpx_gt_u32_e64 s14, v88
	s_cbranch_execz .LBB129_10
.LBB129_125:
	v_lshlrev_b32_e32 v1, 3, v88
	global_load_b64 v[13:14], v1, s[4:5]
	s_or_b32 exec_lo, exec_lo, s2
	s_delay_alu instid0(SALU_CYCLE_1)
	s_mov_b32 s2, exec_lo
	v_cmpx_gt_u32_e64 s14, v87
	s_cbranch_execz .LBB129_11
.LBB129_126:
	v_lshlrev_b32_e32 v1, 3, v87
	global_load_b64 v[15:16], v1, s[4:5]
	s_or_b32 exec_lo, exec_lo, s2
	s_delay_alu instid0(SALU_CYCLE_1)
	s_mov_b32 s2, exec_lo
	v_cmpx_gt_u32_e64 s14, v86
	s_cbranch_execz .LBB129_12
.LBB129_127:
	v_lshlrev_b32_e32 v1, 3, v86
	global_load_b64 v[17:18], v1, s[4:5]
	s_or_b32 exec_lo, exec_lo, s2
	s_delay_alu instid0(SALU_CYCLE_1)
	s_mov_b32 s2, exec_lo
	v_cmpx_gt_u32_e64 s14, v85
	s_cbranch_execz .LBB129_13
.LBB129_128:
	v_lshlrev_b32_e32 v1, 3, v85
	global_load_b64 v[19:20], v1, s[4:5]
	s_or_b32 exec_lo, exec_lo, s2
	s_delay_alu instid0(SALU_CYCLE_1)
	s_mov_b32 s2, exec_lo
	v_cmpx_gt_u32_e64 s14, v84
	s_cbranch_execz .LBB129_14
.LBB129_129:
	v_lshlrev_b32_e32 v1, 3, v84
	global_load_b64 v[21:22], v1, s[4:5]
	s_or_b32 exec_lo, exec_lo, s2
	s_delay_alu instid0(SALU_CYCLE_1)
	s_mov_b32 s2, exec_lo
	v_cmpx_gt_u32_e64 s14, v83
	s_cbranch_execz .LBB129_15
.LBB129_130:
	v_lshlrev_b32_e32 v1, 3, v83
	global_load_b64 v[23:24], v1, s[4:5]
	s_or_b32 exec_lo, exec_lo, s2
	s_delay_alu instid0(SALU_CYCLE_1)
	s_mov_b32 s2, exec_lo
	v_cmpx_gt_u32_e64 s14, v82
	s_cbranch_execz .LBB129_16
.LBB129_131:
	v_lshlrev_b32_e32 v1, 3, v82
	global_load_b64 v[25:26], v1, s[4:5]
	s_or_b32 exec_lo, exec_lo, s2
	s_delay_alu instid0(SALU_CYCLE_1)
	s_mov_b32 s2, exec_lo
	v_cmpx_gt_u32_e64 s14, v81
	s_cbranch_execz .LBB129_17
.LBB129_132:
	v_lshlrev_b32_e32 v1, 3, v81
	global_load_b64 v[27:28], v1, s[4:5]
	s_or_b32 exec_lo, exec_lo, s2
	s_delay_alu instid0(SALU_CYCLE_1)
	s_mov_b32 s2, exec_lo
	v_cmpx_gt_u32_e64 s14, v80
	s_cbranch_execz .LBB129_18
.LBB129_133:
	v_lshlrev_b32_e32 v1, 3, v80
	global_load_b64 v[29:30], v1, s[4:5]
	s_or_b32 exec_lo, exec_lo, s2
	s_delay_alu instid0(SALU_CYCLE_1)
	s_mov_b32 s2, exec_lo
	v_cmpx_gt_u32_e64 s14, v79
	s_cbranch_execnz .LBB129_19
	s_branch .LBB129_20
.LBB129_134:
	s_waitcnt lgkmcnt(15)
	global_store_b64 v[34:35], v[4:5], off
	s_or_b32 exec_lo, exec_lo, s0
	s_delay_alu instid0(SALU_CYCLE_1)
	s_mov_b32 s0, exec_lo
	v_cmpx_gt_u32_e64 s14, v93
	s_cbranch_execz .LBB129_103
.LBB129_135:
	s_waitcnt lgkmcnt(14)
	global_store_b64 v[34:35], v[2:3], off offset:2048
	s_or_b32 exec_lo, exec_lo, s0
	s_delay_alu instid0(SALU_CYCLE_1)
	s_mov_b32 s0, exec_lo
	v_cmpx_gt_u32_e64 s14, v92
	s_cbranch_execz .LBB129_104
.LBB129_136:
	v_add_co_u32 v36, vcc_lo, 0x1000, v34
	v_add_co_ci_u32_e32 v37, vcc_lo, 0, v35, vcc_lo
	s_waitcnt lgkmcnt(13)
	global_store_b64 v[36:37], v[6:7], off
	s_or_b32 exec_lo, exec_lo, s0
	s_delay_alu instid0(SALU_CYCLE_1)
	s_mov_b32 s0, exec_lo
	v_cmpx_gt_u32_e64 s14, v91
	s_cbranch_execz .LBB129_105
.LBB129_137:
	v_add_co_u32 v36, vcc_lo, 0x1000, v34
	v_add_co_ci_u32_e32 v37, vcc_lo, 0, v35, vcc_lo
	s_waitcnt lgkmcnt(12)
	global_store_b64 v[36:37], v[8:9], off offset:2048
	s_or_b32 exec_lo, exec_lo, s0
	s_delay_alu instid0(SALU_CYCLE_1)
	s_mov_b32 s0, exec_lo
	v_cmpx_gt_u32_e64 s14, v90
	s_cbranch_execz .LBB129_106
.LBB129_138:
	v_add_co_u32 v36, vcc_lo, 0x2000, v34
	v_add_co_ci_u32_e32 v37, vcc_lo, 0, v35, vcc_lo
	s_waitcnt lgkmcnt(11)
	global_store_b64 v[36:37], v[10:11], off
	s_or_b32 exec_lo, exec_lo, s0
	s_delay_alu instid0(SALU_CYCLE_1)
	s_mov_b32 s0, exec_lo
	v_cmpx_gt_u32_e64 s14, v89
	s_cbranch_execz .LBB129_107
.LBB129_139:
	v_add_co_u32 v36, vcc_lo, 0x2000, v34
	v_add_co_ci_u32_e32 v37, vcc_lo, 0, v35, vcc_lo
	s_waitcnt lgkmcnt(10)
	global_store_b64 v[36:37], v[12:13], off offset:2048
	s_or_b32 exec_lo, exec_lo, s0
	s_delay_alu instid0(SALU_CYCLE_1)
	s_mov_b32 s0, exec_lo
	v_cmpx_gt_u32_e64 s14, v88
	s_cbranch_execz .LBB129_108
.LBB129_140:
	v_add_co_u32 v36, vcc_lo, 0x3000, v34
	v_add_co_ci_u32_e32 v37, vcc_lo, 0, v35, vcc_lo
	s_waitcnt lgkmcnt(9)
	global_store_b64 v[36:37], v[14:15], off
	s_or_b32 exec_lo, exec_lo, s0
	s_delay_alu instid0(SALU_CYCLE_1)
	s_mov_b32 s0, exec_lo
	v_cmpx_gt_u32_e64 s14, v87
	s_cbranch_execz .LBB129_109
.LBB129_141:
	v_add_co_u32 v36, vcc_lo, 0x3000, v34
	v_add_co_ci_u32_e32 v37, vcc_lo, 0, v35, vcc_lo
	s_waitcnt lgkmcnt(8)
	global_store_b64 v[36:37], v[16:17], off offset:2048
	s_or_b32 exec_lo, exec_lo, s0
	s_delay_alu instid0(SALU_CYCLE_1)
	s_mov_b32 s0, exec_lo
	v_cmpx_gt_u32_e64 s14, v86
	s_cbranch_execz .LBB129_110
.LBB129_142:
	v_add_co_u32 v36, vcc_lo, 0x4000, v34
	v_add_co_ci_u32_e32 v37, vcc_lo, 0, v35, vcc_lo
	s_waitcnt lgkmcnt(7)
	global_store_b64 v[36:37], v[18:19], off
	s_or_b32 exec_lo, exec_lo, s0
	s_delay_alu instid0(SALU_CYCLE_1)
	s_mov_b32 s0, exec_lo
	v_cmpx_gt_u32_e64 s14, v85
	s_cbranch_execz .LBB129_111
.LBB129_143:
	v_add_co_u32 v36, vcc_lo, 0x4000, v34
	v_add_co_ci_u32_e32 v37, vcc_lo, 0, v35, vcc_lo
	s_waitcnt lgkmcnt(6)
	global_store_b64 v[36:37], v[20:21], off offset:2048
	s_or_b32 exec_lo, exec_lo, s0
	s_delay_alu instid0(SALU_CYCLE_1)
	s_mov_b32 s0, exec_lo
	v_cmpx_gt_u32_e64 s14, v84
	s_cbranch_execz .LBB129_112
.LBB129_144:
	v_add_co_u32 v36, vcc_lo, 0x5000, v34
	v_add_co_ci_u32_e32 v37, vcc_lo, 0, v35, vcc_lo
	s_waitcnt lgkmcnt(5)
	global_store_b64 v[36:37], v[22:23], off
	s_or_b32 exec_lo, exec_lo, s0
	s_delay_alu instid0(SALU_CYCLE_1)
	s_mov_b32 s0, exec_lo
	v_cmpx_gt_u32_e64 s14, v83
	s_cbranch_execz .LBB129_113
.LBB129_145:
	v_add_co_u32 v36, vcc_lo, 0x5000, v34
	v_add_co_ci_u32_e32 v37, vcc_lo, 0, v35, vcc_lo
	s_waitcnt lgkmcnt(4)
	global_store_b64 v[36:37], v[24:25], off offset:2048
	s_or_b32 exec_lo, exec_lo, s0
	s_delay_alu instid0(SALU_CYCLE_1)
	s_mov_b32 s0, exec_lo
	v_cmpx_gt_u32_e64 s14, v82
	s_cbranch_execz .LBB129_114
.LBB129_146:
	v_add_co_u32 v36, vcc_lo, 0x6000, v34
	v_add_co_ci_u32_e32 v37, vcc_lo, 0, v35, vcc_lo
	s_waitcnt lgkmcnt(3)
	global_store_b64 v[36:37], v[26:27], off
	s_or_b32 exec_lo, exec_lo, s0
	s_delay_alu instid0(SALU_CYCLE_1)
	s_mov_b32 s0, exec_lo
	v_cmpx_gt_u32_e64 s14, v81
	s_cbranch_execz .LBB129_115
.LBB129_147:
	v_add_co_u32 v36, vcc_lo, 0x6000, v34
	v_add_co_ci_u32_e32 v37, vcc_lo, 0, v35, vcc_lo
	s_waitcnt lgkmcnt(2)
	global_store_b64 v[36:37], v[28:29], off offset:2048
	s_or_b32 exec_lo, exec_lo, s0
	s_delay_alu instid0(SALU_CYCLE_1)
	s_mov_b32 s0, exec_lo
	v_cmpx_gt_u32_e64 s14, v80
	s_cbranch_execz .LBB129_116
.LBB129_148:
	v_add_co_u32 v36, vcc_lo, 0x7000, v34
	v_add_co_ci_u32_e32 v37, vcc_lo, 0, v35, vcc_lo
	s_waitcnt lgkmcnt(1)
	global_store_b64 v[36:37], v[30:31], off
	s_or_b32 exec_lo, exec_lo, s0
	s_delay_alu instid0(SALU_CYCLE_1)
	s_mov_b32 s0, exec_lo
	v_cmpx_gt_u32_e64 s14, v79
	s_cbranch_execz .LBB129_117
.LBB129_149:
	v_add_co_u32 v34, vcc_lo, 0x7000, v34
	v_add_co_ci_u32_e32 v35, vcc_lo, 0, v35, vcc_lo
	s_waitcnt lgkmcnt(0)
	global_store_b64 v[34:35], v[32:33], off offset:2048
	s_or_b32 exec_lo, exec_lo, s0
	v_cmp_lt_u64_e64 s0, s[10:11], 2
	s_delay_alu instid0(VALU_DEP_1)
	s_and_b32 vcc_lo, exec_lo, s0
	s_cbranch_vccnz .LBB129_118
.LBB129_150:
	s_add_u32 s0, s14, -1
	s_addc_u32 s1, s22, -1
	s_delay_alu instid0(SALU_CYCLE_1)
	s_lshr_b64 s[2:3], s[0:1], 4
	s_mov_b32 s1, exec_lo
	v_cmpx_eq_u64_e64 s[2:3], v[0:1]
	s_cbranch_execz .LBB129_118
; %bb.151:
	s_and_b32 s0, s0, 15
	s_mov_b32 s1, 0
	s_delay_alu instid0(SALU_CYCLE_1) | instskip(NEXT) | instid1(VALU_DEP_1)
	v_cmp_lt_i64_e64 s2, s[0:1], 8
	s_and_b32 vcc_lo, exec_lo, s2
	s_mov_b32 s2, -1
	s_cbranch_vccnz .LBB129_178
; %bb.152:
	v_cmp_lt_i64_e64 s2, s[0:1], 12
	s_delay_alu instid0(VALU_DEP_1)
	s_and_b32 vcc_lo, exec_lo, s2
	s_mov_b32 s2, -1
	s_cbranch_vccnz .LBB129_165
; %bb.153:
	v_cmp_lt_i64_e64 s2, s[0:1], 14
	s_delay_alu instid0(VALU_DEP_1)
	s_and_b32 vcc_lo, exec_lo, s2
	s_mov_b32 s2, -1
	s_cbranch_vccnz .LBB129_159
; %bb.154:
	v_cmp_gt_i64_e64 s2, s[0:1], 14
	s_delay_alu instid0(VALU_DEP_1)
	s_and_b32 vcc_lo, exec_lo, s2
	s_mov_b32 s2, -1
	s_cbranch_vccz .LBB129_156
; %bb.155:
	v_mov_b32_e32 v0, 0
	s_mov_b32 s2, 0
	s_waitcnt lgkmcnt(0)
	global_store_b64 v0, v[32:33], s[6:7]
.LBB129_156:
	s_and_not1_b32 vcc_lo, exec_lo, s2
	s_cbranch_vccnz .LBB129_158
; %bb.157:
	v_mov_b32_e32 v0, 0
	s_waitcnt lgkmcnt(1)
	global_store_b64 v0, v[30:31], s[6:7]
.LBB129_158:
	s_mov_b32 s2, 0
.LBB129_159:
	s_delay_alu instid0(SALU_CYCLE_1)
	s_and_not1_b32 vcc_lo, exec_lo, s2
	s_cbranch_vccnz .LBB129_164
; %bb.160:
	v_cmp_gt_i64_e64 s2, s[0:1], 12
	s_delay_alu instid0(VALU_DEP_1)
	s_and_b32 vcc_lo, exec_lo, s2
	s_mov_b32 s2, -1
	s_cbranch_vccz .LBB129_162
; %bb.161:
	v_mov_b32_e32 v0, 0
	s_mov_b32 s2, 0
	s_waitcnt lgkmcnt(2)
	global_store_b64 v0, v[28:29], s[6:7]
.LBB129_162:
	s_and_not1_b32 vcc_lo, exec_lo, s2
	s_cbranch_vccnz .LBB129_164
; %bb.163:
	v_mov_b32_e32 v0, 0
	s_waitcnt lgkmcnt(3)
	global_store_b64 v0, v[26:27], s[6:7]
.LBB129_164:
	s_mov_b32 s2, 0
.LBB129_165:
	s_delay_alu instid0(SALU_CYCLE_1)
	s_and_not1_b32 vcc_lo, exec_lo, s2
	s_cbranch_vccnz .LBB129_177
; %bb.166:
	v_cmp_lt_i64_e64 s2, s[0:1], 10
	s_delay_alu instid0(VALU_DEP_1)
	s_and_b32 vcc_lo, exec_lo, s2
	s_mov_b32 s2, -1
	s_cbranch_vccnz .LBB129_172
; %bb.167:
	v_cmp_gt_i64_e64 s2, s[0:1], 10
	s_delay_alu instid0(VALU_DEP_1)
	s_and_b32 vcc_lo, exec_lo, s2
	s_mov_b32 s2, -1
	s_cbranch_vccz .LBB129_169
; %bb.168:
	v_mov_b32_e32 v0, 0
	s_mov_b32 s2, 0
	s_waitcnt lgkmcnt(4)
	global_store_b64 v0, v[24:25], s[6:7]
.LBB129_169:
	s_and_not1_b32 vcc_lo, exec_lo, s2
	s_cbranch_vccnz .LBB129_171
; %bb.170:
	v_mov_b32_e32 v0, 0
	s_waitcnt lgkmcnt(5)
	global_store_b64 v0, v[22:23], s[6:7]
.LBB129_171:
	s_mov_b32 s2, 0
.LBB129_172:
	s_delay_alu instid0(SALU_CYCLE_1)
	s_and_not1_b32 vcc_lo, exec_lo, s2
	s_cbranch_vccnz .LBB129_177
; %bb.173:
	v_cmp_gt_i64_e64 s2, s[0:1], 8
	s_delay_alu instid0(VALU_DEP_1)
	s_and_b32 vcc_lo, exec_lo, s2
	s_mov_b32 s2, -1
	s_cbranch_vccz .LBB129_175
; %bb.174:
	v_mov_b32_e32 v0, 0
	s_mov_b32 s2, 0
	s_waitcnt lgkmcnt(6)
	global_store_b64 v0, v[20:21], s[6:7]
.LBB129_175:
	s_and_not1_b32 vcc_lo, exec_lo, s2
	s_cbranch_vccnz .LBB129_177
; %bb.176:
	v_mov_b32_e32 v0, 0
	s_waitcnt lgkmcnt(7)
	global_store_b64 v0, v[18:19], s[6:7]
.LBB129_177:
	s_mov_b32 s2, 0
.LBB129_178:
	s_delay_alu instid0(SALU_CYCLE_1)
	s_and_not1_b32 vcc_lo, exec_lo, s2
	s_cbranch_vccnz .LBB129_118
; %bb.179:
	v_cmp_lt_i64_e64 s2, s[0:1], 4
	s_delay_alu instid0(VALU_DEP_1)
	s_and_b32 vcc_lo, exec_lo, s2
	s_mov_b32 s2, -1
	s_cbranch_vccnz .LBB129_192
; %bb.180:
	v_cmp_lt_i64_e64 s2, s[0:1], 6
	s_delay_alu instid0(VALU_DEP_1)
	s_and_b32 vcc_lo, exec_lo, s2
	s_mov_b32 s2, -1
	s_cbranch_vccnz .LBB129_186
; %bb.181:
	v_cmp_gt_i64_e64 s2, s[0:1], 6
	s_delay_alu instid0(VALU_DEP_1)
	s_and_b32 vcc_lo, exec_lo, s2
	s_mov_b32 s2, -1
	s_cbranch_vccz .LBB129_183
; %bb.182:
	v_mov_b32_e32 v0, 0
	s_mov_b32 s2, 0
	s_waitcnt lgkmcnt(8)
	global_store_b64 v0, v[16:17], s[6:7]
.LBB129_183:
	s_and_not1_b32 vcc_lo, exec_lo, s2
	s_cbranch_vccnz .LBB129_185
; %bb.184:
	v_mov_b32_e32 v0, 0
	s_waitcnt lgkmcnt(9)
	global_store_b64 v0, v[14:15], s[6:7]
.LBB129_185:
	s_mov_b32 s2, 0
.LBB129_186:
	s_delay_alu instid0(SALU_CYCLE_1)
	s_and_not1_b32 vcc_lo, exec_lo, s2
	s_cbranch_vccnz .LBB129_191
; %bb.187:
	v_cmp_gt_i64_e64 s2, s[0:1], 4
	s_delay_alu instid0(VALU_DEP_1)
	s_and_b32 vcc_lo, exec_lo, s2
	s_mov_b32 s2, -1
	s_cbranch_vccz .LBB129_189
; %bb.188:
	v_mov_b32_e32 v0, 0
	s_mov_b32 s2, 0
	s_waitcnt lgkmcnt(10)
	global_store_b64 v0, v[12:13], s[6:7]
.LBB129_189:
	s_and_not1_b32 vcc_lo, exec_lo, s2
	s_cbranch_vccnz .LBB129_191
; %bb.190:
	v_mov_b32_e32 v0, 0
	s_waitcnt lgkmcnt(11)
	global_store_b64 v0, v[10:11], s[6:7]
.LBB129_191:
	s_mov_b32 s2, 0
.LBB129_192:
	s_delay_alu instid0(SALU_CYCLE_1)
	s_and_not1_b32 vcc_lo, exec_lo, s2
	s_cbranch_vccnz .LBB129_118
; %bb.193:
	v_cmp_lt_i64_e64 s2, s[0:1], 2
	s_delay_alu instid0(VALU_DEP_1)
	s_and_b32 vcc_lo, exec_lo, s2
	s_mov_b32 s2, -1
	s_cbranch_vccnz .LBB129_199
; %bb.194:
	v_cmp_gt_i64_e64 s2, s[0:1], 2
	s_delay_alu instid0(VALU_DEP_1)
	s_and_b32 vcc_lo, exec_lo, s2
	s_mov_b32 s2, -1
	s_cbranch_vccz .LBB129_196
; %bb.195:
	v_mov_b32_e32 v0, 0
	s_mov_b32 s2, 0
	s_waitcnt lgkmcnt(12)
	global_store_b64 v0, v[8:9], s[6:7]
.LBB129_196:
	s_and_not1_b32 vcc_lo, exec_lo, s2
	s_cbranch_vccnz .LBB129_198
; %bb.197:
	v_mov_b32_e32 v0, 0
	s_waitcnt lgkmcnt(13)
	global_store_b64 v0, v[6:7], s[6:7]
.LBB129_198:
	s_mov_b32 s2, 0
.LBB129_199:
	s_delay_alu instid0(SALU_CYCLE_1)
	s_and_not1_b32 vcc_lo, exec_lo, s2
	s_cbranch_vccnz .LBB129_118
; %bb.200:
	s_cmp_eq_u64 s[0:1], 1
	s_mov_b32 s0, -1
	s_cbranch_scc1 .LBB129_202
; %bb.201:
	v_mov_b32_e32 v0, 0
	s_mov_b32 s0, 0
	s_waitcnt lgkmcnt(15)
	global_store_b64 v0, v[4:5], s[6:7]
.LBB129_202:
	s_and_not1_b32 vcc_lo, exec_lo, s0
	s_cbranch_vccnz .LBB129_118
; %bb.203:
	v_mov_b32_e32 v0, 0
	s_waitcnt lgkmcnt(14)
	global_store_b64 v0, v[2:3], s[6:7]
	s_nop 0
	s_sendmsg sendmsg(MSG_DEALLOC_VGPRS)
	s_endpgm
	.section	.rodata,"a",@progbits
	.p2align	6, 0x0
	.amdhsa_kernel _ZN7rocprim17ROCPRIM_400000_NS6detail17trampoline_kernelINS0_14default_configENS1_20scan_config_selectorIlEEZZNS1_9scan_implILNS1_25lookback_scan_determinismE0ELb0ELb0ES3_PlS8_lN6thrust23THRUST_200600_302600_NS4plusIvEElEEDaPvRmT3_T4_T5_mT6_P12ihipStream_tbENKUlT_T0_E_clISt17integral_constantIbLb1EESP_IbLb0EEEEDaSL_SM_EUlSL_E_NS1_11comp_targetILNS1_3genE9ELNS1_11target_archE1100ELNS1_3gpuE3ELNS1_3repE0EEENS1_30default_config_static_selectorELNS0_4arch9wavefront6targetE0EEEvT1_
		.amdhsa_group_segment_fixed_size 33792
		.amdhsa_private_segment_fixed_size 0
		.amdhsa_kernarg_size 104
		.amdhsa_user_sgpr_count 15
		.amdhsa_user_sgpr_dispatch_ptr 0
		.amdhsa_user_sgpr_queue_ptr 0
		.amdhsa_user_sgpr_kernarg_segment_ptr 1
		.amdhsa_user_sgpr_dispatch_id 0
		.amdhsa_user_sgpr_private_segment_size 0
		.amdhsa_wavefront_size32 1
		.amdhsa_uses_dynamic_stack 0
		.amdhsa_enable_private_segment 0
		.amdhsa_system_sgpr_workgroup_id_x 1
		.amdhsa_system_sgpr_workgroup_id_y 0
		.amdhsa_system_sgpr_workgroup_id_z 0
		.amdhsa_system_sgpr_workgroup_info 0
		.amdhsa_system_vgpr_workitem_id 0
		.amdhsa_next_free_vgpr 109
		.amdhsa_next_free_sgpr 68
		.amdhsa_reserve_vcc 1
		.amdhsa_float_round_mode_32 0
		.amdhsa_float_round_mode_16_64 0
		.amdhsa_float_denorm_mode_32 3
		.amdhsa_float_denorm_mode_16_64 3
		.amdhsa_dx10_clamp 1
		.amdhsa_ieee_mode 1
		.amdhsa_fp16_overflow 0
		.amdhsa_workgroup_processor_mode 1
		.amdhsa_memory_ordered 1
		.amdhsa_forward_progress 0
		.amdhsa_shared_vgpr_count 0
		.amdhsa_exception_fp_ieee_invalid_op 0
		.amdhsa_exception_fp_denorm_src 0
		.amdhsa_exception_fp_ieee_div_zero 0
		.amdhsa_exception_fp_ieee_overflow 0
		.amdhsa_exception_fp_ieee_underflow 0
		.amdhsa_exception_fp_ieee_inexact 0
		.amdhsa_exception_int_div_zero 0
	.end_amdhsa_kernel
	.section	.text._ZN7rocprim17ROCPRIM_400000_NS6detail17trampoline_kernelINS0_14default_configENS1_20scan_config_selectorIlEEZZNS1_9scan_implILNS1_25lookback_scan_determinismE0ELb0ELb0ES3_PlS8_lN6thrust23THRUST_200600_302600_NS4plusIvEElEEDaPvRmT3_T4_T5_mT6_P12ihipStream_tbENKUlT_T0_E_clISt17integral_constantIbLb1EESP_IbLb0EEEEDaSL_SM_EUlSL_E_NS1_11comp_targetILNS1_3genE9ELNS1_11target_archE1100ELNS1_3gpuE3ELNS1_3repE0EEENS1_30default_config_static_selectorELNS0_4arch9wavefront6targetE0EEEvT1_,"axG",@progbits,_ZN7rocprim17ROCPRIM_400000_NS6detail17trampoline_kernelINS0_14default_configENS1_20scan_config_selectorIlEEZZNS1_9scan_implILNS1_25lookback_scan_determinismE0ELb0ELb0ES3_PlS8_lN6thrust23THRUST_200600_302600_NS4plusIvEElEEDaPvRmT3_T4_T5_mT6_P12ihipStream_tbENKUlT_T0_E_clISt17integral_constantIbLb1EESP_IbLb0EEEEDaSL_SM_EUlSL_E_NS1_11comp_targetILNS1_3genE9ELNS1_11target_archE1100ELNS1_3gpuE3ELNS1_3repE0EEENS1_30default_config_static_selectorELNS0_4arch9wavefront6targetE0EEEvT1_,comdat
.Lfunc_end129:
	.size	_ZN7rocprim17ROCPRIM_400000_NS6detail17trampoline_kernelINS0_14default_configENS1_20scan_config_selectorIlEEZZNS1_9scan_implILNS1_25lookback_scan_determinismE0ELb0ELb0ES3_PlS8_lN6thrust23THRUST_200600_302600_NS4plusIvEElEEDaPvRmT3_T4_T5_mT6_P12ihipStream_tbENKUlT_T0_E_clISt17integral_constantIbLb1EESP_IbLb0EEEEDaSL_SM_EUlSL_E_NS1_11comp_targetILNS1_3genE9ELNS1_11target_archE1100ELNS1_3gpuE3ELNS1_3repE0EEENS1_30default_config_static_selectorELNS0_4arch9wavefront6targetE0EEEvT1_, .Lfunc_end129-_ZN7rocprim17ROCPRIM_400000_NS6detail17trampoline_kernelINS0_14default_configENS1_20scan_config_selectorIlEEZZNS1_9scan_implILNS1_25lookback_scan_determinismE0ELb0ELb0ES3_PlS8_lN6thrust23THRUST_200600_302600_NS4plusIvEElEEDaPvRmT3_T4_T5_mT6_P12ihipStream_tbENKUlT_T0_E_clISt17integral_constantIbLb1EESP_IbLb0EEEEDaSL_SM_EUlSL_E_NS1_11comp_targetILNS1_3genE9ELNS1_11target_archE1100ELNS1_3gpuE3ELNS1_3repE0EEENS1_30default_config_static_selectorELNS0_4arch9wavefront6targetE0EEEvT1_
                                        ; -- End function
	.section	.AMDGPU.csdata,"",@progbits
; Kernel info:
; codeLenInByte = 11636
; NumSgprs: 70
; NumVgprs: 109
; ScratchSize: 0
; MemoryBound: 0
; FloatMode: 240
; IeeeMode: 1
; LDSByteSize: 33792 bytes/workgroup (compile time only)
; SGPRBlocks: 8
; VGPRBlocks: 13
; NumSGPRsForWavesPerEU: 70
; NumVGPRsForWavesPerEU: 109
; Occupancy: 6
; WaveLimiterHint : 1
; COMPUTE_PGM_RSRC2:SCRATCH_EN: 0
; COMPUTE_PGM_RSRC2:USER_SGPR: 15
; COMPUTE_PGM_RSRC2:TRAP_HANDLER: 0
; COMPUTE_PGM_RSRC2:TGID_X_EN: 1
; COMPUTE_PGM_RSRC2:TGID_Y_EN: 0
; COMPUTE_PGM_RSRC2:TGID_Z_EN: 0
; COMPUTE_PGM_RSRC2:TIDIG_COMP_CNT: 0
	.section	.text._ZN7rocprim17ROCPRIM_400000_NS6detail17trampoline_kernelINS0_14default_configENS1_20scan_config_selectorIlEEZZNS1_9scan_implILNS1_25lookback_scan_determinismE0ELb0ELb0ES3_PlS8_lN6thrust23THRUST_200600_302600_NS4plusIvEElEEDaPvRmT3_T4_T5_mT6_P12ihipStream_tbENKUlT_T0_E_clISt17integral_constantIbLb1EESP_IbLb0EEEEDaSL_SM_EUlSL_E_NS1_11comp_targetILNS1_3genE8ELNS1_11target_archE1030ELNS1_3gpuE2ELNS1_3repE0EEENS1_30default_config_static_selectorELNS0_4arch9wavefront6targetE0EEEvT1_,"axG",@progbits,_ZN7rocprim17ROCPRIM_400000_NS6detail17trampoline_kernelINS0_14default_configENS1_20scan_config_selectorIlEEZZNS1_9scan_implILNS1_25lookback_scan_determinismE0ELb0ELb0ES3_PlS8_lN6thrust23THRUST_200600_302600_NS4plusIvEElEEDaPvRmT3_T4_T5_mT6_P12ihipStream_tbENKUlT_T0_E_clISt17integral_constantIbLb1EESP_IbLb0EEEEDaSL_SM_EUlSL_E_NS1_11comp_targetILNS1_3genE8ELNS1_11target_archE1030ELNS1_3gpuE2ELNS1_3repE0EEENS1_30default_config_static_selectorELNS0_4arch9wavefront6targetE0EEEvT1_,comdat
	.protected	_ZN7rocprim17ROCPRIM_400000_NS6detail17trampoline_kernelINS0_14default_configENS1_20scan_config_selectorIlEEZZNS1_9scan_implILNS1_25lookback_scan_determinismE0ELb0ELb0ES3_PlS8_lN6thrust23THRUST_200600_302600_NS4plusIvEElEEDaPvRmT3_T4_T5_mT6_P12ihipStream_tbENKUlT_T0_E_clISt17integral_constantIbLb1EESP_IbLb0EEEEDaSL_SM_EUlSL_E_NS1_11comp_targetILNS1_3genE8ELNS1_11target_archE1030ELNS1_3gpuE2ELNS1_3repE0EEENS1_30default_config_static_selectorELNS0_4arch9wavefront6targetE0EEEvT1_ ; -- Begin function _ZN7rocprim17ROCPRIM_400000_NS6detail17trampoline_kernelINS0_14default_configENS1_20scan_config_selectorIlEEZZNS1_9scan_implILNS1_25lookback_scan_determinismE0ELb0ELb0ES3_PlS8_lN6thrust23THRUST_200600_302600_NS4plusIvEElEEDaPvRmT3_T4_T5_mT6_P12ihipStream_tbENKUlT_T0_E_clISt17integral_constantIbLb1EESP_IbLb0EEEEDaSL_SM_EUlSL_E_NS1_11comp_targetILNS1_3genE8ELNS1_11target_archE1030ELNS1_3gpuE2ELNS1_3repE0EEENS1_30default_config_static_selectorELNS0_4arch9wavefront6targetE0EEEvT1_
	.globl	_ZN7rocprim17ROCPRIM_400000_NS6detail17trampoline_kernelINS0_14default_configENS1_20scan_config_selectorIlEEZZNS1_9scan_implILNS1_25lookback_scan_determinismE0ELb0ELb0ES3_PlS8_lN6thrust23THRUST_200600_302600_NS4plusIvEElEEDaPvRmT3_T4_T5_mT6_P12ihipStream_tbENKUlT_T0_E_clISt17integral_constantIbLb1EESP_IbLb0EEEEDaSL_SM_EUlSL_E_NS1_11comp_targetILNS1_3genE8ELNS1_11target_archE1030ELNS1_3gpuE2ELNS1_3repE0EEENS1_30default_config_static_selectorELNS0_4arch9wavefront6targetE0EEEvT1_
	.p2align	8
	.type	_ZN7rocprim17ROCPRIM_400000_NS6detail17trampoline_kernelINS0_14default_configENS1_20scan_config_selectorIlEEZZNS1_9scan_implILNS1_25lookback_scan_determinismE0ELb0ELb0ES3_PlS8_lN6thrust23THRUST_200600_302600_NS4plusIvEElEEDaPvRmT3_T4_T5_mT6_P12ihipStream_tbENKUlT_T0_E_clISt17integral_constantIbLb1EESP_IbLb0EEEEDaSL_SM_EUlSL_E_NS1_11comp_targetILNS1_3genE8ELNS1_11target_archE1030ELNS1_3gpuE2ELNS1_3repE0EEENS1_30default_config_static_selectorELNS0_4arch9wavefront6targetE0EEEvT1_,@function
_ZN7rocprim17ROCPRIM_400000_NS6detail17trampoline_kernelINS0_14default_configENS1_20scan_config_selectorIlEEZZNS1_9scan_implILNS1_25lookback_scan_determinismE0ELb0ELb0ES3_PlS8_lN6thrust23THRUST_200600_302600_NS4plusIvEElEEDaPvRmT3_T4_T5_mT6_P12ihipStream_tbENKUlT_T0_E_clISt17integral_constantIbLb1EESP_IbLb0EEEEDaSL_SM_EUlSL_E_NS1_11comp_targetILNS1_3genE8ELNS1_11target_archE1030ELNS1_3gpuE2ELNS1_3repE0EEENS1_30default_config_static_selectorELNS0_4arch9wavefront6targetE0EEEvT1_: ; @_ZN7rocprim17ROCPRIM_400000_NS6detail17trampoline_kernelINS0_14default_configENS1_20scan_config_selectorIlEEZZNS1_9scan_implILNS1_25lookback_scan_determinismE0ELb0ELb0ES3_PlS8_lN6thrust23THRUST_200600_302600_NS4plusIvEElEEDaPvRmT3_T4_T5_mT6_P12ihipStream_tbENKUlT_T0_E_clISt17integral_constantIbLb1EESP_IbLb0EEEEDaSL_SM_EUlSL_E_NS1_11comp_targetILNS1_3genE8ELNS1_11target_archE1030ELNS1_3gpuE2ELNS1_3repE0EEENS1_30default_config_static_selectorELNS0_4arch9wavefront6targetE0EEEvT1_
; %bb.0:
	.section	.rodata,"a",@progbits
	.p2align	6, 0x0
	.amdhsa_kernel _ZN7rocprim17ROCPRIM_400000_NS6detail17trampoline_kernelINS0_14default_configENS1_20scan_config_selectorIlEEZZNS1_9scan_implILNS1_25lookback_scan_determinismE0ELb0ELb0ES3_PlS8_lN6thrust23THRUST_200600_302600_NS4plusIvEElEEDaPvRmT3_T4_T5_mT6_P12ihipStream_tbENKUlT_T0_E_clISt17integral_constantIbLb1EESP_IbLb0EEEEDaSL_SM_EUlSL_E_NS1_11comp_targetILNS1_3genE8ELNS1_11target_archE1030ELNS1_3gpuE2ELNS1_3repE0EEENS1_30default_config_static_selectorELNS0_4arch9wavefront6targetE0EEEvT1_
		.amdhsa_group_segment_fixed_size 0
		.amdhsa_private_segment_fixed_size 0
		.amdhsa_kernarg_size 104
		.amdhsa_user_sgpr_count 15
		.amdhsa_user_sgpr_dispatch_ptr 0
		.amdhsa_user_sgpr_queue_ptr 0
		.amdhsa_user_sgpr_kernarg_segment_ptr 1
		.amdhsa_user_sgpr_dispatch_id 0
		.amdhsa_user_sgpr_private_segment_size 0
		.amdhsa_wavefront_size32 1
		.amdhsa_uses_dynamic_stack 0
		.amdhsa_enable_private_segment 0
		.amdhsa_system_sgpr_workgroup_id_x 1
		.amdhsa_system_sgpr_workgroup_id_y 0
		.amdhsa_system_sgpr_workgroup_id_z 0
		.amdhsa_system_sgpr_workgroup_info 0
		.amdhsa_system_vgpr_workitem_id 0
		.amdhsa_next_free_vgpr 1
		.amdhsa_next_free_sgpr 1
		.amdhsa_reserve_vcc 0
		.amdhsa_float_round_mode_32 0
		.amdhsa_float_round_mode_16_64 0
		.amdhsa_float_denorm_mode_32 3
		.amdhsa_float_denorm_mode_16_64 3
		.amdhsa_dx10_clamp 1
		.amdhsa_ieee_mode 1
		.amdhsa_fp16_overflow 0
		.amdhsa_workgroup_processor_mode 1
		.amdhsa_memory_ordered 1
		.amdhsa_forward_progress 0
		.amdhsa_shared_vgpr_count 0
		.amdhsa_exception_fp_ieee_invalid_op 0
		.amdhsa_exception_fp_denorm_src 0
		.amdhsa_exception_fp_ieee_div_zero 0
		.amdhsa_exception_fp_ieee_overflow 0
		.amdhsa_exception_fp_ieee_underflow 0
		.amdhsa_exception_fp_ieee_inexact 0
		.amdhsa_exception_int_div_zero 0
	.end_amdhsa_kernel
	.section	.text._ZN7rocprim17ROCPRIM_400000_NS6detail17trampoline_kernelINS0_14default_configENS1_20scan_config_selectorIlEEZZNS1_9scan_implILNS1_25lookback_scan_determinismE0ELb0ELb0ES3_PlS8_lN6thrust23THRUST_200600_302600_NS4plusIvEElEEDaPvRmT3_T4_T5_mT6_P12ihipStream_tbENKUlT_T0_E_clISt17integral_constantIbLb1EESP_IbLb0EEEEDaSL_SM_EUlSL_E_NS1_11comp_targetILNS1_3genE8ELNS1_11target_archE1030ELNS1_3gpuE2ELNS1_3repE0EEENS1_30default_config_static_selectorELNS0_4arch9wavefront6targetE0EEEvT1_,"axG",@progbits,_ZN7rocprim17ROCPRIM_400000_NS6detail17trampoline_kernelINS0_14default_configENS1_20scan_config_selectorIlEEZZNS1_9scan_implILNS1_25lookback_scan_determinismE0ELb0ELb0ES3_PlS8_lN6thrust23THRUST_200600_302600_NS4plusIvEElEEDaPvRmT3_T4_T5_mT6_P12ihipStream_tbENKUlT_T0_E_clISt17integral_constantIbLb1EESP_IbLb0EEEEDaSL_SM_EUlSL_E_NS1_11comp_targetILNS1_3genE8ELNS1_11target_archE1030ELNS1_3gpuE2ELNS1_3repE0EEENS1_30default_config_static_selectorELNS0_4arch9wavefront6targetE0EEEvT1_,comdat
.Lfunc_end130:
	.size	_ZN7rocprim17ROCPRIM_400000_NS6detail17trampoline_kernelINS0_14default_configENS1_20scan_config_selectorIlEEZZNS1_9scan_implILNS1_25lookback_scan_determinismE0ELb0ELb0ES3_PlS8_lN6thrust23THRUST_200600_302600_NS4plusIvEElEEDaPvRmT3_T4_T5_mT6_P12ihipStream_tbENKUlT_T0_E_clISt17integral_constantIbLb1EESP_IbLb0EEEEDaSL_SM_EUlSL_E_NS1_11comp_targetILNS1_3genE8ELNS1_11target_archE1030ELNS1_3gpuE2ELNS1_3repE0EEENS1_30default_config_static_selectorELNS0_4arch9wavefront6targetE0EEEvT1_, .Lfunc_end130-_ZN7rocprim17ROCPRIM_400000_NS6detail17trampoline_kernelINS0_14default_configENS1_20scan_config_selectorIlEEZZNS1_9scan_implILNS1_25lookback_scan_determinismE0ELb0ELb0ES3_PlS8_lN6thrust23THRUST_200600_302600_NS4plusIvEElEEDaPvRmT3_T4_T5_mT6_P12ihipStream_tbENKUlT_T0_E_clISt17integral_constantIbLb1EESP_IbLb0EEEEDaSL_SM_EUlSL_E_NS1_11comp_targetILNS1_3genE8ELNS1_11target_archE1030ELNS1_3gpuE2ELNS1_3repE0EEENS1_30default_config_static_selectorELNS0_4arch9wavefront6targetE0EEEvT1_
                                        ; -- End function
	.section	.AMDGPU.csdata,"",@progbits
; Kernel info:
; codeLenInByte = 0
; NumSgprs: 0
; NumVgprs: 0
; ScratchSize: 0
; MemoryBound: 0
; FloatMode: 240
; IeeeMode: 1
; LDSByteSize: 0 bytes/workgroup (compile time only)
; SGPRBlocks: 0
; VGPRBlocks: 0
; NumSGPRsForWavesPerEU: 1
; NumVGPRsForWavesPerEU: 1
; Occupancy: 16
; WaveLimiterHint : 0
; COMPUTE_PGM_RSRC2:SCRATCH_EN: 0
; COMPUTE_PGM_RSRC2:USER_SGPR: 15
; COMPUTE_PGM_RSRC2:TRAP_HANDLER: 0
; COMPUTE_PGM_RSRC2:TGID_X_EN: 1
; COMPUTE_PGM_RSRC2:TGID_Y_EN: 0
; COMPUTE_PGM_RSRC2:TGID_Z_EN: 0
; COMPUTE_PGM_RSRC2:TIDIG_COMP_CNT: 0
	.section	.text._ZN7rocprim17ROCPRIM_400000_NS6detail17trampoline_kernelINS0_14default_configENS1_20scan_config_selectorIlEEZZNS1_9scan_implILNS1_25lookback_scan_determinismE0ELb0ELb0ES3_PlS8_lN6thrust23THRUST_200600_302600_NS4plusIvEElEEDaPvRmT3_T4_T5_mT6_P12ihipStream_tbENKUlT_T0_E_clISt17integral_constantIbLb1EESP_IbLb0EEEEDaSL_SM_EUlSL_E0_NS1_11comp_targetILNS1_3genE0ELNS1_11target_archE4294967295ELNS1_3gpuE0ELNS1_3repE0EEENS1_30default_config_static_selectorELNS0_4arch9wavefront6targetE0EEEvT1_,"axG",@progbits,_ZN7rocprim17ROCPRIM_400000_NS6detail17trampoline_kernelINS0_14default_configENS1_20scan_config_selectorIlEEZZNS1_9scan_implILNS1_25lookback_scan_determinismE0ELb0ELb0ES3_PlS8_lN6thrust23THRUST_200600_302600_NS4plusIvEElEEDaPvRmT3_T4_T5_mT6_P12ihipStream_tbENKUlT_T0_E_clISt17integral_constantIbLb1EESP_IbLb0EEEEDaSL_SM_EUlSL_E0_NS1_11comp_targetILNS1_3genE0ELNS1_11target_archE4294967295ELNS1_3gpuE0ELNS1_3repE0EEENS1_30default_config_static_selectorELNS0_4arch9wavefront6targetE0EEEvT1_,comdat
	.protected	_ZN7rocprim17ROCPRIM_400000_NS6detail17trampoline_kernelINS0_14default_configENS1_20scan_config_selectorIlEEZZNS1_9scan_implILNS1_25lookback_scan_determinismE0ELb0ELb0ES3_PlS8_lN6thrust23THRUST_200600_302600_NS4plusIvEElEEDaPvRmT3_T4_T5_mT6_P12ihipStream_tbENKUlT_T0_E_clISt17integral_constantIbLb1EESP_IbLb0EEEEDaSL_SM_EUlSL_E0_NS1_11comp_targetILNS1_3genE0ELNS1_11target_archE4294967295ELNS1_3gpuE0ELNS1_3repE0EEENS1_30default_config_static_selectorELNS0_4arch9wavefront6targetE0EEEvT1_ ; -- Begin function _ZN7rocprim17ROCPRIM_400000_NS6detail17trampoline_kernelINS0_14default_configENS1_20scan_config_selectorIlEEZZNS1_9scan_implILNS1_25lookback_scan_determinismE0ELb0ELb0ES3_PlS8_lN6thrust23THRUST_200600_302600_NS4plusIvEElEEDaPvRmT3_T4_T5_mT6_P12ihipStream_tbENKUlT_T0_E_clISt17integral_constantIbLb1EESP_IbLb0EEEEDaSL_SM_EUlSL_E0_NS1_11comp_targetILNS1_3genE0ELNS1_11target_archE4294967295ELNS1_3gpuE0ELNS1_3repE0EEENS1_30default_config_static_selectorELNS0_4arch9wavefront6targetE0EEEvT1_
	.globl	_ZN7rocprim17ROCPRIM_400000_NS6detail17trampoline_kernelINS0_14default_configENS1_20scan_config_selectorIlEEZZNS1_9scan_implILNS1_25lookback_scan_determinismE0ELb0ELb0ES3_PlS8_lN6thrust23THRUST_200600_302600_NS4plusIvEElEEDaPvRmT3_T4_T5_mT6_P12ihipStream_tbENKUlT_T0_E_clISt17integral_constantIbLb1EESP_IbLb0EEEEDaSL_SM_EUlSL_E0_NS1_11comp_targetILNS1_3genE0ELNS1_11target_archE4294967295ELNS1_3gpuE0ELNS1_3repE0EEENS1_30default_config_static_selectorELNS0_4arch9wavefront6targetE0EEEvT1_
	.p2align	8
	.type	_ZN7rocprim17ROCPRIM_400000_NS6detail17trampoline_kernelINS0_14default_configENS1_20scan_config_selectorIlEEZZNS1_9scan_implILNS1_25lookback_scan_determinismE0ELb0ELb0ES3_PlS8_lN6thrust23THRUST_200600_302600_NS4plusIvEElEEDaPvRmT3_T4_T5_mT6_P12ihipStream_tbENKUlT_T0_E_clISt17integral_constantIbLb1EESP_IbLb0EEEEDaSL_SM_EUlSL_E0_NS1_11comp_targetILNS1_3genE0ELNS1_11target_archE4294967295ELNS1_3gpuE0ELNS1_3repE0EEENS1_30default_config_static_selectorELNS0_4arch9wavefront6targetE0EEEvT1_,@function
_ZN7rocprim17ROCPRIM_400000_NS6detail17trampoline_kernelINS0_14default_configENS1_20scan_config_selectorIlEEZZNS1_9scan_implILNS1_25lookback_scan_determinismE0ELb0ELb0ES3_PlS8_lN6thrust23THRUST_200600_302600_NS4plusIvEElEEDaPvRmT3_T4_T5_mT6_P12ihipStream_tbENKUlT_T0_E_clISt17integral_constantIbLb1EESP_IbLb0EEEEDaSL_SM_EUlSL_E0_NS1_11comp_targetILNS1_3genE0ELNS1_11target_archE4294967295ELNS1_3gpuE0ELNS1_3repE0EEENS1_30default_config_static_selectorELNS0_4arch9wavefront6targetE0EEEvT1_: ; @_ZN7rocprim17ROCPRIM_400000_NS6detail17trampoline_kernelINS0_14default_configENS1_20scan_config_selectorIlEEZZNS1_9scan_implILNS1_25lookback_scan_determinismE0ELb0ELb0ES3_PlS8_lN6thrust23THRUST_200600_302600_NS4plusIvEElEEDaPvRmT3_T4_T5_mT6_P12ihipStream_tbENKUlT_T0_E_clISt17integral_constantIbLb1EESP_IbLb0EEEEDaSL_SM_EUlSL_E0_NS1_11comp_targetILNS1_3genE0ELNS1_11target_archE4294967295ELNS1_3gpuE0ELNS1_3repE0EEENS1_30default_config_static_selectorELNS0_4arch9wavefront6targetE0EEEvT1_
; %bb.0:
	.section	.rodata,"a",@progbits
	.p2align	6, 0x0
	.amdhsa_kernel _ZN7rocprim17ROCPRIM_400000_NS6detail17trampoline_kernelINS0_14default_configENS1_20scan_config_selectorIlEEZZNS1_9scan_implILNS1_25lookback_scan_determinismE0ELb0ELb0ES3_PlS8_lN6thrust23THRUST_200600_302600_NS4plusIvEElEEDaPvRmT3_T4_T5_mT6_P12ihipStream_tbENKUlT_T0_E_clISt17integral_constantIbLb1EESP_IbLb0EEEEDaSL_SM_EUlSL_E0_NS1_11comp_targetILNS1_3genE0ELNS1_11target_archE4294967295ELNS1_3gpuE0ELNS1_3repE0EEENS1_30default_config_static_selectorELNS0_4arch9wavefront6targetE0EEEvT1_
		.amdhsa_group_segment_fixed_size 0
		.amdhsa_private_segment_fixed_size 0
		.amdhsa_kernarg_size 40
		.amdhsa_user_sgpr_count 15
		.amdhsa_user_sgpr_dispatch_ptr 0
		.amdhsa_user_sgpr_queue_ptr 0
		.amdhsa_user_sgpr_kernarg_segment_ptr 1
		.amdhsa_user_sgpr_dispatch_id 0
		.amdhsa_user_sgpr_private_segment_size 0
		.amdhsa_wavefront_size32 1
		.amdhsa_uses_dynamic_stack 0
		.amdhsa_enable_private_segment 0
		.amdhsa_system_sgpr_workgroup_id_x 1
		.amdhsa_system_sgpr_workgroup_id_y 0
		.amdhsa_system_sgpr_workgroup_id_z 0
		.amdhsa_system_sgpr_workgroup_info 0
		.amdhsa_system_vgpr_workitem_id 0
		.amdhsa_next_free_vgpr 1
		.amdhsa_next_free_sgpr 1
		.amdhsa_reserve_vcc 0
		.amdhsa_float_round_mode_32 0
		.amdhsa_float_round_mode_16_64 0
		.amdhsa_float_denorm_mode_32 3
		.amdhsa_float_denorm_mode_16_64 3
		.amdhsa_dx10_clamp 1
		.amdhsa_ieee_mode 1
		.amdhsa_fp16_overflow 0
		.amdhsa_workgroup_processor_mode 1
		.amdhsa_memory_ordered 1
		.amdhsa_forward_progress 0
		.amdhsa_shared_vgpr_count 0
		.amdhsa_exception_fp_ieee_invalid_op 0
		.amdhsa_exception_fp_denorm_src 0
		.amdhsa_exception_fp_ieee_div_zero 0
		.amdhsa_exception_fp_ieee_overflow 0
		.amdhsa_exception_fp_ieee_underflow 0
		.amdhsa_exception_fp_ieee_inexact 0
		.amdhsa_exception_int_div_zero 0
	.end_amdhsa_kernel
	.section	.text._ZN7rocprim17ROCPRIM_400000_NS6detail17trampoline_kernelINS0_14default_configENS1_20scan_config_selectorIlEEZZNS1_9scan_implILNS1_25lookback_scan_determinismE0ELb0ELb0ES3_PlS8_lN6thrust23THRUST_200600_302600_NS4plusIvEElEEDaPvRmT3_T4_T5_mT6_P12ihipStream_tbENKUlT_T0_E_clISt17integral_constantIbLb1EESP_IbLb0EEEEDaSL_SM_EUlSL_E0_NS1_11comp_targetILNS1_3genE0ELNS1_11target_archE4294967295ELNS1_3gpuE0ELNS1_3repE0EEENS1_30default_config_static_selectorELNS0_4arch9wavefront6targetE0EEEvT1_,"axG",@progbits,_ZN7rocprim17ROCPRIM_400000_NS6detail17trampoline_kernelINS0_14default_configENS1_20scan_config_selectorIlEEZZNS1_9scan_implILNS1_25lookback_scan_determinismE0ELb0ELb0ES3_PlS8_lN6thrust23THRUST_200600_302600_NS4plusIvEElEEDaPvRmT3_T4_T5_mT6_P12ihipStream_tbENKUlT_T0_E_clISt17integral_constantIbLb1EESP_IbLb0EEEEDaSL_SM_EUlSL_E0_NS1_11comp_targetILNS1_3genE0ELNS1_11target_archE4294967295ELNS1_3gpuE0ELNS1_3repE0EEENS1_30default_config_static_selectorELNS0_4arch9wavefront6targetE0EEEvT1_,comdat
.Lfunc_end131:
	.size	_ZN7rocprim17ROCPRIM_400000_NS6detail17trampoline_kernelINS0_14default_configENS1_20scan_config_selectorIlEEZZNS1_9scan_implILNS1_25lookback_scan_determinismE0ELb0ELb0ES3_PlS8_lN6thrust23THRUST_200600_302600_NS4plusIvEElEEDaPvRmT3_T4_T5_mT6_P12ihipStream_tbENKUlT_T0_E_clISt17integral_constantIbLb1EESP_IbLb0EEEEDaSL_SM_EUlSL_E0_NS1_11comp_targetILNS1_3genE0ELNS1_11target_archE4294967295ELNS1_3gpuE0ELNS1_3repE0EEENS1_30default_config_static_selectorELNS0_4arch9wavefront6targetE0EEEvT1_, .Lfunc_end131-_ZN7rocprim17ROCPRIM_400000_NS6detail17trampoline_kernelINS0_14default_configENS1_20scan_config_selectorIlEEZZNS1_9scan_implILNS1_25lookback_scan_determinismE0ELb0ELb0ES3_PlS8_lN6thrust23THRUST_200600_302600_NS4plusIvEElEEDaPvRmT3_T4_T5_mT6_P12ihipStream_tbENKUlT_T0_E_clISt17integral_constantIbLb1EESP_IbLb0EEEEDaSL_SM_EUlSL_E0_NS1_11comp_targetILNS1_3genE0ELNS1_11target_archE4294967295ELNS1_3gpuE0ELNS1_3repE0EEENS1_30default_config_static_selectorELNS0_4arch9wavefront6targetE0EEEvT1_
                                        ; -- End function
	.section	.AMDGPU.csdata,"",@progbits
; Kernel info:
; codeLenInByte = 0
; NumSgprs: 0
; NumVgprs: 0
; ScratchSize: 0
; MemoryBound: 0
; FloatMode: 240
; IeeeMode: 1
; LDSByteSize: 0 bytes/workgroup (compile time only)
; SGPRBlocks: 0
; VGPRBlocks: 0
; NumSGPRsForWavesPerEU: 1
; NumVGPRsForWavesPerEU: 1
; Occupancy: 16
; WaveLimiterHint : 0
; COMPUTE_PGM_RSRC2:SCRATCH_EN: 0
; COMPUTE_PGM_RSRC2:USER_SGPR: 15
; COMPUTE_PGM_RSRC2:TRAP_HANDLER: 0
; COMPUTE_PGM_RSRC2:TGID_X_EN: 1
; COMPUTE_PGM_RSRC2:TGID_Y_EN: 0
; COMPUTE_PGM_RSRC2:TGID_Z_EN: 0
; COMPUTE_PGM_RSRC2:TIDIG_COMP_CNT: 0
	.section	.text._ZN7rocprim17ROCPRIM_400000_NS6detail17trampoline_kernelINS0_14default_configENS1_20scan_config_selectorIlEEZZNS1_9scan_implILNS1_25lookback_scan_determinismE0ELb0ELb0ES3_PlS8_lN6thrust23THRUST_200600_302600_NS4plusIvEElEEDaPvRmT3_T4_T5_mT6_P12ihipStream_tbENKUlT_T0_E_clISt17integral_constantIbLb1EESP_IbLb0EEEEDaSL_SM_EUlSL_E0_NS1_11comp_targetILNS1_3genE5ELNS1_11target_archE942ELNS1_3gpuE9ELNS1_3repE0EEENS1_30default_config_static_selectorELNS0_4arch9wavefront6targetE0EEEvT1_,"axG",@progbits,_ZN7rocprim17ROCPRIM_400000_NS6detail17trampoline_kernelINS0_14default_configENS1_20scan_config_selectorIlEEZZNS1_9scan_implILNS1_25lookback_scan_determinismE0ELb0ELb0ES3_PlS8_lN6thrust23THRUST_200600_302600_NS4plusIvEElEEDaPvRmT3_T4_T5_mT6_P12ihipStream_tbENKUlT_T0_E_clISt17integral_constantIbLb1EESP_IbLb0EEEEDaSL_SM_EUlSL_E0_NS1_11comp_targetILNS1_3genE5ELNS1_11target_archE942ELNS1_3gpuE9ELNS1_3repE0EEENS1_30default_config_static_selectorELNS0_4arch9wavefront6targetE0EEEvT1_,comdat
	.protected	_ZN7rocprim17ROCPRIM_400000_NS6detail17trampoline_kernelINS0_14default_configENS1_20scan_config_selectorIlEEZZNS1_9scan_implILNS1_25lookback_scan_determinismE0ELb0ELb0ES3_PlS8_lN6thrust23THRUST_200600_302600_NS4plusIvEElEEDaPvRmT3_T4_T5_mT6_P12ihipStream_tbENKUlT_T0_E_clISt17integral_constantIbLb1EESP_IbLb0EEEEDaSL_SM_EUlSL_E0_NS1_11comp_targetILNS1_3genE5ELNS1_11target_archE942ELNS1_3gpuE9ELNS1_3repE0EEENS1_30default_config_static_selectorELNS0_4arch9wavefront6targetE0EEEvT1_ ; -- Begin function _ZN7rocprim17ROCPRIM_400000_NS6detail17trampoline_kernelINS0_14default_configENS1_20scan_config_selectorIlEEZZNS1_9scan_implILNS1_25lookback_scan_determinismE0ELb0ELb0ES3_PlS8_lN6thrust23THRUST_200600_302600_NS4plusIvEElEEDaPvRmT3_T4_T5_mT6_P12ihipStream_tbENKUlT_T0_E_clISt17integral_constantIbLb1EESP_IbLb0EEEEDaSL_SM_EUlSL_E0_NS1_11comp_targetILNS1_3genE5ELNS1_11target_archE942ELNS1_3gpuE9ELNS1_3repE0EEENS1_30default_config_static_selectorELNS0_4arch9wavefront6targetE0EEEvT1_
	.globl	_ZN7rocprim17ROCPRIM_400000_NS6detail17trampoline_kernelINS0_14default_configENS1_20scan_config_selectorIlEEZZNS1_9scan_implILNS1_25lookback_scan_determinismE0ELb0ELb0ES3_PlS8_lN6thrust23THRUST_200600_302600_NS4plusIvEElEEDaPvRmT3_T4_T5_mT6_P12ihipStream_tbENKUlT_T0_E_clISt17integral_constantIbLb1EESP_IbLb0EEEEDaSL_SM_EUlSL_E0_NS1_11comp_targetILNS1_3genE5ELNS1_11target_archE942ELNS1_3gpuE9ELNS1_3repE0EEENS1_30default_config_static_selectorELNS0_4arch9wavefront6targetE0EEEvT1_
	.p2align	8
	.type	_ZN7rocprim17ROCPRIM_400000_NS6detail17trampoline_kernelINS0_14default_configENS1_20scan_config_selectorIlEEZZNS1_9scan_implILNS1_25lookback_scan_determinismE0ELb0ELb0ES3_PlS8_lN6thrust23THRUST_200600_302600_NS4plusIvEElEEDaPvRmT3_T4_T5_mT6_P12ihipStream_tbENKUlT_T0_E_clISt17integral_constantIbLb1EESP_IbLb0EEEEDaSL_SM_EUlSL_E0_NS1_11comp_targetILNS1_3genE5ELNS1_11target_archE942ELNS1_3gpuE9ELNS1_3repE0EEENS1_30default_config_static_selectorELNS0_4arch9wavefront6targetE0EEEvT1_,@function
_ZN7rocprim17ROCPRIM_400000_NS6detail17trampoline_kernelINS0_14default_configENS1_20scan_config_selectorIlEEZZNS1_9scan_implILNS1_25lookback_scan_determinismE0ELb0ELb0ES3_PlS8_lN6thrust23THRUST_200600_302600_NS4plusIvEElEEDaPvRmT3_T4_T5_mT6_P12ihipStream_tbENKUlT_T0_E_clISt17integral_constantIbLb1EESP_IbLb0EEEEDaSL_SM_EUlSL_E0_NS1_11comp_targetILNS1_3genE5ELNS1_11target_archE942ELNS1_3gpuE9ELNS1_3repE0EEENS1_30default_config_static_selectorELNS0_4arch9wavefront6targetE0EEEvT1_: ; @_ZN7rocprim17ROCPRIM_400000_NS6detail17trampoline_kernelINS0_14default_configENS1_20scan_config_selectorIlEEZZNS1_9scan_implILNS1_25lookback_scan_determinismE0ELb0ELb0ES3_PlS8_lN6thrust23THRUST_200600_302600_NS4plusIvEElEEDaPvRmT3_T4_T5_mT6_P12ihipStream_tbENKUlT_T0_E_clISt17integral_constantIbLb1EESP_IbLb0EEEEDaSL_SM_EUlSL_E0_NS1_11comp_targetILNS1_3genE5ELNS1_11target_archE942ELNS1_3gpuE9ELNS1_3repE0EEENS1_30default_config_static_selectorELNS0_4arch9wavefront6targetE0EEEvT1_
; %bb.0:
	.section	.rodata,"a",@progbits
	.p2align	6, 0x0
	.amdhsa_kernel _ZN7rocprim17ROCPRIM_400000_NS6detail17trampoline_kernelINS0_14default_configENS1_20scan_config_selectorIlEEZZNS1_9scan_implILNS1_25lookback_scan_determinismE0ELb0ELb0ES3_PlS8_lN6thrust23THRUST_200600_302600_NS4plusIvEElEEDaPvRmT3_T4_T5_mT6_P12ihipStream_tbENKUlT_T0_E_clISt17integral_constantIbLb1EESP_IbLb0EEEEDaSL_SM_EUlSL_E0_NS1_11comp_targetILNS1_3genE5ELNS1_11target_archE942ELNS1_3gpuE9ELNS1_3repE0EEENS1_30default_config_static_selectorELNS0_4arch9wavefront6targetE0EEEvT1_
		.amdhsa_group_segment_fixed_size 0
		.amdhsa_private_segment_fixed_size 0
		.amdhsa_kernarg_size 40
		.amdhsa_user_sgpr_count 15
		.amdhsa_user_sgpr_dispatch_ptr 0
		.amdhsa_user_sgpr_queue_ptr 0
		.amdhsa_user_sgpr_kernarg_segment_ptr 1
		.amdhsa_user_sgpr_dispatch_id 0
		.amdhsa_user_sgpr_private_segment_size 0
		.amdhsa_wavefront_size32 1
		.amdhsa_uses_dynamic_stack 0
		.amdhsa_enable_private_segment 0
		.amdhsa_system_sgpr_workgroup_id_x 1
		.amdhsa_system_sgpr_workgroup_id_y 0
		.amdhsa_system_sgpr_workgroup_id_z 0
		.amdhsa_system_sgpr_workgroup_info 0
		.amdhsa_system_vgpr_workitem_id 0
		.amdhsa_next_free_vgpr 1
		.amdhsa_next_free_sgpr 1
		.amdhsa_reserve_vcc 0
		.amdhsa_float_round_mode_32 0
		.amdhsa_float_round_mode_16_64 0
		.amdhsa_float_denorm_mode_32 3
		.amdhsa_float_denorm_mode_16_64 3
		.amdhsa_dx10_clamp 1
		.amdhsa_ieee_mode 1
		.amdhsa_fp16_overflow 0
		.amdhsa_workgroup_processor_mode 1
		.amdhsa_memory_ordered 1
		.amdhsa_forward_progress 0
		.amdhsa_shared_vgpr_count 0
		.amdhsa_exception_fp_ieee_invalid_op 0
		.amdhsa_exception_fp_denorm_src 0
		.amdhsa_exception_fp_ieee_div_zero 0
		.amdhsa_exception_fp_ieee_overflow 0
		.amdhsa_exception_fp_ieee_underflow 0
		.amdhsa_exception_fp_ieee_inexact 0
		.amdhsa_exception_int_div_zero 0
	.end_amdhsa_kernel
	.section	.text._ZN7rocprim17ROCPRIM_400000_NS6detail17trampoline_kernelINS0_14default_configENS1_20scan_config_selectorIlEEZZNS1_9scan_implILNS1_25lookback_scan_determinismE0ELb0ELb0ES3_PlS8_lN6thrust23THRUST_200600_302600_NS4plusIvEElEEDaPvRmT3_T4_T5_mT6_P12ihipStream_tbENKUlT_T0_E_clISt17integral_constantIbLb1EESP_IbLb0EEEEDaSL_SM_EUlSL_E0_NS1_11comp_targetILNS1_3genE5ELNS1_11target_archE942ELNS1_3gpuE9ELNS1_3repE0EEENS1_30default_config_static_selectorELNS0_4arch9wavefront6targetE0EEEvT1_,"axG",@progbits,_ZN7rocprim17ROCPRIM_400000_NS6detail17trampoline_kernelINS0_14default_configENS1_20scan_config_selectorIlEEZZNS1_9scan_implILNS1_25lookback_scan_determinismE0ELb0ELb0ES3_PlS8_lN6thrust23THRUST_200600_302600_NS4plusIvEElEEDaPvRmT3_T4_T5_mT6_P12ihipStream_tbENKUlT_T0_E_clISt17integral_constantIbLb1EESP_IbLb0EEEEDaSL_SM_EUlSL_E0_NS1_11comp_targetILNS1_3genE5ELNS1_11target_archE942ELNS1_3gpuE9ELNS1_3repE0EEENS1_30default_config_static_selectorELNS0_4arch9wavefront6targetE0EEEvT1_,comdat
.Lfunc_end132:
	.size	_ZN7rocprim17ROCPRIM_400000_NS6detail17trampoline_kernelINS0_14default_configENS1_20scan_config_selectorIlEEZZNS1_9scan_implILNS1_25lookback_scan_determinismE0ELb0ELb0ES3_PlS8_lN6thrust23THRUST_200600_302600_NS4plusIvEElEEDaPvRmT3_T4_T5_mT6_P12ihipStream_tbENKUlT_T0_E_clISt17integral_constantIbLb1EESP_IbLb0EEEEDaSL_SM_EUlSL_E0_NS1_11comp_targetILNS1_3genE5ELNS1_11target_archE942ELNS1_3gpuE9ELNS1_3repE0EEENS1_30default_config_static_selectorELNS0_4arch9wavefront6targetE0EEEvT1_, .Lfunc_end132-_ZN7rocprim17ROCPRIM_400000_NS6detail17trampoline_kernelINS0_14default_configENS1_20scan_config_selectorIlEEZZNS1_9scan_implILNS1_25lookback_scan_determinismE0ELb0ELb0ES3_PlS8_lN6thrust23THRUST_200600_302600_NS4plusIvEElEEDaPvRmT3_T4_T5_mT6_P12ihipStream_tbENKUlT_T0_E_clISt17integral_constantIbLb1EESP_IbLb0EEEEDaSL_SM_EUlSL_E0_NS1_11comp_targetILNS1_3genE5ELNS1_11target_archE942ELNS1_3gpuE9ELNS1_3repE0EEENS1_30default_config_static_selectorELNS0_4arch9wavefront6targetE0EEEvT1_
                                        ; -- End function
	.section	.AMDGPU.csdata,"",@progbits
; Kernel info:
; codeLenInByte = 0
; NumSgprs: 0
; NumVgprs: 0
; ScratchSize: 0
; MemoryBound: 0
; FloatMode: 240
; IeeeMode: 1
; LDSByteSize: 0 bytes/workgroup (compile time only)
; SGPRBlocks: 0
; VGPRBlocks: 0
; NumSGPRsForWavesPerEU: 1
; NumVGPRsForWavesPerEU: 1
; Occupancy: 16
; WaveLimiterHint : 0
; COMPUTE_PGM_RSRC2:SCRATCH_EN: 0
; COMPUTE_PGM_RSRC2:USER_SGPR: 15
; COMPUTE_PGM_RSRC2:TRAP_HANDLER: 0
; COMPUTE_PGM_RSRC2:TGID_X_EN: 1
; COMPUTE_PGM_RSRC2:TGID_Y_EN: 0
; COMPUTE_PGM_RSRC2:TGID_Z_EN: 0
; COMPUTE_PGM_RSRC2:TIDIG_COMP_CNT: 0
	.section	.text._ZN7rocprim17ROCPRIM_400000_NS6detail17trampoline_kernelINS0_14default_configENS1_20scan_config_selectorIlEEZZNS1_9scan_implILNS1_25lookback_scan_determinismE0ELb0ELb0ES3_PlS8_lN6thrust23THRUST_200600_302600_NS4plusIvEElEEDaPvRmT3_T4_T5_mT6_P12ihipStream_tbENKUlT_T0_E_clISt17integral_constantIbLb1EESP_IbLb0EEEEDaSL_SM_EUlSL_E0_NS1_11comp_targetILNS1_3genE4ELNS1_11target_archE910ELNS1_3gpuE8ELNS1_3repE0EEENS1_30default_config_static_selectorELNS0_4arch9wavefront6targetE0EEEvT1_,"axG",@progbits,_ZN7rocprim17ROCPRIM_400000_NS6detail17trampoline_kernelINS0_14default_configENS1_20scan_config_selectorIlEEZZNS1_9scan_implILNS1_25lookback_scan_determinismE0ELb0ELb0ES3_PlS8_lN6thrust23THRUST_200600_302600_NS4plusIvEElEEDaPvRmT3_T4_T5_mT6_P12ihipStream_tbENKUlT_T0_E_clISt17integral_constantIbLb1EESP_IbLb0EEEEDaSL_SM_EUlSL_E0_NS1_11comp_targetILNS1_3genE4ELNS1_11target_archE910ELNS1_3gpuE8ELNS1_3repE0EEENS1_30default_config_static_selectorELNS0_4arch9wavefront6targetE0EEEvT1_,comdat
	.protected	_ZN7rocprim17ROCPRIM_400000_NS6detail17trampoline_kernelINS0_14default_configENS1_20scan_config_selectorIlEEZZNS1_9scan_implILNS1_25lookback_scan_determinismE0ELb0ELb0ES3_PlS8_lN6thrust23THRUST_200600_302600_NS4plusIvEElEEDaPvRmT3_T4_T5_mT6_P12ihipStream_tbENKUlT_T0_E_clISt17integral_constantIbLb1EESP_IbLb0EEEEDaSL_SM_EUlSL_E0_NS1_11comp_targetILNS1_3genE4ELNS1_11target_archE910ELNS1_3gpuE8ELNS1_3repE0EEENS1_30default_config_static_selectorELNS0_4arch9wavefront6targetE0EEEvT1_ ; -- Begin function _ZN7rocprim17ROCPRIM_400000_NS6detail17trampoline_kernelINS0_14default_configENS1_20scan_config_selectorIlEEZZNS1_9scan_implILNS1_25lookback_scan_determinismE0ELb0ELb0ES3_PlS8_lN6thrust23THRUST_200600_302600_NS4plusIvEElEEDaPvRmT3_T4_T5_mT6_P12ihipStream_tbENKUlT_T0_E_clISt17integral_constantIbLb1EESP_IbLb0EEEEDaSL_SM_EUlSL_E0_NS1_11comp_targetILNS1_3genE4ELNS1_11target_archE910ELNS1_3gpuE8ELNS1_3repE0EEENS1_30default_config_static_selectorELNS0_4arch9wavefront6targetE0EEEvT1_
	.globl	_ZN7rocprim17ROCPRIM_400000_NS6detail17trampoline_kernelINS0_14default_configENS1_20scan_config_selectorIlEEZZNS1_9scan_implILNS1_25lookback_scan_determinismE0ELb0ELb0ES3_PlS8_lN6thrust23THRUST_200600_302600_NS4plusIvEElEEDaPvRmT3_T4_T5_mT6_P12ihipStream_tbENKUlT_T0_E_clISt17integral_constantIbLb1EESP_IbLb0EEEEDaSL_SM_EUlSL_E0_NS1_11comp_targetILNS1_3genE4ELNS1_11target_archE910ELNS1_3gpuE8ELNS1_3repE0EEENS1_30default_config_static_selectorELNS0_4arch9wavefront6targetE0EEEvT1_
	.p2align	8
	.type	_ZN7rocprim17ROCPRIM_400000_NS6detail17trampoline_kernelINS0_14default_configENS1_20scan_config_selectorIlEEZZNS1_9scan_implILNS1_25lookback_scan_determinismE0ELb0ELb0ES3_PlS8_lN6thrust23THRUST_200600_302600_NS4plusIvEElEEDaPvRmT3_T4_T5_mT6_P12ihipStream_tbENKUlT_T0_E_clISt17integral_constantIbLb1EESP_IbLb0EEEEDaSL_SM_EUlSL_E0_NS1_11comp_targetILNS1_3genE4ELNS1_11target_archE910ELNS1_3gpuE8ELNS1_3repE0EEENS1_30default_config_static_selectorELNS0_4arch9wavefront6targetE0EEEvT1_,@function
_ZN7rocprim17ROCPRIM_400000_NS6detail17trampoline_kernelINS0_14default_configENS1_20scan_config_selectorIlEEZZNS1_9scan_implILNS1_25lookback_scan_determinismE0ELb0ELb0ES3_PlS8_lN6thrust23THRUST_200600_302600_NS4plusIvEElEEDaPvRmT3_T4_T5_mT6_P12ihipStream_tbENKUlT_T0_E_clISt17integral_constantIbLb1EESP_IbLb0EEEEDaSL_SM_EUlSL_E0_NS1_11comp_targetILNS1_3genE4ELNS1_11target_archE910ELNS1_3gpuE8ELNS1_3repE0EEENS1_30default_config_static_selectorELNS0_4arch9wavefront6targetE0EEEvT1_: ; @_ZN7rocprim17ROCPRIM_400000_NS6detail17trampoline_kernelINS0_14default_configENS1_20scan_config_selectorIlEEZZNS1_9scan_implILNS1_25lookback_scan_determinismE0ELb0ELb0ES3_PlS8_lN6thrust23THRUST_200600_302600_NS4plusIvEElEEDaPvRmT3_T4_T5_mT6_P12ihipStream_tbENKUlT_T0_E_clISt17integral_constantIbLb1EESP_IbLb0EEEEDaSL_SM_EUlSL_E0_NS1_11comp_targetILNS1_3genE4ELNS1_11target_archE910ELNS1_3gpuE8ELNS1_3repE0EEENS1_30default_config_static_selectorELNS0_4arch9wavefront6targetE0EEEvT1_
; %bb.0:
	.section	.rodata,"a",@progbits
	.p2align	6, 0x0
	.amdhsa_kernel _ZN7rocprim17ROCPRIM_400000_NS6detail17trampoline_kernelINS0_14default_configENS1_20scan_config_selectorIlEEZZNS1_9scan_implILNS1_25lookback_scan_determinismE0ELb0ELb0ES3_PlS8_lN6thrust23THRUST_200600_302600_NS4plusIvEElEEDaPvRmT3_T4_T5_mT6_P12ihipStream_tbENKUlT_T0_E_clISt17integral_constantIbLb1EESP_IbLb0EEEEDaSL_SM_EUlSL_E0_NS1_11comp_targetILNS1_3genE4ELNS1_11target_archE910ELNS1_3gpuE8ELNS1_3repE0EEENS1_30default_config_static_selectorELNS0_4arch9wavefront6targetE0EEEvT1_
		.amdhsa_group_segment_fixed_size 0
		.amdhsa_private_segment_fixed_size 0
		.amdhsa_kernarg_size 40
		.amdhsa_user_sgpr_count 15
		.amdhsa_user_sgpr_dispatch_ptr 0
		.amdhsa_user_sgpr_queue_ptr 0
		.amdhsa_user_sgpr_kernarg_segment_ptr 1
		.amdhsa_user_sgpr_dispatch_id 0
		.amdhsa_user_sgpr_private_segment_size 0
		.amdhsa_wavefront_size32 1
		.amdhsa_uses_dynamic_stack 0
		.amdhsa_enable_private_segment 0
		.amdhsa_system_sgpr_workgroup_id_x 1
		.amdhsa_system_sgpr_workgroup_id_y 0
		.amdhsa_system_sgpr_workgroup_id_z 0
		.amdhsa_system_sgpr_workgroup_info 0
		.amdhsa_system_vgpr_workitem_id 0
		.amdhsa_next_free_vgpr 1
		.amdhsa_next_free_sgpr 1
		.amdhsa_reserve_vcc 0
		.amdhsa_float_round_mode_32 0
		.amdhsa_float_round_mode_16_64 0
		.amdhsa_float_denorm_mode_32 3
		.amdhsa_float_denorm_mode_16_64 3
		.amdhsa_dx10_clamp 1
		.amdhsa_ieee_mode 1
		.amdhsa_fp16_overflow 0
		.amdhsa_workgroup_processor_mode 1
		.amdhsa_memory_ordered 1
		.amdhsa_forward_progress 0
		.amdhsa_shared_vgpr_count 0
		.amdhsa_exception_fp_ieee_invalid_op 0
		.amdhsa_exception_fp_denorm_src 0
		.amdhsa_exception_fp_ieee_div_zero 0
		.amdhsa_exception_fp_ieee_overflow 0
		.amdhsa_exception_fp_ieee_underflow 0
		.amdhsa_exception_fp_ieee_inexact 0
		.amdhsa_exception_int_div_zero 0
	.end_amdhsa_kernel
	.section	.text._ZN7rocprim17ROCPRIM_400000_NS6detail17trampoline_kernelINS0_14default_configENS1_20scan_config_selectorIlEEZZNS1_9scan_implILNS1_25lookback_scan_determinismE0ELb0ELb0ES3_PlS8_lN6thrust23THRUST_200600_302600_NS4plusIvEElEEDaPvRmT3_T4_T5_mT6_P12ihipStream_tbENKUlT_T0_E_clISt17integral_constantIbLb1EESP_IbLb0EEEEDaSL_SM_EUlSL_E0_NS1_11comp_targetILNS1_3genE4ELNS1_11target_archE910ELNS1_3gpuE8ELNS1_3repE0EEENS1_30default_config_static_selectorELNS0_4arch9wavefront6targetE0EEEvT1_,"axG",@progbits,_ZN7rocprim17ROCPRIM_400000_NS6detail17trampoline_kernelINS0_14default_configENS1_20scan_config_selectorIlEEZZNS1_9scan_implILNS1_25lookback_scan_determinismE0ELb0ELb0ES3_PlS8_lN6thrust23THRUST_200600_302600_NS4plusIvEElEEDaPvRmT3_T4_T5_mT6_P12ihipStream_tbENKUlT_T0_E_clISt17integral_constantIbLb1EESP_IbLb0EEEEDaSL_SM_EUlSL_E0_NS1_11comp_targetILNS1_3genE4ELNS1_11target_archE910ELNS1_3gpuE8ELNS1_3repE0EEENS1_30default_config_static_selectorELNS0_4arch9wavefront6targetE0EEEvT1_,comdat
.Lfunc_end133:
	.size	_ZN7rocprim17ROCPRIM_400000_NS6detail17trampoline_kernelINS0_14default_configENS1_20scan_config_selectorIlEEZZNS1_9scan_implILNS1_25lookback_scan_determinismE0ELb0ELb0ES3_PlS8_lN6thrust23THRUST_200600_302600_NS4plusIvEElEEDaPvRmT3_T4_T5_mT6_P12ihipStream_tbENKUlT_T0_E_clISt17integral_constantIbLb1EESP_IbLb0EEEEDaSL_SM_EUlSL_E0_NS1_11comp_targetILNS1_3genE4ELNS1_11target_archE910ELNS1_3gpuE8ELNS1_3repE0EEENS1_30default_config_static_selectorELNS0_4arch9wavefront6targetE0EEEvT1_, .Lfunc_end133-_ZN7rocprim17ROCPRIM_400000_NS6detail17trampoline_kernelINS0_14default_configENS1_20scan_config_selectorIlEEZZNS1_9scan_implILNS1_25lookback_scan_determinismE0ELb0ELb0ES3_PlS8_lN6thrust23THRUST_200600_302600_NS4plusIvEElEEDaPvRmT3_T4_T5_mT6_P12ihipStream_tbENKUlT_T0_E_clISt17integral_constantIbLb1EESP_IbLb0EEEEDaSL_SM_EUlSL_E0_NS1_11comp_targetILNS1_3genE4ELNS1_11target_archE910ELNS1_3gpuE8ELNS1_3repE0EEENS1_30default_config_static_selectorELNS0_4arch9wavefront6targetE0EEEvT1_
                                        ; -- End function
	.section	.AMDGPU.csdata,"",@progbits
; Kernel info:
; codeLenInByte = 0
; NumSgprs: 0
; NumVgprs: 0
; ScratchSize: 0
; MemoryBound: 0
; FloatMode: 240
; IeeeMode: 1
; LDSByteSize: 0 bytes/workgroup (compile time only)
; SGPRBlocks: 0
; VGPRBlocks: 0
; NumSGPRsForWavesPerEU: 1
; NumVGPRsForWavesPerEU: 1
; Occupancy: 16
; WaveLimiterHint : 0
; COMPUTE_PGM_RSRC2:SCRATCH_EN: 0
; COMPUTE_PGM_RSRC2:USER_SGPR: 15
; COMPUTE_PGM_RSRC2:TRAP_HANDLER: 0
; COMPUTE_PGM_RSRC2:TGID_X_EN: 1
; COMPUTE_PGM_RSRC2:TGID_Y_EN: 0
; COMPUTE_PGM_RSRC2:TGID_Z_EN: 0
; COMPUTE_PGM_RSRC2:TIDIG_COMP_CNT: 0
	.section	.text._ZN7rocprim17ROCPRIM_400000_NS6detail17trampoline_kernelINS0_14default_configENS1_20scan_config_selectorIlEEZZNS1_9scan_implILNS1_25lookback_scan_determinismE0ELb0ELb0ES3_PlS8_lN6thrust23THRUST_200600_302600_NS4plusIvEElEEDaPvRmT3_T4_T5_mT6_P12ihipStream_tbENKUlT_T0_E_clISt17integral_constantIbLb1EESP_IbLb0EEEEDaSL_SM_EUlSL_E0_NS1_11comp_targetILNS1_3genE3ELNS1_11target_archE908ELNS1_3gpuE7ELNS1_3repE0EEENS1_30default_config_static_selectorELNS0_4arch9wavefront6targetE0EEEvT1_,"axG",@progbits,_ZN7rocprim17ROCPRIM_400000_NS6detail17trampoline_kernelINS0_14default_configENS1_20scan_config_selectorIlEEZZNS1_9scan_implILNS1_25lookback_scan_determinismE0ELb0ELb0ES3_PlS8_lN6thrust23THRUST_200600_302600_NS4plusIvEElEEDaPvRmT3_T4_T5_mT6_P12ihipStream_tbENKUlT_T0_E_clISt17integral_constantIbLb1EESP_IbLb0EEEEDaSL_SM_EUlSL_E0_NS1_11comp_targetILNS1_3genE3ELNS1_11target_archE908ELNS1_3gpuE7ELNS1_3repE0EEENS1_30default_config_static_selectorELNS0_4arch9wavefront6targetE0EEEvT1_,comdat
	.protected	_ZN7rocprim17ROCPRIM_400000_NS6detail17trampoline_kernelINS0_14default_configENS1_20scan_config_selectorIlEEZZNS1_9scan_implILNS1_25lookback_scan_determinismE0ELb0ELb0ES3_PlS8_lN6thrust23THRUST_200600_302600_NS4plusIvEElEEDaPvRmT3_T4_T5_mT6_P12ihipStream_tbENKUlT_T0_E_clISt17integral_constantIbLb1EESP_IbLb0EEEEDaSL_SM_EUlSL_E0_NS1_11comp_targetILNS1_3genE3ELNS1_11target_archE908ELNS1_3gpuE7ELNS1_3repE0EEENS1_30default_config_static_selectorELNS0_4arch9wavefront6targetE0EEEvT1_ ; -- Begin function _ZN7rocprim17ROCPRIM_400000_NS6detail17trampoline_kernelINS0_14default_configENS1_20scan_config_selectorIlEEZZNS1_9scan_implILNS1_25lookback_scan_determinismE0ELb0ELb0ES3_PlS8_lN6thrust23THRUST_200600_302600_NS4plusIvEElEEDaPvRmT3_T4_T5_mT6_P12ihipStream_tbENKUlT_T0_E_clISt17integral_constantIbLb1EESP_IbLb0EEEEDaSL_SM_EUlSL_E0_NS1_11comp_targetILNS1_3genE3ELNS1_11target_archE908ELNS1_3gpuE7ELNS1_3repE0EEENS1_30default_config_static_selectorELNS0_4arch9wavefront6targetE0EEEvT1_
	.globl	_ZN7rocprim17ROCPRIM_400000_NS6detail17trampoline_kernelINS0_14default_configENS1_20scan_config_selectorIlEEZZNS1_9scan_implILNS1_25lookback_scan_determinismE0ELb0ELb0ES3_PlS8_lN6thrust23THRUST_200600_302600_NS4plusIvEElEEDaPvRmT3_T4_T5_mT6_P12ihipStream_tbENKUlT_T0_E_clISt17integral_constantIbLb1EESP_IbLb0EEEEDaSL_SM_EUlSL_E0_NS1_11comp_targetILNS1_3genE3ELNS1_11target_archE908ELNS1_3gpuE7ELNS1_3repE0EEENS1_30default_config_static_selectorELNS0_4arch9wavefront6targetE0EEEvT1_
	.p2align	8
	.type	_ZN7rocprim17ROCPRIM_400000_NS6detail17trampoline_kernelINS0_14default_configENS1_20scan_config_selectorIlEEZZNS1_9scan_implILNS1_25lookback_scan_determinismE0ELb0ELb0ES3_PlS8_lN6thrust23THRUST_200600_302600_NS4plusIvEElEEDaPvRmT3_T4_T5_mT6_P12ihipStream_tbENKUlT_T0_E_clISt17integral_constantIbLb1EESP_IbLb0EEEEDaSL_SM_EUlSL_E0_NS1_11comp_targetILNS1_3genE3ELNS1_11target_archE908ELNS1_3gpuE7ELNS1_3repE0EEENS1_30default_config_static_selectorELNS0_4arch9wavefront6targetE0EEEvT1_,@function
_ZN7rocprim17ROCPRIM_400000_NS6detail17trampoline_kernelINS0_14default_configENS1_20scan_config_selectorIlEEZZNS1_9scan_implILNS1_25lookback_scan_determinismE0ELb0ELb0ES3_PlS8_lN6thrust23THRUST_200600_302600_NS4plusIvEElEEDaPvRmT3_T4_T5_mT6_P12ihipStream_tbENKUlT_T0_E_clISt17integral_constantIbLb1EESP_IbLb0EEEEDaSL_SM_EUlSL_E0_NS1_11comp_targetILNS1_3genE3ELNS1_11target_archE908ELNS1_3gpuE7ELNS1_3repE0EEENS1_30default_config_static_selectorELNS0_4arch9wavefront6targetE0EEEvT1_: ; @_ZN7rocprim17ROCPRIM_400000_NS6detail17trampoline_kernelINS0_14default_configENS1_20scan_config_selectorIlEEZZNS1_9scan_implILNS1_25lookback_scan_determinismE0ELb0ELb0ES3_PlS8_lN6thrust23THRUST_200600_302600_NS4plusIvEElEEDaPvRmT3_T4_T5_mT6_P12ihipStream_tbENKUlT_T0_E_clISt17integral_constantIbLb1EESP_IbLb0EEEEDaSL_SM_EUlSL_E0_NS1_11comp_targetILNS1_3genE3ELNS1_11target_archE908ELNS1_3gpuE7ELNS1_3repE0EEENS1_30default_config_static_selectorELNS0_4arch9wavefront6targetE0EEEvT1_
; %bb.0:
	.section	.rodata,"a",@progbits
	.p2align	6, 0x0
	.amdhsa_kernel _ZN7rocprim17ROCPRIM_400000_NS6detail17trampoline_kernelINS0_14default_configENS1_20scan_config_selectorIlEEZZNS1_9scan_implILNS1_25lookback_scan_determinismE0ELb0ELb0ES3_PlS8_lN6thrust23THRUST_200600_302600_NS4plusIvEElEEDaPvRmT3_T4_T5_mT6_P12ihipStream_tbENKUlT_T0_E_clISt17integral_constantIbLb1EESP_IbLb0EEEEDaSL_SM_EUlSL_E0_NS1_11comp_targetILNS1_3genE3ELNS1_11target_archE908ELNS1_3gpuE7ELNS1_3repE0EEENS1_30default_config_static_selectorELNS0_4arch9wavefront6targetE0EEEvT1_
		.amdhsa_group_segment_fixed_size 0
		.amdhsa_private_segment_fixed_size 0
		.amdhsa_kernarg_size 40
		.amdhsa_user_sgpr_count 15
		.amdhsa_user_sgpr_dispatch_ptr 0
		.amdhsa_user_sgpr_queue_ptr 0
		.amdhsa_user_sgpr_kernarg_segment_ptr 1
		.amdhsa_user_sgpr_dispatch_id 0
		.amdhsa_user_sgpr_private_segment_size 0
		.amdhsa_wavefront_size32 1
		.amdhsa_uses_dynamic_stack 0
		.amdhsa_enable_private_segment 0
		.amdhsa_system_sgpr_workgroup_id_x 1
		.amdhsa_system_sgpr_workgroup_id_y 0
		.amdhsa_system_sgpr_workgroup_id_z 0
		.amdhsa_system_sgpr_workgroup_info 0
		.amdhsa_system_vgpr_workitem_id 0
		.amdhsa_next_free_vgpr 1
		.amdhsa_next_free_sgpr 1
		.amdhsa_reserve_vcc 0
		.amdhsa_float_round_mode_32 0
		.amdhsa_float_round_mode_16_64 0
		.amdhsa_float_denorm_mode_32 3
		.amdhsa_float_denorm_mode_16_64 3
		.amdhsa_dx10_clamp 1
		.amdhsa_ieee_mode 1
		.amdhsa_fp16_overflow 0
		.amdhsa_workgroup_processor_mode 1
		.amdhsa_memory_ordered 1
		.amdhsa_forward_progress 0
		.amdhsa_shared_vgpr_count 0
		.amdhsa_exception_fp_ieee_invalid_op 0
		.amdhsa_exception_fp_denorm_src 0
		.amdhsa_exception_fp_ieee_div_zero 0
		.amdhsa_exception_fp_ieee_overflow 0
		.amdhsa_exception_fp_ieee_underflow 0
		.amdhsa_exception_fp_ieee_inexact 0
		.amdhsa_exception_int_div_zero 0
	.end_amdhsa_kernel
	.section	.text._ZN7rocprim17ROCPRIM_400000_NS6detail17trampoline_kernelINS0_14default_configENS1_20scan_config_selectorIlEEZZNS1_9scan_implILNS1_25lookback_scan_determinismE0ELb0ELb0ES3_PlS8_lN6thrust23THRUST_200600_302600_NS4plusIvEElEEDaPvRmT3_T4_T5_mT6_P12ihipStream_tbENKUlT_T0_E_clISt17integral_constantIbLb1EESP_IbLb0EEEEDaSL_SM_EUlSL_E0_NS1_11comp_targetILNS1_3genE3ELNS1_11target_archE908ELNS1_3gpuE7ELNS1_3repE0EEENS1_30default_config_static_selectorELNS0_4arch9wavefront6targetE0EEEvT1_,"axG",@progbits,_ZN7rocprim17ROCPRIM_400000_NS6detail17trampoline_kernelINS0_14default_configENS1_20scan_config_selectorIlEEZZNS1_9scan_implILNS1_25lookback_scan_determinismE0ELb0ELb0ES3_PlS8_lN6thrust23THRUST_200600_302600_NS4plusIvEElEEDaPvRmT3_T4_T5_mT6_P12ihipStream_tbENKUlT_T0_E_clISt17integral_constantIbLb1EESP_IbLb0EEEEDaSL_SM_EUlSL_E0_NS1_11comp_targetILNS1_3genE3ELNS1_11target_archE908ELNS1_3gpuE7ELNS1_3repE0EEENS1_30default_config_static_selectorELNS0_4arch9wavefront6targetE0EEEvT1_,comdat
.Lfunc_end134:
	.size	_ZN7rocprim17ROCPRIM_400000_NS6detail17trampoline_kernelINS0_14default_configENS1_20scan_config_selectorIlEEZZNS1_9scan_implILNS1_25lookback_scan_determinismE0ELb0ELb0ES3_PlS8_lN6thrust23THRUST_200600_302600_NS4plusIvEElEEDaPvRmT3_T4_T5_mT6_P12ihipStream_tbENKUlT_T0_E_clISt17integral_constantIbLb1EESP_IbLb0EEEEDaSL_SM_EUlSL_E0_NS1_11comp_targetILNS1_3genE3ELNS1_11target_archE908ELNS1_3gpuE7ELNS1_3repE0EEENS1_30default_config_static_selectorELNS0_4arch9wavefront6targetE0EEEvT1_, .Lfunc_end134-_ZN7rocprim17ROCPRIM_400000_NS6detail17trampoline_kernelINS0_14default_configENS1_20scan_config_selectorIlEEZZNS1_9scan_implILNS1_25lookback_scan_determinismE0ELb0ELb0ES3_PlS8_lN6thrust23THRUST_200600_302600_NS4plusIvEElEEDaPvRmT3_T4_T5_mT6_P12ihipStream_tbENKUlT_T0_E_clISt17integral_constantIbLb1EESP_IbLb0EEEEDaSL_SM_EUlSL_E0_NS1_11comp_targetILNS1_3genE3ELNS1_11target_archE908ELNS1_3gpuE7ELNS1_3repE0EEENS1_30default_config_static_selectorELNS0_4arch9wavefront6targetE0EEEvT1_
                                        ; -- End function
	.section	.AMDGPU.csdata,"",@progbits
; Kernel info:
; codeLenInByte = 0
; NumSgprs: 0
; NumVgprs: 0
; ScratchSize: 0
; MemoryBound: 0
; FloatMode: 240
; IeeeMode: 1
; LDSByteSize: 0 bytes/workgroup (compile time only)
; SGPRBlocks: 0
; VGPRBlocks: 0
; NumSGPRsForWavesPerEU: 1
; NumVGPRsForWavesPerEU: 1
; Occupancy: 16
; WaveLimiterHint : 0
; COMPUTE_PGM_RSRC2:SCRATCH_EN: 0
; COMPUTE_PGM_RSRC2:USER_SGPR: 15
; COMPUTE_PGM_RSRC2:TRAP_HANDLER: 0
; COMPUTE_PGM_RSRC2:TGID_X_EN: 1
; COMPUTE_PGM_RSRC2:TGID_Y_EN: 0
; COMPUTE_PGM_RSRC2:TGID_Z_EN: 0
; COMPUTE_PGM_RSRC2:TIDIG_COMP_CNT: 0
	.section	.text._ZN7rocprim17ROCPRIM_400000_NS6detail17trampoline_kernelINS0_14default_configENS1_20scan_config_selectorIlEEZZNS1_9scan_implILNS1_25lookback_scan_determinismE0ELb0ELb0ES3_PlS8_lN6thrust23THRUST_200600_302600_NS4plusIvEElEEDaPvRmT3_T4_T5_mT6_P12ihipStream_tbENKUlT_T0_E_clISt17integral_constantIbLb1EESP_IbLb0EEEEDaSL_SM_EUlSL_E0_NS1_11comp_targetILNS1_3genE2ELNS1_11target_archE906ELNS1_3gpuE6ELNS1_3repE0EEENS1_30default_config_static_selectorELNS0_4arch9wavefront6targetE0EEEvT1_,"axG",@progbits,_ZN7rocprim17ROCPRIM_400000_NS6detail17trampoline_kernelINS0_14default_configENS1_20scan_config_selectorIlEEZZNS1_9scan_implILNS1_25lookback_scan_determinismE0ELb0ELb0ES3_PlS8_lN6thrust23THRUST_200600_302600_NS4plusIvEElEEDaPvRmT3_T4_T5_mT6_P12ihipStream_tbENKUlT_T0_E_clISt17integral_constantIbLb1EESP_IbLb0EEEEDaSL_SM_EUlSL_E0_NS1_11comp_targetILNS1_3genE2ELNS1_11target_archE906ELNS1_3gpuE6ELNS1_3repE0EEENS1_30default_config_static_selectorELNS0_4arch9wavefront6targetE0EEEvT1_,comdat
	.protected	_ZN7rocprim17ROCPRIM_400000_NS6detail17trampoline_kernelINS0_14default_configENS1_20scan_config_selectorIlEEZZNS1_9scan_implILNS1_25lookback_scan_determinismE0ELb0ELb0ES3_PlS8_lN6thrust23THRUST_200600_302600_NS4plusIvEElEEDaPvRmT3_T4_T5_mT6_P12ihipStream_tbENKUlT_T0_E_clISt17integral_constantIbLb1EESP_IbLb0EEEEDaSL_SM_EUlSL_E0_NS1_11comp_targetILNS1_3genE2ELNS1_11target_archE906ELNS1_3gpuE6ELNS1_3repE0EEENS1_30default_config_static_selectorELNS0_4arch9wavefront6targetE0EEEvT1_ ; -- Begin function _ZN7rocprim17ROCPRIM_400000_NS6detail17trampoline_kernelINS0_14default_configENS1_20scan_config_selectorIlEEZZNS1_9scan_implILNS1_25lookback_scan_determinismE0ELb0ELb0ES3_PlS8_lN6thrust23THRUST_200600_302600_NS4plusIvEElEEDaPvRmT3_T4_T5_mT6_P12ihipStream_tbENKUlT_T0_E_clISt17integral_constantIbLb1EESP_IbLb0EEEEDaSL_SM_EUlSL_E0_NS1_11comp_targetILNS1_3genE2ELNS1_11target_archE906ELNS1_3gpuE6ELNS1_3repE0EEENS1_30default_config_static_selectorELNS0_4arch9wavefront6targetE0EEEvT1_
	.globl	_ZN7rocprim17ROCPRIM_400000_NS6detail17trampoline_kernelINS0_14default_configENS1_20scan_config_selectorIlEEZZNS1_9scan_implILNS1_25lookback_scan_determinismE0ELb0ELb0ES3_PlS8_lN6thrust23THRUST_200600_302600_NS4plusIvEElEEDaPvRmT3_T4_T5_mT6_P12ihipStream_tbENKUlT_T0_E_clISt17integral_constantIbLb1EESP_IbLb0EEEEDaSL_SM_EUlSL_E0_NS1_11comp_targetILNS1_3genE2ELNS1_11target_archE906ELNS1_3gpuE6ELNS1_3repE0EEENS1_30default_config_static_selectorELNS0_4arch9wavefront6targetE0EEEvT1_
	.p2align	8
	.type	_ZN7rocprim17ROCPRIM_400000_NS6detail17trampoline_kernelINS0_14default_configENS1_20scan_config_selectorIlEEZZNS1_9scan_implILNS1_25lookback_scan_determinismE0ELb0ELb0ES3_PlS8_lN6thrust23THRUST_200600_302600_NS4plusIvEElEEDaPvRmT3_T4_T5_mT6_P12ihipStream_tbENKUlT_T0_E_clISt17integral_constantIbLb1EESP_IbLb0EEEEDaSL_SM_EUlSL_E0_NS1_11comp_targetILNS1_3genE2ELNS1_11target_archE906ELNS1_3gpuE6ELNS1_3repE0EEENS1_30default_config_static_selectorELNS0_4arch9wavefront6targetE0EEEvT1_,@function
_ZN7rocprim17ROCPRIM_400000_NS6detail17trampoline_kernelINS0_14default_configENS1_20scan_config_selectorIlEEZZNS1_9scan_implILNS1_25lookback_scan_determinismE0ELb0ELb0ES3_PlS8_lN6thrust23THRUST_200600_302600_NS4plusIvEElEEDaPvRmT3_T4_T5_mT6_P12ihipStream_tbENKUlT_T0_E_clISt17integral_constantIbLb1EESP_IbLb0EEEEDaSL_SM_EUlSL_E0_NS1_11comp_targetILNS1_3genE2ELNS1_11target_archE906ELNS1_3gpuE6ELNS1_3repE0EEENS1_30default_config_static_selectorELNS0_4arch9wavefront6targetE0EEEvT1_: ; @_ZN7rocprim17ROCPRIM_400000_NS6detail17trampoline_kernelINS0_14default_configENS1_20scan_config_selectorIlEEZZNS1_9scan_implILNS1_25lookback_scan_determinismE0ELb0ELb0ES3_PlS8_lN6thrust23THRUST_200600_302600_NS4plusIvEElEEDaPvRmT3_T4_T5_mT6_P12ihipStream_tbENKUlT_T0_E_clISt17integral_constantIbLb1EESP_IbLb0EEEEDaSL_SM_EUlSL_E0_NS1_11comp_targetILNS1_3genE2ELNS1_11target_archE906ELNS1_3gpuE6ELNS1_3repE0EEENS1_30default_config_static_selectorELNS0_4arch9wavefront6targetE0EEEvT1_
; %bb.0:
	.section	.rodata,"a",@progbits
	.p2align	6, 0x0
	.amdhsa_kernel _ZN7rocprim17ROCPRIM_400000_NS6detail17trampoline_kernelINS0_14default_configENS1_20scan_config_selectorIlEEZZNS1_9scan_implILNS1_25lookback_scan_determinismE0ELb0ELb0ES3_PlS8_lN6thrust23THRUST_200600_302600_NS4plusIvEElEEDaPvRmT3_T4_T5_mT6_P12ihipStream_tbENKUlT_T0_E_clISt17integral_constantIbLb1EESP_IbLb0EEEEDaSL_SM_EUlSL_E0_NS1_11comp_targetILNS1_3genE2ELNS1_11target_archE906ELNS1_3gpuE6ELNS1_3repE0EEENS1_30default_config_static_selectorELNS0_4arch9wavefront6targetE0EEEvT1_
		.amdhsa_group_segment_fixed_size 0
		.amdhsa_private_segment_fixed_size 0
		.amdhsa_kernarg_size 40
		.amdhsa_user_sgpr_count 15
		.amdhsa_user_sgpr_dispatch_ptr 0
		.amdhsa_user_sgpr_queue_ptr 0
		.amdhsa_user_sgpr_kernarg_segment_ptr 1
		.amdhsa_user_sgpr_dispatch_id 0
		.amdhsa_user_sgpr_private_segment_size 0
		.amdhsa_wavefront_size32 1
		.amdhsa_uses_dynamic_stack 0
		.amdhsa_enable_private_segment 0
		.amdhsa_system_sgpr_workgroup_id_x 1
		.amdhsa_system_sgpr_workgroup_id_y 0
		.amdhsa_system_sgpr_workgroup_id_z 0
		.amdhsa_system_sgpr_workgroup_info 0
		.amdhsa_system_vgpr_workitem_id 0
		.amdhsa_next_free_vgpr 1
		.amdhsa_next_free_sgpr 1
		.amdhsa_reserve_vcc 0
		.amdhsa_float_round_mode_32 0
		.amdhsa_float_round_mode_16_64 0
		.amdhsa_float_denorm_mode_32 3
		.amdhsa_float_denorm_mode_16_64 3
		.amdhsa_dx10_clamp 1
		.amdhsa_ieee_mode 1
		.amdhsa_fp16_overflow 0
		.amdhsa_workgroup_processor_mode 1
		.amdhsa_memory_ordered 1
		.amdhsa_forward_progress 0
		.amdhsa_shared_vgpr_count 0
		.amdhsa_exception_fp_ieee_invalid_op 0
		.amdhsa_exception_fp_denorm_src 0
		.amdhsa_exception_fp_ieee_div_zero 0
		.amdhsa_exception_fp_ieee_overflow 0
		.amdhsa_exception_fp_ieee_underflow 0
		.amdhsa_exception_fp_ieee_inexact 0
		.amdhsa_exception_int_div_zero 0
	.end_amdhsa_kernel
	.section	.text._ZN7rocprim17ROCPRIM_400000_NS6detail17trampoline_kernelINS0_14default_configENS1_20scan_config_selectorIlEEZZNS1_9scan_implILNS1_25lookback_scan_determinismE0ELb0ELb0ES3_PlS8_lN6thrust23THRUST_200600_302600_NS4plusIvEElEEDaPvRmT3_T4_T5_mT6_P12ihipStream_tbENKUlT_T0_E_clISt17integral_constantIbLb1EESP_IbLb0EEEEDaSL_SM_EUlSL_E0_NS1_11comp_targetILNS1_3genE2ELNS1_11target_archE906ELNS1_3gpuE6ELNS1_3repE0EEENS1_30default_config_static_selectorELNS0_4arch9wavefront6targetE0EEEvT1_,"axG",@progbits,_ZN7rocprim17ROCPRIM_400000_NS6detail17trampoline_kernelINS0_14default_configENS1_20scan_config_selectorIlEEZZNS1_9scan_implILNS1_25lookback_scan_determinismE0ELb0ELb0ES3_PlS8_lN6thrust23THRUST_200600_302600_NS4plusIvEElEEDaPvRmT3_T4_T5_mT6_P12ihipStream_tbENKUlT_T0_E_clISt17integral_constantIbLb1EESP_IbLb0EEEEDaSL_SM_EUlSL_E0_NS1_11comp_targetILNS1_3genE2ELNS1_11target_archE906ELNS1_3gpuE6ELNS1_3repE0EEENS1_30default_config_static_selectorELNS0_4arch9wavefront6targetE0EEEvT1_,comdat
.Lfunc_end135:
	.size	_ZN7rocprim17ROCPRIM_400000_NS6detail17trampoline_kernelINS0_14default_configENS1_20scan_config_selectorIlEEZZNS1_9scan_implILNS1_25lookback_scan_determinismE0ELb0ELb0ES3_PlS8_lN6thrust23THRUST_200600_302600_NS4plusIvEElEEDaPvRmT3_T4_T5_mT6_P12ihipStream_tbENKUlT_T0_E_clISt17integral_constantIbLb1EESP_IbLb0EEEEDaSL_SM_EUlSL_E0_NS1_11comp_targetILNS1_3genE2ELNS1_11target_archE906ELNS1_3gpuE6ELNS1_3repE0EEENS1_30default_config_static_selectorELNS0_4arch9wavefront6targetE0EEEvT1_, .Lfunc_end135-_ZN7rocprim17ROCPRIM_400000_NS6detail17trampoline_kernelINS0_14default_configENS1_20scan_config_selectorIlEEZZNS1_9scan_implILNS1_25lookback_scan_determinismE0ELb0ELb0ES3_PlS8_lN6thrust23THRUST_200600_302600_NS4plusIvEElEEDaPvRmT3_T4_T5_mT6_P12ihipStream_tbENKUlT_T0_E_clISt17integral_constantIbLb1EESP_IbLb0EEEEDaSL_SM_EUlSL_E0_NS1_11comp_targetILNS1_3genE2ELNS1_11target_archE906ELNS1_3gpuE6ELNS1_3repE0EEENS1_30default_config_static_selectorELNS0_4arch9wavefront6targetE0EEEvT1_
                                        ; -- End function
	.section	.AMDGPU.csdata,"",@progbits
; Kernel info:
; codeLenInByte = 0
; NumSgprs: 0
; NumVgprs: 0
; ScratchSize: 0
; MemoryBound: 0
; FloatMode: 240
; IeeeMode: 1
; LDSByteSize: 0 bytes/workgroup (compile time only)
; SGPRBlocks: 0
; VGPRBlocks: 0
; NumSGPRsForWavesPerEU: 1
; NumVGPRsForWavesPerEU: 1
; Occupancy: 16
; WaveLimiterHint : 0
; COMPUTE_PGM_RSRC2:SCRATCH_EN: 0
; COMPUTE_PGM_RSRC2:USER_SGPR: 15
; COMPUTE_PGM_RSRC2:TRAP_HANDLER: 0
; COMPUTE_PGM_RSRC2:TGID_X_EN: 1
; COMPUTE_PGM_RSRC2:TGID_Y_EN: 0
; COMPUTE_PGM_RSRC2:TGID_Z_EN: 0
; COMPUTE_PGM_RSRC2:TIDIG_COMP_CNT: 0
	.section	.text._ZN7rocprim17ROCPRIM_400000_NS6detail17trampoline_kernelINS0_14default_configENS1_20scan_config_selectorIlEEZZNS1_9scan_implILNS1_25lookback_scan_determinismE0ELb0ELb0ES3_PlS8_lN6thrust23THRUST_200600_302600_NS4plusIvEElEEDaPvRmT3_T4_T5_mT6_P12ihipStream_tbENKUlT_T0_E_clISt17integral_constantIbLb1EESP_IbLb0EEEEDaSL_SM_EUlSL_E0_NS1_11comp_targetILNS1_3genE10ELNS1_11target_archE1201ELNS1_3gpuE5ELNS1_3repE0EEENS1_30default_config_static_selectorELNS0_4arch9wavefront6targetE0EEEvT1_,"axG",@progbits,_ZN7rocprim17ROCPRIM_400000_NS6detail17trampoline_kernelINS0_14default_configENS1_20scan_config_selectorIlEEZZNS1_9scan_implILNS1_25lookback_scan_determinismE0ELb0ELb0ES3_PlS8_lN6thrust23THRUST_200600_302600_NS4plusIvEElEEDaPvRmT3_T4_T5_mT6_P12ihipStream_tbENKUlT_T0_E_clISt17integral_constantIbLb1EESP_IbLb0EEEEDaSL_SM_EUlSL_E0_NS1_11comp_targetILNS1_3genE10ELNS1_11target_archE1201ELNS1_3gpuE5ELNS1_3repE0EEENS1_30default_config_static_selectorELNS0_4arch9wavefront6targetE0EEEvT1_,comdat
	.protected	_ZN7rocprim17ROCPRIM_400000_NS6detail17trampoline_kernelINS0_14default_configENS1_20scan_config_selectorIlEEZZNS1_9scan_implILNS1_25lookback_scan_determinismE0ELb0ELb0ES3_PlS8_lN6thrust23THRUST_200600_302600_NS4plusIvEElEEDaPvRmT3_T4_T5_mT6_P12ihipStream_tbENKUlT_T0_E_clISt17integral_constantIbLb1EESP_IbLb0EEEEDaSL_SM_EUlSL_E0_NS1_11comp_targetILNS1_3genE10ELNS1_11target_archE1201ELNS1_3gpuE5ELNS1_3repE0EEENS1_30default_config_static_selectorELNS0_4arch9wavefront6targetE0EEEvT1_ ; -- Begin function _ZN7rocprim17ROCPRIM_400000_NS6detail17trampoline_kernelINS0_14default_configENS1_20scan_config_selectorIlEEZZNS1_9scan_implILNS1_25lookback_scan_determinismE0ELb0ELb0ES3_PlS8_lN6thrust23THRUST_200600_302600_NS4plusIvEElEEDaPvRmT3_T4_T5_mT6_P12ihipStream_tbENKUlT_T0_E_clISt17integral_constantIbLb1EESP_IbLb0EEEEDaSL_SM_EUlSL_E0_NS1_11comp_targetILNS1_3genE10ELNS1_11target_archE1201ELNS1_3gpuE5ELNS1_3repE0EEENS1_30default_config_static_selectorELNS0_4arch9wavefront6targetE0EEEvT1_
	.globl	_ZN7rocprim17ROCPRIM_400000_NS6detail17trampoline_kernelINS0_14default_configENS1_20scan_config_selectorIlEEZZNS1_9scan_implILNS1_25lookback_scan_determinismE0ELb0ELb0ES3_PlS8_lN6thrust23THRUST_200600_302600_NS4plusIvEElEEDaPvRmT3_T4_T5_mT6_P12ihipStream_tbENKUlT_T0_E_clISt17integral_constantIbLb1EESP_IbLb0EEEEDaSL_SM_EUlSL_E0_NS1_11comp_targetILNS1_3genE10ELNS1_11target_archE1201ELNS1_3gpuE5ELNS1_3repE0EEENS1_30default_config_static_selectorELNS0_4arch9wavefront6targetE0EEEvT1_
	.p2align	8
	.type	_ZN7rocprim17ROCPRIM_400000_NS6detail17trampoline_kernelINS0_14default_configENS1_20scan_config_selectorIlEEZZNS1_9scan_implILNS1_25lookback_scan_determinismE0ELb0ELb0ES3_PlS8_lN6thrust23THRUST_200600_302600_NS4plusIvEElEEDaPvRmT3_T4_T5_mT6_P12ihipStream_tbENKUlT_T0_E_clISt17integral_constantIbLb1EESP_IbLb0EEEEDaSL_SM_EUlSL_E0_NS1_11comp_targetILNS1_3genE10ELNS1_11target_archE1201ELNS1_3gpuE5ELNS1_3repE0EEENS1_30default_config_static_selectorELNS0_4arch9wavefront6targetE0EEEvT1_,@function
_ZN7rocprim17ROCPRIM_400000_NS6detail17trampoline_kernelINS0_14default_configENS1_20scan_config_selectorIlEEZZNS1_9scan_implILNS1_25lookback_scan_determinismE0ELb0ELb0ES3_PlS8_lN6thrust23THRUST_200600_302600_NS4plusIvEElEEDaPvRmT3_T4_T5_mT6_P12ihipStream_tbENKUlT_T0_E_clISt17integral_constantIbLb1EESP_IbLb0EEEEDaSL_SM_EUlSL_E0_NS1_11comp_targetILNS1_3genE10ELNS1_11target_archE1201ELNS1_3gpuE5ELNS1_3repE0EEENS1_30default_config_static_selectorELNS0_4arch9wavefront6targetE0EEEvT1_: ; @_ZN7rocprim17ROCPRIM_400000_NS6detail17trampoline_kernelINS0_14default_configENS1_20scan_config_selectorIlEEZZNS1_9scan_implILNS1_25lookback_scan_determinismE0ELb0ELb0ES3_PlS8_lN6thrust23THRUST_200600_302600_NS4plusIvEElEEDaPvRmT3_T4_T5_mT6_P12ihipStream_tbENKUlT_T0_E_clISt17integral_constantIbLb1EESP_IbLb0EEEEDaSL_SM_EUlSL_E0_NS1_11comp_targetILNS1_3genE10ELNS1_11target_archE1201ELNS1_3gpuE5ELNS1_3repE0EEENS1_30default_config_static_selectorELNS0_4arch9wavefront6targetE0EEEvT1_
; %bb.0:
	.section	.rodata,"a",@progbits
	.p2align	6, 0x0
	.amdhsa_kernel _ZN7rocprim17ROCPRIM_400000_NS6detail17trampoline_kernelINS0_14default_configENS1_20scan_config_selectorIlEEZZNS1_9scan_implILNS1_25lookback_scan_determinismE0ELb0ELb0ES3_PlS8_lN6thrust23THRUST_200600_302600_NS4plusIvEElEEDaPvRmT3_T4_T5_mT6_P12ihipStream_tbENKUlT_T0_E_clISt17integral_constantIbLb1EESP_IbLb0EEEEDaSL_SM_EUlSL_E0_NS1_11comp_targetILNS1_3genE10ELNS1_11target_archE1201ELNS1_3gpuE5ELNS1_3repE0EEENS1_30default_config_static_selectorELNS0_4arch9wavefront6targetE0EEEvT1_
		.amdhsa_group_segment_fixed_size 0
		.amdhsa_private_segment_fixed_size 0
		.amdhsa_kernarg_size 40
		.amdhsa_user_sgpr_count 15
		.amdhsa_user_sgpr_dispatch_ptr 0
		.amdhsa_user_sgpr_queue_ptr 0
		.amdhsa_user_sgpr_kernarg_segment_ptr 1
		.amdhsa_user_sgpr_dispatch_id 0
		.amdhsa_user_sgpr_private_segment_size 0
		.amdhsa_wavefront_size32 1
		.amdhsa_uses_dynamic_stack 0
		.amdhsa_enable_private_segment 0
		.amdhsa_system_sgpr_workgroup_id_x 1
		.amdhsa_system_sgpr_workgroup_id_y 0
		.amdhsa_system_sgpr_workgroup_id_z 0
		.amdhsa_system_sgpr_workgroup_info 0
		.amdhsa_system_vgpr_workitem_id 0
		.amdhsa_next_free_vgpr 1
		.amdhsa_next_free_sgpr 1
		.amdhsa_reserve_vcc 0
		.amdhsa_float_round_mode_32 0
		.amdhsa_float_round_mode_16_64 0
		.amdhsa_float_denorm_mode_32 3
		.amdhsa_float_denorm_mode_16_64 3
		.amdhsa_dx10_clamp 1
		.amdhsa_ieee_mode 1
		.amdhsa_fp16_overflow 0
		.amdhsa_workgroup_processor_mode 1
		.amdhsa_memory_ordered 1
		.amdhsa_forward_progress 0
		.amdhsa_shared_vgpr_count 0
		.amdhsa_exception_fp_ieee_invalid_op 0
		.amdhsa_exception_fp_denorm_src 0
		.amdhsa_exception_fp_ieee_div_zero 0
		.amdhsa_exception_fp_ieee_overflow 0
		.amdhsa_exception_fp_ieee_underflow 0
		.amdhsa_exception_fp_ieee_inexact 0
		.amdhsa_exception_int_div_zero 0
	.end_amdhsa_kernel
	.section	.text._ZN7rocprim17ROCPRIM_400000_NS6detail17trampoline_kernelINS0_14default_configENS1_20scan_config_selectorIlEEZZNS1_9scan_implILNS1_25lookback_scan_determinismE0ELb0ELb0ES3_PlS8_lN6thrust23THRUST_200600_302600_NS4plusIvEElEEDaPvRmT3_T4_T5_mT6_P12ihipStream_tbENKUlT_T0_E_clISt17integral_constantIbLb1EESP_IbLb0EEEEDaSL_SM_EUlSL_E0_NS1_11comp_targetILNS1_3genE10ELNS1_11target_archE1201ELNS1_3gpuE5ELNS1_3repE0EEENS1_30default_config_static_selectorELNS0_4arch9wavefront6targetE0EEEvT1_,"axG",@progbits,_ZN7rocprim17ROCPRIM_400000_NS6detail17trampoline_kernelINS0_14default_configENS1_20scan_config_selectorIlEEZZNS1_9scan_implILNS1_25lookback_scan_determinismE0ELb0ELb0ES3_PlS8_lN6thrust23THRUST_200600_302600_NS4plusIvEElEEDaPvRmT3_T4_T5_mT6_P12ihipStream_tbENKUlT_T0_E_clISt17integral_constantIbLb1EESP_IbLb0EEEEDaSL_SM_EUlSL_E0_NS1_11comp_targetILNS1_3genE10ELNS1_11target_archE1201ELNS1_3gpuE5ELNS1_3repE0EEENS1_30default_config_static_selectorELNS0_4arch9wavefront6targetE0EEEvT1_,comdat
.Lfunc_end136:
	.size	_ZN7rocprim17ROCPRIM_400000_NS6detail17trampoline_kernelINS0_14default_configENS1_20scan_config_selectorIlEEZZNS1_9scan_implILNS1_25lookback_scan_determinismE0ELb0ELb0ES3_PlS8_lN6thrust23THRUST_200600_302600_NS4plusIvEElEEDaPvRmT3_T4_T5_mT6_P12ihipStream_tbENKUlT_T0_E_clISt17integral_constantIbLb1EESP_IbLb0EEEEDaSL_SM_EUlSL_E0_NS1_11comp_targetILNS1_3genE10ELNS1_11target_archE1201ELNS1_3gpuE5ELNS1_3repE0EEENS1_30default_config_static_selectorELNS0_4arch9wavefront6targetE0EEEvT1_, .Lfunc_end136-_ZN7rocprim17ROCPRIM_400000_NS6detail17trampoline_kernelINS0_14default_configENS1_20scan_config_selectorIlEEZZNS1_9scan_implILNS1_25lookback_scan_determinismE0ELb0ELb0ES3_PlS8_lN6thrust23THRUST_200600_302600_NS4plusIvEElEEDaPvRmT3_T4_T5_mT6_P12ihipStream_tbENKUlT_T0_E_clISt17integral_constantIbLb1EESP_IbLb0EEEEDaSL_SM_EUlSL_E0_NS1_11comp_targetILNS1_3genE10ELNS1_11target_archE1201ELNS1_3gpuE5ELNS1_3repE0EEENS1_30default_config_static_selectorELNS0_4arch9wavefront6targetE0EEEvT1_
                                        ; -- End function
	.section	.AMDGPU.csdata,"",@progbits
; Kernel info:
; codeLenInByte = 0
; NumSgprs: 0
; NumVgprs: 0
; ScratchSize: 0
; MemoryBound: 0
; FloatMode: 240
; IeeeMode: 1
; LDSByteSize: 0 bytes/workgroup (compile time only)
; SGPRBlocks: 0
; VGPRBlocks: 0
; NumSGPRsForWavesPerEU: 1
; NumVGPRsForWavesPerEU: 1
; Occupancy: 16
; WaveLimiterHint : 0
; COMPUTE_PGM_RSRC2:SCRATCH_EN: 0
; COMPUTE_PGM_RSRC2:USER_SGPR: 15
; COMPUTE_PGM_RSRC2:TRAP_HANDLER: 0
; COMPUTE_PGM_RSRC2:TGID_X_EN: 1
; COMPUTE_PGM_RSRC2:TGID_Y_EN: 0
; COMPUTE_PGM_RSRC2:TGID_Z_EN: 0
; COMPUTE_PGM_RSRC2:TIDIG_COMP_CNT: 0
	.section	.text._ZN7rocprim17ROCPRIM_400000_NS6detail17trampoline_kernelINS0_14default_configENS1_20scan_config_selectorIlEEZZNS1_9scan_implILNS1_25lookback_scan_determinismE0ELb0ELb0ES3_PlS8_lN6thrust23THRUST_200600_302600_NS4plusIvEElEEDaPvRmT3_T4_T5_mT6_P12ihipStream_tbENKUlT_T0_E_clISt17integral_constantIbLb1EESP_IbLb0EEEEDaSL_SM_EUlSL_E0_NS1_11comp_targetILNS1_3genE10ELNS1_11target_archE1200ELNS1_3gpuE4ELNS1_3repE0EEENS1_30default_config_static_selectorELNS0_4arch9wavefront6targetE0EEEvT1_,"axG",@progbits,_ZN7rocprim17ROCPRIM_400000_NS6detail17trampoline_kernelINS0_14default_configENS1_20scan_config_selectorIlEEZZNS1_9scan_implILNS1_25lookback_scan_determinismE0ELb0ELb0ES3_PlS8_lN6thrust23THRUST_200600_302600_NS4plusIvEElEEDaPvRmT3_T4_T5_mT6_P12ihipStream_tbENKUlT_T0_E_clISt17integral_constantIbLb1EESP_IbLb0EEEEDaSL_SM_EUlSL_E0_NS1_11comp_targetILNS1_3genE10ELNS1_11target_archE1200ELNS1_3gpuE4ELNS1_3repE0EEENS1_30default_config_static_selectorELNS0_4arch9wavefront6targetE0EEEvT1_,comdat
	.protected	_ZN7rocprim17ROCPRIM_400000_NS6detail17trampoline_kernelINS0_14default_configENS1_20scan_config_selectorIlEEZZNS1_9scan_implILNS1_25lookback_scan_determinismE0ELb0ELb0ES3_PlS8_lN6thrust23THRUST_200600_302600_NS4plusIvEElEEDaPvRmT3_T4_T5_mT6_P12ihipStream_tbENKUlT_T0_E_clISt17integral_constantIbLb1EESP_IbLb0EEEEDaSL_SM_EUlSL_E0_NS1_11comp_targetILNS1_3genE10ELNS1_11target_archE1200ELNS1_3gpuE4ELNS1_3repE0EEENS1_30default_config_static_selectorELNS0_4arch9wavefront6targetE0EEEvT1_ ; -- Begin function _ZN7rocprim17ROCPRIM_400000_NS6detail17trampoline_kernelINS0_14default_configENS1_20scan_config_selectorIlEEZZNS1_9scan_implILNS1_25lookback_scan_determinismE0ELb0ELb0ES3_PlS8_lN6thrust23THRUST_200600_302600_NS4plusIvEElEEDaPvRmT3_T4_T5_mT6_P12ihipStream_tbENKUlT_T0_E_clISt17integral_constantIbLb1EESP_IbLb0EEEEDaSL_SM_EUlSL_E0_NS1_11comp_targetILNS1_3genE10ELNS1_11target_archE1200ELNS1_3gpuE4ELNS1_3repE0EEENS1_30default_config_static_selectorELNS0_4arch9wavefront6targetE0EEEvT1_
	.globl	_ZN7rocprim17ROCPRIM_400000_NS6detail17trampoline_kernelINS0_14default_configENS1_20scan_config_selectorIlEEZZNS1_9scan_implILNS1_25lookback_scan_determinismE0ELb0ELb0ES3_PlS8_lN6thrust23THRUST_200600_302600_NS4plusIvEElEEDaPvRmT3_T4_T5_mT6_P12ihipStream_tbENKUlT_T0_E_clISt17integral_constantIbLb1EESP_IbLb0EEEEDaSL_SM_EUlSL_E0_NS1_11comp_targetILNS1_3genE10ELNS1_11target_archE1200ELNS1_3gpuE4ELNS1_3repE0EEENS1_30default_config_static_selectorELNS0_4arch9wavefront6targetE0EEEvT1_
	.p2align	8
	.type	_ZN7rocprim17ROCPRIM_400000_NS6detail17trampoline_kernelINS0_14default_configENS1_20scan_config_selectorIlEEZZNS1_9scan_implILNS1_25lookback_scan_determinismE0ELb0ELb0ES3_PlS8_lN6thrust23THRUST_200600_302600_NS4plusIvEElEEDaPvRmT3_T4_T5_mT6_P12ihipStream_tbENKUlT_T0_E_clISt17integral_constantIbLb1EESP_IbLb0EEEEDaSL_SM_EUlSL_E0_NS1_11comp_targetILNS1_3genE10ELNS1_11target_archE1200ELNS1_3gpuE4ELNS1_3repE0EEENS1_30default_config_static_selectorELNS0_4arch9wavefront6targetE0EEEvT1_,@function
_ZN7rocprim17ROCPRIM_400000_NS6detail17trampoline_kernelINS0_14default_configENS1_20scan_config_selectorIlEEZZNS1_9scan_implILNS1_25lookback_scan_determinismE0ELb0ELb0ES3_PlS8_lN6thrust23THRUST_200600_302600_NS4plusIvEElEEDaPvRmT3_T4_T5_mT6_P12ihipStream_tbENKUlT_T0_E_clISt17integral_constantIbLb1EESP_IbLb0EEEEDaSL_SM_EUlSL_E0_NS1_11comp_targetILNS1_3genE10ELNS1_11target_archE1200ELNS1_3gpuE4ELNS1_3repE0EEENS1_30default_config_static_selectorELNS0_4arch9wavefront6targetE0EEEvT1_: ; @_ZN7rocprim17ROCPRIM_400000_NS6detail17trampoline_kernelINS0_14default_configENS1_20scan_config_selectorIlEEZZNS1_9scan_implILNS1_25lookback_scan_determinismE0ELb0ELb0ES3_PlS8_lN6thrust23THRUST_200600_302600_NS4plusIvEElEEDaPvRmT3_T4_T5_mT6_P12ihipStream_tbENKUlT_T0_E_clISt17integral_constantIbLb1EESP_IbLb0EEEEDaSL_SM_EUlSL_E0_NS1_11comp_targetILNS1_3genE10ELNS1_11target_archE1200ELNS1_3gpuE4ELNS1_3repE0EEENS1_30default_config_static_selectorELNS0_4arch9wavefront6targetE0EEEvT1_
; %bb.0:
	.section	.rodata,"a",@progbits
	.p2align	6, 0x0
	.amdhsa_kernel _ZN7rocprim17ROCPRIM_400000_NS6detail17trampoline_kernelINS0_14default_configENS1_20scan_config_selectorIlEEZZNS1_9scan_implILNS1_25lookback_scan_determinismE0ELb0ELb0ES3_PlS8_lN6thrust23THRUST_200600_302600_NS4plusIvEElEEDaPvRmT3_T4_T5_mT6_P12ihipStream_tbENKUlT_T0_E_clISt17integral_constantIbLb1EESP_IbLb0EEEEDaSL_SM_EUlSL_E0_NS1_11comp_targetILNS1_3genE10ELNS1_11target_archE1200ELNS1_3gpuE4ELNS1_3repE0EEENS1_30default_config_static_selectorELNS0_4arch9wavefront6targetE0EEEvT1_
		.amdhsa_group_segment_fixed_size 0
		.amdhsa_private_segment_fixed_size 0
		.amdhsa_kernarg_size 40
		.amdhsa_user_sgpr_count 15
		.amdhsa_user_sgpr_dispatch_ptr 0
		.amdhsa_user_sgpr_queue_ptr 0
		.amdhsa_user_sgpr_kernarg_segment_ptr 1
		.amdhsa_user_sgpr_dispatch_id 0
		.amdhsa_user_sgpr_private_segment_size 0
		.amdhsa_wavefront_size32 1
		.amdhsa_uses_dynamic_stack 0
		.amdhsa_enable_private_segment 0
		.amdhsa_system_sgpr_workgroup_id_x 1
		.amdhsa_system_sgpr_workgroup_id_y 0
		.amdhsa_system_sgpr_workgroup_id_z 0
		.amdhsa_system_sgpr_workgroup_info 0
		.amdhsa_system_vgpr_workitem_id 0
		.amdhsa_next_free_vgpr 1
		.amdhsa_next_free_sgpr 1
		.amdhsa_reserve_vcc 0
		.amdhsa_float_round_mode_32 0
		.amdhsa_float_round_mode_16_64 0
		.amdhsa_float_denorm_mode_32 3
		.amdhsa_float_denorm_mode_16_64 3
		.amdhsa_dx10_clamp 1
		.amdhsa_ieee_mode 1
		.amdhsa_fp16_overflow 0
		.amdhsa_workgroup_processor_mode 1
		.amdhsa_memory_ordered 1
		.amdhsa_forward_progress 0
		.amdhsa_shared_vgpr_count 0
		.amdhsa_exception_fp_ieee_invalid_op 0
		.amdhsa_exception_fp_denorm_src 0
		.amdhsa_exception_fp_ieee_div_zero 0
		.amdhsa_exception_fp_ieee_overflow 0
		.amdhsa_exception_fp_ieee_underflow 0
		.amdhsa_exception_fp_ieee_inexact 0
		.amdhsa_exception_int_div_zero 0
	.end_amdhsa_kernel
	.section	.text._ZN7rocprim17ROCPRIM_400000_NS6detail17trampoline_kernelINS0_14default_configENS1_20scan_config_selectorIlEEZZNS1_9scan_implILNS1_25lookback_scan_determinismE0ELb0ELb0ES3_PlS8_lN6thrust23THRUST_200600_302600_NS4plusIvEElEEDaPvRmT3_T4_T5_mT6_P12ihipStream_tbENKUlT_T0_E_clISt17integral_constantIbLb1EESP_IbLb0EEEEDaSL_SM_EUlSL_E0_NS1_11comp_targetILNS1_3genE10ELNS1_11target_archE1200ELNS1_3gpuE4ELNS1_3repE0EEENS1_30default_config_static_selectorELNS0_4arch9wavefront6targetE0EEEvT1_,"axG",@progbits,_ZN7rocprim17ROCPRIM_400000_NS6detail17trampoline_kernelINS0_14default_configENS1_20scan_config_selectorIlEEZZNS1_9scan_implILNS1_25lookback_scan_determinismE0ELb0ELb0ES3_PlS8_lN6thrust23THRUST_200600_302600_NS4plusIvEElEEDaPvRmT3_T4_T5_mT6_P12ihipStream_tbENKUlT_T0_E_clISt17integral_constantIbLb1EESP_IbLb0EEEEDaSL_SM_EUlSL_E0_NS1_11comp_targetILNS1_3genE10ELNS1_11target_archE1200ELNS1_3gpuE4ELNS1_3repE0EEENS1_30default_config_static_selectorELNS0_4arch9wavefront6targetE0EEEvT1_,comdat
.Lfunc_end137:
	.size	_ZN7rocprim17ROCPRIM_400000_NS6detail17trampoline_kernelINS0_14default_configENS1_20scan_config_selectorIlEEZZNS1_9scan_implILNS1_25lookback_scan_determinismE0ELb0ELb0ES3_PlS8_lN6thrust23THRUST_200600_302600_NS4plusIvEElEEDaPvRmT3_T4_T5_mT6_P12ihipStream_tbENKUlT_T0_E_clISt17integral_constantIbLb1EESP_IbLb0EEEEDaSL_SM_EUlSL_E0_NS1_11comp_targetILNS1_3genE10ELNS1_11target_archE1200ELNS1_3gpuE4ELNS1_3repE0EEENS1_30default_config_static_selectorELNS0_4arch9wavefront6targetE0EEEvT1_, .Lfunc_end137-_ZN7rocprim17ROCPRIM_400000_NS6detail17trampoline_kernelINS0_14default_configENS1_20scan_config_selectorIlEEZZNS1_9scan_implILNS1_25lookback_scan_determinismE0ELb0ELb0ES3_PlS8_lN6thrust23THRUST_200600_302600_NS4plusIvEElEEDaPvRmT3_T4_T5_mT6_P12ihipStream_tbENKUlT_T0_E_clISt17integral_constantIbLb1EESP_IbLb0EEEEDaSL_SM_EUlSL_E0_NS1_11comp_targetILNS1_3genE10ELNS1_11target_archE1200ELNS1_3gpuE4ELNS1_3repE0EEENS1_30default_config_static_selectorELNS0_4arch9wavefront6targetE0EEEvT1_
                                        ; -- End function
	.section	.AMDGPU.csdata,"",@progbits
; Kernel info:
; codeLenInByte = 0
; NumSgprs: 0
; NumVgprs: 0
; ScratchSize: 0
; MemoryBound: 0
; FloatMode: 240
; IeeeMode: 1
; LDSByteSize: 0 bytes/workgroup (compile time only)
; SGPRBlocks: 0
; VGPRBlocks: 0
; NumSGPRsForWavesPerEU: 1
; NumVGPRsForWavesPerEU: 1
; Occupancy: 16
; WaveLimiterHint : 0
; COMPUTE_PGM_RSRC2:SCRATCH_EN: 0
; COMPUTE_PGM_RSRC2:USER_SGPR: 15
; COMPUTE_PGM_RSRC2:TRAP_HANDLER: 0
; COMPUTE_PGM_RSRC2:TGID_X_EN: 1
; COMPUTE_PGM_RSRC2:TGID_Y_EN: 0
; COMPUTE_PGM_RSRC2:TGID_Z_EN: 0
; COMPUTE_PGM_RSRC2:TIDIG_COMP_CNT: 0
	.section	.text._ZN7rocprim17ROCPRIM_400000_NS6detail17trampoline_kernelINS0_14default_configENS1_20scan_config_selectorIlEEZZNS1_9scan_implILNS1_25lookback_scan_determinismE0ELb0ELb0ES3_PlS8_lN6thrust23THRUST_200600_302600_NS4plusIvEElEEDaPvRmT3_T4_T5_mT6_P12ihipStream_tbENKUlT_T0_E_clISt17integral_constantIbLb1EESP_IbLb0EEEEDaSL_SM_EUlSL_E0_NS1_11comp_targetILNS1_3genE9ELNS1_11target_archE1100ELNS1_3gpuE3ELNS1_3repE0EEENS1_30default_config_static_selectorELNS0_4arch9wavefront6targetE0EEEvT1_,"axG",@progbits,_ZN7rocprim17ROCPRIM_400000_NS6detail17trampoline_kernelINS0_14default_configENS1_20scan_config_selectorIlEEZZNS1_9scan_implILNS1_25lookback_scan_determinismE0ELb0ELb0ES3_PlS8_lN6thrust23THRUST_200600_302600_NS4plusIvEElEEDaPvRmT3_T4_T5_mT6_P12ihipStream_tbENKUlT_T0_E_clISt17integral_constantIbLb1EESP_IbLb0EEEEDaSL_SM_EUlSL_E0_NS1_11comp_targetILNS1_3genE9ELNS1_11target_archE1100ELNS1_3gpuE3ELNS1_3repE0EEENS1_30default_config_static_selectorELNS0_4arch9wavefront6targetE0EEEvT1_,comdat
	.protected	_ZN7rocprim17ROCPRIM_400000_NS6detail17trampoline_kernelINS0_14default_configENS1_20scan_config_selectorIlEEZZNS1_9scan_implILNS1_25lookback_scan_determinismE0ELb0ELb0ES3_PlS8_lN6thrust23THRUST_200600_302600_NS4plusIvEElEEDaPvRmT3_T4_T5_mT6_P12ihipStream_tbENKUlT_T0_E_clISt17integral_constantIbLb1EESP_IbLb0EEEEDaSL_SM_EUlSL_E0_NS1_11comp_targetILNS1_3genE9ELNS1_11target_archE1100ELNS1_3gpuE3ELNS1_3repE0EEENS1_30default_config_static_selectorELNS0_4arch9wavefront6targetE0EEEvT1_ ; -- Begin function _ZN7rocprim17ROCPRIM_400000_NS6detail17trampoline_kernelINS0_14default_configENS1_20scan_config_selectorIlEEZZNS1_9scan_implILNS1_25lookback_scan_determinismE0ELb0ELb0ES3_PlS8_lN6thrust23THRUST_200600_302600_NS4plusIvEElEEDaPvRmT3_T4_T5_mT6_P12ihipStream_tbENKUlT_T0_E_clISt17integral_constantIbLb1EESP_IbLb0EEEEDaSL_SM_EUlSL_E0_NS1_11comp_targetILNS1_3genE9ELNS1_11target_archE1100ELNS1_3gpuE3ELNS1_3repE0EEENS1_30default_config_static_selectorELNS0_4arch9wavefront6targetE0EEEvT1_
	.globl	_ZN7rocprim17ROCPRIM_400000_NS6detail17trampoline_kernelINS0_14default_configENS1_20scan_config_selectorIlEEZZNS1_9scan_implILNS1_25lookback_scan_determinismE0ELb0ELb0ES3_PlS8_lN6thrust23THRUST_200600_302600_NS4plusIvEElEEDaPvRmT3_T4_T5_mT6_P12ihipStream_tbENKUlT_T0_E_clISt17integral_constantIbLb1EESP_IbLb0EEEEDaSL_SM_EUlSL_E0_NS1_11comp_targetILNS1_3genE9ELNS1_11target_archE1100ELNS1_3gpuE3ELNS1_3repE0EEENS1_30default_config_static_selectorELNS0_4arch9wavefront6targetE0EEEvT1_
	.p2align	8
	.type	_ZN7rocprim17ROCPRIM_400000_NS6detail17trampoline_kernelINS0_14default_configENS1_20scan_config_selectorIlEEZZNS1_9scan_implILNS1_25lookback_scan_determinismE0ELb0ELb0ES3_PlS8_lN6thrust23THRUST_200600_302600_NS4plusIvEElEEDaPvRmT3_T4_T5_mT6_P12ihipStream_tbENKUlT_T0_E_clISt17integral_constantIbLb1EESP_IbLb0EEEEDaSL_SM_EUlSL_E0_NS1_11comp_targetILNS1_3genE9ELNS1_11target_archE1100ELNS1_3gpuE3ELNS1_3repE0EEENS1_30default_config_static_selectorELNS0_4arch9wavefront6targetE0EEEvT1_,@function
_ZN7rocprim17ROCPRIM_400000_NS6detail17trampoline_kernelINS0_14default_configENS1_20scan_config_selectorIlEEZZNS1_9scan_implILNS1_25lookback_scan_determinismE0ELb0ELb0ES3_PlS8_lN6thrust23THRUST_200600_302600_NS4plusIvEElEEDaPvRmT3_T4_T5_mT6_P12ihipStream_tbENKUlT_T0_E_clISt17integral_constantIbLb1EESP_IbLb0EEEEDaSL_SM_EUlSL_E0_NS1_11comp_targetILNS1_3genE9ELNS1_11target_archE1100ELNS1_3gpuE3ELNS1_3repE0EEENS1_30default_config_static_selectorELNS0_4arch9wavefront6targetE0EEEvT1_: ; @_ZN7rocprim17ROCPRIM_400000_NS6detail17trampoline_kernelINS0_14default_configENS1_20scan_config_selectorIlEEZZNS1_9scan_implILNS1_25lookback_scan_determinismE0ELb0ELb0ES3_PlS8_lN6thrust23THRUST_200600_302600_NS4plusIvEElEEDaPvRmT3_T4_T5_mT6_P12ihipStream_tbENKUlT_T0_E_clISt17integral_constantIbLb1EESP_IbLb0EEEEDaSL_SM_EUlSL_E0_NS1_11comp_targetILNS1_3genE9ELNS1_11target_archE1100ELNS1_3gpuE3ELNS1_3repE0EEENS1_30default_config_static_selectorELNS0_4arch9wavefront6targetE0EEEvT1_
; %bb.0:
	s_load_b128 s[20:23], s[0:1], 0x0
	v_lshlrev_b32_e32 v67, 3, v0
	s_waitcnt lgkmcnt(0)
	s_load_b64 s[18:19], s[20:21], 0x0
	v_cmp_gt_u32_e32 vcc_lo, s22, v0
	s_waitcnt lgkmcnt(0)
	v_dual_mov_b32 v1, s18 :: v_dual_mov_b32 v2, s19
	s_and_saveexec_b32 s2, vcc_lo
	s_cbranch_execz .LBB138_2
; %bb.1:
	global_load_b64 v[1:2], v67, s[20:21]
.LBB138_2:
	s_or_b32 exec_lo, exec_lo, s2
	v_or_b32_e32 v33, 0x100, v0
	v_dual_mov_b32 v3, s18 :: v_dual_mov_b32 v4, s19
	s_delay_alu instid0(VALU_DEP_2) | instskip(NEXT) | instid1(VALU_DEP_1)
	v_cmp_gt_u32_e64 s2, s22, v33
	s_and_saveexec_b32 s3, s2
	s_cbranch_execz .LBB138_4
; %bb.3:
	global_load_b64 v[3:4], v67, s[20:21] offset:2048
.LBB138_4:
	s_or_b32 exec_lo, exec_lo, s3
	v_or_b32_e32 v34, 0x200, v0
	v_dual_mov_b32 v5, s18 :: v_dual_mov_b32 v6, s19
	s_delay_alu instid0(VALU_DEP_2) | instskip(NEXT) | instid1(VALU_DEP_1)
	v_cmp_gt_u32_e64 s3, s22, v34
	s_and_saveexec_b32 s4, s3
	s_cbranch_execz .LBB138_6
; %bb.5:
	v_lshlrev_b32_e32 v5, 3, v34
	global_load_b64 v[5:6], v5, s[20:21]
.LBB138_6:
	s_or_b32 exec_lo, exec_lo, s4
	v_or_b32_e32 v35, 0x300, v0
	v_dual_mov_b32 v9, s18 :: v_dual_mov_b32 v10, s19
	s_delay_alu instid0(VALU_DEP_2) | instskip(NEXT) | instid1(VALU_DEP_1)
	v_cmp_gt_u32_e64 s4, s22, v35
	s_and_saveexec_b32 s5, s4
	s_cbranch_execz .LBB138_8
; %bb.7:
	v_lshlrev_b32_e32 v7, 3, v35
	global_load_b64 v[9:10], v7, s[20:21]
.LBB138_8:
	;; [unrolled: 11-line block ×14, first 2 shown]
	s_or_b32 exec_lo, exec_lo, s17
	v_lshrrev_b32_e32 v48, 2, v0
	v_lshrrev_b32_e32 v34, 2, v34
	;; [unrolled: 1-line block ×5, first 2 shown]
	v_and_b32_e32 v48, 56, v48
	v_and_b32_e32 v34, 0xf8, v34
	;; [unrolled: 1-line block ×4, first 2 shown]
	s_load_b64 s[18:19], s[0:1], 0x20
	v_add_nc_u32_e32 v68, v48, v67
	v_add_nc_u32_e32 v70, v34, v67
	v_and_b32_e32 v34, 0x1f8, v36
	v_lshrrev_b32_e32 v36, 2, v39
	v_add_nc_u32_e32 v69, v33, v67
	v_add_nc_u32_e32 v71, v35, v67
	s_waitcnt vmcnt(0)
	ds_store_b64 v68, v[1:2]
	ds_store_b64 v69, v[3:4] offset:2048
	ds_store_b64 v70, v[5:6] offset:4096
	;; [unrolled: 1-line block ×3, first 2 shown]
	v_and_b32_e32 v1, 0x1f8, v36
	v_lshrrev_b32_e32 v2, 2, v40
	v_lshrrev_b32_e32 v3, 2, v41
	;; [unrolled: 1-line block ×4, first 2 shown]
	v_add_nc_u32_e32 v75, v1, v67
	v_and_b32_e32 v1, 0x3f8, v2
	v_and_b32_e32 v2, 0x3f8, v3
	;; [unrolled: 1-line block ×4, first 2 shown]
	v_lshrrev_b32_e32 v33, 2, v37
	v_add_nc_u32_e32 v76, v1, v67
	v_lshrrev_b32_e32 v1, 2, v44
	v_add_nc_u32_e32 v77, v2, v67
	v_lshrrev_b32_e32 v2, 2, v45
	v_lshrrev_b32_e32 v37, 2, v38
	v_add_nc_u32_e32 v78, v3, v67
	v_lshrrev_b32_e32 v3, 2, v46
	v_add_nc_u32_e32 v79, v4, v67
	v_lshrrev_b32_e32 v4, 2, v47
	v_and_b32_e32 v1, 0x3f8, v1
	v_lshlrev_b32_e32 v5, 4, v0
	v_lshrrev_b32_e32 v6, 1, v0
	v_and_b32_e32 v33, 0x1f8, v33
	v_and_b32_e32 v2, 0x3f8, v2
	;; [unrolled: 1-line block ×5, first 2 shown]
	v_add_nc_u32_e32 v72, v34, v67
	v_add_nc_u32_e32 v80, v1, v67
	v_add_lshl_u32 v84, v6, v5, 3
	v_add_nc_u32_e32 v73, v33, v67
	v_add_nc_u32_e32 v81, v2, v67
	;; [unrolled: 1-line block ×5, first 2 shown]
	ds_store_b64 v72, v[7:8] offset:8192
	ds_store_b64 v73, v[11:12] offset:10240
	;; [unrolled: 1-line block ×12, first 2 shown]
	s_waitcnt lgkmcnt(0)
	s_barrier
	buffer_gl0_inv
	ds_load_2addr_b64 v[1:4], v84 offset1:1
	ds_load_2addr_b64 v[5:8], v84 offset0:2 offset1:3
	ds_load_2addr_b64 v[9:12], v84 offset0:4 offset1:5
	;; [unrolled: 1-line block ×7, first 2 shown]
	s_mov_b32 s1, exec_lo
	s_waitcnt lgkmcnt(0)
	s_barrier
	buffer_gl0_inv
	v_add_co_u32 v85, s17, v3, v1
	s_delay_alu instid0(VALU_DEP_1) | instskip(NEXT) | instid1(VALU_DEP_2)
	v_add_co_ci_u32_e64 v86, s17, v4, v2, s17
	v_add_co_u32 v37, s17, v85, v5
	s_delay_alu instid0(VALU_DEP_1) | instskip(NEXT) | instid1(VALU_DEP_2)
	v_add_co_ci_u32_e64 v38, s17, v86, v6, s17
	;; [unrolled: 3-line block ×14, first 2 shown]
	v_add_co_u32 v63, s0, v59, v31
	s_delay_alu instid0(VALU_DEP_1)
	v_add_co_ci_u32_e64 v64, s0, v60, v32, s0
	ds_store_b64 v68, v[63:64]
	s_waitcnt lgkmcnt(0)
	s_barrier
	buffer_gl0_inv
	v_cmpx_gt_u32_e32 32, v0
	s_cbranch_execz .LBB138_42
; %bb.33:
	v_lshlrev_b32_e32 v33, 1, v0
	s_mov_b32 s17, exec_lo
	s_delay_alu instid0(VALU_DEP_1) | instskip(NEXT) | instid1(VALU_DEP_1)
	v_and_b32_e32 v33, 0x1f8, v33
	v_lshl_or_b32 v87, v0, 6, v33
	ds_load_2addr_b64 v[33:36], v87 offset1:1
	ds_load_2addr_b64 v[88:91], v87 offset0:2 offset1:3
	ds_load_2addr_b64 v[92:95], v87 offset0:4 offset1:5
	;; [unrolled: 1-line block ×3, first 2 shown]
	s_waitcnt lgkmcnt(3)
	v_add_co_u32 v35, s0, v35, v33
	s_delay_alu instid0(VALU_DEP_1) | instskip(SKIP_1) | instid1(VALU_DEP_2)
	v_add_co_ci_u32_e64 v36, s0, v36, v34, s0
	s_waitcnt lgkmcnt(2)
	v_add_co_u32 v35, s0, v35, v88
	s_delay_alu instid0(VALU_DEP_1) | instskip(SKIP_1) | instid1(VALU_DEP_3)
	v_add_co_ci_u32_e64 v36, s0, v36, v89, s0
	v_mbcnt_lo_u32_b32 v88, -1, 0
	v_add_co_u32 v35, s0, v35, v90
	s_delay_alu instid0(VALU_DEP_1) | instskip(NEXT) | instid1(VALU_DEP_3)
	v_add_co_ci_u32_e64 v36, s0, v36, v91, s0
	v_and_b32_e32 v89, 15, v88
	s_waitcnt lgkmcnt(1)
	s_delay_alu instid0(VALU_DEP_3) | instskip(NEXT) | instid1(VALU_DEP_1)
	v_add_co_u32 v35, s0, v35, v92
	v_add_co_ci_u32_e64 v36, s0, v36, v93, s0
	s_delay_alu instid0(VALU_DEP_2) | instskip(NEXT) | instid1(VALU_DEP_1)
	v_add_co_u32 v35, s0, v35, v94
	v_add_co_ci_u32_e64 v36, s0, v36, v95, s0
	s_waitcnt lgkmcnt(0)
	s_delay_alu instid0(VALU_DEP_2) | instskip(NEXT) | instid1(VALU_DEP_1)
	v_add_co_u32 v35, s0, v35, v96
	v_add_co_ci_u32_e64 v36, s0, v36, v97, s0
	s_delay_alu instid0(VALU_DEP_2) | instskip(NEXT) | instid1(VALU_DEP_1)
	v_add_co_u32 v35, s0, v35, v98
	v_add_co_ci_u32_e64 v36, s0, v36, v99, s0
	s_delay_alu instid0(VALU_DEP_2) | instskip(NEXT) | instid1(VALU_DEP_2)
	v_mov_b32_dpp v91, v35 row_shr:1 row_mask:0xf bank_mask:0xf
	v_mov_b32_e32 v66, v36
	v_mov_b32_dpp v90, v36 row_shr:1 row_mask:0xf bank_mask:0xf
	v_mov_b32_e32 v65, v35
	v_cmpx_ne_u32_e32 0, v89
; %bb.34:
	v_add_co_u32 v35, s0, v35, v91
	s_delay_alu instid0(VALU_DEP_1) | instskip(NEXT) | instid1(VALU_DEP_2)
	v_add_co_ci_u32_e64 v36, s0, 0, v36, s0
	v_add_co_u32 v65, s0, 0, v35
	s_delay_alu instid0(VALU_DEP_1) | instskip(NEXT) | instid1(VALU_DEP_1)
	v_add_co_ci_u32_e64 v66, s0, v90, v36, s0
	v_mov_b32_e32 v36, v66
; %bb.35:
	s_or_b32 exec_lo, exec_lo, s17
	v_mov_b32_dpp v91, v35 row_shr:2 row_mask:0xf bank_mask:0xf
	s_delay_alu instid0(VALU_DEP_2)
	v_mov_b32_dpp v90, v36 row_shr:2 row_mask:0xf bank_mask:0xf
	s_mov_b32 s17, exec_lo
	v_cmpx_lt_u32_e32 1, v89
; %bb.36:
	s_delay_alu instid0(VALU_DEP_3) | instskip(NEXT) | instid1(VALU_DEP_1)
	v_add_co_u32 v35, s0, v65, v91
	v_add_co_ci_u32_e64 v36, s0, 0, v66, s0
	s_delay_alu instid0(VALU_DEP_2) | instskip(NEXT) | instid1(VALU_DEP_1)
	v_add_co_u32 v65, s0, 0, v35
	v_add_co_ci_u32_e64 v66, s0, v90, v36, s0
	s_delay_alu instid0(VALU_DEP_1)
	v_mov_b32_e32 v36, v66
; %bb.37:
	s_or_b32 exec_lo, exec_lo, s17
	v_mov_b32_dpp v91, v35 row_shr:4 row_mask:0xf bank_mask:0xf
	s_delay_alu instid0(VALU_DEP_2)
	v_mov_b32_dpp v90, v36 row_shr:4 row_mask:0xf bank_mask:0xf
	s_mov_b32 s17, exec_lo
	v_cmpx_lt_u32_e32 3, v89
; %bb.38:
	s_delay_alu instid0(VALU_DEP_3) | instskip(NEXT) | instid1(VALU_DEP_1)
	v_add_co_u32 v35, s0, v65, v91
	v_add_co_ci_u32_e64 v36, s0, 0, v66, s0
	s_delay_alu instid0(VALU_DEP_2) | instskip(NEXT) | instid1(VALU_DEP_1)
	v_add_co_u32 v65, s0, 0, v35
	v_add_co_ci_u32_e64 v66, s0, v90, v36, s0
	s_delay_alu instid0(VALU_DEP_1)
	;; [unrolled: 16-line block ×3, first 2 shown]
	v_mov_b32_e32 v36, v66
; %bb.41:
	s_or_b32 exec_lo, exec_lo, s17
	ds_swizzle_b32 v89, v35 offset:swizzle(BROADCAST,32,15)
	ds_swizzle_b32 v90, v36 offset:swizzle(BROADCAST,32,15)
	v_add_nc_u32_e32 v91, -1, v88
	v_and_b32_e32 v92, 16, v88
	; wave barrier
	s_delay_alu instid0(VALU_DEP_2) | instskip(NEXT) | instid1(VALU_DEP_1)
	v_cmp_gt_i32_e64 s0, 0, v91
	v_cndmask_b32_e64 v88, v91, v88, s0
	s_delay_alu instid0(VALU_DEP_1) | instskip(SKIP_2) | instid1(VALU_DEP_1)
	v_lshlrev_b32_e32 v88, 2, v88
	s_waitcnt lgkmcnt(1)
	v_add_co_u32 v65, s0, v65, v89
	v_add_co_ci_u32_e64 v66, s0, 0, v66, s0
	v_cmp_eq_u32_e64 s0, 0, v92
	s_delay_alu instid0(VALU_DEP_1) | instskip(SKIP_1) | instid1(VALU_DEP_3)
	v_cndmask_b32_e64 v35, v65, v35, s0
	s_waitcnt lgkmcnt(0)
	v_add_nc_u32_e32 v65, v90, v66
	ds_bpermute_b32 v35, v88, v35
	v_cndmask_b32_e64 v36, v65, v36, s0
	ds_bpermute_b32 v36, v88, v36
	s_waitcnt lgkmcnt(1)
	v_add_co_u32 v33, s0, v33, v35
	s_delay_alu instid0(VALU_DEP_1) | instskip(NEXT) | instid1(VALU_DEP_2)
	v_add_co_ci_u32_e64 v34, s0, 0, v34, s0
	v_add_co_u32 v33, s0, v33, 0
	s_waitcnt lgkmcnt(0)
	s_delay_alu instid0(VALU_DEP_2) | instskip(SKIP_1) | instid1(VALU_DEP_1)
	v_add_co_ci_u32_e64 v34, s0, v34, v36, s0
	v_cmp_eq_u32_e64 s0, 0, v0
	v_cndmask_b32_e64 v66, v34, v64, s0
	v_cndmask_b32_e64 v65, v33, v63, s0
	ds_store_b64 v87, v[65:66]
	; wave barrier
	ds_load_2addr_b64 v[33:36], v87 offset0:1 offset1:2
	ds_load_2addr_b64 v[88:91], v87 offset0:3 offset1:4
	ds_load_2addr_b64 v[92:95], v87 offset0:5 offset1:6
	s_waitcnt lgkmcnt(2)
	v_add_co_u32 v33, s0, v33, v65
	s_delay_alu instid0(VALU_DEP_1) | instskip(SKIP_2) | instid1(VALU_DEP_1)
	v_add_co_ci_u32_e64 v34, s0, v34, v66, s0
	ds_load_b64 v[65:66], v87 offset:56
	v_add_co_u32 v35, s0, v35, v33
	v_add_co_ci_u32_e64 v36, s0, v36, v34, s0
	s_waitcnt lgkmcnt(2)
	s_delay_alu instid0(VALU_DEP_2) | instskip(NEXT) | instid1(VALU_DEP_1)
	v_add_co_u32 v88, s0, v88, v35
	v_add_co_ci_u32_e64 v89, s0, v89, v36, s0
	s_delay_alu instid0(VALU_DEP_2) | instskip(NEXT) | instid1(VALU_DEP_1)
	v_add_co_u32 v90, s0, v90, v88
	v_add_co_ci_u32_e64 v91, s0, v91, v89, s0
	s_waitcnt lgkmcnt(1)
	s_delay_alu instid0(VALU_DEP_2) | instskip(NEXT) | instid1(VALU_DEP_1)
	v_add_co_u32 v92, s0, v92, v90
	v_add_co_ci_u32_e64 v93, s0, v93, v91, s0
	s_delay_alu instid0(VALU_DEP_2) | instskip(NEXT) | instid1(VALU_DEP_1)
	v_add_co_u32 v94, s0, v94, v92
	v_add_co_ci_u32_e64 v95, s0, v95, v93, s0
	s_waitcnt lgkmcnt(0)
	s_delay_alu instid0(VALU_DEP_2) | instskip(NEXT) | instid1(VALU_DEP_1)
	v_add_co_u32 v65, s0, v65, v94
	v_add_co_ci_u32_e64 v66, s0, v66, v95, s0
	ds_store_2addr_b64 v87, v[33:34], v[35:36] offset0:1 offset1:2
	ds_store_2addr_b64 v87, v[88:89], v[90:91] offset0:3 offset1:4
	;; [unrolled: 1-line block ×3, first 2 shown]
	ds_store_b64 v87, v[65:66] offset:56
.LBB138_42:
	s_or_b32 exec_lo, exec_lo, s1
	v_cmp_ne_u32_e64 s0, 0, v0
	v_dual_mov_b32 v33, v63 :: v_dual_mov_b32 v34, v64
	s_waitcnt lgkmcnt(0)
	s_barrier
	buffer_gl0_inv
	s_and_saveexec_b32 s1, s0
	s_cbranch_execz .LBB138_44
; %bb.43:
	v_add_nc_u32_e32 v0, -1, v0
	s_delay_alu instid0(VALU_DEP_1) | instskip(NEXT) | instid1(VALU_DEP_1)
	v_lshrrev_b32_e32 v33, 5, v0
	v_add_lshl_u32 v0, v33, v0, 3
	ds_load_b64 v[33:34], v0
.LBB138_44:
	s_or_b32 exec_lo, exec_lo, s1
	s_and_saveexec_b32 s1, s0
	s_cbranch_execz .LBB138_46
; %bb.45:
	s_waitcnt lgkmcnt(0)
	v_add_co_u32 v1, s0, v33, v1
	s_delay_alu instid0(VALU_DEP_1) | instskip(SKIP_1) | instid1(VALU_DEP_2)
	v_add_co_ci_u32_e64 v2, s0, v34, v2, s0
	;;#ASMSTART
	;;#ASMEND
	v_add_co_u32 v85, s0, v1, v3
	s_delay_alu instid0(VALU_DEP_1) | instskip(NEXT) | instid1(VALU_DEP_2)
	v_add_co_ci_u32_e64 v86, s0, v2, v4, s0
	v_add_co_u32 v37, s0, v85, v5
	s_delay_alu instid0(VALU_DEP_1) | instskip(NEXT) | instid1(VALU_DEP_2)
	v_add_co_ci_u32_e64 v38, s0, v86, v6, s0
	;; [unrolled: 3-line block ×14, first 2 shown]
	v_add_co_u32 v63, s0, v59, v31
	s_delay_alu instid0(VALU_DEP_1)
	v_add_co_ci_u32_e64 v64, s0, v60, v32, s0
.LBB138_46:
	s_or_b32 exec_lo, exec_lo, s1
	v_dual_mov_b32 v3, v85 :: v_dual_mov_b32 v4, v86
	s_waitcnt lgkmcnt(0)
	s_barrier
	buffer_gl0_inv
	ds_store_2addr_b64 v84, v[1:2], v[3:4] offset1:1
	ds_store_2addr_b64 v84, v[37:38], v[41:42] offset0:2 offset1:3
	ds_store_2addr_b64 v84, v[39:40], v[45:46] offset0:4 offset1:5
	;; [unrolled: 1-line block ×7, first 2 shown]
	s_waitcnt lgkmcnt(0)
	s_barrier
	buffer_gl0_inv
	ds_load_b64 v[30:31], v69 offset:2048
	ds_load_b64 v[28:29], v70 offset:4096
	;; [unrolled: 1-line block ×15, first 2 shown]
	v_add_co_u32 v2, s0, s18, v67
	s_delay_alu instid0(VALU_DEP_1)
	v_add_co_ci_u32_e64 v3, null, s19, 0, s0
	s_and_saveexec_b32 s0, vcc_lo
	s_cbranch_execnz .LBB138_63
; %bb.47:
	s_or_b32 exec_lo, exec_lo, s0
	s_and_saveexec_b32 s0, s2
	s_cbranch_execnz .LBB138_64
.LBB138_48:
	s_or_b32 exec_lo, exec_lo, s0
	s_and_saveexec_b32 s0, s3
	s_cbranch_execnz .LBB138_65
.LBB138_49:
	s_or_b32 exec_lo, exec_lo, s0
	s_and_saveexec_b32 s0, s4
	s_cbranch_execnz .LBB138_66
.LBB138_50:
	s_or_b32 exec_lo, exec_lo, s0
	s_and_saveexec_b32 s0, s5
	s_cbranch_execnz .LBB138_67
.LBB138_51:
	s_or_b32 exec_lo, exec_lo, s0
	s_and_saveexec_b32 s0, s6
	s_cbranch_execnz .LBB138_68
.LBB138_52:
	s_or_b32 exec_lo, exec_lo, s0
	s_and_saveexec_b32 s0, s7
	s_cbranch_execnz .LBB138_69
.LBB138_53:
	s_or_b32 exec_lo, exec_lo, s0
	s_and_saveexec_b32 s0, s8
	s_cbranch_execnz .LBB138_70
.LBB138_54:
	s_or_b32 exec_lo, exec_lo, s0
	s_and_saveexec_b32 s0, s9
	s_cbranch_execnz .LBB138_71
.LBB138_55:
	s_or_b32 exec_lo, exec_lo, s0
	s_and_saveexec_b32 s0, s10
	s_cbranch_execnz .LBB138_72
.LBB138_56:
	s_or_b32 exec_lo, exec_lo, s0
	s_and_saveexec_b32 s0, s11
	s_cbranch_execnz .LBB138_73
.LBB138_57:
	s_or_b32 exec_lo, exec_lo, s0
	s_and_saveexec_b32 s0, s12
	s_cbranch_execnz .LBB138_74
.LBB138_58:
	s_or_b32 exec_lo, exec_lo, s0
	s_and_saveexec_b32 s0, s13
	s_cbranch_execnz .LBB138_75
.LBB138_59:
	s_or_b32 exec_lo, exec_lo, s0
	s_and_saveexec_b32 s0, s14
	s_cbranch_execnz .LBB138_76
.LBB138_60:
	s_or_b32 exec_lo, exec_lo, s0
	s_and_saveexec_b32 s0, s15
	s_cbranch_execnz .LBB138_77
.LBB138_61:
	s_or_b32 exec_lo, exec_lo, s0
	s_and_saveexec_b32 s0, s16
	s_cbranch_execnz .LBB138_78
.LBB138_62:
	s_nop 0
	s_sendmsg sendmsg(MSG_DEALLOC_VGPRS)
	s_endpgm
.LBB138_63:
	ds_load_b64 v[32:33], v68
	s_waitcnt lgkmcnt(0)
	global_store_b64 v[2:3], v[32:33], off
	s_or_b32 exec_lo, exec_lo, s0
	s_and_saveexec_b32 s0, s2
	s_cbranch_execz .LBB138_48
.LBB138_64:
	s_waitcnt lgkmcnt(14)
	global_store_b64 v[2:3], v[30:31], off offset:2048
	s_or_b32 exec_lo, exec_lo, s0
	s_and_saveexec_b32 s0, s3
	s_cbranch_execz .LBB138_49
.LBB138_65:
	s_waitcnt lgkmcnt(14)
	v_add_co_u32 v30, vcc_lo, 0x1000, v2
	v_add_co_ci_u32_e32 v31, vcc_lo, 0, v3, vcc_lo
	s_waitcnt lgkmcnt(13)
	global_store_b64 v[30:31], v[28:29], off
	s_or_b32 exec_lo, exec_lo, s0
	s_and_saveexec_b32 s0, s4
	s_cbranch_execz .LBB138_50
.LBB138_66:
	s_waitcnt lgkmcnt(13)
	v_add_co_u32 v28, vcc_lo, 0x1000, v2
	v_add_co_ci_u32_e32 v29, vcc_lo, 0, v3, vcc_lo
	s_waitcnt lgkmcnt(12)
	global_store_b64 v[28:29], v[26:27], off offset:2048
	s_or_b32 exec_lo, exec_lo, s0
	s_and_saveexec_b32 s0, s5
	s_cbranch_execz .LBB138_51
.LBB138_67:
	s_waitcnt lgkmcnt(12)
	v_add_co_u32 v26, vcc_lo, 0x2000, v2
	v_add_co_ci_u32_e32 v27, vcc_lo, 0, v3, vcc_lo
	s_waitcnt lgkmcnt(11)
	global_store_b64 v[26:27], v[24:25], off
	s_or_b32 exec_lo, exec_lo, s0
	s_and_saveexec_b32 s0, s6
	s_cbranch_execz .LBB138_52
.LBB138_68:
	s_waitcnt lgkmcnt(11)
	v_add_co_u32 v24, vcc_lo, 0x2000, v2
	v_add_co_ci_u32_e32 v25, vcc_lo, 0, v3, vcc_lo
	s_waitcnt lgkmcnt(10)
	global_store_b64 v[24:25], v[22:23], off offset:2048
	s_or_b32 exec_lo, exec_lo, s0
	s_and_saveexec_b32 s0, s7
	s_cbranch_execz .LBB138_53
.LBB138_69:
	s_waitcnt lgkmcnt(10)
	v_add_co_u32 v22, vcc_lo, 0x3000, v2
	v_add_co_ci_u32_e32 v23, vcc_lo, 0, v3, vcc_lo
	s_waitcnt lgkmcnt(9)
	global_store_b64 v[22:23], v[20:21], off
	s_or_b32 exec_lo, exec_lo, s0
	s_and_saveexec_b32 s0, s8
	s_cbranch_execz .LBB138_54
.LBB138_70:
	s_waitcnt lgkmcnt(9)
	v_add_co_u32 v20, vcc_lo, 0x3000, v2
	v_add_co_ci_u32_e32 v21, vcc_lo, 0, v3, vcc_lo
	s_waitcnt lgkmcnt(8)
	global_store_b64 v[20:21], v[18:19], off offset:2048
	s_or_b32 exec_lo, exec_lo, s0
	s_and_saveexec_b32 s0, s9
	s_cbranch_execz .LBB138_55
.LBB138_71:
	s_waitcnt lgkmcnt(8)
	v_add_co_u32 v18, vcc_lo, 0x4000, v2
	v_add_co_ci_u32_e32 v19, vcc_lo, 0, v3, vcc_lo
	s_waitcnt lgkmcnt(7)
	global_store_b64 v[18:19], v[16:17], off
	s_or_b32 exec_lo, exec_lo, s0
	s_and_saveexec_b32 s0, s10
	s_cbranch_execz .LBB138_56
.LBB138_72:
	s_waitcnt lgkmcnt(7)
	v_add_co_u32 v16, vcc_lo, 0x4000, v2
	v_add_co_ci_u32_e32 v17, vcc_lo, 0, v3, vcc_lo
	s_waitcnt lgkmcnt(6)
	global_store_b64 v[16:17], v[14:15], off offset:2048
	s_or_b32 exec_lo, exec_lo, s0
	s_and_saveexec_b32 s0, s11
	s_cbranch_execz .LBB138_57
.LBB138_73:
	s_waitcnt lgkmcnt(6)
	v_add_co_u32 v14, vcc_lo, 0x5000, v2
	v_add_co_ci_u32_e32 v15, vcc_lo, 0, v3, vcc_lo
	s_waitcnt lgkmcnt(5)
	global_store_b64 v[14:15], v[12:13], off
	s_or_b32 exec_lo, exec_lo, s0
	s_and_saveexec_b32 s0, s12
	s_cbranch_execz .LBB138_58
.LBB138_74:
	s_waitcnt lgkmcnt(5)
	v_add_co_u32 v12, vcc_lo, 0x5000, v2
	v_add_co_ci_u32_e32 v13, vcc_lo, 0, v3, vcc_lo
	s_waitcnt lgkmcnt(4)
	global_store_b64 v[12:13], v[10:11], off offset:2048
	s_or_b32 exec_lo, exec_lo, s0
	s_and_saveexec_b32 s0, s13
	s_cbranch_execz .LBB138_59
.LBB138_75:
	s_waitcnt lgkmcnt(4)
	v_add_co_u32 v10, vcc_lo, 0x6000, v2
	v_add_co_ci_u32_e32 v11, vcc_lo, 0, v3, vcc_lo
	s_waitcnt lgkmcnt(3)
	global_store_b64 v[10:11], v[8:9], off
	s_or_b32 exec_lo, exec_lo, s0
	s_and_saveexec_b32 s0, s14
	s_cbranch_execz .LBB138_60
.LBB138_76:
	s_waitcnt lgkmcnt(3)
	v_add_co_u32 v8, vcc_lo, 0x6000, v2
	v_add_co_ci_u32_e32 v9, vcc_lo, 0, v3, vcc_lo
	s_waitcnt lgkmcnt(2)
	global_store_b64 v[8:9], v[6:7], off offset:2048
	s_or_b32 exec_lo, exec_lo, s0
	s_and_saveexec_b32 s0, s15
	s_cbranch_execz .LBB138_61
.LBB138_77:
	s_waitcnt lgkmcnt(2)
	v_add_co_u32 v6, vcc_lo, 0x7000, v2
	v_add_co_ci_u32_e32 v7, vcc_lo, 0, v3, vcc_lo
	s_waitcnt lgkmcnt(1)
	global_store_b64 v[6:7], v[4:5], off
	s_or_b32 exec_lo, exec_lo, s0
	s_and_saveexec_b32 s0, s16
	s_cbranch_execz .LBB138_62
.LBB138_78:
	v_add_co_u32 v2, vcc_lo, 0x7000, v2
	v_add_co_ci_u32_e32 v3, vcc_lo, 0, v3, vcc_lo
	s_waitcnt lgkmcnt(0)
	global_store_b64 v[2:3], v[0:1], off offset:2048
	s_nop 0
	s_sendmsg sendmsg(MSG_DEALLOC_VGPRS)
	s_endpgm
	.section	.rodata,"a",@progbits
	.p2align	6, 0x0
	.amdhsa_kernel _ZN7rocprim17ROCPRIM_400000_NS6detail17trampoline_kernelINS0_14default_configENS1_20scan_config_selectorIlEEZZNS1_9scan_implILNS1_25lookback_scan_determinismE0ELb0ELb0ES3_PlS8_lN6thrust23THRUST_200600_302600_NS4plusIvEElEEDaPvRmT3_T4_T5_mT6_P12ihipStream_tbENKUlT_T0_E_clISt17integral_constantIbLb1EESP_IbLb0EEEEDaSL_SM_EUlSL_E0_NS1_11comp_targetILNS1_3genE9ELNS1_11target_archE1100ELNS1_3gpuE3ELNS1_3repE0EEENS1_30default_config_static_selectorELNS0_4arch9wavefront6targetE0EEEvT1_
		.amdhsa_group_segment_fixed_size 33792
		.amdhsa_private_segment_fixed_size 0
		.amdhsa_kernarg_size 40
		.amdhsa_user_sgpr_count 15
		.amdhsa_user_sgpr_dispatch_ptr 0
		.amdhsa_user_sgpr_queue_ptr 0
		.amdhsa_user_sgpr_kernarg_segment_ptr 1
		.amdhsa_user_sgpr_dispatch_id 0
		.amdhsa_user_sgpr_private_segment_size 0
		.amdhsa_wavefront_size32 1
		.amdhsa_uses_dynamic_stack 0
		.amdhsa_enable_private_segment 0
		.amdhsa_system_sgpr_workgroup_id_x 1
		.amdhsa_system_sgpr_workgroup_id_y 0
		.amdhsa_system_sgpr_workgroup_id_z 0
		.amdhsa_system_sgpr_workgroup_info 0
		.amdhsa_system_vgpr_workitem_id 0
		.amdhsa_next_free_vgpr 100
		.amdhsa_next_free_sgpr 24
		.amdhsa_reserve_vcc 1
		.amdhsa_float_round_mode_32 0
		.amdhsa_float_round_mode_16_64 0
		.amdhsa_float_denorm_mode_32 3
		.amdhsa_float_denorm_mode_16_64 3
		.amdhsa_dx10_clamp 1
		.amdhsa_ieee_mode 1
		.amdhsa_fp16_overflow 0
		.amdhsa_workgroup_processor_mode 1
		.amdhsa_memory_ordered 1
		.amdhsa_forward_progress 0
		.amdhsa_shared_vgpr_count 0
		.amdhsa_exception_fp_ieee_invalid_op 0
		.amdhsa_exception_fp_denorm_src 0
		.amdhsa_exception_fp_ieee_div_zero 0
		.amdhsa_exception_fp_ieee_overflow 0
		.amdhsa_exception_fp_ieee_underflow 0
		.amdhsa_exception_fp_ieee_inexact 0
		.amdhsa_exception_int_div_zero 0
	.end_amdhsa_kernel
	.section	.text._ZN7rocprim17ROCPRIM_400000_NS6detail17trampoline_kernelINS0_14default_configENS1_20scan_config_selectorIlEEZZNS1_9scan_implILNS1_25lookback_scan_determinismE0ELb0ELb0ES3_PlS8_lN6thrust23THRUST_200600_302600_NS4plusIvEElEEDaPvRmT3_T4_T5_mT6_P12ihipStream_tbENKUlT_T0_E_clISt17integral_constantIbLb1EESP_IbLb0EEEEDaSL_SM_EUlSL_E0_NS1_11comp_targetILNS1_3genE9ELNS1_11target_archE1100ELNS1_3gpuE3ELNS1_3repE0EEENS1_30default_config_static_selectorELNS0_4arch9wavefront6targetE0EEEvT1_,"axG",@progbits,_ZN7rocprim17ROCPRIM_400000_NS6detail17trampoline_kernelINS0_14default_configENS1_20scan_config_selectorIlEEZZNS1_9scan_implILNS1_25lookback_scan_determinismE0ELb0ELb0ES3_PlS8_lN6thrust23THRUST_200600_302600_NS4plusIvEElEEDaPvRmT3_T4_T5_mT6_P12ihipStream_tbENKUlT_T0_E_clISt17integral_constantIbLb1EESP_IbLb0EEEEDaSL_SM_EUlSL_E0_NS1_11comp_targetILNS1_3genE9ELNS1_11target_archE1100ELNS1_3gpuE3ELNS1_3repE0EEENS1_30default_config_static_selectorELNS0_4arch9wavefront6targetE0EEEvT1_,comdat
.Lfunc_end138:
	.size	_ZN7rocprim17ROCPRIM_400000_NS6detail17trampoline_kernelINS0_14default_configENS1_20scan_config_selectorIlEEZZNS1_9scan_implILNS1_25lookback_scan_determinismE0ELb0ELb0ES3_PlS8_lN6thrust23THRUST_200600_302600_NS4plusIvEElEEDaPvRmT3_T4_T5_mT6_P12ihipStream_tbENKUlT_T0_E_clISt17integral_constantIbLb1EESP_IbLb0EEEEDaSL_SM_EUlSL_E0_NS1_11comp_targetILNS1_3genE9ELNS1_11target_archE1100ELNS1_3gpuE3ELNS1_3repE0EEENS1_30default_config_static_selectorELNS0_4arch9wavefront6targetE0EEEvT1_, .Lfunc_end138-_ZN7rocprim17ROCPRIM_400000_NS6detail17trampoline_kernelINS0_14default_configENS1_20scan_config_selectorIlEEZZNS1_9scan_implILNS1_25lookback_scan_determinismE0ELb0ELb0ES3_PlS8_lN6thrust23THRUST_200600_302600_NS4plusIvEElEEDaPvRmT3_T4_T5_mT6_P12ihipStream_tbENKUlT_T0_E_clISt17integral_constantIbLb1EESP_IbLb0EEEEDaSL_SM_EUlSL_E0_NS1_11comp_targetILNS1_3genE9ELNS1_11target_archE1100ELNS1_3gpuE3ELNS1_3repE0EEENS1_30default_config_static_selectorELNS0_4arch9wavefront6targetE0EEEvT1_
                                        ; -- End function
	.section	.AMDGPU.csdata,"",@progbits
; Kernel info:
; codeLenInByte = 4168
; NumSgprs: 26
; NumVgprs: 100
; ScratchSize: 0
; MemoryBound: 0
; FloatMode: 240
; IeeeMode: 1
; LDSByteSize: 33792 bytes/workgroup (compile time only)
; SGPRBlocks: 3
; VGPRBlocks: 12
; NumSGPRsForWavesPerEU: 26
; NumVGPRsForWavesPerEU: 100
; Occupancy: 6
; WaveLimiterHint : 0
; COMPUTE_PGM_RSRC2:SCRATCH_EN: 0
; COMPUTE_PGM_RSRC2:USER_SGPR: 15
; COMPUTE_PGM_RSRC2:TRAP_HANDLER: 0
; COMPUTE_PGM_RSRC2:TGID_X_EN: 1
; COMPUTE_PGM_RSRC2:TGID_Y_EN: 0
; COMPUTE_PGM_RSRC2:TGID_Z_EN: 0
; COMPUTE_PGM_RSRC2:TIDIG_COMP_CNT: 0
	.section	.text._ZN7rocprim17ROCPRIM_400000_NS6detail17trampoline_kernelINS0_14default_configENS1_20scan_config_selectorIlEEZZNS1_9scan_implILNS1_25lookback_scan_determinismE0ELb0ELb0ES3_PlS8_lN6thrust23THRUST_200600_302600_NS4plusIvEElEEDaPvRmT3_T4_T5_mT6_P12ihipStream_tbENKUlT_T0_E_clISt17integral_constantIbLb1EESP_IbLb0EEEEDaSL_SM_EUlSL_E0_NS1_11comp_targetILNS1_3genE8ELNS1_11target_archE1030ELNS1_3gpuE2ELNS1_3repE0EEENS1_30default_config_static_selectorELNS0_4arch9wavefront6targetE0EEEvT1_,"axG",@progbits,_ZN7rocprim17ROCPRIM_400000_NS6detail17trampoline_kernelINS0_14default_configENS1_20scan_config_selectorIlEEZZNS1_9scan_implILNS1_25lookback_scan_determinismE0ELb0ELb0ES3_PlS8_lN6thrust23THRUST_200600_302600_NS4plusIvEElEEDaPvRmT3_T4_T5_mT6_P12ihipStream_tbENKUlT_T0_E_clISt17integral_constantIbLb1EESP_IbLb0EEEEDaSL_SM_EUlSL_E0_NS1_11comp_targetILNS1_3genE8ELNS1_11target_archE1030ELNS1_3gpuE2ELNS1_3repE0EEENS1_30default_config_static_selectorELNS0_4arch9wavefront6targetE0EEEvT1_,comdat
	.protected	_ZN7rocprim17ROCPRIM_400000_NS6detail17trampoline_kernelINS0_14default_configENS1_20scan_config_selectorIlEEZZNS1_9scan_implILNS1_25lookback_scan_determinismE0ELb0ELb0ES3_PlS8_lN6thrust23THRUST_200600_302600_NS4plusIvEElEEDaPvRmT3_T4_T5_mT6_P12ihipStream_tbENKUlT_T0_E_clISt17integral_constantIbLb1EESP_IbLb0EEEEDaSL_SM_EUlSL_E0_NS1_11comp_targetILNS1_3genE8ELNS1_11target_archE1030ELNS1_3gpuE2ELNS1_3repE0EEENS1_30default_config_static_selectorELNS0_4arch9wavefront6targetE0EEEvT1_ ; -- Begin function _ZN7rocprim17ROCPRIM_400000_NS6detail17trampoline_kernelINS0_14default_configENS1_20scan_config_selectorIlEEZZNS1_9scan_implILNS1_25lookback_scan_determinismE0ELb0ELb0ES3_PlS8_lN6thrust23THRUST_200600_302600_NS4plusIvEElEEDaPvRmT3_T4_T5_mT6_P12ihipStream_tbENKUlT_T0_E_clISt17integral_constantIbLb1EESP_IbLb0EEEEDaSL_SM_EUlSL_E0_NS1_11comp_targetILNS1_3genE8ELNS1_11target_archE1030ELNS1_3gpuE2ELNS1_3repE0EEENS1_30default_config_static_selectorELNS0_4arch9wavefront6targetE0EEEvT1_
	.globl	_ZN7rocprim17ROCPRIM_400000_NS6detail17trampoline_kernelINS0_14default_configENS1_20scan_config_selectorIlEEZZNS1_9scan_implILNS1_25lookback_scan_determinismE0ELb0ELb0ES3_PlS8_lN6thrust23THRUST_200600_302600_NS4plusIvEElEEDaPvRmT3_T4_T5_mT6_P12ihipStream_tbENKUlT_T0_E_clISt17integral_constantIbLb1EESP_IbLb0EEEEDaSL_SM_EUlSL_E0_NS1_11comp_targetILNS1_3genE8ELNS1_11target_archE1030ELNS1_3gpuE2ELNS1_3repE0EEENS1_30default_config_static_selectorELNS0_4arch9wavefront6targetE0EEEvT1_
	.p2align	8
	.type	_ZN7rocprim17ROCPRIM_400000_NS6detail17trampoline_kernelINS0_14default_configENS1_20scan_config_selectorIlEEZZNS1_9scan_implILNS1_25lookback_scan_determinismE0ELb0ELb0ES3_PlS8_lN6thrust23THRUST_200600_302600_NS4plusIvEElEEDaPvRmT3_T4_T5_mT6_P12ihipStream_tbENKUlT_T0_E_clISt17integral_constantIbLb1EESP_IbLb0EEEEDaSL_SM_EUlSL_E0_NS1_11comp_targetILNS1_3genE8ELNS1_11target_archE1030ELNS1_3gpuE2ELNS1_3repE0EEENS1_30default_config_static_selectorELNS0_4arch9wavefront6targetE0EEEvT1_,@function
_ZN7rocprim17ROCPRIM_400000_NS6detail17trampoline_kernelINS0_14default_configENS1_20scan_config_selectorIlEEZZNS1_9scan_implILNS1_25lookback_scan_determinismE0ELb0ELb0ES3_PlS8_lN6thrust23THRUST_200600_302600_NS4plusIvEElEEDaPvRmT3_T4_T5_mT6_P12ihipStream_tbENKUlT_T0_E_clISt17integral_constantIbLb1EESP_IbLb0EEEEDaSL_SM_EUlSL_E0_NS1_11comp_targetILNS1_3genE8ELNS1_11target_archE1030ELNS1_3gpuE2ELNS1_3repE0EEENS1_30default_config_static_selectorELNS0_4arch9wavefront6targetE0EEEvT1_: ; @_ZN7rocprim17ROCPRIM_400000_NS6detail17trampoline_kernelINS0_14default_configENS1_20scan_config_selectorIlEEZZNS1_9scan_implILNS1_25lookback_scan_determinismE0ELb0ELb0ES3_PlS8_lN6thrust23THRUST_200600_302600_NS4plusIvEElEEDaPvRmT3_T4_T5_mT6_P12ihipStream_tbENKUlT_T0_E_clISt17integral_constantIbLb1EESP_IbLb0EEEEDaSL_SM_EUlSL_E0_NS1_11comp_targetILNS1_3genE8ELNS1_11target_archE1030ELNS1_3gpuE2ELNS1_3repE0EEENS1_30default_config_static_selectorELNS0_4arch9wavefront6targetE0EEEvT1_
; %bb.0:
	.section	.rodata,"a",@progbits
	.p2align	6, 0x0
	.amdhsa_kernel _ZN7rocprim17ROCPRIM_400000_NS6detail17trampoline_kernelINS0_14default_configENS1_20scan_config_selectorIlEEZZNS1_9scan_implILNS1_25lookback_scan_determinismE0ELb0ELb0ES3_PlS8_lN6thrust23THRUST_200600_302600_NS4plusIvEElEEDaPvRmT3_T4_T5_mT6_P12ihipStream_tbENKUlT_T0_E_clISt17integral_constantIbLb1EESP_IbLb0EEEEDaSL_SM_EUlSL_E0_NS1_11comp_targetILNS1_3genE8ELNS1_11target_archE1030ELNS1_3gpuE2ELNS1_3repE0EEENS1_30default_config_static_selectorELNS0_4arch9wavefront6targetE0EEEvT1_
		.amdhsa_group_segment_fixed_size 0
		.amdhsa_private_segment_fixed_size 0
		.amdhsa_kernarg_size 40
		.amdhsa_user_sgpr_count 15
		.amdhsa_user_sgpr_dispatch_ptr 0
		.amdhsa_user_sgpr_queue_ptr 0
		.amdhsa_user_sgpr_kernarg_segment_ptr 1
		.amdhsa_user_sgpr_dispatch_id 0
		.amdhsa_user_sgpr_private_segment_size 0
		.amdhsa_wavefront_size32 1
		.amdhsa_uses_dynamic_stack 0
		.amdhsa_enable_private_segment 0
		.amdhsa_system_sgpr_workgroup_id_x 1
		.amdhsa_system_sgpr_workgroup_id_y 0
		.amdhsa_system_sgpr_workgroup_id_z 0
		.amdhsa_system_sgpr_workgroup_info 0
		.amdhsa_system_vgpr_workitem_id 0
		.amdhsa_next_free_vgpr 1
		.amdhsa_next_free_sgpr 1
		.amdhsa_reserve_vcc 0
		.amdhsa_float_round_mode_32 0
		.amdhsa_float_round_mode_16_64 0
		.amdhsa_float_denorm_mode_32 3
		.amdhsa_float_denorm_mode_16_64 3
		.amdhsa_dx10_clamp 1
		.amdhsa_ieee_mode 1
		.amdhsa_fp16_overflow 0
		.amdhsa_workgroup_processor_mode 1
		.amdhsa_memory_ordered 1
		.amdhsa_forward_progress 0
		.amdhsa_shared_vgpr_count 0
		.amdhsa_exception_fp_ieee_invalid_op 0
		.amdhsa_exception_fp_denorm_src 0
		.amdhsa_exception_fp_ieee_div_zero 0
		.amdhsa_exception_fp_ieee_overflow 0
		.amdhsa_exception_fp_ieee_underflow 0
		.amdhsa_exception_fp_ieee_inexact 0
		.amdhsa_exception_int_div_zero 0
	.end_amdhsa_kernel
	.section	.text._ZN7rocprim17ROCPRIM_400000_NS6detail17trampoline_kernelINS0_14default_configENS1_20scan_config_selectorIlEEZZNS1_9scan_implILNS1_25lookback_scan_determinismE0ELb0ELb0ES3_PlS8_lN6thrust23THRUST_200600_302600_NS4plusIvEElEEDaPvRmT3_T4_T5_mT6_P12ihipStream_tbENKUlT_T0_E_clISt17integral_constantIbLb1EESP_IbLb0EEEEDaSL_SM_EUlSL_E0_NS1_11comp_targetILNS1_3genE8ELNS1_11target_archE1030ELNS1_3gpuE2ELNS1_3repE0EEENS1_30default_config_static_selectorELNS0_4arch9wavefront6targetE0EEEvT1_,"axG",@progbits,_ZN7rocprim17ROCPRIM_400000_NS6detail17trampoline_kernelINS0_14default_configENS1_20scan_config_selectorIlEEZZNS1_9scan_implILNS1_25lookback_scan_determinismE0ELb0ELb0ES3_PlS8_lN6thrust23THRUST_200600_302600_NS4plusIvEElEEDaPvRmT3_T4_T5_mT6_P12ihipStream_tbENKUlT_T0_E_clISt17integral_constantIbLb1EESP_IbLb0EEEEDaSL_SM_EUlSL_E0_NS1_11comp_targetILNS1_3genE8ELNS1_11target_archE1030ELNS1_3gpuE2ELNS1_3repE0EEENS1_30default_config_static_selectorELNS0_4arch9wavefront6targetE0EEEvT1_,comdat
.Lfunc_end139:
	.size	_ZN7rocprim17ROCPRIM_400000_NS6detail17trampoline_kernelINS0_14default_configENS1_20scan_config_selectorIlEEZZNS1_9scan_implILNS1_25lookback_scan_determinismE0ELb0ELb0ES3_PlS8_lN6thrust23THRUST_200600_302600_NS4plusIvEElEEDaPvRmT3_T4_T5_mT6_P12ihipStream_tbENKUlT_T0_E_clISt17integral_constantIbLb1EESP_IbLb0EEEEDaSL_SM_EUlSL_E0_NS1_11comp_targetILNS1_3genE8ELNS1_11target_archE1030ELNS1_3gpuE2ELNS1_3repE0EEENS1_30default_config_static_selectorELNS0_4arch9wavefront6targetE0EEEvT1_, .Lfunc_end139-_ZN7rocprim17ROCPRIM_400000_NS6detail17trampoline_kernelINS0_14default_configENS1_20scan_config_selectorIlEEZZNS1_9scan_implILNS1_25lookback_scan_determinismE0ELb0ELb0ES3_PlS8_lN6thrust23THRUST_200600_302600_NS4plusIvEElEEDaPvRmT3_T4_T5_mT6_P12ihipStream_tbENKUlT_T0_E_clISt17integral_constantIbLb1EESP_IbLb0EEEEDaSL_SM_EUlSL_E0_NS1_11comp_targetILNS1_3genE8ELNS1_11target_archE1030ELNS1_3gpuE2ELNS1_3repE0EEENS1_30default_config_static_selectorELNS0_4arch9wavefront6targetE0EEEvT1_
                                        ; -- End function
	.section	.AMDGPU.csdata,"",@progbits
; Kernel info:
; codeLenInByte = 0
; NumSgprs: 0
; NumVgprs: 0
; ScratchSize: 0
; MemoryBound: 0
; FloatMode: 240
; IeeeMode: 1
; LDSByteSize: 0 bytes/workgroup (compile time only)
; SGPRBlocks: 0
; VGPRBlocks: 0
; NumSGPRsForWavesPerEU: 1
; NumVGPRsForWavesPerEU: 1
; Occupancy: 16
; WaveLimiterHint : 0
; COMPUTE_PGM_RSRC2:SCRATCH_EN: 0
; COMPUTE_PGM_RSRC2:USER_SGPR: 15
; COMPUTE_PGM_RSRC2:TRAP_HANDLER: 0
; COMPUTE_PGM_RSRC2:TGID_X_EN: 1
; COMPUTE_PGM_RSRC2:TGID_Y_EN: 0
; COMPUTE_PGM_RSRC2:TGID_Z_EN: 0
; COMPUTE_PGM_RSRC2:TIDIG_COMP_CNT: 0
	.section	.text._ZN7rocprim17ROCPRIM_400000_NS6detail31init_lookback_scan_state_kernelINS1_19lookback_scan_stateIlLb0ELb1EEENS1_16block_id_wrapperIjLb1EEEEEvT_jT0_jPNS7_10value_typeE,"axG",@progbits,_ZN7rocprim17ROCPRIM_400000_NS6detail31init_lookback_scan_state_kernelINS1_19lookback_scan_stateIlLb0ELb1EEENS1_16block_id_wrapperIjLb1EEEEEvT_jT0_jPNS7_10value_typeE,comdat
	.protected	_ZN7rocprim17ROCPRIM_400000_NS6detail31init_lookback_scan_state_kernelINS1_19lookback_scan_stateIlLb0ELb1EEENS1_16block_id_wrapperIjLb1EEEEEvT_jT0_jPNS7_10value_typeE ; -- Begin function _ZN7rocprim17ROCPRIM_400000_NS6detail31init_lookback_scan_state_kernelINS1_19lookback_scan_stateIlLb0ELb1EEENS1_16block_id_wrapperIjLb1EEEEEvT_jT0_jPNS7_10value_typeE
	.globl	_ZN7rocprim17ROCPRIM_400000_NS6detail31init_lookback_scan_state_kernelINS1_19lookback_scan_stateIlLb0ELb1EEENS1_16block_id_wrapperIjLb1EEEEEvT_jT0_jPNS7_10value_typeE
	.p2align	8
	.type	_ZN7rocprim17ROCPRIM_400000_NS6detail31init_lookback_scan_state_kernelINS1_19lookback_scan_stateIlLb0ELb1EEENS1_16block_id_wrapperIjLb1EEEEEvT_jT0_jPNS7_10value_typeE,@function
_ZN7rocprim17ROCPRIM_400000_NS6detail31init_lookback_scan_state_kernelINS1_19lookback_scan_stateIlLb0ELb1EEENS1_16block_id_wrapperIjLb1EEEEEvT_jT0_jPNS7_10value_typeE: ; @_ZN7rocprim17ROCPRIM_400000_NS6detail31init_lookback_scan_state_kernelINS1_19lookback_scan_stateIlLb0ELb1EEENS1_16block_id_wrapperIjLb1EEEEEvT_jT0_jPNS7_10value_typeE
; %bb.0:
	s_clause 0x3
	s_load_b32 s6, s[0:1], 0x34
	s_load_b64 s[4:5], s[0:1], 0x20
	s_load_b64 s[2:3], s[0:1], 0x0
	s_load_b32 s8, s[0:1], 0x8
	s_waitcnt lgkmcnt(0)
	s_and_b32 s6, s6, 0xffff
	s_cmp_eq_u64 s[4:5], 0
	v_mad_u64_u32 v[1:2], null, s15, s6, v[0:1]
	s_cbranch_scc1 .LBB140_8
; %bb.1:
	s_load_b32 s6, s[0:1], 0x18
	s_waitcnt lgkmcnt(0)
	s_cmp_lt_u32 s6, s8
	s_cselect_b32 s7, s6, 0
	s_delay_alu instid0(VALU_DEP_1) | instid1(SALU_CYCLE_1)
	v_cmp_eq_u32_e32 vcc_lo, s7, v1
	s_mov_b32 s7, 0
	s_and_saveexec_b32 s9, vcc_lo
	s_cbranch_execz .LBB140_7
; %bb.2:
	s_add_i32 s6, s6, 32
	s_mov_b32 s10, exec_lo
	s_lshl_b64 s[6:7], s[6:7], 4
	v_mov_b32_e32 v6, 0
	s_add_u32 s6, s2, s6
	s_addc_u32 s7, s3, s7
	s_delay_alu instid0(SALU_CYCLE_1) | instskip(SKIP_2) | instid1(VALU_DEP_1)
	v_dual_mov_b32 v2, s6 :: v_dual_mov_b32 v3, s7
	;;#ASMSTART
	global_load_dwordx4 v[2:5], v[2:3] off glc	
s_waitcnt vmcnt(0)
	;;#ASMEND
	v_and_b32_e32 v5, 0xff, v4
	v_cmpx_eq_u64_e32 0, v[5:6]
	s_cbranch_execz .LBB140_6
; %bb.3:
	v_dual_mov_b32 v8, s7 :: v_dual_mov_b32 v7, s6
	s_mov_b32 s6, 0
.LBB140_4:                              ; =>This Inner Loop Header: Depth=1
	;;#ASMSTART
	global_load_dwordx4 v[2:5], v[7:8] off glc	
s_waitcnt vmcnt(0)
	;;#ASMEND
	v_and_b32_e32 v5, 0xff, v4
	s_delay_alu instid0(VALU_DEP_1) | instskip(SKIP_1) | instid1(SALU_CYCLE_1)
	v_cmp_ne_u64_e32 vcc_lo, 0, v[5:6]
	s_or_b32 s6, vcc_lo, s6
	s_and_not1_b32 exec_lo, exec_lo, s6
	s_cbranch_execnz .LBB140_4
; %bb.5:
	s_or_b32 exec_lo, exec_lo, s6
.LBB140_6:
	s_delay_alu instid0(SALU_CYCLE_1)
	s_or_b32 exec_lo, exec_lo, s10
	v_mov_b32_e32 v0, 0
	global_store_b64 v0, v[2:3], s[4:5]
.LBB140_7:
	s_or_b32 exec_lo, exec_lo, s9
.LBB140_8:
	s_delay_alu instid0(SALU_CYCLE_1) | instskip(NEXT) | instid1(VALU_DEP_1)
	s_mov_b32 s4, exec_lo
	v_cmpx_eq_u32_e32 0, v1
	s_cbranch_execz .LBB140_10
; %bb.9:
	s_load_b64 s[0:1], s[0:1], 0x10
	v_mov_b32_e32 v0, 0
	s_waitcnt lgkmcnt(0)
	global_store_b32 v0, v0, s[0:1]
.LBB140_10:
	s_or_b32 exec_lo, exec_lo, s4
	s_delay_alu instid0(SALU_CYCLE_1)
	s_mov_b32 s0, exec_lo
	v_cmpx_gt_u32_e64 s8, v1
	s_cbranch_execz .LBB140_12
; %bb.11:
	v_dual_mov_b32 v3, 0 :: v_dual_add_nc_u32 v2, 32, v1
	s_delay_alu instid0(VALU_DEP_1) | instskip(SKIP_2) | instid1(VALU_DEP_3)
	v_lshlrev_b64 v[5:6], 4, v[2:3]
	v_mov_b32_e32 v2, v3
	v_mov_b32_e32 v4, v3
	v_add_co_u32 v7, vcc_lo, s2, v5
	s_delay_alu instid0(VALU_DEP_4)
	v_add_co_ci_u32_e32 v8, vcc_lo, s3, v6, vcc_lo
	v_mov_b32_e32 v5, v3
	global_store_b128 v[7:8], v[2:5], off
.LBB140_12:
	s_or_b32 exec_lo, exec_lo, s0
	s_delay_alu instid0(SALU_CYCLE_1)
	s_mov_b32 s0, exec_lo
	v_cmpx_gt_u32_e32 32, v1
	s_cbranch_execz .LBB140_14
; %bb.13:
	v_dual_mov_b32 v2, 0 :: v_dual_mov_b32 v3, 0xff
	s_delay_alu instid0(VALU_DEP_1) | instskip(SKIP_1) | instid1(VALU_DEP_2)
	v_lshlrev_b64 v[4:5], 4, v[1:2]
	v_mov_b32_e32 v1, v2
	v_add_co_u32 v6, vcc_lo, s2, v4
	s_delay_alu instid0(VALU_DEP_3)
	v_add_co_ci_u32_e32 v7, vcc_lo, s3, v5, vcc_lo
	v_mov_b32_e32 v4, v2
	global_store_b128 v[6:7], v[1:4], off
.LBB140_14:
	s_nop 0
	s_sendmsg sendmsg(MSG_DEALLOC_VGPRS)
	s_endpgm
	.section	.rodata,"a",@progbits
	.p2align	6, 0x0
	.amdhsa_kernel _ZN7rocprim17ROCPRIM_400000_NS6detail31init_lookback_scan_state_kernelINS1_19lookback_scan_stateIlLb0ELb1EEENS1_16block_id_wrapperIjLb1EEEEEvT_jT0_jPNS7_10value_typeE
		.amdhsa_group_segment_fixed_size 0
		.amdhsa_private_segment_fixed_size 0
		.amdhsa_kernarg_size 296
		.amdhsa_user_sgpr_count 15
		.amdhsa_user_sgpr_dispatch_ptr 0
		.amdhsa_user_sgpr_queue_ptr 0
		.amdhsa_user_sgpr_kernarg_segment_ptr 1
		.amdhsa_user_sgpr_dispatch_id 0
		.amdhsa_user_sgpr_private_segment_size 0
		.amdhsa_wavefront_size32 1
		.amdhsa_uses_dynamic_stack 0
		.amdhsa_enable_private_segment 0
		.amdhsa_system_sgpr_workgroup_id_x 1
		.amdhsa_system_sgpr_workgroup_id_y 0
		.amdhsa_system_sgpr_workgroup_id_z 0
		.amdhsa_system_sgpr_workgroup_info 0
		.amdhsa_system_vgpr_workitem_id 0
		.amdhsa_next_free_vgpr 9
		.amdhsa_next_free_sgpr 16
		.amdhsa_reserve_vcc 1
		.amdhsa_float_round_mode_32 0
		.amdhsa_float_round_mode_16_64 0
		.amdhsa_float_denorm_mode_32 3
		.amdhsa_float_denorm_mode_16_64 3
		.amdhsa_dx10_clamp 1
		.amdhsa_ieee_mode 1
		.amdhsa_fp16_overflow 0
		.amdhsa_workgroup_processor_mode 1
		.amdhsa_memory_ordered 1
		.amdhsa_forward_progress 0
		.amdhsa_shared_vgpr_count 0
		.amdhsa_exception_fp_ieee_invalid_op 0
		.amdhsa_exception_fp_denorm_src 0
		.amdhsa_exception_fp_ieee_div_zero 0
		.amdhsa_exception_fp_ieee_overflow 0
		.amdhsa_exception_fp_ieee_underflow 0
		.amdhsa_exception_fp_ieee_inexact 0
		.amdhsa_exception_int_div_zero 0
	.end_amdhsa_kernel
	.section	.text._ZN7rocprim17ROCPRIM_400000_NS6detail31init_lookback_scan_state_kernelINS1_19lookback_scan_stateIlLb0ELb1EEENS1_16block_id_wrapperIjLb1EEEEEvT_jT0_jPNS7_10value_typeE,"axG",@progbits,_ZN7rocprim17ROCPRIM_400000_NS6detail31init_lookback_scan_state_kernelINS1_19lookback_scan_stateIlLb0ELb1EEENS1_16block_id_wrapperIjLb1EEEEEvT_jT0_jPNS7_10value_typeE,comdat
.Lfunc_end140:
	.size	_ZN7rocprim17ROCPRIM_400000_NS6detail31init_lookback_scan_state_kernelINS1_19lookback_scan_stateIlLb0ELb1EEENS1_16block_id_wrapperIjLb1EEEEEvT_jT0_jPNS7_10value_typeE, .Lfunc_end140-_ZN7rocprim17ROCPRIM_400000_NS6detail31init_lookback_scan_state_kernelINS1_19lookback_scan_stateIlLb0ELb1EEENS1_16block_id_wrapperIjLb1EEEEEvT_jT0_jPNS7_10value_typeE
                                        ; -- End function
	.section	.AMDGPU.csdata,"",@progbits
; Kernel info:
; codeLenInByte = 512
; NumSgprs: 18
; NumVgprs: 9
; ScratchSize: 0
; MemoryBound: 0
; FloatMode: 240
; IeeeMode: 1
; LDSByteSize: 0 bytes/workgroup (compile time only)
; SGPRBlocks: 2
; VGPRBlocks: 1
; NumSGPRsForWavesPerEU: 18
; NumVGPRsForWavesPerEU: 9
; Occupancy: 16
; WaveLimiterHint : 0
; COMPUTE_PGM_RSRC2:SCRATCH_EN: 0
; COMPUTE_PGM_RSRC2:USER_SGPR: 15
; COMPUTE_PGM_RSRC2:TRAP_HANDLER: 0
; COMPUTE_PGM_RSRC2:TGID_X_EN: 1
; COMPUTE_PGM_RSRC2:TGID_Y_EN: 0
; COMPUTE_PGM_RSRC2:TGID_Z_EN: 0
; COMPUTE_PGM_RSRC2:TIDIG_COMP_CNT: 0
	.section	.text._ZN7rocprim17ROCPRIM_400000_NS6detail17trampoline_kernelINS0_14default_configENS1_20scan_config_selectorIlEEZZNS1_9scan_implILNS1_25lookback_scan_determinismE0ELb0ELb0ES3_PlS8_lN6thrust23THRUST_200600_302600_NS4plusIvEElEEDaPvRmT3_T4_T5_mT6_P12ihipStream_tbENKUlT_T0_E_clISt17integral_constantIbLb0EESP_IbLb1EEEEDaSL_SM_EUlSL_E_NS1_11comp_targetILNS1_3genE0ELNS1_11target_archE4294967295ELNS1_3gpuE0ELNS1_3repE0EEENS1_30default_config_static_selectorELNS0_4arch9wavefront6targetE0EEEvT1_,"axG",@progbits,_ZN7rocprim17ROCPRIM_400000_NS6detail17trampoline_kernelINS0_14default_configENS1_20scan_config_selectorIlEEZZNS1_9scan_implILNS1_25lookback_scan_determinismE0ELb0ELb0ES3_PlS8_lN6thrust23THRUST_200600_302600_NS4plusIvEElEEDaPvRmT3_T4_T5_mT6_P12ihipStream_tbENKUlT_T0_E_clISt17integral_constantIbLb0EESP_IbLb1EEEEDaSL_SM_EUlSL_E_NS1_11comp_targetILNS1_3genE0ELNS1_11target_archE4294967295ELNS1_3gpuE0ELNS1_3repE0EEENS1_30default_config_static_selectorELNS0_4arch9wavefront6targetE0EEEvT1_,comdat
	.protected	_ZN7rocprim17ROCPRIM_400000_NS6detail17trampoline_kernelINS0_14default_configENS1_20scan_config_selectorIlEEZZNS1_9scan_implILNS1_25lookback_scan_determinismE0ELb0ELb0ES3_PlS8_lN6thrust23THRUST_200600_302600_NS4plusIvEElEEDaPvRmT3_T4_T5_mT6_P12ihipStream_tbENKUlT_T0_E_clISt17integral_constantIbLb0EESP_IbLb1EEEEDaSL_SM_EUlSL_E_NS1_11comp_targetILNS1_3genE0ELNS1_11target_archE4294967295ELNS1_3gpuE0ELNS1_3repE0EEENS1_30default_config_static_selectorELNS0_4arch9wavefront6targetE0EEEvT1_ ; -- Begin function _ZN7rocprim17ROCPRIM_400000_NS6detail17trampoline_kernelINS0_14default_configENS1_20scan_config_selectorIlEEZZNS1_9scan_implILNS1_25lookback_scan_determinismE0ELb0ELb0ES3_PlS8_lN6thrust23THRUST_200600_302600_NS4plusIvEElEEDaPvRmT3_T4_T5_mT6_P12ihipStream_tbENKUlT_T0_E_clISt17integral_constantIbLb0EESP_IbLb1EEEEDaSL_SM_EUlSL_E_NS1_11comp_targetILNS1_3genE0ELNS1_11target_archE4294967295ELNS1_3gpuE0ELNS1_3repE0EEENS1_30default_config_static_selectorELNS0_4arch9wavefront6targetE0EEEvT1_
	.globl	_ZN7rocprim17ROCPRIM_400000_NS6detail17trampoline_kernelINS0_14default_configENS1_20scan_config_selectorIlEEZZNS1_9scan_implILNS1_25lookback_scan_determinismE0ELb0ELb0ES3_PlS8_lN6thrust23THRUST_200600_302600_NS4plusIvEElEEDaPvRmT3_T4_T5_mT6_P12ihipStream_tbENKUlT_T0_E_clISt17integral_constantIbLb0EESP_IbLb1EEEEDaSL_SM_EUlSL_E_NS1_11comp_targetILNS1_3genE0ELNS1_11target_archE4294967295ELNS1_3gpuE0ELNS1_3repE0EEENS1_30default_config_static_selectorELNS0_4arch9wavefront6targetE0EEEvT1_
	.p2align	8
	.type	_ZN7rocprim17ROCPRIM_400000_NS6detail17trampoline_kernelINS0_14default_configENS1_20scan_config_selectorIlEEZZNS1_9scan_implILNS1_25lookback_scan_determinismE0ELb0ELb0ES3_PlS8_lN6thrust23THRUST_200600_302600_NS4plusIvEElEEDaPvRmT3_T4_T5_mT6_P12ihipStream_tbENKUlT_T0_E_clISt17integral_constantIbLb0EESP_IbLb1EEEEDaSL_SM_EUlSL_E_NS1_11comp_targetILNS1_3genE0ELNS1_11target_archE4294967295ELNS1_3gpuE0ELNS1_3repE0EEENS1_30default_config_static_selectorELNS0_4arch9wavefront6targetE0EEEvT1_,@function
_ZN7rocprim17ROCPRIM_400000_NS6detail17trampoline_kernelINS0_14default_configENS1_20scan_config_selectorIlEEZZNS1_9scan_implILNS1_25lookback_scan_determinismE0ELb0ELb0ES3_PlS8_lN6thrust23THRUST_200600_302600_NS4plusIvEElEEDaPvRmT3_T4_T5_mT6_P12ihipStream_tbENKUlT_T0_E_clISt17integral_constantIbLb0EESP_IbLb1EEEEDaSL_SM_EUlSL_E_NS1_11comp_targetILNS1_3genE0ELNS1_11target_archE4294967295ELNS1_3gpuE0ELNS1_3repE0EEENS1_30default_config_static_selectorELNS0_4arch9wavefront6targetE0EEEvT1_: ; @_ZN7rocprim17ROCPRIM_400000_NS6detail17trampoline_kernelINS0_14default_configENS1_20scan_config_selectorIlEEZZNS1_9scan_implILNS1_25lookback_scan_determinismE0ELb0ELb0ES3_PlS8_lN6thrust23THRUST_200600_302600_NS4plusIvEElEEDaPvRmT3_T4_T5_mT6_P12ihipStream_tbENKUlT_T0_E_clISt17integral_constantIbLb0EESP_IbLb1EEEEDaSL_SM_EUlSL_E_NS1_11comp_targetILNS1_3genE0ELNS1_11target_archE4294967295ELNS1_3gpuE0ELNS1_3repE0EEENS1_30default_config_static_selectorELNS0_4arch9wavefront6targetE0EEEvT1_
; %bb.0:
	.section	.rodata,"a",@progbits
	.p2align	6, 0x0
	.amdhsa_kernel _ZN7rocprim17ROCPRIM_400000_NS6detail17trampoline_kernelINS0_14default_configENS1_20scan_config_selectorIlEEZZNS1_9scan_implILNS1_25lookback_scan_determinismE0ELb0ELb0ES3_PlS8_lN6thrust23THRUST_200600_302600_NS4plusIvEElEEDaPvRmT3_T4_T5_mT6_P12ihipStream_tbENKUlT_T0_E_clISt17integral_constantIbLb0EESP_IbLb1EEEEDaSL_SM_EUlSL_E_NS1_11comp_targetILNS1_3genE0ELNS1_11target_archE4294967295ELNS1_3gpuE0ELNS1_3repE0EEENS1_30default_config_static_selectorELNS0_4arch9wavefront6targetE0EEEvT1_
		.amdhsa_group_segment_fixed_size 0
		.amdhsa_private_segment_fixed_size 0
		.amdhsa_kernarg_size 104
		.amdhsa_user_sgpr_count 15
		.amdhsa_user_sgpr_dispatch_ptr 0
		.amdhsa_user_sgpr_queue_ptr 0
		.amdhsa_user_sgpr_kernarg_segment_ptr 1
		.amdhsa_user_sgpr_dispatch_id 0
		.amdhsa_user_sgpr_private_segment_size 0
		.amdhsa_wavefront_size32 1
		.amdhsa_uses_dynamic_stack 0
		.amdhsa_enable_private_segment 0
		.amdhsa_system_sgpr_workgroup_id_x 1
		.amdhsa_system_sgpr_workgroup_id_y 0
		.amdhsa_system_sgpr_workgroup_id_z 0
		.amdhsa_system_sgpr_workgroup_info 0
		.amdhsa_system_vgpr_workitem_id 0
		.amdhsa_next_free_vgpr 1
		.amdhsa_next_free_sgpr 1
		.amdhsa_reserve_vcc 0
		.amdhsa_float_round_mode_32 0
		.amdhsa_float_round_mode_16_64 0
		.amdhsa_float_denorm_mode_32 3
		.amdhsa_float_denorm_mode_16_64 3
		.amdhsa_dx10_clamp 1
		.amdhsa_ieee_mode 1
		.amdhsa_fp16_overflow 0
		.amdhsa_workgroup_processor_mode 1
		.amdhsa_memory_ordered 1
		.amdhsa_forward_progress 0
		.amdhsa_shared_vgpr_count 0
		.amdhsa_exception_fp_ieee_invalid_op 0
		.amdhsa_exception_fp_denorm_src 0
		.amdhsa_exception_fp_ieee_div_zero 0
		.amdhsa_exception_fp_ieee_overflow 0
		.amdhsa_exception_fp_ieee_underflow 0
		.amdhsa_exception_fp_ieee_inexact 0
		.amdhsa_exception_int_div_zero 0
	.end_amdhsa_kernel
	.section	.text._ZN7rocprim17ROCPRIM_400000_NS6detail17trampoline_kernelINS0_14default_configENS1_20scan_config_selectorIlEEZZNS1_9scan_implILNS1_25lookback_scan_determinismE0ELb0ELb0ES3_PlS8_lN6thrust23THRUST_200600_302600_NS4plusIvEElEEDaPvRmT3_T4_T5_mT6_P12ihipStream_tbENKUlT_T0_E_clISt17integral_constantIbLb0EESP_IbLb1EEEEDaSL_SM_EUlSL_E_NS1_11comp_targetILNS1_3genE0ELNS1_11target_archE4294967295ELNS1_3gpuE0ELNS1_3repE0EEENS1_30default_config_static_selectorELNS0_4arch9wavefront6targetE0EEEvT1_,"axG",@progbits,_ZN7rocprim17ROCPRIM_400000_NS6detail17trampoline_kernelINS0_14default_configENS1_20scan_config_selectorIlEEZZNS1_9scan_implILNS1_25lookback_scan_determinismE0ELb0ELb0ES3_PlS8_lN6thrust23THRUST_200600_302600_NS4plusIvEElEEDaPvRmT3_T4_T5_mT6_P12ihipStream_tbENKUlT_T0_E_clISt17integral_constantIbLb0EESP_IbLb1EEEEDaSL_SM_EUlSL_E_NS1_11comp_targetILNS1_3genE0ELNS1_11target_archE4294967295ELNS1_3gpuE0ELNS1_3repE0EEENS1_30default_config_static_selectorELNS0_4arch9wavefront6targetE0EEEvT1_,comdat
.Lfunc_end141:
	.size	_ZN7rocprim17ROCPRIM_400000_NS6detail17trampoline_kernelINS0_14default_configENS1_20scan_config_selectorIlEEZZNS1_9scan_implILNS1_25lookback_scan_determinismE0ELb0ELb0ES3_PlS8_lN6thrust23THRUST_200600_302600_NS4plusIvEElEEDaPvRmT3_T4_T5_mT6_P12ihipStream_tbENKUlT_T0_E_clISt17integral_constantIbLb0EESP_IbLb1EEEEDaSL_SM_EUlSL_E_NS1_11comp_targetILNS1_3genE0ELNS1_11target_archE4294967295ELNS1_3gpuE0ELNS1_3repE0EEENS1_30default_config_static_selectorELNS0_4arch9wavefront6targetE0EEEvT1_, .Lfunc_end141-_ZN7rocprim17ROCPRIM_400000_NS6detail17trampoline_kernelINS0_14default_configENS1_20scan_config_selectorIlEEZZNS1_9scan_implILNS1_25lookback_scan_determinismE0ELb0ELb0ES3_PlS8_lN6thrust23THRUST_200600_302600_NS4plusIvEElEEDaPvRmT3_T4_T5_mT6_P12ihipStream_tbENKUlT_T0_E_clISt17integral_constantIbLb0EESP_IbLb1EEEEDaSL_SM_EUlSL_E_NS1_11comp_targetILNS1_3genE0ELNS1_11target_archE4294967295ELNS1_3gpuE0ELNS1_3repE0EEENS1_30default_config_static_selectorELNS0_4arch9wavefront6targetE0EEEvT1_
                                        ; -- End function
	.section	.AMDGPU.csdata,"",@progbits
; Kernel info:
; codeLenInByte = 0
; NumSgprs: 0
; NumVgprs: 0
; ScratchSize: 0
; MemoryBound: 0
; FloatMode: 240
; IeeeMode: 1
; LDSByteSize: 0 bytes/workgroup (compile time only)
; SGPRBlocks: 0
; VGPRBlocks: 0
; NumSGPRsForWavesPerEU: 1
; NumVGPRsForWavesPerEU: 1
; Occupancy: 16
; WaveLimiterHint : 0
; COMPUTE_PGM_RSRC2:SCRATCH_EN: 0
; COMPUTE_PGM_RSRC2:USER_SGPR: 15
; COMPUTE_PGM_RSRC2:TRAP_HANDLER: 0
; COMPUTE_PGM_RSRC2:TGID_X_EN: 1
; COMPUTE_PGM_RSRC2:TGID_Y_EN: 0
; COMPUTE_PGM_RSRC2:TGID_Z_EN: 0
; COMPUTE_PGM_RSRC2:TIDIG_COMP_CNT: 0
	.section	.text._ZN7rocprim17ROCPRIM_400000_NS6detail17trampoline_kernelINS0_14default_configENS1_20scan_config_selectorIlEEZZNS1_9scan_implILNS1_25lookback_scan_determinismE0ELb0ELb0ES3_PlS8_lN6thrust23THRUST_200600_302600_NS4plusIvEElEEDaPvRmT3_T4_T5_mT6_P12ihipStream_tbENKUlT_T0_E_clISt17integral_constantIbLb0EESP_IbLb1EEEEDaSL_SM_EUlSL_E_NS1_11comp_targetILNS1_3genE5ELNS1_11target_archE942ELNS1_3gpuE9ELNS1_3repE0EEENS1_30default_config_static_selectorELNS0_4arch9wavefront6targetE0EEEvT1_,"axG",@progbits,_ZN7rocprim17ROCPRIM_400000_NS6detail17trampoline_kernelINS0_14default_configENS1_20scan_config_selectorIlEEZZNS1_9scan_implILNS1_25lookback_scan_determinismE0ELb0ELb0ES3_PlS8_lN6thrust23THRUST_200600_302600_NS4plusIvEElEEDaPvRmT3_T4_T5_mT6_P12ihipStream_tbENKUlT_T0_E_clISt17integral_constantIbLb0EESP_IbLb1EEEEDaSL_SM_EUlSL_E_NS1_11comp_targetILNS1_3genE5ELNS1_11target_archE942ELNS1_3gpuE9ELNS1_3repE0EEENS1_30default_config_static_selectorELNS0_4arch9wavefront6targetE0EEEvT1_,comdat
	.protected	_ZN7rocprim17ROCPRIM_400000_NS6detail17trampoline_kernelINS0_14default_configENS1_20scan_config_selectorIlEEZZNS1_9scan_implILNS1_25lookback_scan_determinismE0ELb0ELb0ES3_PlS8_lN6thrust23THRUST_200600_302600_NS4plusIvEElEEDaPvRmT3_T4_T5_mT6_P12ihipStream_tbENKUlT_T0_E_clISt17integral_constantIbLb0EESP_IbLb1EEEEDaSL_SM_EUlSL_E_NS1_11comp_targetILNS1_3genE5ELNS1_11target_archE942ELNS1_3gpuE9ELNS1_3repE0EEENS1_30default_config_static_selectorELNS0_4arch9wavefront6targetE0EEEvT1_ ; -- Begin function _ZN7rocprim17ROCPRIM_400000_NS6detail17trampoline_kernelINS0_14default_configENS1_20scan_config_selectorIlEEZZNS1_9scan_implILNS1_25lookback_scan_determinismE0ELb0ELb0ES3_PlS8_lN6thrust23THRUST_200600_302600_NS4plusIvEElEEDaPvRmT3_T4_T5_mT6_P12ihipStream_tbENKUlT_T0_E_clISt17integral_constantIbLb0EESP_IbLb1EEEEDaSL_SM_EUlSL_E_NS1_11comp_targetILNS1_3genE5ELNS1_11target_archE942ELNS1_3gpuE9ELNS1_3repE0EEENS1_30default_config_static_selectorELNS0_4arch9wavefront6targetE0EEEvT1_
	.globl	_ZN7rocprim17ROCPRIM_400000_NS6detail17trampoline_kernelINS0_14default_configENS1_20scan_config_selectorIlEEZZNS1_9scan_implILNS1_25lookback_scan_determinismE0ELb0ELb0ES3_PlS8_lN6thrust23THRUST_200600_302600_NS4plusIvEElEEDaPvRmT3_T4_T5_mT6_P12ihipStream_tbENKUlT_T0_E_clISt17integral_constantIbLb0EESP_IbLb1EEEEDaSL_SM_EUlSL_E_NS1_11comp_targetILNS1_3genE5ELNS1_11target_archE942ELNS1_3gpuE9ELNS1_3repE0EEENS1_30default_config_static_selectorELNS0_4arch9wavefront6targetE0EEEvT1_
	.p2align	8
	.type	_ZN7rocprim17ROCPRIM_400000_NS6detail17trampoline_kernelINS0_14default_configENS1_20scan_config_selectorIlEEZZNS1_9scan_implILNS1_25lookback_scan_determinismE0ELb0ELb0ES3_PlS8_lN6thrust23THRUST_200600_302600_NS4plusIvEElEEDaPvRmT3_T4_T5_mT6_P12ihipStream_tbENKUlT_T0_E_clISt17integral_constantIbLb0EESP_IbLb1EEEEDaSL_SM_EUlSL_E_NS1_11comp_targetILNS1_3genE5ELNS1_11target_archE942ELNS1_3gpuE9ELNS1_3repE0EEENS1_30default_config_static_selectorELNS0_4arch9wavefront6targetE0EEEvT1_,@function
_ZN7rocprim17ROCPRIM_400000_NS6detail17trampoline_kernelINS0_14default_configENS1_20scan_config_selectorIlEEZZNS1_9scan_implILNS1_25lookback_scan_determinismE0ELb0ELb0ES3_PlS8_lN6thrust23THRUST_200600_302600_NS4plusIvEElEEDaPvRmT3_T4_T5_mT6_P12ihipStream_tbENKUlT_T0_E_clISt17integral_constantIbLb0EESP_IbLb1EEEEDaSL_SM_EUlSL_E_NS1_11comp_targetILNS1_3genE5ELNS1_11target_archE942ELNS1_3gpuE9ELNS1_3repE0EEENS1_30default_config_static_selectorELNS0_4arch9wavefront6targetE0EEEvT1_: ; @_ZN7rocprim17ROCPRIM_400000_NS6detail17trampoline_kernelINS0_14default_configENS1_20scan_config_selectorIlEEZZNS1_9scan_implILNS1_25lookback_scan_determinismE0ELb0ELb0ES3_PlS8_lN6thrust23THRUST_200600_302600_NS4plusIvEElEEDaPvRmT3_T4_T5_mT6_P12ihipStream_tbENKUlT_T0_E_clISt17integral_constantIbLb0EESP_IbLb1EEEEDaSL_SM_EUlSL_E_NS1_11comp_targetILNS1_3genE5ELNS1_11target_archE942ELNS1_3gpuE9ELNS1_3repE0EEENS1_30default_config_static_selectorELNS0_4arch9wavefront6targetE0EEEvT1_
; %bb.0:
	.section	.rodata,"a",@progbits
	.p2align	6, 0x0
	.amdhsa_kernel _ZN7rocprim17ROCPRIM_400000_NS6detail17trampoline_kernelINS0_14default_configENS1_20scan_config_selectorIlEEZZNS1_9scan_implILNS1_25lookback_scan_determinismE0ELb0ELb0ES3_PlS8_lN6thrust23THRUST_200600_302600_NS4plusIvEElEEDaPvRmT3_T4_T5_mT6_P12ihipStream_tbENKUlT_T0_E_clISt17integral_constantIbLb0EESP_IbLb1EEEEDaSL_SM_EUlSL_E_NS1_11comp_targetILNS1_3genE5ELNS1_11target_archE942ELNS1_3gpuE9ELNS1_3repE0EEENS1_30default_config_static_selectorELNS0_4arch9wavefront6targetE0EEEvT1_
		.amdhsa_group_segment_fixed_size 0
		.amdhsa_private_segment_fixed_size 0
		.amdhsa_kernarg_size 104
		.amdhsa_user_sgpr_count 15
		.amdhsa_user_sgpr_dispatch_ptr 0
		.amdhsa_user_sgpr_queue_ptr 0
		.amdhsa_user_sgpr_kernarg_segment_ptr 1
		.amdhsa_user_sgpr_dispatch_id 0
		.amdhsa_user_sgpr_private_segment_size 0
		.amdhsa_wavefront_size32 1
		.amdhsa_uses_dynamic_stack 0
		.amdhsa_enable_private_segment 0
		.amdhsa_system_sgpr_workgroup_id_x 1
		.amdhsa_system_sgpr_workgroup_id_y 0
		.amdhsa_system_sgpr_workgroup_id_z 0
		.amdhsa_system_sgpr_workgroup_info 0
		.amdhsa_system_vgpr_workitem_id 0
		.amdhsa_next_free_vgpr 1
		.amdhsa_next_free_sgpr 1
		.amdhsa_reserve_vcc 0
		.amdhsa_float_round_mode_32 0
		.amdhsa_float_round_mode_16_64 0
		.amdhsa_float_denorm_mode_32 3
		.amdhsa_float_denorm_mode_16_64 3
		.amdhsa_dx10_clamp 1
		.amdhsa_ieee_mode 1
		.amdhsa_fp16_overflow 0
		.amdhsa_workgroup_processor_mode 1
		.amdhsa_memory_ordered 1
		.amdhsa_forward_progress 0
		.amdhsa_shared_vgpr_count 0
		.amdhsa_exception_fp_ieee_invalid_op 0
		.amdhsa_exception_fp_denorm_src 0
		.amdhsa_exception_fp_ieee_div_zero 0
		.amdhsa_exception_fp_ieee_overflow 0
		.amdhsa_exception_fp_ieee_underflow 0
		.amdhsa_exception_fp_ieee_inexact 0
		.amdhsa_exception_int_div_zero 0
	.end_amdhsa_kernel
	.section	.text._ZN7rocprim17ROCPRIM_400000_NS6detail17trampoline_kernelINS0_14default_configENS1_20scan_config_selectorIlEEZZNS1_9scan_implILNS1_25lookback_scan_determinismE0ELb0ELb0ES3_PlS8_lN6thrust23THRUST_200600_302600_NS4plusIvEElEEDaPvRmT3_T4_T5_mT6_P12ihipStream_tbENKUlT_T0_E_clISt17integral_constantIbLb0EESP_IbLb1EEEEDaSL_SM_EUlSL_E_NS1_11comp_targetILNS1_3genE5ELNS1_11target_archE942ELNS1_3gpuE9ELNS1_3repE0EEENS1_30default_config_static_selectorELNS0_4arch9wavefront6targetE0EEEvT1_,"axG",@progbits,_ZN7rocprim17ROCPRIM_400000_NS6detail17trampoline_kernelINS0_14default_configENS1_20scan_config_selectorIlEEZZNS1_9scan_implILNS1_25lookback_scan_determinismE0ELb0ELb0ES3_PlS8_lN6thrust23THRUST_200600_302600_NS4plusIvEElEEDaPvRmT3_T4_T5_mT6_P12ihipStream_tbENKUlT_T0_E_clISt17integral_constantIbLb0EESP_IbLb1EEEEDaSL_SM_EUlSL_E_NS1_11comp_targetILNS1_3genE5ELNS1_11target_archE942ELNS1_3gpuE9ELNS1_3repE0EEENS1_30default_config_static_selectorELNS0_4arch9wavefront6targetE0EEEvT1_,comdat
.Lfunc_end142:
	.size	_ZN7rocprim17ROCPRIM_400000_NS6detail17trampoline_kernelINS0_14default_configENS1_20scan_config_selectorIlEEZZNS1_9scan_implILNS1_25lookback_scan_determinismE0ELb0ELb0ES3_PlS8_lN6thrust23THRUST_200600_302600_NS4plusIvEElEEDaPvRmT3_T4_T5_mT6_P12ihipStream_tbENKUlT_T0_E_clISt17integral_constantIbLb0EESP_IbLb1EEEEDaSL_SM_EUlSL_E_NS1_11comp_targetILNS1_3genE5ELNS1_11target_archE942ELNS1_3gpuE9ELNS1_3repE0EEENS1_30default_config_static_selectorELNS0_4arch9wavefront6targetE0EEEvT1_, .Lfunc_end142-_ZN7rocprim17ROCPRIM_400000_NS6detail17trampoline_kernelINS0_14default_configENS1_20scan_config_selectorIlEEZZNS1_9scan_implILNS1_25lookback_scan_determinismE0ELb0ELb0ES3_PlS8_lN6thrust23THRUST_200600_302600_NS4plusIvEElEEDaPvRmT3_T4_T5_mT6_P12ihipStream_tbENKUlT_T0_E_clISt17integral_constantIbLb0EESP_IbLb1EEEEDaSL_SM_EUlSL_E_NS1_11comp_targetILNS1_3genE5ELNS1_11target_archE942ELNS1_3gpuE9ELNS1_3repE0EEENS1_30default_config_static_selectorELNS0_4arch9wavefront6targetE0EEEvT1_
                                        ; -- End function
	.section	.AMDGPU.csdata,"",@progbits
; Kernel info:
; codeLenInByte = 0
; NumSgprs: 0
; NumVgprs: 0
; ScratchSize: 0
; MemoryBound: 0
; FloatMode: 240
; IeeeMode: 1
; LDSByteSize: 0 bytes/workgroup (compile time only)
; SGPRBlocks: 0
; VGPRBlocks: 0
; NumSGPRsForWavesPerEU: 1
; NumVGPRsForWavesPerEU: 1
; Occupancy: 16
; WaveLimiterHint : 0
; COMPUTE_PGM_RSRC2:SCRATCH_EN: 0
; COMPUTE_PGM_RSRC2:USER_SGPR: 15
; COMPUTE_PGM_RSRC2:TRAP_HANDLER: 0
; COMPUTE_PGM_RSRC2:TGID_X_EN: 1
; COMPUTE_PGM_RSRC2:TGID_Y_EN: 0
; COMPUTE_PGM_RSRC2:TGID_Z_EN: 0
; COMPUTE_PGM_RSRC2:TIDIG_COMP_CNT: 0
	.section	.text._ZN7rocprim17ROCPRIM_400000_NS6detail17trampoline_kernelINS0_14default_configENS1_20scan_config_selectorIlEEZZNS1_9scan_implILNS1_25lookback_scan_determinismE0ELb0ELb0ES3_PlS8_lN6thrust23THRUST_200600_302600_NS4plusIvEElEEDaPvRmT3_T4_T5_mT6_P12ihipStream_tbENKUlT_T0_E_clISt17integral_constantIbLb0EESP_IbLb1EEEEDaSL_SM_EUlSL_E_NS1_11comp_targetILNS1_3genE4ELNS1_11target_archE910ELNS1_3gpuE8ELNS1_3repE0EEENS1_30default_config_static_selectorELNS0_4arch9wavefront6targetE0EEEvT1_,"axG",@progbits,_ZN7rocprim17ROCPRIM_400000_NS6detail17trampoline_kernelINS0_14default_configENS1_20scan_config_selectorIlEEZZNS1_9scan_implILNS1_25lookback_scan_determinismE0ELb0ELb0ES3_PlS8_lN6thrust23THRUST_200600_302600_NS4plusIvEElEEDaPvRmT3_T4_T5_mT6_P12ihipStream_tbENKUlT_T0_E_clISt17integral_constantIbLb0EESP_IbLb1EEEEDaSL_SM_EUlSL_E_NS1_11comp_targetILNS1_3genE4ELNS1_11target_archE910ELNS1_3gpuE8ELNS1_3repE0EEENS1_30default_config_static_selectorELNS0_4arch9wavefront6targetE0EEEvT1_,comdat
	.protected	_ZN7rocprim17ROCPRIM_400000_NS6detail17trampoline_kernelINS0_14default_configENS1_20scan_config_selectorIlEEZZNS1_9scan_implILNS1_25lookback_scan_determinismE0ELb0ELb0ES3_PlS8_lN6thrust23THRUST_200600_302600_NS4plusIvEElEEDaPvRmT3_T4_T5_mT6_P12ihipStream_tbENKUlT_T0_E_clISt17integral_constantIbLb0EESP_IbLb1EEEEDaSL_SM_EUlSL_E_NS1_11comp_targetILNS1_3genE4ELNS1_11target_archE910ELNS1_3gpuE8ELNS1_3repE0EEENS1_30default_config_static_selectorELNS0_4arch9wavefront6targetE0EEEvT1_ ; -- Begin function _ZN7rocprim17ROCPRIM_400000_NS6detail17trampoline_kernelINS0_14default_configENS1_20scan_config_selectorIlEEZZNS1_9scan_implILNS1_25lookback_scan_determinismE0ELb0ELb0ES3_PlS8_lN6thrust23THRUST_200600_302600_NS4plusIvEElEEDaPvRmT3_T4_T5_mT6_P12ihipStream_tbENKUlT_T0_E_clISt17integral_constantIbLb0EESP_IbLb1EEEEDaSL_SM_EUlSL_E_NS1_11comp_targetILNS1_3genE4ELNS1_11target_archE910ELNS1_3gpuE8ELNS1_3repE0EEENS1_30default_config_static_selectorELNS0_4arch9wavefront6targetE0EEEvT1_
	.globl	_ZN7rocprim17ROCPRIM_400000_NS6detail17trampoline_kernelINS0_14default_configENS1_20scan_config_selectorIlEEZZNS1_9scan_implILNS1_25lookback_scan_determinismE0ELb0ELb0ES3_PlS8_lN6thrust23THRUST_200600_302600_NS4plusIvEElEEDaPvRmT3_T4_T5_mT6_P12ihipStream_tbENKUlT_T0_E_clISt17integral_constantIbLb0EESP_IbLb1EEEEDaSL_SM_EUlSL_E_NS1_11comp_targetILNS1_3genE4ELNS1_11target_archE910ELNS1_3gpuE8ELNS1_3repE0EEENS1_30default_config_static_selectorELNS0_4arch9wavefront6targetE0EEEvT1_
	.p2align	8
	.type	_ZN7rocprim17ROCPRIM_400000_NS6detail17trampoline_kernelINS0_14default_configENS1_20scan_config_selectorIlEEZZNS1_9scan_implILNS1_25lookback_scan_determinismE0ELb0ELb0ES3_PlS8_lN6thrust23THRUST_200600_302600_NS4plusIvEElEEDaPvRmT3_T4_T5_mT6_P12ihipStream_tbENKUlT_T0_E_clISt17integral_constantIbLb0EESP_IbLb1EEEEDaSL_SM_EUlSL_E_NS1_11comp_targetILNS1_3genE4ELNS1_11target_archE910ELNS1_3gpuE8ELNS1_3repE0EEENS1_30default_config_static_selectorELNS0_4arch9wavefront6targetE0EEEvT1_,@function
_ZN7rocprim17ROCPRIM_400000_NS6detail17trampoline_kernelINS0_14default_configENS1_20scan_config_selectorIlEEZZNS1_9scan_implILNS1_25lookback_scan_determinismE0ELb0ELb0ES3_PlS8_lN6thrust23THRUST_200600_302600_NS4plusIvEElEEDaPvRmT3_T4_T5_mT6_P12ihipStream_tbENKUlT_T0_E_clISt17integral_constantIbLb0EESP_IbLb1EEEEDaSL_SM_EUlSL_E_NS1_11comp_targetILNS1_3genE4ELNS1_11target_archE910ELNS1_3gpuE8ELNS1_3repE0EEENS1_30default_config_static_selectorELNS0_4arch9wavefront6targetE0EEEvT1_: ; @_ZN7rocprim17ROCPRIM_400000_NS6detail17trampoline_kernelINS0_14default_configENS1_20scan_config_selectorIlEEZZNS1_9scan_implILNS1_25lookback_scan_determinismE0ELb0ELb0ES3_PlS8_lN6thrust23THRUST_200600_302600_NS4plusIvEElEEDaPvRmT3_T4_T5_mT6_P12ihipStream_tbENKUlT_T0_E_clISt17integral_constantIbLb0EESP_IbLb1EEEEDaSL_SM_EUlSL_E_NS1_11comp_targetILNS1_3genE4ELNS1_11target_archE910ELNS1_3gpuE8ELNS1_3repE0EEENS1_30default_config_static_selectorELNS0_4arch9wavefront6targetE0EEEvT1_
; %bb.0:
	.section	.rodata,"a",@progbits
	.p2align	6, 0x0
	.amdhsa_kernel _ZN7rocprim17ROCPRIM_400000_NS6detail17trampoline_kernelINS0_14default_configENS1_20scan_config_selectorIlEEZZNS1_9scan_implILNS1_25lookback_scan_determinismE0ELb0ELb0ES3_PlS8_lN6thrust23THRUST_200600_302600_NS4plusIvEElEEDaPvRmT3_T4_T5_mT6_P12ihipStream_tbENKUlT_T0_E_clISt17integral_constantIbLb0EESP_IbLb1EEEEDaSL_SM_EUlSL_E_NS1_11comp_targetILNS1_3genE4ELNS1_11target_archE910ELNS1_3gpuE8ELNS1_3repE0EEENS1_30default_config_static_selectorELNS0_4arch9wavefront6targetE0EEEvT1_
		.amdhsa_group_segment_fixed_size 0
		.amdhsa_private_segment_fixed_size 0
		.amdhsa_kernarg_size 104
		.amdhsa_user_sgpr_count 15
		.amdhsa_user_sgpr_dispatch_ptr 0
		.amdhsa_user_sgpr_queue_ptr 0
		.amdhsa_user_sgpr_kernarg_segment_ptr 1
		.amdhsa_user_sgpr_dispatch_id 0
		.amdhsa_user_sgpr_private_segment_size 0
		.amdhsa_wavefront_size32 1
		.amdhsa_uses_dynamic_stack 0
		.amdhsa_enable_private_segment 0
		.amdhsa_system_sgpr_workgroup_id_x 1
		.amdhsa_system_sgpr_workgroup_id_y 0
		.amdhsa_system_sgpr_workgroup_id_z 0
		.amdhsa_system_sgpr_workgroup_info 0
		.amdhsa_system_vgpr_workitem_id 0
		.amdhsa_next_free_vgpr 1
		.amdhsa_next_free_sgpr 1
		.amdhsa_reserve_vcc 0
		.amdhsa_float_round_mode_32 0
		.amdhsa_float_round_mode_16_64 0
		.amdhsa_float_denorm_mode_32 3
		.amdhsa_float_denorm_mode_16_64 3
		.amdhsa_dx10_clamp 1
		.amdhsa_ieee_mode 1
		.amdhsa_fp16_overflow 0
		.amdhsa_workgroup_processor_mode 1
		.amdhsa_memory_ordered 1
		.amdhsa_forward_progress 0
		.amdhsa_shared_vgpr_count 0
		.amdhsa_exception_fp_ieee_invalid_op 0
		.amdhsa_exception_fp_denorm_src 0
		.amdhsa_exception_fp_ieee_div_zero 0
		.amdhsa_exception_fp_ieee_overflow 0
		.amdhsa_exception_fp_ieee_underflow 0
		.amdhsa_exception_fp_ieee_inexact 0
		.amdhsa_exception_int_div_zero 0
	.end_amdhsa_kernel
	.section	.text._ZN7rocprim17ROCPRIM_400000_NS6detail17trampoline_kernelINS0_14default_configENS1_20scan_config_selectorIlEEZZNS1_9scan_implILNS1_25lookback_scan_determinismE0ELb0ELb0ES3_PlS8_lN6thrust23THRUST_200600_302600_NS4plusIvEElEEDaPvRmT3_T4_T5_mT6_P12ihipStream_tbENKUlT_T0_E_clISt17integral_constantIbLb0EESP_IbLb1EEEEDaSL_SM_EUlSL_E_NS1_11comp_targetILNS1_3genE4ELNS1_11target_archE910ELNS1_3gpuE8ELNS1_3repE0EEENS1_30default_config_static_selectorELNS0_4arch9wavefront6targetE0EEEvT1_,"axG",@progbits,_ZN7rocprim17ROCPRIM_400000_NS6detail17trampoline_kernelINS0_14default_configENS1_20scan_config_selectorIlEEZZNS1_9scan_implILNS1_25lookback_scan_determinismE0ELb0ELb0ES3_PlS8_lN6thrust23THRUST_200600_302600_NS4plusIvEElEEDaPvRmT3_T4_T5_mT6_P12ihipStream_tbENKUlT_T0_E_clISt17integral_constantIbLb0EESP_IbLb1EEEEDaSL_SM_EUlSL_E_NS1_11comp_targetILNS1_3genE4ELNS1_11target_archE910ELNS1_3gpuE8ELNS1_3repE0EEENS1_30default_config_static_selectorELNS0_4arch9wavefront6targetE0EEEvT1_,comdat
.Lfunc_end143:
	.size	_ZN7rocprim17ROCPRIM_400000_NS6detail17trampoline_kernelINS0_14default_configENS1_20scan_config_selectorIlEEZZNS1_9scan_implILNS1_25lookback_scan_determinismE0ELb0ELb0ES3_PlS8_lN6thrust23THRUST_200600_302600_NS4plusIvEElEEDaPvRmT3_T4_T5_mT6_P12ihipStream_tbENKUlT_T0_E_clISt17integral_constantIbLb0EESP_IbLb1EEEEDaSL_SM_EUlSL_E_NS1_11comp_targetILNS1_3genE4ELNS1_11target_archE910ELNS1_3gpuE8ELNS1_3repE0EEENS1_30default_config_static_selectorELNS0_4arch9wavefront6targetE0EEEvT1_, .Lfunc_end143-_ZN7rocprim17ROCPRIM_400000_NS6detail17trampoline_kernelINS0_14default_configENS1_20scan_config_selectorIlEEZZNS1_9scan_implILNS1_25lookback_scan_determinismE0ELb0ELb0ES3_PlS8_lN6thrust23THRUST_200600_302600_NS4plusIvEElEEDaPvRmT3_T4_T5_mT6_P12ihipStream_tbENKUlT_T0_E_clISt17integral_constantIbLb0EESP_IbLb1EEEEDaSL_SM_EUlSL_E_NS1_11comp_targetILNS1_3genE4ELNS1_11target_archE910ELNS1_3gpuE8ELNS1_3repE0EEENS1_30default_config_static_selectorELNS0_4arch9wavefront6targetE0EEEvT1_
                                        ; -- End function
	.section	.AMDGPU.csdata,"",@progbits
; Kernel info:
; codeLenInByte = 0
; NumSgprs: 0
; NumVgprs: 0
; ScratchSize: 0
; MemoryBound: 0
; FloatMode: 240
; IeeeMode: 1
; LDSByteSize: 0 bytes/workgroup (compile time only)
; SGPRBlocks: 0
; VGPRBlocks: 0
; NumSGPRsForWavesPerEU: 1
; NumVGPRsForWavesPerEU: 1
; Occupancy: 16
; WaveLimiterHint : 0
; COMPUTE_PGM_RSRC2:SCRATCH_EN: 0
; COMPUTE_PGM_RSRC2:USER_SGPR: 15
; COMPUTE_PGM_RSRC2:TRAP_HANDLER: 0
; COMPUTE_PGM_RSRC2:TGID_X_EN: 1
; COMPUTE_PGM_RSRC2:TGID_Y_EN: 0
; COMPUTE_PGM_RSRC2:TGID_Z_EN: 0
; COMPUTE_PGM_RSRC2:TIDIG_COMP_CNT: 0
	.section	.text._ZN7rocprim17ROCPRIM_400000_NS6detail17trampoline_kernelINS0_14default_configENS1_20scan_config_selectorIlEEZZNS1_9scan_implILNS1_25lookback_scan_determinismE0ELb0ELb0ES3_PlS8_lN6thrust23THRUST_200600_302600_NS4plusIvEElEEDaPvRmT3_T4_T5_mT6_P12ihipStream_tbENKUlT_T0_E_clISt17integral_constantIbLb0EESP_IbLb1EEEEDaSL_SM_EUlSL_E_NS1_11comp_targetILNS1_3genE3ELNS1_11target_archE908ELNS1_3gpuE7ELNS1_3repE0EEENS1_30default_config_static_selectorELNS0_4arch9wavefront6targetE0EEEvT1_,"axG",@progbits,_ZN7rocprim17ROCPRIM_400000_NS6detail17trampoline_kernelINS0_14default_configENS1_20scan_config_selectorIlEEZZNS1_9scan_implILNS1_25lookback_scan_determinismE0ELb0ELb0ES3_PlS8_lN6thrust23THRUST_200600_302600_NS4plusIvEElEEDaPvRmT3_T4_T5_mT6_P12ihipStream_tbENKUlT_T0_E_clISt17integral_constantIbLb0EESP_IbLb1EEEEDaSL_SM_EUlSL_E_NS1_11comp_targetILNS1_3genE3ELNS1_11target_archE908ELNS1_3gpuE7ELNS1_3repE0EEENS1_30default_config_static_selectorELNS0_4arch9wavefront6targetE0EEEvT1_,comdat
	.protected	_ZN7rocprim17ROCPRIM_400000_NS6detail17trampoline_kernelINS0_14default_configENS1_20scan_config_selectorIlEEZZNS1_9scan_implILNS1_25lookback_scan_determinismE0ELb0ELb0ES3_PlS8_lN6thrust23THRUST_200600_302600_NS4plusIvEElEEDaPvRmT3_T4_T5_mT6_P12ihipStream_tbENKUlT_T0_E_clISt17integral_constantIbLb0EESP_IbLb1EEEEDaSL_SM_EUlSL_E_NS1_11comp_targetILNS1_3genE3ELNS1_11target_archE908ELNS1_3gpuE7ELNS1_3repE0EEENS1_30default_config_static_selectorELNS0_4arch9wavefront6targetE0EEEvT1_ ; -- Begin function _ZN7rocprim17ROCPRIM_400000_NS6detail17trampoline_kernelINS0_14default_configENS1_20scan_config_selectorIlEEZZNS1_9scan_implILNS1_25lookback_scan_determinismE0ELb0ELb0ES3_PlS8_lN6thrust23THRUST_200600_302600_NS4plusIvEElEEDaPvRmT3_T4_T5_mT6_P12ihipStream_tbENKUlT_T0_E_clISt17integral_constantIbLb0EESP_IbLb1EEEEDaSL_SM_EUlSL_E_NS1_11comp_targetILNS1_3genE3ELNS1_11target_archE908ELNS1_3gpuE7ELNS1_3repE0EEENS1_30default_config_static_selectorELNS0_4arch9wavefront6targetE0EEEvT1_
	.globl	_ZN7rocprim17ROCPRIM_400000_NS6detail17trampoline_kernelINS0_14default_configENS1_20scan_config_selectorIlEEZZNS1_9scan_implILNS1_25lookback_scan_determinismE0ELb0ELb0ES3_PlS8_lN6thrust23THRUST_200600_302600_NS4plusIvEElEEDaPvRmT3_T4_T5_mT6_P12ihipStream_tbENKUlT_T0_E_clISt17integral_constantIbLb0EESP_IbLb1EEEEDaSL_SM_EUlSL_E_NS1_11comp_targetILNS1_3genE3ELNS1_11target_archE908ELNS1_3gpuE7ELNS1_3repE0EEENS1_30default_config_static_selectorELNS0_4arch9wavefront6targetE0EEEvT1_
	.p2align	8
	.type	_ZN7rocprim17ROCPRIM_400000_NS6detail17trampoline_kernelINS0_14default_configENS1_20scan_config_selectorIlEEZZNS1_9scan_implILNS1_25lookback_scan_determinismE0ELb0ELb0ES3_PlS8_lN6thrust23THRUST_200600_302600_NS4plusIvEElEEDaPvRmT3_T4_T5_mT6_P12ihipStream_tbENKUlT_T0_E_clISt17integral_constantIbLb0EESP_IbLb1EEEEDaSL_SM_EUlSL_E_NS1_11comp_targetILNS1_3genE3ELNS1_11target_archE908ELNS1_3gpuE7ELNS1_3repE0EEENS1_30default_config_static_selectorELNS0_4arch9wavefront6targetE0EEEvT1_,@function
_ZN7rocprim17ROCPRIM_400000_NS6detail17trampoline_kernelINS0_14default_configENS1_20scan_config_selectorIlEEZZNS1_9scan_implILNS1_25lookback_scan_determinismE0ELb0ELb0ES3_PlS8_lN6thrust23THRUST_200600_302600_NS4plusIvEElEEDaPvRmT3_T4_T5_mT6_P12ihipStream_tbENKUlT_T0_E_clISt17integral_constantIbLb0EESP_IbLb1EEEEDaSL_SM_EUlSL_E_NS1_11comp_targetILNS1_3genE3ELNS1_11target_archE908ELNS1_3gpuE7ELNS1_3repE0EEENS1_30default_config_static_selectorELNS0_4arch9wavefront6targetE0EEEvT1_: ; @_ZN7rocprim17ROCPRIM_400000_NS6detail17trampoline_kernelINS0_14default_configENS1_20scan_config_selectorIlEEZZNS1_9scan_implILNS1_25lookback_scan_determinismE0ELb0ELb0ES3_PlS8_lN6thrust23THRUST_200600_302600_NS4plusIvEElEEDaPvRmT3_T4_T5_mT6_P12ihipStream_tbENKUlT_T0_E_clISt17integral_constantIbLb0EESP_IbLb1EEEEDaSL_SM_EUlSL_E_NS1_11comp_targetILNS1_3genE3ELNS1_11target_archE908ELNS1_3gpuE7ELNS1_3repE0EEENS1_30default_config_static_selectorELNS0_4arch9wavefront6targetE0EEEvT1_
; %bb.0:
	.section	.rodata,"a",@progbits
	.p2align	6, 0x0
	.amdhsa_kernel _ZN7rocprim17ROCPRIM_400000_NS6detail17trampoline_kernelINS0_14default_configENS1_20scan_config_selectorIlEEZZNS1_9scan_implILNS1_25lookback_scan_determinismE0ELb0ELb0ES3_PlS8_lN6thrust23THRUST_200600_302600_NS4plusIvEElEEDaPvRmT3_T4_T5_mT6_P12ihipStream_tbENKUlT_T0_E_clISt17integral_constantIbLb0EESP_IbLb1EEEEDaSL_SM_EUlSL_E_NS1_11comp_targetILNS1_3genE3ELNS1_11target_archE908ELNS1_3gpuE7ELNS1_3repE0EEENS1_30default_config_static_selectorELNS0_4arch9wavefront6targetE0EEEvT1_
		.amdhsa_group_segment_fixed_size 0
		.amdhsa_private_segment_fixed_size 0
		.amdhsa_kernarg_size 104
		.amdhsa_user_sgpr_count 15
		.amdhsa_user_sgpr_dispatch_ptr 0
		.amdhsa_user_sgpr_queue_ptr 0
		.amdhsa_user_sgpr_kernarg_segment_ptr 1
		.amdhsa_user_sgpr_dispatch_id 0
		.amdhsa_user_sgpr_private_segment_size 0
		.amdhsa_wavefront_size32 1
		.amdhsa_uses_dynamic_stack 0
		.amdhsa_enable_private_segment 0
		.amdhsa_system_sgpr_workgroup_id_x 1
		.amdhsa_system_sgpr_workgroup_id_y 0
		.amdhsa_system_sgpr_workgroup_id_z 0
		.amdhsa_system_sgpr_workgroup_info 0
		.amdhsa_system_vgpr_workitem_id 0
		.amdhsa_next_free_vgpr 1
		.amdhsa_next_free_sgpr 1
		.amdhsa_reserve_vcc 0
		.amdhsa_float_round_mode_32 0
		.amdhsa_float_round_mode_16_64 0
		.amdhsa_float_denorm_mode_32 3
		.amdhsa_float_denorm_mode_16_64 3
		.amdhsa_dx10_clamp 1
		.amdhsa_ieee_mode 1
		.amdhsa_fp16_overflow 0
		.amdhsa_workgroup_processor_mode 1
		.amdhsa_memory_ordered 1
		.amdhsa_forward_progress 0
		.amdhsa_shared_vgpr_count 0
		.amdhsa_exception_fp_ieee_invalid_op 0
		.amdhsa_exception_fp_denorm_src 0
		.amdhsa_exception_fp_ieee_div_zero 0
		.amdhsa_exception_fp_ieee_overflow 0
		.amdhsa_exception_fp_ieee_underflow 0
		.amdhsa_exception_fp_ieee_inexact 0
		.amdhsa_exception_int_div_zero 0
	.end_amdhsa_kernel
	.section	.text._ZN7rocprim17ROCPRIM_400000_NS6detail17trampoline_kernelINS0_14default_configENS1_20scan_config_selectorIlEEZZNS1_9scan_implILNS1_25lookback_scan_determinismE0ELb0ELb0ES3_PlS8_lN6thrust23THRUST_200600_302600_NS4plusIvEElEEDaPvRmT3_T4_T5_mT6_P12ihipStream_tbENKUlT_T0_E_clISt17integral_constantIbLb0EESP_IbLb1EEEEDaSL_SM_EUlSL_E_NS1_11comp_targetILNS1_3genE3ELNS1_11target_archE908ELNS1_3gpuE7ELNS1_3repE0EEENS1_30default_config_static_selectorELNS0_4arch9wavefront6targetE0EEEvT1_,"axG",@progbits,_ZN7rocprim17ROCPRIM_400000_NS6detail17trampoline_kernelINS0_14default_configENS1_20scan_config_selectorIlEEZZNS1_9scan_implILNS1_25lookback_scan_determinismE0ELb0ELb0ES3_PlS8_lN6thrust23THRUST_200600_302600_NS4plusIvEElEEDaPvRmT3_T4_T5_mT6_P12ihipStream_tbENKUlT_T0_E_clISt17integral_constantIbLb0EESP_IbLb1EEEEDaSL_SM_EUlSL_E_NS1_11comp_targetILNS1_3genE3ELNS1_11target_archE908ELNS1_3gpuE7ELNS1_3repE0EEENS1_30default_config_static_selectorELNS0_4arch9wavefront6targetE0EEEvT1_,comdat
.Lfunc_end144:
	.size	_ZN7rocprim17ROCPRIM_400000_NS6detail17trampoline_kernelINS0_14default_configENS1_20scan_config_selectorIlEEZZNS1_9scan_implILNS1_25lookback_scan_determinismE0ELb0ELb0ES3_PlS8_lN6thrust23THRUST_200600_302600_NS4plusIvEElEEDaPvRmT3_T4_T5_mT6_P12ihipStream_tbENKUlT_T0_E_clISt17integral_constantIbLb0EESP_IbLb1EEEEDaSL_SM_EUlSL_E_NS1_11comp_targetILNS1_3genE3ELNS1_11target_archE908ELNS1_3gpuE7ELNS1_3repE0EEENS1_30default_config_static_selectorELNS0_4arch9wavefront6targetE0EEEvT1_, .Lfunc_end144-_ZN7rocprim17ROCPRIM_400000_NS6detail17trampoline_kernelINS0_14default_configENS1_20scan_config_selectorIlEEZZNS1_9scan_implILNS1_25lookback_scan_determinismE0ELb0ELb0ES3_PlS8_lN6thrust23THRUST_200600_302600_NS4plusIvEElEEDaPvRmT3_T4_T5_mT6_P12ihipStream_tbENKUlT_T0_E_clISt17integral_constantIbLb0EESP_IbLb1EEEEDaSL_SM_EUlSL_E_NS1_11comp_targetILNS1_3genE3ELNS1_11target_archE908ELNS1_3gpuE7ELNS1_3repE0EEENS1_30default_config_static_selectorELNS0_4arch9wavefront6targetE0EEEvT1_
                                        ; -- End function
	.section	.AMDGPU.csdata,"",@progbits
; Kernel info:
; codeLenInByte = 0
; NumSgprs: 0
; NumVgprs: 0
; ScratchSize: 0
; MemoryBound: 0
; FloatMode: 240
; IeeeMode: 1
; LDSByteSize: 0 bytes/workgroup (compile time only)
; SGPRBlocks: 0
; VGPRBlocks: 0
; NumSGPRsForWavesPerEU: 1
; NumVGPRsForWavesPerEU: 1
; Occupancy: 16
; WaveLimiterHint : 0
; COMPUTE_PGM_RSRC2:SCRATCH_EN: 0
; COMPUTE_PGM_RSRC2:USER_SGPR: 15
; COMPUTE_PGM_RSRC2:TRAP_HANDLER: 0
; COMPUTE_PGM_RSRC2:TGID_X_EN: 1
; COMPUTE_PGM_RSRC2:TGID_Y_EN: 0
; COMPUTE_PGM_RSRC2:TGID_Z_EN: 0
; COMPUTE_PGM_RSRC2:TIDIG_COMP_CNT: 0
	.section	.text._ZN7rocprim17ROCPRIM_400000_NS6detail17trampoline_kernelINS0_14default_configENS1_20scan_config_selectorIlEEZZNS1_9scan_implILNS1_25lookback_scan_determinismE0ELb0ELb0ES3_PlS8_lN6thrust23THRUST_200600_302600_NS4plusIvEElEEDaPvRmT3_T4_T5_mT6_P12ihipStream_tbENKUlT_T0_E_clISt17integral_constantIbLb0EESP_IbLb1EEEEDaSL_SM_EUlSL_E_NS1_11comp_targetILNS1_3genE2ELNS1_11target_archE906ELNS1_3gpuE6ELNS1_3repE0EEENS1_30default_config_static_selectorELNS0_4arch9wavefront6targetE0EEEvT1_,"axG",@progbits,_ZN7rocprim17ROCPRIM_400000_NS6detail17trampoline_kernelINS0_14default_configENS1_20scan_config_selectorIlEEZZNS1_9scan_implILNS1_25lookback_scan_determinismE0ELb0ELb0ES3_PlS8_lN6thrust23THRUST_200600_302600_NS4plusIvEElEEDaPvRmT3_T4_T5_mT6_P12ihipStream_tbENKUlT_T0_E_clISt17integral_constantIbLb0EESP_IbLb1EEEEDaSL_SM_EUlSL_E_NS1_11comp_targetILNS1_3genE2ELNS1_11target_archE906ELNS1_3gpuE6ELNS1_3repE0EEENS1_30default_config_static_selectorELNS0_4arch9wavefront6targetE0EEEvT1_,comdat
	.protected	_ZN7rocprim17ROCPRIM_400000_NS6detail17trampoline_kernelINS0_14default_configENS1_20scan_config_selectorIlEEZZNS1_9scan_implILNS1_25lookback_scan_determinismE0ELb0ELb0ES3_PlS8_lN6thrust23THRUST_200600_302600_NS4plusIvEElEEDaPvRmT3_T4_T5_mT6_P12ihipStream_tbENKUlT_T0_E_clISt17integral_constantIbLb0EESP_IbLb1EEEEDaSL_SM_EUlSL_E_NS1_11comp_targetILNS1_3genE2ELNS1_11target_archE906ELNS1_3gpuE6ELNS1_3repE0EEENS1_30default_config_static_selectorELNS0_4arch9wavefront6targetE0EEEvT1_ ; -- Begin function _ZN7rocprim17ROCPRIM_400000_NS6detail17trampoline_kernelINS0_14default_configENS1_20scan_config_selectorIlEEZZNS1_9scan_implILNS1_25lookback_scan_determinismE0ELb0ELb0ES3_PlS8_lN6thrust23THRUST_200600_302600_NS4plusIvEElEEDaPvRmT3_T4_T5_mT6_P12ihipStream_tbENKUlT_T0_E_clISt17integral_constantIbLb0EESP_IbLb1EEEEDaSL_SM_EUlSL_E_NS1_11comp_targetILNS1_3genE2ELNS1_11target_archE906ELNS1_3gpuE6ELNS1_3repE0EEENS1_30default_config_static_selectorELNS0_4arch9wavefront6targetE0EEEvT1_
	.globl	_ZN7rocprim17ROCPRIM_400000_NS6detail17trampoline_kernelINS0_14default_configENS1_20scan_config_selectorIlEEZZNS1_9scan_implILNS1_25lookback_scan_determinismE0ELb0ELb0ES3_PlS8_lN6thrust23THRUST_200600_302600_NS4plusIvEElEEDaPvRmT3_T4_T5_mT6_P12ihipStream_tbENKUlT_T0_E_clISt17integral_constantIbLb0EESP_IbLb1EEEEDaSL_SM_EUlSL_E_NS1_11comp_targetILNS1_3genE2ELNS1_11target_archE906ELNS1_3gpuE6ELNS1_3repE0EEENS1_30default_config_static_selectorELNS0_4arch9wavefront6targetE0EEEvT1_
	.p2align	8
	.type	_ZN7rocprim17ROCPRIM_400000_NS6detail17trampoline_kernelINS0_14default_configENS1_20scan_config_selectorIlEEZZNS1_9scan_implILNS1_25lookback_scan_determinismE0ELb0ELb0ES3_PlS8_lN6thrust23THRUST_200600_302600_NS4plusIvEElEEDaPvRmT3_T4_T5_mT6_P12ihipStream_tbENKUlT_T0_E_clISt17integral_constantIbLb0EESP_IbLb1EEEEDaSL_SM_EUlSL_E_NS1_11comp_targetILNS1_3genE2ELNS1_11target_archE906ELNS1_3gpuE6ELNS1_3repE0EEENS1_30default_config_static_selectorELNS0_4arch9wavefront6targetE0EEEvT1_,@function
_ZN7rocprim17ROCPRIM_400000_NS6detail17trampoline_kernelINS0_14default_configENS1_20scan_config_selectorIlEEZZNS1_9scan_implILNS1_25lookback_scan_determinismE0ELb0ELb0ES3_PlS8_lN6thrust23THRUST_200600_302600_NS4plusIvEElEEDaPvRmT3_T4_T5_mT6_P12ihipStream_tbENKUlT_T0_E_clISt17integral_constantIbLb0EESP_IbLb1EEEEDaSL_SM_EUlSL_E_NS1_11comp_targetILNS1_3genE2ELNS1_11target_archE906ELNS1_3gpuE6ELNS1_3repE0EEENS1_30default_config_static_selectorELNS0_4arch9wavefront6targetE0EEEvT1_: ; @_ZN7rocprim17ROCPRIM_400000_NS6detail17trampoline_kernelINS0_14default_configENS1_20scan_config_selectorIlEEZZNS1_9scan_implILNS1_25lookback_scan_determinismE0ELb0ELb0ES3_PlS8_lN6thrust23THRUST_200600_302600_NS4plusIvEElEEDaPvRmT3_T4_T5_mT6_P12ihipStream_tbENKUlT_T0_E_clISt17integral_constantIbLb0EESP_IbLb1EEEEDaSL_SM_EUlSL_E_NS1_11comp_targetILNS1_3genE2ELNS1_11target_archE906ELNS1_3gpuE6ELNS1_3repE0EEENS1_30default_config_static_selectorELNS0_4arch9wavefront6targetE0EEEvT1_
; %bb.0:
	.section	.rodata,"a",@progbits
	.p2align	6, 0x0
	.amdhsa_kernel _ZN7rocprim17ROCPRIM_400000_NS6detail17trampoline_kernelINS0_14default_configENS1_20scan_config_selectorIlEEZZNS1_9scan_implILNS1_25lookback_scan_determinismE0ELb0ELb0ES3_PlS8_lN6thrust23THRUST_200600_302600_NS4plusIvEElEEDaPvRmT3_T4_T5_mT6_P12ihipStream_tbENKUlT_T0_E_clISt17integral_constantIbLb0EESP_IbLb1EEEEDaSL_SM_EUlSL_E_NS1_11comp_targetILNS1_3genE2ELNS1_11target_archE906ELNS1_3gpuE6ELNS1_3repE0EEENS1_30default_config_static_selectorELNS0_4arch9wavefront6targetE0EEEvT1_
		.amdhsa_group_segment_fixed_size 0
		.amdhsa_private_segment_fixed_size 0
		.amdhsa_kernarg_size 104
		.amdhsa_user_sgpr_count 15
		.amdhsa_user_sgpr_dispatch_ptr 0
		.amdhsa_user_sgpr_queue_ptr 0
		.amdhsa_user_sgpr_kernarg_segment_ptr 1
		.amdhsa_user_sgpr_dispatch_id 0
		.amdhsa_user_sgpr_private_segment_size 0
		.amdhsa_wavefront_size32 1
		.amdhsa_uses_dynamic_stack 0
		.amdhsa_enable_private_segment 0
		.amdhsa_system_sgpr_workgroup_id_x 1
		.amdhsa_system_sgpr_workgroup_id_y 0
		.amdhsa_system_sgpr_workgroup_id_z 0
		.amdhsa_system_sgpr_workgroup_info 0
		.amdhsa_system_vgpr_workitem_id 0
		.amdhsa_next_free_vgpr 1
		.amdhsa_next_free_sgpr 1
		.amdhsa_reserve_vcc 0
		.amdhsa_float_round_mode_32 0
		.amdhsa_float_round_mode_16_64 0
		.amdhsa_float_denorm_mode_32 3
		.amdhsa_float_denorm_mode_16_64 3
		.amdhsa_dx10_clamp 1
		.amdhsa_ieee_mode 1
		.amdhsa_fp16_overflow 0
		.amdhsa_workgroup_processor_mode 1
		.amdhsa_memory_ordered 1
		.amdhsa_forward_progress 0
		.amdhsa_shared_vgpr_count 0
		.amdhsa_exception_fp_ieee_invalid_op 0
		.amdhsa_exception_fp_denorm_src 0
		.amdhsa_exception_fp_ieee_div_zero 0
		.amdhsa_exception_fp_ieee_overflow 0
		.amdhsa_exception_fp_ieee_underflow 0
		.amdhsa_exception_fp_ieee_inexact 0
		.amdhsa_exception_int_div_zero 0
	.end_amdhsa_kernel
	.section	.text._ZN7rocprim17ROCPRIM_400000_NS6detail17trampoline_kernelINS0_14default_configENS1_20scan_config_selectorIlEEZZNS1_9scan_implILNS1_25lookback_scan_determinismE0ELb0ELb0ES3_PlS8_lN6thrust23THRUST_200600_302600_NS4plusIvEElEEDaPvRmT3_T4_T5_mT6_P12ihipStream_tbENKUlT_T0_E_clISt17integral_constantIbLb0EESP_IbLb1EEEEDaSL_SM_EUlSL_E_NS1_11comp_targetILNS1_3genE2ELNS1_11target_archE906ELNS1_3gpuE6ELNS1_3repE0EEENS1_30default_config_static_selectorELNS0_4arch9wavefront6targetE0EEEvT1_,"axG",@progbits,_ZN7rocprim17ROCPRIM_400000_NS6detail17trampoline_kernelINS0_14default_configENS1_20scan_config_selectorIlEEZZNS1_9scan_implILNS1_25lookback_scan_determinismE0ELb0ELb0ES3_PlS8_lN6thrust23THRUST_200600_302600_NS4plusIvEElEEDaPvRmT3_T4_T5_mT6_P12ihipStream_tbENKUlT_T0_E_clISt17integral_constantIbLb0EESP_IbLb1EEEEDaSL_SM_EUlSL_E_NS1_11comp_targetILNS1_3genE2ELNS1_11target_archE906ELNS1_3gpuE6ELNS1_3repE0EEENS1_30default_config_static_selectorELNS0_4arch9wavefront6targetE0EEEvT1_,comdat
.Lfunc_end145:
	.size	_ZN7rocprim17ROCPRIM_400000_NS6detail17trampoline_kernelINS0_14default_configENS1_20scan_config_selectorIlEEZZNS1_9scan_implILNS1_25lookback_scan_determinismE0ELb0ELb0ES3_PlS8_lN6thrust23THRUST_200600_302600_NS4plusIvEElEEDaPvRmT3_T4_T5_mT6_P12ihipStream_tbENKUlT_T0_E_clISt17integral_constantIbLb0EESP_IbLb1EEEEDaSL_SM_EUlSL_E_NS1_11comp_targetILNS1_3genE2ELNS1_11target_archE906ELNS1_3gpuE6ELNS1_3repE0EEENS1_30default_config_static_selectorELNS0_4arch9wavefront6targetE0EEEvT1_, .Lfunc_end145-_ZN7rocprim17ROCPRIM_400000_NS6detail17trampoline_kernelINS0_14default_configENS1_20scan_config_selectorIlEEZZNS1_9scan_implILNS1_25lookback_scan_determinismE0ELb0ELb0ES3_PlS8_lN6thrust23THRUST_200600_302600_NS4plusIvEElEEDaPvRmT3_T4_T5_mT6_P12ihipStream_tbENKUlT_T0_E_clISt17integral_constantIbLb0EESP_IbLb1EEEEDaSL_SM_EUlSL_E_NS1_11comp_targetILNS1_3genE2ELNS1_11target_archE906ELNS1_3gpuE6ELNS1_3repE0EEENS1_30default_config_static_selectorELNS0_4arch9wavefront6targetE0EEEvT1_
                                        ; -- End function
	.section	.AMDGPU.csdata,"",@progbits
; Kernel info:
; codeLenInByte = 0
; NumSgprs: 0
; NumVgprs: 0
; ScratchSize: 0
; MemoryBound: 0
; FloatMode: 240
; IeeeMode: 1
; LDSByteSize: 0 bytes/workgroup (compile time only)
; SGPRBlocks: 0
; VGPRBlocks: 0
; NumSGPRsForWavesPerEU: 1
; NumVGPRsForWavesPerEU: 1
; Occupancy: 16
; WaveLimiterHint : 0
; COMPUTE_PGM_RSRC2:SCRATCH_EN: 0
; COMPUTE_PGM_RSRC2:USER_SGPR: 15
; COMPUTE_PGM_RSRC2:TRAP_HANDLER: 0
; COMPUTE_PGM_RSRC2:TGID_X_EN: 1
; COMPUTE_PGM_RSRC2:TGID_Y_EN: 0
; COMPUTE_PGM_RSRC2:TGID_Z_EN: 0
; COMPUTE_PGM_RSRC2:TIDIG_COMP_CNT: 0
	.section	.text._ZN7rocprim17ROCPRIM_400000_NS6detail17trampoline_kernelINS0_14default_configENS1_20scan_config_selectorIlEEZZNS1_9scan_implILNS1_25lookback_scan_determinismE0ELb0ELb0ES3_PlS8_lN6thrust23THRUST_200600_302600_NS4plusIvEElEEDaPvRmT3_T4_T5_mT6_P12ihipStream_tbENKUlT_T0_E_clISt17integral_constantIbLb0EESP_IbLb1EEEEDaSL_SM_EUlSL_E_NS1_11comp_targetILNS1_3genE10ELNS1_11target_archE1201ELNS1_3gpuE5ELNS1_3repE0EEENS1_30default_config_static_selectorELNS0_4arch9wavefront6targetE0EEEvT1_,"axG",@progbits,_ZN7rocprim17ROCPRIM_400000_NS6detail17trampoline_kernelINS0_14default_configENS1_20scan_config_selectorIlEEZZNS1_9scan_implILNS1_25lookback_scan_determinismE0ELb0ELb0ES3_PlS8_lN6thrust23THRUST_200600_302600_NS4plusIvEElEEDaPvRmT3_T4_T5_mT6_P12ihipStream_tbENKUlT_T0_E_clISt17integral_constantIbLb0EESP_IbLb1EEEEDaSL_SM_EUlSL_E_NS1_11comp_targetILNS1_3genE10ELNS1_11target_archE1201ELNS1_3gpuE5ELNS1_3repE0EEENS1_30default_config_static_selectorELNS0_4arch9wavefront6targetE0EEEvT1_,comdat
	.protected	_ZN7rocprim17ROCPRIM_400000_NS6detail17trampoline_kernelINS0_14default_configENS1_20scan_config_selectorIlEEZZNS1_9scan_implILNS1_25lookback_scan_determinismE0ELb0ELb0ES3_PlS8_lN6thrust23THRUST_200600_302600_NS4plusIvEElEEDaPvRmT3_T4_T5_mT6_P12ihipStream_tbENKUlT_T0_E_clISt17integral_constantIbLb0EESP_IbLb1EEEEDaSL_SM_EUlSL_E_NS1_11comp_targetILNS1_3genE10ELNS1_11target_archE1201ELNS1_3gpuE5ELNS1_3repE0EEENS1_30default_config_static_selectorELNS0_4arch9wavefront6targetE0EEEvT1_ ; -- Begin function _ZN7rocprim17ROCPRIM_400000_NS6detail17trampoline_kernelINS0_14default_configENS1_20scan_config_selectorIlEEZZNS1_9scan_implILNS1_25lookback_scan_determinismE0ELb0ELb0ES3_PlS8_lN6thrust23THRUST_200600_302600_NS4plusIvEElEEDaPvRmT3_T4_T5_mT6_P12ihipStream_tbENKUlT_T0_E_clISt17integral_constantIbLb0EESP_IbLb1EEEEDaSL_SM_EUlSL_E_NS1_11comp_targetILNS1_3genE10ELNS1_11target_archE1201ELNS1_3gpuE5ELNS1_3repE0EEENS1_30default_config_static_selectorELNS0_4arch9wavefront6targetE0EEEvT1_
	.globl	_ZN7rocprim17ROCPRIM_400000_NS6detail17trampoline_kernelINS0_14default_configENS1_20scan_config_selectorIlEEZZNS1_9scan_implILNS1_25lookback_scan_determinismE0ELb0ELb0ES3_PlS8_lN6thrust23THRUST_200600_302600_NS4plusIvEElEEDaPvRmT3_T4_T5_mT6_P12ihipStream_tbENKUlT_T0_E_clISt17integral_constantIbLb0EESP_IbLb1EEEEDaSL_SM_EUlSL_E_NS1_11comp_targetILNS1_3genE10ELNS1_11target_archE1201ELNS1_3gpuE5ELNS1_3repE0EEENS1_30default_config_static_selectorELNS0_4arch9wavefront6targetE0EEEvT1_
	.p2align	8
	.type	_ZN7rocprim17ROCPRIM_400000_NS6detail17trampoline_kernelINS0_14default_configENS1_20scan_config_selectorIlEEZZNS1_9scan_implILNS1_25lookback_scan_determinismE0ELb0ELb0ES3_PlS8_lN6thrust23THRUST_200600_302600_NS4plusIvEElEEDaPvRmT3_T4_T5_mT6_P12ihipStream_tbENKUlT_T0_E_clISt17integral_constantIbLb0EESP_IbLb1EEEEDaSL_SM_EUlSL_E_NS1_11comp_targetILNS1_3genE10ELNS1_11target_archE1201ELNS1_3gpuE5ELNS1_3repE0EEENS1_30default_config_static_selectorELNS0_4arch9wavefront6targetE0EEEvT1_,@function
_ZN7rocprim17ROCPRIM_400000_NS6detail17trampoline_kernelINS0_14default_configENS1_20scan_config_selectorIlEEZZNS1_9scan_implILNS1_25lookback_scan_determinismE0ELb0ELb0ES3_PlS8_lN6thrust23THRUST_200600_302600_NS4plusIvEElEEDaPvRmT3_T4_T5_mT6_P12ihipStream_tbENKUlT_T0_E_clISt17integral_constantIbLb0EESP_IbLb1EEEEDaSL_SM_EUlSL_E_NS1_11comp_targetILNS1_3genE10ELNS1_11target_archE1201ELNS1_3gpuE5ELNS1_3repE0EEENS1_30default_config_static_selectorELNS0_4arch9wavefront6targetE0EEEvT1_: ; @_ZN7rocprim17ROCPRIM_400000_NS6detail17trampoline_kernelINS0_14default_configENS1_20scan_config_selectorIlEEZZNS1_9scan_implILNS1_25lookback_scan_determinismE0ELb0ELb0ES3_PlS8_lN6thrust23THRUST_200600_302600_NS4plusIvEElEEDaPvRmT3_T4_T5_mT6_P12ihipStream_tbENKUlT_T0_E_clISt17integral_constantIbLb0EESP_IbLb1EEEEDaSL_SM_EUlSL_E_NS1_11comp_targetILNS1_3genE10ELNS1_11target_archE1201ELNS1_3gpuE5ELNS1_3repE0EEENS1_30default_config_static_selectorELNS0_4arch9wavefront6targetE0EEEvT1_
; %bb.0:
	.section	.rodata,"a",@progbits
	.p2align	6, 0x0
	.amdhsa_kernel _ZN7rocprim17ROCPRIM_400000_NS6detail17trampoline_kernelINS0_14default_configENS1_20scan_config_selectorIlEEZZNS1_9scan_implILNS1_25lookback_scan_determinismE0ELb0ELb0ES3_PlS8_lN6thrust23THRUST_200600_302600_NS4plusIvEElEEDaPvRmT3_T4_T5_mT6_P12ihipStream_tbENKUlT_T0_E_clISt17integral_constantIbLb0EESP_IbLb1EEEEDaSL_SM_EUlSL_E_NS1_11comp_targetILNS1_3genE10ELNS1_11target_archE1201ELNS1_3gpuE5ELNS1_3repE0EEENS1_30default_config_static_selectorELNS0_4arch9wavefront6targetE0EEEvT1_
		.amdhsa_group_segment_fixed_size 0
		.amdhsa_private_segment_fixed_size 0
		.amdhsa_kernarg_size 104
		.amdhsa_user_sgpr_count 15
		.amdhsa_user_sgpr_dispatch_ptr 0
		.amdhsa_user_sgpr_queue_ptr 0
		.amdhsa_user_sgpr_kernarg_segment_ptr 1
		.amdhsa_user_sgpr_dispatch_id 0
		.amdhsa_user_sgpr_private_segment_size 0
		.amdhsa_wavefront_size32 1
		.amdhsa_uses_dynamic_stack 0
		.amdhsa_enable_private_segment 0
		.amdhsa_system_sgpr_workgroup_id_x 1
		.amdhsa_system_sgpr_workgroup_id_y 0
		.amdhsa_system_sgpr_workgroup_id_z 0
		.amdhsa_system_sgpr_workgroup_info 0
		.amdhsa_system_vgpr_workitem_id 0
		.amdhsa_next_free_vgpr 1
		.amdhsa_next_free_sgpr 1
		.amdhsa_reserve_vcc 0
		.amdhsa_float_round_mode_32 0
		.amdhsa_float_round_mode_16_64 0
		.amdhsa_float_denorm_mode_32 3
		.amdhsa_float_denorm_mode_16_64 3
		.amdhsa_dx10_clamp 1
		.amdhsa_ieee_mode 1
		.amdhsa_fp16_overflow 0
		.amdhsa_workgroup_processor_mode 1
		.amdhsa_memory_ordered 1
		.amdhsa_forward_progress 0
		.amdhsa_shared_vgpr_count 0
		.amdhsa_exception_fp_ieee_invalid_op 0
		.amdhsa_exception_fp_denorm_src 0
		.amdhsa_exception_fp_ieee_div_zero 0
		.amdhsa_exception_fp_ieee_overflow 0
		.amdhsa_exception_fp_ieee_underflow 0
		.amdhsa_exception_fp_ieee_inexact 0
		.amdhsa_exception_int_div_zero 0
	.end_amdhsa_kernel
	.section	.text._ZN7rocprim17ROCPRIM_400000_NS6detail17trampoline_kernelINS0_14default_configENS1_20scan_config_selectorIlEEZZNS1_9scan_implILNS1_25lookback_scan_determinismE0ELb0ELb0ES3_PlS8_lN6thrust23THRUST_200600_302600_NS4plusIvEElEEDaPvRmT3_T4_T5_mT6_P12ihipStream_tbENKUlT_T0_E_clISt17integral_constantIbLb0EESP_IbLb1EEEEDaSL_SM_EUlSL_E_NS1_11comp_targetILNS1_3genE10ELNS1_11target_archE1201ELNS1_3gpuE5ELNS1_3repE0EEENS1_30default_config_static_selectorELNS0_4arch9wavefront6targetE0EEEvT1_,"axG",@progbits,_ZN7rocprim17ROCPRIM_400000_NS6detail17trampoline_kernelINS0_14default_configENS1_20scan_config_selectorIlEEZZNS1_9scan_implILNS1_25lookback_scan_determinismE0ELb0ELb0ES3_PlS8_lN6thrust23THRUST_200600_302600_NS4plusIvEElEEDaPvRmT3_T4_T5_mT6_P12ihipStream_tbENKUlT_T0_E_clISt17integral_constantIbLb0EESP_IbLb1EEEEDaSL_SM_EUlSL_E_NS1_11comp_targetILNS1_3genE10ELNS1_11target_archE1201ELNS1_3gpuE5ELNS1_3repE0EEENS1_30default_config_static_selectorELNS0_4arch9wavefront6targetE0EEEvT1_,comdat
.Lfunc_end146:
	.size	_ZN7rocprim17ROCPRIM_400000_NS6detail17trampoline_kernelINS0_14default_configENS1_20scan_config_selectorIlEEZZNS1_9scan_implILNS1_25lookback_scan_determinismE0ELb0ELb0ES3_PlS8_lN6thrust23THRUST_200600_302600_NS4plusIvEElEEDaPvRmT3_T4_T5_mT6_P12ihipStream_tbENKUlT_T0_E_clISt17integral_constantIbLb0EESP_IbLb1EEEEDaSL_SM_EUlSL_E_NS1_11comp_targetILNS1_3genE10ELNS1_11target_archE1201ELNS1_3gpuE5ELNS1_3repE0EEENS1_30default_config_static_selectorELNS0_4arch9wavefront6targetE0EEEvT1_, .Lfunc_end146-_ZN7rocprim17ROCPRIM_400000_NS6detail17trampoline_kernelINS0_14default_configENS1_20scan_config_selectorIlEEZZNS1_9scan_implILNS1_25lookback_scan_determinismE0ELb0ELb0ES3_PlS8_lN6thrust23THRUST_200600_302600_NS4plusIvEElEEDaPvRmT3_T4_T5_mT6_P12ihipStream_tbENKUlT_T0_E_clISt17integral_constantIbLb0EESP_IbLb1EEEEDaSL_SM_EUlSL_E_NS1_11comp_targetILNS1_3genE10ELNS1_11target_archE1201ELNS1_3gpuE5ELNS1_3repE0EEENS1_30default_config_static_selectorELNS0_4arch9wavefront6targetE0EEEvT1_
                                        ; -- End function
	.section	.AMDGPU.csdata,"",@progbits
; Kernel info:
; codeLenInByte = 0
; NumSgprs: 0
; NumVgprs: 0
; ScratchSize: 0
; MemoryBound: 0
; FloatMode: 240
; IeeeMode: 1
; LDSByteSize: 0 bytes/workgroup (compile time only)
; SGPRBlocks: 0
; VGPRBlocks: 0
; NumSGPRsForWavesPerEU: 1
; NumVGPRsForWavesPerEU: 1
; Occupancy: 16
; WaveLimiterHint : 0
; COMPUTE_PGM_RSRC2:SCRATCH_EN: 0
; COMPUTE_PGM_RSRC2:USER_SGPR: 15
; COMPUTE_PGM_RSRC2:TRAP_HANDLER: 0
; COMPUTE_PGM_RSRC2:TGID_X_EN: 1
; COMPUTE_PGM_RSRC2:TGID_Y_EN: 0
; COMPUTE_PGM_RSRC2:TGID_Z_EN: 0
; COMPUTE_PGM_RSRC2:TIDIG_COMP_CNT: 0
	.section	.text._ZN7rocprim17ROCPRIM_400000_NS6detail17trampoline_kernelINS0_14default_configENS1_20scan_config_selectorIlEEZZNS1_9scan_implILNS1_25lookback_scan_determinismE0ELb0ELb0ES3_PlS8_lN6thrust23THRUST_200600_302600_NS4plusIvEElEEDaPvRmT3_T4_T5_mT6_P12ihipStream_tbENKUlT_T0_E_clISt17integral_constantIbLb0EESP_IbLb1EEEEDaSL_SM_EUlSL_E_NS1_11comp_targetILNS1_3genE10ELNS1_11target_archE1200ELNS1_3gpuE4ELNS1_3repE0EEENS1_30default_config_static_selectorELNS0_4arch9wavefront6targetE0EEEvT1_,"axG",@progbits,_ZN7rocprim17ROCPRIM_400000_NS6detail17trampoline_kernelINS0_14default_configENS1_20scan_config_selectorIlEEZZNS1_9scan_implILNS1_25lookback_scan_determinismE0ELb0ELb0ES3_PlS8_lN6thrust23THRUST_200600_302600_NS4plusIvEElEEDaPvRmT3_T4_T5_mT6_P12ihipStream_tbENKUlT_T0_E_clISt17integral_constantIbLb0EESP_IbLb1EEEEDaSL_SM_EUlSL_E_NS1_11comp_targetILNS1_3genE10ELNS1_11target_archE1200ELNS1_3gpuE4ELNS1_3repE0EEENS1_30default_config_static_selectorELNS0_4arch9wavefront6targetE0EEEvT1_,comdat
	.protected	_ZN7rocprim17ROCPRIM_400000_NS6detail17trampoline_kernelINS0_14default_configENS1_20scan_config_selectorIlEEZZNS1_9scan_implILNS1_25lookback_scan_determinismE0ELb0ELb0ES3_PlS8_lN6thrust23THRUST_200600_302600_NS4plusIvEElEEDaPvRmT3_T4_T5_mT6_P12ihipStream_tbENKUlT_T0_E_clISt17integral_constantIbLb0EESP_IbLb1EEEEDaSL_SM_EUlSL_E_NS1_11comp_targetILNS1_3genE10ELNS1_11target_archE1200ELNS1_3gpuE4ELNS1_3repE0EEENS1_30default_config_static_selectorELNS0_4arch9wavefront6targetE0EEEvT1_ ; -- Begin function _ZN7rocprim17ROCPRIM_400000_NS6detail17trampoline_kernelINS0_14default_configENS1_20scan_config_selectorIlEEZZNS1_9scan_implILNS1_25lookback_scan_determinismE0ELb0ELb0ES3_PlS8_lN6thrust23THRUST_200600_302600_NS4plusIvEElEEDaPvRmT3_T4_T5_mT6_P12ihipStream_tbENKUlT_T0_E_clISt17integral_constantIbLb0EESP_IbLb1EEEEDaSL_SM_EUlSL_E_NS1_11comp_targetILNS1_3genE10ELNS1_11target_archE1200ELNS1_3gpuE4ELNS1_3repE0EEENS1_30default_config_static_selectorELNS0_4arch9wavefront6targetE0EEEvT1_
	.globl	_ZN7rocprim17ROCPRIM_400000_NS6detail17trampoline_kernelINS0_14default_configENS1_20scan_config_selectorIlEEZZNS1_9scan_implILNS1_25lookback_scan_determinismE0ELb0ELb0ES3_PlS8_lN6thrust23THRUST_200600_302600_NS4plusIvEElEEDaPvRmT3_T4_T5_mT6_P12ihipStream_tbENKUlT_T0_E_clISt17integral_constantIbLb0EESP_IbLb1EEEEDaSL_SM_EUlSL_E_NS1_11comp_targetILNS1_3genE10ELNS1_11target_archE1200ELNS1_3gpuE4ELNS1_3repE0EEENS1_30default_config_static_selectorELNS0_4arch9wavefront6targetE0EEEvT1_
	.p2align	8
	.type	_ZN7rocprim17ROCPRIM_400000_NS6detail17trampoline_kernelINS0_14default_configENS1_20scan_config_selectorIlEEZZNS1_9scan_implILNS1_25lookback_scan_determinismE0ELb0ELb0ES3_PlS8_lN6thrust23THRUST_200600_302600_NS4plusIvEElEEDaPvRmT3_T4_T5_mT6_P12ihipStream_tbENKUlT_T0_E_clISt17integral_constantIbLb0EESP_IbLb1EEEEDaSL_SM_EUlSL_E_NS1_11comp_targetILNS1_3genE10ELNS1_11target_archE1200ELNS1_3gpuE4ELNS1_3repE0EEENS1_30default_config_static_selectorELNS0_4arch9wavefront6targetE0EEEvT1_,@function
_ZN7rocprim17ROCPRIM_400000_NS6detail17trampoline_kernelINS0_14default_configENS1_20scan_config_selectorIlEEZZNS1_9scan_implILNS1_25lookback_scan_determinismE0ELb0ELb0ES3_PlS8_lN6thrust23THRUST_200600_302600_NS4plusIvEElEEDaPvRmT3_T4_T5_mT6_P12ihipStream_tbENKUlT_T0_E_clISt17integral_constantIbLb0EESP_IbLb1EEEEDaSL_SM_EUlSL_E_NS1_11comp_targetILNS1_3genE10ELNS1_11target_archE1200ELNS1_3gpuE4ELNS1_3repE0EEENS1_30default_config_static_selectorELNS0_4arch9wavefront6targetE0EEEvT1_: ; @_ZN7rocprim17ROCPRIM_400000_NS6detail17trampoline_kernelINS0_14default_configENS1_20scan_config_selectorIlEEZZNS1_9scan_implILNS1_25lookback_scan_determinismE0ELb0ELb0ES3_PlS8_lN6thrust23THRUST_200600_302600_NS4plusIvEElEEDaPvRmT3_T4_T5_mT6_P12ihipStream_tbENKUlT_T0_E_clISt17integral_constantIbLb0EESP_IbLb1EEEEDaSL_SM_EUlSL_E_NS1_11comp_targetILNS1_3genE10ELNS1_11target_archE1200ELNS1_3gpuE4ELNS1_3repE0EEENS1_30default_config_static_selectorELNS0_4arch9wavefront6targetE0EEEvT1_
; %bb.0:
	.section	.rodata,"a",@progbits
	.p2align	6, 0x0
	.amdhsa_kernel _ZN7rocprim17ROCPRIM_400000_NS6detail17trampoline_kernelINS0_14default_configENS1_20scan_config_selectorIlEEZZNS1_9scan_implILNS1_25lookback_scan_determinismE0ELb0ELb0ES3_PlS8_lN6thrust23THRUST_200600_302600_NS4plusIvEElEEDaPvRmT3_T4_T5_mT6_P12ihipStream_tbENKUlT_T0_E_clISt17integral_constantIbLb0EESP_IbLb1EEEEDaSL_SM_EUlSL_E_NS1_11comp_targetILNS1_3genE10ELNS1_11target_archE1200ELNS1_3gpuE4ELNS1_3repE0EEENS1_30default_config_static_selectorELNS0_4arch9wavefront6targetE0EEEvT1_
		.amdhsa_group_segment_fixed_size 0
		.amdhsa_private_segment_fixed_size 0
		.amdhsa_kernarg_size 104
		.amdhsa_user_sgpr_count 15
		.amdhsa_user_sgpr_dispatch_ptr 0
		.amdhsa_user_sgpr_queue_ptr 0
		.amdhsa_user_sgpr_kernarg_segment_ptr 1
		.amdhsa_user_sgpr_dispatch_id 0
		.amdhsa_user_sgpr_private_segment_size 0
		.amdhsa_wavefront_size32 1
		.amdhsa_uses_dynamic_stack 0
		.amdhsa_enable_private_segment 0
		.amdhsa_system_sgpr_workgroup_id_x 1
		.amdhsa_system_sgpr_workgroup_id_y 0
		.amdhsa_system_sgpr_workgroup_id_z 0
		.amdhsa_system_sgpr_workgroup_info 0
		.amdhsa_system_vgpr_workitem_id 0
		.amdhsa_next_free_vgpr 1
		.amdhsa_next_free_sgpr 1
		.amdhsa_reserve_vcc 0
		.amdhsa_float_round_mode_32 0
		.amdhsa_float_round_mode_16_64 0
		.amdhsa_float_denorm_mode_32 3
		.amdhsa_float_denorm_mode_16_64 3
		.amdhsa_dx10_clamp 1
		.amdhsa_ieee_mode 1
		.amdhsa_fp16_overflow 0
		.amdhsa_workgroup_processor_mode 1
		.amdhsa_memory_ordered 1
		.amdhsa_forward_progress 0
		.amdhsa_shared_vgpr_count 0
		.amdhsa_exception_fp_ieee_invalid_op 0
		.amdhsa_exception_fp_denorm_src 0
		.amdhsa_exception_fp_ieee_div_zero 0
		.amdhsa_exception_fp_ieee_overflow 0
		.amdhsa_exception_fp_ieee_underflow 0
		.amdhsa_exception_fp_ieee_inexact 0
		.amdhsa_exception_int_div_zero 0
	.end_amdhsa_kernel
	.section	.text._ZN7rocprim17ROCPRIM_400000_NS6detail17trampoline_kernelINS0_14default_configENS1_20scan_config_selectorIlEEZZNS1_9scan_implILNS1_25lookback_scan_determinismE0ELb0ELb0ES3_PlS8_lN6thrust23THRUST_200600_302600_NS4plusIvEElEEDaPvRmT3_T4_T5_mT6_P12ihipStream_tbENKUlT_T0_E_clISt17integral_constantIbLb0EESP_IbLb1EEEEDaSL_SM_EUlSL_E_NS1_11comp_targetILNS1_3genE10ELNS1_11target_archE1200ELNS1_3gpuE4ELNS1_3repE0EEENS1_30default_config_static_selectorELNS0_4arch9wavefront6targetE0EEEvT1_,"axG",@progbits,_ZN7rocprim17ROCPRIM_400000_NS6detail17trampoline_kernelINS0_14default_configENS1_20scan_config_selectorIlEEZZNS1_9scan_implILNS1_25lookback_scan_determinismE0ELb0ELb0ES3_PlS8_lN6thrust23THRUST_200600_302600_NS4plusIvEElEEDaPvRmT3_T4_T5_mT6_P12ihipStream_tbENKUlT_T0_E_clISt17integral_constantIbLb0EESP_IbLb1EEEEDaSL_SM_EUlSL_E_NS1_11comp_targetILNS1_3genE10ELNS1_11target_archE1200ELNS1_3gpuE4ELNS1_3repE0EEENS1_30default_config_static_selectorELNS0_4arch9wavefront6targetE0EEEvT1_,comdat
.Lfunc_end147:
	.size	_ZN7rocprim17ROCPRIM_400000_NS6detail17trampoline_kernelINS0_14default_configENS1_20scan_config_selectorIlEEZZNS1_9scan_implILNS1_25lookback_scan_determinismE0ELb0ELb0ES3_PlS8_lN6thrust23THRUST_200600_302600_NS4plusIvEElEEDaPvRmT3_T4_T5_mT6_P12ihipStream_tbENKUlT_T0_E_clISt17integral_constantIbLb0EESP_IbLb1EEEEDaSL_SM_EUlSL_E_NS1_11comp_targetILNS1_3genE10ELNS1_11target_archE1200ELNS1_3gpuE4ELNS1_3repE0EEENS1_30default_config_static_selectorELNS0_4arch9wavefront6targetE0EEEvT1_, .Lfunc_end147-_ZN7rocprim17ROCPRIM_400000_NS6detail17trampoline_kernelINS0_14default_configENS1_20scan_config_selectorIlEEZZNS1_9scan_implILNS1_25lookback_scan_determinismE0ELb0ELb0ES3_PlS8_lN6thrust23THRUST_200600_302600_NS4plusIvEElEEDaPvRmT3_T4_T5_mT6_P12ihipStream_tbENKUlT_T0_E_clISt17integral_constantIbLb0EESP_IbLb1EEEEDaSL_SM_EUlSL_E_NS1_11comp_targetILNS1_3genE10ELNS1_11target_archE1200ELNS1_3gpuE4ELNS1_3repE0EEENS1_30default_config_static_selectorELNS0_4arch9wavefront6targetE0EEEvT1_
                                        ; -- End function
	.section	.AMDGPU.csdata,"",@progbits
; Kernel info:
; codeLenInByte = 0
; NumSgprs: 0
; NumVgprs: 0
; ScratchSize: 0
; MemoryBound: 0
; FloatMode: 240
; IeeeMode: 1
; LDSByteSize: 0 bytes/workgroup (compile time only)
; SGPRBlocks: 0
; VGPRBlocks: 0
; NumSGPRsForWavesPerEU: 1
; NumVGPRsForWavesPerEU: 1
; Occupancy: 16
; WaveLimiterHint : 0
; COMPUTE_PGM_RSRC2:SCRATCH_EN: 0
; COMPUTE_PGM_RSRC2:USER_SGPR: 15
; COMPUTE_PGM_RSRC2:TRAP_HANDLER: 0
; COMPUTE_PGM_RSRC2:TGID_X_EN: 1
; COMPUTE_PGM_RSRC2:TGID_Y_EN: 0
; COMPUTE_PGM_RSRC2:TGID_Z_EN: 0
; COMPUTE_PGM_RSRC2:TIDIG_COMP_CNT: 0
	.section	.text._ZN7rocprim17ROCPRIM_400000_NS6detail17trampoline_kernelINS0_14default_configENS1_20scan_config_selectorIlEEZZNS1_9scan_implILNS1_25lookback_scan_determinismE0ELb0ELb0ES3_PlS8_lN6thrust23THRUST_200600_302600_NS4plusIvEElEEDaPvRmT3_T4_T5_mT6_P12ihipStream_tbENKUlT_T0_E_clISt17integral_constantIbLb0EESP_IbLb1EEEEDaSL_SM_EUlSL_E_NS1_11comp_targetILNS1_3genE9ELNS1_11target_archE1100ELNS1_3gpuE3ELNS1_3repE0EEENS1_30default_config_static_selectorELNS0_4arch9wavefront6targetE0EEEvT1_,"axG",@progbits,_ZN7rocprim17ROCPRIM_400000_NS6detail17trampoline_kernelINS0_14default_configENS1_20scan_config_selectorIlEEZZNS1_9scan_implILNS1_25lookback_scan_determinismE0ELb0ELb0ES3_PlS8_lN6thrust23THRUST_200600_302600_NS4plusIvEElEEDaPvRmT3_T4_T5_mT6_P12ihipStream_tbENKUlT_T0_E_clISt17integral_constantIbLb0EESP_IbLb1EEEEDaSL_SM_EUlSL_E_NS1_11comp_targetILNS1_3genE9ELNS1_11target_archE1100ELNS1_3gpuE3ELNS1_3repE0EEENS1_30default_config_static_selectorELNS0_4arch9wavefront6targetE0EEEvT1_,comdat
	.protected	_ZN7rocprim17ROCPRIM_400000_NS6detail17trampoline_kernelINS0_14default_configENS1_20scan_config_selectorIlEEZZNS1_9scan_implILNS1_25lookback_scan_determinismE0ELb0ELb0ES3_PlS8_lN6thrust23THRUST_200600_302600_NS4plusIvEElEEDaPvRmT3_T4_T5_mT6_P12ihipStream_tbENKUlT_T0_E_clISt17integral_constantIbLb0EESP_IbLb1EEEEDaSL_SM_EUlSL_E_NS1_11comp_targetILNS1_3genE9ELNS1_11target_archE1100ELNS1_3gpuE3ELNS1_3repE0EEENS1_30default_config_static_selectorELNS0_4arch9wavefront6targetE0EEEvT1_ ; -- Begin function _ZN7rocprim17ROCPRIM_400000_NS6detail17trampoline_kernelINS0_14default_configENS1_20scan_config_selectorIlEEZZNS1_9scan_implILNS1_25lookback_scan_determinismE0ELb0ELb0ES3_PlS8_lN6thrust23THRUST_200600_302600_NS4plusIvEElEEDaPvRmT3_T4_T5_mT6_P12ihipStream_tbENKUlT_T0_E_clISt17integral_constantIbLb0EESP_IbLb1EEEEDaSL_SM_EUlSL_E_NS1_11comp_targetILNS1_3genE9ELNS1_11target_archE1100ELNS1_3gpuE3ELNS1_3repE0EEENS1_30default_config_static_selectorELNS0_4arch9wavefront6targetE0EEEvT1_
	.globl	_ZN7rocprim17ROCPRIM_400000_NS6detail17trampoline_kernelINS0_14default_configENS1_20scan_config_selectorIlEEZZNS1_9scan_implILNS1_25lookback_scan_determinismE0ELb0ELb0ES3_PlS8_lN6thrust23THRUST_200600_302600_NS4plusIvEElEEDaPvRmT3_T4_T5_mT6_P12ihipStream_tbENKUlT_T0_E_clISt17integral_constantIbLb0EESP_IbLb1EEEEDaSL_SM_EUlSL_E_NS1_11comp_targetILNS1_3genE9ELNS1_11target_archE1100ELNS1_3gpuE3ELNS1_3repE0EEENS1_30default_config_static_selectorELNS0_4arch9wavefront6targetE0EEEvT1_
	.p2align	8
	.type	_ZN7rocprim17ROCPRIM_400000_NS6detail17trampoline_kernelINS0_14default_configENS1_20scan_config_selectorIlEEZZNS1_9scan_implILNS1_25lookback_scan_determinismE0ELb0ELb0ES3_PlS8_lN6thrust23THRUST_200600_302600_NS4plusIvEElEEDaPvRmT3_T4_T5_mT6_P12ihipStream_tbENKUlT_T0_E_clISt17integral_constantIbLb0EESP_IbLb1EEEEDaSL_SM_EUlSL_E_NS1_11comp_targetILNS1_3genE9ELNS1_11target_archE1100ELNS1_3gpuE3ELNS1_3repE0EEENS1_30default_config_static_selectorELNS0_4arch9wavefront6targetE0EEEvT1_,@function
_ZN7rocprim17ROCPRIM_400000_NS6detail17trampoline_kernelINS0_14default_configENS1_20scan_config_selectorIlEEZZNS1_9scan_implILNS1_25lookback_scan_determinismE0ELb0ELb0ES3_PlS8_lN6thrust23THRUST_200600_302600_NS4plusIvEElEEDaPvRmT3_T4_T5_mT6_P12ihipStream_tbENKUlT_T0_E_clISt17integral_constantIbLb0EESP_IbLb1EEEEDaSL_SM_EUlSL_E_NS1_11comp_targetILNS1_3genE9ELNS1_11target_archE1100ELNS1_3gpuE3ELNS1_3repE0EEENS1_30default_config_static_selectorELNS0_4arch9wavefront6targetE0EEEvT1_: ; @_ZN7rocprim17ROCPRIM_400000_NS6detail17trampoline_kernelINS0_14default_configENS1_20scan_config_selectorIlEEZZNS1_9scan_implILNS1_25lookback_scan_determinismE0ELb0ELb0ES3_PlS8_lN6thrust23THRUST_200600_302600_NS4plusIvEElEEDaPvRmT3_T4_T5_mT6_P12ihipStream_tbENKUlT_T0_E_clISt17integral_constantIbLb0EESP_IbLb1EEEEDaSL_SM_EUlSL_E_NS1_11comp_targetILNS1_3genE9ELNS1_11target_archE1100ELNS1_3gpuE3ELNS1_3repE0EEENS1_30default_config_static_selectorELNS0_4arch9wavefront6targetE0EEEvT1_
; %bb.0:
	s_load_b64 s[20:21], s[0:1], 0x30
	v_cmp_ne_u32_e64 s2, 0, v0
	v_cmp_eq_u32_e64 s3, 0, v0
	s_delay_alu instid0(VALU_DEP_1)
	s_and_saveexec_b32 s4, s3
	s_cbranch_execz .LBB148_4
; %bb.1:
	s_mov_b32 s6, exec_lo
	s_mov_b32 s5, exec_lo
	v_mbcnt_lo_u32_b32 v1, s6, 0
                                        ; implicit-def: $vgpr2
	s_delay_alu instid0(VALU_DEP_1)
	v_cmpx_eq_u32_e32 0, v1
	s_cbranch_execz .LBB148_3
; %bb.2:
	s_load_b64 s[8:9], s[0:1], 0x60
	s_bcnt1_i32_b32 s6, s6
	s_delay_alu instid0(SALU_CYCLE_1)
	v_dual_mov_b32 v2, 0 :: v_dual_mov_b32 v3, s6
	s_waitcnt lgkmcnt(0)
	global_atomic_add_u32 v2, v2, v3, s[8:9] glc
.LBB148_3:
	s_or_b32 exec_lo, exec_lo, s5
	s_waitcnt vmcnt(0)
	v_readfirstlane_b32 s5, v2
	s_delay_alu instid0(VALU_DEP_1)
	v_dual_mov_b32 v2, 0 :: v_dual_add_nc_u32 v1, s5, v1
	ds_store_b32 v2, v1
.LBB148_4:
	s_or_b32 exec_lo, exec_lo, s4
	v_dual_mov_b32 v1, 0 :: v_dual_lshlrev_b32 v94, 3, v0
	s_clause 0x2
	s_load_b256 s[12:19], s[0:1], 0x0
	s_load_b32 s22, s[0:1], 0x38
	s_load_b256 s[4:11], s[0:1], 0x40
	s_waitcnt lgkmcnt(0)
	s_barrier
	buffer_gl0_inv
	ds_load_b32 v1, v1
	s_mov_b32 s27, 0
	v_lshrrev_b32_e32 v33, 2, v0
	v_or_b32_e32 v93, 0x100, v0
	v_or_b32_e32 v92, 0x200, v0
	v_or_b32_e32 v91, 0x300, v0
	v_or_b32_e32 v90, 0x400, v0
	v_or_b32_e32 v89, 0x500, v0
	v_or_b32_e32 v88, 0x600, v0
	v_or_b32_e32 v87, 0x700, v0
	v_or_b32_e32 v86, 0x800, v0
	v_or_b32_e32 v85, 0x900, v0
	v_or_b32_e32 v84, 0xa00, v0
	v_or_b32_e32 v82, 0xb00, v0
	s_lshl_b64 s[14:15], s[14:15], 3
	v_or_b32_e32 v83, 0xc00, v0
	s_add_u32 s1, s12, s14
	s_addc_u32 s25, s13, s15
	s_add_i32 s22, s22, -1
	v_or_b32_e32 v81, 0xd00, v0
	s_waitcnt lgkmcnt(0)
	v_readfirstlane_b32 s24, v1
	s_lshl_b32 s12, s22, 12
	v_cmp_ne_u32_e64 s0, s22, v1
	v_or_b32_e32 v80, 0xe00, v0
	v_or_b32_e32 v79, 0xf00, v0
	s_lshl_b32 s26, s24, 12
	s_sub_u32 s22, s18, s12
	s_subb_u32 s23, s19, 0
	s_lshl_b64 s[12:13], s[26:27], 3
	s_delay_alu instid0(SALU_CYCLE_1)
	s_add_u32 s18, s1, s12
	s_addc_u32 s19, s25, s13
	s_and_b32 vcc_lo, exec_lo, s0
	s_mov_b32 s25, -1
	s_barrier
	buffer_gl0_inv
	s_cbranch_vccz .LBB148_6
; %bb.5:
	v_add_co_u32 v27, s1, s18, v94
	s_delay_alu instid0(VALU_DEP_1)
	v_add_co_ci_u32_e64 v28, null, s19, 0, s1
	s_clause 0x1
	global_load_b64 v[1:2], v94, s[18:19]
	global_load_b64 v[3:4], v94, s[18:19] offset:2048
	v_add_co_u32 v5, vcc_lo, 0x1000, v27
	v_add_co_ci_u32_e32 v6, vcc_lo, 0, v28, vcc_lo
	v_add_co_u32 v7, vcc_lo, v27, 0x2000
	v_add_co_ci_u32_e32 v8, vcc_lo, 0, v28, vcc_lo
	;; [unrolled: 2-line block ×10, first 2 shown]
	s_clause 0xd
	global_load_b64 v[17:18], v[7:8], off offset:-4096
	global_load_b64 v[7:8], v[7:8], off
	global_load_b64 v[19:20], v[13:14], off offset:-4096
	global_load_b64 v[13:14], v[13:14], off
	global_load_b64 v[5:6], v[5:6], off offset:2048
	global_load_b64 v[9:10], v[9:10], off offset:2048
	;; [unrolled: 1-line block ×4, first 2 shown]
	global_load_b64 v[29:30], v[23:24], off offset:-4096
	global_load_b64 v[21:22], v[21:22], off offset:2048
	global_load_b64 v[23:24], v[23:24], off
	global_load_b64 v[25:26], v[25:26], off offset:2048
	global_load_b64 v[31:32], v[27:28], off
	global_load_b64 v[27:28], v[27:28], off offset:2048
	v_lshrrev_b32_e32 v35, 2, v93
	v_lshrrev_b32_e32 v36, 2, v92
	v_lshrrev_b32_e32 v37, 2, v91
	v_lshrrev_b32_e32 v38, 2, v90
	v_and_b32_e32 v34, 56, v33
	v_lshrrev_b32_e32 v39, 2, v89
	v_lshrrev_b32_e32 v40, 2, v88
	;; [unrolled: 1-line block ×11, first 2 shown]
	v_and_b32_e32 v35, 0x78, v35
	v_and_b32_e32 v36, 0xb8, v36
	;; [unrolled: 1-line block ×4, first 2 shown]
	v_add_nc_u32_e32 v34, v34, v94
	v_and_b32_e32 v39, 0x178, v39
	v_and_b32_e32 v40, 0x1b8, v40
	;; [unrolled: 1-line block ×11, first 2 shown]
	v_add_nc_u32_e32 v35, v35, v94
	v_add_nc_u32_e32 v36, v36, v94
	;; [unrolled: 1-line block ×4, first 2 shown]
	s_mov_b32 s25, 0
	v_add_nc_u32_e32 v39, v39, v94
	v_add_nc_u32_e32 v40, v40, v94
	;; [unrolled: 1-line block ×11, first 2 shown]
	s_waitcnt vmcnt(15)
	ds_store_b64 v34, v[1:2]
	s_waitcnt vmcnt(14)
	ds_store_b64 v35, v[3:4] offset:2048
	s_waitcnt vmcnt(13)
	ds_store_b64 v36, v[17:18] offset:4096
	;; [unrolled: 2-line block ×3, first 2 shown]
	ds_store_b64 v38, v[7:8] offset:8192
	s_waitcnt vmcnt(8)
	ds_store_b64 v39, v[9:10] offset:10240
	ds_store_b64 v40, v[19:20] offset:12288
	s_waitcnt vmcnt(7)
	ds_store_b64 v41, v[11:12] offset:14336
	;; [unrolled: 3-line block ×3, first 2 shown]
	s_waitcnt vmcnt(5)
	ds_store_b64 v44, v[29:30] offset:20480
	s_waitcnt vmcnt(4)
	ds_store_b64 v45, v[21:22] offset:22528
	;; [unrolled: 2-line block ×6, first 2 shown]
	s_waitcnt lgkmcnt(0)
	s_barrier
.LBB148_6:
	v_cmp_gt_u32_e64 s1, s22, v0
	s_and_not1_b32 vcc_lo, exec_lo, s25
	s_cbranch_vccnz .LBB148_25
; %bb.7:
	v_mov_b32_e32 v1, 0
	global_load_b64 v[25:26], v1, s[18:19]
	s_waitcnt vmcnt(0)
	v_dual_mov_b32 v28, v26 :: v_dual_mov_b32 v15, v25
	v_dual_mov_b32 v32, v26 :: v_dual_mov_b32 v27, v25
	;; [unrolled: 1-line block ×15, first 2 shown]
	s_and_saveexec_b32 s25, s1
	s_cbranch_execnz .LBB148_118
; %bb.8:
	s_or_b32 exec_lo, exec_lo, s25
	s_delay_alu instid0(SALU_CYCLE_1)
	s_mov_b32 s1, exec_lo
	v_cmpx_gt_u32_e64 s22, v93
	s_cbranch_execnz .LBB148_119
.LBB148_9:
	s_or_b32 exec_lo, exec_lo, s1
	s_delay_alu instid0(SALU_CYCLE_1)
	s_mov_b32 s1, exec_lo
	v_cmpx_gt_u32_e64 s22, v92
	s_cbranch_execnz .LBB148_120
.LBB148_10:
	s_or_b32 exec_lo, exec_lo, s1
	s_delay_alu instid0(SALU_CYCLE_1)
	s_mov_b32 s1, exec_lo
	v_cmpx_gt_u32_e64 s22, v91
	s_cbranch_execnz .LBB148_121
.LBB148_11:
	s_or_b32 exec_lo, exec_lo, s1
	s_delay_alu instid0(SALU_CYCLE_1)
	s_mov_b32 s1, exec_lo
	v_cmpx_gt_u32_e64 s22, v90
	s_cbranch_execnz .LBB148_122
.LBB148_12:
	s_or_b32 exec_lo, exec_lo, s1
	s_delay_alu instid0(SALU_CYCLE_1)
	s_mov_b32 s1, exec_lo
	v_cmpx_gt_u32_e64 s22, v89
	s_cbranch_execnz .LBB148_123
.LBB148_13:
	s_or_b32 exec_lo, exec_lo, s1
	s_delay_alu instid0(SALU_CYCLE_1)
	s_mov_b32 s1, exec_lo
	v_cmpx_gt_u32_e64 s22, v88
	s_cbranch_execnz .LBB148_124
.LBB148_14:
	s_or_b32 exec_lo, exec_lo, s1
	s_delay_alu instid0(SALU_CYCLE_1)
	s_mov_b32 s1, exec_lo
	v_cmpx_gt_u32_e64 s22, v87
	s_cbranch_execnz .LBB148_125
.LBB148_15:
	s_or_b32 exec_lo, exec_lo, s1
	s_delay_alu instid0(SALU_CYCLE_1)
	s_mov_b32 s1, exec_lo
	v_cmpx_gt_u32_e64 s22, v86
	s_cbranch_execnz .LBB148_126
.LBB148_16:
	s_or_b32 exec_lo, exec_lo, s1
	s_delay_alu instid0(SALU_CYCLE_1)
	s_mov_b32 s1, exec_lo
	v_cmpx_gt_u32_e64 s22, v85
	s_cbranch_execnz .LBB148_127
.LBB148_17:
	s_or_b32 exec_lo, exec_lo, s1
	s_delay_alu instid0(SALU_CYCLE_1)
	s_mov_b32 s1, exec_lo
	v_cmpx_gt_u32_e64 s22, v84
	s_cbranch_execnz .LBB148_128
.LBB148_18:
	s_or_b32 exec_lo, exec_lo, s1
	s_delay_alu instid0(SALU_CYCLE_1)
	s_mov_b32 s1, exec_lo
	v_cmpx_gt_u32_e64 s22, v82
	s_cbranch_execnz .LBB148_129
.LBB148_19:
	s_or_b32 exec_lo, exec_lo, s1
	s_delay_alu instid0(SALU_CYCLE_1)
	s_mov_b32 s1, exec_lo
	v_cmpx_gt_u32_e64 s22, v83
	s_cbranch_execnz .LBB148_130
.LBB148_20:
	s_or_b32 exec_lo, exec_lo, s1
	s_delay_alu instid0(SALU_CYCLE_1)
	s_mov_b32 s1, exec_lo
	v_cmpx_gt_u32_e64 s22, v81
	s_cbranch_execnz .LBB148_131
.LBB148_21:
	s_or_b32 exec_lo, exec_lo, s1
	s_delay_alu instid0(SALU_CYCLE_1)
	s_mov_b32 s1, exec_lo
	v_cmpx_gt_u32_e64 s22, v80
	s_cbranch_execnz .LBB148_132
.LBB148_22:
	s_or_b32 exec_lo, exec_lo, s1
	s_delay_alu instid0(SALU_CYCLE_1)
	s_mov_b32 s1, exec_lo
	v_cmpx_gt_u32_e64 s22, v79
	s_cbranch_execz .LBB148_24
.LBB148_23:
	v_lshlrev_b32_e32 v15, 3, v79
	global_load_b64 v[15:16], v15, s[18:19]
.LBB148_24:
	s_or_b32 exec_lo, exec_lo, s1
	v_lshrrev_b32_e32 v34, 2, v93
	v_lshrrev_b32_e32 v35, 2, v92
	;; [unrolled: 1-line block ×3, first 2 shown]
	v_and_b32_e32 v33, 56, v33
	v_lshrrev_b32_e32 v37, 2, v90
	v_and_b32_e32 v34, 0x78, v34
	v_and_b32_e32 v35, 0xf8, v35
	v_and_b32_e32 v36, 0xf8, v36
	v_lshrrev_b32_e32 v38, 2, v89
	v_add_nc_u32_e32 v33, v33, v94
	v_lshrrev_b32_e32 v39, 2, v88
	v_add_nc_u32_e32 v34, v34, v94
	;; [unrolled: 2-line block ×3, first 2 shown]
	v_add_nc_u32_e32 v36, v36, v94
	v_and_b32_e32 v37, 0x1f8, v37
	v_and_b32_e32 v38, 0x1f8, v38
	s_waitcnt vmcnt(0)
	ds_store_b64 v33, v[31:32]
	ds_store_b64 v34, v[25:26] offset:2048
	ds_store_b64 v35, v[27:28] offset:4096
	;; [unrolled: 1-line block ×3, first 2 shown]
	v_and_b32_e32 v27, 0x1f8, v39
	v_and_b32_e32 v28, 0x1f8, v40
	v_add_nc_u32_e32 v25, v37, v94
	v_add_nc_u32_e32 v26, v38, v94
	v_lshrrev_b32_e32 v29, 2, v86
	v_add_nc_u32_e32 v27, v27, v94
	v_lshrrev_b32_e32 v30, 2, v85
	;; [unrolled: 2-line block ×3, first 2 shown]
	ds_store_b64 v25, v[17:18] offset:8192
	ds_store_b64 v26, v[19:20] offset:10240
	;; [unrolled: 1-line block ×4, first 2 shown]
	v_lshrrev_b32_e32 v20, 2, v82
	v_lshrrev_b32_e32 v21, 2, v83
	v_and_b32_e32 v29, 0x3f8, v29
	v_lshrrev_b32_e32 v22, 2, v81
	v_lshrrev_b32_e32 v23, 2, v80
	;; [unrolled: 1-line block ×3, first 2 shown]
	v_and_b32_e32 v30, 0x3f8, v30
	v_and_b32_e32 v31, 0x3f8, v31
	;; [unrolled: 1-line block ×4, first 2 shown]
	v_add_nc_u32_e32 v17, v29, v94
	v_and_b32_e32 v22, 0x3f8, v22
	v_and_b32_e32 v23, 0x3f8, v23
	;; [unrolled: 1-line block ×3, first 2 shown]
	v_add_nc_u32_e32 v18, v30, v94
	v_add_nc_u32_e32 v19, v31, v94
	;; [unrolled: 1-line block ×7, first 2 shown]
	ds_store_b64 v17, v[1:2] offset:16384
	ds_store_b64 v18, v[3:4] offset:18432
	;; [unrolled: 1-line block ×8, first 2 shown]
	s_waitcnt lgkmcnt(0)
	s_barrier
.LBB148_25:
	v_lshlrev_b32_e32 v1, 4, v0
	v_lshrrev_b32_e32 v96, 1, v0
	buffer_gl0_inv
	v_lshrrev_b32_e32 v95, 5, v0
	v_cmp_gt_u32_e32 vcc_lo, 32, v0
	s_cmp_lg_u32 s24, 0
	v_add_lshl_u32 v5, v96, v1, 3
	ds_load_2addr_b64 v[1:4], v5 offset1:1
	ds_load_2addr_b64 v[29:32], v5 offset0:2 offset1:3
	ds_load_2addr_b64 v[25:28], v5 offset0:4 offset1:5
	;; [unrolled: 1-line block ×7, first 2 shown]
	s_waitcnt lgkmcnt(0)
	s_barrier
	buffer_gl0_inv
	s_cbranch_scc0 .LBB148_77
; %bb.26:
	v_add_co_u32 v33, s1, v3, v1
	s_delay_alu instid0(VALU_DEP_1) | instskip(SKIP_1) | instid1(VALU_DEP_3)
	v_add_co_ci_u32_e64 v34, s1, v4, v2, s1
	v_add_lshl_u32 v35, v95, v0, 3
	v_add_co_u32 v33, s1, v33, v29
	s_delay_alu instid0(VALU_DEP_1) | instskip(NEXT) | instid1(VALU_DEP_2)
	v_add_co_ci_u32_e64 v34, s1, v34, v30, s1
	v_add_co_u32 v33, s1, v33, v31
	s_delay_alu instid0(VALU_DEP_1) | instskip(NEXT) | instid1(VALU_DEP_2)
	v_add_co_ci_u32_e64 v34, s1, v34, v32, s1
	;; [unrolled: 3-line block ×13, first 2 shown]
	v_add_co_u32 v37, s1, v33, v7
	s_delay_alu instid0(VALU_DEP_1)
	v_add_co_ci_u32_e64 v38, s1, v34, v8, s1
	ds_store_b64 v35, v[37:38]
	s_waitcnt lgkmcnt(0)
	s_barrier
	buffer_gl0_inv
	s_and_saveexec_b32 s18, vcc_lo
	s_cbranch_execz .LBB148_36
; %bb.27:
	v_lshlrev_b32_e32 v33, 1, v0
	s_mov_b32 s19, exec_lo
	s_delay_alu instid0(VALU_DEP_1) | instskip(NEXT) | instid1(VALU_DEP_1)
	v_and_b32_e32 v33, 0x1f8, v33
	v_lshl_or_b32 v41, v0, 6, v33
	ds_load_2addr_b64 v[33:36], v41 offset1:1
	ds_load_2addr_b64 v[42:45], v41 offset0:2 offset1:3
	ds_load_2addr_b64 v[46:49], v41 offset0:4 offset1:5
	;; [unrolled: 1-line block ×3, first 2 shown]
	s_waitcnt lgkmcnt(3)
	v_add_co_u32 v35, s1, v35, v33
	s_delay_alu instid0(VALU_DEP_1) | instskip(SKIP_1) | instid1(VALU_DEP_2)
	v_add_co_ci_u32_e64 v36, s1, v36, v34, s1
	s_waitcnt lgkmcnt(2)
	v_add_co_u32 v35, s1, v35, v42
	s_delay_alu instid0(VALU_DEP_1) | instskip(SKIP_1) | instid1(VALU_DEP_3)
	v_add_co_ci_u32_e64 v36, s1, v36, v43, s1
	v_mbcnt_lo_u32_b32 v42, -1, 0
	v_add_co_u32 v35, s1, v35, v44
	s_delay_alu instid0(VALU_DEP_1) | instskip(NEXT) | instid1(VALU_DEP_3)
	v_add_co_ci_u32_e64 v36, s1, v36, v45, s1
	v_and_b32_e32 v43, 15, v42
	s_waitcnt lgkmcnt(1)
	s_delay_alu instid0(VALU_DEP_3) | instskip(NEXT) | instid1(VALU_DEP_1)
	v_add_co_u32 v35, s1, v35, v46
	v_add_co_ci_u32_e64 v36, s1, v36, v47, s1
	s_delay_alu instid0(VALU_DEP_2) | instskip(NEXT) | instid1(VALU_DEP_1)
	v_add_co_u32 v35, s1, v35, v48
	v_add_co_ci_u32_e64 v36, s1, v36, v49, s1
	s_waitcnt lgkmcnt(0)
	s_delay_alu instid0(VALU_DEP_2) | instskip(NEXT) | instid1(VALU_DEP_1)
	v_add_co_u32 v35, s1, v35, v50
	v_add_co_ci_u32_e64 v36, s1, v36, v51, s1
	s_delay_alu instid0(VALU_DEP_2) | instskip(NEXT) | instid1(VALU_DEP_1)
	v_add_co_u32 v35, s1, v35, v52
	v_add_co_ci_u32_e64 v36, s1, v36, v53, s1
	s_delay_alu instid0(VALU_DEP_2) | instskip(NEXT) | instid1(VALU_DEP_2)
	v_mov_b32_dpp v45, v35 row_shr:1 row_mask:0xf bank_mask:0xf
	v_mov_b32_e32 v40, v36
	v_mov_b32_dpp v44, v36 row_shr:1 row_mask:0xf bank_mask:0xf
	v_mov_b32_e32 v39, v35
	v_cmpx_ne_u32_e32 0, v43
; %bb.28:
	v_add_co_u32 v35, s1, v35, v45
	s_delay_alu instid0(VALU_DEP_1) | instskip(NEXT) | instid1(VALU_DEP_2)
	v_add_co_ci_u32_e64 v36, s1, 0, v36, s1
	v_add_co_u32 v39, s1, 0, v35
	s_delay_alu instid0(VALU_DEP_1) | instskip(NEXT) | instid1(VALU_DEP_1)
	v_add_co_ci_u32_e64 v40, s1, v44, v36, s1
	v_mov_b32_e32 v36, v40
; %bb.29:
	s_or_b32 exec_lo, exec_lo, s19
	v_mov_b32_dpp v45, v35 row_shr:2 row_mask:0xf bank_mask:0xf
	s_delay_alu instid0(VALU_DEP_2)
	v_mov_b32_dpp v44, v36 row_shr:2 row_mask:0xf bank_mask:0xf
	s_mov_b32 s19, exec_lo
	v_cmpx_lt_u32_e32 1, v43
; %bb.30:
	s_delay_alu instid0(VALU_DEP_3) | instskip(NEXT) | instid1(VALU_DEP_1)
	v_add_co_u32 v35, s1, v39, v45
	v_add_co_ci_u32_e64 v36, s1, 0, v40, s1
	s_delay_alu instid0(VALU_DEP_2) | instskip(NEXT) | instid1(VALU_DEP_1)
	v_add_co_u32 v39, s1, 0, v35
	v_add_co_ci_u32_e64 v40, s1, v44, v36, s1
	s_delay_alu instid0(VALU_DEP_1)
	v_mov_b32_e32 v36, v40
; %bb.31:
	s_or_b32 exec_lo, exec_lo, s19
	v_mov_b32_dpp v45, v35 row_shr:4 row_mask:0xf bank_mask:0xf
	s_delay_alu instid0(VALU_DEP_2)
	v_mov_b32_dpp v44, v36 row_shr:4 row_mask:0xf bank_mask:0xf
	s_mov_b32 s19, exec_lo
	v_cmpx_lt_u32_e32 3, v43
; %bb.32:
	s_delay_alu instid0(VALU_DEP_3) | instskip(NEXT) | instid1(VALU_DEP_1)
	v_add_co_u32 v35, s1, v39, v45
	v_add_co_ci_u32_e64 v36, s1, 0, v40, s1
	s_delay_alu instid0(VALU_DEP_2) | instskip(NEXT) | instid1(VALU_DEP_1)
	v_add_co_u32 v39, s1, 0, v35
	v_add_co_ci_u32_e64 v40, s1, v44, v36, s1
	s_delay_alu instid0(VALU_DEP_1)
	;; [unrolled: 16-line block ×3, first 2 shown]
	v_mov_b32_e32 v36, v40
; %bb.35:
	s_or_b32 exec_lo, exec_lo, s19
	ds_swizzle_b32 v43, v35 offset:swizzle(BROADCAST,32,15)
	ds_swizzle_b32 v44, v36 offset:swizzle(BROADCAST,32,15)
	v_add_nc_u32_e32 v45, -1, v42
	v_and_b32_e32 v46, 16, v42
	; wave barrier
	s_delay_alu instid0(VALU_DEP_2) | instskip(NEXT) | instid1(VALU_DEP_1)
	v_cmp_gt_i32_e64 s1, 0, v45
	v_cndmask_b32_e64 v42, v45, v42, s1
	s_delay_alu instid0(VALU_DEP_1) | instskip(SKIP_2) | instid1(VALU_DEP_1)
	v_lshlrev_b32_e32 v42, 2, v42
	s_waitcnt lgkmcnt(1)
	v_add_co_u32 v39, s1, v39, v43
	v_add_co_ci_u32_e64 v40, s1, 0, v40, s1
	v_cmp_eq_u32_e64 s1, 0, v46
	s_delay_alu instid0(VALU_DEP_1) | instskip(SKIP_1) | instid1(VALU_DEP_3)
	v_cndmask_b32_e64 v35, v39, v35, s1
	s_waitcnt lgkmcnt(0)
	v_add_nc_u32_e32 v39, v44, v40
	ds_bpermute_b32 v35, v42, v35
	v_cndmask_b32_e64 v36, v39, v36, s1
	ds_bpermute_b32 v36, v42, v36
	s_waitcnt lgkmcnt(1)
	v_add_co_u32 v33, s1, v33, v35
	s_delay_alu instid0(VALU_DEP_1) | instskip(NEXT) | instid1(VALU_DEP_2)
	v_add_co_ci_u32_e64 v34, s1, 0, v34, s1
	v_add_co_u32 v33, s1, v33, 0
	s_waitcnt lgkmcnt(0)
	s_delay_alu instid0(VALU_DEP_2) | instskip(NEXT) | instid1(VALU_DEP_2)
	v_add_co_ci_u32_e64 v34, s1, v34, v36, s1
	v_cndmask_b32_e64 v46, v33, v37, s3
	s_delay_alu instid0(VALU_DEP_2)
	v_cndmask_b32_e64 v47, v34, v38, s3
	ds_store_b64 v41, v[46:47]
	; wave barrier
	ds_load_2addr_b64 v[33:36], v41 offset0:1 offset1:2
	ds_load_2addr_b64 v[37:40], v41 offset0:3 offset1:4
	;; [unrolled: 1-line block ×3, first 2 shown]
	s_waitcnt lgkmcnt(2)
	v_add_co_u32 v33, s1, v33, v46
	s_delay_alu instid0(VALU_DEP_1) | instskip(SKIP_2) | instid1(VALU_DEP_1)
	v_add_co_ci_u32_e64 v34, s1, v34, v47, s1
	ds_load_b64 v[46:47], v41 offset:56
	v_add_co_u32 v35, s1, v35, v33
	v_add_co_ci_u32_e64 v36, s1, v36, v34, s1
	s_waitcnt lgkmcnt(2)
	s_delay_alu instid0(VALU_DEP_2) | instskip(NEXT) | instid1(VALU_DEP_1)
	v_add_co_u32 v37, s1, v37, v35
	v_add_co_ci_u32_e64 v38, s1, v38, v36, s1
	s_delay_alu instid0(VALU_DEP_2) | instskip(NEXT) | instid1(VALU_DEP_1)
	v_add_co_u32 v39, s1, v39, v37
	v_add_co_ci_u32_e64 v40, s1, v40, v38, s1
	s_waitcnt lgkmcnt(1)
	s_delay_alu instid0(VALU_DEP_2) | instskip(NEXT) | instid1(VALU_DEP_1)
	v_add_co_u32 v42, s1, v42, v39
	v_add_co_ci_u32_e64 v43, s1, v43, v40, s1
	s_delay_alu instid0(VALU_DEP_2) | instskip(NEXT) | instid1(VALU_DEP_1)
	v_add_co_u32 v44, s1, v44, v42
	v_add_co_ci_u32_e64 v45, s1, v45, v43, s1
	s_waitcnt lgkmcnt(0)
	s_delay_alu instid0(VALU_DEP_2) | instskip(NEXT) | instid1(VALU_DEP_1)
	v_add_co_u32 v46, s1, v46, v44
	v_add_co_ci_u32_e64 v47, s1, v47, v45, s1
	ds_store_2addr_b64 v41, v[33:34], v[35:36] offset0:1 offset1:2
	ds_store_2addr_b64 v41, v[37:38], v[39:40] offset0:3 offset1:4
	;; [unrolled: 1-line block ×3, first 2 shown]
	ds_store_b64 v41, v[46:47] offset:56
.LBB148_36:
	s_or_b32 exec_lo, exec_lo, s18
	v_mov_b32_e32 v39, 0
	v_mov_b32_e32 v40, 0
	s_waitcnt lgkmcnt(0)
	s_barrier
	buffer_gl0_inv
	s_and_saveexec_b32 s1, s2
	s_cbranch_execz .LBB148_38
; %bb.37:
	v_add_nc_u32_e32 v33, -1, v0
	s_delay_alu instid0(VALU_DEP_1) | instskip(NEXT) | instid1(VALU_DEP_1)
	v_lshrrev_b32_e32 v34, 5, v33
	v_add_lshl_u32 v33, v34, v33, 3
	ds_load_b64 v[39:40], v33
.LBB148_38:
	s_or_b32 exec_lo, exec_lo, s1
	s_and_saveexec_b32 s25, vcc_lo
	s_cbranch_execz .LBB148_76
; %bb.39:
	v_mov_b32_e32 v36, 0
	v_mbcnt_lo_u32_b32 v47, -1, 0
	s_mov_b32 s19, 0
	ds_load_b64 v[33:34], v36 offset:2096
	v_cmp_eq_u32_e64 s1, 0, v47
	s_delay_alu instid0(VALU_DEP_1)
	s_and_saveexec_b32 s26, s1
	s_cbranch_execz .LBB148_41
; %bb.40:
	s_add_i32 s18, s24, 32
	s_delay_alu instid0(SALU_CYCLE_1) | instskip(NEXT) | instid1(SALU_CYCLE_1)
	s_lshl_b64 s[28:29], s[18:19], 4
	s_add_u32 s28, s20, s28
	s_addc_u32 s29, s21, s29
	s_delay_alu instid0(SALU_CYCLE_1)
	v_dual_mov_b32 v35, 1 :: v_dual_mov_b32 v38, s29
	v_mov_b32_e32 v37, s28
	s_waitcnt lgkmcnt(0)
	;;#ASMSTART
	global_store_dwordx4 v[37:38], v[33:36] off	
s_waitcnt vmcnt(0)
	;;#ASMEND
.LBB148_41:
	s_or_b32 exec_lo, exec_lo, s26
	v_xad_u32 v41, v47, -1, s24
	s_mov_b32 s18, exec_lo
	s_delay_alu instid0(VALU_DEP_1) | instskip(NEXT) | instid1(VALU_DEP_1)
	v_add_nc_u32_e32 v35, 32, v41
	v_lshlrev_b64 v[35:36], 4, v[35:36]
	s_delay_alu instid0(VALU_DEP_1) | instskip(NEXT) | instid1(VALU_DEP_2)
	v_add_co_u32 v42, vcc_lo, s20, v35
	v_add_co_ci_u32_e32 v43, vcc_lo, s21, v36, vcc_lo
	;;#ASMSTART
	global_load_dwordx4 v[35:38], v[42:43] off glc	
s_waitcnt vmcnt(0)
	;;#ASMEND
	v_and_b32_e32 v38, 0xff, v36
	v_and_b32_e32 v44, 0xff00, v36
	v_or3_b32 v35, v35, 0, 0
	v_and_b32_e32 v45, 0xff000000, v36
	v_and_b32_e32 v36, 0xff0000, v36
	s_delay_alu instid0(VALU_DEP_4) | instskip(SKIP_2) | instid1(VALU_DEP_3)
	v_or3_b32 v38, 0, v38, v44
	v_and_b32_e32 v44, 0xff, v37
	v_or3_b32 v35, v35, 0, 0
	v_or3_b32 v36, v38, v36, v45
	s_delay_alu instid0(VALU_DEP_3)
	v_cmpx_eq_u16_e32 0, v44
	s_cbranch_execz .LBB148_44
.LBB148_42:                             ; =>This Inner Loop Header: Depth=1
	;;#ASMSTART
	global_load_dwordx4 v[35:38], v[42:43] off glc	
s_waitcnt vmcnt(0)
	;;#ASMEND
	v_and_b32_e32 v38, 0xff, v37
	s_delay_alu instid0(VALU_DEP_1) | instskip(SKIP_1) | instid1(SALU_CYCLE_1)
	v_cmp_ne_u16_e32 vcc_lo, 0, v38
	s_or_b32 s19, vcc_lo, s19
	s_and_not1_b32 exec_lo, exec_lo, s19
	s_cbranch_execnz .LBB148_42
; %bb.43:
	s_or_b32 exec_lo, exec_lo, s19
.LBB148_44:
	s_delay_alu instid0(SALU_CYCLE_1)
	s_or_b32 exec_lo, exec_lo, s18
	v_cmp_ne_u32_e32 vcc_lo, 31, v47
	v_and_b32_e32 v42, 0xff, v37
	v_lshlrev_b32_e64 v49, v47, -1
	s_mov_b32 s18, exec_lo
	v_add_co_ci_u32_e32 v38, vcc_lo, 0, v47, vcc_lo
	s_delay_alu instid0(VALU_DEP_3) | instskip(SKIP_1) | instid1(VALU_DEP_3)
	v_cmp_eq_u16_e32 vcc_lo, 2, v42
	v_mov_b32_e32 v42, v35
	v_lshlrev_b32_e32 v48, 2, v38
	v_and_or_b32 v38, vcc_lo, v49, 0x80000000
	ds_bpermute_b32 v44, v48, v35
	ds_bpermute_b32 v43, v48, v36
	v_ctz_i32_b32_e32 v38, v38
	s_delay_alu instid0(VALU_DEP_1)
	v_cmpx_lt_u32_e64 v47, v38
	s_cbranch_execz .LBB148_46
; %bb.45:
	s_waitcnt lgkmcnt(1)
	v_add_co_u32 v42, vcc_lo, v35, v44
	v_add_co_ci_u32_e32 v36, vcc_lo, 0, v36, vcc_lo
	s_delay_alu instid0(VALU_DEP_2) | instskip(SKIP_1) | instid1(VALU_DEP_2)
	v_add_co_u32 v35, vcc_lo, 0, v42
	s_waitcnt lgkmcnt(0)
	v_add_co_ci_u32_e32 v36, vcc_lo, v43, v36, vcc_lo
.LBB148_46:
	s_or_b32 exec_lo, exec_lo, s18
	v_cmp_gt_u32_e32 vcc_lo, 30, v47
	v_add_nc_u32_e32 v51, 2, v47
	s_mov_b32 s18, exec_lo
	s_waitcnt lgkmcnt(0)
	v_cndmask_b32_e64 v43, 0, 1, vcc_lo
	s_delay_alu instid0(VALU_DEP_1) | instskip(NEXT) | instid1(VALU_DEP_1)
	v_lshlrev_b32_e32 v43, 1, v43
	v_add_lshl_u32 v50, v43, v47, 2
	ds_bpermute_b32 v44, v50, v42
	ds_bpermute_b32 v43, v50, v36
	v_cmpx_le_u32_e64 v51, v38
	s_cbranch_execz .LBB148_48
; %bb.47:
	s_waitcnt lgkmcnt(1)
	v_add_co_u32 v42, vcc_lo, v35, v44
	v_add_co_ci_u32_e32 v36, vcc_lo, 0, v36, vcc_lo
	s_delay_alu instid0(VALU_DEP_2) | instskip(SKIP_1) | instid1(VALU_DEP_2)
	v_add_co_u32 v35, vcc_lo, 0, v42
	s_waitcnt lgkmcnt(0)
	v_add_co_ci_u32_e32 v36, vcc_lo, v43, v36, vcc_lo
.LBB148_48:
	s_or_b32 exec_lo, exec_lo, s18
	v_cmp_gt_u32_e32 vcc_lo, 28, v47
	v_add_nc_u32_e32 v53, 4, v47
	s_mov_b32 s18, exec_lo
	s_waitcnt lgkmcnt(0)
	v_cndmask_b32_e64 v43, 0, 1, vcc_lo
	s_delay_alu instid0(VALU_DEP_1) | instskip(NEXT) | instid1(VALU_DEP_1)
	v_lshlrev_b32_e32 v43, 2, v43
	v_add_lshl_u32 v52, v43, v47, 2
	ds_bpermute_b32 v44, v52, v42
	ds_bpermute_b32 v43, v52, v36
	v_cmpx_le_u32_e64 v53, v38
	;; [unrolled: 22-line block ×4, first 2 shown]
	s_cbranch_execz .LBB148_54
; %bb.53:
	s_waitcnt lgkmcnt(1)
	v_add_co_u32 v35, vcc_lo, v35, v43
	v_add_co_ci_u32_e32 v36, vcc_lo, 0, v36, vcc_lo
	s_delay_alu instid0(VALU_DEP_2) | instskip(SKIP_1) | instid1(VALU_DEP_2)
	v_add_co_u32 v35, vcc_lo, v35, 0
	s_waitcnt lgkmcnt(0)
	v_add_co_ci_u32_e32 v36, vcc_lo, v36, v42, vcc_lo
.LBB148_54:
	s_or_b32 exec_lo, exec_lo, s18
	s_waitcnt lgkmcnt(0)
	v_mov_b32_e32 v42, 0
	s_branch .LBB148_56
.LBB148_55:                             ;   in Loop: Header=BB148_56 Depth=1
	s_or_b32 exec_lo, exec_lo, s18
	v_add_co_u32 v35, vcc_lo, v35, v43
	v_subrev_nc_u32_e32 v41, 32, v41
	v_add_co_ci_u32_e32 v36, vcc_lo, v36, v44, vcc_lo
.LBB148_56:                             ; =>This Loop Header: Depth=1
                                        ;     Child Loop BB148_59 Depth 2
	s_delay_alu instid0(VALU_DEP_1) | instskip(NEXT) | instid1(VALU_DEP_4)
	v_dual_mov_b32 v44, v36 :: v_dual_and_b32 v37, 0xff, v37
	v_mov_b32_e32 v43, v35
	s_delay_alu instid0(VALU_DEP_2) | instskip(SKIP_2) | instid1(VALU_DEP_1)
	v_cmp_ne_u16_e32 vcc_lo, 2, v37
	v_cndmask_b32_e64 v37, 0, 1, vcc_lo
	;;#ASMSTART
	;;#ASMEND
	v_cmp_ne_u32_e32 vcc_lo, 0, v37
	s_cmp_lg_u32 vcc_lo, exec_lo
	s_cbranch_scc1 .LBB148_71
; %bb.57:                               ;   in Loop: Header=BB148_56 Depth=1
	v_lshlrev_b64 v[35:36], 4, v[41:42]
	s_mov_b32 s18, exec_lo
	s_waitcnt lgkmcnt(0)
	s_delay_alu instid0(VALU_DEP_1) | instskip(NEXT) | instid1(VALU_DEP_2)
	v_add_co_u32 v45, vcc_lo, s20, v35
	v_add_co_ci_u32_e32 v46, vcc_lo, s21, v36, vcc_lo
	;;#ASMSTART
	global_load_dwordx4 v[35:38], v[45:46] off glc	
s_waitcnt vmcnt(0)
	;;#ASMEND
	v_and_b32_e32 v38, 0xff, v36
	v_and_b32_e32 v58, 0xff00, v36
	v_or3_b32 v35, v35, 0, 0
	v_and_b32_e32 v59, 0xff000000, v36
	v_and_b32_e32 v36, 0xff0000, v36
	s_delay_alu instid0(VALU_DEP_4) | instskip(SKIP_2) | instid1(VALU_DEP_3)
	v_or3_b32 v38, 0, v38, v58
	v_and_b32_e32 v58, 0xff, v37
	v_or3_b32 v35, v35, 0, 0
	v_or3_b32 v36, v38, v36, v59
	s_delay_alu instid0(VALU_DEP_3)
	v_cmpx_eq_u16_e32 0, v58
	s_cbranch_execz .LBB148_61
; %bb.58:                               ;   in Loop: Header=BB148_56 Depth=1
	s_mov_b32 s19, 0
.LBB148_59:                             ;   Parent Loop BB148_56 Depth=1
                                        ; =>  This Inner Loop Header: Depth=2
	;;#ASMSTART
	global_load_dwordx4 v[35:38], v[45:46] off glc	
s_waitcnt vmcnt(0)
	;;#ASMEND
	v_and_b32_e32 v38, 0xff, v37
	s_delay_alu instid0(VALU_DEP_1) | instskip(SKIP_1) | instid1(SALU_CYCLE_1)
	v_cmp_ne_u16_e32 vcc_lo, 0, v38
	s_or_b32 s19, vcc_lo, s19
	s_and_not1_b32 exec_lo, exec_lo, s19
	s_cbranch_execnz .LBB148_59
; %bb.60:                               ;   in Loop: Header=BB148_56 Depth=1
	s_or_b32 exec_lo, exec_lo, s19
.LBB148_61:                             ;   in Loop: Header=BB148_56 Depth=1
	s_delay_alu instid0(SALU_CYCLE_1)
	s_or_b32 exec_lo, exec_lo, s18
	v_dual_mov_b32 v45, v35 :: v_dual_and_b32 v38, 0xff, v37
	ds_bpermute_b32 v58, v48, v35
	ds_bpermute_b32 v46, v48, v36
	s_mov_b32 s18, exec_lo
	v_cmp_eq_u16_e32 vcc_lo, 2, v38
	v_and_or_b32 v38, vcc_lo, v49, 0x80000000
	s_delay_alu instid0(VALU_DEP_1) | instskip(NEXT) | instid1(VALU_DEP_1)
	v_ctz_i32_b32_e32 v38, v38
	v_cmpx_lt_u32_e64 v47, v38
	s_cbranch_execz .LBB148_63
; %bb.62:                               ;   in Loop: Header=BB148_56 Depth=1
	s_waitcnt lgkmcnt(1)
	v_add_co_u32 v45, vcc_lo, v35, v58
	v_add_co_ci_u32_e32 v36, vcc_lo, 0, v36, vcc_lo
	s_delay_alu instid0(VALU_DEP_2) | instskip(SKIP_1) | instid1(VALU_DEP_2)
	v_add_co_u32 v35, vcc_lo, 0, v45
	s_waitcnt lgkmcnt(0)
	v_add_co_ci_u32_e32 v36, vcc_lo, v46, v36, vcc_lo
.LBB148_63:                             ;   in Loop: Header=BB148_56 Depth=1
	s_or_b32 exec_lo, exec_lo, s18
	s_waitcnt lgkmcnt(1)
	ds_bpermute_b32 v58, v50, v45
	s_waitcnt lgkmcnt(1)
	ds_bpermute_b32 v46, v50, v36
	s_mov_b32 s18, exec_lo
	v_cmpx_le_u32_e64 v51, v38
	s_cbranch_execz .LBB148_65
; %bb.64:                               ;   in Loop: Header=BB148_56 Depth=1
	s_waitcnt lgkmcnt(1)
	v_add_co_u32 v45, vcc_lo, v35, v58
	v_add_co_ci_u32_e32 v36, vcc_lo, 0, v36, vcc_lo
	s_delay_alu instid0(VALU_DEP_2) | instskip(SKIP_1) | instid1(VALU_DEP_2)
	v_add_co_u32 v35, vcc_lo, 0, v45
	s_waitcnt lgkmcnt(0)
	v_add_co_ci_u32_e32 v36, vcc_lo, v46, v36, vcc_lo
.LBB148_65:                             ;   in Loop: Header=BB148_56 Depth=1
	s_or_b32 exec_lo, exec_lo, s18
	s_waitcnt lgkmcnt(1)
	ds_bpermute_b32 v58, v52, v45
	s_waitcnt lgkmcnt(1)
	ds_bpermute_b32 v46, v52, v36
	s_mov_b32 s18, exec_lo
	v_cmpx_le_u32_e64 v53, v38
	;; [unrolled: 17-line block ×3, first 2 shown]
	s_cbranch_execz .LBB148_69
; %bb.68:                               ;   in Loop: Header=BB148_56 Depth=1
	s_waitcnt lgkmcnt(1)
	v_add_co_u32 v45, vcc_lo, v35, v58
	v_add_co_ci_u32_e32 v36, vcc_lo, 0, v36, vcc_lo
	s_delay_alu instid0(VALU_DEP_2) | instskip(SKIP_1) | instid1(VALU_DEP_2)
	v_add_co_u32 v35, vcc_lo, 0, v45
	s_waitcnt lgkmcnt(0)
	v_add_co_ci_u32_e32 v36, vcc_lo, v46, v36, vcc_lo
.LBB148_69:                             ;   in Loop: Header=BB148_56 Depth=1
	s_or_b32 exec_lo, exec_lo, s18
	s_waitcnt lgkmcnt(0)
	ds_bpermute_b32 v46, v56, v45
	ds_bpermute_b32 v45, v56, v36
	s_mov_b32 s18, exec_lo
	v_cmpx_le_u32_e64 v57, v38
	s_cbranch_execz .LBB148_55
; %bb.70:                               ;   in Loop: Header=BB148_56 Depth=1
	s_waitcnt lgkmcnt(1)
	v_add_co_u32 v35, vcc_lo, v35, v46
	v_add_co_ci_u32_e32 v36, vcc_lo, 0, v36, vcc_lo
	s_delay_alu instid0(VALU_DEP_2) | instskip(SKIP_1) | instid1(VALU_DEP_2)
	v_add_co_u32 v35, vcc_lo, v35, 0
	s_waitcnt lgkmcnt(0)
	v_add_co_ci_u32_e32 v36, vcc_lo, v36, v45, vcc_lo
	s_branch .LBB148_55
.LBB148_71:                             ;   in Loop: Header=BB148_56 Depth=1
                                        ; implicit-def: $vgpr35_vgpr36
	s_cbranch_execz .LBB148_56
; %bb.72:
	s_and_saveexec_b32 s18, s1
	s_cbranch_execz .LBB148_74
; %bb.73:
	s_add_i32 s26, s24, 32
	s_mov_b32 s27, 0
	v_add_co_u32 v33, vcc_lo, v43, v33
	s_lshl_b64 s[26:27], s[26:27], 4
	v_add_co_ci_u32_e32 v34, vcc_lo, v44, v34, vcc_lo
	s_add_u32 s26, s20, s26
	s_addc_u32 s27, s21, s27
	v_dual_mov_b32 v35, 2 :: v_dual_mov_b32 v36, 0
	v_dual_mov_b32 v38, s27 :: v_dual_mov_b32 v37, s26
	;;#ASMSTART
	global_store_dwordx4 v[37:38], v[33:36] off	
s_waitcnt vmcnt(0)
	;;#ASMEND
.LBB148_74:
	s_or_b32 exec_lo, exec_lo, s18
	s_delay_alu instid0(SALU_CYCLE_1)
	s_and_b32 exec_lo, exec_lo, s3
	s_cbranch_execz .LBB148_76
; %bb.75:
	v_mov_b32_e32 v33, 0
	ds_store_b64 v33, v[43:44]
.LBB148_76:
	s_or_b32 exec_lo, exec_lo, s25
	v_mov_b32_e32 v33, 0
	s_waitcnt lgkmcnt(0)
	s_barrier
	buffer_gl0_inv
	v_add_co_u32 v35, vcc_lo, v39, v1
	ds_load_b64 v[33:34], v33
	v_add_co_ci_u32_e32 v36, vcc_lo, v40, v2, vcc_lo
	s_waitcnt lgkmcnt(0)
	v_add_co_u32 v59, vcc_lo, v35, v33
	s_delay_alu instid0(VALU_DEP_2) | instskip(NEXT) | instid1(VALU_DEP_2)
	v_add_co_ci_u32_e32 v60, vcc_lo, v36, v34, vcc_lo
	v_add_co_u32 v63, vcc_lo, v59, v3
	s_delay_alu instid0(VALU_DEP_2) | instskip(NEXT) | instid1(VALU_DEP_2)
	v_add_co_ci_u32_e32 v64, vcc_lo, v60, v4, vcc_lo
	;; [unrolled: 3-line block ×15, first 2 shown]
	v_add_co_u32 v77, vcc_lo, v57, v7
	s_delay_alu instid0(VALU_DEP_2)
	v_add_co_ci_u32_e32 v78, vcc_lo, v58, v8, vcc_lo
	s_branch .LBB148_97
.LBB148_77:
                                        ; implicit-def: $vgpr57_vgpr58_vgpr59_vgpr60
                                        ; implicit-def: $vgpr77_vgpr78
                                        ; implicit-def: $vgpr75_vgpr76
                                        ; implicit-def: $vgpr73_vgpr74
                                        ; implicit-def: $vgpr71_vgpr72
                                        ; implicit-def: $vgpr69_vgpr70
                                        ; implicit-def: $vgpr67_vgpr68
                                        ; implicit-def: $vgpr65_vgpr66
                                        ; implicit-def: $vgpr63_vgpr64
                                        ; implicit-def: $vgpr53_vgpr54_vgpr55_vgpr56
                                        ; implicit-def: $vgpr49_vgpr50_vgpr51_vgpr52
                                        ; implicit-def: $vgpr45_vgpr46_vgpr47_vgpr48
                                        ; implicit-def: $vgpr41_vgpr42_vgpr43_vgpr44
                                        ; implicit-def: $vgpr37_vgpr38_vgpr39_vgpr40
                                        ; implicit-def: $vgpr33_vgpr34_vgpr35_vgpr36
                                        ; implicit-def: $vgpr59_vgpr60_vgpr61_vgpr62
	s_cbranch_execz .LBB148_97
; %bb.78:
	s_cmp_lg_u64 s[8:9], 0
	s_cselect_b32 s1, -1, 0
	s_delay_alu instid0(SALU_CYCLE_1) | instskip(NEXT) | instid1(SALU_CYCLE_1)
	s_and_b32 s8, s3, s1
	s_and_saveexec_b32 s1, s8
	s_cbranch_execz .LBB148_80
; %bb.79:
	v_mov_b32_e32 v33, 0
	global_load_b64 v[33:34], v33, s[4:5]
	s_waitcnt vmcnt(0)
	v_add_co_u32 v1, vcc_lo, v33, v1
	v_add_co_ci_u32_e32 v2, vcc_lo, v34, v2, vcc_lo
.LBB148_80:
	s_or_b32 exec_lo, exec_lo, s1
	s_delay_alu instid0(VALU_DEP_2) | instskip(NEXT) | instid1(VALU_DEP_2)
	v_add_co_u32 v63, vcc_lo, v3, v1
	v_add_co_ci_u32_e32 v64, vcc_lo, v4, v2, vcc_lo
	v_add_lshl_u32 v35, v95, v0, 3
	s_delay_alu instid0(VALU_DEP_3) | instskip(NEXT) | instid1(VALU_DEP_3)
	v_add_co_u32 v33, vcc_lo, v63, v29
	v_add_co_ci_u32_e32 v34, vcc_lo, v64, v30, vcc_lo
	s_mov_b32 s1, exec_lo
	s_delay_alu instid0(VALU_DEP_2) | instskip(NEXT) | instid1(VALU_DEP_2)
	v_add_co_u32 v65, vcc_lo, v33, v31
	v_add_co_ci_u32_e32 v66, vcc_lo, v34, v32, vcc_lo
	s_delay_alu instid0(VALU_DEP_2) | instskip(NEXT) | instid1(VALU_DEP_2)
	v_add_co_u32 v37, vcc_lo, v65, v25
	v_add_co_ci_u32_e32 v38, vcc_lo, v66, v26, vcc_lo
	;; [unrolled: 3-line block ×13, first 2 shown]
	ds_store_b64 v35, v[77:78]
	s_waitcnt lgkmcnt(0)
	s_barrier
	buffer_gl0_inv
	v_cmpx_gt_u32_e32 32, v0
	s_cbranch_execz .LBB148_90
; %bb.81:
	v_lshlrev_b32_e32 v35, 1, v0
	v_mbcnt_lo_u32_b32 v44, -1, 0
	s_mov_b32 s4, exec_lo
	s_delay_alu instid0(VALU_DEP_2) | instskip(NEXT) | instid1(VALU_DEP_1)
	v_and_b32_e32 v35, 0x1f8, v35
	v_lshl_or_b32 v43, v0, 6, v35
	ds_load_2addr_b64 v[59:62], v43 offset1:1
	ds_load_2addr_b64 v[97:100], v43 offset0:2 offset1:3
	ds_load_2addr_b64 v[101:104], v43 offset0:4 offset1:5
	;; [unrolled: 1-line block ×3, first 2 shown]
	s_waitcnt lgkmcnt(3)
	v_add_co_u32 v35, vcc_lo, v61, v59
	v_add_co_ci_u32_e32 v36, vcc_lo, v62, v60, vcc_lo
	s_waitcnt lgkmcnt(2)
	s_delay_alu instid0(VALU_DEP_2) | instskip(NEXT) | instid1(VALU_DEP_2)
	v_add_co_u32 v35, vcc_lo, v35, v97
	v_add_co_ci_u32_e32 v36, vcc_lo, v36, v98, vcc_lo
	s_delay_alu instid0(VALU_DEP_2) | instskip(NEXT) | instid1(VALU_DEP_2)
	v_add_co_u32 v35, vcc_lo, v35, v99
	v_add_co_ci_u32_e32 v36, vcc_lo, v36, v100, vcc_lo
	s_waitcnt lgkmcnt(1)
	s_delay_alu instid0(VALU_DEP_2) | instskip(NEXT) | instid1(VALU_DEP_2)
	v_add_co_u32 v35, vcc_lo, v35, v101
	v_add_co_ci_u32_e32 v36, vcc_lo, v36, v102, vcc_lo
	s_delay_alu instid0(VALU_DEP_2) | instskip(NEXT) | instid1(VALU_DEP_2)
	;; [unrolled: 7-line block ×3, first 2 shown]
	v_add_co_u32 v35, vcc_lo, v35, v107
	v_add_co_ci_u32_e32 v36, vcc_lo, v36, v108, vcc_lo
	v_and_b32_e32 v47, 15, v44
	s_delay_alu instid0(VALU_DEP_3) | instskip(NEXT) | instid1(VALU_DEP_3)
	v_mov_b32_dpp v51, v35 row_shr:1 row_mask:0xf bank_mask:0xf
	v_mov_b32_e32 v40, v36
	v_mov_b32_dpp v48, v36 row_shr:1 row_mask:0xf bank_mask:0xf
	v_mov_b32_e32 v39, v35
	v_cmpx_ne_u32_e32 0, v47
; %bb.82:
	v_add_co_u32 v35, vcc_lo, v35, v51
	v_add_co_ci_u32_e32 v36, vcc_lo, 0, v36, vcc_lo
	s_delay_alu instid0(VALU_DEP_2) | instskip(NEXT) | instid1(VALU_DEP_2)
	v_add_co_u32 v39, vcc_lo, 0, v35
	v_add_co_ci_u32_e32 v40, vcc_lo, v48, v36, vcc_lo
	s_delay_alu instid0(VALU_DEP_1)
	v_mov_b32_e32 v36, v40
; %bb.83:
	s_or_b32 exec_lo, exec_lo, s4
	v_mov_b32_dpp v51, v35 row_shr:2 row_mask:0xf bank_mask:0xf
	s_delay_alu instid0(VALU_DEP_2)
	v_mov_b32_dpp v48, v36 row_shr:2 row_mask:0xf bank_mask:0xf
	s_mov_b32 s4, exec_lo
	v_cmpx_lt_u32_e32 1, v47
; %bb.84:
	s_delay_alu instid0(VALU_DEP_3) | instskip(SKIP_1) | instid1(VALU_DEP_2)
	v_add_co_u32 v35, vcc_lo, v39, v51
	v_add_co_ci_u32_e32 v36, vcc_lo, 0, v40, vcc_lo
	v_add_co_u32 v39, vcc_lo, 0, v35
	s_delay_alu instid0(VALU_DEP_2) | instskip(NEXT) | instid1(VALU_DEP_1)
	v_add_co_ci_u32_e32 v40, vcc_lo, v48, v36, vcc_lo
	v_mov_b32_e32 v36, v40
; %bb.85:
	s_or_b32 exec_lo, exec_lo, s4
	v_mov_b32_dpp v51, v35 row_shr:4 row_mask:0xf bank_mask:0xf
	s_delay_alu instid0(VALU_DEP_2)
	v_mov_b32_dpp v48, v36 row_shr:4 row_mask:0xf bank_mask:0xf
	s_mov_b32 s4, exec_lo
	v_cmpx_lt_u32_e32 3, v47
; %bb.86:
	s_delay_alu instid0(VALU_DEP_3) | instskip(SKIP_1) | instid1(VALU_DEP_2)
	v_add_co_u32 v35, vcc_lo, v39, v51
	v_add_co_ci_u32_e32 v36, vcc_lo, 0, v40, vcc_lo
	v_add_co_u32 v39, vcc_lo, 0, v35
	s_delay_alu instid0(VALU_DEP_2) | instskip(NEXT) | instid1(VALU_DEP_1)
	v_add_co_ci_u32_e32 v40, vcc_lo, v48, v36, vcc_lo
	;; [unrolled: 15-line block ×3, first 2 shown]
	v_mov_b32_e32 v36, v40
; %bb.89:
	s_or_b32 exec_lo, exec_lo, s4
	ds_swizzle_b32 v47, v35 offset:swizzle(BROADCAST,32,15)
	ds_swizzle_b32 v48, v36 offset:swizzle(BROADCAST,32,15)
	v_add_nc_u32_e32 v51, -1, v44
	v_and_b32_e32 v52, 16, v44
	; wave barrier
	s_delay_alu instid0(VALU_DEP_2) | instskip(SKIP_1) | instid1(VALU_DEP_1)
	v_cmp_gt_i32_e32 vcc_lo, 0, v51
	v_cndmask_b32_e32 v44, v51, v44, vcc_lo
	v_lshlrev_b32_e32 v44, 2, v44
	s_waitcnt lgkmcnt(1)
	v_add_co_u32 v39, vcc_lo, v39, v47
	v_add_co_ci_u32_e32 v40, vcc_lo, 0, v40, vcc_lo
	v_cmp_eq_u32_e32 vcc_lo, 0, v52
	s_delay_alu instid0(VALU_DEP_3) | instskip(SKIP_1) | instid1(VALU_DEP_3)
	v_cndmask_b32_e32 v35, v39, v35, vcc_lo
	s_waitcnt lgkmcnt(0)
	v_add_nc_u32_e32 v39, v48, v40
	ds_bpermute_b32 v35, v44, v35
	v_cndmask_b32_e32 v36, v39, v36, vcc_lo
	ds_bpermute_b32 v36, v44, v36
	s_waitcnt lgkmcnt(1)
	v_add_co_u32 v35, vcc_lo, v59, v35
	v_add_co_ci_u32_e32 v39, vcc_lo, 0, v60, vcc_lo
	s_delay_alu instid0(VALU_DEP_2) | instskip(SKIP_1) | instid1(VALU_DEP_2)
	v_add_co_u32 v35, vcc_lo, v35, 0
	s_waitcnt lgkmcnt(0)
	v_add_co_ci_u32_e32 v36, vcc_lo, v39, v36, vcc_lo
	s_delay_alu instid0(VALU_DEP_2) | instskip(NEXT) | instid1(VALU_DEP_2)
	v_cndmask_b32_e64 v35, v35, v77, s3
	v_cndmask_b32_e64 v36, v36, v78, s3
	ds_store_b64 v43, v[35:36]
	; wave barrier
	ds_load_2addr_b64 v[59:62], v43 offset0:1 offset1:2
	ds_load_2addr_b64 v[97:100], v43 offset0:3 offset1:4
	;; [unrolled: 1-line block ×3, first 2 shown]
	ds_load_b64 v[47:48], v43 offset:56
	s_waitcnt lgkmcnt(3)
	v_add_co_u32 v35, vcc_lo, v59, v35
	v_add_co_ci_u32_e32 v36, vcc_lo, v60, v36, vcc_lo
	s_delay_alu instid0(VALU_DEP_2) | instskip(NEXT) | instid1(VALU_DEP_2)
	v_add_co_u32 v39, vcc_lo, v61, v35
	v_add_co_ci_u32_e32 v40, vcc_lo, v62, v36, vcc_lo
	s_waitcnt lgkmcnt(2)
	s_delay_alu instid0(VALU_DEP_2) | instskip(NEXT) | instid1(VALU_DEP_2)
	v_add_co_u32 v51, vcc_lo, v97, v39
	v_add_co_ci_u32_e32 v52, vcc_lo, v98, v40, vcc_lo
	s_delay_alu instid0(VALU_DEP_2) | instskip(NEXT) | instid1(VALU_DEP_2)
	v_add_co_u32 v55, vcc_lo, v99, v51
	v_add_co_ci_u32_e32 v56, vcc_lo, v100, v52, vcc_lo
	s_waitcnt lgkmcnt(1)
	s_delay_alu instid0(VALU_DEP_2) | instskip(NEXT) | instid1(VALU_DEP_2)
	;; [unrolled: 7-line block ×3, first 2 shown]
	v_add_co_u32 v47, vcc_lo, v47, v61
	v_add_co_ci_u32_e32 v48, vcc_lo, v48, v62, vcc_lo
	ds_store_2addr_b64 v43, v[35:36], v[39:40] offset0:1 offset1:2
	ds_store_2addr_b64 v43, v[51:52], v[55:56] offset0:3 offset1:4
	;; [unrolled: 1-line block ×3, first 2 shown]
	ds_store_b64 v43, v[47:48] offset:56
.LBB148_90:
	s_or_b32 exec_lo, exec_lo, s1
	v_dual_mov_b32 v35, v77 :: v_dual_mov_b32 v36, v78
	s_waitcnt lgkmcnt(0)
	s_barrier
	buffer_gl0_inv
	s_and_saveexec_b32 s1, s2
	s_cbranch_execz .LBB148_92
; %bb.91:
	v_add_nc_u32_e32 v35, -1, v0
	s_delay_alu instid0(VALU_DEP_1) | instskip(NEXT) | instid1(VALU_DEP_1)
	v_lshrrev_b32_e32 v36, 5, v35
	v_add_lshl_u32 v35, v36, v35, 3
	ds_load_b64 v[35:36], v35
.LBB148_92:
	s_or_b32 exec_lo, exec_lo, s1
	s_and_saveexec_b32 s1, s2
	s_cbranch_execz .LBB148_94
; %bb.93:
	s_waitcnt lgkmcnt(0)
	v_add_co_u32 v1, vcc_lo, v35, v1
	v_add_co_ci_u32_e32 v2, vcc_lo, v36, v2, vcc_lo
	;;#ASMSTART
	;;#ASMEND
	s_delay_alu instid0(VALU_DEP_2) | instskip(NEXT) | instid1(VALU_DEP_2)
	v_add_co_u32 v63, vcc_lo, v1, v3
	v_add_co_ci_u32_e32 v64, vcc_lo, v2, v4, vcc_lo
	s_delay_alu instid0(VALU_DEP_2) | instskip(NEXT) | instid1(VALU_DEP_2)
	v_add_co_u32 v33, vcc_lo, v63, v29
	v_add_co_ci_u32_e32 v34, vcc_lo, v64, v30, vcc_lo
	;; [unrolled: 3-line block ×15, first 2 shown]
.LBB148_94:
	s_or_b32 exec_lo, exec_lo, s1
	s_delay_alu instid0(SALU_CYCLE_1)
	s_mov_b32 s1, exec_lo
	v_cmpx_eq_u32_e32 0xff, v0
	s_cbranch_execz .LBB148_96
; %bb.95:
	s_add_u32 s2, s20, 0x200
	s_addc_u32 s3, s21, 0
	v_dual_mov_b32 v5, 2 :: v_dual_mov_b32 v6, 0
	v_dual_mov_b32 v3, v77 :: v_dual_mov_b32 v4, v78
	;; [unrolled: 1-line block ×3, first 2 shown]
	;;#ASMSTART
	global_store_dwordx4 v[7:8], v[3:6] off	
s_waitcnt vmcnt(0)
	;;#ASMEND
.LBB148_96:
	s_or_b32 exec_lo, exec_lo, s1
	v_dual_mov_b32 v60, v2 :: v_dual_mov_b32 v59, v1
.LBB148_97:
	s_add_u32 s1, s16, s14
	v_lshlrev_b32_e32 v1, 7, v0
	s_addc_u32 s3, s17, s15
	s_add_u32 s2, s1, s12
	s_addc_u32 s3, s3, s13
	s_and_b32 vcc_lo, exec_lo, s0
	s_mov_b32 s0, -1
	s_waitcnt lgkmcnt(0)
	s_barrier
	buffer_gl0_inv
	s_cbranch_vccz .LBB148_99
; %bb.98:
	v_lshl_add_u32 v2, v96, 3, v1
	v_lshrrev_b32_e32 v3, 5, v92
	v_lshrrev_b32_e32 v4, 5, v91
	v_add_lshl_u32 v5, v95, v0, 3
	v_lshrrev_b32_e32 v19, 5, v85
	ds_store_2addr_b64 v2, v[59:60], v[63:64] offset1:1
	ds_store_2addr_b64 v2, v[33:34], v[65:66] offset0:2 offset1:3
	ds_store_2addr_b64 v2, v[37:38], v[67:68] offset0:4 offset1:5
	;; [unrolled: 1-line block ×7, first 2 shown]
	v_lshrrev_b32_e32 v2, 5, v93
	v_add_lshl_u32 v7, v3, v0, 3
	v_add_lshl_u32 v8, v4, v0, 3
	s_waitcnt lgkmcnt(0)
	s_barrier
	v_add_lshl_u32 v6, v2, v0, 3
	buffer_gl0_inv
	v_lshrrev_b32_e32 v20, 5, v84
	ds_load_b64 v[2:3], v5
	ds_load_b64 v[4:5], v6 offset:2048
	ds_load_b64 v[6:7], v7 offset:4096
	;; [unrolled: 1-line block ×3, first 2 shown]
	v_lshrrev_b32_e32 v10, 5, v90
	v_lshrrev_b32_e32 v18, 5, v86
	;; [unrolled: 1-line block ×5, first 2 shown]
	v_add_lshl_u32 v21, v19, v0, 3
	v_lshrrev_b32_e32 v19, 5, v82
	v_add_lshl_u32 v22, v20, v0, 3
	v_lshrrev_b32_e32 v20, 5, v83
	v_lshrrev_b32_e32 v23, 5, v81
	;; [unrolled: 1-line block ×4, first 2 shown]
	v_add_lshl_u32 v10, v10, v0, 3
	v_add_lshl_u32 v18, v18, v0, 3
	v_add_lshl_u32 v14, v11, v0, 3
	v_add_lshl_u32 v15, v12, v0, 3
	v_add_lshl_u32 v16, v13, v0, 3
	v_add_lshl_u32 v26, v19, v0, 3
	v_add_lshl_u32 v27, v20, v0, 3
	v_add_lshl_u32 v28, v23, v0, 3
	v_add_lshl_u32 v30, v24, v0, 3
	v_add_lshl_u32 v32, v25, v0, 3
	ds_load_b64 v[10:11], v10 offset:8192
	ds_load_b64 v[12:13], v14 offset:10240
	;; [unrolled: 1-line block ×12, first 2 shown]
	v_add_co_u32 v32, s1, s2, v94
	s_delay_alu instid0(VALU_DEP_1)
	v_add_co_ci_u32_e64 v61, null, s3, 0, s1
	s_waitcnt lgkmcnt(14)
	global_store_b64 v94, v[4:5], s[2:3] offset:2048
	v_add_co_u32 v4, vcc_lo, 0x1000, v32
	v_add_co_ci_u32_e32 v5, vcc_lo, 0, v61, vcc_lo
	v_add_co_u32 v39, vcc_lo, v32, 0x2000
	v_add_co_ci_u32_e32 v40, vcc_lo, 0, v61, vcc_lo
	v_add_co_u32 v43, vcc_lo, 0x2000, v32
	v_add_co_ci_u32_e32 v44, vcc_lo, 0, v61, vcc_lo
	v_add_co_u32 v47, vcc_lo, 0x3000, v32
	v_add_co_ci_u32_e32 v48, vcc_lo, 0, v61, vcc_lo
	v_add_co_u32 v51, vcc_lo, v32, 0x4000
	v_add_co_ci_u32_e32 v52, vcc_lo, 0, v61, vcc_lo
	v_add_co_u32 v55, vcc_lo, 0x4000, v32
	v_add_co_ci_u32_e32 v56, vcc_lo, 0, v61, vcc_lo
	s_waitcnt lgkmcnt(13)
	global_store_b64 v[39:40], v[6:7], off offset:-4096
	s_waitcnt lgkmcnt(11)
	global_store_b64 v[39:40], v[10:11], off
	s_waitcnt lgkmcnt(9)
	global_store_b64 v[51:52], v[14:15], off offset:-4096
	s_waitcnt lgkmcnt(7)
	s_clause 0x3
	global_store_b64 v[51:52], v[18:19], off
	global_store_b64 v[4:5], v[8:9], off offset:2048
	global_store_b64 v[43:44], v[12:13], off offset:2048
	;; [unrolled: 1-line block ×3, first 2 shown]
	s_waitcnt lgkmcnt(6)
	global_store_b64 v[55:56], v[20:21], off offset:2048
	v_add_co_u32 v4, vcc_lo, v32, 0x6000
	v_add_co_ci_u32_e32 v5, vcc_lo, 0, v61, vcc_lo
	v_add_co_u32 v6, vcc_lo, 0x5000, v32
	v_add_co_ci_u32_e32 v7, vcc_lo, 0, v61, vcc_lo
	;; [unrolled: 2-line block ×4, first 2 shown]
	s_mov_b32 s0, 0
	s_waitcnt lgkmcnt(5)
	s_clause 0x1
	global_store_b64 v[4:5], v[22:23], off offset:-4096
	global_store_b64 v94, v[2:3], s[2:3]
	s_waitcnt lgkmcnt(3)
	s_clause 0x1
	global_store_b64 v[4:5], v[26:27], off
	global_store_b64 v[6:7], v[24:25], off offset:2048
	s_waitcnt lgkmcnt(2)
	global_store_b64 v[8:9], v[28:29], off offset:2048
	s_waitcnt lgkmcnt(1)
	global_store_b64 v[10:11], v[30:31], off
	s_waitcnt lgkmcnt(0)
	global_store_b64 v[10:11], v[35:36], off offset:2048
.LBB148_99:
	s_and_not1_b32 vcc_lo, exec_lo, s0
	s_cbranch_vccnz .LBB148_117
; %bb.100:
	v_lshl_add_u32 v1, v96, 3, v1
	v_lshrrev_b32_e32 v2, 5, v92
	v_lshrrev_b32_e32 v3, 5, v91
	v_add_lshl_u32 v4, v95, v0, 3
	v_lshrrev_b32_e32 v10, 5, v90
	ds_store_2addr_b64 v1, v[59:60], v[63:64] offset1:1
	ds_store_2addr_b64 v1, v[33:34], v[65:66] offset0:2 offset1:3
	ds_store_2addr_b64 v1, v[37:38], v[67:68] offset0:4 offset1:5
	;; [unrolled: 1-line block ×7, first 2 shown]
	v_lshrrev_b32_e32 v1, 5, v93
	v_lshrrev_b32_e32 v11, 5, v89
	v_add_lshl_u32 v6, v2, v0, 3
	v_lshrrev_b32_e32 v12, 5, v88
	v_add_lshl_u32 v8, v3, v0, 3
	v_add_lshl_u32 v1, v1, v0, 3
	v_lshrrev_b32_e32 v13, 5, v87
	s_waitcnt lgkmcnt(0)
	s_waitcnt_vscnt null, 0x0
	s_barrier
	buffer_gl0_inv
	ds_load_b64 v[4:5], v4
	ds_load_b64 v[2:3], v1 offset:2048
	ds_load_b64 v[6:7], v6 offset:4096
	;; [unrolled: 1-line block ×3, first 2 shown]
	v_add_lshl_u32 v1, v10, v0, 3
	v_lshrrev_b32_e32 v18, 5, v86
	v_add_lshl_u32 v14, v11, v0, 3
	v_lshrrev_b32_e32 v19, 5, v85
	v_lshrrev_b32_e32 v20, 5, v84
	v_add_lshl_u32 v15, v12, v0, 3
	v_add_lshl_u32 v16, v13, v0, 3
	ds_load_b64 v[10:11], v1 offset:8192
	ds_load_b64 v[12:13], v14 offset:10240
	;; [unrolled: 1-line block ×4, first 2 shown]
	v_add_lshl_u32 v1, v18, v0, 3
	v_lshrrev_b32_e32 v18, 5, v82
	v_add_lshl_u32 v21, v19, v0, 3
	v_add_lshl_u32 v22, v20, v0, 3
	v_lshrrev_b32_e32 v19, 5, v83
	v_lshrrev_b32_e32 v20, 5, v81
	;; [unrolled: 1-line block ×4, first 2 shown]
	v_add_lshl_u32 v25, v18, v0, 3
	v_add_lshl_u32 v26, v19, v0, 3
	;; [unrolled: 1-line block ×5, first 2 shown]
	ds_load_b64 v[18:19], v1 offset:16384
	ds_load_b64 v[20:21], v21 offset:18432
	;; [unrolled: 1-line block ×8, first 2 shown]
	v_add_co_u32 v34, s0, s2, v94
	v_mov_b32_e32 v1, 0
	v_add_co_ci_u32_e64 v35, null, s3, 0, s0
	s_mov_b32 s0, exec_lo
	v_cmpx_gt_u32_e64 s22, v0
	s_cbranch_execnz .LBB148_133
; %bb.101:
	s_or_b32 exec_lo, exec_lo, s0
	s_delay_alu instid0(SALU_CYCLE_1)
	s_mov_b32 s0, exec_lo
	v_cmpx_gt_u32_e64 s22, v93
	s_cbranch_execnz .LBB148_134
.LBB148_102:
	s_or_b32 exec_lo, exec_lo, s0
	s_delay_alu instid0(SALU_CYCLE_1)
	s_mov_b32 s0, exec_lo
	v_cmpx_gt_u32_e64 s22, v92
	s_cbranch_execnz .LBB148_135
.LBB148_103:
	s_or_b32 exec_lo, exec_lo, s0
	s_delay_alu instid0(SALU_CYCLE_1)
	s_mov_b32 s0, exec_lo
	v_cmpx_gt_u32_e64 s22, v91
	s_cbranch_execnz .LBB148_136
.LBB148_104:
	s_or_b32 exec_lo, exec_lo, s0
	s_delay_alu instid0(SALU_CYCLE_1)
	s_mov_b32 s0, exec_lo
	v_cmpx_gt_u32_e64 s22, v90
	s_cbranch_execnz .LBB148_137
.LBB148_105:
	s_or_b32 exec_lo, exec_lo, s0
	s_delay_alu instid0(SALU_CYCLE_1)
	s_mov_b32 s0, exec_lo
	v_cmpx_gt_u32_e64 s22, v89
	s_cbranch_execnz .LBB148_138
.LBB148_106:
	s_or_b32 exec_lo, exec_lo, s0
	s_delay_alu instid0(SALU_CYCLE_1)
	s_mov_b32 s0, exec_lo
	v_cmpx_gt_u32_e64 s22, v88
	s_cbranch_execnz .LBB148_139
.LBB148_107:
	s_or_b32 exec_lo, exec_lo, s0
	s_delay_alu instid0(SALU_CYCLE_1)
	s_mov_b32 s0, exec_lo
	v_cmpx_gt_u32_e64 s22, v87
	s_cbranch_execnz .LBB148_140
.LBB148_108:
	s_or_b32 exec_lo, exec_lo, s0
	s_delay_alu instid0(SALU_CYCLE_1)
	s_mov_b32 s0, exec_lo
	v_cmpx_gt_u32_e64 s22, v86
	s_cbranch_execnz .LBB148_141
.LBB148_109:
	s_or_b32 exec_lo, exec_lo, s0
	s_delay_alu instid0(SALU_CYCLE_1)
	s_mov_b32 s0, exec_lo
	v_cmpx_gt_u32_e64 s22, v85
	s_cbranch_execnz .LBB148_142
.LBB148_110:
	s_or_b32 exec_lo, exec_lo, s0
	s_delay_alu instid0(SALU_CYCLE_1)
	s_mov_b32 s0, exec_lo
	v_cmpx_gt_u32_e64 s22, v84
	s_cbranch_execnz .LBB148_143
.LBB148_111:
	s_or_b32 exec_lo, exec_lo, s0
	s_delay_alu instid0(SALU_CYCLE_1)
	s_mov_b32 s0, exec_lo
	v_cmpx_gt_u32_e64 s22, v82
	s_cbranch_execnz .LBB148_144
.LBB148_112:
	s_or_b32 exec_lo, exec_lo, s0
	s_delay_alu instid0(SALU_CYCLE_1)
	s_mov_b32 s0, exec_lo
	v_cmpx_gt_u32_e64 s22, v83
	s_cbranch_execnz .LBB148_145
.LBB148_113:
	s_or_b32 exec_lo, exec_lo, s0
	s_delay_alu instid0(SALU_CYCLE_1)
	s_mov_b32 s0, exec_lo
	v_cmpx_gt_u32_e64 s22, v81
	s_cbranch_execnz .LBB148_146
.LBB148_114:
	s_or_b32 exec_lo, exec_lo, s0
	s_delay_alu instid0(SALU_CYCLE_1)
	s_mov_b32 s0, exec_lo
	v_cmpx_gt_u32_e64 s22, v80
	s_cbranch_execnz .LBB148_147
.LBB148_115:
	s_or_b32 exec_lo, exec_lo, s0
	s_delay_alu instid0(SALU_CYCLE_1)
	s_mov_b32 s0, exec_lo
	v_cmpx_gt_u32_e64 s22, v79
	s_cbranch_execnz .LBB148_148
.LBB148_116:
	s_or_b32 exec_lo, exec_lo, s0
	v_cmp_lt_u64_e64 s0, s[10:11], 2
	s_delay_alu instid0(VALU_DEP_1)
	s_and_b32 vcc_lo, exec_lo, s0
	s_cbranch_vccz .LBB148_149
.LBB148_117:
	s_nop 0
	s_sendmsg sendmsg(MSG_DEALLOC_VGPRS)
	s_endpgm
.LBB148_118:
	global_load_b64 v[31:32], v94, s[18:19]
	s_or_b32 exec_lo, exec_lo, s25
	s_delay_alu instid0(SALU_CYCLE_1)
	s_mov_b32 s1, exec_lo
	v_cmpx_gt_u32_e64 s22, v93
	s_cbranch_execz .LBB148_9
.LBB148_119:
	global_load_b64 v[25:26], v94, s[18:19] offset:2048
	s_or_b32 exec_lo, exec_lo, s1
	s_delay_alu instid0(SALU_CYCLE_1)
	s_mov_b32 s1, exec_lo
	v_cmpx_gt_u32_e64 s22, v92
	s_cbranch_execz .LBB148_10
.LBB148_120:
	v_lshlrev_b32_e32 v27, 3, v92
	global_load_b64 v[27:28], v27, s[18:19]
	s_or_b32 exec_lo, exec_lo, s1
	s_delay_alu instid0(SALU_CYCLE_1)
	s_mov_b32 s1, exec_lo
	v_cmpx_gt_u32_e64 s22, v91
	s_cbranch_execz .LBB148_11
.LBB148_121:
	v_lshlrev_b32_e32 v29, 3, v91
	global_load_b64 v[29:30], v29, s[18:19]
	s_or_b32 exec_lo, exec_lo, s1
	s_delay_alu instid0(SALU_CYCLE_1)
	s_mov_b32 s1, exec_lo
	v_cmpx_gt_u32_e64 s22, v90
	s_cbranch_execz .LBB148_12
.LBB148_122:
	v_lshlrev_b32_e32 v17, 3, v90
	global_load_b64 v[17:18], v17, s[18:19]
	s_or_b32 exec_lo, exec_lo, s1
	s_delay_alu instid0(SALU_CYCLE_1)
	s_mov_b32 s1, exec_lo
	v_cmpx_gt_u32_e64 s22, v89
	s_cbranch_execz .LBB148_13
.LBB148_123:
	v_lshlrev_b32_e32 v19, 3, v89
	global_load_b64 v[19:20], v19, s[18:19]
	s_or_b32 exec_lo, exec_lo, s1
	s_delay_alu instid0(SALU_CYCLE_1)
	s_mov_b32 s1, exec_lo
	v_cmpx_gt_u32_e64 s22, v88
	s_cbranch_execz .LBB148_14
.LBB148_124:
	v_lshlrev_b32_e32 v21, 3, v88
	global_load_b64 v[21:22], v21, s[18:19]
	s_or_b32 exec_lo, exec_lo, s1
	s_delay_alu instid0(SALU_CYCLE_1)
	s_mov_b32 s1, exec_lo
	v_cmpx_gt_u32_e64 s22, v87
	s_cbranch_execz .LBB148_15
.LBB148_125:
	v_lshlrev_b32_e32 v23, 3, v87
	global_load_b64 v[23:24], v23, s[18:19]
	s_or_b32 exec_lo, exec_lo, s1
	s_delay_alu instid0(SALU_CYCLE_1)
	s_mov_b32 s1, exec_lo
	v_cmpx_gt_u32_e64 s22, v86
	s_cbranch_execz .LBB148_16
.LBB148_126:
	v_lshlrev_b32_e32 v1, 3, v86
	global_load_b64 v[1:2], v1, s[18:19]
	s_or_b32 exec_lo, exec_lo, s1
	s_delay_alu instid0(SALU_CYCLE_1)
	s_mov_b32 s1, exec_lo
	v_cmpx_gt_u32_e64 s22, v85
	s_cbranch_execz .LBB148_17
.LBB148_127:
	v_lshlrev_b32_e32 v3, 3, v85
	global_load_b64 v[3:4], v3, s[18:19]
	s_or_b32 exec_lo, exec_lo, s1
	s_delay_alu instid0(SALU_CYCLE_1)
	s_mov_b32 s1, exec_lo
	v_cmpx_gt_u32_e64 s22, v84
	s_cbranch_execz .LBB148_18
.LBB148_128:
	v_lshlrev_b32_e32 v5, 3, v84
	global_load_b64 v[5:6], v5, s[18:19]
	s_or_b32 exec_lo, exec_lo, s1
	s_delay_alu instid0(SALU_CYCLE_1)
	s_mov_b32 s1, exec_lo
	v_cmpx_gt_u32_e64 s22, v82
	s_cbranch_execz .LBB148_19
.LBB148_129:
	v_lshlrev_b32_e32 v7, 3, v82
	global_load_b64 v[7:8], v7, s[18:19]
	s_or_b32 exec_lo, exec_lo, s1
	s_delay_alu instid0(SALU_CYCLE_1)
	s_mov_b32 s1, exec_lo
	v_cmpx_gt_u32_e64 s22, v83
	s_cbranch_execz .LBB148_20
.LBB148_130:
	v_lshlrev_b32_e32 v9, 3, v83
	global_load_b64 v[9:10], v9, s[18:19]
	s_or_b32 exec_lo, exec_lo, s1
	s_delay_alu instid0(SALU_CYCLE_1)
	s_mov_b32 s1, exec_lo
	v_cmpx_gt_u32_e64 s22, v81
	s_cbranch_execz .LBB148_21
.LBB148_131:
	v_lshlrev_b32_e32 v11, 3, v81
	global_load_b64 v[11:12], v11, s[18:19]
	s_or_b32 exec_lo, exec_lo, s1
	s_delay_alu instid0(SALU_CYCLE_1)
	s_mov_b32 s1, exec_lo
	v_cmpx_gt_u32_e64 s22, v80
	s_cbranch_execz .LBB148_22
.LBB148_132:
	v_lshlrev_b32_e32 v13, 3, v80
	global_load_b64 v[13:14], v13, s[18:19]
	s_or_b32 exec_lo, exec_lo, s1
	s_delay_alu instid0(SALU_CYCLE_1)
	s_mov_b32 s1, exec_lo
	v_cmpx_gt_u32_e64 s22, v79
	s_cbranch_execnz .LBB148_23
	s_branch .LBB148_24
.LBB148_133:
	s_waitcnt lgkmcnt(15)
	global_store_b64 v[34:35], v[4:5], off
	s_or_b32 exec_lo, exec_lo, s0
	s_delay_alu instid0(SALU_CYCLE_1)
	s_mov_b32 s0, exec_lo
	v_cmpx_gt_u32_e64 s22, v93
	s_cbranch_execz .LBB148_102
.LBB148_134:
	s_waitcnt lgkmcnt(14)
	global_store_b64 v[34:35], v[2:3], off offset:2048
	s_or_b32 exec_lo, exec_lo, s0
	s_delay_alu instid0(SALU_CYCLE_1)
	s_mov_b32 s0, exec_lo
	v_cmpx_gt_u32_e64 s22, v92
	s_cbranch_execz .LBB148_103
.LBB148_135:
	v_add_co_u32 v36, vcc_lo, 0x1000, v34
	v_add_co_ci_u32_e32 v37, vcc_lo, 0, v35, vcc_lo
	s_waitcnt lgkmcnt(13)
	global_store_b64 v[36:37], v[6:7], off
	s_or_b32 exec_lo, exec_lo, s0
	s_delay_alu instid0(SALU_CYCLE_1)
	s_mov_b32 s0, exec_lo
	v_cmpx_gt_u32_e64 s22, v91
	s_cbranch_execz .LBB148_104
.LBB148_136:
	v_add_co_u32 v36, vcc_lo, 0x1000, v34
	v_add_co_ci_u32_e32 v37, vcc_lo, 0, v35, vcc_lo
	s_waitcnt lgkmcnt(12)
	global_store_b64 v[36:37], v[8:9], off offset:2048
	s_or_b32 exec_lo, exec_lo, s0
	s_delay_alu instid0(SALU_CYCLE_1)
	s_mov_b32 s0, exec_lo
	v_cmpx_gt_u32_e64 s22, v90
	s_cbranch_execz .LBB148_105
.LBB148_137:
	v_add_co_u32 v36, vcc_lo, 0x2000, v34
	v_add_co_ci_u32_e32 v37, vcc_lo, 0, v35, vcc_lo
	s_waitcnt lgkmcnt(11)
	global_store_b64 v[36:37], v[10:11], off
	s_or_b32 exec_lo, exec_lo, s0
	s_delay_alu instid0(SALU_CYCLE_1)
	s_mov_b32 s0, exec_lo
	v_cmpx_gt_u32_e64 s22, v89
	s_cbranch_execz .LBB148_106
.LBB148_138:
	v_add_co_u32 v36, vcc_lo, 0x2000, v34
	v_add_co_ci_u32_e32 v37, vcc_lo, 0, v35, vcc_lo
	s_waitcnt lgkmcnt(10)
	global_store_b64 v[36:37], v[12:13], off offset:2048
	s_or_b32 exec_lo, exec_lo, s0
	s_delay_alu instid0(SALU_CYCLE_1)
	s_mov_b32 s0, exec_lo
	v_cmpx_gt_u32_e64 s22, v88
	s_cbranch_execz .LBB148_107
.LBB148_139:
	v_add_co_u32 v36, vcc_lo, 0x3000, v34
	v_add_co_ci_u32_e32 v37, vcc_lo, 0, v35, vcc_lo
	s_waitcnt lgkmcnt(9)
	global_store_b64 v[36:37], v[14:15], off
	s_or_b32 exec_lo, exec_lo, s0
	s_delay_alu instid0(SALU_CYCLE_1)
	s_mov_b32 s0, exec_lo
	v_cmpx_gt_u32_e64 s22, v87
	s_cbranch_execz .LBB148_108
.LBB148_140:
	v_add_co_u32 v36, vcc_lo, 0x3000, v34
	v_add_co_ci_u32_e32 v37, vcc_lo, 0, v35, vcc_lo
	s_waitcnt lgkmcnt(8)
	global_store_b64 v[36:37], v[16:17], off offset:2048
	s_or_b32 exec_lo, exec_lo, s0
	s_delay_alu instid0(SALU_CYCLE_1)
	s_mov_b32 s0, exec_lo
	v_cmpx_gt_u32_e64 s22, v86
	s_cbranch_execz .LBB148_109
.LBB148_141:
	v_add_co_u32 v36, vcc_lo, 0x4000, v34
	v_add_co_ci_u32_e32 v37, vcc_lo, 0, v35, vcc_lo
	s_waitcnt lgkmcnt(7)
	global_store_b64 v[36:37], v[18:19], off
	s_or_b32 exec_lo, exec_lo, s0
	s_delay_alu instid0(SALU_CYCLE_1)
	s_mov_b32 s0, exec_lo
	v_cmpx_gt_u32_e64 s22, v85
	s_cbranch_execz .LBB148_110
.LBB148_142:
	v_add_co_u32 v36, vcc_lo, 0x4000, v34
	v_add_co_ci_u32_e32 v37, vcc_lo, 0, v35, vcc_lo
	s_waitcnt lgkmcnt(6)
	global_store_b64 v[36:37], v[20:21], off offset:2048
	s_or_b32 exec_lo, exec_lo, s0
	s_delay_alu instid0(SALU_CYCLE_1)
	s_mov_b32 s0, exec_lo
	v_cmpx_gt_u32_e64 s22, v84
	s_cbranch_execz .LBB148_111
.LBB148_143:
	v_add_co_u32 v36, vcc_lo, 0x5000, v34
	v_add_co_ci_u32_e32 v37, vcc_lo, 0, v35, vcc_lo
	s_waitcnt lgkmcnt(5)
	global_store_b64 v[36:37], v[22:23], off
	s_or_b32 exec_lo, exec_lo, s0
	s_delay_alu instid0(SALU_CYCLE_1)
	s_mov_b32 s0, exec_lo
	v_cmpx_gt_u32_e64 s22, v82
	s_cbranch_execz .LBB148_112
.LBB148_144:
	v_add_co_u32 v36, vcc_lo, 0x5000, v34
	v_add_co_ci_u32_e32 v37, vcc_lo, 0, v35, vcc_lo
	s_waitcnt lgkmcnt(4)
	global_store_b64 v[36:37], v[24:25], off offset:2048
	s_or_b32 exec_lo, exec_lo, s0
	s_delay_alu instid0(SALU_CYCLE_1)
	s_mov_b32 s0, exec_lo
	v_cmpx_gt_u32_e64 s22, v83
	s_cbranch_execz .LBB148_113
.LBB148_145:
	v_add_co_u32 v36, vcc_lo, 0x6000, v34
	v_add_co_ci_u32_e32 v37, vcc_lo, 0, v35, vcc_lo
	s_waitcnt lgkmcnt(3)
	global_store_b64 v[36:37], v[26:27], off
	s_or_b32 exec_lo, exec_lo, s0
	s_delay_alu instid0(SALU_CYCLE_1)
	s_mov_b32 s0, exec_lo
	v_cmpx_gt_u32_e64 s22, v81
	s_cbranch_execz .LBB148_114
.LBB148_146:
	v_add_co_u32 v36, vcc_lo, 0x6000, v34
	v_add_co_ci_u32_e32 v37, vcc_lo, 0, v35, vcc_lo
	s_waitcnt lgkmcnt(2)
	global_store_b64 v[36:37], v[28:29], off offset:2048
	s_or_b32 exec_lo, exec_lo, s0
	s_delay_alu instid0(SALU_CYCLE_1)
	s_mov_b32 s0, exec_lo
	v_cmpx_gt_u32_e64 s22, v80
	s_cbranch_execz .LBB148_115
.LBB148_147:
	v_add_co_u32 v36, vcc_lo, 0x7000, v34
	v_add_co_ci_u32_e32 v37, vcc_lo, 0, v35, vcc_lo
	s_waitcnt lgkmcnt(1)
	global_store_b64 v[36:37], v[30:31], off
	s_or_b32 exec_lo, exec_lo, s0
	s_delay_alu instid0(SALU_CYCLE_1)
	s_mov_b32 s0, exec_lo
	v_cmpx_gt_u32_e64 s22, v79
	s_cbranch_execz .LBB148_116
.LBB148_148:
	v_add_co_u32 v34, vcc_lo, 0x7000, v34
	v_add_co_ci_u32_e32 v35, vcc_lo, 0, v35, vcc_lo
	s_waitcnt lgkmcnt(0)
	global_store_b64 v[34:35], v[32:33], off offset:2048
	s_or_b32 exec_lo, exec_lo, s0
	v_cmp_lt_u64_e64 s0, s[10:11], 2
	s_delay_alu instid0(VALU_DEP_1)
	s_and_b32 vcc_lo, exec_lo, s0
	s_cbranch_vccnz .LBB148_117
.LBB148_149:
	s_add_u32 s0, s22, -1
	s_addc_u32 s1, s23, -1
	s_delay_alu instid0(SALU_CYCLE_1)
	s_lshr_b64 s[2:3], s[0:1], 4
	s_mov_b32 s1, exec_lo
	v_cmpx_eq_u64_e64 s[2:3], v[0:1]
	s_cbranch_execz .LBB148_117
; %bb.150:
	s_and_b32 s0, s0, 15
	s_mov_b32 s1, 0
	s_delay_alu instid0(SALU_CYCLE_1) | instskip(NEXT) | instid1(VALU_DEP_1)
	v_cmp_lt_i64_e64 s2, s[0:1], 8
	s_and_b32 vcc_lo, exec_lo, s2
	s_mov_b32 s2, -1
	s_cbranch_vccnz .LBB148_177
; %bb.151:
	v_cmp_lt_i64_e64 s2, s[0:1], 12
	s_delay_alu instid0(VALU_DEP_1)
	s_and_b32 vcc_lo, exec_lo, s2
	s_mov_b32 s2, -1
	s_cbranch_vccnz .LBB148_164
; %bb.152:
	v_cmp_lt_i64_e64 s2, s[0:1], 14
	s_delay_alu instid0(VALU_DEP_1)
	s_and_b32 vcc_lo, exec_lo, s2
	s_mov_b32 s2, -1
	s_cbranch_vccnz .LBB148_158
; %bb.153:
	v_cmp_gt_i64_e64 s2, s[0:1], 14
	s_delay_alu instid0(VALU_DEP_1)
	s_and_b32 vcc_lo, exec_lo, s2
	s_mov_b32 s2, -1
	s_cbranch_vccz .LBB148_155
; %bb.154:
	v_mov_b32_e32 v0, 0
	s_mov_b32 s2, 0
	s_waitcnt lgkmcnt(0)
	global_store_b64 v0, v[32:33], s[6:7]
.LBB148_155:
	s_and_not1_b32 vcc_lo, exec_lo, s2
	s_cbranch_vccnz .LBB148_157
; %bb.156:
	v_mov_b32_e32 v0, 0
	s_waitcnt lgkmcnt(1)
	global_store_b64 v0, v[30:31], s[6:7]
.LBB148_157:
	s_mov_b32 s2, 0
.LBB148_158:
	s_delay_alu instid0(SALU_CYCLE_1)
	s_and_not1_b32 vcc_lo, exec_lo, s2
	s_cbranch_vccnz .LBB148_163
; %bb.159:
	v_cmp_gt_i64_e64 s2, s[0:1], 12
	s_delay_alu instid0(VALU_DEP_1)
	s_and_b32 vcc_lo, exec_lo, s2
	s_mov_b32 s2, -1
	s_cbranch_vccz .LBB148_161
; %bb.160:
	v_mov_b32_e32 v0, 0
	s_mov_b32 s2, 0
	s_waitcnt lgkmcnt(2)
	global_store_b64 v0, v[28:29], s[6:7]
.LBB148_161:
	s_and_not1_b32 vcc_lo, exec_lo, s2
	s_cbranch_vccnz .LBB148_163
; %bb.162:
	v_mov_b32_e32 v0, 0
	s_waitcnt lgkmcnt(3)
	global_store_b64 v0, v[26:27], s[6:7]
.LBB148_163:
	s_mov_b32 s2, 0
.LBB148_164:
	s_delay_alu instid0(SALU_CYCLE_1)
	s_and_not1_b32 vcc_lo, exec_lo, s2
	s_cbranch_vccnz .LBB148_176
; %bb.165:
	v_cmp_lt_i64_e64 s2, s[0:1], 10
	s_delay_alu instid0(VALU_DEP_1)
	s_and_b32 vcc_lo, exec_lo, s2
	s_mov_b32 s2, -1
	s_cbranch_vccnz .LBB148_171
; %bb.166:
	v_cmp_gt_i64_e64 s2, s[0:1], 10
	s_delay_alu instid0(VALU_DEP_1)
	s_and_b32 vcc_lo, exec_lo, s2
	s_mov_b32 s2, -1
	s_cbranch_vccz .LBB148_168
; %bb.167:
	v_mov_b32_e32 v0, 0
	s_mov_b32 s2, 0
	s_waitcnt lgkmcnt(4)
	global_store_b64 v0, v[24:25], s[6:7]
.LBB148_168:
	s_and_not1_b32 vcc_lo, exec_lo, s2
	s_cbranch_vccnz .LBB148_170
; %bb.169:
	v_mov_b32_e32 v0, 0
	s_waitcnt lgkmcnt(5)
	global_store_b64 v0, v[22:23], s[6:7]
.LBB148_170:
	s_mov_b32 s2, 0
.LBB148_171:
	s_delay_alu instid0(SALU_CYCLE_1)
	s_and_not1_b32 vcc_lo, exec_lo, s2
	s_cbranch_vccnz .LBB148_176
; %bb.172:
	v_cmp_gt_i64_e64 s2, s[0:1], 8
	s_delay_alu instid0(VALU_DEP_1)
	s_and_b32 vcc_lo, exec_lo, s2
	s_mov_b32 s2, -1
	s_cbranch_vccz .LBB148_174
; %bb.173:
	v_mov_b32_e32 v0, 0
	s_mov_b32 s2, 0
	s_waitcnt lgkmcnt(6)
	global_store_b64 v0, v[20:21], s[6:7]
.LBB148_174:
	s_and_not1_b32 vcc_lo, exec_lo, s2
	s_cbranch_vccnz .LBB148_176
; %bb.175:
	v_mov_b32_e32 v0, 0
	s_waitcnt lgkmcnt(7)
	global_store_b64 v0, v[18:19], s[6:7]
.LBB148_176:
	s_mov_b32 s2, 0
.LBB148_177:
	s_delay_alu instid0(SALU_CYCLE_1)
	s_and_not1_b32 vcc_lo, exec_lo, s2
	s_cbranch_vccnz .LBB148_117
; %bb.178:
	v_cmp_lt_i64_e64 s2, s[0:1], 4
	s_delay_alu instid0(VALU_DEP_1)
	s_and_b32 vcc_lo, exec_lo, s2
	s_mov_b32 s2, -1
	s_cbranch_vccnz .LBB148_191
; %bb.179:
	v_cmp_lt_i64_e64 s2, s[0:1], 6
	s_delay_alu instid0(VALU_DEP_1)
	s_and_b32 vcc_lo, exec_lo, s2
	s_mov_b32 s2, -1
	s_cbranch_vccnz .LBB148_185
; %bb.180:
	v_cmp_gt_i64_e64 s2, s[0:1], 6
	s_delay_alu instid0(VALU_DEP_1)
	s_and_b32 vcc_lo, exec_lo, s2
	s_mov_b32 s2, -1
	s_cbranch_vccz .LBB148_182
; %bb.181:
	v_mov_b32_e32 v0, 0
	s_mov_b32 s2, 0
	s_waitcnt lgkmcnt(8)
	global_store_b64 v0, v[16:17], s[6:7]
.LBB148_182:
	s_and_not1_b32 vcc_lo, exec_lo, s2
	s_cbranch_vccnz .LBB148_184
; %bb.183:
	v_mov_b32_e32 v0, 0
	s_waitcnt lgkmcnt(9)
	global_store_b64 v0, v[14:15], s[6:7]
.LBB148_184:
	s_mov_b32 s2, 0
.LBB148_185:
	s_delay_alu instid0(SALU_CYCLE_1)
	s_and_not1_b32 vcc_lo, exec_lo, s2
	s_cbranch_vccnz .LBB148_190
; %bb.186:
	v_cmp_gt_i64_e64 s2, s[0:1], 4
	s_delay_alu instid0(VALU_DEP_1)
	s_and_b32 vcc_lo, exec_lo, s2
	s_mov_b32 s2, -1
	s_cbranch_vccz .LBB148_188
; %bb.187:
	v_mov_b32_e32 v0, 0
	s_mov_b32 s2, 0
	s_waitcnt lgkmcnt(10)
	global_store_b64 v0, v[12:13], s[6:7]
.LBB148_188:
	s_and_not1_b32 vcc_lo, exec_lo, s2
	s_cbranch_vccnz .LBB148_190
; %bb.189:
	v_mov_b32_e32 v0, 0
	s_waitcnt lgkmcnt(11)
	global_store_b64 v0, v[10:11], s[6:7]
.LBB148_190:
	s_mov_b32 s2, 0
.LBB148_191:
	s_delay_alu instid0(SALU_CYCLE_1)
	s_and_not1_b32 vcc_lo, exec_lo, s2
	s_cbranch_vccnz .LBB148_117
; %bb.192:
	v_cmp_lt_i64_e64 s2, s[0:1], 2
	s_delay_alu instid0(VALU_DEP_1)
	s_and_b32 vcc_lo, exec_lo, s2
	s_mov_b32 s2, -1
	s_cbranch_vccnz .LBB148_198
; %bb.193:
	v_cmp_gt_i64_e64 s2, s[0:1], 2
	s_delay_alu instid0(VALU_DEP_1)
	s_and_b32 vcc_lo, exec_lo, s2
	s_mov_b32 s2, -1
	s_cbranch_vccz .LBB148_195
; %bb.194:
	v_mov_b32_e32 v0, 0
	s_mov_b32 s2, 0
	s_waitcnt lgkmcnt(12)
	global_store_b64 v0, v[8:9], s[6:7]
.LBB148_195:
	s_and_not1_b32 vcc_lo, exec_lo, s2
	s_cbranch_vccnz .LBB148_197
; %bb.196:
	v_mov_b32_e32 v0, 0
	s_waitcnt lgkmcnt(13)
	global_store_b64 v0, v[6:7], s[6:7]
.LBB148_197:
	s_mov_b32 s2, 0
.LBB148_198:
	s_delay_alu instid0(SALU_CYCLE_1)
	s_and_not1_b32 vcc_lo, exec_lo, s2
	s_cbranch_vccnz .LBB148_117
; %bb.199:
	s_cmp_eq_u64 s[0:1], 1
	s_mov_b32 s0, -1
	s_cbranch_scc1 .LBB148_201
; %bb.200:
	v_mov_b32_e32 v0, 0
	s_mov_b32 s0, 0
	s_waitcnt lgkmcnt(15)
	global_store_b64 v0, v[4:5], s[6:7]
.LBB148_201:
	s_and_not1_b32 vcc_lo, exec_lo, s0
	s_cbranch_vccnz .LBB148_117
; %bb.202:
	v_mov_b32_e32 v0, 0
	s_waitcnt lgkmcnt(14)
	global_store_b64 v0, v[2:3], s[6:7]
	s_nop 0
	s_sendmsg sendmsg(MSG_DEALLOC_VGPRS)
	s_endpgm
	.section	.rodata,"a",@progbits
	.p2align	6, 0x0
	.amdhsa_kernel _ZN7rocprim17ROCPRIM_400000_NS6detail17trampoline_kernelINS0_14default_configENS1_20scan_config_selectorIlEEZZNS1_9scan_implILNS1_25lookback_scan_determinismE0ELb0ELb0ES3_PlS8_lN6thrust23THRUST_200600_302600_NS4plusIvEElEEDaPvRmT3_T4_T5_mT6_P12ihipStream_tbENKUlT_T0_E_clISt17integral_constantIbLb0EESP_IbLb1EEEEDaSL_SM_EUlSL_E_NS1_11comp_targetILNS1_3genE9ELNS1_11target_archE1100ELNS1_3gpuE3ELNS1_3repE0EEENS1_30default_config_static_selectorELNS0_4arch9wavefront6targetE0EEEvT1_
		.amdhsa_group_segment_fixed_size 33792
		.amdhsa_private_segment_fixed_size 0
		.amdhsa_kernarg_size 104
		.amdhsa_user_sgpr_count 15
		.amdhsa_user_sgpr_dispatch_ptr 0
		.amdhsa_user_sgpr_queue_ptr 0
		.amdhsa_user_sgpr_kernarg_segment_ptr 1
		.amdhsa_user_sgpr_dispatch_id 0
		.amdhsa_user_sgpr_private_segment_size 0
		.amdhsa_wavefront_size32 1
		.amdhsa_uses_dynamic_stack 0
		.amdhsa_enable_private_segment 0
		.amdhsa_system_sgpr_workgroup_id_x 1
		.amdhsa_system_sgpr_workgroup_id_y 0
		.amdhsa_system_sgpr_workgroup_id_z 0
		.amdhsa_system_sgpr_workgroup_info 0
		.amdhsa_system_vgpr_workitem_id 0
		.amdhsa_next_free_vgpr 109
		.amdhsa_next_free_sgpr 30
		.amdhsa_reserve_vcc 1
		.amdhsa_float_round_mode_32 0
		.amdhsa_float_round_mode_16_64 0
		.amdhsa_float_denorm_mode_32 3
		.amdhsa_float_denorm_mode_16_64 3
		.amdhsa_dx10_clamp 1
		.amdhsa_ieee_mode 1
		.amdhsa_fp16_overflow 0
		.amdhsa_workgroup_processor_mode 1
		.amdhsa_memory_ordered 1
		.amdhsa_forward_progress 0
		.amdhsa_shared_vgpr_count 0
		.amdhsa_exception_fp_ieee_invalid_op 0
		.amdhsa_exception_fp_denorm_src 0
		.amdhsa_exception_fp_ieee_div_zero 0
		.amdhsa_exception_fp_ieee_overflow 0
		.amdhsa_exception_fp_ieee_underflow 0
		.amdhsa_exception_fp_ieee_inexact 0
		.amdhsa_exception_int_div_zero 0
	.end_amdhsa_kernel
	.section	.text._ZN7rocprim17ROCPRIM_400000_NS6detail17trampoline_kernelINS0_14default_configENS1_20scan_config_selectorIlEEZZNS1_9scan_implILNS1_25lookback_scan_determinismE0ELb0ELb0ES3_PlS8_lN6thrust23THRUST_200600_302600_NS4plusIvEElEEDaPvRmT3_T4_T5_mT6_P12ihipStream_tbENKUlT_T0_E_clISt17integral_constantIbLb0EESP_IbLb1EEEEDaSL_SM_EUlSL_E_NS1_11comp_targetILNS1_3genE9ELNS1_11target_archE1100ELNS1_3gpuE3ELNS1_3repE0EEENS1_30default_config_static_selectorELNS0_4arch9wavefront6targetE0EEEvT1_,"axG",@progbits,_ZN7rocprim17ROCPRIM_400000_NS6detail17trampoline_kernelINS0_14default_configENS1_20scan_config_selectorIlEEZZNS1_9scan_implILNS1_25lookback_scan_determinismE0ELb0ELb0ES3_PlS8_lN6thrust23THRUST_200600_302600_NS4plusIvEElEEDaPvRmT3_T4_T5_mT6_P12ihipStream_tbENKUlT_T0_E_clISt17integral_constantIbLb0EESP_IbLb1EEEEDaSL_SM_EUlSL_E_NS1_11comp_targetILNS1_3genE9ELNS1_11target_archE1100ELNS1_3gpuE3ELNS1_3repE0EEENS1_30default_config_static_selectorELNS0_4arch9wavefront6targetE0EEEvT1_,comdat
.Lfunc_end148:
	.size	_ZN7rocprim17ROCPRIM_400000_NS6detail17trampoline_kernelINS0_14default_configENS1_20scan_config_selectorIlEEZZNS1_9scan_implILNS1_25lookback_scan_determinismE0ELb0ELb0ES3_PlS8_lN6thrust23THRUST_200600_302600_NS4plusIvEElEEDaPvRmT3_T4_T5_mT6_P12ihipStream_tbENKUlT_T0_E_clISt17integral_constantIbLb0EESP_IbLb1EEEEDaSL_SM_EUlSL_E_NS1_11comp_targetILNS1_3genE9ELNS1_11target_archE1100ELNS1_3gpuE3ELNS1_3repE0EEENS1_30default_config_static_selectorELNS0_4arch9wavefront6targetE0EEEvT1_, .Lfunc_end148-_ZN7rocprim17ROCPRIM_400000_NS6detail17trampoline_kernelINS0_14default_configENS1_20scan_config_selectorIlEEZZNS1_9scan_implILNS1_25lookback_scan_determinismE0ELb0ELb0ES3_PlS8_lN6thrust23THRUST_200600_302600_NS4plusIvEElEEDaPvRmT3_T4_T5_mT6_P12ihipStream_tbENKUlT_T0_E_clISt17integral_constantIbLb0EESP_IbLb1EEEEDaSL_SM_EUlSL_E_NS1_11comp_targetILNS1_3genE9ELNS1_11target_archE1100ELNS1_3gpuE3ELNS1_3repE0EEENS1_30default_config_static_selectorELNS0_4arch9wavefront6targetE0EEEvT1_
                                        ; -- End function
	.section	.AMDGPU.csdata,"",@progbits
; Kernel info:
; codeLenInByte = 11196
; NumSgprs: 32
; NumVgprs: 109
; ScratchSize: 0
; MemoryBound: 0
; FloatMode: 240
; IeeeMode: 1
; LDSByteSize: 33792 bytes/workgroup (compile time only)
; SGPRBlocks: 3
; VGPRBlocks: 13
; NumSGPRsForWavesPerEU: 32
; NumVGPRsForWavesPerEU: 109
; Occupancy: 6
; WaveLimiterHint : 1
; COMPUTE_PGM_RSRC2:SCRATCH_EN: 0
; COMPUTE_PGM_RSRC2:USER_SGPR: 15
; COMPUTE_PGM_RSRC2:TRAP_HANDLER: 0
; COMPUTE_PGM_RSRC2:TGID_X_EN: 1
; COMPUTE_PGM_RSRC2:TGID_Y_EN: 0
; COMPUTE_PGM_RSRC2:TGID_Z_EN: 0
; COMPUTE_PGM_RSRC2:TIDIG_COMP_CNT: 0
	.section	.text._ZN7rocprim17ROCPRIM_400000_NS6detail17trampoline_kernelINS0_14default_configENS1_20scan_config_selectorIlEEZZNS1_9scan_implILNS1_25lookback_scan_determinismE0ELb0ELb0ES3_PlS8_lN6thrust23THRUST_200600_302600_NS4plusIvEElEEDaPvRmT3_T4_T5_mT6_P12ihipStream_tbENKUlT_T0_E_clISt17integral_constantIbLb0EESP_IbLb1EEEEDaSL_SM_EUlSL_E_NS1_11comp_targetILNS1_3genE8ELNS1_11target_archE1030ELNS1_3gpuE2ELNS1_3repE0EEENS1_30default_config_static_selectorELNS0_4arch9wavefront6targetE0EEEvT1_,"axG",@progbits,_ZN7rocprim17ROCPRIM_400000_NS6detail17trampoline_kernelINS0_14default_configENS1_20scan_config_selectorIlEEZZNS1_9scan_implILNS1_25lookback_scan_determinismE0ELb0ELb0ES3_PlS8_lN6thrust23THRUST_200600_302600_NS4plusIvEElEEDaPvRmT3_T4_T5_mT6_P12ihipStream_tbENKUlT_T0_E_clISt17integral_constantIbLb0EESP_IbLb1EEEEDaSL_SM_EUlSL_E_NS1_11comp_targetILNS1_3genE8ELNS1_11target_archE1030ELNS1_3gpuE2ELNS1_3repE0EEENS1_30default_config_static_selectorELNS0_4arch9wavefront6targetE0EEEvT1_,comdat
	.protected	_ZN7rocprim17ROCPRIM_400000_NS6detail17trampoline_kernelINS0_14default_configENS1_20scan_config_selectorIlEEZZNS1_9scan_implILNS1_25lookback_scan_determinismE0ELb0ELb0ES3_PlS8_lN6thrust23THRUST_200600_302600_NS4plusIvEElEEDaPvRmT3_T4_T5_mT6_P12ihipStream_tbENKUlT_T0_E_clISt17integral_constantIbLb0EESP_IbLb1EEEEDaSL_SM_EUlSL_E_NS1_11comp_targetILNS1_3genE8ELNS1_11target_archE1030ELNS1_3gpuE2ELNS1_3repE0EEENS1_30default_config_static_selectorELNS0_4arch9wavefront6targetE0EEEvT1_ ; -- Begin function _ZN7rocprim17ROCPRIM_400000_NS6detail17trampoline_kernelINS0_14default_configENS1_20scan_config_selectorIlEEZZNS1_9scan_implILNS1_25lookback_scan_determinismE0ELb0ELb0ES3_PlS8_lN6thrust23THRUST_200600_302600_NS4plusIvEElEEDaPvRmT3_T4_T5_mT6_P12ihipStream_tbENKUlT_T0_E_clISt17integral_constantIbLb0EESP_IbLb1EEEEDaSL_SM_EUlSL_E_NS1_11comp_targetILNS1_3genE8ELNS1_11target_archE1030ELNS1_3gpuE2ELNS1_3repE0EEENS1_30default_config_static_selectorELNS0_4arch9wavefront6targetE0EEEvT1_
	.globl	_ZN7rocprim17ROCPRIM_400000_NS6detail17trampoline_kernelINS0_14default_configENS1_20scan_config_selectorIlEEZZNS1_9scan_implILNS1_25lookback_scan_determinismE0ELb0ELb0ES3_PlS8_lN6thrust23THRUST_200600_302600_NS4plusIvEElEEDaPvRmT3_T4_T5_mT6_P12ihipStream_tbENKUlT_T0_E_clISt17integral_constantIbLb0EESP_IbLb1EEEEDaSL_SM_EUlSL_E_NS1_11comp_targetILNS1_3genE8ELNS1_11target_archE1030ELNS1_3gpuE2ELNS1_3repE0EEENS1_30default_config_static_selectorELNS0_4arch9wavefront6targetE0EEEvT1_
	.p2align	8
	.type	_ZN7rocprim17ROCPRIM_400000_NS6detail17trampoline_kernelINS0_14default_configENS1_20scan_config_selectorIlEEZZNS1_9scan_implILNS1_25lookback_scan_determinismE0ELb0ELb0ES3_PlS8_lN6thrust23THRUST_200600_302600_NS4plusIvEElEEDaPvRmT3_T4_T5_mT6_P12ihipStream_tbENKUlT_T0_E_clISt17integral_constantIbLb0EESP_IbLb1EEEEDaSL_SM_EUlSL_E_NS1_11comp_targetILNS1_3genE8ELNS1_11target_archE1030ELNS1_3gpuE2ELNS1_3repE0EEENS1_30default_config_static_selectorELNS0_4arch9wavefront6targetE0EEEvT1_,@function
_ZN7rocprim17ROCPRIM_400000_NS6detail17trampoline_kernelINS0_14default_configENS1_20scan_config_selectorIlEEZZNS1_9scan_implILNS1_25lookback_scan_determinismE0ELb0ELb0ES3_PlS8_lN6thrust23THRUST_200600_302600_NS4plusIvEElEEDaPvRmT3_T4_T5_mT6_P12ihipStream_tbENKUlT_T0_E_clISt17integral_constantIbLb0EESP_IbLb1EEEEDaSL_SM_EUlSL_E_NS1_11comp_targetILNS1_3genE8ELNS1_11target_archE1030ELNS1_3gpuE2ELNS1_3repE0EEENS1_30default_config_static_selectorELNS0_4arch9wavefront6targetE0EEEvT1_: ; @_ZN7rocprim17ROCPRIM_400000_NS6detail17trampoline_kernelINS0_14default_configENS1_20scan_config_selectorIlEEZZNS1_9scan_implILNS1_25lookback_scan_determinismE0ELb0ELb0ES3_PlS8_lN6thrust23THRUST_200600_302600_NS4plusIvEElEEDaPvRmT3_T4_T5_mT6_P12ihipStream_tbENKUlT_T0_E_clISt17integral_constantIbLb0EESP_IbLb1EEEEDaSL_SM_EUlSL_E_NS1_11comp_targetILNS1_3genE8ELNS1_11target_archE1030ELNS1_3gpuE2ELNS1_3repE0EEENS1_30default_config_static_selectorELNS0_4arch9wavefront6targetE0EEEvT1_
; %bb.0:
	.section	.rodata,"a",@progbits
	.p2align	6, 0x0
	.amdhsa_kernel _ZN7rocprim17ROCPRIM_400000_NS6detail17trampoline_kernelINS0_14default_configENS1_20scan_config_selectorIlEEZZNS1_9scan_implILNS1_25lookback_scan_determinismE0ELb0ELb0ES3_PlS8_lN6thrust23THRUST_200600_302600_NS4plusIvEElEEDaPvRmT3_T4_T5_mT6_P12ihipStream_tbENKUlT_T0_E_clISt17integral_constantIbLb0EESP_IbLb1EEEEDaSL_SM_EUlSL_E_NS1_11comp_targetILNS1_3genE8ELNS1_11target_archE1030ELNS1_3gpuE2ELNS1_3repE0EEENS1_30default_config_static_selectorELNS0_4arch9wavefront6targetE0EEEvT1_
		.amdhsa_group_segment_fixed_size 0
		.amdhsa_private_segment_fixed_size 0
		.amdhsa_kernarg_size 104
		.amdhsa_user_sgpr_count 15
		.amdhsa_user_sgpr_dispatch_ptr 0
		.amdhsa_user_sgpr_queue_ptr 0
		.amdhsa_user_sgpr_kernarg_segment_ptr 1
		.amdhsa_user_sgpr_dispatch_id 0
		.amdhsa_user_sgpr_private_segment_size 0
		.amdhsa_wavefront_size32 1
		.amdhsa_uses_dynamic_stack 0
		.amdhsa_enable_private_segment 0
		.amdhsa_system_sgpr_workgroup_id_x 1
		.amdhsa_system_sgpr_workgroup_id_y 0
		.amdhsa_system_sgpr_workgroup_id_z 0
		.amdhsa_system_sgpr_workgroup_info 0
		.amdhsa_system_vgpr_workitem_id 0
		.amdhsa_next_free_vgpr 1
		.amdhsa_next_free_sgpr 1
		.amdhsa_reserve_vcc 0
		.amdhsa_float_round_mode_32 0
		.amdhsa_float_round_mode_16_64 0
		.amdhsa_float_denorm_mode_32 3
		.amdhsa_float_denorm_mode_16_64 3
		.amdhsa_dx10_clamp 1
		.amdhsa_ieee_mode 1
		.amdhsa_fp16_overflow 0
		.amdhsa_workgroup_processor_mode 1
		.amdhsa_memory_ordered 1
		.amdhsa_forward_progress 0
		.amdhsa_shared_vgpr_count 0
		.amdhsa_exception_fp_ieee_invalid_op 0
		.amdhsa_exception_fp_denorm_src 0
		.amdhsa_exception_fp_ieee_div_zero 0
		.amdhsa_exception_fp_ieee_overflow 0
		.amdhsa_exception_fp_ieee_underflow 0
		.amdhsa_exception_fp_ieee_inexact 0
		.amdhsa_exception_int_div_zero 0
	.end_amdhsa_kernel
	.section	.text._ZN7rocprim17ROCPRIM_400000_NS6detail17trampoline_kernelINS0_14default_configENS1_20scan_config_selectorIlEEZZNS1_9scan_implILNS1_25lookback_scan_determinismE0ELb0ELb0ES3_PlS8_lN6thrust23THRUST_200600_302600_NS4plusIvEElEEDaPvRmT3_T4_T5_mT6_P12ihipStream_tbENKUlT_T0_E_clISt17integral_constantIbLb0EESP_IbLb1EEEEDaSL_SM_EUlSL_E_NS1_11comp_targetILNS1_3genE8ELNS1_11target_archE1030ELNS1_3gpuE2ELNS1_3repE0EEENS1_30default_config_static_selectorELNS0_4arch9wavefront6targetE0EEEvT1_,"axG",@progbits,_ZN7rocprim17ROCPRIM_400000_NS6detail17trampoline_kernelINS0_14default_configENS1_20scan_config_selectorIlEEZZNS1_9scan_implILNS1_25lookback_scan_determinismE0ELb0ELb0ES3_PlS8_lN6thrust23THRUST_200600_302600_NS4plusIvEElEEDaPvRmT3_T4_T5_mT6_P12ihipStream_tbENKUlT_T0_E_clISt17integral_constantIbLb0EESP_IbLb1EEEEDaSL_SM_EUlSL_E_NS1_11comp_targetILNS1_3genE8ELNS1_11target_archE1030ELNS1_3gpuE2ELNS1_3repE0EEENS1_30default_config_static_selectorELNS0_4arch9wavefront6targetE0EEEvT1_,comdat
.Lfunc_end149:
	.size	_ZN7rocprim17ROCPRIM_400000_NS6detail17trampoline_kernelINS0_14default_configENS1_20scan_config_selectorIlEEZZNS1_9scan_implILNS1_25lookback_scan_determinismE0ELb0ELb0ES3_PlS8_lN6thrust23THRUST_200600_302600_NS4plusIvEElEEDaPvRmT3_T4_T5_mT6_P12ihipStream_tbENKUlT_T0_E_clISt17integral_constantIbLb0EESP_IbLb1EEEEDaSL_SM_EUlSL_E_NS1_11comp_targetILNS1_3genE8ELNS1_11target_archE1030ELNS1_3gpuE2ELNS1_3repE0EEENS1_30default_config_static_selectorELNS0_4arch9wavefront6targetE0EEEvT1_, .Lfunc_end149-_ZN7rocprim17ROCPRIM_400000_NS6detail17trampoline_kernelINS0_14default_configENS1_20scan_config_selectorIlEEZZNS1_9scan_implILNS1_25lookback_scan_determinismE0ELb0ELb0ES3_PlS8_lN6thrust23THRUST_200600_302600_NS4plusIvEElEEDaPvRmT3_T4_T5_mT6_P12ihipStream_tbENKUlT_T0_E_clISt17integral_constantIbLb0EESP_IbLb1EEEEDaSL_SM_EUlSL_E_NS1_11comp_targetILNS1_3genE8ELNS1_11target_archE1030ELNS1_3gpuE2ELNS1_3repE0EEENS1_30default_config_static_selectorELNS0_4arch9wavefront6targetE0EEEvT1_
                                        ; -- End function
	.section	.AMDGPU.csdata,"",@progbits
; Kernel info:
; codeLenInByte = 0
; NumSgprs: 0
; NumVgprs: 0
; ScratchSize: 0
; MemoryBound: 0
; FloatMode: 240
; IeeeMode: 1
; LDSByteSize: 0 bytes/workgroup (compile time only)
; SGPRBlocks: 0
; VGPRBlocks: 0
; NumSGPRsForWavesPerEU: 1
; NumVGPRsForWavesPerEU: 1
; Occupancy: 16
; WaveLimiterHint : 0
; COMPUTE_PGM_RSRC2:SCRATCH_EN: 0
; COMPUTE_PGM_RSRC2:USER_SGPR: 15
; COMPUTE_PGM_RSRC2:TRAP_HANDLER: 0
; COMPUTE_PGM_RSRC2:TGID_X_EN: 1
; COMPUTE_PGM_RSRC2:TGID_Y_EN: 0
; COMPUTE_PGM_RSRC2:TGID_Z_EN: 0
; COMPUTE_PGM_RSRC2:TIDIG_COMP_CNT: 0
	.section	.text._ZN7rocprim17ROCPRIM_400000_NS6detail17trampoline_kernelINS0_14default_configENS1_20scan_config_selectorIlEEZZNS1_9scan_implILNS1_25lookback_scan_determinismE0ELb0ELb0ES3_PlS8_lN6thrust23THRUST_200600_302600_NS4plusIvEElEEDaPvRmT3_T4_T5_mT6_P12ihipStream_tbENKUlT_T0_E_clISt17integral_constantIbLb0EESP_IbLb1EEEEDaSL_SM_EUlSL_E0_NS1_11comp_targetILNS1_3genE0ELNS1_11target_archE4294967295ELNS1_3gpuE0ELNS1_3repE0EEENS1_30default_config_static_selectorELNS0_4arch9wavefront6targetE0EEEvT1_,"axG",@progbits,_ZN7rocprim17ROCPRIM_400000_NS6detail17trampoline_kernelINS0_14default_configENS1_20scan_config_selectorIlEEZZNS1_9scan_implILNS1_25lookback_scan_determinismE0ELb0ELb0ES3_PlS8_lN6thrust23THRUST_200600_302600_NS4plusIvEElEEDaPvRmT3_T4_T5_mT6_P12ihipStream_tbENKUlT_T0_E_clISt17integral_constantIbLb0EESP_IbLb1EEEEDaSL_SM_EUlSL_E0_NS1_11comp_targetILNS1_3genE0ELNS1_11target_archE4294967295ELNS1_3gpuE0ELNS1_3repE0EEENS1_30default_config_static_selectorELNS0_4arch9wavefront6targetE0EEEvT1_,comdat
	.protected	_ZN7rocprim17ROCPRIM_400000_NS6detail17trampoline_kernelINS0_14default_configENS1_20scan_config_selectorIlEEZZNS1_9scan_implILNS1_25lookback_scan_determinismE0ELb0ELb0ES3_PlS8_lN6thrust23THRUST_200600_302600_NS4plusIvEElEEDaPvRmT3_T4_T5_mT6_P12ihipStream_tbENKUlT_T0_E_clISt17integral_constantIbLb0EESP_IbLb1EEEEDaSL_SM_EUlSL_E0_NS1_11comp_targetILNS1_3genE0ELNS1_11target_archE4294967295ELNS1_3gpuE0ELNS1_3repE0EEENS1_30default_config_static_selectorELNS0_4arch9wavefront6targetE0EEEvT1_ ; -- Begin function _ZN7rocprim17ROCPRIM_400000_NS6detail17trampoline_kernelINS0_14default_configENS1_20scan_config_selectorIlEEZZNS1_9scan_implILNS1_25lookback_scan_determinismE0ELb0ELb0ES3_PlS8_lN6thrust23THRUST_200600_302600_NS4plusIvEElEEDaPvRmT3_T4_T5_mT6_P12ihipStream_tbENKUlT_T0_E_clISt17integral_constantIbLb0EESP_IbLb1EEEEDaSL_SM_EUlSL_E0_NS1_11comp_targetILNS1_3genE0ELNS1_11target_archE4294967295ELNS1_3gpuE0ELNS1_3repE0EEENS1_30default_config_static_selectorELNS0_4arch9wavefront6targetE0EEEvT1_
	.globl	_ZN7rocprim17ROCPRIM_400000_NS6detail17trampoline_kernelINS0_14default_configENS1_20scan_config_selectorIlEEZZNS1_9scan_implILNS1_25lookback_scan_determinismE0ELb0ELb0ES3_PlS8_lN6thrust23THRUST_200600_302600_NS4plusIvEElEEDaPvRmT3_T4_T5_mT6_P12ihipStream_tbENKUlT_T0_E_clISt17integral_constantIbLb0EESP_IbLb1EEEEDaSL_SM_EUlSL_E0_NS1_11comp_targetILNS1_3genE0ELNS1_11target_archE4294967295ELNS1_3gpuE0ELNS1_3repE0EEENS1_30default_config_static_selectorELNS0_4arch9wavefront6targetE0EEEvT1_
	.p2align	8
	.type	_ZN7rocprim17ROCPRIM_400000_NS6detail17trampoline_kernelINS0_14default_configENS1_20scan_config_selectorIlEEZZNS1_9scan_implILNS1_25lookback_scan_determinismE0ELb0ELb0ES3_PlS8_lN6thrust23THRUST_200600_302600_NS4plusIvEElEEDaPvRmT3_T4_T5_mT6_P12ihipStream_tbENKUlT_T0_E_clISt17integral_constantIbLb0EESP_IbLb1EEEEDaSL_SM_EUlSL_E0_NS1_11comp_targetILNS1_3genE0ELNS1_11target_archE4294967295ELNS1_3gpuE0ELNS1_3repE0EEENS1_30default_config_static_selectorELNS0_4arch9wavefront6targetE0EEEvT1_,@function
_ZN7rocprim17ROCPRIM_400000_NS6detail17trampoline_kernelINS0_14default_configENS1_20scan_config_selectorIlEEZZNS1_9scan_implILNS1_25lookback_scan_determinismE0ELb0ELb0ES3_PlS8_lN6thrust23THRUST_200600_302600_NS4plusIvEElEEDaPvRmT3_T4_T5_mT6_P12ihipStream_tbENKUlT_T0_E_clISt17integral_constantIbLb0EESP_IbLb1EEEEDaSL_SM_EUlSL_E0_NS1_11comp_targetILNS1_3genE0ELNS1_11target_archE4294967295ELNS1_3gpuE0ELNS1_3repE0EEENS1_30default_config_static_selectorELNS0_4arch9wavefront6targetE0EEEvT1_: ; @_ZN7rocprim17ROCPRIM_400000_NS6detail17trampoline_kernelINS0_14default_configENS1_20scan_config_selectorIlEEZZNS1_9scan_implILNS1_25lookback_scan_determinismE0ELb0ELb0ES3_PlS8_lN6thrust23THRUST_200600_302600_NS4plusIvEElEEDaPvRmT3_T4_T5_mT6_P12ihipStream_tbENKUlT_T0_E_clISt17integral_constantIbLb0EESP_IbLb1EEEEDaSL_SM_EUlSL_E0_NS1_11comp_targetILNS1_3genE0ELNS1_11target_archE4294967295ELNS1_3gpuE0ELNS1_3repE0EEENS1_30default_config_static_selectorELNS0_4arch9wavefront6targetE0EEEvT1_
; %bb.0:
	.section	.rodata,"a",@progbits
	.p2align	6, 0x0
	.amdhsa_kernel _ZN7rocprim17ROCPRIM_400000_NS6detail17trampoline_kernelINS0_14default_configENS1_20scan_config_selectorIlEEZZNS1_9scan_implILNS1_25lookback_scan_determinismE0ELb0ELb0ES3_PlS8_lN6thrust23THRUST_200600_302600_NS4plusIvEElEEDaPvRmT3_T4_T5_mT6_P12ihipStream_tbENKUlT_T0_E_clISt17integral_constantIbLb0EESP_IbLb1EEEEDaSL_SM_EUlSL_E0_NS1_11comp_targetILNS1_3genE0ELNS1_11target_archE4294967295ELNS1_3gpuE0ELNS1_3repE0EEENS1_30default_config_static_selectorELNS0_4arch9wavefront6targetE0EEEvT1_
		.amdhsa_group_segment_fixed_size 0
		.amdhsa_private_segment_fixed_size 0
		.amdhsa_kernarg_size 40
		.amdhsa_user_sgpr_count 15
		.amdhsa_user_sgpr_dispatch_ptr 0
		.amdhsa_user_sgpr_queue_ptr 0
		.amdhsa_user_sgpr_kernarg_segment_ptr 1
		.amdhsa_user_sgpr_dispatch_id 0
		.amdhsa_user_sgpr_private_segment_size 0
		.amdhsa_wavefront_size32 1
		.amdhsa_uses_dynamic_stack 0
		.amdhsa_enable_private_segment 0
		.amdhsa_system_sgpr_workgroup_id_x 1
		.amdhsa_system_sgpr_workgroup_id_y 0
		.amdhsa_system_sgpr_workgroup_id_z 0
		.amdhsa_system_sgpr_workgroup_info 0
		.amdhsa_system_vgpr_workitem_id 0
		.amdhsa_next_free_vgpr 1
		.amdhsa_next_free_sgpr 1
		.amdhsa_reserve_vcc 0
		.amdhsa_float_round_mode_32 0
		.amdhsa_float_round_mode_16_64 0
		.amdhsa_float_denorm_mode_32 3
		.amdhsa_float_denorm_mode_16_64 3
		.amdhsa_dx10_clamp 1
		.amdhsa_ieee_mode 1
		.amdhsa_fp16_overflow 0
		.amdhsa_workgroup_processor_mode 1
		.amdhsa_memory_ordered 1
		.amdhsa_forward_progress 0
		.amdhsa_shared_vgpr_count 0
		.amdhsa_exception_fp_ieee_invalid_op 0
		.amdhsa_exception_fp_denorm_src 0
		.amdhsa_exception_fp_ieee_div_zero 0
		.amdhsa_exception_fp_ieee_overflow 0
		.amdhsa_exception_fp_ieee_underflow 0
		.amdhsa_exception_fp_ieee_inexact 0
		.amdhsa_exception_int_div_zero 0
	.end_amdhsa_kernel
	.section	.text._ZN7rocprim17ROCPRIM_400000_NS6detail17trampoline_kernelINS0_14default_configENS1_20scan_config_selectorIlEEZZNS1_9scan_implILNS1_25lookback_scan_determinismE0ELb0ELb0ES3_PlS8_lN6thrust23THRUST_200600_302600_NS4plusIvEElEEDaPvRmT3_T4_T5_mT6_P12ihipStream_tbENKUlT_T0_E_clISt17integral_constantIbLb0EESP_IbLb1EEEEDaSL_SM_EUlSL_E0_NS1_11comp_targetILNS1_3genE0ELNS1_11target_archE4294967295ELNS1_3gpuE0ELNS1_3repE0EEENS1_30default_config_static_selectorELNS0_4arch9wavefront6targetE0EEEvT1_,"axG",@progbits,_ZN7rocprim17ROCPRIM_400000_NS6detail17trampoline_kernelINS0_14default_configENS1_20scan_config_selectorIlEEZZNS1_9scan_implILNS1_25lookback_scan_determinismE0ELb0ELb0ES3_PlS8_lN6thrust23THRUST_200600_302600_NS4plusIvEElEEDaPvRmT3_T4_T5_mT6_P12ihipStream_tbENKUlT_T0_E_clISt17integral_constantIbLb0EESP_IbLb1EEEEDaSL_SM_EUlSL_E0_NS1_11comp_targetILNS1_3genE0ELNS1_11target_archE4294967295ELNS1_3gpuE0ELNS1_3repE0EEENS1_30default_config_static_selectorELNS0_4arch9wavefront6targetE0EEEvT1_,comdat
.Lfunc_end150:
	.size	_ZN7rocprim17ROCPRIM_400000_NS6detail17trampoline_kernelINS0_14default_configENS1_20scan_config_selectorIlEEZZNS1_9scan_implILNS1_25lookback_scan_determinismE0ELb0ELb0ES3_PlS8_lN6thrust23THRUST_200600_302600_NS4plusIvEElEEDaPvRmT3_T4_T5_mT6_P12ihipStream_tbENKUlT_T0_E_clISt17integral_constantIbLb0EESP_IbLb1EEEEDaSL_SM_EUlSL_E0_NS1_11comp_targetILNS1_3genE0ELNS1_11target_archE4294967295ELNS1_3gpuE0ELNS1_3repE0EEENS1_30default_config_static_selectorELNS0_4arch9wavefront6targetE0EEEvT1_, .Lfunc_end150-_ZN7rocprim17ROCPRIM_400000_NS6detail17trampoline_kernelINS0_14default_configENS1_20scan_config_selectorIlEEZZNS1_9scan_implILNS1_25lookback_scan_determinismE0ELb0ELb0ES3_PlS8_lN6thrust23THRUST_200600_302600_NS4plusIvEElEEDaPvRmT3_T4_T5_mT6_P12ihipStream_tbENKUlT_T0_E_clISt17integral_constantIbLb0EESP_IbLb1EEEEDaSL_SM_EUlSL_E0_NS1_11comp_targetILNS1_3genE0ELNS1_11target_archE4294967295ELNS1_3gpuE0ELNS1_3repE0EEENS1_30default_config_static_selectorELNS0_4arch9wavefront6targetE0EEEvT1_
                                        ; -- End function
	.section	.AMDGPU.csdata,"",@progbits
; Kernel info:
; codeLenInByte = 0
; NumSgprs: 0
; NumVgprs: 0
; ScratchSize: 0
; MemoryBound: 0
; FloatMode: 240
; IeeeMode: 1
; LDSByteSize: 0 bytes/workgroup (compile time only)
; SGPRBlocks: 0
; VGPRBlocks: 0
; NumSGPRsForWavesPerEU: 1
; NumVGPRsForWavesPerEU: 1
; Occupancy: 16
; WaveLimiterHint : 0
; COMPUTE_PGM_RSRC2:SCRATCH_EN: 0
; COMPUTE_PGM_RSRC2:USER_SGPR: 15
; COMPUTE_PGM_RSRC2:TRAP_HANDLER: 0
; COMPUTE_PGM_RSRC2:TGID_X_EN: 1
; COMPUTE_PGM_RSRC2:TGID_Y_EN: 0
; COMPUTE_PGM_RSRC2:TGID_Z_EN: 0
; COMPUTE_PGM_RSRC2:TIDIG_COMP_CNT: 0
	.section	.text._ZN7rocprim17ROCPRIM_400000_NS6detail17trampoline_kernelINS0_14default_configENS1_20scan_config_selectorIlEEZZNS1_9scan_implILNS1_25lookback_scan_determinismE0ELb0ELb0ES3_PlS8_lN6thrust23THRUST_200600_302600_NS4plusIvEElEEDaPvRmT3_T4_T5_mT6_P12ihipStream_tbENKUlT_T0_E_clISt17integral_constantIbLb0EESP_IbLb1EEEEDaSL_SM_EUlSL_E0_NS1_11comp_targetILNS1_3genE5ELNS1_11target_archE942ELNS1_3gpuE9ELNS1_3repE0EEENS1_30default_config_static_selectorELNS0_4arch9wavefront6targetE0EEEvT1_,"axG",@progbits,_ZN7rocprim17ROCPRIM_400000_NS6detail17trampoline_kernelINS0_14default_configENS1_20scan_config_selectorIlEEZZNS1_9scan_implILNS1_25lookback_scan_determinismE0ELb0ELb0ES3_PlS8_lN6thrust23THRUST_200600_302600_NS4plusIvEElEEDaPvRmT3_T4_T5_mT6_P12ihipStream_tbENKUlT_T0_E_clISt17integral_constantIbLb0EESP_IbLb1EEEEDaSL_SM_EUlSL_E0_NS1_11comp_targetILNS1_3genE5ELNS1_11target_archE942ELNS1_3gpuE9ELNS1_3repE0EEENS1_30default_config_static_selectorELNS0_4arch9wavefront6targetE0EEEvT1_,comdat
	.protected	_ZN7rocprim17ROCPRIM_400000_NS6detail17trampoline_kernelINS0_14default_configENS1_20scan_config_selectorIlEEZZNS1_9scan_implILNS1_25lookback_scan_determinismE0ELb0ELb0ES3_PlS8_lN6thrust23THRUST_200600_302600_NS4plusIvEElEEDaPvRmT3_T4_T5_mT6_P12ihipStream_tbENKUlT_T0_E_clISt17integral_constantIbLb0EESP_IbLb1EEEEDaSL_SM_EUlSL_E0_NS1_11comp_targetILNS1_3genE5ELNS1_11target_archE942ELNS1_3gpuE9ELNS1_3repE0EEENS1_30default_config_static_selectorELNS0_4arch9wavefront6targetE0EEEvT1_ ; -- Begin function _ZN7rocprim17ROCPRIM_400000_NS6detail17trampoline_kernelINS0_14default_configENS1_20scan_config_selectorIlEEZZNS1_9scan_implILNS1_25lookback_scan_determinismE0ELb0ELb0ES3_PlS8_lN6thrust23THRUST_200600_302600_NS4plusIvEElEEDaPvRmT3_T4_T5_mT6_P12ihipStream_tbENKUlT_T0_E_clISt17integral_constantIbLb0EESP_IbLb1EEEEDaSL_SM_EUlSL_E0_NS1_11comp_targetILNS1_3genE5ELNS1_11target_archE942ELNS1_3gpuE9ELNS1_3repE0EEENS1_30default_config_static_selectorELNS0_4arch9wavefront6targetE0EEEvT1_
	.globl	_ZN7rocprim17ROCPRIM_400000_NS6detail17trampoline_kernelINS0_14default_configENS1_20scan_config_selectorIlEEZZNS1_9scan_implILNS1_25lookback_scan_determinismE0ELb0ELb0ES3_PlS8_lN6thrust23THRUST_200600_302600_NS4plusIvEElEEDaPvRmT3_T4_T5_mT6_P12ihipStream_tbENKUlT_T0_E_clISt17integral_constantIbLb0EESP_IbLb1EEEEDaSL_SM_EUlSL_E0_NS1_11comp_targetILNS1_3genE5ELNS1_11target_archE942ELNS1_3gpuE9ELNS1_3repE0EEENS1_30default_config_static_selectorELNS0_4arch9wavefront6targetE0EEEvT1_
	.p2align	8
	.type	_ZN7rocprim17ROCPRIM_400000_NS6detail17trampoline_kernelINS0_14default_configENS1_20scan_config_selectorIlEEZZNS1_9scan_implILNS1_25lookback_scan_determinismE0ELb0ELb0ES3_PlS8_lN6thrust23THRUST_200600_302600_NS4plusIvEElEEDaPvRmT3_T4_T5_mT6_P12ihipStream_tbENKUlT_T0_E_clISt17integral_constantIbLb0EESP_IbLb1EEEEDaSL_SM_EUlSL_E0_NS1_11comp_targetILNS1_3genE5ELNS1_11target_archE942ELNS1_3gpuE9ELNS1_3repE0EEENS1_30default_config_static_selectorELNS0_4arch9wavefront6targetE0EEEvT1_,@function
_ZN7rocprim17ROCPRIM_400000_NS6detail17trampoline_kernelINS0_14default_configENS1_20scan_config_selectorIlEEZZNS1_9scan_implILNS1_25lookback_scan_determinismE0ELb0ELb0ES3_PlS8_lN6thrust23THRUST_200600_302600_NS4plusIvEElEEDaPvRmT3_T4_T5_mT6_P12ihipStream_tbENKUlT_T0_E_clISt17integral_constantIbLb0EESP_IbLb1EEEEDaSL_SM_EUlSL_E0_NS1_11comp_targetILNS1_3genE5ELNS1_11target_archE942ELNS1_3gpuE9ELNS1_3repE0EEENS1_30default_config_static_selectorELNS0_4arch9wavefront6targetE0EEEvT1_: ; @_ZN7rocprim17ROCPRIM_400000_NS6detail17trampoline_kernelINS0_14default_configENS1_20scan_config_selectorIlEEZZNS1_9scan_implILNS1_25lookback_scan_determinismE0ELb0ELb0ES3_PlS8_lN6thrust23THRUST_200600_302600_NS4plusIvEElEEDaPvRmT3_T4_T5_mT6_P12ihipStream_tbENKUlT_T0_E_clISt17integral_constantIbLb0EESP_IbLb1EEEEDaSL_SM_EUlSL_E0_NS1_11comp_targetILNS1_3genE5ELNS1_11target_archE942ELNS1_3gpuE9ELNS1_3repE0EEENS1_30default_config_static_selectorELNS0_4arch9wavefront6targetE0EEEvT1_
; %bb.0:
	.section	.rodata,"a",@progbits
	.p2align	6, 0x0
	.amdhsa_kernel _ZN7rocprim17ROCPRIM_400000_NS6detail17trampoline_kernelINS0_14default_configENS1_20scan_config_selectorIlEEZZNS1_9scan_implILNS1_25lookback_scan_determinismE0ELb0ELb0ES3_PlS8_lN6thrust23THRUST_200600_302600_NS4plusIvEElEEDaPvRmT3_T4_T5_mT6_P12ihipStream_tbENKUlT_T0_E_clISt17integral_constantIbLb0EESP_IbLb1EEEEDaSL_SM_EUlSL_E0_NS1_11comp_targetILNS1_3genE5ELNS1_11target_archE942ELNS1_3gpuE9ELNS1_3repE0EEENS1_30default_config_static_selectorELNS0_4arch9wavefront6targetE0EEEvT1_
		.amdhsa_group_segment_fixed_size 0
		.amdhsa_private_segment_fixed_size 0
		.amdhsa_kernarg_size 40
		.amdhsa_user_sgpr_count 15
		.amdhsa_user_sgpr_dispatch_ptr 0
		.amdhsa_user_sgpr_queue_ptr 0
		.amdhsa_user_sgpr_kernarg_segment_ptr 1
		.amdhsa_user_sgpr_dispatch_id 0
		.amdhsa_user_sgpr_private_segment_size 0
		.amdhsa_wavefront_size32 1
		.amdhsa_uses_dynamic_stack 0
		.amdhsa_enable_private_segment 0
		.amdhsa_system_sgpr_workgroup_id_x 1
		.amdhsa_system_sgpr_workgroup_id_y 0
		.amdhsa_system_sgpr_workgroup_id_z 0
		.amdhsa_system_sgpr_workgroup_info 0
		.amdhsa_system_vgpr_workitem_id 0
		.amdhsa_next_free_vgpr 1
		.amdhsa_next_free_sgpr 1
		.amdhsa_reserve_vcc 0
		.amdhsa_float_round_mode_32 0
		.amdhsa_float_round_mode_16_64 0
		.amdhsa_float_denorm_mode_32 3
		.amdhsa_float_denorm_mode_16_64 3
		.amdhsa_dx10_clamp 1
		.amdhsa_ieee_mode 1
		.amdhsa_fp16_overflow 0
		.amdhsa_workgroup_processor_mode 1
		.amdhsa_memory_ordered 1
		.amdhsa_forward_progress 0
		.amdhsa_shared_vgpr_count 0
		.amdhsa_exception_fp_ieee_invalid_op 0
		.amdhsa_exception_fp_denorm_src 0
		.amdhsa_exception_fp_ieee_div_zero 0
		.amdhsa_exception_fp_ieee_overflow 0
		.amdhsa_exception_fp_ieee_underflow 0
		.amdhsa_exception_fp_ieee_inexact 0
		.amdhsa_exception_int_div_zero 0
	.end_amdhsa_kernel
	.section	.text._ZN7rocprim17ROCPRIM_400000_NS6detail17trampoline_kernelINS0_14default_configENS1_20scan_config_selectorIlEEZZNS1_9scan_implILNS1_25lookback_scan_determinismE0ELb0ELb0ES3_PlS8_lN6thrust23THRUST_200600_302600_NS4plusIvEElEEDaPvRmT3_T4_T5_mT6_P12ihipStream_tbENKUlT_T0_E_clISt17integral_constantIbLb0EESP_IbLb1EEEEDaSL_SM_EUlSL_E0_NS1_11comp_targetILNS1_3genE5ELNS1_11target_archE942ELNS1_3gpuE9ELNS1_3repE0EEENS1_30default_config_static_selectorELNS0_4arch9wavefront6targetE0EEEvT1_,"axG",@progbits,_ZN7rocprim17ROCPRIM_400000_NS6detail17trampoline_kernelINS0_14default_configENS1_20scan_config_selectorIlEEZZNS1_9scan_implILNS1_25lookback_scan_determinismE0ELb0ELb0ES3_PlS8_lN6thrust23THRUST_200600_302600_NS4plusIvEElEEDaPvRmT3_T4_T5_mT6_P12ihipStream_tbENKUlT_T0_E_clISt17integral_constantIbLb0EESP_IbLb1EEEEDaSL_SM_EUlSL_E0_NS1_11comp_targetILNS1_3genE5ELNS1_11target_archE942ELNS1_3gpuE9ELNS1_3repE0EEENS1_30default_config_static_selectorELNS0_4arch9wavefront6targetE0EEEvT1_,comdat
.Lfunc_end151:
	.size	_ZN7rocprim17ROCPRIM_400000_NS6detail17trampoline_kernelINS0_14default_configENS1_20scan_config_selectorIlEEZZNS1_9scan_implILNS1_25lookback_scan_determinismE0ELb0ELb0ES3_PlS8_lN6thrust23THRUST_200600_302600_NS4plusIvEElEEDaPvRmT3_T4_T5_mT6_P12ihipStream_tbENKUlT_T0_E_clISt17integral_constantIbLb0EESP_IbLb1EEEEDaSL_SM_EUlSL_E0_NS1_11comp_targetILNS1_3genE5ELNS1_11target_archE942ELNS1_3gpuE9ELNS1_3repE0EEENS1_30default_config_static_selectorELNS0_4arch9wavefront6targetE0EEEvT1_, .Lfunc_end151-_ZN7rocprim17ROCPRIM_400000_NS6detail17trampoline_kernelINS0_14default_configENS1_20scan_config_selectorIlEEZZNS1_9scan_implILNS1_25lookback_scan_determinismE0ELb0ELb0ES3_PlS8_lN6thrust23THRUST_200600_302600_NS4plusIvEElEEDaPvRmT3_T4_T5_mT6_P12ihipStream_tbENKUlT_T0_E_clISt17integral_constantIbLb0EESP_IbLb1EEEEDaSL_SM_EUlSL_E0_NS1_11comp_targetILNS1_3genE5ELNS1_11target_archE942ELNS1_3gpuE9ELNS1_3repE0EEENS1_30default_config_static_selectorELNS0_4arch9wavefront6targetE0EEEvT1_
                                        ; -- End function
	.section	.AMDGPU.csdata,"",@progbits
; Kernel info:
; codeLenInByte = 0
; NumSgprs: 0
; NumVgprs: 0
; ScratchSize: 0
; MemoryBound: 0
; FloatMode: 240
; IeeeMode: 1
; LDSByteSize: 0 bytes/workgroup (compile time only)
; SGPRBlocks: 0
; VGPRBlocks: 0
; NumSGPRsForWavesPerEU: 1
; NumVGPRsForWavesPerEU: 1
; Occupancy: 16
; WaveLimiterHint : 0
; COMPUTE_PGM_RSRC2:SCRATCH_EN: 0
; COMPUTE_PGM_RSRC2:USER_SGPR: 15
; COMPUTE_PGM_RSRC2:TRAP_HANDLER: 0
; COMPUTE_PGM_RSRC2:TGID_X_EN: 1
; COMPUTE_PGM_RSRC2:TGID_Y_EN: 0
; COMPUTE_PGM_RSRC2:TGID_Z_EN: 0
; COMPUTE_PGM_RSRC2:TIDIG_COMP_CNT: 0
	.section	.text._ZN7rocprim17ROCPRIM_400000_NS6detail17trampoline_kernelINS0_14default_configENS1_20scan_config_selectorIlEEZZNS1_9scan_implILNS1_25lookback_scan_determinismE0ELb0ELb0ES3_PlS8_lN6thrust23THRUST_200600_302600_NS4plusIvEElEEDaPvRmT3_T4_T5_mT6_P12ihipStream_tbENKUlT_T0_E_clISt17integral_constantIbLb0EESP_IbLb1EEEEDaSL_SM_EUlSL_E0_NS1_11comp_targetILNS1_3genE4ELNS1_11target_archE910ELNS1_3gpuE8ELNS1_3repE0EEENS1_30default_config_static_selectorELNS0_4arch9wavefront6targetE0EEEvT1_,"axG",@progbits,_ZN7rocprim17ROCPRIM_400000_NS6detail17trampoline_kernelINS0_14default_configENS1_20scan_config_selectorIlEEZZNS1_9scan_implILNS1_25lookback_scan_determinismE0ELb0ELb0ES3_PlS8_lN6thrust23THRUST_200600_302600_NS4plusIvEElEEDaPvRmT3_T4_T5_mT6_P12ihipStream_tbENKUlT_T0_E_clISt17integral_constantIbLb0EESP_IbLb1EEEEDaSL_SM_EUlSL_E0_NS1_11comp_targetILNS1_3genE4ELNS1_11target_archE910ELNS1_3gpuE8ELNS1_3repE0EEENS1_30default_config_static_selectorELNS0_4arch9wavefront6targetE0EEEvT1_,comdat
	.protected	_ZN7rocprim17ROCPRIM_400000_NS6detail17trampoline_kernelINS0_14default_configENS1_20scan_config_selectorIlEEZZNS1_9scan_implILNS1_25lookback_scan_determinismE0ELb0ELb0ES3_PlS8_lN6thrust23THRUST_200600_302600_NS4plusIvEElEEDaPvRmT3_T4_T5_mT6_P12ihipStream_tbENKUlT_T0_E_clISt17integral_constantIbLb0EESP_IbLb1EEEEDaSL_SM_EUlSL_E0_NS1_11comp_targetILNS1_3genE4ELNS1_11target_archE910ELNS1_3gpuE8ELNS1_3repE0EEENS1_30default_config_static_selectorELNS0_4arch9wavefront6targetE0EEEvT1_ ; -- Begin function _ZN7rocprim17ROCPRIM_400000_NS6detail17trampoline_kernelINS0_14default_configENS1_20scan_config_selectorIlEEZZNS1_9scan_implILNS1_25lookback_scan_determinismE0ELb0ELb0ES3_PlS8_lN6thrust23THRUST_200600_302600_NS4plusIvEElEEDaPvRmT3_T4_T5_mT6_P12ihipStream_tbENKUlT_T0_E_clISt17integral_constantIbLb0EESP_IbLb1EEEEDaSL_SM_EUlSL_E0_NS1_11comp_targetILNS1_3genE4ELNS1_11target_archE910ELNS1_3gpuE8ELNS1_3repE0EEENS1_30default_config_static_selectorELNS0_4arch9wavefront6targetE0EEEvT1_
	.globl	_ZN7rocprim17ROCPRIM_400000_NS6detail17trampoline_kernelINS0_14default_configENS1_20scan_config_selectorIlEEZZNS1_9scan_implILNS1_25lookback_scan_determinismE0ELb0ELb0ES3_PlS8_lN6thrust23THRUST_200600_302600_NS4plusIvEElEEDaPvRmT3_T4_T5_mT6_P12ihipStream_tbENKUlT_T0_E_clISt17integral_constantIbLb0EESP_IbLb1EEEEDaSL_SM_EUlSL_E0_NS1_11comp_targetILNS1_3genE4ELNS1_11target_archE910ELNS1_3gpuE8ELNS1_3repE0EEENS1_30default_config_static_selectorELNS0_4arch9wavefront6targetE0EEEvT1_
	.p2align	8
	.type	_ZN7rocprim17ROCPRIM_400000_NS6detail17trampoline_kernelINS0_14default_configENS1_20scan_config_selectorIlEEZZNS1_9scan_implILNS1_25lookback_scan_determinismE0ELb0ELb0ES3_PlS8_lN6thrust23THRUST_200600_302600_NS4plusIvEElEEDaPvRmT3_T4_T5_mT6_P12ihipStream_tbENKUlT_T0_E_clISt17integral_constantIbLb0EESP_IbLb1EEEEDaSL_SM_EUlSL_E0_NS1_11comp_targetILNS1_3genE4ELNS1_11target_archE910ELNS1_3gpuE8ELNS1_3repE0EEENS1_30default_config_static_selectorELNS0_4arch9wavefront6targetE0EEEvT1_,@function
_ZN7rocprim17ROCPRIM_400000_NS6detail17trampoline_kernelINS0_14default_configENS1_20scan_config_selectorIlEEZZNS1_9scan_implILNS1_25lookback_scan_determinismE0ELb0ELb0ES3_PlS8_lN6thrust23THRUST_200600_302600_NS4plusIvEElEEDaPvRmT3_T4_T5_mT6_P12ihipStream_tbENKUlT_T0_E_clISt17integral_constantIbLb0EESP_IbLb1EEEEDaSL_SM_EUlSL_E0_NS1_11comp_targetILNS1_3genE4ELNS1_11target_archE910ELNS1_3gpuE8ELNS1_3repE0EEENS1_30default_config_static_selectorELNS0_4arch9wavefront6targetE0EEEvT1_: ; @_ZN7rocprim17ROCPRIM_400000_NS6detail17trampoline_kernelINS0_14default_configENS1_20scan_config_selectorIlEEZZNS1_9scan_implILNS1_25lookback_scan_determinismE0ELb0ELb0ES3_PlS8_lN6thrust23THRUST_200600_302600_NS4plusIvEElEEDaPvRmT3_T4_T5_mT6_P12ihipStream_tbENKUlT_T0_E_clISt17integral_constantIbLb0EESP_IbLb1EEEEDaSL_SM_EUlSL_E0_NS1_11comp_targetILNS1_3genE4ELNS1_11target_archE910ELNS1_3gpuE8ELNS1_3repE0EEENS1_30default_config_static_selectorELNS0_4arch9wavefront6targetE0EEEvT1_
; %bb.0:
	.section	.rodata,"a",@progbits
	.p2align	6, 0x0
	.amdhsa_kernel _ZN7rocprim17ROCPRIM_400000_NS6detail17trampoline_kernelINS0_14default_configENS1_20scan_config_selectorIlEEZZNS1_9scan_implILNS1_25lookback_scan_determinismE0ELb0ELb0ES3_PlS8_lN6thrust23THRUST_200600_302600_NS4plusIvEElEEDaPvRmT3_T4_T5_mT6_P12ihipStream_tbENKUlT_T0_E_clISt17integral_constantIbLb0EESP_IbLb1EEEEDaSL_SM_EUlSL_E0_NS1_11comp_targetILNS1_3genE4ELNS1_11target_archE910ELNS1_3gpuE8ELNS1_3repE0EEENS1_30default_config_static_selectorELNS0_4arch9wavefront6targetE0EEEvT1_
		.amdhsa_group_segment_fixed_size 0
		.amdhsa_private_segment_fixed_size 0
		.amdhsa_kernarg_size 40
		.amdhsa_user_sgpr_count 15
		.amdhsa_user_sgpr_dispatch_ptr 0
		.amdhsa_user_sgpr_queue_ptr 0
		.amdhsa_user_sgpr_kernarg_segment_ptr 1
		.amdhsa_user_sgpr_dispatch_id 0
		.amdhsa_user_sgpr_private_segment_size 0
		.amdhsa_wavefront_size32 1
		.amdhsa_uses_dynamic_stack 0
		.amdhsa_enable_private_segment 0
		.amdhsa_system_sgpr_workgroup_id_x 1
		.amdhsa_system_sgpr_workgroup_id_y 0
		.amdhsa_system_sgpr_workgroup_id_z 0
		.amdhsa_system_sgpr_workgroup_info 0
		.amdhsa_system_vgpr_workitem_id 0
		.amdhsa_next_free_vgpr 1
		.amdhsa_next_free_sgpr 1
		.amdhsa_reserve_vcc 0
		.amdhsa_float_round_mode_32 0
		.amdhsa_float_round_mode_16_64 0
		.amdhsa_float_denorm_mode_32 3
		.amdhsa_float_denorm_mode_16_64 3
		.amdhsa_dx10_clamp 1
		.amdhsa_ieee_mode 1
		.amdhsa_fp16_overflow 0
		.amdhsa_workgroup_processor_mode 1
		.amdhsa_memory_ordered 1
		.amdhsa_forward_progress 0
		.amdhsa_shared_vgpr_count 0
		.amdhsa_exception_fp_ieee_invalid_op 0
		.amdhsa_exception_fp_denorm_src 0
		.amdhsa_exception_fp_ieee_div_zero 0
		.amdhsa_exception_fp_ieee_overflow 0
		.amdhsa_exception_fp_ieee_underflow 0
		.amdhsa_exception_fp_ieee_inexact 0
		.amdhsa_exception_int_div_zero 0
	.end_amdhsa_kernel
	.section	.text._ZN7rocprim17ROCPRIM_400000_NS6detail17trampoline_kernelINS0_14default_configENS1_20scan_config_selectorIlEEZZNS1_9scan_implILNS1_25lookback_scan_determinismE0ELb0ELb0ES3_PlS8_lN6thrust23THRUST_200600_302600_NS4plusIvEElEEDaPvRmT3_T4_T5_mT6_P12ihipStream_tbENKUlT_T0_E_clISt17integral_constantIbLb0EESP_IbLb1EEEEDaSL_SM_EUlSL_E0_NS1_11comp_targetILNS1_3genE4ELNS1_11target_archE910ELNS1_3gpuE8ELNS1_3repE0EEENS1_30default_config_static_selectorELNS0_4arch9wavefront6targetE0EEEvT1_,"axG",@progbits,_ZN7rocprim17ROCPRIM_400000_NS6detail17trampoline_kernelINS0_14default_configENS1_20scan_config_selectorIlEEZZNS1_9scan_implILNS1_25lookback_scan_determinismE0ELb0ELb0ES3_PlS8_lN6thrust23THRUST_200600_302600_NS4plusIvEElEEDaPvRmT3_T4_T5_mT6_P12ihipStream_tbENKUlT_T0_E_clISt17integral_constantIbLb0EESP_IbLb1EEEEDaSL_SM_EUlSL_E0_NS1_11comp_targetILNS1_3genE4ELNS1_11target_archE910ELNS1_3gpuE8ELNS1_3repE0EEENS1_30default_config_static_selectorELNS0_4arch9wavefront6targetE0EEEvT1_,comdat
.Lfunc_end152:
	.size	_ZN7rocprim17ROCPRIM_400000_NS6detail17trampoline_kernelINS0_14default_configENS1_20scan_config_selectorIlEEZZNS1_9scan_implILNS1_25lookback_scan_determinismE0ELb0ELb0ES3_PlS8_lN6thrust23THRUST_200600_302600_NS4plusIvEElEEDaPvRmT3_T4_T5_mT6_P12ihipStream_tbENKUlT_T0_E_clISt17integral_constantIbLb0EESP_IbLb1EEEEDaSL_SM_EUlSL_E0_NS1_11comp_targetILNS1_3genE4ELNS1_11target_archE910ELNS1_3gpuE8ELNS1_3repE0EEENS1_30default_config_static_selectorELNS0_4arch9wavefront6targetE0EEEvT1_, .Lfunc_end152-_ZN7rocprim17ROCPRIM_400000_NS6detail17trampoline_kernelINS0_14default_configENS1_20scan_config_selectorIlEEZZNS1_9scan_implILNS1_25lookback_scan_determinismE0ELb0ELb0ES3_PlS8_lN6thrust23THRUST_200600_302600_NS4plusIvEElEEDaPvRmT3_T4_T5_mT6_P12ihipStream_tbENKUlT_T0_E_clISt17integral_constantIbLb0EESP_IbLb1EEEEDaSL_SM_EUlSL_E0_NS1_11comp_targetILNS1_3genE4ELNS1_11target_archE910ELNS1_3gpuE8ELNS1_3repE0EEENS1_30default_config_static_selectorELNS0_4arch9wavefront6targetE0EEEvT1_
                                        ; -- End function
	.section	.AMDGPU.csdata,"",@progbits
; Kernel info:
; codeLenInByte = 0
; NumSgprs: 0
; NumVgprs: 0
; ScratchSize: 0
; MemoryBound: 0
; FloatMode: 240
; IeeeMode: 1
; LDSByteSize: 0 bytes/workgroup (compile time only)
; SGPRBlocks: 0
; VGPRBlocks: 0
; NumSGPRsForWavesPerEU: 1
; NumVGPRsForWavesPerEU: 1
; Occupancy: 16
; WaveLimiterHint : 0
; COMPUTE_PGM_RSRC2:SCRATCH_EN: 0
; COMPUTE_PGM_RSRC2:USER_SGPR: 15
; COMPUTE_PGM_RSRC2:TRAP_HANDLER: 0
; COMPUTE_PGM_RSRC2:TGID_X_EN: 1
; COMPUTE_PGM_RSRC2:TGID_Y_EN: 0
; COMPUTE_PGM_RSRC2:TGID_Z_EN: 0
; COMPUTE_PGM_RSRC2:TIDIG_COMP_CNT: 0
	.section	.text._ZN7rocprim17ROCPRIM_400000_NS6detail17trampoline_kernelINS0_14default_configENS1_20scan_config_selectorIlEEZZNS1_9scan_implILNS1_25lookback_scan_determinismE0ELb0ELb0ES3_PlS8_lN6thrust23THRUST_200600_302600_NS4plusIvEElEEDaPvRmT3_T4_T5_mT6_P12ihipStream_tbENKUlT_T0_E_clISt17integral_constantIbLb0EESP_IbLb1EEEEDaSL_SM_EUlSL_E0_NS1_11comp_targetILNS1_3genE3ELNS1_11target_archE908ELNS1_3gpuE7ELNS1_3repE0EEENS1_30default_config_static_selectorELNS0_4arch9wavefront6targetE0EEEvT1_,"axG",@progbits,_ZN7rocprim17ROCPRIM_400000_NS6detail17trampoline_kernelINS0_14default_configENS1_20scan_config_selectorIlEEZZNS1_9scan_implILNS1_25lookback_scan_determinismE0ELb0ELb0ES3_PlS8_lN6thrust23THRUST_200600_302600_NS4plusIvEElEEDaPvRmT3_T4_T5_mT6_P12ihipStream_tbENKUlT_T0_E_clISt17integral_constantIbLb0EESP_IbLb1EEEEDaSL_SM_EUlSL_E0_NS1_11comp_targetILNS1_3genE3ELNS1_11target_archE908ELNS1_3gpuE7ELNS1_3repE0EEENS1_30default_config_static_selectorELNS0_4arch9wavefront6targetE0EEEvT1_,comdat
	.protected	_ZN7rocprim17ROCPRIM_400000_NS6detail17trampoline_kernelINS0_14default_configENS1_20scan_config_selectorIlEEZZNS1_9scan_implILNS1_25lookback_scan_determinismE0ELb0ELb0ES3_PlS8_lN6thrust23THRUST_200600_302600_NS4plusIvEElEEDaPvRmT3_T4_T5_mT6_P12ihipStream_tbENKUlT_T0_E_clISt17integral_constantIbLb0EESP_IbLb1EEEEDaSL_SM_EUlSL_E0_NS1_11comp_targetILNS1_3genE3ELNS1_11target_archE908ELNS1_3gpuE7ELNS1_3repE0EEENS1_30default_config_static_selectorELNS0_4arch9wavefront6targetE0EEEvT1_ ; -- Begin function _ZN7rocprim17ROCPRIM_400000_NS6detail17trampoline_kernelINS0_14default_configENS1_20scan_config_selectorIlEEZZNS1_9scan_implILNS1_25lookback_scan_determinismE0ELb0ELb0ES3_PlS8_lN6thrust23THRUST_200600_302600_NS4plusIvEElEEDaPvRmT3_T4_T5_mT6_P12ihipStream_tbENKUlT_T0_E_clISt17integral_constantIbLb0EESP_IbLb1EEEEDaSL_SM_EUlSL_E0_NS1_11comp_targetILNS1_3genE3ELNS1_11target_archE908ELNS1_3gpuE7ELNS1_3repE0EEENS1_30default_config_static_selectorELNS0_4arch9wavefront6targetE0EEEvT1_
	.globl	_ZN7rocprim17ROCPRIM_400000_NS6detail17trampoline_kernelINS0_14default_configENS1_20scan_config_selectorIlEEZZNS1_9scan_implILNS1_25lookback_scan_determinismE0ELb0ELb0ES3_PlS8_lN6thrust23THRUST_200600_302600_NS4plusIvEElEEDaPvRmT3_T4_T5_mT6_P12ihipStream_tbENKUlT_T0_E_clISt17integral_constantIbLb0EESP_IbLb1EEEEDaSL_SM_EUlSL_E0_NS1_11comp_targetILNS1_3genE3ELNS1_11target_archE908ELNS1_3gpuE7ELNS1_3repE0EEENS1_30default_config_static_selectorELNS0_4arch9wavefront6targetE0EEEvT1_
	.p2align	8
	.type	_ZN7rocprim17ROCPRIM_400000_NS6detail17trampoline_kernelINS0_14default_configENS1_20scan_config_selectorIlEEZZNS1_9scan_implILNS1_25lookback_scan_determinismE0ELb0ELb0ES3_PlS8_lN6thrust23THRUST_200600_302600_NS4plusIvEElEEDaPvRmT3_T4_T5_mT6_P12ihipStream_tbENKUlT_T0_E_clISt17integral_constantIbLb0EESP_IbLb1EEEEDaSL_SM_EUlSL_E0_NS1_11comp_targetILNS1_3genE3ELNS1_11target_archE908ELNS1_3gpuE7ELNS1_3repE0EEENS1_30default_config_static_selectorELNS0_4arch9wavefront6targetE0EEEvT1_,@function
_ZN7rocprim17ROCPRIM_400000_NS6detail17trampoline_kernelINS0_14default_configENS1_20scan_config_selectorIlEEZZNS1_9scan_implILNS1_25lookback_scan_determinismE0ELb0ELb0ES3_PlS8_lN6thrust23THRUST_200600_302600_NS4plusIvEElEEDaPvRmT3_T4_T5_mT6_P12ihipStream_tbENKUlT_T0_E_clISt17integral_constantIbLb0EESP_IbLb1EEEEDaSL_SM_EUlSL_E0_NS1_11comp_targetILNS1_3genE3ELNS1_11target_archE908ELNS1_3gpuE7ELNS1_3repE0EEENS1_30default_config_static_selectorELNS0_4arch9wavefront6targetE0EEEvT1_: ; @_ZN7rocprim17ROCPRIM_400000_NS6detail17trampoline_kernelINS0_14default_configENS1_20scan_config_selectorIlEEZZNS1_9scan_implILNS1_25lookback_scan_determinismE0ELb0ELb0ES3_PlS8_lN6thrust23THRUST_200600_302600_NS4plusIvEElEEDaPvRmT3_T4_T5_mT6_P12ihipStream_tbENKUlT_T0_E_clISt17integral_constantIbLb0EESP_IbLb1EEEEDaSL_SM_EUlSL_E0_NS1_11comp_targetILNS1_3genE3ELNS1_11target_archE908ELNS1_3gpuE7ELNS1_3repE0EEENS1_30default_config_static_selectorELNS0_4arch9wavefront6targetE0EEEvT1_
; %bb.0:
	.section	.rodata,"a",@progbits
	.p2align	6, 0x0
	.amdhsa_kernel _ZN7rocprim17ROCPRIM_400000_NS6detail17trampoline_kernelINS0_14default_configENS1_20scan_config_selectorIlEEZZNS1_9scan_implILNS1_25lookback_scan_determinismE0ELb0ELb0ES3_PlS8_lN6thrust23THRUST_200600_302600_NS4plusIvEElEEDaPvRmT3_T4_T5_mT6_P12ihipStream_tbENKUlT_T0_E_clISt17integral_constantIbLb0EESP_IbLb1EEEEDaSL_SM_EUlSL_E0_NS1_11comp_targetILNS1_3genE3ELNS1_11target_archE908ELNS1_3gpuE7ELNS1_3repE0EEENS1_30default_config_static_selectorELNS0_4arch9wavefront6targetE0EEEvT1_
		.amdhsa_group_segment_fixed_size 0
		.amdhsa_private_segment_fixed_size 0
		.amdhsa_kernarg_size 40
		.amdhsa_user_sgpr_count 15
		.amdhsa_user_sgpr_dispatch_ptr 0
		.amdhsa_user_sgpr_queue_ptr 0
		.amdhsa_user_sgpr_kernarg_segment_ptr 1
		.amdhsa_user_sgpr_dispatch_id 0
		.amdhsa_user_sgpr_private_segment_size 0
		.amdhsa_wavefront_size32 1
		.amdhsa_uses_dynamic_stack 0
		.amdhsa_enable_private_segment 0
		.amdhsa_system_sgpr_workgroup_id_x 1
		.amdhsa_system_sgpr_workgroup_id_y 0
		.amdhsa_system_sgpr_workgroup_id_z 0
		.amdhsa_system_sgpr_workgroup_info 0
		.amdhsa_system_vgpr_workitem_id 0
		.amdhsa_next_free_vgpr 1
		.amdhsa_next_free_sgpr 1
		.amdhsa_reserve_vcc 0
		.amdhsa_float_round_mode_32 0
		.amdhsa_float_round_mode_16_64 0
		.amdhsa_float_denorm_mode_32 3
		.amdhsa_float_denorm_mode_16_64 3
		.amdhsa_dx10_clamp 1
		.amdhsa_ieee_mode 1
		.amdhsa_fp16_overflow 0
		.amdhsa_workgroup_processor_mode 1
		.amdhsa_memory_ordered 1
		.amdhsa_forward_progress 0
		.amdhsa_shared_vgpr_count 0
		.amdhsa_exception_fp_ieee_invalid_op 0
		.amdhsa_exception_fp_denorm_src 0
		.amdhsa_exception_fp_ieee_div_zero 0
		.amdhsa_exception_fp_ieee_overflow 0
		.amdhsa_exception_fp_ieee_underflow 0
		.amdhsa_exception_fp_ieee_inexact 0
		.amdhsa_exception_int_div_zero 0
	.end_amdhsa_kernel
	.section	.text._ZN7rocprim17ROCPRIM_400000_NS6detail17trampoline_kernelINS0_14default_configENS1_20scan_config_selectorIlEEZZNS1_9scan_implILNS1_25lookback_scan_determinismE0ELb0ELb0ES3_PlS8_lN6thrust23THRUST_200600_302600_NS4plusIvEElEEDaPvRmT3_T4_T5_mT6_P12ihipStream_tbENKUlT_T0_E_clISt17integral_constantIbLb0EESP_IbLb1EEEEDaSL_SM_EUlSL_E0_NS1_11comp_targetILNS1_3genE3ELNS1_11target_archE908ELNS1_3gpuE7ELNS1_3repE0EEENS1_30default_config_static_selectorELNS0_4arch9wavefront6targetE0EEEvT1_,"axG",@progbits,_ZN7rocprim17ROCPRIM_400000_NS6detail17trampoline_kernelINS0_14default_configENS1_20scan_config_selectorIlEEZZNS1_9scan_implILNS1_25lookback_scan_determinismE0ELb0ELb0ES3_PlS8_lN6thrust23THRUST_200600_302600_NS4plusIvEElEEDaPvRmT3_T4_T5_mT6_P12ihipStream_tbENKUlT_T0_E_clISt17integral_constantIbLb0EESP_IbLb1EEEEDaSL_SM_EUlSL_E0_NS1_11comp_targetILNS1_3genE3ELNS1_11target_archE908ELNS1_3gpuE7ELNS1_3repE0EEENS1_30default_config_static_selectorELNS0_4arch9wavefront6targetE0EEEvT1_,comdat
.Lfunc_end153:
	.size	_ZN7rocprim17ROCPRIM_400000_NS6detail17trampoline_kernelINS0_14default_configENS1_20scan_config_selectorIlEEZZNS1_9scan_implILNS1_25lookback_scan_determinismE0ELb0ELb0ES3_PlS8_lN6thrust23THRUST_200600_302600_NS4plusIvEElEEDaPvRmT3_T4_T5_mT6_P12ihipStream_tbENKUlT_T0_E_clISt17integral_constantIbLb0EESP_IbLb1EEEEDaSL_SM_EUlSL_E0_NS1_11comp_targetILNS1_3genE3ELNS1_11target_archE908ELNS1_3gpuE7ELNS1_3repE0EEENS1_30default_config_static_selectorELNS0_4arch9wavefront6targetE0EEEvT1_, .Lfunc_end153-_ZN7rocprim17ROCPRIM_400000_NS6detail17trampoline_kernelINS0_14default_configENS1_20scan_config_selectorIlEEZZNS1_9scan_implILNS1_25lookback_scan_determinismE0ELb0ELb0ES3_PlS8_lN6thrust23THRUST_200600_302600_NS4plusIvEElEEDaPvRmT3_T4_T5_mT6_P12ihipStream_tbENKUlT_T0_E_clISt17integral_constantIbLb0EESP_IbLb1EEEEDaSL_SM_EUlSL_E0_NS1_11comp_targetILNS1_3genE3ELNS1_11target_archE908ELNS1_3gpuE7ELNS1_3repE0EEENS1_30default_config_static_selectorELNS0_4arch9wavefront6targetE0EEEvT1_
                                        ; -- End function
	.section	.AMDGPU.csdata,"",@progbits
; Kernel info:
; codeLenInByte = 0
; NumSgprs: 0
; NumVgprs: 0
; ScratchSize: 0
; MemoryBound: 0
; FloatMode: 240
; IeeeMode: 1
; LDSByteSize: 0 bytes/workgroup (compile time only)
; SGPRBlocks: 0
; VGPRBlocks: 0
; NumSGPRsForWavesPerEU: 1
; NumVGPRsForWavesPerEU: 1
; Occupancy: 16
; WaveLimiterHint : 0
; COMPUTE_PGM_RSRC2:SCRATCH_EN: 0
; COMPUTE_PGM_RSRC2:USER_SGPR: 15
; COMPUTE_PGM_RSRC2:TRAP_HANDLER: 0
; COMPUTE_PGM_RSRC2:TGID_X_EN: 1
; COMPUTE_PGM_RSRC2:TGID_Y_EN: 0
; COMPUTE_PGM_RSRC2:TGID_Z_EN: 0
; COMPUTE_PGM_RSRC2:TIDIG_COMP_CNT: 0
	.section	.text._ZN7rocprim17ROCPRIM_400000_NS6detail17trampoline_kernelINS0_14default_configENS1_20scan_config_selectorIlEEZZNS1_9scan_implILNS1_25lookback_scan_determinismE0ELb0ELb0ES3_PlS8_lN6thrust23THRUST_200600_302600_NS4plusIvEElEEDaPvRmT3_T4_T5_mT6_P12ihipStream_tbENKUlT_T0_E_clISt17integral_constantIbLb0EESP_IbLb1EEEEDaSL_SM_EUlSL_E0_NS1_11comp_targetILNS1_3genE2ELNS1_11target_archE906ELNS1_3gpuE6ELNS1_3repE0EEENS1_30default_config_static_selectorELNS0_4arch9wavefront6targetE0EEEvT1_,"axG",@progbits,_ZN7rocprim17ROCPRIM_400000_NS6detail17trampoline_kernelINS0_14default_configENS1_20scan_config_selectorIlEEZZNS1_9scan_implILNS1_25lookback_scan_determinismE0ELb0ELb0ES3_PlS8_lN6thrust23THRUST_200600_302600_NS4plusIvEElEEDaPvRmT3_T4_T5_mT6_P12ihipStream_tbENKUlT_T0_E_clISt17integral_constantIbLb0EESP_IbLb1EEEEDaSL_SM_EUlSL_E0_NS1_11comp_targetILNS1_3genE2ELNS1_11target_archE906ELNS1_3gpuE6ELNS1_3repE0EEENS1_30default_config_static_selectorELNS0_4arch9wavefront6targetE0EEEvT1_,comdat
	.protected	_ZN7rocprim17ROCPRIM_400000_NS6detail17trampoline_kernelINS0_14default_configENS1_20scan_config_selectorIlEEZZNS1_9scan_implILNS1_25lookback_scan_determinismE0ELb0ELb0ES3_PlS8_lN6thrust23THRUST_200600_302600_NS4plusIvEElEEDaPvRmT3_T4_T5_mT6_P12ihipStream_tbENKUlT_T0_E_clISt17integral_constantIbLb0EESP_IbLb1EEEEDaSL_SM_EUlSL_E0_NS1_11comp_targetILNS1_3genE2ELNS1_11target_archE906ELNS1_3gpuE6ELNS1_3repE0EEENS1_30default_config_static_selectorELNS0_4arch9wavefront6targetE0EEEvT1_ ; -- Begin function _ZN7rocprim17ROCPRIM_400000_NS6detail17trampoline_kernelINS0_14default_configENS1_20scan_config_selectorIlEEZZNS1_9scan_implILNS1_25lookback_scan_determinismE0ELb0ELb0ES3_PlS8_lN6thrust23THRUST_200600_302600_NS4plusIvEElEEDaPvRmT3_T4_T5_mT6_P12ihipStream_tbENKUlT_T0_E_clISt17integral_constantIbLb0EESP_IbLb1EEEEDaSL_SM_EUlSL_E0_NS1_11comp_targetILNS1_3genE2ELNS1_11target_archE906ELNS1_3gpuE6ELNS1_3repE0EEENS1_30default_config_static_selectorELNS0_4arch9wavefront6targetE0EEEvT1_
	.globl	_ZN7rocprim17ROCPRIM_400000_NS6detail17trampoline_kernelINS0_14default_configENS1_20scan_config_selectorIlEEZZNS1_9scan_implILNS1_25lookback_scan_determinismE0ELb0ELb0ES3_PlS8_lN6thrust23THRUST_200600_302600_NS4plusIvEElEEDaPvRmT3_T4_T5_mT6_P12ihipStream_tbENKUlT_T0_E_clISt17integral_constantIbLb0EESP_IbLb1EEEEDaSL_SM_EUlSL_E0_NS1_11comp_targetILNS1_3genE2ELNS1_11target_archE906ELNS1_3gpuE6ELNS1_3repE0EEENS1_30default_config_static_selectorELNS0_4arch9wavefront6targetE0EEEvT1_
	.p2align	8
	.type	_ZN7rocprim17ROCPRIM_400000_NS6detail17trampoline_kernelINS0_14default_configENS1_20scan_config_selectorIlEEZZNS1_9scan_implILNS1_25lookback_scan_determinismE0ELb0ELb0ES3_PlS8_lN6thrust23THRUST_200600_302600_NS4plusIvEElEEDaPvRmT3_T4_T5_mT6_P12ihipStream_tbENKUlT_T0_E_clISt17integral_constantIbLb0EESP_IbLb1EEEEDaSL_SM_EUlSL_E0_NS1_11comp_targetILNS1_3genE2ELNS1_11target_archE906ELNS1_3gpuE6ELNS1_3repE0EEENS1_30default_config_static_selectorELNS0_4arch9wavefront6targetE0EEEvT1_,@function
_ZN7rocprim17ROCPRIM_400000_NS6detail17trampoline_kernelINS0_14default_configENS1_20scan_config_selectorIlEEZZNS1_9scan_implILNS1_25lookback_scan_determinismE0ELb0ELb0ES3_PlS8_lN6thrust23THRUST_200600_302600_NS4plusIvEElEEDaPvRmT3_T4_T5_mT6_P12ihipStream_tbENKUlT_T0_E_clISt17integral_constantIbLb0EESP_IbLb1EEEEDaSL_SM_EUlSL_E0_NS1_11comp_targetILNS1_3genE2ELNS1_11target_archE906ELNS1_3gpuE6ELNS1_3repE0EEENS1_30default_config_static_selectorELNS0_4arch9wavefront6targetE0EEEvT1_: ; @_ZN7rocprim17ROCPRIM_400000_NS6detail17trampoline_kernelINS0_14default_configENS1_20scan_config_selectorIlEEZZNS1_9scan_implILNS1_25lookback_scan_determinismE0ELb0ELb0ES3_PlS8_lN6thrust23THRUST_200600_302600_NS4plusIvEElEEDaPvRmT3_T4_T5_mT6_P12ihipStream_tbENKUlT_T0_E_clISt17integral_constantIbLb0EESP_IbLb1EEEEDaSL_SM_EUlSL_E0_NS1_11comp_targetILNS1_3genE2ELNS1_11target_archE906ELNS1_3gpuE6ELNS1_3repE0EEENS1_30default_config_static_selectorELNS0_4arch9wavefront6targetE0EEEvT1_
; %bb.0:
	.section	.rodata,"a",@progbits
	.p2align	6, 0x0
	.amdhsa_kernel _ZN7rocprim17ROCPRIM_400000_NS6detail17trampoline_kernelINS0_14default_configENS1_20scan_config_selectorIlEEZZNS1_9scan_implILNS1_25lookback_scan_determinismE0ELb0ELb0ES3_PlS8_lN6thrust23THRUST_200600_302600_NS4plusIvEElEEDaPvRmT3_T4_T5_mT6_P12ihipStream_tbENKUlT_T0_E_clISt17integral_constantIbLb0EESP_IbLb1EEEEDaSL_SM_EUlSL_E0_NS1_11comp_targetILNS1_3genE2ELNS1_11target_archE906ELNS1_3gpuE6ELNS1_3repE0EEENS1_30default_config_static_selectorELNS0_4arch9wavefront6targetE0EEEvT1_
		.amdhsa_group_segment_fixed_size 0
		.amdhsa_private_segment_fixed_size 0
		.amdhsa_kernarg_size 40
		.amdhsa_user_sgpr_count 15
		.amdhsa_user_sgpr_dispatch_ptr 0
		.amdhsa_user_sgpr_queue_ptr 0
		.amdhsa_user_sgpr_kernarg_segment_ptr 1
		.amdhsa_user_sgpr_dispatch_id 0
		.amdhsa_user_sgpr_private_segment_size 0
		.amdhsa_wavefront_size32 1
		.amdhsa_uses_dynamic_stack 0
		.amdhsa_enable_private_segment 0
		.amdhsa_system_sgpr_workgroup_id_x 1
		.amdhsa_system_sgpr_workgroup_id_y 0
		.amdhsa_system_sgpr_workgroup_id_z 0
		.amdhsa_system_sgpr_workgroup_info 0
		.amdhsa_system_vgpr_workitem_id 0
		.amdhsa_next_free_vgpr 1
		.amdhsa_next_free_sgpr 1
		.amdhsa_reserve_vcc 0
		.amdhsa_float_round_mode_32 0
		.amdhsa_float_round_mode_16_64 0
		.amdhsa_float_denorm_mode_32 3
		.amdhsa_float_denorm_mode_16_64 3
		.amdhsa_dx10_clamp 1
		.amdhsa_ieee_mode 1
		.amdhsa_fp16_overflow 0
		.amdhsa_workgroup_processor_mode 1
		.amdhsa_memory_ordered 1
		.amdhsa_forward_progress 0
		.amdhsa_shared_vgpr_count 0
		.amdhsa_exception_fp_ieee_invalid_op 0
		.amdhsa_exception_fp_denorm_src 0
		.amdhsa_exception_fp_ieee_div_zero 0
		.amdhsa_exception_fp_ieee_overflow 0
		.amdhsa_exception_fp_ieee_underflow 0
		.amdhsa_exception_fp_ieee_inexact 0
		.amdhsa_exception_int_div_zero 0
	.end_amdhsa_kernel
	.section	.text._ZN7rocprim17ROCPRIM_400000_NS6detail17trampoline_kernelINS0_14default_configENS1_20scan_config_selectorIlEEZZNS1_9scan_implILNS1_25lookback_scan_determinismE0ELb0ELb0ES3_PlS8_lN6thrust23THRUST_200600_302600_NS4plusIvEElEEDaPvRmT3_T4_T5_mT6_P12ihipStream_tbENKUlT_T0_E_clISt17integral_constantIbLb0EESP_IbLb1EEEEDaSL_SM_EUlSL_E0_NS1_11comp_targetILNS1_3genE2ELNS1_11target_archE906ELNS1_3gpuE6ELNS1_3repE0EEENS1_30default_config_static_selectorELNS0_4arch9wavefront6targetE0EEEvT1_,"axG",@progbits,_ZN7rocprim17ROCPRIM_400000_NS6detail17trampoline_kernelINS0_14default_configENS1_20scan_config_selectorIlEEZZNS1_9scan_implILNS1_25lookback_scan_determinismE0ELb0ELb0ES3_PlS8_lN6thrust23THRUST_200600_302600_NS4plusIvEElEEDaPvRmT3_T4_T5_mT6_P12ihipStream_tbENKUlT_T0_E_clISt17integral_constantIbLb0EESP_IbLb1EEEEDaSL_SM_EUlSL_E0_NS1_11comp_targetILNS1_3genE2ELNS1_11target_archE906ELNS1_3gpuE6ELNS1_3repE0EEENS1_30default_config_static_selectorELNS0_4arch9wavefront6targetE0EEEvT1_,comdat
.Lfunc_end154:
	.size	_ZN7rocprim17ROCPRIM_400000_NS6detail17trampoline_kernelINS0_14default_configENS1_20scan_config_selectorIlEEZZNS1_9scan_implILNS1_25lookback_scan_determinismE0ELb0ELb0ES3_PlS8_lN6thrust23THRUST_200600_302600_NS4plusIvEElEEDaPvRmT3_T4_T5_mT6_P12ihipStream_tbENKUlT_T0_E_clISt17integral_constantIbLb0EESP_IbLb1EEEEDaSL_SM_EUlSL_E0_NS1_11comp_targetILNS1_3genE2ELNS1_11target_archE906ELNS1_3gpuE6ELNS1_3repE0EEENS1_30default_config_static_selectorELNS0_4arch9wavefront6targetE0EEEvT1_, .Lfunc_end154-_ZN7rocprim17ROCPRIM_400000_NS6detail17trampoline_kernelINS0_14default_configENS1_20scan_config_selectorIlEEZZNS1_9scan_implILNS1_25lookback_scan_determinismE0ELb0ELb0ES3_PlS8_lN6thrust23THRUST_200600_302600_NS4plusIvEElEEDaPvRmT3_T4_T5_mT6_P12ihipStream_tbENKUlT_T0_E_clISt17integral_constantIbLb0EESP_IbLb1EEEEDaSL_SM_EUlSL_E0_NS1_11comp_targetILNS1_3genE2ELNS1_11target_archE906ELNS1_3gpuE6ELNS1_3repE0EEENS1_30default_config_static_selectorELNS0_4arch9wavefront6targetE0EEEvT1_
                                        ; -- End function
	.section	.AMDGPU.csdata,"",@progbits
; Kernel info:
; codeLenInByte = 0
; NumSgprs: 0
; NumVgprs: 0
; ScratchSize: 0
; MemoryBound: 0
; FloatMode: 240
; IeeeMode: 1
; LDSByteSize: 0 bytes/workgroup (compile time only)
; SGPRBlocks: 0
; VGPRBlocks: 0
; NumSGPRsForWavesPerEU: 1
; NumVGPRsForWavesPerEU: 1
; Occupancy: 16
; WaveLimiterHint : 0
; COMPUTE_PGM_RSRC2:SCRATCH_EN: 0
; COMPUTE_PGM_RSRC2:USER_SGPR: 15
; COMPUTE_PGM_RSRC2:TRAP_HANDLER: 0
; COMPUTE_PGM_RSRC2:TGID_X_EN: 1
; COMPUTE_PGM_RSRC2:TGID_Y_EN: 0
; COMPUTE_PGM_RSRC2:TGID_Z_EN: 0
; COMPUTE_PGM_RSRC2:TIDIG_COMP_CNT: 0
	.section	.text._ZN7rocprim17ROCPRIM_400000_NS6detail17trampoline_kernelINS0_14default_configENS1_20scan_config_selectorIlEEZZNS1_9scan_implILNS1_25lookback_scan_determinismE0ELb0ELb0ES3_PlS8_lN6thrust23THRUST_200600_302600_NS4plusIvEElEEDaPvRmT3_T4_T5_mT6_P12ihipStream_tbENKUlT_T0_E_clISt17integral_constantIbLb0EESP_IbLb1EEEEDaSL_SM_EUlSL_E0_NS1_11comp_targetILNS1_3genE10ELNS1_11target_archE1201ELNS1_3gpuE5ELNS1_3repE0EEENS1_30default_config_static_selectorELNS0_4arch9wavefront6targetE0EEEvT1_,"axG",@progbits,_ZN7rocprim17ROCPRIM_400000_NS6detail17trampoline_kernelINS0_14default_configENS1_20scan_config_selectorIlEEZZNS1_9scan_implILNS1_25lookback_scan_determinismE0ELb0ELb0ES3_PlS8_lN6thrust23THRUST_200600_302600_NS4plusIvEElEEDaPvRmT3_T4_T5_mT6_P12ihipStream_tbENKUlT_T0_E_clISt17integral_constantIbLb0EESP_IbLb1EEEEDaSL_SM_EUlSL_E0_NS1_11comp_targetILNS1_3genE10ELNS1_11target_archE1201ELNS1_3gpuE5ELNS1_3repE0EEENS1_30default_config_static_selectorELNS0_4arch9wavefront6targetE0EEEvT1_,comdat
	.protected	_ZN7rocprim17ROCPRIM_400000_NS6detail17trampoline_kernelINS0_14default_configENS1_20scan_config_selectorIlEEZZNS1_9scan_implILNS1_25lookback_scan_determinismE0ELb0ELb0ES3_PlS8_lN6thrust23THRUST_200600_302600_NS4plusIvEElEEDaPvRmT3_T4_T5_mT6_P12ihipStream_tbENKUlT_T0_E_clISt17integral_constantIbLb0EESP_IbLb1EEEEDaSL_SM_EUlSL_E0_NS1_11comp_targetILNS1_3genE10ELNS1_11target_archE1201ELNS1_3gpuE5ELNS1_3repE0EEENS1_30default_config_static_selectorELNS0_4arch9wavefront6targetE0EEEvT1_ ; -- Begin function _ZN7rocprim17ROCPRIM_400000_NS6detail17trampoline_kernelINS0_14default_configENS1_20scan_config_selectorIlEEZZNS1_9scan_implILNS1_25lookback_scan_determinismE0ELb0ELb0ES3_PlS8_lN6thrust23THRUST_200600_302600_NS4plusIvEElEEDaPvRmT3_T4_T5_mT6_P12ihipStream_tbENKUlT_T0_E_clISt17integral_constantIbLb0EESP_IbLb1EEEEDaSL_SM_EUlSL_E0_NS1_11comp_targetILNS1_3genE10ELNS1_11target_archE1201ELNS1_3gpuE5ELNS1_3repE0EEENS1_30default_config_static_selectorELNS0_4arch9wavefront6targetE0EEEvT1_
	.globl	_ZN7rocprim17ROCPRIM_400000_NS6detail17trampoline_kernelINS0_14default_configENS1_20scan_config_selectorIlEEZZNS1_9scan_implILNS1_25lookback_scan_determinismE0ELb0ELb0ES3_PlS8_lN6thrust23THRUST_200600_302600_NS4plusIvEElEEDaPvRmT3_T4_T5_mT6_P12ihipStream_tbENKUlT_T0_E_clISt17integral_constantIbLb0EESP_IbLb1EEEEDaSL_SM_EUlSL_E0_NS1_11comp_targetILNS1_3genE10ELNS1_11target_archE1201ELNS1_3gpuE5ELNS1_3repE0EEENS1_30default_config_static_selectorELNS0_4arch9wavefront6targetE0EEEvT1_
	.p2align	8
	.type	_ZN7rocprim17ROCPRIM_400000_NS6detail17trampoline_kernelINS0_14default_configENS1_20scan_config_selectorIlEEZZNS1_9scan_implILNS1_25lookback_scan_determinismE0ELb0ELb0ES3_PlS8_lN6thrust23THRUST_200600_302600_NS4plusIvEElEEDaPvRmT3_T4_T5_mT6_P12ihipStream_tbENKUlT_T0_E_clISt17integral_constantIbLb0EESP_IbLb1EEEEDaSL_SM_EUlSL_E0_NS1_11comp_targetILNS1_3genE10ELNS1_11target_archE1201ELNS1_3gpuE5ELNS1_3repE0EEENS1_30default_config_static_selectorELNS0_4arch9wavefront6targetE0EEEvT1_,@function
_ZN7rocprim17ROCPRIM_400000_NS6detail17trampoline_kernelINS0_14default_configENS1_20scan_config_selectorIlEEZZNS1_9scan_implILNS1_25lookback_scan_determinismE0ELb0ELb0ES3_PlS8_lN6thrust23THRUST_200600_302600_NS4plusIvEElEEDaPvRmT3_T4_T5_mT6_P12ihipStream_tbENKUlT_T0_E_clISt17integral_constantIbLb0EESP_IbLb1EEEEDaSL_SM_EUlSL_E0_NS1_11comp_targetILNS1_3genE10ELNS1_11target_archE1201ELNS1_3gpuE5ELNS1_3repE0EEENS1_30default_config_static_selectorELNS0_4arch9wavefront6targetE0EEEvT1_: ; @_ZN7rocprim17ROCPRIM_400000_NS6detail17trampoline_kernelINS0_14default_configENS1_20scan_config_selectorIlEEZZNS1_9scan_implILNS1_25lookback_scan_determinismE0ELb0ELb0ES3_PlS8_lN6thrust23THRUST_200600_302600_NS4plusIvEElEEDaPvRmT3_T4_T5_mT6_P12ihipStream_tbENKUlT_T0_E_clISt17integral_constantIbLb0EESP_IbLb1EEEEDaSL_SM_EUlSL_E0_NS1_11comp_targetILNS1_3genE10ELNS1_11target_archE1201ELNS1_3gpuE5ELNS1_3repE0EEENS1_30default_config_static_selectorELNS0_4arch9wavefront6targetE0EEEvT1_
; %bb.0:
	.section	.rodata,"a",@progbits
	.p2align	6, 0x0
	.amdhsa_kernel _ZN7rocprim17ROCPRIM_400000_NS6detail17trampoline_kernelINS0_14default_configENS1_20scan_config_selectorIlEEZZNS1_9scan_implILNS1_25lookback_scan_determinismE0ELb0ELb0ES3_PlS8_lN6thrust23THRUST_200600_302600_NS4plusIvEElEEDaPvRmT3_T4_T5_mT6_P12ihipStream_tbENKUlT_T0_E_clISt17integral_constantIbLb0EESP_IbLb1EEEEDaSL_SM_EUlSL_E0_NS1_11comp_targetILNS1_3genE10ELNS1_11target_archE1201ELNS1_3gpuE5ELNS1_3repE0EEENS1_30default_config_static_selectorELNS0_4arch9wavefront6targetE0EEEvT1_
		.amdhsa_group_segment_fixed_size 0
		.amdhsa_private_segment_fixed_size 0
		.amdhsa_kernarg_size 40
		.amdhsa_user_sgpr_count 15
		.amdhsa_user_sgpr_dispatch_ptr 0
		.amdhsa_user_sgpr_queue_ptr 0
		.amdhsa_user_sgpr_kernarg_segment_ptr 1
		.amdhsa_user_sgpr_dispatch_id 0
		.amdhsa_user_sgpr_private_segment_size 0
		.amdhsa_wavefront_size32 1
		.amdhsa_uses_dynamic_stack 0
		.amdhsa_enable_private_segment 0
		.amdhsa_system_sgpr_workgroup_id_x 1
		.amdhsa_system_sgpr_workgroup_id_y 0
		.amdhsa_system_sgpr_workgroup_id_z 0
		.amdhsa_system_sgpr_workgroup_info 0
		.amdhsa_system_vgpr_workitem_id 0
		.amdhsa_next_free_vgpr 1
		.amdhsa_next_free_sgpr 1
		.amdhsa_reserve_vcc 0
		.amdhsa_float_round_mode_32 0
		.amdhsa_float_round_mode_16_64 0
		.amdhsa_float_denorm_mode_32 3
		.amdhsa_float_denorm_mode_16_64 3
		.amdhsa_dx10_clamp 1
		.amdhsa_ieee_mode 1
		.amdhsa_fp16_overflow 0
		.amdhsa_workgroup_processor_mode 1
		.amdhsa_memory_ordered 1
		.amdhsa_forward_progress 0
		.amdhsa_shared_vgpr_count 0
		.amdhsa_exception_fp_ieee_invalid_op 0
		.amdhsa_exception_fp_denorm_src 0
		.amdhsa_exception_fp_ieee_div_zero 0
		.amdhsa_exception_fp_ieee_overflow 0
		.amdhsa_exception_fp_ieee_underflow 0
		.amdhsa_exception_fp_ieee_inexact 0
		.amdhsa_exception_int_div_zero 0
	.end_amdhsa_kernel
	.section	.text._ZN7rocprim17ROCPRIM_400000_NS6detail17trampoline_kernelINS0_14default_configENS1_20scan_config_selectorIlEEZZNS1_9scan_implILNS1_25lookback_scan_determinismE0ELb0ELb0ES3_PlS8_lN6thrust23THRUST_200600_302600_NS4plusIvEElEEDaPvRmT3_T4_T5_mT6_P12ihipStream_tbENKUlT_T0_E_clISt17integral_constantIbLb0EESP_IbLb1EEEEDaSL_SM_EUlSL_E0_NS1_11comp_targetILNS1_3genE10ELNS1_11target_archE1201ELNS1_3gpuE5ELNS1_3repE0EEENS1_30default_config_static_selectorELNS0_4arch9wavefront6targetE0EEEvT1_,"axG",@progbits,_ZN7rocprim17ROCPRIM_400000_NS6detail17trampoline_kernelINS0_14default_configENS1_20scan_config_selectorIlEEZZNS1_9scan_implILNS1_25lookback_scan_determinismE0ELb0ELb0ES3_PlS8_lN6thrust23THRUST_200600_302600_NS4plusIvEElEEDaPvRmT3_T4_T5_mT6_P12ihipStream_tbENKUlT_T0_E_clISt17integral_constantIbLb0EESP_IbLb1EEEEDaSL_SM_EUlSL_E0_NS1_11comp_targetILNS1_3genE10ELNS1_11target_archE1201ELNS1_3gpuE5ELNS1_3repE0EEENS1_30default_config_static_selectorELNS0_4arch9wavefront6targetE0EEEvT1_,comdat
.Lfunc_end155:
	.size	_ZN7rocprim17ROCPRIM_400000_NS6detail17trampoline_kernelINS0_14default_configENS1_20scan_config_selectorIlEEZZNS1_9scan_implILNS1_25lookback_scan_determinismE0ELb0ELb0ES3_PlS8_lN6thrust23THRUST_200600_302600_NS4plusIvEElEEDaPvRmT3_T4_T5_mT6_P12ihipStream_tbENKUlT_T0_E_clISt17integral_constantIbLb0EESP_IbLb1EEEEDaSL_SM_EUlSL_E0_NS1_11comp_targetILNS1_3genE10ELNS1_11target_archE1201ELNS1_3gpuE5ELNS1_3repE0EEENS1_30default_config_static_selectorELNS0_4arch9wavefront6targetE0EEEvT1_, .Lfunc_end155-_ZN7rocprim17ROCPRIM_400000_NS6detail17trampoline_kernelINS0_14default_configENS1_20scan_config_selectorIlEEZZNS1_9scan_implILNS1_25lookback_scan_determinismE0ELb0ELb0ES3_PlS8_lN6thrust23THRUST_200600_302600_NS4plusIvEElEEDaPvRmT3_T4_T5_mT6_P12ihipStream_tbENKUlT_T0_E_clISt17integral_constantIbLb0EESP_IbLb1EEEEDaSL_SM_EUlSL_E0_NS1_11comp_targetILNS1_3genE10ELNS1_11target_archE1201ELNS1_3gpuE5ELNS1_3repE0EEENS1_30default_config_static_selectorELNS0_4arch9wavefront6targetE0EEEvT1_
                                        ; -- End function
	.section	.AMDGPU.csdata,"",@progbits
; Kernel info:
; codeLenInByte = 0
; NumSgprs: 0
; NumVgprs: 0
; ScratchSize: 0
; MemoryBound: 0
; FloatMode: 240
; IeeeMode: 1
; LDSByteSize: 0 bytes/workgroup (compile time only)
; SGPRBlocks: 0
; VGPRBlocks: 0
; NumSGPRsForWavesPerEU: 1
; NumVGPRsForWavesPerEU: 1
; Occupancy: 16
; WaveLimiterHint : 0
; COMPUTE_PGM_RSRC2:SCRATCH_EN: 0
; COMPUTE_PGM_RSRC2:USER_SGPR: 15
; COMPUTE_PGM_RSRC2:TRAP_HANDLER: 0
; COMPUTE_PGM_RSRC2:TGID_X_EN: 1
; COMPUTE_PGM_RSRC2:TGID_Y_EN: 0
; COMPUTE_PGM_RSRC2:TGID_Z_EN: 0
; COMPUTE_PGM_RSRC2:TIDIG_COMP_CNT: 0
	.section	.text._ZN7rocprim17ROCPRIM_400000_NS6detail17trampoline_kernelINS0_14default_configENS1_20scan_config_selectorIlEEZZNS1_9scan_implILNS1_25lookback_scan_determinismE0ELb0ELb0ES3_PlS8_lN6thrust23THRUST_200600_302600_NS4plusIvEElEEDaPvRmT3_T4_T5_mT6_P12ihipStream_tbENKUlT_T0_E_clISt17integral_constantIbLb0EESP_IbLb1EEEEDaSL_SM_EUlSL_E0_NS1_11comp_targetILNS1_3genE10ELNS1_11target_archE1200ELNS1_3gpuE4ELNS1_3repE0EEENS1_30default_config_static_selectorELNS0_4arch9wavefront6targetE0EEEvT1_,"axG",@progbits,_ZN7rocprim17ROCPRIM_400000_NS6detail17trampoline_kernelINS0_14default_configENS1_20scan_config_selectorIlEEZZNS1_9scan_implILNS1_25lookback_scan_determinismE0ELb0ELb0ES3_PlS8_lN6thrust23THRUST_200600_302600_NS4plusIvEElEEDaPvRmT3_T4_T5_mT6_P12ihipStream_tbENKUlT_T0_E_clISt17integral_constantIbLb0EESP_IbLb1EEEEDaSL_SM_EUlSL_E0_NS1_11comp_targetILNS1_3genE10ELNS1_11target_archE1200ELNS1_3gpuE4ELNS1_3repE0EEENS1_30default_config_static_selectorELNS0_4arch9wavefront6targetE0EEEvT1_,comdat
	.protected	_ZN7rocprim17ROCPRIM_400000_NS6detail17trampoline_kernelINS0_14default_configENS1_20scan_config_selectorIlEEZZNS1_9scan_implILNS1_25lookback_scan_determinismE0ELb0ELb0ES3_PlS8_lN6thrust23THRUST_200600_302600_NS4plusIvEElEEDaPvRmT3_T4_T5_mT6_P12ihipStream_tbENKUlT_T0_E_clISt17integral_constantIbLb0EESP_IbLb1EEEEDaSL_SM_EUlSL_E0_NS1_11comp_targetILNS1_3genE10ELNS1_11target_archE1200ELNS1_3gpuE4ELNS1_3repE0EEENS1_30default_config_static_selectorELNS0_4arch9wavefront6targetE0EEEvT1_ ; -- Begin function _ZN7rocprim17ROCPRIM_400000_NS6detail17trampoline_kernelINS0_14default_configENS1_20scan_config_selectorIlEEZZNS1_9scan_implILNS1_25lookback_scan_determinismE0ELb0ELb0ES3_PlS8_lN6thrust23THRUST_200600_302600_NS4plusIvEElEEDaPvRmT3_T4_T5_mT6_P12ihipStream_tbENKUlT_T0_E_clISt17integral_constantIbLb0EESP_IbLb1EEEEDaSL_SM_EUlSL_E0_NS1_11comp_targetILNS1_3genE10ELNS1_11target_archE1200ELNS1_3gpuE4ELNS1_3repE0EEENS1_30default_config_static_selectorELNS0_4arch9wavefront6targetE0EEEvT1_
	.globl	_ZN7rocprim17ROCPRIM_400000_NS6detail17trampoline_kernelINS0_14default_configENS1_20scan_config_selectorIlEEZZNS1_9scan_implILNS1_25lookback_scan_determinismE0ELb0ELb0ES3_PlS8_lN6thrust23THRUST_200600_302600_NS4plusIvEElEEDaPvRmT3_T4_T5_mT6_P12ihipStream_tbENKUlT_T0_E_clISt17integral_constantIbLb0EESP_IbLb1EEEEDaSL_SM_EUlSL_E0_NS1_11comp_targetILNS1_3genE10ELNS1_11target_archE1200ELNS1_3gpuE4ELNS1_3repE0EEENS1_30default_config_static_selectorELNS0_4arch9wavefront6targetE0EEEvT1_
	.p2align	8
	.type	_ZN7rocprim17ROCPRIM_400000_NS6detail17trampoline_kernelINS0_14default_configENS1_20scan_config_selectorIlEEZZNS1_9scan_implILNS1_25lookback_scan_determinismE0ELb0ELb0ES3_PlS8_lN6thrust23THRUST_200600_302600_NS4plusIvEElEEDaPvRmT3_T4_T5_mT6_P12ihipStream_tbENKUlT_T0_E_clISt17integral_constantIbLb0EESP_IbLb1EEEEDaSL_SM_EUlSL_E0_NS1_11comp_targetILNS1_3genE10ELNS1_11target_archE1200ELNS1_3gpuE4ELNS1_3repE0EEENS1_30default_config_static_selectorELNS0_4arch9wavefront6targetE0EEEvT1_,@function
_ZN7rocprim17ROCPRIM_400000_NS6detail17trampoline_kernelINS0_14default_configENS1_20scan_config_selectorIlEEZZNS1_9scan_implILNS1_25lookback_scan_determinismE0ELb0ELb0ES3_PlS8_lN6thrust23THRUST_200600_302600_NS4plusIvEElEEDaPvRmT3_T4_T5_mT6_P12ihipStream_tbENKUlT_T0_E_clISt17integral_constantIbLb0EESP_IbLb1EEEEDaSL_SM_EUlSL_E0_NS1_11comp_targetILNS1_3genE10ELNS1_11target_archE1200ELNS1_3gpuE4ELNS1_3repE0EEENS1_30default_config_static_selectorELNS0_4arch9wavefront6targetE0EEEvT1_: ; @_ZN7rocprim17ROCPRIM_400000_NS6detail17trampoline_kernelINS0_14default_configENS1_20scan_config_selectorIlEEZZNS1_9scan_implILNS1_25lookback_scan_determinismE0ELb0ELb0ES3_PlS8_lN6thrust23THRUST_200600_302600_NS4plusIvEElEEDaPvRmT3_T4_T5_mT6_P12ihipStream_tbENKUlT_T0_E_clISt17integral_constantIbLb0EESP_IbLb1EEEEDaSL_SM_EUlSL_E0_NS1_11comp_targetILNS1_3genE10ELNS1_11target_archE1200ELNS1_3gpuE4ELNS1_3repE0EEENS1_30default_config_static_selectorELNS0_4arch9wavefront6targetE0EEEvT1_
; %bb.0:
	.section	.rodata,"a",@progbits
	.p2align	6, 0x0
	.amdhsa_kernel _ZN7rocprim17ROCPRIM_400000_NS6detail17trampoline_kernelINS0_14default_configENS1_20scan_config_selectorIlEEZZNS1_9scan_implILNS1_25lookback_scan_determinismE0ELb0ELb0ES3_PlS8_lN6thrust23THRUST_200600_302600_NS4plusIvEElEEDaPvRmT3_T4_T5_mT6_P12ihipStream_tbENKUlT_T0_E_clISt17integral_constantIbLb0EESP_IbLb1EEEEDaSL_SM_EUlSL_E0_NS1_11comp_targetILNS1_3genE10ELNS1_11target_archE1200ELNS1_3gpuE4ELNS1_3repE0EEENS1_30default_config_static_selectorELNS0_4arch9wavefront6targetE0EEEvT1_
		.amdhsa_group_segment_fixed_size 0
		.amdhsa_private_segment_fixed_size 0
		.amdhsa_kernarg_size 40
		.amdhsa_user_sgpr_count 15
		.amdhsa_user_sgpr_dispatch_ptr 0
		.amdhsa_user_sgpr_queue_ptr 0
		.amdhsa_user_sgpr_kernarg_segment_ptr 1
		.amdhsa_user_sgpr_dispatch_id 0
		.amdhsa_user_sgpr_private_segment_size 0
		.amdhsa_wavefront_size32 1
		.amdhsa_uses_dynamic_stack 0
		.amdhsa_enable_private_segment 0
		.amdhsa_system_sgpr_workgroup_id_x 1
		.amdhsa_system_sgpr_workgroup_id_y 0
		.amdhsa_system_sgpr_workgroup_id_z 0
		.amdhsa_system_sgpr_workgroup_info 0
		.amdhsa_system_vgpr_workitem_id 0
		.amdhsa_next_free_vgpr 1
		.amdhsa_next_free_sgpr 1
		.amdhsa_reserve_vcc 0
		.amdhsa_float_round_mode_32 0
		.amdhsa_float_round_mode_16_64 0
		.amdhsa_float_denorm_mode_32 3
		.amdhsa_float_denorm_mode_16_64 3
		.amdhsa_dx10_clamp 1
		.amdhsa_ieee_mode 1
		.amdhsa_fp16_overflow 0
		.amdhsa_workgroup_processor_mode 1
		.amdhsa_memory_ordered 1
		.amdhsa_forward_progress 0
		.amdhsa_shared_vgpr_count 0
		.amdhsa_exception_fp_ieee_invalid_op 0
		.amdhsa_exception_fp_denorm_src 0
		.amdhsa_exception_fp_ieee_div_zero 0
		.amdhsa_exception_fp_ieee_overflow 0
		.amdhsa_exception_fp_ieee_underflow 0
		.amdhsa_exception_fp_ieee_inexact 0
		.amdhsa_exception_int_div_zero 0
	.end_amdhsa_kernel
	.section	.text._ZN7rocprim17ROCPRIM_400000_NS6detail17trampoline_kernelINS0_14default_configENS1_20scan_config_selectorIlEEZZNS1_9scan_implILNS1_25lookback_scan_determinismE0ELb0ELb0ES3_PlS8_lN6thrust23THRUST_200600_302600_NS4plusIvEElEEDaPvRmT3_T4_T5_mT6_P12ihipStream_tbENKUlT_T0_E_clISt17integral_constantIbLb0EESP_IbLb1EEEEDaSL_SM_EUlSL_E0_NS1_11comp_targetILNS1_3genE10ELNS1_11target_archE1200ELNS1_3gpuE4ELNS1_3repE0EEENS1_30default_config_static_selectorELNS0_4arch9wavefront6targetE0EEEvT1_,"axG",@progbits,_ZN7rocprim17ROCPRIM_400000_NS6detail17trampoline_kernelINS0_14default_configENS1_20scan_config_selectorIlEEZZNS1_9scan_implILNS1_25lookback_scan_determinismE0ELb0ELb0ES3_PlS8_lN6thrust23THRUST_200600_302600_NS4plusIvEElEEDaPvRmT3_T4_T5_mT6_P12ihipStream_tbENKUlT_T0_E_clISt17integral_constantIbLb0EESP_IbLb1EEEEDaSL_SM_EUlSL_E0_NS1_11comp_targetILNS1_3genE10ELNS1_11target_archE1200ELNS1_3gpuE4ELNS1_3repE0EEENS1_30default_config_static_selectorELNS0_4arch9wavefront6targetE0EEEvT1_,comdat
.Lfunc_end156:
	.size	_ZN7rocprim17ROCPRIM_400000_NS6detail17trampoline_kernelINS0_14default_configENS1_20scan_config_selectorIlEEZZNS1_9scan_implILNS1_25lookback_scan_determinismE0ELb0ELb0ES3_PlS8_lN6thrust23THRUST_200600_302600_NS4plusIvEElEEDaPvRmT3_T4_T5_mT6_P12ihipStream_tbENKUlT_T0_E_clISt17integral_constantIbLb0EESP_IbLb1EEEEDaSL_SM_EUlSL_E0_NS1_11comp_targetILNS1_3genE10ELNS1_11target_archE1200ELNS1_3gpuE4ELNS1_3repE0EEENS1_30default_config_static_selectorELNS0_4arch9wavefront6targetE0EEEvT1_, .Lfunc_end156-_ZN7rocprim17ROCPRIM_400000_NS6detail17trampoline_kernelINS0_14default_configENS1_20scan_config_selectorIlEEZZNS1_9scan_implILNS1_25lookback_scan_determinismE0ELb0ELb0ES3_PlS8_lN6thrust23THRUST_200600_302600_NS4plusIvEElEEDaPvRmT3_T4_T5_mT6_P12ihipStream_tbENKUlT_T0_E_clISt17integral_constantIbLb0EESP_IbLb1EEEEDaSL_SM_EUlSL_E0_NS1_11comp_targetILNS1_3genE10ELNS1_11target_archE1200ELNS1_3gpuE4ELNS1_3repE0EEENS1_30default_config_static_selectorELNS0_4arch9wavefront6targetE0EEEvT1_
                                        ; -- End function
	.section	.AMDGPU.csdata,"",@progbits
; Kernel info:
; codeLenInByte = 0
; NumSgprs: 0
; NumVgprs: 0
; ScratchSize: 0
; MemoryBound: 0
; FloatMode: 240
; IeeeMode: 1
; LDSByteSize: 0 bytes/workgroup (compile time only)
; SGPRBlocks: 0
; VGPRBlocks: 0
; NumSGPRsForWavesPerEU: 1
; NumVGPRsForWavesPerEU: 1
; Occupancy: 16
; WaveLimiterHint : 0
; COMPUTE_PGM_RSRC2:SCRATCH_EN: 0
; COMPUTE_PGM_RSRC2:USER_SGPR: 15
; COMPUTE_PGM_RSRC2:TRAP_HANDLER: 0
; COMPUTE_PGM_RSRC2:TGID_X_EN: 1
; COMPUTE_PGM_RSRC2:TGID_Y_EN: 0
; COMPUTE_PGM_RSRC2:TGID_Z_EN: 0
; COMPUTE_PGM_RSRC2:TIDIG_COMP_CNT: 0
	.section	.text._ZN7rocprim17ROCPRIM_400000_NS6detail17trampoline_kernelINS0_14default_configENS1_20scan_config_selectorIlEEZZNS1_9scan_implILNS1_25lookback_scan_determinismE0ELb0ELb0ES3_PlS8_lN6thrust23THRUST_200600_302600_NS4plusIvEElEEDaPvRmT3_T4_T5_mT6_P12ihipStream_tbENKUlT_T0_E_clISt17integral_constantIbLb0EESP_IbLb1EEEEDaSL_SM_EUlSL_E0_NS1_11comp_targetILNS1_3genE9ELNS1_11target_archE1100ELNS1_3gpuE3ELNS1_3repE0EEENS1_30default_config_static_selectorELNS0_4arch9wavefront6targetE0EEEvT1_,"axG",@progbits,_ZN7rocprim17ROCPRIM_400000_NS6detail17trampoline_kernelINS0_14default_configENS1_20scan_config_selectorIlEEZZNS1_9scan_implILNS1_25lookback_scan_determinismE0ELb0ELb0ES3_PlS8_lN6thrust23THRUST_200600_302600_NS4plusIvEElEEDaPvRmT3_T4_T5_mT6_P12ihipStream_tbENKUlT_T0_E_clISt17integral_constantIbLb0EESP_IbLb1EEEEDaSL_SM_EUlSL_E0_NS1_11comp_targetILNS1_3genE9ELNS1_11target_archE1100ELNS1_3gpuE3ELNS1_3repE0EEENS1_30default_config_static_selectorELNS0_4arch9wavefront6targetE0EEEvT1_,comdat
	.protected	_ZN7rocprim17ROCPRIM_400000_NS6detail17trampoline_kernelINS0_14default_configENS1_20scan_config_selectorIlEEZZNS1_9scan_implILNS1_25lookback_scan_determinismE0ELb0ELb0ES3_PlS8_lN6thrust23THRUST_200600_302600_NS4plusIvEElEEDaPvRmT3_T4_T5_mT6_P12ihipStream_tbENKUlT_T0_E_clISt17integral_constantIbLb0EESP_IbLb1EEEEDaSL_SM_EUlSL_E0_NS1_11comp_targetILNS1_3genE9ELNS1_11target_archE1100ELNS1_3gpuE3ELNS1_3repE0EEENS1_30default_config_static_selectorELNS0_4arch9wavefront6targetE0EEEvT1_ ; -- Begin function _ZN7rocprim17ROCPRIM_400000_NS6detail17trampoline_kernelINS0_14default_configENS1_20scan_config_selectorIlEEZZNS1_9scan_implILNS1_25lookback_scan_determinismE0ELb0ELb0ES3_PlS8_lN6thrust23THRUST_200600_302600_NS4plusIvEElEEDaPvRmT3_T4_T5_mT6_P12ihipStream_tbENKUlT_T0_E_clISt17integral_constantIbLb0EESP_IbLb1EEEEDaSL_SM_EUlSL_E0_NS1_11comp_targetILNS1_3genE9ELNS1_11target_archE1100ELNS1_3gpuE3ELNS1_3repE0EEENS1_30default_config_static_selectorELNS0_4arch9wavefront6targetE0EEEvT1_
	.globl	_ZN7rocprim17ROCPRIM_400000_NS6detail17trampoline_kernelINS0_14default_configENS1_20scan_config_selectorIlEEZZNS1_9scan_implILNS1_25lookback_scan_determinismE0ELb0ELb0ES3_PlS8_lN6thrust23THRUST_200600_302600_NS4plusIvEElEEDaPvRmT3_T4_T5_mT6_P12ihipStream_tbENKUlT_T0_E_clISt17integral_constantIbLb0EESP_IbLb1EEEEDaSL_SM_EUlSL_E0_NS1_11comp_targetILNS1_3genE9ELNS1_11target_archE1100ELNS1_3gpuE3ELNS1_3repE0EEENS1_30default_config_static_selectorELNS0_4arch9wavefront6targetE0EEEvT1_
	.p2align	8
	.type	_ZN7rocprim17ROCPRIM_400000_NS6detail17trampoline_kernelINS0_14default_configENS1_20scan_config_selectorIlEEZZNS1_9scan_implILNS1_25lookback_scan_determinismE0ELb0ELb0ES3_PlS8_lN6thrust23THRUST_200600_302600_NS4plusIvEElEEDaPvRmT3_T4_T5_mT6_P12ihipStream_tbENKUlT_T0_E_clISt17integral_constantIbLb0EESP_IbLb1EEEEDaSL_SM_EUlSL_E0_NS1_11comp_targetILNS1_3genE9ELNS1_11target_archE1100ELNS1_3gpuE3ELNS1_3repE0EEENS1_30default_config_static_selectorELNS0_4arch9wavefront6targetE0EEEvT1_,@function
_ZN7rocprim17ROCPRIM_400000_NS6detail17trampoline_kernelINS0_14default_configENS1_20scan_config_selectorIlEEZZNS1_9scan_implILNS1_25lookback_scan_determinismE0ELb0ELb0ES3_PlS8_lN6thrust23THRUST_200600_302600_NS4plusIvEElEEDaPvRmT3_T4_T5_mT6_P12ihipStream_tbENKUlT_T0_E_clISt17integral_constantIbLb0EESP_IbLb1EEEEDaSL_SM_EUlSL_E0_NS1_11comp_targetILNS1_3genE9ELNS1_11target_archE1100ELNS1_3gpuE3ELNS1_3repE0EEENS1_30default_config_static_selectorELNS0_4arch9wavefront6targetE0EEEvT1_: ; @_ZN7rocprim17ROCPRIM_400000_NS6detail17trampoline_kernelINS0_14default_configENS1_20scan_config_selectorIlEEZZNS1_9scan_implILNS1_25lookback_scan_determinismE0ELb0ELb0ES3_PlS8_lN6thrust23THRUST_200600_302600_NS4plusIvEElEEDaPvRmT3_T4_T5_mT6_P12ihipStream_tbENKUlT_T0_E_clISt17integral_constantIbLb0EESP_IbLb1EEEEDaSL_SM_EUlSL_E0_NS1_11comp_targetILNS1_3genE9ELNS1_11target_archE1100ELNS1_3gpuE3ELNS1_3repE0EEENS1_30default_config_static_selectorELNS0_4arch9wavefront6targetE0EEEvT1_
; %bb.0:
	s_load_b128 s[20:23], s[0:1], 0x0
	v_lshlrev_b32_e32 v67, 3, v0
	s_waitcnt lgkmcnt(0)
	s_load_b64 s[18:19], s[20:21], 0x0
	v_cmp_gt_u32_e32 vcc_lo, s22, v0
	s_waitcnt lgkmcnt(0)
	v_dual_mov_b32 v1, s18 :: v_dual_mov_b32 v2, s19
	s_and_saveexec_b32 s2, vcc_lo
	s_cbranch_execz .LBB157_2
; %bb.1:
	global_load_b64 v[1:2], v67, s[20:21]
.LBB157_2:
	s_or_b32 exec_lo, exec_lo, s2
	v_or_b32_e32 v33, 0x100, v0
	v_dual_mov_b32 v3, s18 :: v_dual_mov_b32 v4, s19
	s_delay_alu instid0(VALU_DEP_2) | instskip(NEXT) | instid1(VALU_DEP_1)
	v_cmp_gt_u32_e64 s2, s22, v33
	s_and_saveexec_b32 s3, s2
	s_cbranch_execz .LBB157_4
; %bb.3:
	global_load_b64 v[3:4], v67, s[20:21] offset:2048
.LBB157_4:
	s_or_b32 exec_lo, exec_lo, s3
	v_or_b32_e32 v34, 0x200, v0
	v_dual_mov_b32 v5, s18 :: v_dual_mov_b32 v6, s19
	s_delay_alu instid0(VALU_DEP_2) | instskip(NEXT) | instid1(VALU_DEP_1)
	v_cmp_gt_u32_e64 s3, s22, v34
	s_and_saveexec_b32 s4, s3
	s_cbranch_execz .LBB157_6
; %bb.5:
	v_lshlrev_b32_e32 v5, 3, v34
	global_load_b64 v[5:6], v5, s[20:21]
.LBB157_6:
	s_or_b32 exec_lo, exec_lo, s4
	v_or_b32_e32 v35, 0x300, v0
	v_dual_mov_b32 v9, s18 :: v_dual_mov_b32 v10, s19
	s_delay_alu instid0(VALU_DEP_2) | instskip(NEXT) | instid1(VALU_DEP_1)
	v_cmp_gt_u32_e64 s4, s22, v35
	s_and_saveexec_b32 s5, s4
	s_cbranch_execz .LBB157_8
; %bb.7:
	v_lshlrev_b32_e32 v7, 3, v35
	global_load_b64 v[9:10], v7, s[20:21]
.LBB157_8:
	;; [unrolled: 11-line block ×14, first 2 shown]
	s_or_b32 exec_lo, exec_lo, s17
	v_lshrrev_b32_e32 v48, 2, v0
	v_lshrrev_b32_e32 v34, 2, v34
	;; [unrolled: 1-line block ×5, first 2 shown]
	v_and_b32_e32 v48, 56, v48
	v_and_b32_e32 v34, 0xf8, v34
	;; [unrolled: 1-line block ×4, first 2 shown]
	s_load_b64 s[18:19], s[0:1], 0x20
	v_add_nc_u32_e32 v68, v48, v67
	v_add_nc_u32_e32 v70, v34, v67
	v_and_b32_e32 v34, 0x1f8, v36
	v_lshrrev_b32_e32 v36, 2, v39
	v_add_nc_u32_e32 v69, v33, v67
	v_add_nc_u32_e32 v71, v35, v67
	s_waitcnt vmcnt(0)
	ds_store_b64 v68, v[1:2]
	ds_store_b64 v69, v[3:4] offset:2048
	ds_store_b64 v70, v[5:6] offset:4096
	;; [unrolled: 1-line block ×3, first 2 shown]
	v_and_b32_e32 v1, 0x1f8, v36
	v_lshrrev_b32_e32 v2, 2, v40
	v_lshrrev_b32_e32 v3, 2, v41
	;; [unrolled: 1-line block ×4, first 2 shown]
	v_add_nc_u32_e32 v75, v1, v67
	v_and_b32_e32 v1, 0x3f8, v2
	v_and_b32_e32 v2, 0x3f8, v3
	;; [unrolled: 1-line block ×4, first 2 shown]
	v_lshrrev_b32_e32 v33, 2, v37
	v_add_nc_u32_e32 v76, v1, v67
	v_lshrrev_b32_e32 v1, 2, v44
	v_add_nc_u32_e32 v77, v2, v67
	v_lshrrev_b32_e32 v2, 2, v45
	v_lshrrev_b32_e32 v37, 2, v38
	v_add_nc_u32_e32 v78, v3, v67
	v_lshrrev_b32_e32 v3, 2, v46
	v_add_nc_u32_e32 v79, v4, v67
	v_lshrrev_b32_e32 v4, 2, v47
	v_and_b32_e32 v1, 0x3f8, v1
	v_lshlrev_b32_e32 v5, 4, v0
	v_lshrrev_b32_e32 v6, 1, v0
	v_and_b32_e32 v33, 0x1f8, v33
	v_and_b32_e32 v2, 0x3f8, v2
	;; [unrolled: 1-line block ×5, first 2 shown]
	v_add_nc_u32_e32 v72, v34, v67
	v_add_nc_u32_e32 v80, v1, v67
	v_add_lshl_u32 v84, v6, v5, 3
	v_add_nc_u32_e32 v73, v33, v67
	v_add_nc_u32_e32 v81, v2, v67
	;; [unrolled: 1-line block ×5, first 2 shown]
	ds_store_b64 v72, v[7:8] offset:8192
	ds_store_b64 v73, v[11:12] offset:10240
	;; [unrolled: 1-line block ×12, first 2 shown]
	s_waitcnt lgkmcnt(0)
	s_barrier
	buffer_gl0_inv
	ds_load_2addr_b64 v[1:4], v84 offset1:1
	ds_load_2addr_b64 v[5:8], v84 offset0:2 offset1:3
	ds_load_2addr_b64 v[9:12], v84 offset0:4 offset1:5
	;; [unrolled: 1-line block ×7, first 2 shown]
	s_mov_b32 s1, exec_lo
	s_waitcnt lgkmcnt(0)
	s_barrier
	buffer_gl0_inv
	v_add_co_u32 v85, s17, v3, v1
	s_delay_alu instid0(VALU_DEP_1) | instskip(NEXT) | instid1(VALU_DEP_2)
	v_add_co_ci_u32_e64 v86, s17, v4, v2, s17
	v_add_co_u32 v37, s17, v85, v5
	s_delay_alu instid0(VALU_DEP_1) | instskip(NEXT) | instid1(VALU_DEP_2)
	v_add_co_ci_u32_e64 v38, s17, v86, v6, s17
	;; [unrolled: 3-line block ×14, first 2 shown]
	v_add_co_u32 v63, s0, v59, v31
	s_delay_alu instid0(VALU_DEP_1)
	v_add_co_ci_u32_e64 v64, s0, v60, v32, s0
	ds_store_b64 v68, v[63:64]
	s_waitcnt lgkmcnt(0)
	s_barrier
	buffer_gl0_inv
	v_cmpx_gt_u32_e32 32, v0
	s_cbranch_execz .LBB157_42
; %bb.33:
	v_lshlrev_b32_e32 v33, 1, v0
	s_mov_b32 s17, exec_lo
	s_delay_alu instid0(VALU_DEP_1) | instskip(NEXT) | instid1(VALU_DEP_1)
	v_and_b32_e32 v33, 0x1f8, v33
	v_lshl_or_b32 v87, v0, 6, v33
	ds_load_2addr_b64 v[33:36], v87 offset1:1
	ds_load_2addr_b64 v[88:91], v87 offset0:2 offset1:3
	ds_load_2addr_b64 v[92:95], v87 offset0:4 offset1:5
	;; [unrolled: 1-line block ×3, first 2 shown]
	s_waitcnt lgkmcnt(3)
	v_add_co_u32 v35, s0, v35, v33
	s_delay_alu instid0(VALU_DEP_1) | instskip(SKIP_1) | instid1(VALU_DEP_2)
	v_add_co_ci_u32_e64 v36, s0, v36, v34, s0
	s_waitcnt lgkmcnt(2)
	v_add_co_u32 v35, s0, v35, v88
	s_delay_alu instid0(VALU_DEP_1) | instskip(SKIP_1) | instid1(VALU_DEP_3)
	v_add_co_ci_u32_e64 v36, s0, v36, v89, s0
	v_mbcnt_lo_u32_b32 v88, -1, 0
	v_add_co_u32 v35, s0, v35, v90
	s_delay_alu instid0(VALU_DEP_1) | instskip(NEXT) | instid1(VALU_DEP_3)
	v_add_co_ci_u32_e64 v36, s0, v36, v91, s0
	v_and_b32_e32 v89, 15, v88
	s_waitcnt lgkmcnt(1)
	s_delay_alu instid0(VALU_DEP_3) | instskip(NEXT) | instid1(VALU_DEP_1)
	v_add_co_u32 v35, s0, v35, v92
	v_add_co_ci_u32_e64 v36, s0, v36, v93, s0
	s_delay_alu instid0(VALU_DEP_2) | instskip(NEXT) | instid1(VALU_DEP_1)
	v_add_co_u32 v35, s0, v35, v94
	v_add_co_ci_u32_e64 v36, s0, v36, v95, s0
	s_waitcnt lgkmcnt(0)
	s_delay_alu instid0(VALU_DEP_2) | instskip(NEXT) | instid1(VALU_DEP_1)
	v_add_co_u32 v35, s0, v35, v96
	v_add_co_ci_u32_e64 v36, s0, v36, v97, s0
	s_delay_alu instid0(VALU_DEP_2) | instskip(NEXT) | instid1(VALU_DEP_1)
	v_add_co_u32 v35, s0, v35, v98
	v_add_co_ci_u32_e64 v36, s0, v36, v99, s0
	s_delay_alu instid0(VALU_DEP_2) | instskip(NEXT) | instid1(VALU_DEP_2)
	v_mov_b32_dpp v91, v35 row_shr:1 row_mask:0xf bank_mask:0xf
	v_mov_b32_e32 v66, v36
	v_mov_b32_dpp v90, v36 row_shr:1 row_mask:0xf bank_mask:0xf
	v_mov_b32_e32 v65, v35
	v_cmpx_ne_u32_e32 0, v89
; %bb.34:
	v_add_co_u32 v35, s0, v35, v91
	s_delay_alu instid0(VALU_DEP_1) | instskip(NEXT) | instid1(VALU_DEP_2)
	v_add_co_ci_u32_e64 v36, s0, 0, v36, s0
	v_add_co_u32 v65, s0, 0, v35
	s_delay_alu instid0(VALU_DEP_1) | instskip(NEXT) | instid1(VALU_DEP_1)
	v_add_co_ci_u32_e64 v66, s0, v90, v36, s0
	v_mov_b32_e32 v36, v66
; %bb.35:
	s_or_b32 exec_lo, exec_lo, s17
	v_mov_b32_dpp v91, v35 row_shr:2 row_mask:0xf bank_mask:0xf
	s_delay_alu instid0(VALU_DEP_2)
	v_mov_b32_dpp v90, v36 row_shr:2 row_mask:0xf bank_mask:0xf
	s_mov_b32 s17, exec_lo
	v_cmpx_lt_u32_e32 1, v89
; %bb.36:
	s_delay_alu instid0(VALU_DEP_3) | instskip(NEXT) | instid1(VALU_DEP_1)
	v_add_co_u32 v35, s0, v65, v91
	v_add_co_ci_u32_e64 v36, s0, 0, v66, s0
	s_delay_alu instid0(VALU_DEP_2) | instskip(NEXT) | instid1(VALU_DEP_1)
	v_add_co_u32 v65, s0, 0, v35
	v_add_co_ci_u32_e64 v66, s0, v90, v36, s0
	s_delay_alu instid0(VALU_DEP_1)
	v_mov_b32_e32 v36, v66
; %bb.37:
	s_or_b32 exec_lo, exec_lo, s17
	v_mov_b32_dpp v91, v35 row_shr:4 row_mask:0xf bank_mask:0xf
	s_delay_alu instid0(VALU_DEP_2)
	v_mov_b32_dpp v90, v36 row_shr:4 row_mask:0xf bank_mask:0xf
	s_mov_b32 s17, exec_lo
	v_cmpx_lt_u32_e32 3, v89
; %bb.38:
	s_delay_alu instid0(VALU_DEP_3) | instskip(NEXT) | instid1(VALU_DEP_1)
	v_add_co_u32 v35, s0, v65, v91
	v_add_co_ci_u32_e64 v36, s0, 0, v66, s0
	s_delay_alu instid0(VALU_DEP_2) | instskip(NEXT) | instid1(VALU_DEP_1)
	v_add_co_u32 v65, s0, 0, v35
	v_add_co_ci_u32_e64 v66, s0, v90, v36, s0
	s_delay_alu instid0(VALU_DEP_1)
	;; [unrolled: 16-line block ×3, first 2 shown]
	v_mov_b32_e32 v36, v66
; %bb.41:
	s_or_b32 exec_lo, exec_lo, s17
	ds_swizzle_b32 v89, v35 offset:swizzle(BROADCAST,32,15)
	ds_swizzle_b32 v90, v36 offset:swizzle(BROADCAST,32,15)
	v_add_nc_u32_e32 v91, -1, v88
	v_and_b32_e32 v92, 16, v88
	; wave barrier
	s_delay_alu instid0(VALU_DEP_2) | instskip(NEXT) | instid1(VALU_DEP_1)
	v_cmp_gt_i32_e64 s0, 0, v91
	v_cndmask_b32_e64 v88, v91, v88, s0
	s_delay_alu instid0(VALU_DEP_1) | instskip(SKIP_2) | instid1(VALU_DEP_1)
	v_lshlrev_b32_e32 v88, 2, v88
	s_waitcnt lgkmcnt(1)
	v_add_co_u32 v65, s0, v65, v89
	v_add_co_ci_u32_e64 v66, s0, 0, v66, s0
	v_cmp_eq_u32_e64 s0, 0, v92
	s_delay_alu instid0(VALU_DEP_1) | instskip(SKIP_1) | instid1(VALU_DEP_3)
	v_cndmask_b32_e64 v35, v65, v35, s0
	s_waitcnt lgkmcnt(0)
	v_add_nc_u32_e32 v65, v90, v66
	ds_bpermute_b32 v35, v88, v35
	v_cndmask_b32_e64 v36, v65, v36, s0
	ds_bpermute_b32 v36, v88, v36
	s_waitcnt lgkmcnt(1)
	v_add_co_u32 v33, s0, v33, v35
	s_delay_alu instid0(VALU_DEP_1) | instskip(NEXT) | instid1(VALU_DEP_2)
	v_add_co_ci_u32_e64 v34, s0, 0, v34, s0
	v_add_co_u32 v33, s0, v33, 0
	s_waitcnt lgkmcnt(0)
	s_delay_alu instid0(VALU_DEP_2) | instskip(SKIP_1) | instid1(VALU_DEP_1)
	v_add_co_ci_u32_e64 v34, s0, v34, v36, s0
	v_cmp_eq_u32_e64 s0, 0, v0
	v_cndmask_b32_e64 v66, v34, v64, s0
	v_cndmask_b32_e64 v65, v33, v63, s0
	ds_store_b64 v87, v[65:66]
	; wave barrier
	ds_load_2addr_b64 v[33:36], v87 offset0:1 offset1:2
	ds_load_2addr_b64 v[88:91], v87 offset0:3 offset1:4
	;; [unrolled: 1-line block ×3, first 2 shown]
	s_waitcnt lgkmcnt(2)
	v_add_co_u32 v33, s0, v33, v65
	s_delay_alu instid0(VALU_DEP_1) | instskip(SKIP_2) | instid1(VALU_DEP_1)
	v_add_co_ci_u32_e64 v34, s0, v34, v66, s0
	ds_load_b64 v[65:66], v87 offset:56
	v_add_co_u32 v35, s0, v35, v33
	v_add_co_ci_u32_e64 v36, s0, v36, v34, s0
	s_waitcnt lgkmcnt(2)
	s_delay_alu instid0(VALU_DEP_2) | instskip(NEXT) | instid1(VALU_DEP_1)
	v_add_co_u32 v88, s0, v88, v35
	v_add_co_ci_u32_e64 v89, s0, v89, v36, s0
	s_delay_alu instid0(VALU_DEP_2) | instskip(NEXT) | instid1(VALU_DEP_1)
	v_add_co_u32 v90, s0, v90, v88
	v_add_co_ci_u32_e64 v91, s0, v91, v89, s0
	s_waitcnt lgkmcnt(1)
	s_delay_alu instid0(VALU_DEP_2) | instskip(NEXT) | instid1(VALU_DEP_1)
	v_add_co_u32 v92, s0, v92, v90
	v_add_co_ci_u32_e64 v93, s0, v93, v91, s0
	s_delay_alu instid0(VALU_DEP_2) | instskip(NEXT) | instid1(VALU_DEP_1)
	v_add_co_u32 v94, s0, v94, v92
	v_add_co_ci_u32_e64 v95, s0, v95, v93, s0
	s_waitcnt lgkmcnt(0)
	s_delay_alu instid0(VALU_DEP_2) | instskip(NEXT) | instid1(VALU_DEP_1)
	v_add_co_u32 v65, s0, v65, v94
	v_add_co_ci_u32_e64 v66, s0, v66, v95, s0
	ds_store_2addr_b64 v87, v[33:34], v[35:36] offset0:1 offset1:2
	ds_store_2addr_b64 v87, v[88:89], v[90:91] offset0:3 offset1:4
	;; [unrolled: 1-line block ×3, first 2 shown]
	ds_store_b64 v87, v[65:66] offset:56
.LBB157_42:
	s_or_b32 exec_lo, exec_lo, s1
	v_cmp_ne_u32_e64 s0, 0, v0
	v_dual_mov_b32 v33, v63 :: v_dual_mov_b32 v34, v64
	s_waitcnt lgkmcnt(0)
	s_barrier
	buffer_gl0_inv
	s_and_saveexec_b32 s1, s0
	s_cbranch_execz .LBB157_44
; %bb.43:
	v_add_nc_u32_e32 v0, -1, v0
	s_delay_alu instid0(VALU_DEP_1) | instskip(NEXT) | instid1(VALU_DEP_1)
	v_lshrrev_b32_e32 v33, 5, v0
	v_add_lshl_u32 v0, v33, v0, 3
	ds_load_b64 v[33:34], v0
.LBB157_44:
	s_or_b32 exec_lo, exec_lo, s1
	s_and_saveexec_b32 s1, s0
	s_cbranch_execz .LBB157_46
; %bb.45:
	s_waitcnt lgkmcnt(0)
	v_add_co_u32 v1, s0, v33, v1
	s_delay_alu instid0(VALU_DEP_1) | instskip(SKIP_1) | instid1(VALU_DEP_2)
	v_add_co_ci_u32_e64 v2, s0, v34, v2, s0
	;;#ASMSTART
	;;#ASMEND
	v_add_co_u32 v85, s0, v1, v3
	s_delay_alu instid0(VALU_DEP_1) | instskip(NEXT) | instid1(VALU_DEP_2)
	v_add_co_ci_u32_e64 v86, s0, v2, v4, s0
	v_add_co_u32 v37, s0, v85, v5
	s_delay_alu instid0(VALU_DEP_1) | instskip(NEXT) | instid1(VALU_DEP_2)
	v_add_co_ci_u32_e64 v38, s0, v86, v6, s0
	;; [unrolled: 3-line block ×14, first 2 shown]
	v_add_co_u32 v63, s0, v59, v31
	s_delay_alu instid0(VALU_DEP_1)
	v_add_co_ci_u32_e64 v64, s0, v60, v32, s0
.LBB157_46:
	s_or_b32 exec_lo, exec_lo, s1
	v_dual_mov_b32 v3, v85 :: v_dual_mov_b32 v4, v86
	s_waitcnt lgkmcnt(0)
	s_barrier
	buffer_gl0_inv
	ds_store_2addr_b64 v84, v[1:2], v[3:4] offset1:1
	ds_store_2addr_b64 v84, v[37:38], v[41:42] offset0:2 offset1:3
	ds_store_2addr_b64 v84, v[39:40], v[45:46] offset0:4 offset1:5
	;; [unrolled: 1-line block ×7, first 2 shown]
	s_waitcnt lgkmcnt(0)
	s_barrier
	buffer_gl0_inv
	ds_load_b64 v[30:31], v69 offset:2048
	ds_load_b64 v[28:29], v70 offset:4096
	;; [unrolled: 1-line block ×15, first 2 shown]
	v_add_co_u32 v2, s0, s18, v67
	s_delay_alu instid0(VALU_DEP_1)
	v_add_co_ci_u32_e64 v3, null, s19, 0, s0
	s_and_saveexec_b32 s0, vcc_lo
	s_cbranch_execnz .LBB157_63
; %bb.47:
	s_or_b32 exec_lo, exec_lo, s0
	s_and_saveexec_b32 s0, s2
	s_cbranch_execnz .LBB157_64
.LBB157_48:
	s_or_b32 exec_lo, exec_lo, s0
	s_and_saveexec_b32 s0, s3
	s_cbranch_execnz .LBB157_65
.LBB157_49:
	s_or_b32 exec_lo, exec_lo, s0
	s_and_saveexec_b32 s0, s4
	s_cbranch_execnz .LBB157_66
.LBB157_50:
	s_or_b32 exec_lo, exec_lo, s0
	s_and_saveexec_b32 s0, s5
	s_cbranch_execnz .LBB157_67
.LBB157_51:
	s_or_b32 exec_lo, exec_lo, s0
	s_and_saveexec_b32 s0, s6
	s_cbranch_execnz .LBB157_68
.LBB157_52:
	s_or_b32 exec_lo, exec_lo, s0
	s_and_saveexec_b32 s0, s7
	s_cbranch_execnz .LBB157_69
.LBB157_53:
	s_or_b32 exec_lo, exec_lo, s0
	s_and_saveexec_b32 s0, s8
	s_cbranch_execnz .LBB157_70
.LBB157_54:
	s_or_b32 exec_lo, exec_lo, s0
	s_and_saveexec_b32 s0, s9
	s_cbranch_execnz .LBB157_71
.LBB157_55:
	s_or_b32 exec_lo, exec_lo, s0
	s_and_saveexec_b32 s0, s10
	s_cbranch_execnz .LBB157_72
.LBB157_56:
	s_or_b32 exec_lo, exec_lo, s0
	s_and_saveexec_b32 s0, s11
	s_cbranch_execnz .LBB157_73
.LBB157_57:
	s_or_b32 exec_lo, exec_lo, s0
	s_and_saveexec_b32 s0, s12
	s_cbranch_execnz .LBB157_74
.LBB157_58:
	s_or_b32 exec_lo, exec_lo, s0
	s_and_saveexec_b32 s0, s13
	s_cbranch_execnz .LBB157_75
.LBB157_59:
	s_or_b32 exec_lo, exec_lo, s0
	s_and_saveexec_b32 s0, s14
	s_cbranch_execnz .LBB157_76
.LBB157_60:
	s_or_b32 exec_lo, exec_lo, s0
	s_and_saveexec_b32 s0, s15
	s_cbranch_execnz .LBB157_77
.LBB157_61:
	s_or_b32 exec_lo, exec_lo, s0
	s_and_saveexec_b32 s0, s16
	s_cbranch_execnz .LBB157_78
.LBB157_62:
	s_nop 0
	s_sendmsg sendmsg(MSG_DEALLOC_VGPRS)
	s_endpgm
.LBB157_63:
	ds_load_b64 v[32:33], v68
	s_waitcnt lgkmcnt(0)
	global_store_b64 v[2:3], v[32:33], off
	s_or_b32 exec_lo, exec_lo, s0
	s_and_saveexec_b32 s0, s2
	s_cbranch_execz .LBB157_48
.LBB157_64:
	s_waitcnt lgkmcnt(14)
	global_store_b64 v[2:3], v[30:31], off offset:2048
	s_or_b32 exec_lo, exec_lo, s0
	s_and_saveexec_b32 s0, s3
	s_cbranch_execz .LBB157_49
.LBB157_65:
	s_waitcnt lgkmcnt(14)
	v_add_co_u32 v30, vcc_lo, 0x1000, v2
	v_add_co_ci_u32_e32 v31, vcc_lo, 0, v3, vcc_lo
	s_waitcnt lgkmcnt(13)
	global_store_b64 v[30:31], v[28:29], off
	s_or_b32 exec_lo, exec_lo, s0
	s_and_saveexec_b32 s0, s4
	s_cbranch_execz .LBB157_50
.LBB157_66:
	s_waitcnt lgkmcnt(13)
	v_add_co_u32 v28, vcc_lo, 0x1000, v2
	v_add_co_ci_u32_e32 v29, vcc_lo, 0, v3, vcc_lo
	s_waitcnt lgkmcnt(12)
	global_store_b64 v[28:29], v[26:27], off offset:2048
	s_or_b32 exec_lo, exec_lo, s0
	s_and_saveexec_b32 s0, s5
	s_cbranch_execz .LBB157_51
.LBB157_67:
	s_waitcnt lgkmcnt(12)
	v_add_co_u32 v26, vcc_lo, 0x2000, v2
	v_add_co_ci_u32_e32 v27, vcc_lo, 0, v3, vcc_lo
	s_waitcnt lgkmcnt(11)
	global_store_b64 v[26:27], v[24:25], off
	s_or_b32 exec_lo, exec_lo, s0
	s_and_saveexec_b32 s0, s6
	s_cbranch_execz .LBB157_52
.LBB157_68:
	s_waitcnt lgkmcnt(11)
	v_add_co_u32 v24, vcc_lo, 0x2000, v2
	v_add_co_ci_u32_e32 v25, vcc_lo, 0, v3, vcc_lo
	s_waitcnt lgkmcnt(10)
	global_store_b64 v[24:25], v[22:23], off offset:2048
	s_or_b32 exec_lo, exec_lo, s0
	s_and_saveexec_b32 s0, s7
	s_cbranch_execz .LBB157_53
.LBB157_69:
	s_waitcnt lgkmcnt(10)
	v_add_co_u32 v22, vcc_lo, 0x3000, v2
	v_add_co_ci_u32_e32 v23, vcc_lo, 0, v3, vcc_lo
	s_waitcnt lgkmcnt(9)
	global_store_b64 v[22:23], v[20:21], off
	s_or_b32 exec_lo, exec_lo, s0
	s_and_saveexec_b32 s0, s8
	s_cbranch_execz .LBB157_54
.LBB157_70:
	s_waitcnt lgkmcnt(9)
	v_add_co_u32 v20, vcc_lo, 0x3000, v2
	v_add_co_ci_u32_e32 v21, vcc_lo, 0, v3, vcc_lo
	s_waitcnt lgkmcnt(8)
	global_store_b64 v[20:21], v[18:19], off offset:2048
	s_or_b32 exec_lo, exec_lo, s0
	s_and_saveexec_b32 s0, s9
	s_cbranch_execz .LBB157_55
.LBB157_71:
	s_waitcnt lgkmcnt(8)
	v_add_co_u32 v18, vcc_lo, 0x4000, v2
	v_add_co_ci_u32_e32 v19, vcc_lo, 0, v3, vcc_lo
	s_waitcnt lgkmcnt(7)
	global_store_b64 v[18:19], v[16:17], off
	s_or_b32 exec_lo, exec_lo, s0
	s_and_saveexec_b32 s0, s10
	s_cbranch_execz .LBB157_56
.LBB157_72:
	s_waitcnt lgkmcnt(7)
	v_add_co_u32 v16, vcc_lo, 0x4000, v2
	v_add_co_ci_u32_e32 v17, vcc_lo, 0, v3, vcc_lo
	s_waitcnt lgkmcnt(6)
	global_store_b64 v[16:17], v[14:15], off offset:2048
	s_or_b32 exec_lo, exec_lo, s0
	s_and_saveexec_b32 s0, s11
	s_cbranch_execz .LBB157_57
.LBB157_73:
	s_waitcnt lgkmcnt(6)
	v_add_co_u32 v14, vcc_lo, 0x5000, v2
	v_add_co_ci_u32_e32 v15, vcc_lo, 0, v3, vcc_lo
	s_waitcnt lgkmcnt(5)
	global_store_b64 v[14:15], v[12:13], off
	s_or_b32 exec_lo, exec_lo, s0
	s_and_saveexec_b32 s0, s12
	s_cbranch_execz .LBB157_58
.LBB157_74:
	s_waitcnt lgkmcnt(5)
	v_add_co_u32 v12, vcc_lo, 0x5000, v2
	v_add_co_ci_u32_e32 v13, vcc_lo, 0, v3, vcc_lo
	s_waitcnt lgkmcnt(4)
	global_store_b64 v[12:13], v[10:11], off offset:2048
	s_or_b32 exec_lo, exec_lo, s0
	s_and_saveexec_b32 s0, s13
	s_cbranch_execz .LBB157_59
.LBB157_75:
	s_waitcnt lgkmcnt(4)
	v_add_co_u32 v10, vcc_lo, 0x6000, v2
	v_add_co_ci_u32_e32 v11, vcc_lo, 0, v3, vcc_lo
	s_waitcnt lgkmcnt(3)
	global_store_b64 v[10:11], v[8:9], off
	s_or_b32 exec_lo, exec_lo, s0
	s_and_saveexec_b32 s0, s14
	s_cbranch_execz .LBB157_60
.LBB157_76:
	s_waitcnt lgkmcnt(3)
	v_add_co_u32 v8, vcc_lo, 0x6000, v2
	v_add_co_ci_u32_e32 v9, vcc_lo, 0, v3, vcc_lo
	s_waitcnt lgkmcnt(2)
	global_store_b64 v[8:9], v[6:7], off offset:2048
	s_or_b32 exec_lo, exec_lo, s0
	s_and_saveexec_b32 s0, s15
	s_cbranch_execz .LBB157_61
.LBB157_77:
	s_waitcnt lgkmcnt(2)
	v_add_co_u32 v6, vcc_lo, 0x7000, v2
	v_add_co_ci_u32_e32 v7, vcc_lo, 0, v3, vcc_lo
	s_waitcnt lgkmcnt(1)
	global_store_b64 v[6:7], v[4:5], off
	s_or_b32 exec_lo, exec_lo, s0
	s_and_saveexec_b32 s0, s16
	s_cbranch_execz .LBB157_62
.LBB157_78:
	v_add_co_u32 v2, vcc_lo, 0x7000, v2
	v_add_co_ci_u32_e32 v3, vcc_lo, 0, v3, vcc_lo
	s_waitcnt lgkmcnt(0)
	global_store_b64 v[2:3], v[0:1], off offset:2048
	s_nop 0
	s_sendmsg sendmsg(MSG_DEALLOC_VGPRS)
	s_endpgm
	.section	.rodata,"a",@progbits
	.p2align	6, 0x0
	.amdhsa_kernel _ZN7rocprim17ROCPRIM_400000_NS6detail17trampoline_kernelINS0_14default_configENS1_20scan_config_selectorIlEEZZNS1_9scan_implILNS1_25lookback_scan_determinismE0ELb0ELb0ES3_PlS8_lN6thrust23THRUST_200600_302600_NS4plusIvEElEEDaPvRmT3_T4_T5_mT6_P12ihipStream_tbENKUlT_T0_E_clISt17integral_constantIbLb0EESP_IbLb1EEEEDaSL_SM_EUlSL_E0_NS1_11comp_targetILNS1_3genE9ELNS1_11target_archE1100ELNS1_3gpuE3ELNS1_3repE0EEENS1_30default_config_static_selectorELNS0_4arch9wavefront6targetE0EEEvT1_
		.amdhsa_group_segment_fixed_size 33792
		.amdhsa_private_segment_fixed_size 0
		.amdhsa_kernarg_size 40
		.amdhsa_user_sgpr_count 15
		.amdhsa_user_sgpr_dispatch_ptr 0
		.amdhsa_user_sgpr_queue_ptr 0
		.amdhsa_user_sgpr_kernarg_segment_ptr 1
		.amdhsa_user_sgpr_dispatch_id 0
		.amdhsa_user_sgpr_private_segment_size 0
		.amdhsa_wavefront_size32 1
		.amdhsa_uses_dynamic_stack 0
		.amdhsa_enable_private_segment 0
		.amdhsa_system_sgpr_workgroup_id_x 1
		.amdhsa_system_sgpr_workgroup_id_y 0
		.amdhsa_system_sgpr_workgroup_id_z 0
		.amdhsa_system_sgpr_workgroup_info 0
		.amdhsa_system_vgpr_workitem_id 0
		.amdhsa_next_free_vgpr 100
		.amdhsa_next_free_sgpr 24
		.amdhsa_reserve_vcc 1
		.amdhsa_float_round_mode_32 0
		.amdhsa_float_round_mode_16_64 0
		.amdhsa_float_denorm_mode_32 3
		.amdhsa_float_denorm_mode_16_64 3
		.amdhsa_dx10_clamp 1
		.amdhsa_ieee_mode 1
		.amdhsa_fp16_overflow 0
		.amdhsa_workgroup_processor_mode 1
		.amdhsa_memory_ordered 1
		.amdhsa_forward_progress 0
		.amdhsa_shared_vgpr_count 0
		.amdhsa_exception_fp_ieee_invalid_op 0
		.amdhsa_exception_fp_denorm_src 0
		.amdhsa_exception_fp_ieee_div_zero 0
		.amdhsa_exception_fp_ieee_overflow 0
		.amdhsa_exception_fp_ieee_underflow 0
		.amdhsa_exception_fp_ieee_inexact 0
		.amdhsa_exception_int_div_zero 0
	.end_amdhsa_kernel
	.section	.text._ZN7rocprim17ROCPRIM_400000_NS6detail17trampoline_kernelINS0_14default_configENS1_20scan_config_selectorIlEEZZNS1_9scan_implILNS1_25lookback_scan_determinismE0ELb0ELb0ES3_PlS8_lN6thrust23THRUST_200600_302600_NS4plusIvEElEEDaPvRmT3_T4_T5_mT6_P12ihipStream_tbENKUlT_T0_E_clISt17integral_constantIbLb0EESP_IbLb1EEEEDaSL_SM_EUlSL_E0_NS1_11comp_targetILNS1_3genE9ELNS1_11target_archE1100ELNS1_3gpuE3ELNS1_3repE0EEENS1_30default_config_static_selectorELNS0_4arch9wavefront6targetE0EEEvT1_,"axG",@progbits,_ZN7rocprim17ROCPRIM_400000_NS6detail17trampoline_kernelINS0_14default_configENS1_20scan_config_selectorIlEEZZNS1_9scan_implILNS1_25lookback_scan_determinismE0ELb0ELb0ES3_PlS8_lN6thrust23THRUST_200600_302600_NS4plusIvEElEEDaPvRmT3_T4_T5_mT6_P12ihipStream_tbENKUlT_T0_E_clISt17integral_constantIbLb0EESP_IbLb1EEEEDaSL_SM_EUlSL_E0_NS1_11comp_targetILNS1_3genE9ELNS1_11target_archE1100ELNS1_3gpuE3ELNS1_3repE0EEENS1_30default_config_static_selectorELNS0_4arch9wavefront6targetE0EEEvT1_,comdat
.Lfunc_end157:
	.size	_ZN7rocprim17ROCPRIM_400000_NS6detail17trampoline_kernelINS0_14default_configENS1_20scan_config_selectorIlEEZZNS1_9scan_implILNS1_25lookback_scan_determinismE0ELb0ELb0ES3_PlS8_lN6thrust23THRUST_200600_302600_NS4plusIvEElEEDaPvRmT3_T4_T5_mT6_P12ihipStream_tbENKUlT_T0_E_clISt17integral_constantIbLb0EESP_IbLb1EEEEDaSL_SM_EUlSL_E0_NS1_11comp_targetILNS1_3genE9ELNS1_11target_archE1100ELNS1_3gpuE3ELNS1_3repE0EEENS1_30default_config_static_selectorELNS0_4arch9wavefront6targetE0EEEvT1_, .Lfunc_end157-_ZN7rocprim17ROCPRIM_400000_NS6detail17trampoline_kernelINS0_14default_configENS1_20scan_config_selectorIlEEZZNS1_9scan_implILNS1_25lookback_scan_determinismE0ELb0ELb0ES3_PlS8_lN6thrust23THRUST_200600_302600_NS4plusIvEElEEDaPvRmT3_T4_T5_mT6_P12ihipStream_tbENKUlT_T0_E_clISt17integral_constantIbLb0EESP_IbLb1EEEEDaSL_SM_EUlSL_E0_NS1_11comp_targetILNS1_3genE9ELNS1_11target_archE1100ELNS1_3gpuE3ELNS1_3repE0EEENS1_30default_config_static_selectorELNS0_4arch9wavefront6targetE0EEEvT1_
                                        ; -- End function
	.section	.AMDGPU.csdata,"",@progbits
; Kernel info:
; codeLenInByte = 4168
; NumSgprs: 26
; NumVgprs: 100
; ScratchSize: 0
; MemoryBound: 0
; FloatMode: 240
; IeeeMode: 1
; LDSByteSize: 33792 bytes/workgroup (compile time only)
; SGPRBlocks: 3
; VGPRBlocks: 12
; NumSGPRsForWavesPerEU: 26
; NumVGPRsForWavesPerEU: 100
; Occupancy: 6
; WaveLimiterHint : 0
; COMPUTE_PGM_RSRC2:SCRATCH_EN: 0
; COMPUTE_PGM_RSRC2:USER_SGPR: 15
; COMPUTE_PGM_RSRC2:TRAP_HANDLER: 0
; COMPUTE_PGM_RSRC2:TGID_X_EN: 1
; COMPUTE_PGM_RSRC2:TGID_Y_EN: 0
; COMPUTE_PGM_RSRC2:TGID_Z_EN: 0
; COMPUTE_PGM_RSRC2:TIDIG_COMP_CNT: 0
	.section	.text._ZN7rocprim17ROCPRIM_400000_NS6detail17trampoline_kernelINS0_14default_configENS1_20scan_config_selectorIlEEZZNS1_9scan_implILNS1_25lookback_scan_determinismE0ELb0ELb0ES3_PlS8_lN6thrust23THRUST_200600_302600_NS4plusIvEElEEDaPvRmT3_T4_T5_mT6_P12ihipStream_tbENKUlT_T0_E_clISt17integral_constantIbLb0EESP_IbLb1EEEEDaSL_SM_EUlSL_E0_NS1_11comp_targetILNS1_3genE8ELNS1_11target_archE1030ELNS1_3gpuE2ELNS1_3repE0EEENS1_30default_config_static_selectorELNS0_4arch9wavefront6targetE0EEEvT1_,"axG",@progbits,_ZN7rocprim17ROCPRIM_400000_NS6detail17trampoline_kernelINS0_14default_configENS1_20scan_config_selectorIlEEZZNS1_9scan_implILNS1_25lookback_scan_determinismE0ELb0ELb0ES3_PlS8_lN6thrust23THRUST_200600_302600_NS4plusIvEElEEDaPvRmT3_T4_T5_mT6_P12ihipStream_tbENKUlT_T0_E_clISt17integral_constantIbLb0EESP_IbLb1EEEEDaSL_SM_EUlSL_E0_NS1_11comp_targetILNS1_3genE8ELNS1_11target_archE1030ELNS1_3gpuE2ELNS1_3repE0EEENS1_30default_config_static_selectorELNS0_4arch9wavefront6targetE0EEEvT1_,comdat
	.protected	_ZN7rocprim17ROCPRIM_400000_NS6detail17trampoline_kernelINS0_14default_configENS1_20scan_config_selectorIlEEZZNS1_9scan_implILNS1_25lookback_scan_determinismE0ELb0ELb0ES3_PlS8_lN6thrust23THRUST_200600_302600_NS4plusIvEElEEDaPvRmT3_T4_T5_mT6_P12ihipStream_tbENKUlT_T0_E_clISt17integral_constantIbLb0EESP_IbLb1EEEEDaSL_SM_EUlSL_E0_NS1_11comp_targetILNS1_3genE8ELNS1_11target_archE1030ELNS1_3gpuE2ELNS1_3repE0EEENS1_30default_config_static_selectorELNS0_4arch9wavefront6targetE0EEEvT1_ ; -- Begin function _ZN7rocprim17ROCPRIM_400000_NS6detail17trampoline_kernelINS0_14default_configENS1_20scan_config_selectorIlEEZZNS1_9scan_implILNS1_25lookback_scan_determinismE0ELb0ELb0ES3_PlS8_lN6thrust23THRUST_200600_302600_NS4plusIvEElEEDaPvRmT3_T4_T5_mT6_P12ihipStream_tbENKUlT_T0_E_clISt17integral_constantIbLb0EESP_IbLb1EEEEDaSL_SM_EUlSL_E0_NS1_11comp_targetILNS1_3genE8ELNS1_11target_archE1030ELNS1_3gpuE2ELNS1_3repE0EEENS1_30default_config_static_selectorELNS0_4arch9wavefront6targetE0EEEvT1_
	.globl	_ZN7rocprim17ROCPRIM_400000_NS6detail17trampoline_kernelINS0_14default_configENS1_20scan_config_selectorIlEEZZNS1_9scan_implILNS1_25lookback_scan_determinismE0ELb0ELb0ES3_PlS8_lN6thrust23THRUST_200600_302600_NS4plusIvEElEEDaPvRmT3_T4_T5_mT6_P12ihipStream_tbENKUlT_T0_E_clISt17integral_constantIbLb0EESP_IbLb1EEEEDaSL_SM_EUlSL_E0_NS1_11comp_targetILNS1_3genE8ELNS1_11target_archE1030ELNS1_3gpuE2ELNS1_3repE0EEENS1_30default_config_static_selectorELNS0_4arch9wavefront6targetE0EEEvT1_
	.p2align	8
	.type	_ZN7rocprim17ROCPRIM_400000_NS6detail17trampoline_kernelINS0_14default_configENS1_20scan_config_selectorIlEEZZNS1_9scan_implILNS1_25lookback_scan_determinismE0ELb0ELb0ES3_PlS8_lN6thrust23THRUST_200600_302600_NS4plusIvEElEEDaPvRmT3_T4_T5_mT6_P12ihipStream_tbENKUlT_T0_E_clISt17integral_constantIbLb0EESP_IbLb1EEEEDaSL_SM_EUlSL_E0_NS1_11comp_targetILNS1_3genE8ELNS1_11target_archE1030ELNS1_3gpuE2ELNS1_3repE0EEENS1_30default_config_static_selectorELNS0_4arch9wavefront6targetE0EEEvT1_,@function
_ZN7rocprim17ROCPRIM_400000_NS6detail17trampoline_kernelINS0_14default_configENS1_20scan_config_selectorIlEEZZNS1_9scan_implILNS1_25lookback_scan_determinismE0ELb0ELb0ES3_PlS8_lN6thrust23THRUST_200600_302600_NS4plusIvEElEEDaPvRmT3_T4_T5_mT6_P12ihipStream_tbENKUlT_T0_E_clISt17integral_constantIbLb0EESP_IbLb1EEEEDaSL_SM_EUlSL_E0_NS1_11comp_targetILNS1_3genE8ELNS1_11target_archE1030ELNS1_3gpuE2ELNS1_3repE0EEENS1_30default_config_static_selectorELNS0_4arch9wavefront6targetE0EEEvT1_: ; @_ZN7rocprim17ROCPRIM_400000_NS6detail17trampoline_kernelINS0_14default_configENS1_20scan_config_selectorIlEEZZNS1_9scan_implILNS1_25lookback_scan_determinismE0ELb0ELb0ES3_PlS8_lN6thrust23THRUST_200600_302600_NS4plusIvEElEEDaPvRmT3_T4_T5_mT6_P12ihipStream_tbENKUlT_T0_E_clISt17integral_constantIbLb0EESP_IbLb1EEEEDaSL_SM_EUlSL_E0_NS1_11comp_targetILNS1_3genE8ELNS1_11target_archE1030ELNS1_3gpuE2ELNS1_3repE0EEENS1_30default_config_static_selectorELNS0_4arch9wavefront6targetE0EEEvT1_
; %bb.0:
	.section	.rodata,"a",@progbits
	.p2align	6, 0x0
	.amdhsa_kernel _ZN7rocprim17ROCPRIM_400000_NS6detail17trampoline_kernelINS0_14default_configENS1_20scan_config_selectorIlEEZZNS1_9scan_implILNS1_25lookback_scan_determinismE0ELb0ELb0ES3_PlS8_lN6thrust23THRUST_200600_302600_NS4plusIvEElEEDaPvRmT3_T4_T5_mT6_P12ihipStream_tbENKUlT_T0_E_clISt17integral_constantIbLb0EESP_IbLb1EEEEDaSL_SM_EUlSL_E0_NS1_11comp_targetILNS1_3genE8ELNS1_11target_archE1030ELNS1_3gpuE2ELNS1_3repE0EEENS1_30default_config_static_selectorELNS0_4arch9wavefront6targetE0EEEvT1_
		.amdhsa_group_segment_fixed_size 0
		.amdhsa_private_segment_fixed_size 0
		.amdhsa_kernarg_size 40
		.amdhsa_user_sgpr_count 15
		.amdhsa_user_sgpr_dispatch_ptr 0
		.amdhsa_user_sgpr_queue_ptr 0
		.amdhsa_user_sgpr_kernarg_segment_ptr 1
		.amdhsa_user_sgpr_dispatch_id 0
		.amdhsa_user_sgpr_private_segment_size 0
		.amdhsa_wavefront_size32 1
		.amdhsa_uses_dynamic_stack 0
		.amdhsa_enable_private_segment 0
		.amdhsa_system_sgpr_workgroup_id_x 1
		.amdhsa_system_sgpr_workgroup_id_y 0
		.amdhsa_system_sgpr_workgroup_id_z 0
		.amdhsa_system_sgpr_workgroup_info 0
		.amdhsa_system_vgpr_workitem_id 0
		.amdhsa_next_free_vgpr 1
		.amdhsa_next_free_sgpr 1
		.amdhsa_reserve_vcc 0
		.amdhsa_float_round_mode_32 0
		.amdhsa_float_round_mode_16_64 0
		.amdhsa_float_denorm_mode_32 3
		.amdhsa_float_denorm_mode_16_64 3
		.amdhsa_dx10_clamp 1
		.amdhsa_ieee_mode 1
		.amdhsa_fp16_overflow 0
		.amdhsa_workgroup_processor_mode 1
		.amdhsa_memory_ordered 1
		.amdhsa_forward_progress 0
		.amdhsa_shared_vgpr_count 0
		.amdhsa_exception_fp_ieee_invalid_op 0
		.amdhsa_exception_fp_denorm_src 0
		.amdhsa_exception_fp_ieee_div_zero 0
		.amdhsa_exception_fp_ieee_overflow 0
		.amdhsa_exception_fp_ieee_underflow 0
		.amdhsa_exception_fp_ieee_inexact 0
		.amdhsa_exception_int_div_zero 0
	.end_amdhsa_kernel
	.section	.text._ZN7rocprim17ROCPRIM_400000_NS6detail17trampoline_kernelINS0_14default_configENS1_20scan_config_selectorIlEEZZNS1_9scan_implILNS1_25lookback_scan_determinismE0ELb0ELb0ES3_PlS8_lN6thrust23THRUST_200600_302600_NS4plusIvEElEEDaPvRmT3_T4_T5_mT6_P12ihipStream_tbENKUlT_T0_E_clISt17integral_constantIbLb0EESP_IbLb1EEEEDaSL_SM_EUlSL_E0_NS1_11comp_targetILNS1_3genE8ELNS1_11target_archE1030ELNS1_3gpuE2ELNS1_3repE0EEENS1_30default_config_static_selectorELNS0_4arch9wavefront6targetE0EEEvT1_,"axG",@progbits,_ZN7rocprim17ROCPRIM_400000_NS6detail17trampoline_kernelINS0_14default_configENS1_20scan_config_selectorIlEEZZNS1_9scan_implILNS1_25lookback_scan_determinismE0ELb0ELb0ES3_PlS8_lN6thrust23THRUST_200600_302600_NS4plusIvEElEEDaPvRmT3_T4_T5_mT6_P12ihipStream_tbENKUlT_T0_E_clISt17integral_constantIbLb0EESP_IbLb1EEEEDaSL_SM_EUlSL_E0_NS1_11comp_targetILNS1_3genE8ELNS1_11target_archE1030ELNS1_3gpuE2ELNS1_3repE0EEENS1_30default_config_static_selectorELNS0_4arch9wavefront6targetE0EEEvT1_,comdat
.Lfunc_end158:
	.size	_ZN7rocprim17ROCPRIM_400000_NS6detail17trampoline_kernelINS0_14default_configENS1_20scan_config_selectorIlEEZZNS1_9scan_implILNS1_25lookback_scan_determinismE0ELb0ELb0ES3_PlS8_lN6thrust23THRUST_200600_302600_NS4plusIvEElEEDaPvRmT3_T4_T5_mT6_P12ihipStream_tbENKUlT_T0_E_clISt17integral_constantIbLb0EESP_IbLb1EEEEDaSL_SM_EUlSL_E0_NS1_11comp_targetILNS1_3genE8ELNS1_11target_archE1030ELNS1_3gpuE2ELNS1_3repE0EEENS1_30default_config_static_selectorELNS0_4arch9wavefront6targetE0EEEvT1_, .Lfunc_end158-_ZN7rocprim17ROCPRIM_400000_NS6detail17trampoline_kernelINS0_14default_configENS1_20scan_config_selectorIlEEZZNS1_9scan_implILNS1_25lookback_scan_determinismE0ELb0ELb0ES3_PlS8_lN6thrust23THRUST_200600_302600_NS4plusIvEElEEDaPvRmT3_T4_T5_mT6_P12ihipStream_tbENKUlT_T0_E_clISt17integral_constantIbLb0EESP_IbLb1EEEEDaSL_SM_EUlSL_E0_NS1_11comp_targetILNS1_3genE8ELNS1_11target_archE1030ELNS1_3gpuE2ELNS1_3repE0EEENS1_30default_config_static_selectorELNS0_4arch9wavefront6targetE0EEEvT1_
                                        ; -- End function
	.section	.AMDGPU.csdata,"",@progbits
; Kernel info:
; codeLenInByte = 0
; NumSgprs: 0
; NumVgprs: 0
; ScratchSize: 0
; MemoryBound: 0
; FloatMode: 240
; IeeeMode: 1
; LDSByteSize: 0 bytes/workgroup (compile time only)
; SGPRBlocks: 0
; VGPRBlocks: 0
; NumSGPRsForWavesPerEU: 1
; NumVGPRsForWavesPerEU: 1
; Occupancy: 16
; WaveLimiterHint : 0
; COMPUTE_PGM_RSRC2:SCRATCH_EN: 0
; COMPUTE_PGM_RSRC2:USER_SGPR: 15
; COMPUTE_PGM_RSRC2:TRAP_HANDLER: 0
; COMPUTE_PGM_RSRC2:TGID_X_EN: 1
; COMPUTE_PGM_RSRC2:TGID_Y_EN: 0
; COMPUTE_PGM_RSRC2:TGID_Z_EN: 0
; COMPUTE_PGM_RSRC2:TIDIG_COMP_CNT: 0
	.section	.text._ZN6thrust23THRUST_200600_302600_NS11hip_rocprim14__parallel_for6kernelILj256ENS1_11__transform17unary_transform_fIPlNS0_20permutation_iteratorIS6_PKlEENS4_14no_stencil_tagENS1_8identityENS4_21always_true_predicateEEElLj1EEEvT0_T1_SG_,"axG",@progbits,_ZN6thrust23THRUST_200600_302600_NS11hip_rocprim14__parallel_for6kernelILj256ENS1_11__transform17unary_transform_fIPlNS0_20permutation_iteratorIS6_PKlEENS4_14no_stencil_tagENS1_8identityENS4_21always_true_predicateEEElLj1EEEvT0_T1_SG_,comdat
	.protected	_ZN6thrust23THRUST_200600_302600_NS11hip_rocprim14__parallel_for6kernelILj256ENS1_11__transform17unary_transform_fIPlNS0_20permutation_iteratorIS6_PKlEENS4_14no_stencil_tagENS1_8identityENS4_21always_true_predicateEEElLj1EEEvT0_T1_SG_ ; -- Begin function _ZN6thrust23THRUST_200600_302600_NS11hip_rocprim14__parallel_for6kernelILj256ENS1_11__transform17unary_transform_fIPlNS0_20permutation_iteratorIS6_PKlEENS4_14no_stencil_tagENS1_8identityENS4_21always_true_predicateEEElLj1EEEvT0_T1_SG_
	.globl	_ZN6thrust23THRUST_200600_302600_NS11hip_rocprim14__parallel_for6kernelILj256ENS1_11__transform17unary_transform_fIPlNS0_20permutation_iteratorIS6_PKlEENS4_14no_stencil_tagENS1_8identityENS4_21always_true_predicateEEElLj1EEEvT0_T1_SG_
	.p2align	8
	.type	_ZN6thrust23THRUST_200600_302600_NS11hip_rocprim14__parallel_for6kernelILj256ENS1_11__transform17unary_transform_fIPlNS0_20permutation_iteratorIS6_PKlEENS4_14no_stencil_tagENS1_8identityENS4_21always_true_predicateEEElLj1EEEvT0_T1_SG_,@function
_ZN6thrust23THRUST_200600_302600_NS11hip_rocprim14__parallel_for6kernelILj256ENS1_11__transform17unary_transform_fIPlNS0_20permutation_iteratorIS6_PKlEENS4_14no_stencil_tagENS1_8identityENS4_21always_true_predicateEEElLj1EEEvT0_T1_SG_: ; @_ZN6thrust23THRUST_200600_302600_NS11hip_rocprim14__parallel_for6kernelILj256ENS1_11__transform17unary_transform_fIPlNS0_20permutation_iteratorIS6_PKlEENS4_14no_stencil_tagENS1_8identityENS4_21always_true_predicateEEElLj1EEEvT0_T1_SG_
; %bb.0:
	s_load_b128 s[4:7], s[0:1], 0x20
	s_lshl_b32 s2, s15, 8
	s_waitcnt lgkmcnt(0)
	s_add_u32 s2, s2, s6
	s_addc_u32 s3, 0, s7
	s_sub_u32 s4, s4, s2
	s_subb_u32 s5, s5, s3
	s_delay_alu instid0(SALU_CYCLE_1) | instskip(NEXT) | instid1(VALU_DEP_1)
	v_cmp_gt_i64_e64 s5, 0x100, s[4:5]
	s_and_b32 s5, s5, exec_lo
	s_cselect_b32 s4, s4, 0x100
	s_delay_alu instid0(SALU_CYCLE_1) | instskip(SKIP_2) | instid1(SALU_CYCLE_1)
	v_cmp_gt_u32_e32 vcc_lo, s4, v0
	s_cmpk_eq_i32 s4, 0x100
	s_cselect_b32 s4, -1, 0
	s_or_b32 s4, s4, vcc_lo
	s_delay_alu instid0(SALU_CYCLE_1)
	s_and_saveexec_b32 s5, s4
	s_cbranch_execz .LBB159_2
; %bb.1:
	s_load_b128 s[4:7], s[0:1], 0x0
	v_add_co_u32 v0, s2, s2, v0
	s_delay_alu instid0(VALU_DEP_1) | instskip(SKIP_1) | instid1(VALU_DEP_1)
	v_add_co_ci_u32_e64 v1, null, s3, 0, s2
	s_load_b64 s[0:1], s[0:1], 0x10
	v_lshlrev_b64 v[0:1], 3, v[0:1]
	s_waitcnt lgkmcnt(0)
	s_delay_alu instid0(VALU_DEP_1) | instskip(NEXT) | instid1(VALU_DEP_2)
	v_add_co_u32 v2, vcc_lo, s6, v0
	v_add_co_ci_u32_e32 v3, vcc_lo, s7, v1, vcc_lo
	v_add_co_u32 v0, vcc_lo, s4, v0
	v_add_co_ci_u32_e32 v1, vcc_lo, s5, v1, vcc_lo
	global_load_b64 v[2:3], v[2:3], off
	global_load_b64 v[0:1], v[0:1], off
	s_waitcnt vmcnt(1)
	v_lshlrev_b64 v[2:3], 3, v[2:3]
	s_delay_alu instid0(VALU_DEP_1) | instskip(NEXT) | instid1(VALU_DEP_2)
	v_add_co_u32 v2, vcc_lo, s0, v2
	v_add_co_ci_u32_e32 v3, vcc_lo, s1, v3, vcc_lo
	s_waitcnt vmcnt(0)
	global_store_b64 v[2:3], v[0:1], off
.LBB159_2:
	s_nop 0
	s_sendmsg sendmsg(MSG_DEALLOC_VGPRS)
	s_endpgm
	.section	.rodata,"a",@progbits
	.p2align	6, 0x0
	.amdhsa_kernel _ZN6thrust23THRUST_200600_302600_NS11hip_rocprim14__parallel_for6kernelILj256ENS1_11__transform17unary_transform_fIPlNS0_20permutation_iteratorIS6_PKlEENS4_14no_stencil_tagENS1_8identityENS4_21always_true_predicateEEElLj1EEEvT0_T1_SG_
		.amdhsa_group_segment_fixed_size 0
		.amdhsa_private_segment_fixed_size 0
		.amdhsa_kernarg_size 48
		.amdhsa_user_sgpr_count 15
		.amdhsa_user_sgpr_dispatch_ptr 0
		.amdhsa_user_sgpr_queue_ptr 0
		.amdhsa_user_sgpr_kernarg_segment_ptr 1
		.amdhsa_user_sgpr_dispatch_id 0
		.amdhsa_user_sgpr_private_segment_size 0
		.amdhsa_wavefront_size32 1
		.amdhsa_uses_dynamic_stack 0
		.amdhsa_enable_private_segment 0
		.amdhsa_system_sgpr_workgroup_id_x 1
		.amdhsa_system_sgpr_workgroup_id_y 0
		.amdhsa_system_sgpr_workgroup_id_z 0
		.amdhsa_system_sgpr_workgroup_info 0
		.amdhsa_system_vgpr_workitem_id 0
		.amdhsa_next_free_vgpr 4
		.amdhsa_next_free_sgpr 16
		.amdhsa_reserve_vcc 1
		.amdhsa_float_round_mode_32 0
		.amdhsa_float_round_mode_16_64 0
		.amdhsa_float_denorm_mode_32 3
		.amdhsa_float_denorm_mode_16_64 3
		.amdhsa_dx10_clamp 1
		.amdhsa_ieee_mode 1
		.amdhsa_fp16_overflow 0
		.amdhsa_workgroup_processor_mode 1
		.amdhsa_memory_ordered 1
		.amdhsa_forward_progress 0
		.amdhsa_shared_vgpr_count 0
		.amdhsa_exception_fp_ieee_invalid_op 0
		.amdhsa_exception_fp_denorm_src 0
		.amdhsa_exception_fp_ieee_div_zero 0
		.amdhsa_exception_fp_ieee_overflow 0
		.amdhsa_exception_fp_ieee_underflow 0
		.amdhsa_exception_fp_ieee_inexact 0
		.amdhsa_exception_int_div_zero 0
	.end_amdhsa_kernel
	.section	.text._ZN6thrust23THRUST_200600_302600_NS11hip_rocprim14__parallel_for6kernelILj256ENS1_11__transform17unary_transform_fIPlNS0_20permutation_iteratorIS6_PKlEENS4_14no_stencil_tagENS1_8identityENS4_21always_true_predicateEEElLj1EEEvT0_T1_SG_,"axG",@progbits,_ZN6thrust23THRUST_200600_302600_NS11hip_rocprim14__parallel_for6kernelILj256ENS1_11__transform17unary_transform_fIPlNS0_20permutation_iteratorIS6_PKlEENS4_14no_stencil_tagENS1_8identityENS4_21always_true_predicateEEElLj1EEEvT0_T1_SG_,comdat
.Lfunc_end159:
	.size	_ZN6thrust23THRUST_200600_302600_NS11hip_rocprim14__parallel_for6kernelILj256ENS1_11__transform17unary_transform_fIPlNS0_20permutation_iteratorIS6_PKlEENS4_14no_stencil_tagENS1_8identityENS4_21always_true_predicateEEElLj1EEEvT0_T1_SG_, .Lfunc_end159-_ZN6thrust23THRUST_200600_302600_NS11hip_rocprim14__parallel_for6kernelILj256ENS1_11__transform17unary_transform_fIPlNS0_20permutation_iteratorIS6_PKlEENS4_14no_stencil_tagENS1_8identityENS4_21always_true_predicateEEElLj1EEEvT0_T1_SG_
                                        ; -- End function
	.section	.AMDGPU.csdata,"",@progbits
; Kernel info:
; codeLenInByte = 236
; NumSgprs: 18
; NumVgprs: 4
; ScratchSize: 0
; MemoryBound: 0
; FloatMode: 240
; IeeeMode: 1
; LDSByteSize: 0 bytes/workgroup (compile time only)
; SGPRBlocks: 2
; VGPRBlocks: 0
; NumSGPRsForWavesPerEU: 18
; NumVGPRsForWavesPerEU: 4
; Occupancy: 16
; WaveLimiterHint : 1
; COMPUTE_PGM_RSRC2:SCRATCH_EN: 0
; COMPUTE_PGM_RSRC2:USER_SGPR: 15
; COMPUTE_PGM_RSRC2:TRAP_HANDLER: 0
; COMPUTE_PGM_RSRC2:TGID_X_EN: 1
; COMPUTE_PGM_RSRC2:TGID_Y_EN: 0
; COMPUTE_PGM_RSRC2:TGID_Z_EN: 0
; COMPUTE_PGM_RSRC2:TIDIG_COMP_CNT: 0
	.section	.text._ZN7rocprim17ROCPRIM_400000_NS6detail31init_lookback_scan_state_kernelINS1_19lookback_scan_stateIjLb0ELb1EEENS1_16block_id_wrapperIjLb0EEEEEvT_jT0_jPNS7_10value_typeE,"axG",@progbits,_ZN7rocprim17ROCPRIM_400000_NS6detail31init_lookback_scan_state_kernelINS1_19lookback_scan_stateIjLb0ELb1EEENS1_16block_id_wrapperIjLb0EEEEEvT_jT0_jPNS7_10value_typeE,comdat
	.protected	_ZN7rocprim17ROCPRIM_400000_NS6detail31init_lookback_scan_state_kernelINS1_19lookback_scan_stateIjLb0ELb1EEENS1_16block_id_wrapperIjLb0EEEEEvT_jT0_jPNS7_10value_typeE ; -- Begin function _ZN7rocprim17ROCPRIM_400000_NS6detail31init_lookback_scan_state_kernelINS1_19lookback_scan_stateIjLb0ELb1EEENS1_16block_id_wrapperIjLb0EEEEEvT_jT0_jPNS7_10value_typeE
	.globl	_ZN7rocprim17ROCPRIM_400000_NS6detail31init_lookback_scan_state_kernelINS1_19lookback_scan_stateIjLb0ELb1EEENS1_16block_id_wrapperIjLb0EEEEEvT_jT0_jPNS7_10value_typeE
	.p2align	8
	.type	_ZN7rocprim17ROCPRIM_400000_NS6detail31init_lookback_scan_state_kernelINS1_19lookback_scan_stateIjLb0ELb1EEENS1_16block_id_wrapperIjLb0EEEEEvT_jT0_jPNS7_10value_typeE,@function
_ZN7rocprim17ROCPRIM_400000_NS6detail31init_lookback_scan_state_kernelINS1_19lookback_scan_stateIjLb0ELb1EEENS1_16block_id_wrapperIjLb0EEEEEvT_jT0_jPNS7_10value_typeE: ; @_ZN7rocprim17ROCPRIM_400000_NS6detail31init_lookback_scan_state_kernelINS1_19lookback_scan_stateIjLb0ELb1EEENS1_16block_id_wrapperIjLb0EEEEEvT_jT0_jPNS7_10value_typeE
; %bb.0:
	s_clause 0x3
	s_load_b32 s7, s[0:1], 0x2c
	s_load_b64 s[4:5], s[0:1], 0x18
	s_load_b64 s[2:3], s[0:1], 0x0
	s_load_b32 s6, s[0:1], 0x8
	s_waitcnt lgkmcnt(0)
	s_and_b32 s7, s7, 0xffff
	s_cmp_eq_u64 s[4:5], 0
	v_mad_u64_u32 v[1:2], null, s15, s7, v[0:1]
	s_cbranch_scc1 .LBB160_6
; %bb.1:
	s_load_b32 s0, s[0:1], 0x10
	s_waitcnt lgkmcnt(0)
	s_cmp_lt_u32 s0, s6
	s_cselect_b32 s1, s0, 0
	s_delay_alu instid0(VALU_DEP_1) | instid1(SALU_CYCLE_1)
	v_cmp_eq_u32_e32 vcc_lo, s1, v1
	s_mov_b32 s1, 0
	s_and_saveexec_b32 s7, vcc_lo
	s_cbranch_execz .LBB160_5
; %bb.2:
	s_add_i32 s0, s0, 32
	v_mov_b32_e32 v4, 0
	s_lshl_b64 s[0:1], s[0:1], 3
	s_delay_alu instid0(SALU_CYCLE_1) | instskip(SKIP_4) | instid1(VALU_DEP_1)
	s_add_u32 s0, s2, s0
	s_addc_u32 s1, s3, s1
	global_load_b64 v[2:3], v4, s[0:1] glc
	s_waitcnt vmcnt(0)
	v_and_b32_e32 v5, 0xff, v3
	v_cmp_ne_u64_e32 vcc_lo, 0, v[4:5]
	s_cbranch_vccnz .LBB160_4
.LBB160_3:                              ; =>This Inner Loop Header: Depth=1
	global_load_b64 v[2:3], v4, s[0:1] glc
	s_waitcnt vmcnt(0)
	v_and_b32_e32 v5, 0xff, v3
	s_delay_alu instid0(VALU_DEP_1)
	v_cmp_eq_u64_e32 vcc_lo, 0, v[4:5]
	s_cbranch_vccnz .LBB160_3
.LBB160_4:
	v_mov_b32_e32 v0, 0
	global_store_b32 v0, v2, s[4:5]
.LBB160_5:
	s_or_b32 exec_lo, exec_lo, s7
.LBB160_6:
	s_delay_alu instid0(SALU_CYCLE_1) | instskip(NEXT) | instid1(VALU_DEP_1)
	s_mov_b32 s0, exec_lo
	v_cmpx_gt_u32_e64 s6, v1
	s_cbranch_execz .LBB160_8
; %bb.7:
	v_dual_mov_b32 v3, 0 :: v_dual_add_nc_u32 v2, 32, v1
	s_delay_alu instid0(VALU_DEP_1) | instskip(SKIP_1) | instid1(VALU_DEP_2)
	v_lshlrev_b64 v[4:5], 3, v[2:3]
	v_mov_b32_e32 v2, v3
	v_add_co_u32 v4, vcc_lo, s2, v4
	s_delay_alu instid0(VALU_DEP_3)
	v_add_co_ci_u32_e32 v5, vcc_lo, s3, v5, vcc_lo
	global_store_b64 v[4:5], v[2:3], off
.LBB160_8:
	s_or_b32 exec_lo, exec_lo, s0
	s_delay_alu instid0(SALU_CYCLE_1)
	s_mov_b32 s0, exec_lo
	v_cmpx_gt_u32_e32 32, v1
	s_cbranch_execz .LBB160_10
; %bb.9:
	v_dual_mov_b32 v2, 0 :: v_dual_mov_b32 v3, 0xff
	s_delay_alu instid0(VALU_DEP_1) | instskip(NEXT) | instid1(VALU_DEP_1)
	v_lshlrev_b64 v[0:1], 3, v[1:2]
	v_add_co_u32 v0, vcc_lo, s2, v0
	s_delay_alu instid0(VALU_DEP_2)
	v_add_co_ci_u32_e32 v1, vcc_lo, s3, v1, vcc_lo
	global_store_b64 v[0:1], v[2:3], off
.LBB160_10:
	s_nop 0
	s_sendmsg sendmsg(MSG_DEALLOC_VGPRS)
	s_endpgm
	.section	.rodata,"a",@progbits
	.p2align	6, 0x0
	.amdhsa_kernel _ZN7rocprim17ROCPRIM_400000_NS6detail31init_lookback_scan_state_kernelINS1_19lookback_scan_stateIjLb0ELb1EEENS1_16block_id_wrapperIjLb0EEEEEvT_jT0_jPNS7_10value_typeE
		.amdhsa_group_segment_fixed_size 0
		.amdhsa_private_segment_fixed_size 0
		.amdhsa_kernarg_size 288
		.amdhsa_user_sgpr_count 15
		.amdhsa_user_sgpr_dispatch_ptr 0
		.amdhsa_user_sgpr_queue_ptr 0
		.amdhsa_user_sgpr_kernarg_segment_ptr 1
		.amdhsa_user_sgpr_dispatch_id 0
		.amdhsa_user_sgpr_private_segment_size 0
		.amdhsa_wavefront_size32 1
		.amdhsa_uses_dynamic_stack 0
		.amdhsa_enable_private_segment 0
		.amdhsa_system_sgpr_workgroup_id_x 1
		.amdhsa_system_sgpr_workgroup_id_y 0
		.amdhsa_system_sgpr_workgroup_id_z 0
		.amdhsa_system_sgpr_workgroup_info 0
		.amdhsa_system_vgpr_workitem_id 0
		.amdhsa_next_free_vgpr 6
		.amdhsa_next_free_sgpr 16
		.amdhsa_reserve_vcc 1
		.amdhsa_float_round_mode_32 0
		.amdhsa_float_round_mode_16_64 0
		.amdhsa_float_denorm_mode_32 3
		.amdhsa_float_denorm_mode_16_64 3
		.amdhsa_dx10_clamp 1
		.amdhsa_ieee_mode 1
		.amdhsa_fp16_overflow 0
		.amdhsa_workgroup_processor_mode 1
		.amdhsa_memory_ordered 1
		.amdhsa_forward_progress 0
		.amdhsa_shared_vgpr_count 0
		.amdhsa_exception_fp_ieee_invalid_op 0
		.amdhsa_exception_fp_denorm_src 0
		.amdhsa_exception_fp_ieee_div_zero 0
		.amdhsa_exception_fp_ieee_overflow 0
		.amdhsa_exception_fp_ieee_underflow 0
		.amdhsa_exception_fp_ieee_inexact 0
		.amdhsa_exception_int_div_zero 0
	.end_amdhsa_kernel
	.section	.text._ZN7rocprim17ROCPRIM_400000_NS6detail31init_lookback_scan_state_kernelINS1_19lookback_scan_stateIjLb0ELb1EEENS1_16block_id_wrapperIjLb0EEEEEvT_jT0_jPNS7_10value_typeE,"axG",@progbits,_ZN7rocprim17ROCPRIM_400000_NS6detail31init_lookback_scan_state_kernelINS1_19lookback_scan_stateIjLb0ELb1EEENS1_16block_id_wrapperIjLb0EEEEEvT_jT0_jPNS7_10value_typeE,comdat
.Lfunc_end160:
	.size	_ZN7rocprim17ROCPRIM_400000_NS6detail31init_lookback_scan_state_kernelINS1_19lookback_scan_stateIjLb0ELb1EEENS1_16block_id_wrapperIjLb0EEEEEvT_jT0_jPNS7_10value_typeE, .Lfunc_end160-_ZN7rocprim17ROCPRIM_400000_NS6detail31init_lookback_scan_state_kernelINS1_19lookback_scan_stateIjLb0ELb1EEENS1_16block_id_wrapperIjLb0EEEEEvT_jT0_jPNS7_10value_typeE
                                        ; -- End function
	.section	.AMDGPU.csdata,"",@progbits
; Kernel info:
; codeLenInByte = 352
; NumSgprs: 18
; NumVgprs: 6
; ScratchSize: 0
; MemoryBound: 0
; FloatMode: 240
; IeeeMode: 1
; LDSByteSize: 0 bytes/workgroup (compile time only)
; SGPRBlocks: 2
; VGPRBlocks: 0
; NumSGPRsForWavesPerEU: 18
; NumVGPRsForWavesPerEU: 6
; Occupancy: 16
; WaveLimiterHint : 0
; COMPUTE_PGM_RSRC2:SCRATCH_EN: 0
; COMPUTE_PGM_RSRC2:USER_SGPR: 15
; COMPUTE_PGM_RSRC2:TRAP_HANDLER: 0
; COMPUTE_PGM_RSRC2:TGID_X_EN: 1
; COMPUTE_PGM_RSRC2:TGID_Y_EN: 0
; COMPUTE_PGM_RSRC2:TGID_Z_EN: 0
; COMPUTE_PGM_RSRC2:TIDIG_COMP_CNT: 0
	.section	.text._ZN7rocprim17ROCPRIM_400000_NS6detail17trampoline_kernelINS0_14default_configENS1_25partition_config_selectorILNS1_17partition_subalgoE8ElNS0_10empty_typeEbEEZZNS1_14partition_implILS5_8ELb0ES3_jPlPS6_PKS6_NS0_5tupleIJS9_S6_EEENSD_IJSA_SA_EEENS0_18inequality_wrapperIZN2at6native12_GLOBAL__N_124unique_dim_cuda_templateIhEESt5tupleIJNSH_6TensorESM_SM_EERKSM_lbbbEUlllE0_EEPmJS6_EEE10hipError_tPvRmT3_T4_T5_T6_T7_T9_mT8_P12ihipStream_tbDpT10_ENKUlT_T0_E_clISt17integral_constantIbLb0EES1C_EEDaS17_S18_EUlS17_E_NS1_11comp_targetILNS1_3genE0ELNS1_11target_archE4294967295ELNS1_3gpuE0ELNS1_3repE0EEENS1_30default_config_static_selectorELNS0_4arch9wavefront6targetE0EEEvT1_,"axG",@progbits,_ZN7rocprim17ROCPRIM_400000_NS6detail17trampoline_kernelINS0_14default_configENS1_25partition_config_selectorILNS1_17partition_subalgoE8ElNS0_10empty_typeEbEEZZNS1_14partition_implILS5_8ELb0ES3_jPlPS6_PKS6_NS0_5tupleIJS9_S6_EEENSD_IJSA_SA_EEENS0_18inequality_wrapperIZN2at6native12_GLOBAL__N_124unique_dim_cuda_templateIhEESt5tupleIJNSH_6TensorESM_SM_EERKSM_lbbbEUlllE0_EEPmJS6_EEE10hipError_tPvRmT3_T4_T5_T6_T7_T9_mT8_P12ihipStream_tbDpT10_ENKUlT_T0_E_clISt17integral_constantIbLb0EES1C_EEDaS17_S18_EUlS17_E_NS1_11comp_targetILNS1_3genE0ELNS1_11target_archE4294967295ELNS1_3gpuE0ELNS1_3repE0EEENS1_30default_config_static_selectorELNS0_4arch9wavefront6targetE0EEEvT1_,comdat
	.globl	_ZN7rocprim17ROCPRIM_400000_NS6detail17trampoline_kernelINS0_14default_configENS1_25partition_config_selectorILNS1_17partition_subalgoE8ElNS0_10empty_typeEbEEZZNS1_14partition_implILS5_8ELb0ES3_jPlPS6_PKS6_NS0_5tupleIJS9_S6_EEENSD_IJSA_SA_EEENS0_18inequality_wrapperIZN2at6native12_GLOBAL__N_124unique_dim_cuda_templateIhEESt5tupleIJNSH_6TensorESM_SM_EERKSM_lbbbEUlllE0_EEPmJS6_EEE10hipError_tPvRmT3_T4_T5_T6_T7_T9_mT8_P12ihipStream_tbDpT10_ENKUlT_T0_E_clISt17integral_constantIbLb0EES1C_EEDaS17_S18_EUlS17_E_NS1_11comp_targetILNS1_3genE0ELNS1_11target_archE4294967295ELNS1_3gpuE0ELNS1_3repE0EEENS1_30default_config_static_selectorELNS0_4arch9wavefront6targetE0EEEvT1_ ; -- Begin function _ZN7rocprim17ROCPRIM_400000_NS6detail17trampoline_kernelINS0_14default_configENS1_25partition_config_selectorILNS1_17partition_subalgoE8ElNS0_10empty_typeEbEEZZNS1_14partition_implILS5_8ELb0ES3_jPlPS6_PKS6_NS0_5tupleIJS9_S6_EEENSD_IJSA_SA_EEENS0_18inequality_wrapperIZN2at6native12_GLOBAL__N_124unique_dim_cuda_templateIhEESt5tupleIJNSH_6TensorESM_SM_EERKSM_lbbbEUlllE0_EEPmJS6_EEE10hipError_tPvRmT3_T4_T5_T6_T7_T9_mT8_P12ihipStream_tbDpT10_ENKUlT_T0_E_clISt17integral_constantIbLb0EES1C_EEDaS17_S18_EUlS17_E_NS1_11comp_targetILNS1_3genE0ELNS1_11target_archE4294967295ELNS1_3gpuE0ELNS1_3repE0EEENS1_30default_config_static_selectorELNS0_4arch9wavefront6targetE0EEEvT1_
	.p2align	8
	.type	_ZN7rocprim17ROCPRIM_400000_NS6detail17trampoline_kernelINS0_14default_configENS1_25partition_config_selectorILNS1_17partition_subalgoE8ElNS0_10empty_typeEbEEZZNS1_14partition_implILS5_8ELb0ES3_jPlPS6_PKS6_NS0_5tupleIJS9_S6_EEENSD_IJSA_SA_EEENS0_18inequality_wrapperIZN2at6native12_GLOBAL__N_124unique_dim_cuda_templateIhEESt5tupleIJNSH_6TensorESM_SM_EERKSM_lbbbEUlllE0_EEPmJS6_EEE10hipError_tPvRmT3_T4_T5_T6_T7_T9_mT8_P12ihipStream_tbDpT10_ENKUlT_T0_E_clISt17integral_constantIbLb0EES1C_EEDaS17_S18_EUlS17_E_NS1_11comp_targetILNS1_3genE0ELNS1_11target_archE4294967295ELNS1_3gpuE0ELNS1_3repE0EEENS1_30default_config_static_selectorELNS0_4arch9wavefront6targetE0EEEvT1_,@function
_ZN7rocprim17ROCPRIM_400000_NS6detail17trampoline_kernelINS0_14default_configENS1_25partition_config_selectorILNS1_17partition_subalgoE8ElNS0_10empty_typeEbEEZZNS1_14partition_implILS5_8ELb0ES3_jPlPS6_PKS6_NS0_5tupleIJS9_S6_EEENSD_IJSA_SA_EEENS0_18inequality_wrapperIZN2at6native12_GLOBAL__N_124unique_dim_cuda_templateIhEESt5tupleIJNSH_6TensorESM_SM_EERKSM_lbbbEUlllE0_EEPmJS6_EEE10hipError_tPvRmT3_T4_T5_T6_T7_T9_mT8_P12ihipStream_tbDpT10_ENKUlT_T0_E_clISt17integral_constantIbLb0EES1C_EEDaS17_S18_EUlS17_E_NS1_11comp_targetILNS1_3genE0ELNS1_11target_archE4294967295ELNS1_3gpuE0ELNS1_3repE0EEENS1_30default_config_static_selectorELNS0_4arch9wavefront6targetE0EEEvT1_: ; @_ZN7rocprim17ROCPRIM_400000_NS6detail17trampoline_kernelINS0_14default_configENS1_25partition_config_selectorILNS1_17partition_subalgoE8ElNS0_10empty_typeEbEEZZNS1_14partition_implILS5_8ELb0ES3_jPlPS6_PKS6_NS0_5tupleIJS9_S6_EEENSD_IJSA_SA_EEENS0_18inequality_wrapperIZN2at6native12_GLOBAL__N_124unique_dim_cuda_templateIhEESt5tupleIJNSH_6TensorESM_SM_EERKSM_lbbbEUlllE0_EEPmJS6_EEE10hipError_tPvRmT3_T4_T5_T6_T7_T9_mT8_P12ihipStream_tbDpT10_ENKUlT_T0_E_clISt17integral_constantIbLb0EES1C_EEDaS17_S18_EUlS17_E_NS1_11comp_targetILNS1_3genE0ELNS1_11target_archE4294967295ELNS1_3gpuE0ELNS1_3repE0EEENS1_30default_config_static_selectorELNS0_4arch9wavefront6targetE0EEEvT1_
; %bb.0:
	.section	.rodata,"a",@progbits
	.p2align	6, 0x0
	.amdhsa_kernel _ZN7rocprim17ROCPRIM_400000_NS6detail17trampoline_kernelINS0_14default_configENS1_25partition_config_selectorILNS1_17partition_subalgoE8ElNS0_10empty_typeEbEEZZNS1_14partition_implILS5_8ELb0ES3_jPlPS6_PKS6_NS0_5tupleIJS9_S6_EEENSD_IJSA_SA_EEENS0_18inequality_wrapperIZN2at6native12_GLOBAL__N_124unique_dim_cuda_templateIhEESt5tupleIJNSH_6TensorESM_SM_EERKSM_lbbbEUlllE0_EEPmJS6_EEE10hipError_tPvRmT3_T4_T5_T6_T7_T9_mT8_P12ihipStream_tbDpT10_ENKUlT_T0_E_clISt17integral_constantIbLb0EES1C_EEDaS17_S18_EUlS17_E_NS1_11comp_targetILNS1_3genE0ELNS1_11target_archE4294967295ELNS1_3gpuE0ELNS1_3repE0EEENS1_30default_config_static_selectorELNS0_4arch9wavefront6targetE0EEEvT1_
		.amdhsa_group_segment_fixed_size 0
		.amdhsa_private_segment_fixed_size 0
		.amdhsa_kernarg_size 120
		.amdhsa_user_sgpr_count 15
		.amdhsa_user_sgpr_dispatch_ptr 0
		.amdhsa_user_sgpr_queue_ptr 0
		.amdhsa_user_sgpr_kernarg_segment_ptr 1
		.amdhsa_user_sgpr_dispatch_id 0
		.amdhsa_user_sgpr_private_segment_size 0
		.amdhsa_wavefront_size32 1
		.amdhsa_uses_dynamic_stack 0
		.amdhsa_enable_private_segment 0
		.amdhsa_system_sgpr_workgroup_id_x 1
		.amdhsa_system_sgpr_workgroup_id_y 0
		.amdhsa_system_sgpr_workgroup_id_z 0
		.amdhsa_system_sgpr_workgroup_info 0
		.amdhsa_system_vgpr_workitem_id 0
		.amdhsa_next_free_vgpr 1
		.amdhsa_next_free_sgpr 1
		.amdhsa_reserve_vcc 0
		.amdhsa_float_round_mode_32 0
		.amdhsa_float_round_mode_16_64 0
		.amdhsa_float_denorm_mode_32 3
		.amdhsa_float_denorm_mode_16_64 3
		.amdhsa_dx10_clamp 1
		.amdhsa_ieee_mode 1
		.amdhsa_fp16_overflow 0
		.amdhsa_workgroup_processor_mode 1
		.amdhsa_memory_ordered 1
		.amdhsa_forward_progress 0
		.amdhsa_shared_vgpr_count 0
		.amdhsa_exception_fp_ieee_invalid_op 0
		.amdhsa_exception_fp_denorm_src 0
		.amdhsa_exception_fp_ieee_div_zero 0
		.amdhsa_exception_fp_ieee_overflow 0
		.amdhsa_exception_fp_ieee_underflow 0
		.amdhsa_exception_fp_ieee_inexact 0
		.amdhsa_exception_int_div_zero 0
	.end_amdhsa_kernel
	.section	.text._ZN7rocprim17ROCPRIM_400000_NS6detail17trampoline_kernelINS0_14default_configENS1_25partition_config_selectorILNS1_17partition_subalgoE8ElNS0_10empty_typeEbEEZZNS1_14partition_implILS5_8ELb0ES3_jPlPS6_PKS6_NS0_5tupleIJS9_S6_EEENSD_IJSA_SA_EEENS0_18inequality_wrapperIZN2at6native12_GLOBAL__N_124unique_dim_cuda_templateIhEESt5tupleIJNSH_6TensorESM_SM_EERKSM_lbbbEUlllE0_EEPmJS6_EEE10hipError_tPvRmT3_T4_T5_T6_T7_T9_mT8_P12ihipStream_tbDpT10_ENKUlT_T0_E_clISt17integral_constantIbLb0EES1C_EEDaS17_S18_EUlS17_E_NS1_11comp_targetILNS1_3genE0ELNS1_11target_archE4294967295ELNS1_3gpuE0ELNS1_3repE0EEENS1_30default_config_static_selectorELNS0_4arch9wavefront6targetE0EEEvT1_,"axG",@progbits,_ZN7rocprim17ROCPRIM_400000_NS6detail17trampoline_kernelINS0_14default_configENS1_25partition_config_selectorILNS1_17partition_subalgoE8ElNS0_10empty_typeEbEEZZNS1_14partition_implILS5_8ELb0ES3_jPlPS6_PKS6_NS0_5tupleIJS9_S6_EEENSD_IJSA_SA_EEENS0_18inequality_wrapperIZN2at6native12_GLOBAL__N_124unique_dim_cuda_templateIhEESt5tupleIJNSH_6TensorESM_SM_EERKSM_lbbbEUlllE0_EEPmJS6_EEE10hipError_tPvRmT3_T4_T5_T6_T7_T9_mT8_P12ihipStream_tbDpT10_ENKUlT_T0_E_clISt17integral_constantIbLb0EES1C_EEDaS17_S18_EUlS17_E_NS1_11comp_targetILNS1_3genE0ELNS1_11target_archE4294967295ELNS1_3gpuE0ELNS1_3repE0EEENS1_30default_config_static_selectorELNS0_4arch9wavefront6targetE0EEEvT1_,comdat
.Lfunc_end161:
	.size	_ZN7rocprim17ROCPRIM_400000_NS6detail17trampoline_kernelINS0_14default_configENS1_25partition_config_selectorILNS1_17partition_subalgoE8ElNS0_10empty_typeEbEEZZNS1_14partition_implILS5_8ELb0ES3_jPlPS6_PKS6_NS0_5tupleIJS9_S6_EEENSD_IJSA_SA_EEENS0_18inequality_wrapperIZN2at6native12_GLOBAL__N_124unique_dim_cuda_templateIhEESt5tupleIJNSH_6TensorESM_SM_EERKSM_lbbbEUlllE0_EEPmJS6_EEE10hipError_tPvRmT3_T4_T5_T6_T7_T9_mT8_P12ihipStream_tbDpT10_ENKUlT_T0_E_clISt17integral_constantIbLb0EES1C_EEDaS17_S18_EUlS17_E_NS1_11comp_targetILNS1_3genE0ELNS1_11target_archE4294967295ELNS1_3gpuE0ELNS1_3repE0EEENS1_30default_config_static_selectorELNS0_4arch9wavefront6targetE0EEEvT1_, .Lfunc_end161-_ZN7rocprim17ROCPRIM_400000_NS6detail17trampoline_kernelINS0_14default_configENS1_25partition_config_selectorILNS1_17partition_subalgoE8ElNS0_10empty_typeEbEEZZNS1_14partition_implILS5_8ELb0ES3_jPlPS6_PKS6_NS0_5tupleIJS9_S6_EEENSD_IJSA_SA_EEENS0_18inequality_wrapperIZN2at6native12_GLOBAL__N_124unique_dim_cuda_templateIhEESt5tupleIJNSH_6TensorESM_SM_EERKSM_lbbbEUlllE0_EEPmJS6_EEE10hipError_tPvRmT3_T4_T5_T6_T7_T9_mT8_P12ihipStream_tbDpT10_ENKUlT_T0_E_clISt17integral_constantIbLb0EES1C_EEDaS17_S18_EUlS17_E_NS1_11comp_targetILNS1_3genE0ELNS1_11target_archE4294967295ELNS1_3gpuE0ELNS1_3repE0EEENS1_30default_config_static_selectorELNS0_4arch9wavefront6targetE0EEEvT1_
                                        ; -- End function
	.section	.AMDGPU.csdata,"",@progbits
; Kernel info:
; codeLenInByte = 0
; NumSgprs: 0
; NumVgprs: 0
; ScratchSize: 0
; MemoryBound: 0
; FloatMode: 240
; IeeeMode: 1
; LDSByteSize: 0 bytes/workgroup (compile time only)
; SGPRBlocks: 0
; VGPRBlocks: 0
; NumSGPRsForWavesPerEU: 1
; NumVGPRsForWavesPerEU: 1
; Occupancy: 16
; WaveLimiterHint : 0
; COMPUTE_PGM_RSRC2:SCRATCH_EN: 0
; COMPUTE_PGM_RSRC2:USER_SGPR: 15
; COMPUTE_PGM_RSRC2:TRAP_HANDLER: 0
; COMPUTE_PGM_RSRC2:TGID_X_EN: 1
; COMPUTE_PGM_RSRC2:TGID_Y_EN: 0
; COMPUTE_PGM_RSRC2:TGID_Z_EN: 0
; COMPUTE_PGM_RSRC2:TIDIG_COMP_CNT: 0
	.section	.text._ZN7rocprim17ROCPRIM_400000_NS6detail17trampoline_kernelINS0_14default_configENS1_25partition_config_selectorILNS1_17partition_subalgoE8ElNS0_10empty_typeEbEEZZNS1_14partition_implILS5_8ELb0ES3_jPlPS6_PKS6_NS0_5tupleIJS9_S6_EEENSD_IJSA_SA_EEENS0_18inequality_wrapperIZN2at6native12_GLOBAL__N_124unique_dim_cuda_templateIhEESt5tupleIJNSH_6TensorESM_SM_EERKSM_lbbbEUlllE0_EEPmJS6_EEE10hipError_tPvRmT3_T4_T5_T6_T7_T9_mT8_P12ihipStream_tbDpT10_ENKUlT_T0_E_clISt17integral_constantIbLb0EES1C_EEDaS17_S18_EUlS17_E_NS1_11comp_targetILNS1_3genE5ELNS1_11target_archE942ELNS1_3gpuE9ELNS1_3repE0EEENS1_30default_config_static_selectorELNS0_4arch9wavefront6targetE0EEEvT1_,"axG",@progbits,_ZN7rocprim17ROCPRIM_400000_NS6detail17trampoline_kernelINS0_14default_configENS1_25partition_config_selectorILNS1_17partition_subalgoE8ElNS0_10empty_typeEbEEZZNS1_14partition_implILS5_8ELb0ES3_jPlPS6_PKS6_NS0_5tupleIJS9_S6_EEENSD_IJSA_SA_EEENS0_18inequality_wrapperIZN2at6native12_GLOBAL__N_124unique_dim_cuda_templateIhEESt5tupleIJNSH_6TensorESM_SM_EERKSM_lbbbEUlllE0_EEPmJS6_EEE10hipError_tPvRmT3_T4_T5_T6_T7_T9_mT8_P12ihipStream_tbDpT10_ENKUlT_T0_E_clISt17integral_constantIbLb0EES1C_EEDaS17_S18_EUlS17_E_NS1_11comp_targetILNS1_3genE5ELNS1_11target_archE942ELNS1_3gpuE9ELNS1_3repE0EEENS1_30default_config_static_selectorELNS0_4arch9wavefront6targetE0EEEvT1_,comdat
	.globl	_ZN7rocprim17ROCPRIM_400000_NS6detail17trampoline_kernelINS0_14default_configENS1_25partition_config_selectorILNS1_17partition_subalgoE8ElNS0_10empty_typeEbEEZZNS1_14partition_implILS5_8ELb0ES3_jPlPS6_PKS6_NS0_5tupleIJS9_S6_EEENSD_IJSA_SA_EEENS0_18inequality_wrapperIZN2at6native12_GLOBAL__N_124unique_dim_cuda_templateIhEESt5tupleIJNSH_6TensorESM_SM_EERKSM_lbbbEUlllE0_EEPmJS6_EEE10hipError_tPvRmT3_T4_T5_T6_T7_T9_mT8_P12ihipStream_tbDpT10_ENKUlT_T0_E_clISt17integral_constantIbLb0EES1C_EEDaS17_S18_EUlS17_E_NS1_11comp_targetILNS1_3genE5ELNS1_11target_archE942ELNS1_3gpuE9ELNS1_3repE0EEENS1_30default_config_static_selectorELNS0_4arch9wavefront6targetE0EEEvT1_ ; -- Begin function _ZN7rocprim17ROCPRIM_400000_NS6detail17trampoline_kernelINS0_14default_configENS1_25partition_config_selectorILNS1_17partition_subalgoE8ElNS0_10empty_typeEbEEZZNS1_14partition_implILS5_8ELb0ES3_jPlPS6_PKS6_NS0_5tupleIJS9_S6_EEENSD_IJSA_SA_EEENS0_18inequality_wrapperIZN2at6native12_GLOBAL__N_124unique_dim_cuda_templateIhEESt5tupleIJNSH_6TensorESM_SM_EERKSM_lbbbEUlllE0_EEPmJS6_EEE10hipError_tPvRmT3_T4_T5_T6_T7_T9_mT8_P12ihipStream_tbDpT10_ENKUlT_T0_E_clISt17integral_constantIbLb0EES1C_EEDaS17_S18_EUlS17_E_NS1_11comp_targetILNS1_3genE5ELNS1_11target_archE942ELNS1_3gpuE9ELNS1_3repE0EEENS1_30default_config_static_selectorELNS0_4arch9wavefront6targetE0EEEvT1_
	.p2align	8
	.type	_ZN7rocprim17ROCPRIM_400000_NS6detail17trampoline_kernelINS0_14default_configENS1_25partition_config_selectorILNS1_17partition_subalgoE8ElNS0_10empty_typeEbEEZZNS1_14partition_implILS5_8ELb0ES3_jPlPS6_PKS6_NS0_5tupleIJS9_S6_EEENSD_IJSA_SA_EEENS0_18inequality_wrapperIZN2at6native12_GLOBAL__N_124unique_dim_cuda_templateIhEESt5tupleIJNSH_6TensorESM_SM_EERKSM_lbbbEUlllE0_EEPmJS6_EEE10hipError_tPvRmT3_T4_T5_T6_T7_T9_mT8_P12ihipStream_tbDpT10_ENKUlT_T0_E_clISt17integral_constantIbLb0EES1C_EEDaS17_S18_EUlS17_E_NS1_11comp_targetILNS1_3genE5ELNS1_11target_archE942ELNS1_3gpuE9ELNS1_3repE0EEENS1_30default_config_static_selectorELNS0_4arch9wavefront6targetE0EEEvT1_,@function
_ZN7rocprim17ROCPRIM_400000_NS6detail17trampoline_kernelINS0_14default_configENS1_25partition_config_selectorILNS1_17partition_subalgoE8ElNS0_10empty_typeEbEEZZNS1_14partition_implILS5_8ELb0ES3_jPlPS6_PKS6_NS0_5tupleIJS9_S6_EEENSD_IJSA_SA_EEENS0_18inequality_wrapperIZN2at6native12_GLOBAL__N_124unique_dim_cuda_templateIhEESt5tupleIJNSH_6TensorESM_SM_EERKSM_lbbbEUlllE0_EEPmJS6_EEE10hipError_tPvRmT3_T4_T5_T6_T7_T9_mT8_P12ihipStream_tbDpT10_ENKUlT_T0_E_clISt17integral_constantIbLb0EES1C_EEDaS17_S18_EUlS17_E_NS1_11comp_targetILNS1_3genE5ELNS1_11target_archE942ELNS1_3gpuE9ELNS1_3repE0EEENS1_30default_config_static_selectorELNS0_4arch9wavefront6targetE0EEEvT1_: ; @_ZN7rocprim17ROCPRIM_400000_NS6detail17trampoline_kernelINS0_14default_configENS1_25partition_config_selectorILNS1_17partition_subalgoE8ElNS0_10empty_typeEbEEZZNS1_14partition_implILS5_8ELb0ES3_jPlPS6_PKS6_NS0_5tupleIJS9_S6_EEENSD_IJSA_SA_EEENS0_18inequality_wrapperIZN2at6native12_GLOBAL__N_124unique_dim_cuda_templateIhEESt5tupleIJNSH_6TensorESM_SM_EERKSM_lbbbEUlllE0_EEPmJS6_EEE10hipError_tPvRmT3_T4_T5_T6_T7_T9_mT8_P12ihipStream_tbDpT10_ENKUlT_T0_E_clISt17integral_constantIbLb0EES1C_EEDaS17_S18_EUlS17_E_NS1_11comp_targetILNS1_3genE5ELNS1_11target_archE942ELNS1_3gpuE9ELNS1_3repE0EEENS1_30default_config_static_selectorELNS0_4arch9wavefront6targetE0EEEvT1_
; %bb.0:
	.section	.rodata,"a",@progbits
	.p2align	6, 0x0
	.amdhsa_kernel _ZN7rocprim17ROCPRIM_400000_NS6detail17trampoline_kernelINS0_14default_configENS1_25partition_config_selectorILNS1_17partition_subalgoE8ElNS0_10empty_typeEbEEZZNS1_14partition_implILS5_8ELb0ES3_jPlPS6_PKS6_NS0_5tupleIJS9_S6_EEENSD_IJSA_SA_EEENS0_18inequality_wrapperIZN2at6native12_GLOBAL__N_124unique_dim_cuda_templateIhEESt5tupleIJNSH_6TensorESM_SM_EERKSM_lbbbEUlllE0_EEPmJS6_EEE10hipError_tPvRmT3_T4_T5_T6_T7_T9_mT8_P12ihipStream_tbDpT10_ENKUlT_T0_E_clISt17integral_constantIbLb0EES1C_EEDaS17_S18_EUlS17_E_NS1_11comp_targetILNS1_3genE5ELNS1_11target_archE942ELNS1_3gpuE9ELNS1_3repE0EEENS1_30default_config_static_selectorELNS0_4arch9wavefront6targetE0EEEvT1_
		.amdhsa_group_segment_fixed_size 0
		.amdhsa_private_segment_fixed_size 0
		.amdhsa_kernarg_size 120
		.amdhsa_user_sgpr_count 15
		.amdhsa_user_sgpr_dispatch_ptr 0
		.amdhsa_user_sgpr_queue_ptr 0
		.amdhsa_user_sgpr_kernarg_segment_ptr 1
		.amdhsa_user_sgpr_dispatch_id 0
		.amdhsa_user_sgpr_private_segment_size 0
		.amdhsa_wavefront_size32 1
		.amdhsa_uses_dynamic_stack 0
		.amdhsa_enable_private_segment 0
		.amdhsa_system_sgpr_workgroup_id_x 1
		.amdhsa_system_sgpr_workgroup_id_y 0
		.amdhsa_system_sgpr_workgroup_id_z 0
		.amdhsa_system_sgpr_workgroup_info 0
		.amdhsa_system_vgpr_workitem_id 0
		.amdhsa_next_free_vgpr 1
		.amdhsa_next_free_sgpr 1
		.amdhsa_reserve_vcc 0
		.amdhsa_float_round_mode_32 0
		.amdhsa_float_round_mode_16_64 0
		.amdhsa_float_denorm_mode_32 3
		.amdhsa_float_denorm_mode_16_64 3
		.amdhsa_dx10_clamp 1
		.amdhsa_ieee_mode 1
		.amdhsa_fp16_overflow 0
		.amdhsa_workgroup_processor_mode 1
		.amdhsa_memory_ordered 1
		.amdhsa_forward_progress 0
		.amdhsa_shared_vgpr_count 0
		.amdhsa_exception_fp_ieee_invalid_op 0
		.amdhsa_exception_fp_denorm_src 0
		.amdhsa_exception_fp_ieee_div_zero 0
		.amdhsa_exception_fp_ieee_overflow 0
		.amdhsa_exception_fp_ieee_underflow 0
		.amdhsa_exception_fp_ieee_inexact 0
		.amdhsa_exception_int_div_zero 0
	.end_amdhsa_kernel
	.section	.text._ZN7rocprim17ROCPRIM_400000_NS6detail17trampoline_kernelINS0_14default_configENS1_25partition_config_selectorILNS1_17partition_subalgoE8ElNS0_10empty_typeEbEEZZNS1_14partition_implILS5_8ELb0ES3_jPlPS6_PKS6_NS0_5tupleIJS9_S6_EEENSD_IJSA_SA_EEENS0_18inequality_wrapperIZN2at6native12_GLOBAL__N_124unique_dim_cuda_templateIhEESt5tupleIJNSH_6TensorESM_SM_EERKSM_lbbbEUlllE0_EEPmJS6_EEE10hipError_tPvRmT3_T4_T5_T6_T7_T9_mT8_P12ihipStream_tbDpT10_ENKUlT_T0_E_clISt17integral_constantIbLb0EES1C_EEDaS17_S18_EUlS17_E_NS1_11comp_targetILNS1_3genE5ELNS1_11target_archE942ELNS1_3gpuE9ELNS1_3repE0EEENS1_30default_config_static_selectorELNS0_4arch9wavefront6targetE0EEEvT1_,"axG",@progbits,_ZN7rocprim17ROCPRIM_400000_NS6detail17trampoline_kernelINS0_14default_configENS1_25partition_config_selectorILNS1_17partition_subalgoE8ElNS0_10empty_typeEbEEZZNS1_14partition_implILS5_8ELb0ES3_jPlPS6_PKS6_NS0_5tupleIJS9_S6_EEENSD_IJSA_SA_EEENS0_18inequality_wrapperIZN2at6native12_GLOBAL__N_124unique_dim_cuda_templateIhEESt5tupleIJNSH_6TensorESM_SM_EERKSM_lbbbEUlllE0_EEPmJS6_EEE10hipError_tPvRmT3_T4_T5_T6_T7_T9_mT8_P12ihipStream_tbDpT10_ENKUlT_T0_E_clISt17integral_constantIbLb0EES1C_EEDaS17_S18_EUlS17_E_NS1_11comp_targetILNS1_3genE5ELNS1_11target_archE942ELNS1_3gpuE9ELNS1_3repE0EEENS1_30default_config_static_selectorELNS0_4arch9wavefront6targetE0EEEvT1_,comdat
.Lfunc_end162:
	.size	_ZN7rocprim17ROCPRIM_400000_NS6detail17trampoline_kernelINS0_14default_configENS1_25partition_config_selectorILNS1_17partition_subalgoE8ElNS0_10empty_typeEbEEZZNS1_14partition_implILS5_8ELb0ES3_jPlPS6_PKS6_NS0_5tupleIJS9_S6_EEENSD_IJSA_SA_EEENS0_18inequality_wrapperIZN2at6native12_GLOBAL__N_124unique_dim_cuda_templateIhEESt5tupleIJNSH_6TensorESM_SM_EERKSM_lbbbEUlllE0_EEPmJS6_EEE10hipError_tPvRmT3_T4_T5_T6_T7_T9_mT8_P12ihipStream_tbDpT10_ENKUlT_T0_E_clISt17integral_constantIbLb0EES1C_EEDaS17_S18_EUlS17_E_NS1_11comp_targetILNS1_3genE5ELNS1_11target_archE942ELNS1_3gpuE9ELNS1_3repE0EEENS1_30default_config_static_selectorELNS0_4arch9wavefront6targetE0EEEvT1_, .Lfunc_end162-_ZN7rocprim17ROCPRIM_400000_NS6detail17trampoline_kernelINS0_14default_configENS1_25partition_config_selectorILNS1_17partition_subalgoE8ElNS0_10empty_typeEbEEZZNS1_14partition_implILS5_8ELb0ES3_jPlPS6_PKS6_NS0_5tupleIJS9_S6_EEENSD_IJSA_SA_EEENS0_18inequality_wrapperIZN2at6native12_GLOBAL__N_124unique_dim_cuda_templateIhEESt5tupleIJNSH_6TensorESM_SM_EERKSM_lbbbEUlllE0_EEPmJS6_EEE10hipError_tPvRmT3_T4_T5_T6_T7_T9_mT8_P12ihipStream_tbDpT10_ENKUlT_T0_E_clISt17integral_constantIbLb0EES1C_EEDaS17_S18_EUlS17_E_NS1_11comp_targetILNS1_3genE5ELNS1_11target_archE942ELNS1_3gpuE9ELNS1_3repE0EEENS1_30default_config_static_selectorELNS0_4arch9wavefront6targetE0EEEvT1_
                                        ; -- End function
	.section	.AMDGPU.csdata,"",@progbits
; Kernel info:
; codeLenInByte = 0
; NumSgprs: 0
; NumVgprs: 0
; ScratchSize: 0
; MemoryBound: 0
; FloatMode: 240
; IeeeMode: 1
; LDSByteSize: 0 bytes/workgroup (compile time only)
; SGPRBlocks: 0
; VGPRBlocks: 0
; NumSGPRsForWavesPerEU: 1
; NumVGPRsForWavesPerEU: 1
; Occupancy: 16
; WaveLimiterHint : 0
; COMPUTE_PGM_RSRC2:SCRATCH_EN: 0
; COMPUTE_PGM_RSRC2:USER_SGPR: 15
; COMPUTE_PGM_RSRC2:TRAP_HANDLER: 0
; COMPUTE_PGM_RSRC2:TGID_X_EN: 1
; COMPUTE_PGM_RSRC2:TGID_Y_EN: 0
; COMPUTE_PGM_RSRC2:TGID_Z_EN: 0
; COMPUTE_PGM_RSRC2:TIDIG_COMP_CNT: 0
	.section	.text._ZN7rocprim17ROCPRIM_400000_NS6detail17trampoline_kernelINS0_14default_configENS1_25partition_config_selectorILNS1_17partition_subalgoE8ElNS0_10empty_typeEbEEZZNS1_14partition_implILS5_8ELb0ES3_jPlPS6_PKS6_NS0_5tupleIJS9_S6_EEENSD_IJSA_SA_EEENS0_18inequality_wrapperIZN2at6native12_GLOBAL__N_124unique_dim_cuda_templateIhEESt5tupleIJNSH_6TensorESM_SM_EERKSM_lbbbEUlllE0_EEPmJS6_EEE10hipError_tPvRmT3_T4_T5_T6_T7_T9_mT8_P12ihipStream_tbDpT10_ENKUlT_T0_E_clISt17integral_constantIbLb0EES1C_EEDaS17_S18_EUlS17_E_NS1_11comp_targetILNS1_3genE4ELNS1_11target_archE910ELNS1_3gpuE8ELNS1_3repE0EEENS1_30default_config_static_selectorELNS0_4arch9wavefront6targetE0EEEvT1_,"axG",@progbits,_ZN7rocprim17ROCPRIM_400000_NS6detail17trampoline_kernelINS0_14default_configENS1_25partition_config_selectorILNS1_17partition_subalgoE8ElNS0_10empty_typeEbEEZZNS1_14partition_implILS5_8ELb0ES3_jPlPS6_PKS6_NS0_5tupleIJS9_S6_EEENSD_IJSA_SA_EEENS0_18inequality_wrapperIZN2at6native12_GLOBAL__N_124unique_dim_cuda_templateIhEESt5tupleIJNSH_6TensorESM_SM_EERKSM_lbbbEUlllE0_EEPmJS6_EEE10hipError_tPvRmT3_T4_T5_T6_T7_T9_mT8_P12ihipStream_tbDpT10_ENKUlT_T0_E_clISt17integral_constantIbLb0EES1C_EEDaS17_S18_EUlS17_E_NS1_11comp_targetILNS1_3genE4ELNS1_11target_archE910ELNS1_3gpuE8ELNS1_3repE0EEENS1_30default_config_static_selectorELNS0_4arch9wavefront6targetE0EEEvT1_,comdat
	.globl	_ZN7rocprim17ROCPRIM_400000_NS6detail17trampoline_kernelINS0_14default_configENS1_25partition_config_selectorILNS1_17partition_subalgoE8ElNS0_10empty_typeEbEEZZNS1_14partition_implILS5_8ELb0ES3_jPlPS6_PKS6_NS0_5tupleIJS9_S6_EEENSD_IJSA_SA_EEENS0_18inequality_wrapperIZN2at6native12_GLOBAL__N_124unique_dim_cuda_templateIhEESt5tupleIJNSH_6TensorESM_SM_EERKSM_lbbbEUlllE0_EEPmJS6_EEE10hipError_tPvRmT3_T4_T5_T6_T7_T9_mT8_P12ihipStream_tbDpT10_ENKUlT_T0_E_clISt17integral_constantIbLb0EES1C_EEDaS17_S18_EUlS17_E_NS1_11comp_targetILNS1_3genE4ELNS1_11target_archE910ELNS1_3gpuE8ELNS1_3repE0EEENS1_30default_config_static_selectorELNS0_4arch9wavefront6targetE0EEEvT1_ ; -- Begin function _ZN7rocprim17ROCPRIM_400000_NS6detail17trampoline_kernelINS0_14default_configENS1_25partition_config_selectorILNS1_17partition_subalgoE8ElNS0_10empty_typeEbEEZZNS1_14partition_implILS5_8ELb0ES3_jPlPS6_PKS6_NS0_5tupleIJS9_S6_EEENSD_IJSA_SA_EEENS0_18inequality_wrapperIZN2at6native12_GLOBAL__N_124unique_dim_cuda_templateIhEESt5tupleIJNSH_6TensorESM_SM_EERKSM_lbbbEUlllE0_EEPmJS6_EEE10hipError_tPvRmT3_T4_T5_T6_T7_T9_mT8_P12ihipStream_tbDpT10_ENKUlT_T0_E_clISt17integral_constantIbLb0EES1C_EEDaS17_S18_EUlS17_E_NS1_11comp_targetILNS1_3genE4ELNS1_11target_archE910ELNS1_3gpuE8ELNS1_3repE0EEENS1_30default_config_static_selectorELNS0_4arch9wavefront6targetE0EEEvT1_
	.p2align	8
	.type	_ZN7rocprim17ROCPRIM_400000_NS6detail17trampoline_kernelINS0_14default_configENS1_25partition_config_selectorILNS1_17partition_subalgoE8ElNS0_10empty_typeEbEEZZNS1_14partition_implILS5_8ELb0ES3_jPlPS6_PKS6_NS0_5tupleIJS9_S6_EEENSD_IJSA_SA_EEENS0_18inequality_wrapperIZN2at6native12_GLOBAL__N_124unique_dim_cuda_templateIhEESt5tupleIJNSH_6TensorESM_SM_EERKSM_lbbbEUlllE0_EEPmJS6_EEE10hipError_tPvRmT3_T4_T5_T6_T7_T9_mT8_P12ihipStream_tbDpT10_ENKUlT_T0_E_clISt17integral_constantIbLb0EES1C_EEDaS17_S18_EUlS17_E_NS1_11comp_targetILNS1_3genE4ELNS1_11target_archE910ELNS1_3gpuE8ELNS1_3repE0EEENS1_30default_config_static_selectorELNS0_4arch9wavefront6targetE0EEEvT1_,@function
_ZN7rocprim17ROCPRIM_400000_NS6detail17trampoline_kernelINS0_14default_configENS1_25partition_config_selectorILNS1_17partition_subalgoE8ElNS0_10empty_typeEbEEZZNS1_14partition_implILS5_8ELb0ES3_jPlPS6_PKS6_NS0_5tupleIJS9_S6_EEENSD_IJSA_SA_EEENS0_18inequality_wrapperIZN2at6native12_GLOBAL__N_124unique_dim_cuda_templateIhEESt5tupleIJNSH_6TensorESM_SM_EERKSM_lbbbEUlllE0_EEPmJS6_EEE10hipError_tPvRmT3_T4_T5_T6_T7_T9_mT8_P12ihipStream_tbDpT10_ENKUlT_T0_E_clISt17integral_constantIbLb0EES1C_EEDaS17_S18_EUlS17_E_NS1_11comp_targetILNS1_3genE4ELNS1_11target_archE910ELNS1_3gpuE8ELNS1_3repE0EEENS1_30default_config_static_selectorELNS0_4arch9wavefront6targetE0EEEvT1_: ; @_ZN7rocprim17ROCPRIM_400000_NS6detail17trampoline_kernelINS0_14default_configENS1_25partition_config_selectorILNS1_17partition_subalgoE8ElNS0_10empty_typeEbEEZZNS1_14partition_implILS5_8ELb0ES3_jPlPS6_PKS6_NS0_5tupleIJS9_S6_EEENSD_IJSA_SA_EEENS0_18inequality_wrapperIZN2at6native12_GLOBAL__N_124unique_dim_cuda_templateIhEESt5tupleIJNSH_6TensorESM_SM_EERKSM_lbbbEUlllE0_EEPmJS6_EEE10hipError_tPvRmT3_T4_T5_T6_T7_T9_mT8_P12ihipStream_tbDpT10_ENKUlT_T0_E_clISt17integral_constantIbLb0EES1C_EEDaS17_S18_EUlS17_E_NS1_11comp_targetILNS1_3genE4ELNS1_11target_archE910ELNS1_3gpuE8ELNS1_3repE0EEENS1_30default_config_static_selectorELNS0_4arch9wavefront6targetE0EEEvT1_
; %bb.0:
	.section	.rodata,"a",@progbits
	.p2align	6, 0x0
	.amdhsa_kernel _ZN7rocprim17ROCPRIM_400000_NS6detail17trampoline_kernelINS0_14default_configENS1_25partition_config_selectorILNS1_17partition_subalgoE8ElNS0_10empty_typeEbEEZZNS1_14partition_implILS5_8ELb0ES3_jPlPS6_PKS6_NS0_5tupleIJS9_S6_EEENSD_IJSA_SA_EEENS0_18inequality_wrapperIZN2at6native12_GLOBAL__N_124unique_dim_cuda_templateIhEESt5tupleIJNSH_6TensorESM_SM_EERKSM_lbbbEUlllE0_EEPmJS6_EEE10hipError_tPvRmT3_T4_T5_T6_T7_T9_mT8_P12ihipStream_tbDpT10_ENKUlT_T0_E_clISt17integral_constantIbLb0EES1C_EEDaS17_S18_EUlS17_E_NS1_11comp_targetILNS1_3genE4ELNS1_11target_archE910ELNS1_3gpuE8ELNS1_3repE0EEENS1_30default_config_static_selectorELNS0_4arch9wavefront6targetE0EEEvT1_
		.amdhsa_group_segment_fixed_size 0
		.amdhsa_private_segment_fixed_size 0
		.amdhsa_kernarg_size 120
		.amdhsa_user_sgpr_count 15
		.amdhsa_user_sgpr_dispatch_ptr 0
		.amdhsa_user_sgpr_queue_ptr 0
		.amdhsa_user_sgpr_kernarg_segment_ptr 1
		.amdhsa_user_sgpr_dispatch_id 0
		.amdhsa_user_sgpr_private_segment_size 0
		.amdhsa_wavefront_size32 1
		.amdhsa_uses_dynamic_stack 0
		.amdhsa_enable_private_segment 0
		.amdhsa_system_sgpr_workgroup_id_x 1
		.amdhsa_system_sgpr_workgroup_id_y 0
		.amdhsa_system_sgpr_workgroup_id_z 0
		.amdhsa_system_sgpr_workgroup_info 0
		.amdhsa_system_vgpr_workitem_id 0
		.amdhsa_next_free_vgpr 1
		.amdhsa_next_free_sgpr 1
		.amdhsa_reserve_vcc 0
		.amdhsa_float_round_mode_32 0
		.amdhsa_float_round_mode_16_64 0
		.amdhsa_float_denorm_mode_32 3
		.amdhsa_float_denorm_mode_16_64 3
		.amdhsa_dx10_clamp 1
		.amdhsa_ieee_mode 1
		.amdhsa_fp16_overflow 0
		.amdhsa_workgroup_processor_mode 1
		.amdhsa_memory_ordered 1
		.amdhsa_forward_progress 0
		.amdhsa_shared_vgpr_count 0
		.amdhsa_exception_fp_ieee_invalid_op 0
		.amdhsa_exception_fp_denorm_src 0
		.amdhsa_exception_fp_ieee_div_zero 0
		.amdhsa_exception_fp_ieee_overflow 0
		.amdhsa_exception_fp_ieee_underflow 0
		.amdhsa_exception_fp_ieee_inexact 0
		.amdhsa_exception_int_div_zero 0
	.end_amdhsa_kernel
	.section	.text._ZN7rocprim17ROCPRIM_400000_NS6detail17trampoline_kernelINS0_14default_configENS1_25partition_config_selectorILNS1_17partition_subalgoE8ElNS0_10empty_typeEbEEZZNS1_14partition_implILS5_8ELb0ES3_jPlPS6_PKS6_NS0_5tupleIJS9_S6_EEENSD_IJSA_SA_EEENS0_18inequality_wrapperIZN2at6native12_GLOBAL__N_124unique_dim_cuda_templateIhEESt5tupleIJNSH_6TensorESM_SM_EERKSM_lbbbEUlllE0_EEPmJS6_EEE10hipError_tPvRmT3_T4_T5_T6_T7_T9_mT8_P12ihipStream_tbDpT10_ENKUlT_T0_E_clISt17integral_constantIbLb0EES1C_EEDaS17_S18_EUlS17_E_NS1_11comp_targetILNS1_3genE4ELNS1_11target_archE910ELNS1_3gpuE8ELNS1_3repE0EEENS1_30default_config_static_selectorELNS0_4arch9wavefront6targetE0EEEvT1_,"axG",@progbits,_ZN7rocprim17ROCPRIM_400000_NS6detail17trampoline_kernelINS0_14default_configENS1_25partition_config_selectorILNS1_17partition_subalgoE8ElNS0_10empty_typeEbEEZZNS1_14partition_implILS5_8ELb0ES3_jPlPS6_PKS6_NS0_5tupleIJS9_S6_EEENSD_IJSA_SA_EEENS0_18inequality_wrapperIZN2at6native12_GLOBAL__N_124unique_dim_cuda_templateIhEESt5tupleIJNSH_6TensorESM_SM_EERKSM_lbbbEUlllE0_EEPmJS6_EEE10hipError_tPvRmT3_T4_T5_T6_T7_T9_mT8_P12ihipStream_tbDpT10_ENKUlT_T0_E_clISt17integral_constantIbLb0EES1C_EEDaS17_S18_EUlS17_E_NS1_11comp_targetILNS1_3genE4ELNS1_11target_archE910ELNS1_3gpuE8ELNS1_3repE0EEENS1_30default_config_static_selectorELNS0_4arch9wavefront6targetE0EEEvT1_,comdat
.Lfunc_end163:
	.size	_ZN7rocprim17ROCPRIM_400000_NS6detail17trampoline_kernelINS0_14default_configENS1_25partition_config_selectorILNS1_17partition_subalgoE8ElNS0_10empty_typeEbEEZZNS1_14partition_implILS5_8ELb0ES3_jPlPS6_PKS6_NS0_5tupleIJS9_S6_EEENSD_IJSA_SA_EEENS0_18inequality_wrapperIZN2at6native12_GLOBAL__N_124unique_dim_cuda_templateIhEESt5tupleIJNSH_6TensorESM_SM_EERKSM_lbbbEUlllE0_EEPmJS6_EEE10hipError_tPvRmT3_T4_T5_T6_T7_T9_mT8_P12ihipStream_tbDpT10_ENKUlT_T0_E_clISt17integral_constantIbLb0EES1C_EEDaS17_S18_EUlS17_E_NS1_11comp_targetILNS1_3genE4ELNS1_11target_archE910ELNS1_3gpuE8ELNS1_3repE0EEENS1_30default_config_static_selectorELNS0_4arch9wavefront6targetE0EEEvT1_, .Lfunc_end163-_ZN7rocprim17ROCPRIM_400000_NS6detail17trampoline_kernelINS0_14default_configENS1_25partition_config_selectorILNS1_17partition_subalgoE8ElNS0_10empty_typeEbEEZZNS1_14partition_implILS5_8ELb0ES3_jPlPS6_PKS6_NS0_5tupleIJS9_S6_EEENSD_IJSA_SA_EEENS0_18inequality_wrapperIZN2at6native12_GLOBAL__N_124unique_dim_cuda_templateIhEESt5tupleIJNSH_6TensorESM_SM_EERKSM_lbbbEUlllE0_EEPmJS6_EEE10hipError_tPvRmT3_T4_T5_T6_T7_T9_mT8_P12ihipStream_tbDpT10_ENKUlT_T0_E_clISt17integral_constantIbLb0EES1C_EEDaS17_S18_EUlS17_E_NS1_11comp_targetILNS1_3genE4ELNS1_11target_archE910ELNS1_3gpuE8ELNS1_3repE0EEENS1_30default_config_static_selectorELNS0_4arch9wavefront6targetE0EEEvT1_
                                        ; -- End function
	.section	.AMDGPU.csdata,"",@progbits
; Kernel info:
; codeLenInByte = 0
; NumSgprs: 0
; NumVgprs: 0
; ScratchSize: 0
; MemoryBound: 0
; FloatMode: 240
; IeeeMode: 1
; LDSByteSize: 0 bytes/workgroup (compile time only)
; SGPRBlocks: 0
; VGPRBlocks: 0
; NumSGPRsForWavesPerEU: 1
; NumVGPRsForWavesPerEU: 1
; Occupancy: 16
; WaveLimiterHint : 0
; COMPUTE_PGM_RSRC2:SCRATCH_EN: 0
; COMPUTE_PGM_RSRC2:USER_SGPR: 15
; COMPUTE_PGM_RSRC2:TRAP_HANDLER: 0
; COMPUTE_PGM_RSRC2:TGID_X_EN: 1
; COMPUTE_PGM_RSRC2:TGID_Y_EN: 0
; COMPUTE_PGM_RSRC2:TGID_Z_EN: 0
; COMPUTE_PGM_RSRC2:TIDIG_COMP_CNT: 0
	.section	.text._ZN7rocprim17ROCPRIM_400000_NS6detail17trampoline_kernelINS0_14default_configENS1_25partition_config_selectorILNS1_17partition_subalgoE8ElNS0_10empty_typeEbEEZZNS1_14partition_implILS5_8ELb0ES3_jPlPS6_PKS6_NS0_5tupleIJS9_S6_EEENSD_IJSA_SA_EEENS0_18inequality_wrapperIZN2at6native12_GLOBAL__N_124unique_dim_cuda_templateIhEESt5tupleIJNSH_6TensorESM_SM_EERKSM_lbbbEUlllE0_EEPmJS6_EEE10hipError_tPvRmT3_T4_T5_T6_T7_T9_mT8_P12ihipStream_tbDpT10_ENKUlT_T0_E_clISt17integral_constantIbLb0EES1C_EEDaS17_S18_EUlS17_E_NS1_11comp_targetILNS1_3genE3ELNS1_11target_archE908ELNS1_3gpuE7ELNS1_3repE0EEENS1_30default_config_static_selectorELNS0_4arch9wavefront6targetE0EEEvT1_,"axG",@progbits,_ZN7rocprim17ROCPRIM_400000_NS6detail17trampoline_kernelINS0_14default_configENS1_25partition_config_selectorILNS1_17partition_subalgoE8ElNS0_10empty_typeEbEEZZNS1_14partition_implILS5_8ELb0ES3_jPlPS6_PKS6_NS0_5tupleIJS9_S6_EEENSD_IJSA_SA_EEENS0_18inequality_wrapperIZN2at6native12_GLOBAL__N_124unique_dim_cuda_templateIhEESt5tupleIJNSH_6TensorESM_SM_EERKSM_lbbbEUlllE0_EEPmJS6_EEE10hipError_tPvRmT3_T4_T5_T6_T7_T9_mT8_P12ihipStream_tbDpT10_ENKUlT_T0_E_clISt17integral_constantIbLb0EES1C_EEDaS17_S18_EUlS17_E_NS1_11comp_targetILNS1_3genE3ELNS1_11target_archE908ELNS1_3gpuE7ELNS1_3repE0EEENS1_30default_config_static_selectorELNS0_4arch9wavefront6targetE0EEEvT1_,comdat
	.globl	_ZN7rocprim17ROCPRIM_400000_NS6detail17trampoline_kernelINS0_14default_configENS1_25partition_config_selectorILNS1_17partition_subalgoE8ElNS0_10empty_typeEbEEZZNS1_14partition_implILS5_8ELb0ES3_jPlPS6_PKS6_NS0_5tupleIJS9_S6_EEENSD_IJSA_SA_EEENS0_18inequality_wrapperIZN2at6native12_GLOBAL__N_124unique_dim_cuda_templateIhEESt5tupleIJNSH_6TensorESM_SM_EERKSM_lbbbEUlllE0_EEPmJS6_EEE10hipError_tPvRmT3_T4_T5_T6_T7_T9_mT8_P12ihipStream_tbDpT10_ENKUlT_T0_E_clISt17integral_constantIbLb0EES1C_EEDaS17_S18_EUlS17_E_NS1_11comp_targetILNS1_3genE3ELNS1_11target_archE908ELNS1_3gpuE7ELNS1_3repE0EEENS1_30default_config_static_selectorELNS0_4arch9wavefront6targetE0EEEvT1_ ; -- Begin function _ZN7rocprim17ROCPRIM_400000_NS6detail17trampoline_kernelINS0_14default_configENS1_25partition_config_selectorILNS1_17partition_subalgoE8ElNS0_10empty_typeEbEEZZNS1_14partition_implILS5_8ELb0ES3_jPlPS6_PKS6_NS0_5tupleIJS9_S6_EEENSD_IJSA_SA_EEENS0_18inequality_wrapperIZN2at6native12_GLOBAL__N_124unique_dim_cuda_templateIhEESt5tupleIJNSH_6TensorESM_SM_EERKSM_lbbbEUlllE0_EEPmJS6_EEE10hipError_tPvRmT3_T4_T5_T6_T7_T9_mT8_P12ihipStream_tbDpT10_ENKUlT_T0_E_clISt17integral_constantIbLb0EES1C_EEDaS17_S18_EUlS17_E_NS1_11comp_targetILNS1_3genE3ELNS1_11target_archE908ELNS1_3gpuE7ELNS1_3repE0EEENS1_30default_config_static_selectorELNS0_4arch9wavefront6targetE0EEEvT1_
	.p2align	8
	.type	_ZN7rocprim17ROCPRIM_400000_NS6detail17trampoline_kernelINS0_14default_configENS1_25partition_config_selectorILNS1_17partition_subalgoE8ElNS0_10empty_typeEbEEZZNS1_14partition_implILS5_8ELb0ES3_jPlPS6_PKS6_NS0_5tupleIJS9_S6_EEENSD_IJSA_SA_EEENS0_18inequality_wrapperIZN2at6native12_GLOBAL__N_124unique_dim_cuda_templateIhEESt5tupleIJNSH_6TensorESM_SM_EERKSM_lbbbEUlllE0_EEPmJS6_EEE10hipError_tPvRmT3_T4_T5_T6_T7_T9_mT8_P12ihipStream_tbDpT10_ENKUlT_T0_E_clISt17integral_constantIbLb0EES1C_EEDaS17_S18_EUlS17_E_NS1_11comp_targetILNS1_3genE3ELNS1_11target_archE908ELNS1_3gpuE7ELNS1_3repE0EEENS1_30default_config_static_selectorELNS0_4arch9wavefront6targetE0EEEvT1_,@function
_ZN7rocprim17ROCPRIM_400000_NS6detail17trampoline_kernelINS0_14default_configENS1_25partition_config_selectorILNS1_17partition_subalgoE8ElNS0_10empty_typeEbEEZZNS1_14partition_implILS5_8ELb0ES3_jPlPS6_PKS6_NS0_5tupleIJS9_S6_EEENSD_IJSA_SA_EEENS0_18inequality_wrapperIZN2at6native12_GLOBAL__N_124unique_dim_cuda_templateIhEESt5tupleIJNSH_6TensorESM_SM_EERKSM_lbbbEUlllE0_EEPmJS6_EEE10hipError_tPvRmT3_T4_T5_T6_T7_T9_mT8_P12ihipStream_tbDpT10_ENKUlT_T0_E_clISt17integral_constantIbLb0EES1C_EEDaS17_S18_EUlS17_E_NS1_11comp_targetILNS1_3genE3ELNS1_11target_archE908ELNS1_3gpuE7ELNS1_3repE0EEENS1_30default_config_static_selectorELNS0_4arch9wavefront6targetE0EEEvT1_: ; @_ZN7rocprim17ROCPRIM_400000_NS6detail17trampoline_kernelINS0_14default_configENS1_25partition_config_selectorILNS1_17partition_subalgoE8ElNS0_10empty_typeEbEEZZNS1_14partition_implILS5_8ELb0ES3_jPlPS6_PKS6_NS0_5tupleIJS9_S6_EEENSD_IJSA_SA_EEENS0_18inequality_wrapperIZN2at6native12_GLOBAL__N_124unique_dim_cuda_templateIhEESt5tupleIJNSH_6TensorESM_SM_EERKSM_lbbbEUlllE0_EEPmJS6_EEE10hipError_tPvRmT3_T4_T5_T6_T7_T9_mT8_P12ihipStream_tbDpT10_ENKUlT_T0_E_clISt17integral_constantIbLb0EES1C_EEDaS17_S18_EUlS17_E_NS1_11comp_targetILNS1_3genE3ELNS1_11target_archE908ELNS1_3gpuE7ELNS1_3repE0EEENS1_30default_config_static_selectorELNS0_4arch9wavefront6targetE0EEEvT1_
; %bb.0:
	.section	.rodata,"a",@progbits
	.p2align	6, 0x0
	.amdhsa_kernel _ZN7rocprim17ROCPRIM_400000_NS6detail17trampoline_kernelINS0_14default_configENS1_25partition_config_selectorILNS1_17partition_subalgoE8ElNS0_10empty_typeEbEEZZNS1_14partition_implILS5_8ELb0ES3_jPlPS6_PKS6_NS0_5tupleIJS9_S6_EEENSD_IJSA_SA_EEENS0_18inequality_wrapperIZN2at6native12_GLOBAL__N_124unique_dim_cuda_templateIhEESt5tupleIJNSH_6TensorESM_SM_EERKSM_lbbbEUlllE0_EEPmJS6_EEE10hipError_tPvRmT3_T4_T5_T6_T7_T9_mT8_P12ihipStream_tbDpT10_ENKUlT_T0_E_clISt17integral_constantIbLb0EES1C_EEDaS17_S18_EUlS17_E_NS1_11comp_targetILNS1_3genE3ELNS1_11target_archE908ELNS1_3gpuE7ELNS1_3repE0EEENS1_30default_config_static_selectorELNS0_4arch9wavefront6targetE0EEEvT1_
		.amdhsa_group_segment_fixed_size 0
		.amdhsa_private_segment_fixed_size 0
		.amdhsa_kernarg_size 120
		.amdhsa_user_sgpr_count 15
		.amdhsa_user_sgpr_dispatch_ptr 0
		.amdhsa_user_sgpr_queue_ptr 0
		.amdhsa_user_sgpr_kernarg_segment_ptr 1
		.amdhsa_user_sgpr_dispatch_id 0
		.amdhsa_user_sgpr_private_segment_size 0
		.amdhsa_wavefront_size32 1
		.amdhsa_uses_dynamic_stack 0
		.amdhsa_enable_private_segment 0
		.amdhsa_system_sgpr_workgroup_id_x 1
		.amdhsa_system_sgpr_workgroup_id_y 0
		.amdhsa_system_sgpr_workgroup_id_z 0
		.amdhsa_system_sgpr_workgroup_info 0
		.amdhsa_system_vgpr_workitem_id 0
		.amdhsa_next_free_vgpr 1
		.amdhsa_next_free_sgpr 1
		.amdhsa_reserve_vcc 0
		.amdhsa_float_round_mode_32 0
		.amdhsa_float_round_mode_16_64 0
		.amdhsa_float_denorm_mode_32 3
		.amdhsa_float_denorm_mode_16_64 3
		.amdhsa_dx10_clamp 1
		.amdhsa_ieee_mode 1
		.amdhsa_fp16_overflow 0
		.amdhsa_workgroup_processor_mode 1
		.amdhsa_memory_ordered 1
		.amdhsa_forward_progress 0
		.amdhsa_shared_vgpr_count 0
		.amdhsa_exception_fp_ieee_invalid_op 0
		.amdhsa_exception_fp_denorm_src 0
		.amdhsa_exception_fp_ieee_div_zero 0
		.amdhsa_exception_fp_ieee_overflow 0
		.amdhsa_exception_fp_ieee_underflow 0
		.amdhsa_exception_fp_ieee_inexact 0
		.amdhsa_exception_int_div_zero 0
	.end_amdhsa_kernel
	.section	.text._ZN7rocprim17ROCPRIM_400000_NS6detail17trampoline_kernelINS0_14default_configENS1_25partition_config_selectorILNS1_17partition_subalgoE8ElNS0_10empty_typeEbEEZZNS1_14partition_implILS5_8ELb0ES3_jPlPS6_PKS6_NS0_5tupleIJS9_S6_EEENSD_IJSA_SA_EEENS0_18inequality_wrapperIZN2at6native12_GLOBAL__N_124unique_dim_cuda_templateIhEESt5tupleIJNSH_6TensorESM_SM_EERKSM_lbbbEUlllE0_EEPmJS6_EEE10hipError_tPvRmT3_T4_T5_T6_T7_T9_mT8_P12ihipStream_tbDpT10_ENKUlT_T0_E_clISt17integral_constantIbLb0EES1C_EEDaS17_S18_EUlS17_E_NS1_11comp_targetILNS1_3genE3ELNS1_11target_archE908ELNS1_3gpuE7ELNS1_3repE0EEENS1_30default_config_static_selectorELNS0_4arch9wavefront6targetE0EEEvT1_,"axG",@progbits,_ZN7rocprim17ROCPRIM_400000_NS6detail17trampoline_kernelINS0_14default_configENS1_25partition_config_selectorILNS1_17partition_subalgoE8ElNS0_10empty_typeEbEEZZNS1_14partition_implILS5_8ELb0ES3_jPlPS6_PKS6_NS0_5tupleIJS9_S6_EEENSD_IJSA_SA_EEENS0_18inequality_wrapperIZN2at6native12_GLOBAL__N_124unique_dim_cuda_templateIhEESt5tupleIJNSH_6TensorESM_SM_EERKSM_lbbbEUlllE0_EEPmJS6_EEE10hipError_tPvRmT3_T4_T5_T6_T7_T9_mT8_P12ihipStream_tbDpT10_ENKUlT_T0_E_clISt17integral_constantIbLb0EES1C_EEDaS17_S18_EUlS17_E_NS1_11comp_targetILNS1_3genE3ELNS1_11target_archE908ELNS1_3gpuE7ELNS1_3repE0EEENS1_30default_config_static_selectorELNS0_4arch9wavefront6targetE0EEEvT1_,comdat
.Lfunc_end164:
	.size	_ZN7rocprim17ROCPRIM_400000_NS6detail17trampoline_kernelINS0_14default_configENS1_25partition_config_selectorILNS1_17partition_subalgoE8ElNS0_10empty_typeEbEEZZNS1_14partition_implILS5_8ELb0ES3_jPlPS6_PKS6_NS0_5tupleIJS9_S6_EEENSD_IJSA_SA_EEENS0_18inequality_wrapperIZN2at6native12_GLOBAL__N_124unique_dim_cuda_templateIhEESt5tupleIJNSH_6TensorESM_SM_EERKSM_lbbbEUlllE0_EEPmJS6_EEE10hipError_tPvRmT3_T4_T5_T6_T7_T9_mT8_P12ihipStream_tbDpT10_ENKUlT_T0_E_clISt17integral_constantIbLb0EES1C_EEDaS17_S18_EUlS17_E_NS1_11comp_targetILNS1_3genE3ELNS1_11target_archE908ELNS1_3gpuE7ELNS1_3repE0EEENS1_30default_config_static_selectorELNS0_4arch9wavefront6targetE0EEEvT1_, .Lfunc_end164-_ZN7rocprim17ROCPRIM_400000_NS6detail17trampoline_kernelINS0_14default_configENS1_25partition_config_selectorILNS1_17partition_subalgoE8ElNS0_10empty_typeEbEEZZNS1_14partition_implILS5_8ELb0ES3_jPlPS6_PKS6_NS0_5tupleIJS9_S6_EEENSD_IJSA_SA_EEENS0_18inequality_wrapperIZN2at6native12_GLOBAL__N_124unique_dim_cuda_templateIhEESt5tupleIJNSH_6TensorESM_SM_EERKSM_lbbbEUlllE0_EEPmJS6_EEE10hipError_tPvRmT3_T4_T5_T6_T7_T9_mT8_P12ihipStream_tbDpT10_ENKUlT_T0_E_clISt17integral_constantIbLb0EES1C_EEDaS17_S18_EUlS17_E_NS1_11comp_targetILNS1_3genE3ELNS1_11target_archE908ELNS1_3gpuE7ELNS1_3repE0EEENS1_30default_config_static_selectorELNS0_4arch9wavefront6targetE0EEEvT1_
                                        ; -- End function
	.section	.AMDGPU.csdata,"",@progbits
; Kernel info:
; codeLenInByte = 0
; NumSgprs: 0
; NumVgprs: 0
; ScratchSize: 0
; MemoryBound: 0
; FloatMode: 240
; IeeeMode: 1
; LDSByteSize: 0 bytes/workgroup (compile time only)
; SGPRBlocks: 0
; VGPRBlocks: 0
; NumSGPRsForWavesPerEU: 1
; NumVGPRsForWavesPerEU: 1
; Occupancy: 16
; WaveLimiterHint : 0
; COMPUTE_PGM_RSRC2:SCRATCH_EN: 0
; COMPUTE_PGM_RSRC2:USER_SGPR: 15
; COMPUTE_PGM_RSRC2:TRAP_HANDLER: 0
; COMPUTE_PGM_RSRC2:TGID_X_EN: 1
; COMPUTE_PGM_RSRC2:TGID_Y_EN: 0
; COMPUTE_PGM_RSRC2:TGID_Z_EN: 0
; COMPUTE_PGM_RSRC2:TIDIG_COMP_CNT: 0
	.section	.text._ZN7rocprim17ROCPRIM_400000_NS6detail17trampoline_kernelINS0_14default_configENS1_25partition_config_selectorILNS1_17partition_subalgoE8ElNS0_10empty_typeEbEEZZNS1_14partition_implILS5_8ELb0ES3_jPlPS6_PKS6_NS0_5tupleIJS9_S6_EEENSD_IJSA_SA_EEENS0_18inequality_wrapperIZN2at6native12_GLOBAL__N_124unique_dim_cuda_templateIhEESt5tupleIJNSH_6TensorESM_SM_EERKSM_lbbbEUlllE0_EEPmJS6_EEE10hipError_tPvRmT3_T4_T5_T6_T7_T9_mT8_P12ihipStream_tbDpT10_ENKUlT_T0_E_clISt17integral_constantIbLb0EES1C_EEDaS17_S18_EUlS17_E_NS1_11comp_targetILNS1_3genE2ELNS1_11target_archE906ELNS1_3gpuE6ELNS1_3repE0EEENS1_30default_config_static_selectorELNS0_4arch9wavefront6targetE0EEEvT1_,"axG",@progbits,_ZN7rocprim17ROCPRIM_400000_NS6detail17trampoline_kernelINS0_14default_configENS1_25partition_config_selectorILNS1_17partition_subalgoE8ElNS0_10empty_typeEbEEZZNS1_14partition_implILS5_8ELb0ES3_jPlPS6_PKS6_NS0_5tupleIJS9_S6_EEENSD_IJSA_SA_EEENS0_18inequality_wrapperIZN2at6native12_GLOBAL__N_124unique_dim_cuda_templateIhEESt5tupleIJNSH_6TensorESM_SM_EERKSM_lbbbEUlllE0_EEPmJS6_EEE10hipError_tPvRmT3_T4_T5_T6_T7_T9_mT8_P12ihipStream_tbDpT10_ENKUlT_T0_E_clISt17integral_constantIbLb0EES1C_EEDaS17_S18_EUlS17_E_NS1_11comp_targetILNS1_3genE2ELNS1_11target_archE906ELNS1_3gpuE6ELNS1_3repE0EEENS1_30default_config_static_selectorELNS0_4arch9wavefront6targetE0EEEvT1_,comdat
	.globl	_ZN7rocprim17ROCPRIM_400000_NS6detail17trampoline_kernelINS0_14default_configENS1_25partition_config_selectorILNS1_17partition_subalgoE8ElNS0_10empty_typeEbEEZZNS1_14partition_implILS5_8ELb0ES3_jPlPS6_PKS6_NS0_5tupleIJS9_S6_EEENSD_IJSA_SA_EEENS0_18inequality_wrapperIZN2at6native12_GLOBAL__N_124unique_dim_cuda_templateIhEESt5tupleIJNSH_6TensorESM_SM_EERKSM_lbbbEUlllE0_EEPmJS6_EEE10hipError_tPvRmT3_T4_T5_T6_T7_T9_mT8_P12ihipStream_tbDpT10_ENKUlT_T0_E_clISt17integral_constantIbLb0EES1C_EEDaS17_S18_EUlS17_E_NS1_11comp_targetILNS1_3genE2ELNS1_11target_archE906ELNS1_3gpuE6ELNS1_3repE0EEENS1_30default_config_static_selectorELNS0_4arch9wavefront6targetE0EEEvT1_ ; -- Begin function _ZN7rocprim17ROCPRIM_400000_NS6detail17trampoline_kernelINS0_14default_configENS1_25partition_config_selectorILNS1_17partition_subalgoE8ElNS0_10empty_typeEbEEZZNS1_14partition_implILS5_8ELb0ES3_jPlPS6_PKS6_NS0_5tupleIJS9_S6_EEENSD_IJSA_SA_EEENS0_18inequality_wrapperIZN2at6native12_GLOBAL__N_124unique_dim_cuda_templateIhEESt5tupleIJNSH_6TensorESM_SM_EERKSM_lbbbEUlllE0_EEPmJS6_EEE10hipError_tPvRmT3_T4_T5_T6_T7_T9_mT8_P12ihipStream_tbDpT10_ENKUlT_T0_E_clISt17integral_constantIbLb0EES1C_EEDaS17_S18_EUlS17_E_NS1_11comp_targetILNS1_3genE2ELNS1_11target_archE906ELNS1_3gpuE6ELNS1_3repE0EEENS1_30default_config_static_selectorELNS0_4arch9wavefront6targetE0EEEvT1_
	.p2align	8
	.type	_ZN7rocprim17ROCPRIM_400000_NS6detail17trampoline_kernelINS0_14default_configENS1_25partition_config_selectorILNS1_17partition_subalgoE8ElNS0_10empty_typeEbEEZZNS1_14partition_implILS5_8ELb0ES3_jPlPS6_PKS6_NS0_5tupleIJS9_S6_EEENSD_IJSA_SA_EEENS0_18inequality_wrapperIZN2at6native12_GLOBAL__N_124unique_dim_cuda_templateIhEESt5tupleIJNSH_6TensorESM_SM_EERKSM_lbbbEUlllE0_EEPmJS6_EEE10hipError_tPvRmT3_T4_T5_T6_T7_T9_mT8_P12ihipStream_tbDpT10_ENKUlT_T0_E_clISt17integral_constantIbLb0EES1C_EEDaS17_S18_EUlS17_E_NS1_11comp_targetILNS1_3genE2ELNS1_11target_archE906ELNS1_3gpuE6ELNS1_3repE0EEENS1_30default_config_static_selectorELNS0_4arch9wavefront6targetE0EEEvT1_,@function
_ZN7rocprim17ROCPRIM_400000_NS6detail17trampoline_kernelINS0_14default_configENS1_25partition_config_selectorILNS1_17partition_subalgoE8ElNS0_10empty_typeEbEEZZNS1_14partition_implILS5_8ELb0ES3_jPlPS6_PKS6_NS0_5tupleIJS9_S6_EEENSD_IJSA_SA_EEENS0_18inequality_wrapperIZN2at6native12_GLOBAL__N_124unique_dim_cuda_templateIhEESt5tupleIJNSH_6TensorESM_SM_EERKSM_lbbbEUlllE0_EEPmJS6_EEE10hipError_tPvRmT3_T4_T5_T6_T7_T9_mT8_P12ihipStream_tbDpT10_ENKUlT_T0_E_clISt17integral_constantIbLb0EES1C_EEDaS17_S18_EUlS17_E_NS1_11comp_targetILNS1_3genE2ELNS1_11target_archE906ELNS1_3gpuE6ELNS1_3repE0EEENS1_30default_config_static_selectorELNS0_4arch9wavefront6targetE0EEEvT1_: ; @_ZN7rocprim17ROCPRIM_400000_NS6detail17trampoline_kernelINS0_14default_configENS1_25partition_config_selectorILNS1_17partition_subalgoE8ElNS0_10empty_typeEbEEZZNS1_14partition_implILS5_8ELb0ES3_jPlPS6_PKS6_NS0_5tupleIJS9_S6_EEENSD_IJSA_SA_EEENS0_18inequality_wrapperIZN2at6native12_GLOBAL__N_124unique_dim_cuda_templateIhEESt5tupleIJNSH_6TensorESM_SM_EERKSM_lbbbEUlllE0_EEPmJS6_EEE10hipError_tPvRmT3_T4_T5_T6_T7_T9_mT8_P12ihipStream_tbDpT10_ENKUlT_T0_E_clISt17integral_constantIbLb0EES1C_EEDaS17_S18_EUlS17_E_NS1_11comp_targetILNS1_3genE2ELNS1_11target_archE906ELNS1_3gpuE6ELNS1_3repE0EEENS1_30default_config_static_selectorELNS0_4arch9wavefront6targetE0EEEvT1_
; %bb.0:
	.section	.rodata,"a",@progbits
	.p2align	6, 0x0
	.amdhsa_kernel _ZN7rocprim17ROCPRIM_400000_NS6detail17trampoline_kernelINS0_14default_configENS1_25partition_config_selectorILNS1_17partition_subalgoE8ElNS0_10empty_typeEbEEZZNS1_14partition_implILS5_8ELb0ES3_jPlPS6_PKS6_NS0_5tupleIJS9_S6_EEENSD_IJSA_SA_EEENS0_18inequality_wrapperIZN2at6native12_GLOBAL__N_124unique_dim_cuda_templateIhEESt5tupleIJNSH_6TensorESM_SM_EERKSM_lbbbEUlllE0_EEPmJS6_EEE10hipError_tPvRmT3_T4_T5_T6_T7_T9_mT8_P12ihipStream_tbDpT10_ENKUlT_T0_E_clISt17integral_constantIbLb0EES1C_EEDaS17_S18_EUlS17_E_NS1_11comp_targetILNS1_3genE2ELNS1_11target_archE906ELNS1_3gpuE6ELNS1_3repE0EEENS1_30default_config_static_selectorELNS0_4arch9wavefront6targetE0EEEvT1_
		.amdhsa_group_segment_fixed_size 0
		.amdhsa_private_segment_fixed_size 0
		.amdhsa_kernarg_size 120
		.amdhsa_user_sgpr_count 15
		.amdhsa_user_sgpr_dispatch_ptr 0
		.amdhsa_user_sgpr_queue_ptr 0
		.amdhsa_user_sgpr_kernarg_segment_ptr 1
		.amdhsa_user_sgpr_dispatch_id 0
		.amdhsa_user_sgpr_private_segment_size 0
		.amdhsa_wavefront_size32 1
		.amdhsa_uses_dynamic_stack 0
		.amdhsa_enable_private_segment 0
		.amdhsa_system_sgpr_workgroup_id_x 1
		.amdhsa_system_sgpr_workgroup_id_y 0
		.amdhsa_system_sgpr_workgroup_id_z 0
		.amdhsa_system_sgpr_workgroup_info 0
		.amdhsa_system_vgpr_workitem_id 0
		.amdhsa_next_free_vgpr 1
		.amdhsa_next_free_sgpr 1
		.amdhsa_reserve_vcc 0
		.amdhsa_float_round_mode_32 0
		.amdhsa_float_round_mode_16_64 0
		.amdhsa_float_denorm_mode_32 3
		.amdhsa_float_denorm_mode_16_64 3
		.amdhsa_dx10_clamp 1
		.amdhsa_ieee_mode 1
		.amdhsa_fp16_overflow 0
		.amdhsa_workgroup_processor_mode 1
		.amdhsa_memory_ordered 1
		.amdhsa_forward_progress 0
		.amdhsa_shared_vgpr_count 0
		.amdhsa_exception_fp_ieee_invalid_op 0
		.amdhsa_exception_fp_denorm_src 0
		.amdhsa_exception_fp_ieee_div_zero 0
		.amdhsa_exception_fp_ieee_overflow 0
		.amdhsa_exception_fp_ieee_underflow 0
		.amdhsa_exception_fp_ieee_inexact 0
		.amdhsa_exception_int_div_zero 0
	.end_amdhsa_kernel
	.section	.text._ZN7rocprim17ROCPRIM_400000_NS6detail17trampoline_kernelINS0_14default_configENS1_25partition_config_selectorILNS1_17partition_subalgoE8ElNS0_10empty_typeEbEEZZNS1_14partition_implILS5_8ELb0ES3_jPlPS6_PKS6_NS0_5tupleIJS9_S6_EEENSD_IJSA_SA_EEENS0_18inequality_wrapperIZN2at6native12_GLOBAL__N_124unique_dim_cuda_templateIhEESt5tupleIJNSH_6TensorESM_SM_EERKSM_lbbbEUlllE0_EEPmJS6_EEE10hipError_tPvRmT3_T4_T5_T6_T7_T9_mT8_P12ihipStream_tbDpT10_ENKUlT_T0_E_clISt17integral_constantIbLb0EES1C_EEDaS17_S18_EUlS17_E_NS1_11comp_targetILNS1_3genE2ELNS1_11target_archE906ELNS1_3gpuE6ELNS1_3repE0EEENS1_30default_config_static_selectorELNS0_4arch9wavefront6targetE0EEEvT1_,"axG",@progbits,_ZN7rocprim17ROCPRIM_400000_NS6detail17trampoline_kernelINS0_14default_configENS1_25partition_config_selectorILNS1_17partition_subalgoE8ElNS0_10empty_typeEbEEZZNS1_14partition_implILS5_8ELb0ES3_jPlPS6_PKS6_NS0_5tupleIJS9_S6_EEENSD_IJSA_SA_EEENS0_18inequality_wrapperIZN2at6native12_GLOBAL__N_124unique_dim_cuda_templateIhEESt5tupleIJNSH_6TensorESM_SM_EERKSM_lbbbEUlllE0_EEPmJS6_EEE10hipError_tPvRmT3_T4_T5_T6_T7_T9_mT8_P12ihipStream_tbDpT10_ENKUlT_T0_E_clISt17integral_constantIbLb0EES1C_EEDaS17_S18_EUlS17_E_NS1_11comp_targetILNS1_3genE2ELNS1_11target_archE906ELNS1_3gpuE6ELNS1_3repE0EEENS1_30default_config_static_selectorELNS0_4arch9wavefront6targetE0EEEvT1_,comdat
.Lfunc_end165:
	.size	_ZN7rocprim17ROCPRIM_400000_NS6detail17trampoline_kernelINS0_14default_configENS1_25partition_config_selectorILNS1_17partition_subalgoE8ElNS0_10empty_typeEbEEZZNS1_14partition_implILS5_8ELb0ES3_jPlPS6_PKS6_NS0_5tupleIJS9_S6_EEENSD_IJSA_SA_EEENS0_18inequality_wrapperIZN2at6native12_GLOBAL__N_124unique_dim_cuda_templateIhEESt5tupleIJNSH_6TensorESM_SM_EERKSM_lbbbEUlllE0_EEPmJS6_EEE10hipError_tPvRmT3_T4_T5_T6_T7_T9_mT8_P12ihipStream_tbDpT10_ENKUlT_T0_E_clISt17integral_constantIbLb0EES1C_EEDaS17_S18_EUlS17_E_NS1_11comp_targetILNS1_3genE2ELNS1_11target_archE906ELNS1_3gpuE6ELNS1_3repE0EEENS1_30default_config_static_selectorELNS0_4arch9wavefront6targetE0EEEvT1_, .Lfunc_end165-_ZN7rocprim17ROCPRIM_400000_NS6detail17trampoline_kernelINS0_14default_configENS1_25partition_config_selectorILNS1_17partition_subalgoE8ElNS0_10empty_typeEbEEZZNS1_14partition_implILS5_8ELb0ES3_jPlPS6_PKS6_NS0_5tupleIJS9_S6_EEENSD_IJSA_SA_EEENS0_18inequality_wrapperIZN2at6native12_GLOBAL__N_124unique_dim_cuda_templateIhEESt5tupleIJNSH_6TensorESM_SM_EERKSM_lbbbEUlllE0_EEPmJS6_EEE10hipError_tPvRmT3_T4_T5_T6_T7_T9_mT8_P12ihipStream_tbDpT10_ENKUlT_T0_E_clISt17integral_constantIbLb0EES1C_EEDaS17_S18_EUlS17_E_NS1_11comp_targetILNS1_3genE2ELNS1_11target_archE906ELNS1_3gpuE6ELNS1_3repE0EEENS1_30default_config_static_selectorELNS0_4arch9wavefront6targetE0EEEvT1_
                                        ; -- End function
	.section	.AMDGPU.csdata,"",@progbits
; Kernel info:
; codeLenInByte = 0
; NumSgprs: 0
; NumVgprs: 0
; ScratchSize: 0
; MemoryBound: 0
; FloatMode: 240
; IeeeMode: 1
; LDSByteSize: 0 bytes/workgroup (compile time only)
; SGPRBlocks: 0
; VGPRBlocks: 0
; NumSGPRsForWavesPerEU: 1
; NumVGPRsForWavesPerEU: 1
; Occupancy: 16
; WaveLimiterHint : 0
; COMPUTE_PGM_RSRC2:SCRATCH_EN: 0
; COMPUTE_PGM_RSRC2:USER_SGPR: 15
; COMPUTE_PGM_RSRC2:TRAP_HANDLER: 0
; COMPUTE_PGM_RSRC2:TGID_X_EN: 1
; COMPUTE_PGM_RSRC2:TGID_Y_EN: 0
; COMPUTE_PGM_RSRC2:TGID_Z_EN: 0
; COMPUTE_PGM_RSRC2:TIDIG_COMP_CNT: 0
	.section	.text._ZN7rocprim17ROCPRIM_400000_NS6detail17trampoline_kernelINS0_14default_configENS1_25partition_config_selectorILNS1_17partition_subalgoE8ElNS0_10empty_typeEbEEZZNS1_14partition_implILS5_8ELb0ES3_jPlPS6_PKS6_NS0_5tupleIJS9_S6_EEENSD_IJSA_SA_EEENS0_18inequality_wrapperIZN2at6native12_GLOBAL__N_124unique_dim_cuda_templateIhEESt5tupleIJNSH_6TensorESM_SM_EERKSM_lbbbEUlllE0_EEPmJS6_EEE10hipError_tPvRmT3_T4_T5_T6_T7_T9_mT8_P12ihipStream_tbDpT10_ENKUlT_T0_E_clISt17integral_constantIbLb0EES1C_EEDaS17_S18_EUlS17_E_NS1_11comp_targetILNS1_3genE10ELNS1_11target_archE1200ELNS1_3gpuE4ELNS1_3repE0EEENS1_30default_config_static_selectorELNS0_4arch9wavefront6targetE0EEEvT1_,"axG",@progbits,_ZN7rocprim17ROCPRIM_400000_NS6detail17trampoline_kernelINS0_14default_configENS1_25partition_config_selectorILNS1_17partition_subalgoE8ElNS0_10empty_typeEbEEZZNS1_14partition_implILS5_8ELb0ES3_jPlPS6_PKS6_NS0_5tupleIJS9_S6_EEENSD_IJSA_SA_EEENS0_18inequality_wrapperIZN2at6native12_GLOBAL__N_124unique_dim_cuda_templateIhEESt5tupleIJNSH_6TensorESM_SM_EERKSM_lbbbEUlllE0_EEPmJS6_EEE10hipError_tPvRmT3_T4_T5_T6_T7_T9_mT8_P12ihipStream_tbDpT10_ENKUlT_T0_E_clISt17integral_constantIbLb0EES1C_EEDaS17_S18_EUlS17_E_NS1_11comp_targetILNS1_3genE10ELNS1_11target_archE1200ELNS1_3gpuE4ELNS1_3repE0EEENS1_30default_config_static_selectorELNS0_4arch9wavefront6targetE0EEEvT1_,comdat
	.globl	_ZN7rocprim17ROCPRIM_400000_NS6detail17trampoline_kernelINS0_14default_configENS1_25partition_config_selectorILNS1_17partition_subalgoE8ElNS0_10empty_typeEbEEZZNS1_14partition_implILS5_8ELb0ES3_jPlPS6_PKS6_NS0_5tupleIJS9_S6_EEENSD_IJSA_SA_EEENS0_18inequality_wrapperIZN2at6native12_GLOBAL__N_124unique_dim_cuda_templateIhEESt5tupleIJNSH_6TensorESM_SM_EERKSM_lbbbEUlllE0_EEPmJS6_EEE10hipError_tPvRmT3_T4_T5_T6_T7_T9_mT8_P12ihipStream_tbDpT10_ENKUlT_T0_E_clISt17integral_constantIbLb0EES1C_EEDaS17_S18_EUlS17_E_NS1_11comp_targetILNS1_3genE10ELNS1_11target_archE1200ELNS1_3gpuE4ELNS1_3repE0EEENS1_30default_config_static_selectorELNS0_4arch9wavefront6targetE0EEEvT1_ ; -- Begin function _ZN7rocprim17ROCPRIM_400000_NS6detail17trampoline_kernelINS0_14default_configENS1_25partition_config_selectorILNS1_17partition_subalgoE8ElNS0_10empty_typeEbEEZZNS1_14partition_implILS5_8ELb0ES3_jPlPS6_PKS6_NS0_5tupleIJS9_S6_EEENSD_IJSA_SA_EEENS0_18inequality_wrapperIZN2at6native12_GLOBAL__N_124unique_dim_cuda_templateIhEESt5tupleIJNSH_6TensorESM_SM_EERKSM_lbbbEUlllE0_EEPmJS6_EEE10hipError_tPvRmT3_T4_T5_T6_T7_T9_mT8_P12ihipStream_tbDpT10_ENKUlT_T0_E_clISt17integral_constantIbLb0EES1C_EEDaS17_S18_EUlS17_E_NS1_11comp_targetILNS1_3genE10ELNS1_11target_archE1200ELNS1_3gpuE4ELNS1_3repE0EEENS1_30default_config_static_selectorELNS0_4arch9wavefront6targetE0EEEvT1_
	.p2align	8
	.type	_ZN7rocprim17ROCPRIM_400000_NS6detail17trampoline_kernelINS0_14default_configENS1_25partition_config_selectorILNS1_17partition_subalgoE8ElNS0_10empty_typeEbEEZZNS1_14partition_implILS5_8ELb0ES3_jPlPS6_PKS6_NS0_5tupleIJS9_S6_EEENSD_IJSA_SA_EEENS0_18inequality_wrapperIZN2at6native12_GLOBAL__N_124unique_dim_cuda_templateIhEESt5tupleIJNSH_6TensorESM_SM_EERKSM_lbbbEUlllE0_EEPmJS6_EEE10hipError_tPvRmT3_T4_T5_T6_T7_T9_mT8_P12ihipStream_tbDpT10_ENKUlT_T0_E_clISt17integral_constantIbLb0EES1C_EEDaS17_S18_EUlS17_E_NS1_11comp_targetILNS1_3genE10ELNS1_11target_archE1200ELNS1_3gpuE4ELNS1_3repE0EEENS1_30default_config_static_selectorELNS0_4arch9wavefront6targetE0EEEvT1_,@function
_ZN7rocprim17ROCPRIM_400000_NS6detail17trampoline_kernelINS0_14default_configENS1_25partition_config_selectorILNS1_17partition_subalgoE8ElNS0_10empty_typeEbEEZZNS1_14partition_implILS5_8ELb0ES3_jPlPS6_PKS6_NS0_5tupleIJS9_S6_EEENSD_IJSA_SA_EEENS0_18inequality_wrapperIZN2at6native12_GLOBAL__N_124unique_dim_cuda_templateIhEESt5tupleIJNSH_6TensorESM_SM_EERKSM_lbbbEUlllE0_EEPmJS6_EEE10hipError_tPvRmT3_T4_T5_T6_T7_T9_mT8_P12ihipStream_tbDpT10_ENKUlT_T0_E_clISt17integral_constantIbLb0EES1C_EEDaS17_S18_EUlS17_E_NS1_11comp_targetILNS1_3genE10ELNS1_11target_archE1200ELNS1_3gpuE4ELNS1_3repE0EEENS1_30default_config_static_selectorELNS0_4arch9wavefront6targetE0EEEvT1_: ; @_ZN7rocprim17ROCPRIM_400000_NS6detail17trampoline_kernelINS0_14default_configENS1_25partition_config_selectorILNS1_17partition_subalgoE8ElNS0_10empty_typeEbEEZZNS1_14partition_implILS5_8ELb0ES3_jPlPS6_PKS6_NS0_5tupleIJS9_S6_EEENSD_IJSA_SA_EEENS0_18inequality_wrapperIZN2at6native12_GLOBAL__N_124unique_dim_cuda_templateIhEESt5tupleIJNSH_6TensorESM_SM_EERKSM_lbbbEUlllE0_EEPmJS6_EEE10hipError_tPvRmT3_T4_T5_T6_T7_T9_mT8_P12ihipStream_tbDpT10_ENKUlT_T0_E_clISt17integral_constantIbLb0EES1C_EEDaS17_S18_EUlS17_E_NS1_11comp_targetILNS1_3genE10ELNS1_11target_archE1200ELNS1_3gpuE4ELNS1_3repE0EEENS1_30default_config_static_selectorELNS0_4arch9wavefront6targetE0EEEvT1_
; %bb.0:
	.section	.rodata,"a",@progbits
	.p2align	6, 0x0
	.amdhsa_kernel _ZN7rocprim17ROCPRIM_400000_NS6detail17trampoline_kernelINS0_14default_configENS1_25partition_config_selectorILNS1_17partition_subalgoE8ElNS0_10empty_typeEbEEZZNS1_14partition_implILS5_8ELb0ES3_jPlPS6_PKS6_NS0_5tupleIJS9_S6_EEENSD_IJSA_SA_EEENS0_18inequality_wrapperIZN2at6native12_GLOBAL__N_124unique_dim_cuda_templateIhEESt5tupleIJNSH_6TensorESM_SM_EERKSM_lbbbEUlllE0_EEPmJS6_EEE10hipError_tPvRmT3_T4_T5_T6_T7_T9_mT8_P12ihipStream_tbDpT10_ENKUlT_T0_E_clISt17integral_constantIbLb0EES1C_EEDaS17_S18_EUlS17_E_NS1_11comp_targetILNS1_3genE10ELNS1_11target_archE1200ELNS1_3gpuE4ELNS1_3repE0EEENS1_30default_config_static_selectorELNS0_4arch9wavefront6targetE0EEEvT1_
		.amdhsa_group_segment_fixed_size 0
		.amdhsa_private_segment_fixed_size 0
		.amdhsa_kernarg_size 120
		.amdhsa_user_sgpr_count 15
		.amdhsa_user_sgpr_dispatch_ptr 0
		.amdhsa_user_sgpr_queue_ptr 0
		.amdhsa_user_sgpr_kernarg_segment_ptr 1
		.amdhsa_user_sgpr_dispatch_id 0
		.amdhsa_user_sgpr_private_segment_size 0
		.amdhsa_wavefront_size32 1
		.amdhsa_uses_dynamic_stack 0
		.amdhsa_enable_private_segment 0
		.amdhsa_system_sgpr_workgroup_id_x 1
		.amdhsa_system_sgpr_workgroup_id_y 0
		.amdhsa_system_sgpr_workgroup_id_z 0
		.amdhsa_system_sgpr_workgroup_info 0
		.amdhsa_system_vgpr_workitem_id 0
		.amdhsa_next_free_vgpr 1
		.amdhsa_next_free_sgpr 1
		.amdhsa_reserve_vcc 0
		.amdhsa_float_round_mode_32 0
		.amdhsa_float_round_mode_16_64 0
		.amdhsa_float_denorm_mode_32 3
		.amdhsa_float_denorm_mode_16_64 3
		.amdhsa_dx10_clamp 1
		.amdhsa_ieee_mode 1
		.amdhsa_fp16_overflow 0
		.amdhsa_workgroup_processor_mode 1
		.amdhsa_memory_ordered 1
		.amdhsa_forward_progress 0
		.amdhsa_shared_vgpr_count 0
		.amdhsa_exception_fp_ieee_invalid_op 0
		.amdhsa_exception_fp_denorm_src 0
		.amdhsa_exception_fp_ieee_div_zero 0
		.amdhsa_exception_fp_ieee_overflow 0
		.amdhsa_exception_fp_ieee_underflow 0
		.amdhsa_exception_fp_ieee_inexact 0
		.amdhsa_exception_int_div_zero 0
	.end_amdhsa_kernel
	.section	.text._ZN7rocprim17ROCPRIM_400000_NS6detail17trampoline_kernelINS0_14default_configENS1_25partition_config_selectorILNS1_17partition_subalgoE8ElNS0_10empty_typeEbEEZZNS1_14partition_implILS5_8ELb0ES3_jPlPS6_PKS6_NS0_5tupleIJS9_S6_EEENSD_IJSA_SA_EEENS0_18inequality_wrapperIZN2at6native12_GLOBAL__N_124unique_dim_cuda_templateIhEESt5tupleIJNSH_6TensorESM_SM_EERKSM_lbbbEUlllE0_EEPmJS6_EEE10hipError_tPvRmT3_T4_T5_T6_T7_T9_mT8_P12ihipStream_tbDpT10_ENKUlT_T0_E_clISt17integral_constantIbLb0EES1C_EEDaS17_S18_EUlS17_E_NS1_11comp_targetILNS1_3genE10ELNS1_11target_archE1200ELNS1_3gpuE4ELNS1_3repE0EEENS1_30default_config_static_selectorELNS0_4arch9wavefront6targetE0EEEvT1_,"axG",@progbits,_ZN7rocprim17ROCPRIM_400000_NS6detail17trampoline_kernelINS0_14default_configENS1_25partition_config_selectorILNS1_17partition_subalgoE8ElNS0_10empty_typeEbEEZZNS1_14partition_implILS5_8ELb0ES3_jPlPS6_PKS6_NS0_5tupleIJS9_S6_EEENSD_IJSA_SA_EEENS0_18inequality_wrapperIZN2at6native12_GLOBAL__N_124unique_dim_cuda_templateIhEESt5tupleIJNSH_6TensorESM_SM_EERKSM_lbbbEUlllE0_EEPmJS6_EEE10hipError_tPvRmT3_T4_T5_T6_T7_T9_mT8_P12ihipStream_tbDpT10_ENKUlT_T0_E_clISt17integral_constantIbLb0EES1C_EEDaS17_S18_EUlS17_E_NS1_11comp_targetILNS1_3genE10ELNS1_11target_archE1200ELNS1_3gpuE4ELNS1_3repE0EEENS1_30default_config_static_selectorELNS0_4arch9wavefront6targetE0EEEvT1_,comdat
.Lfunc_end166:
	.size	_ZN7rocprim17ROCPRIM_400000_NS6detail17trampoline_kernelINS0_14default_configENS1_25partition_config_selectorILNS1_17partition_subalgoE8ElNS0_10empty_typeEbEEZZNS1_14partition_implILS5_8ELb0ES3_jPlPS6_PKS6_NS0_5tupleIJS9_S6_EEENSD_IJSA_SA_EEENS0_18inequality_wrapperIZN2at6native12_GLOBAL__N_124unique_dim_cuda_templateIhEESt5tupleIJNSH_6TensorESM_SM_EERKSM_lbbbEUlllE0_EEPmJS6_EEE10hipError_tPvRmT3_T4_T5_T6_T7_T9_mT8_P12ihipStream_tbDpT10_ENKUlT_T0_E_clISt17integral_constantIbLb0EES1C_EEDaS17_S18_EUlS17_E_NS1_11comp_targetILNS1_3genE10ELNS1_11target_archE1200ELNS1_3gpuE4ELNS1_3repE0EEENS1_30default_config_static_selectorELNS0_4arch9wavefront6targetE0EEEvT1_, .Lfunc_end166-_ZN7rocprim17ROCPRIM_400000_NS6detail17trampoline_kernelINS0_14default_configENS1_25partition_config_selectorILNS1_17partition_subalgoE8ElNS0_10empty_typeEbEEZZNS1_14partition_implILS5_8ELb0ES3_jPlPS6_PKS6_NS0_5tupleIJS9_S6_EEENSD_IJSA_SA_EEENS0_18inequality_wrapperIZN2at6native12_GLOBAL__N_124unique_dim_cuda_templateIhEESt5tupleIJNSH_6TensorESM_SM_EERKSM_lbbbEUlllE0_EEPmJS6_EEE10hipError_tPvRmT3_T4_T5_T6_T7_T9_mT8_P12ihipStream_tbDpT10_ENKUlT_T0_E_clISt17integral_constantIbLb0EES1C_EEDaS17_S18_EUlS17_E_NS1_11comp_targetILNS1_3genE10ELNS1_11target_archE1200ELNS1_3gpuE4ELNS1_3repE0EEENS1_30default_config_static_selectorELNS0_4arch9wavefront6targetE0EEEvT1_
                                        ; -- End function
	.section	.AMDGPU.csdata,"",@progbits
; Kernel info:
; codeLenInByte = 0
; NumSgprs: 0
; NumVgprs: 0
; ScratchSize: 0
; MemoryBound: 0
; FloatMode: 240
; IeeeMode: 1
; LDSByteSize: 0 bytes/workgroup (compile time only)
; SGPRBlocks: 0
; VGPRBlocks: 0
; NumSGPRsForWavesPerEU: 1
; NumVGPRsForWavesPerEU: 1
; Occupancy: 15
; WaveLimiterHint : 0
; COMPUTE_PGM_RSRC2:SCRATCH_EN: 0
; COMPUTE_PGM_RSRC2:USER_SGPR: 15
; COMPUTE_PGM_RSRC2:TRAP_HANDLER: 0
; COMPUTE_PGM_RSRC2:TGID_X_EN: 1
; COMPUTE_PGM_RSRC2:TGID_Y_EN: 0
; COMPUTE_PGM_RSRC2:TGID_Z_EN: 0
; COMPUTE_PGM_RSRC2:TIDIG_COMP_CNT: 0
	.section	.text._ZN7rocprim17ROCPRIM_400000_NS6detail17trampoline_kernelINS0_14default_configENS1_25partition_config_selectorILNS1_17partition_subalgoE8ElNS0_10empty_typeEbEEZZNS1_14partition_implILS5_8ELb0ES3_jPlPS6_PKS6_NS0_5tupleIJS9_S6_EEENSD_IJSA_SA_EEENS0_18inequality_wrapperIZN2at6native12_GLOBAL__N_124unique_dim_cuda_templateIhEESt5tupleIJNSH_6TensorESM_SM_EERKSM_lbbbEUlllE0_EEPmJS6_EEE10hipError_tPvRmT3_T4_T5_T6_T7_T9_mT8_P12ihipStream_tbDpT10_ENKUlT_T0_E_clISt17integral_constantIbLb0EES1C_EEDaS17_S18_EUlS17_E_NS1_11comp_targetILNS1_3genE9ELNS1_11target_archE1100ELNS1_3gpuE3ELNS1_3repE0EEENS1_30default_config_static_selectorELNS0_4arch9wavefront6targetE0EEEvT1_,"axG",@progbits,_ZN7rocprim17ROCPRIM_400000_NS6detail17trampoline_kernelINS0_14default_configENS1_25partition_config_selectorILNS1_17partition_subalgoE8ElNS0_10empty_typeEbEEZZNS1_14partition_implILS5_8ELb0ES3_jPlPS6_PKS6_NS0_5tupleIJS9_S6_EEENSD_IJSA_SA_EEENS0_18inequality_wrapperIZN2at6native12_GLOBAL__N_124unique_dim_cuda_templateIhEESt5tupleIJNSH_6TensorESM_SM_EERKSM_lbbbEUlllE0_EEPmJS6_EEE10hipError_tPvRmT3_T4_T5_T6_T7_T9_mT8_P12ihipStream_tbDpT10_ENKUlT_T0_E_clISt17integral_constantIbLb0EES1C_EEDaS17_S18_EUlS17_E_NS1_11comp_targetILNS1_3genE9ELNS1_11target_archE1100ELNS1_3gpuE3ELNS1_3repE0EEENS1_30default_config_static_selectorELNS0_4arch9wavefront6targetE0EEEvT1_,comdat
	.globl	_ZN7rocprim17ROCPRIM_400000_NS6detail17trampoline_kernelINS0_14default_configENS1_25partition_config_selectorILNS1_17partition_subalgoE8ElNS0_10empty_typeEbEEZZNS1_14partition_implILS5_8ELb0ES3_jPlPS6_PKS6_NS0_5tupleIJS9_S6_EEENSD_IJSA_SA_EEENS0_18inequality_wrapperIZN2at6native12_GLOBAL__N_124unique_dim_cuda_templateIhEESt5tupleIJNSH_6TensorESM_SM_EERKSM_lbbbEUlllE0_EEPmJS6_EEE10hipError_tPvRmT3_T4_T5_T6_T7_T9_mT8_P12ihipStream_tbDpT10_ENKUlT_T0_E_clISt17integral_constantIbLb0EES1C_EEDaS17_S18_EUlS17_E_NS1_11comp_targetILNS1_3genE9ELNS1_11target_archE1100ELNS1_3gpuE3ELNS1_3repE0EEENS1_30default_config_static_selectorELNS0_4arch9wavefront6targetE0EEEvT1_ ; -- Begin function _ZN7rocprim17ROCPRIM_400000_NS6detail17trampoline_kernelINS0_14default_configENS1_25partition_config_selectorILNS1_17partition_subalgoE8ElNS0_10empty_typeEbEEZZNS1_14partition_implILS5_8ELb0ES3_jPlPS6_PKS6_NS0_5tupleIJS9_S6_EEENSD_IJSA_SA_EEENS0_18inequality_wrapperIZN2at6native12_GLOBAL__N_124unique_dim_cuda_templateIhEESt5tupleIJNSH_6TensorESM_SM_EERKSM_lbbbEUlllE0_EEPmJS6_EEE10hipError_tPvRmT3_T4_T5_T6_T7_T9_mT8_P12ihipStream_tbDpT10_ENKUlT_T0_E_clISt17integral_constantIbLb0EES1C_EEDaS17_S18_EUlS17_E_NS1_11comp_targetILNS1_3genE9ELNS1_11target_archE1100ELNS1_3gpuE3ELNS1_3repE0EEENS1_30default_config_static_selectorELNS0_4arch9wavefront6targetE0EEEvT1_
	.p2align	8
	.type	_ZN7rocprim17ROCPRIM_400000_NS6detail17trampoline_kernelINS0_14default_configENS1_25partition_config_selectorILNS1_17partition_subalgoE8ElNS0_10empty_typeEbEEZZNS1_14partition_implILS5_8ELb0ES3_jPlPS6_PKS6_NS0_5tupleIJS9_S6_EEENSD_IJSA_SA_EEENS0_18inequality_wrapperIZN2at6native12_GLOBAL__N_124unique_dim_cuda_templateIhEESt5tupleIJNSH_6TensorESM_SM_EERKSM_lbbbEUlllE0_EEPmJS6_EEE10hipError_tPvRmT3_T4_T5_T6_T7_T9_mT8_P12ihipStream_tbDpT10_ENKUlT_T0_E_clISt17integral_constantIbLb0EES1C_EEDaS17_S18_EUlS17_E_NS1_11comp_targetILNS1_3genE9ELNS1_11target_archE1100ELNS1_3gpuE3ELNS1_3repE0EEENS1_30default_config_static_selectorELNS0_4arch9wavefront6targetE0EEEvT1_,@function
_ZN7rocprim17ROCPRIM_400000_NS6detail17trampoline_kernelINS0_14default_configENS1_25partition_config_selectorILNS1_17partition_subalgoE8ElNS0_10empty_typeEbEEZZNS1_14partition_implILS5_8ELb0ES3_jPlPS6_PKS6_NS0_5tupleIJS9_S6_EEENSD_IJSA_SA_EEENS0_18inequality_wrapperIZN2at6native12_GLOBAL__N_124unique_dim_cuda_templateIhEESt5tupleIJNSH_6TensorESM_SM_EERKSM_lbbbEUlllE0_EEPmJS6_EEE10hipError_tPvRmT3_T4_T5_T6_T7_T9_mT8_P12ihipStream_tbDpT10_ENKUlT_T0_E_clISt17integral_constantIbLb0EES1C_EEDaS17_S18_EUlS17_E_NS1_11comp_targetILNS1_3genE9ELNS1_11target_archE1100ELNS1_3gpuE3ELNS1_3repE0EEENS1_30default_config_static_selectorELNS0_4arch9wavefront6targetE0EEEvT1_: ; @_ZN7rocprim17ROCPRIM_400000_NS6detail17trampoline_kernelINS0_14default_configENS1_25partition_config_selectorILNS1_17partition_subalgoE8ElNS0_10empty_typeEbEEZZNS1_14partition_implILS5_8ELb0ES3_jPlPS6_PKS6_NS0_5tupleIJS9_S6_EEENSD_IJSA_SA_EEENS0_18inequality_wrapperIZN2at6native12_GLOBAL__N_124unique_dim_cuda_templateIhEESt5tupleIJNSH_6TensorESM_SM_EERKSM_lbbbEUlllE0_EEPmJS6_EEE10hipError_tPvRmT3_T4_T5_T6_T7_T9_mT8_P12ihipStream_tbDpT10_ENKUlT_T0_E_clISt17integral_constantIbLb0EES1C_EEDaS17_S18_EUlS17_E_NS1_11comp_targetILNS1_3genE9ELNS1_11target_archE1100ELNS1_3gpuE3ELNS1_3repE0EEENS1_30default_config_static_selectorELNS0_4arch9wavefront6targetE0EEEvT1_
; %bb.0:
	s_clause 0x3
	s_load_b128 s[4:7], s[0:1], 0x8
	s_load_b256 s[16:23], s[0:1], 0x40
	s_load_b32 s14, s[0:1], 0x70
	s_load_b128 s[8:11], s[0:1], 0x60
	s_mov_b32 s3, 0
	v_lshlrev_b32_e32 v39, 3, v0
	v_lshrrev_b32_e32 v17, 2, v0
	v_or_b32_e32 v24, 0x200, v0
	v_or_b32_e32 v22, 0x400, v0
	;; [unrolled: 1-line block ×7, first 2 shown]
	s_waitcnt lgkmcnt(0)
	s_lshl_b64 s[24:25], s[6:7], 3
	s_load_b64 s[12:13], s[18:19], 0x0
	s_add_u32 s24, s4, s24
	s_addc_u32 s5, s5, s25
	s_add_i32 s25, s14, -1
	s_lshl_b32 s14, s14, 12
	s_lshl_b32 s4, s25, 12
	s_lshl_b32 s2, s15, 12
	s_add_i32 s4, s6, s4
	s_add_u32 s18, s6, s14
	s_addc_u32 s19, s7, 0
	s_cmp_eq_u32 s15, s25
	v_cmp_ge_u64_e64 s18, s[18:19], s[20:21]
	s_cselect_b32 s14, -1, 0
	s_lshl_b64 s[2:3], s[2:3], 3
	s_delay_alu instid0(VALU_DEP_1) | instskip(NEXT) | instid1(SALU_CYCLE_1)
	s_and_b32 s19, s14, s18
	s_xor_b32 s18, s19, -1
	s_add_u32 s2, s24, s2
	s_addc_u32 s3, s5, s3
	s_and_b32 vcc_lo, exec_lo, s18
	s_mov_b32 s5, -1
	s_cbranch_vccz .LBB167_2
; %bb.1:
	v_add_co_u32 v9, s5, s2, v39
	s_delay_alu instid0(VALU_DEP_1)
	v_add_co_ci_u32_e64 v10, null, s3, 0, s5
	global_load_b64 v[1:2], v39, s[2:3]
	v_add_co_u32 v3, vcc_lo, v9, 0x2000
	v_add_co_ci_u32_e32 v4, vcc_lo, 0, v10, vcc_lo
	v_add_co_u32 v5, vcc_lo, v9, 0x4000
	v_add_co_ci_u32_e32 v6, vcc_lo, 0, v10, vcc_lo
	;; [unrolled: 2-line block ×4, first 2 shown]
	s_clause 0x6
	global_load_b64 v[11:12], v[3:4], off offset:-4096
	global_load_b64 v[3:4], v[3:4], off
	global_load_b64 v[13:14], v[5:6], off offset:-4096
	global_load_b64 v[5:6], v[5:6], off
	;; [unrolled: 2-line block ×3, first 2 shown]
	global_load_b64 v[9:10], v[9:10], off
	v_lshrrev_b32_e32 v26, 2, v24
	v_lshrrev_b32_e32 v27, 2, v22
	;; [unrolled: 1-line block ×4, first 2 shown]
	v_and_b32_e32 v25, 0x78, v17
	v_lshrrev_b32_e32 v30, 2, v20
	v_lshrrev_b32_e32 v31, 2, v19
	;; [unrolled: 1-line block ×3, first 2 shown]
	v_and_b32_e32 v26, 0xf8, v26
	v_and_b32_e32 v27, 0x178, v27
	v_and_b32_e32 v28, 0x1f8, v28
	v_and_b32_e32 v29, 0x278, v29
	v_add_nc_u32_e32 v25, v25, v39
	v_and_b32_e32 v30, 0x2f8, v30
	v_and_b32_e32 v31, 0x378, v31
	;; [unrolled: 1-line block ×3, first 2 shown]
	v_add_nc_u32_e32 v26, v26, v39
	v_add_nc_u32_e32 v27, v27, v39
	;; [unrolled: 1-line block ×4, first 2 shown]
	s_mov_b32 s5, 0
	v_add_nc_u32_e32 v30, v30, v39
	v_add_nc_u32_e32 v31, v31, v39
	;; [unrolled: 1-line block ×3, first 2 shown]
	s_waitcnt vmcnt(7)
	ds_store_b64 v25, v[1:2]
	s_waitcnt vmcnt(6)
	ds_store_b64 v26, v[11:12] offset:4096
	s_waitcnt vmcnt(5)
	ds_store_b64 v27, v[3:4] offset:8192
	s_waitcnt vmcnt(4)
	ds_store_b64 v28, v[13:14] offset:12288
	s_waitcnt vmcnt(3)
	ds_store_b64 v29, v[5:6] offset:16384
	s_waitcnt vmcnt(2)
	ds_store_b64 v30, v[15:16] offset:20480
	s_waitcnt vmcnt(1)
	ds_store_b64 v31, v[7:8] offset:24576
	s_waitcnt vmcnt(0)
	ds_store_b64 v32, v[9:10] offset:28672
	s_waitcnt lgkmcnt(0)
	s_barrier
.LBB167_2:
	s_and_not1_b32 vcc_lo, exec_lo, s5
	s_sub_i32 s20, s20, s4
	s_cbranch_vccnz .LBB167_13
; %bb.3:
	s_mov_b32 s4, exec_lo
                                        ; implicit-def: $vgpr1_vgpr2_vgpr3_vgpr4_vgpr5_vgpr6_vgpr7_vgpr8_vgpr9_vgpr10_vgpr11_vgpr12_vgpr13_vgpr14_vgpr15_vgpr16
	v_cmpx_gt_u32_e64 s20, v0
	s_cbranch_execnz .LBB167_23
; %bb.4:
	s_or_b32 exec_lo, exec_lo, s4
	s_delay_alu instid0(SALU_CYCLE_1)
	s_mov_b32 s4, exec_lo
	v_cmpx_gt_u32_e64 s20, v24
	s_cbranch_execnz .LBB167_24
.LBB167_5:
	s_or_b32 exec_lo, exec_lo, s4
	s_delay_alu instid0(SALU_CYCLE_1)
	s_mov_b32 s4, exec_lo
	v_cmpx_gt_u32_e64 s20, v22
	s_cbranch_execnz .LBB167_25
.LBB167_6:
	s_or_b32 exec_lo, exec_lo, s4
	s_delay_alu instid0(SALU_CYCLE_1)
	s_mov_b32 s4, exec_lo
	v_cmpx_gt_u32_e64 s20, v23
	s_cbranch_execnz .LBB167_26
.LBB167_7:
	s_or_b32 exec_lo, exec_lo, s4
	s_delay_alu instid0(SALU_CYCLE_1)
	s_mov_b32 s4, exec_lo
	v_cmpx_gt_u32_e64 s20, v21
	s_cbranch_execnz .LBB167_27
.LBB167_8:
	s_or_b32 exec_lo, exec_lo, s4
	s_delay_alu instid0(SALU_CYCLE_1)
	s_mov_b32 s4, exec_lo
	v_cmpx_gt_u32_e64 s20, v20
	s_cbranch_execnz .LBB167_28
.LBB167_9:
	s_or_b32 exec_lo, exec_lo, s4
	s_delay_alu instid0(SALU_CYCLE_1)
	s_mov_b32 s4, exec_lo
	v_cmpx_gt_u32_e64 s20, v19
	s_cbranch_execnz .LBB167_29
.LBB167_10:
	s_or_b32 exec_lo, exec_lo, s4
	s_delay_alu instid0(SALU_CYCLE_1)
	s_mov_b32 s4, exec_lo
	v_cmpx_gt_u32_e64 s20, v18
	s_cbranch_execz .LBB167_12
.LBB167_11:
	v_lshlrev_b32_e32 v15, 3, v18
	global_load_b64 v[15:16], v15, s[2:3]
.LBB167_12:
	s_or_b32 exec_lo, exec_lo, s4
	v_lshrrev_b32_e32 v24, 2, v24
	v_lshrrev_b32_e32 v22, 2, v22
	v_lshrrev_b32_e32 v23, 2, v23
	v_lshrrev_b32_e32 v21, 2, v21
	v_and_b32_e32 v25, 0x78, v17
	v_lshrrev_b32_e32 v20, 2, v20
	v_lshrrev_b32_e32 v19, 2, v19
	;; [unrolled: 1-line block ×3, first 2 shown]
	v_and_b32_e32 v24, 0xf8, v24
	v_and_b32_e32 v22, 0x1f8, v22
	;; [unrolled: 1-line block ×4, first 2 shown]
	v_add_nc_u32_e32 v25, v25, v39
	v_and_b32_e32 v20, 0x3f8, v20
	v_and_b32_e32 v19, 0x3f8, v19
	;; [unrolled: 1-line block ×3, first 2 shown]
	v_add_nc_u32_e32 v24, v24, v39
	v_add_nc_u32_e32 v22, v22, v39
	v_add_nc_u32_e32 v23, v23, v39
	v_add_nc_u32_e32 v21, v21, v39
	v_add_nc_u32_e32 v20, v20, v39
	v_add_nc_u32_e32 v19, v19, v39
	v_add_nc_u32_e32 v18, v18, v39
	s_waitcnt vmcnt(0)
	ds_store_b64 v25, v[1:2]
	ds_store_b64 v24, v[3:4] offset:4096
	ds_store_b64 v22, v[5:6] offset:8192
	;; [unrolled: 1-line block ×7, first 2 shown]
	s_waitcnt lgkmcnt(0)
	s_barrier
.LBB167_13:
	v_add_lshl_u32 v1, v17, v39, 3
	s_waitcnt lgkmcnt(0)
	buffer_gl0_inv
	s_cmp_lg_u32 s15, 0
	v_cmp_gt_i64_e64 s24, s[22:23], 0
	s_cselect_b32 s21, -1, 0
	ds_load_2addr_b64 v[13:16], v1 offset1:1
	ds_load_2addr_b64 v[9:12], v1 offset0:2 offset1:3
	ds_load_2addr_b64 v[5:8], v1 offset0:4 offset1:5
	;; [unrolled: 1-line block ×3, first 2 shown]
	s_cmp_lg_u64 s[6:7], 0
	s_mov_b32 s6, 0
	s_cselect_b32 s4, -1, 0
	s_waitcnt lgkmcnt(0)
	s_or_b32 s4, s21, s4
	s_barrier
	s_and_b32 vcc_lo, exec_lo, s4
	buffer_gl0_inv
	s_cbranch_vccz .LBB167_22
; %bb.14:
	s_add_u32 s2, s2, -8
	s_addc_u32 s3, s3, -1
	v_cndmask_b32_e64 v24, 0, 1, s24
	s_load_b64 s[4:5], s[2:3], 0x0
	s_and_b32 vcc_lo, exec_lo, s18
	ds_store_b64 v39, v[3:4]
	v_cmp_ne_u32_e64 s2, 1, v24
	s_cbranch_vccz .LBB167_30
; %bb.15:
	v_mul_lo_u32 v19, v2, s22
	v_mul_lo_u32 v20, v1, s23
	v_mad_u64_u32 v[17:18], null, v1, s22, 0
	s_mov_b32 s25, 0
	s_and_b32 vcc_lo, exec_lo, s2
	s_mov_b32 s26, 0
	s_delay_alu instid0(VALU_DEP_1)
	v_add3_u32 v25, v18, v20, v19
	s_cbranch_vccnz .LBB167_33
; %bb.16:
	v_mad_u64_u32 v[18:19], null, v3, s22, s[8:9]
	v_mul_lo_u32 v22, v3, s23
	v_mul_lo_u32 v23, v4, s22
	v_add_co_u32 v20, vcc_lo, s8, v17
	v_add_co_ci_u32_e32 v21, vcc_lo, s9, v25, vcc_lo
	s_mov_b32 s26, -1
	s_mov_b32 s27, exec_lo
	s_delay_alu instid0(VALU_DEP_3)
	v_add3_u32 v19, v23, v19, v22
	s_clause 0x1
	global_load_u8 v22, v[20:21], off
	global_load_u8 v23, v[18:19], off
	s_waitcnt vmcnt(0)
	v_cmpx_eq_u16_e64 v22, v23
	s_cbranch_execz .LBB167_32
; %bb.17:
	s_mov_b64 s[2:3], 1
	s_mov_b32 s26, 0
                                        ; implicit-def: $sgpr28
	s_set_inst_prefetch_distance 0x1
	s_branch .LBB167_20
	.p2align	6
.LBB167_18:                             ;   in Loop: Header=BB167_20 Depth=1
	v_add_co_u32 v22, vcc_lo, v20, s2
	v_add_co_ci_u32_e32 v23, vcc_lo, s3, v21, vcc_lo
	v_add_co_u32 v26, vcc_lo, v18, s2
	v_add_co_ci_u32_e32 v27, vcc_lo, s3, v19, vcc_lo
	s_add_u32 s6, s2, 1
	s_clause 0x1
	global_load_u8 v22, v[22:23], off
	global_load_u8 v23, v[26:27], off
	s_addc_u32 s7, s3, 0
	s_and_not1_b32 s28, s28, exec_lo
	s_waitcnt vmcnt(0)
	v_cmp_ne_u16_e32 vcc_lo, v22, v23
	s_and_b32 s29, vcc_lo, exec_lo
	s_delay_alu instid0(SALU_CYCLE_1)
	s_or_b32 s28, s28, s29
.LBB167_19:                             ;   in Loop: Header=BB167_20 Depth=1
	v_dual_mov_b32 v23, s3 :: v_dual_mov_b32 v22, s2
	s_and_b32 s29, exec_lo, s28
	s_mov_b64 s[2:3], s[6:7]
	s_or_b32 s26, s29, s26
	s_delay_alu instid0(SALU_CYCLE_1)
	s_and_not1_b32 exec_lo, exec_lo, s26
	s_cbranch_execz .LBB167_31
.LBB167_20:                             ; =>This Inner Loop Header: Depth=1
	s_or_b32 s28, s28, exec_lo
	s_cmp_eq_u64 s[22:23], s[2:3]
	s_cbranch_scc0 .LBB167_18
; %bb.21:                               ;   in Loop: Header=BB167_20 Depth=1
	s_mov_b64 s[2:3], s[22:23]
                                        ; implicit-def: $sgpr6_sgpr7
	s_branch .LBB167_19
.LBB167_22:
                                        ; implicit-def: $sgpr2
                                        ; implicit-def: $vgpr18
	s_branch .LBB167_191
.LBB167_23:
	global_load_b64 v[1:2], v39, s[2:3]
	s_or_b32 exec_lo, exec_lo, s4
	s_delay_alu instid0(SALU_CYCLE_1)
	s_mov_b32 s4, exec_lo
	v_cmpx_gt_u32_e64 s20, v24
	s_cbranch_execz .LBB167_5
.LBB167_24:
	v_lshlrev_b32_e32 v3, 3, v24
	global_load_b64 v[3:4], v3, s[2:3]
	s_or_b32 exec_lo, exec_lo, s4
	s_delay_alu instid0(SALU_CYCLE_1)
	s_mov_b32 s4, exec_lo
	v_cmpx_gt_u32_e64 s20, v22
	s_cbranch_execz .LBB167_6
.LBB167_25:
	v_lshlrev_b32_e32 v5, 3, v22
	global_load_b64 v[5:6], v5, s[2:3]
	s_or_b32 exec_lo, exec_lo, s4
	s_delay_alu instid0(SALU_CYCLE_1)
	s_mov_b32 s4, exec_lo
	v_cmpx_gt_u32_e64 s20, v23
	s_cbranch_execz .LBB167_7
.LBB167_26:
	v_lshlrev_b32_e32 v7, 3, v23
	global_load_b64 v[7:8], v7, s[2:3]
	s_or_b32 exec_lo, exec_lo, s4
	s_delay_alu instid0(SALU_CYCLE_1)
	s_mov_b32 s4, exec_lo
	v_cmpx_gt_u32_e64 s20, v21
	s_cbranch_execz .LBB167_8
.LBB167_27:
	v_lshlrev_b32_e32 v9, 3, v21
	global_load_b64 v[9:10], v9, s[2:3]
	s_or_b32 exec_lo, exec_lo, s4
	s_delay_alu instid0(SALU_CYCLE_1)
	s_mov_b32 s4, exec_lo
	v_cmpx_gt_u32_e64 s20, v20
	s_cbranch_execz .LBB167_9
.LBB167_28:
	v_lshlrev_b32_e32 v11, 3, v20
	global_load_b64 v[11:12], v11, s[2:3]
	s_or_b32 exec_lo, exec_lo, s4
	s_delay_alu instid0(SALU_CYCLE_1)
	s_mov_b32 s4, exec_lo
	v_cmpx_gt_u32_e64 s20, v19
	s_cbranch_execz .LBB167_10
.LBB167_29:
	v_lshlrev_b32_e32 v13, 3, v19
	global_load_b64 v[13:14], v13, s[2:3]
	s_or_b32 exec_lo, exec_lo, s4
	s_delay_alu instid0(SALU_CYCLE_1)
	s_mov_b32 s4, exec_lo
	v_cmpx_gt_u32_e64 s20, v18
	s_cbranch_execnz .LBB167_11
	s_branch .LBB167_12
.LBB167_30:
                                        ; implicit-def: $sgpr2
                                        ; implicit-def: $vgpr18
	s_cbranch_execnz .LBB167_99
	s_branch .LBB167_190
.LBB167_31:
	s_set_inst_prefetch_distance 0x2
	s_or_b32 exec_lo, exec_lo, s26
	v_cmp_gt_i64_e32 vcc_lo, s[22:23], v[22:23]
	s_or_not1_b32 s26, vcc_lo, exec_lo
.LBB167_32:
	s_or_b32 exec_lo, exec_lo, s27
.LBB167_33:
	v_mul_lo_u32 v18, v8, s22
	v_mul_lo_u32 v21, v7, s23
	v_mad_u64_u32 v[19:20], null, v7, s22, 0
	s_and_not1_b32 vcc_lo, exec_lo, s24
	s_delay_alu instid0(VALU_DEP_1)
	v_add3_u32 v26, v20, v21, v18
	s_cbranch_vccnz .LBB167_42
; %bb.34:
	s_delay_alu instid0(VALU_DEP_2) | instskip(NEXT) | instid1(VALU_DEP_2)
	v_add_co_u32 v20, vcc_lo, s8, v19
	v_add_co_ci_u32_e32 v21, vcc_lo, s9, v26, vcc_lo
	v_add_co_u32 v17, vcc_lo, s8, v17
	v_add_co_ci_u32_e32 v18, vcc_lo, s9, v25, vcc_lo
	s_mov_b32 s25, -1
	s_clause 0x1
	global_load_u8 v22, v[20:21], off
	global_load_u8 v23, v[17:18], off
	s_mov_b32 s27, exec_lo
	s_waitcnt vmcnt(0)
	v_cmpx_eq_u16_e64 v22, v23
	s_cbranch_execz .LBB167_41
; %bb.35:
	s_mov_b64 s[2:3], 1
	s_mov_b32 s25, 0
                                        ; implicit-def: $sgpr28
	s_set_inst_prefetch_distance 0x1
	s_branch .LBB167_38
	.p2align	6
.LBB167_36:                             ;   in Loop: Header=BB167_38 Depth=1
	v_add_co_u32 v22, vcc_lo, v20, s2
	v_add_co_ci_u32_e32 v23, vcc_lo, s3, v21, vcc_lo
	v_add_co_u32 v27, vcc_lo, v17, s2
	v_add_co_ci_u32_e32 v28, vcc_lo, s3, v18, vcc_lo
	s_add_u32 s6, s2, 1
	s_clause 0x1
	global_load_u8 v22, v[22:23], off
	global_load_u8 v23, v[27:28], off
	s_addc_u32 s7, s3, 0
	s_and_not1_b32 s28, s28, exec_lo
	s_waitcnt vmcnt(0)
	v_cmp_ne_u16_e32 vcc_lo, v22, v23
	s_and_b32 s29, vcc_lo, exec_lo
	s_delay_alu instid0(SALU_CYCLE_1)
	s_or_b32 s28, s28, s29
.LBB167_37:                             ;   in Loop: Header=BB167_38 Depth=1
	v_dual_mov_b32 v23, s3 :: v_dual_mov_b32 v22, s2
	s_and_b32 s29, exec_lo, s28
	s_mov_b64 s[2:3], s[6:7]
	s_or_b32 s25, s29, s25
	s_delay_alu instid0(SALU_CYCLE_1)
	s_and_not1_b32 exec_lo, exec_lo, s25
	s_cbranch_execz .LBB167_40
.LBB167_38:                             ; =>This Inner Loop Header: Depth=1
	s_or_b32 s28, s28, exec_lo
	s_cmp_eq_u64 s[22:23], s[2:3]
	s_cbranch_scc0 .LBB167_36
; %bb.39:                               ;   in Loop: Header=BB167_38 Depth=1
	s_mov_b64 s[2:3], s[22:23]
                                        ; implicit-def: $sgpr6_sgpr7
	s_branch .LBB167_37
.LBB167_40:
	s_set_inst_prefetch_distance 0x2
	s_or_b32 exec_lo, exec_lo, s25
	v_cmp_gt_i64_e32 vcc_lo, s[22:23], v[22:23]
	s_or_not1_b32 s25, vcc_lo, exec_lo
.LBB167_41:
	s_or_b32 exec_lo, exec_lo, s27
.LBB167_42:
	v_mul_lo_u32 v20, v6, s22
	v_mul_lo_u32 v21, v5, s23
	v_mad_u64_u32 v[17:18], null, v5, s22, 0
	s_mov_b32 s27, 0
	s_and_not1_b32 vcc_lo, exec_lo, s24
	s_mov_b32 s28, 0
	s_delay_alu instid0(VALU_DEP_1)
	v_add3_u32 v27, v18, v21, v20
	s_cbranch_vccnz .LBB167_51
; %bb.43:
	s_delay_alu instid0(VALU_DEP_2) | instskip(NEXT) | instid1(VALU_DEP_2)
	v_add_co_u32 v20, vcc_lo, s8, v17
	v_add_co_ci_u32_e32 v21, vcc_lo, s9, v27, vcc_lo
	v_add_co_u32 v18, vcc_lo, s8, v19
	v_add_co_ci_u32_e32 v19, vcc_lo, s9, v26, vcc_lo
	s_mov_b32 s28, -1
	s_clause 0x1
	global_load_u8 v22, v[20:21], off
	global_load_u8 v23, v[18:19], off
	s_mov_b32 s29, exec_lo
	s_waitcnt vmcnt(0)
	v_cmpx_eq_u16_e64 v22, v23
	s_cbranch_execz .LBB167_50
; %bb.44:
	s_mov_b64 s[2:3], 1
	s_mov_b32 s28, 0
                                        ; implicit-def: $sgpr30
	s_set_inst_prefetch_distance 0x1
	s_branch .LBB167_47
	.p2align	6
.LBB167_45:                             ;   in Loop: Header=BB167_47 Depth=1
	v_add_co_u32 v22, vcc_lo, v20, s2
	v_add_co_ci_u32_e32 v23, vcc_lo, s3, v21, vcc_lo
	v_add_co_u32 v25, vcc_lo, v18, s2
	v_add_co_ci_u32_e32 v26, vcc_lo, s3, v19, vcc_lo
	s_add_u32 s6, s2, 1
	s_clause 0x1
	global_load_u8 v22, v[22:23], off
	global_load_u8 v23, v[25:26], off
	s_addc_u32 s7, s3, 0
	s_and_not1_b32 s30, s30, exec_lo
	s_waitcnt vmcnt(0)
	v_cmp_ne_u16_e32 vcc_lo, v22, v23
	s_and_b32 s31, vcc_lo, exec_lo
	s_delay_alu instid0(SALU_CYCLE_1)
	s_or_b32 s30, s30, s31
.LBB167_46:                             ;   in Loop: Header=BB167_47 Depth=1
	v_dual_mov_b32 v23, s3 :: v_dual_mov_b32 v22, s2
	s_and_b32 s31, exec_lo, s30
	s_mov_b64 s[2:3], s[6:7]
	s_or_b32 s28, s31, s28
	s_delay_alu instid0(SALU_CYCLE_1)
	s_and_not1_b32 exec_lo, exec_lo, s28
	s_cbranch_execz .LBB167_49
.LBB167_47:                             ; =>This Inner Loop Header: Depth=1
	s_or_b32 s30, s30, exec_lo
	s_cmp_eq_u64 s[22:23], s[2:3]
	s_cbranch_scc0 .LBB167_45
; %bb.48:                               ;   in Loop: Header=BB167_47 Depth=1
	s_mov_b64 s[2:3], s[22:23]
                                        ; implicit-def: $sgpr6_sgpr7
	s_branch .LBB167_46
.LBB167_49:
	s_set_inst_prefetch_distance 0x2
	s_or_b32 exec_lo, exec_lo, s28
	v_cmp_gt_i64_e32 vcc_lo, s[22:23], v[22:23]
	s_or_not1_b32 s28, vcc_lo, exec_lo
.LBB167_50:
	s_or_b32 exec_lo, exec_lo, s29
.LBB167_51:
	v_mul_lo_u32 v18, v12, s22
	v_mul_lo_u32 v21, v11, s23
	v_mad_u64_u32 v[19:20], null, v11, s22, 0
	s_and_not1_b32 vcc_lo, exec_lo, s24
	s_delay_alu instid0(VALU_DEP_1)
	v_add3_u32 v25, v20, v21, v18
	s_cbranch_vccnz .LBB167_60
; %bb.52:
	s_delay_alu instid0(VALU_DEP_2) | instskip(NEXT) | instid1(VALU_DEP_2)
	v_add_co_u32 v20, vcc_lo, s8, v19
	v_add_co_ci_u32_e32 v21, vcc_lo, s9, v25, vcc_lo
	v_add_co_u32 v17, vcc_lo, s8, v17
	v_add_co_ci_u32_e32 v18, vcc_lo, s9, v27, vcc_lo
	s_mov_b32 s27, -1
	s_clause 0x1
	global_load_u8 v22, v[20:21], off
	global_load_u8 v23, v[17:18], off
	s_mov_b32 s29, exec_lo
	s_waitcnt vmcnt(0)
	v_cmpx_eq_u16_e64 v22, v23
	s_cbranch_execz .LBB167_59
; %bb.53:
	s_mov_b64 s[2:3], 1
	s_mov_b32 s27, 0
                                        ; implicit-def: $sgpr30
	s_set_inst_prefetch_distance 0x1
	s_branch .LBB167_56
	.p2align	6
.LBB167_54:                             ;   in Loop: Header=BB167_56 Depth=1
	v_add_co_u32 v22, vcc_lo, v20, s2
	v_add_co_ci_u32_e32 v23, vcc_lo, s3, v21, vcc_lo
	v_add_co_u32 v26, vcc_lo, v17, s2
	v_add_co_ci_u32_e32 v27, vcc_lo, s3, v18, vcc_lo
	s_add_u32 s6, s2, 1
	s_clause 0x1
	global_load_u8 v22, v[22:23], off
	global_load_u8 v23, v[26:27], off
	s_addc_u32 s7, s3, 0
	s_and_not1_b32 s30, s30, exec_lo
	s_waitcnt vmcnt(0)
	v_cmp_ne_u16_e32 vcc_lo, v22, v23
	s_and_b32 s31, vcc_lo, exec_lo
	s_delay_alu instid0(SALU_CYCLE_1)
	s_or_b32 s30, s30, s31
.LBB167_55:                             ;   in Loop: Header=BB167_56 Depth=1
	v_dual_mov_b32 v23, s3 :: v_dual_mov_b32 v22, s2
	s_and_b32 s31, exec_lo, s30
	s_mov_b64 s[2:3], s[6:7]
	s_or_b32 s27, s31, s27
	s_delay_alu instid0(SALU_CYCLE_1)
	s_and_not1_b32 exec_lo, exec_lo, s27
	s_cbranch_execz .LBB167_58
.LBB167_56:                             ; =>This Inner Loop Header: Depth=1
	s_or_b32 s30, s30, exec_lo
	s_cmp_eq_u64 s[22:23], s[2:3]
	s_cbranch_scc0 .LBB167_54
; %bb.57:                               ;   in Loop: Header=BB167_56 Depth=1
	s_mov_b64 s[2:3], s[22:23]
                                        ; implicit-def: $sgpr6_sgpr7
	s_branch .LBB167_55
.LBB167_58:
	s_set_inst_prefetch_distance 0x2
	s_or_b32 exec_lo, exec_lo, s27
	v_cmp_gt_i64_e32 vcc_lo, s[22:23], v[22:23]
	s_or_not1_b32 s27, vcc_lo, exec_lo
.LBB167_59:
	s_or_b32 exec_lo, exec_lo, s29
.LBB167_60:
	v_mul_lo_u32 v20, v10, s22
	v_mul_lo_u32 v21, v9, s23
	v_mad_u64_u32 v[17:18], null, v9, s22, 0
	s_mov_b32 s29, 0
	s_and_not1_b32 vcc_lo, exec_lo, s24
	s_mov_b32 s30, 0
	s_delay_alu instid0(VALU_DEP_1)
	v_add3_u32 v27, v18, v21, v20
	s_cbranch_vccnz .LBB167_69
; %bb.61:
	s_delay_alu instid0(VALU_DEP_2) | instskip(NEXT) | instid1(VALU_DEP_2)
	v_add_co_u32 v20, vcc_lo, s8, v17
	v_add_co_ci_u32_e32 v21, vcc_lo, s9, v27, vcc_lo
	v_add_co_u32 v18, vcc_lo, s8, v19
	v_add_co_ci_u32_e32 v19, vcc_lo, s9, v25, vcc_lo
	s_mov_b32 s30, -1
	s_clause 0x1
	global_load_u8 v22, v[20:21], off
	global_load_u8 v23, v[18:19], off
	s_mov_b32 s31, exec_lo
	s_waitcnt vmcnt(0)
	v_cmpx_eq_u16_e64 v22, v23
	s_cbranch_execz .LBB167_68
; %bb.62:
	s_mov_b64 s[2:3], 1
	s_mov_b32 s30, 0
                                        ; implicit-def: $sgpr33
	s_set_inst_prefetch_distance 0x1
	s_branch .LBB167_65
	.p2align	6
.LBB167_63:                             ;   in Loop: Header=BB167_65 Depth=1
	v_add_co_u32 v22, vcc_lo, v20, s2
	v_add_co_ci_u32_e32 v23, vcc_lo, s3, v21, vcc_lo
	v_add_co_u32 v25, vcc_lo, v18, s2
	v_add_co_ci_u32_e32 v26, vcc_lo, s3, v19, vcc_lo
	s_add_u32 s6, s2, 1
	s_clause 0x1
	global_load_u8 v22, v[22:23], off
	global_load_u8 v23, v[25:26], off
	s_addc_u32 s7, s3, 0
	s_and_not1_b32 s33, s33, exec_lo
	s_waitcnt vmcnt(0)
	v_cmp_ne_u16_e32 vcc_lo, v22, v23
	s_and_b32 s34, vcc_lo, exec_lo
	s_delay_alu instid0(SALU_CYCLE_1)
	s_or_b32 s33, s33, s34
.LBB167_64:                             ;   in Loop: Header=BB167_65 Depth=1
	v_dual_mov_b32 v23, s3 :: v_dual_mov_b32 v22, s2
	s_and_b32 s34, exec_lo, s33
	s_mov_b64 s[2:3], s[6:7]
	s_or_b32 s30, s34, s30
	s_delay_alu instid0(SALU_CYCLE_1)
	s_and_not1_b32 exec_lo, exec_lo, s30
	s_cbranch_execz .LBB167_67
.LBB167_65:                             ; =>This Inner Loop Header: Depth=1
	s_or_b32 s33, s33, exec_lo
	s_cmp_eq_u64 s[22:23], s[2:3]
	s_cbranch_scc0 .LBB167_63
; %bb.66:                               ;   in Loop: Header=BB167_65 Depth=1
	s_mov_b64 s[2:3], s[22:23]
                                        ; implicit-def: $sgpr6_sgpr7
	s_branch .LBB167_64
.LBB167_67:
	s_set_inst_prefetch_distance 0x2
	s_or_b32 exec_lo, exec_lo, s30
	v_cmp_gt_i64_e32 vcc_lo, s[22:23], v[22:23]
	s_or_not1_b32 s30, vcc_lo, exec_lo
.LBB167_68:
	s_or_b32 exec_lo, exec_lo, s31
.LBB167_69:
	v_mul_lo_u32 v18, v16, s22
	v_mul_lo_u32 v21, v15, s23
	v_mad_u64_u32 v[19:20], null, v15, s22, 0
	s_and_not1_b32 vcc_lo, exec_lo, s24
	s_delay_alu instid0(VALU_DEP_1)
	v_add3_u32 v26, v20, v21, v18
	s_cbranch_vccnz .LBB167_78
; %bb.70:
	s_delay_alu instid0(VALU_DEP_2) | instskip(NEXT) | instid1(VALU_DEP_2)
	v_add_co_u32 v20, vcc_lo, s8, v19
	v_add_co_ci_u32_e32 v21, vcc_lo, s9, v26, vcc_lo
	v_add_co_u32 v17, vcc_lo, s8, v17
	v_add_co_ci_u32_e32 v18, vcc_lo, s9, v27, vcc_lo
	s_mov_b32 s29, -1
	s_clause 0x1
	global_load_u8 v22, v[20:21], off
	global_load_u8 v23, v[17:18], off
	s_mov_b32 s31, exec_lo
	s_waitcnt vmcnt(0)
	v_cmpx_eq_u16_e64 v22, v23
	s_cbranch_execz .LBB167_77
; %bb.71:
	s_mov_b64 s[2:3], 1
	s_mov_b32 s29, 0
                                        ; implicit-def: $sgpr33
	s_set_inst_prefetch_distance 0x1
	s_branch .LBB167_74
	.p2align	6
.LBB167_72:                             ;   in Loop: Header=BB167_74 Depth=1
	v_add_co_u32 v22, vcc_lo, v20, s2
	v_add_co_ci_u32_e32 v23, vcc_lo, s3, v21, vcc_lo
	v_add_co_u32 v27, vcc_lo, v17, s2
	v_add_co_ci_u32_e32 v28, vcc_lo, s3, v18, vcc_lo
	s_add_u32 s6, s2, 1
	s_clause 0x1
	global_load_u8 v22, v[22:23], off
	global_load_u8 v23, v[27:28], off
	s_addc_u32 s7, s3, 0
	s_and_not1_b32 s33, s33, exec_lo
	s_waitcnt vmcnt(0)
	v_cmp_ne_u16_e32 vcc_lo, v22, v23
	s_and_b32 s34, vcc_lo, exec_lo
	s_delay_alu instid0(SALU_CYCLE_1)
	s_or_b32 s33, s33, s34
.LBB167_73:                             ;   in Loop: Header=BB167_74 Depth=1
	v_dual_mov_b32 v23, s3 :: v_dual_mov_b32 v22, s2
	s_and_b32 s34, exec_lo, s33
	s_mov_b64 s[2:3], s[6:7]
	s_or_b32 s29, s34, s29
	s_delay_alu instid0(SALU_CYCLE_1)
	s_and_not1_b32 exec_lo, exec_lo, s29
	s_cbranch_execz .LBB167_76
.LBB167_74:                             ; =>This Inner Loop Header: Depth=1
	s_or_b32 s33, s33, exec_lo
	s_cmp_eq_u64 s[22:23], s[2:3]
	s_cbranch_scc0 .LBB167_72
; %bb.75:                               ;   in Loop: Header=BB167_74 Depth=1
	s_mov_b64 s[2:3], s[22:23]
                                        ; implicit-def: $sgpr6_sgpr7
	s_branch .LBB167_73
.LBB167_76:
	s_set_inst_prefetch_distance 0x2
	s_or_b32 exec_lo, exec_lo, s29
	v_cmp_gt_i64_e32 vcc_lo, s[22:23], v[22:23]
	s_or_not1_b32 s29, vcc_lo, exec_lo
.LBB167_77:
	s_or_b32 exec_lo, exec_lo, s31
.LBB167_78:
	v_mul_lo_u32 v20, v14, s22
	v_mul_lo_u32 v21, v13, s23
	v_mad_u64_u32 v[17:18], null, v13, s22, 0
	s_and_not1_b32 vcc_lo, exec_lo, s24
	s_mov_b32 s2, 0
	s_delay_alu instid0(VALU_DEP_1)
	v_add3_u32 v25, v18, v21, v20
	s_cbranch_vccnz .LBB167_87
; %bb.79:
	s_delay_alu instid0(VALU_DEP_2) | instskip(NEXT) | instid1(VALU_DEP_2)
	v_add_co_u32 v20, vcc_lo, s8, v17
	v_add_co_ci_u32_e32 v21, vcc_lo, s9, v25, vcc_lo
	v_add_co_u32 v18, vcc_lo, s8, v19
	v_add_co_ci_u32_e32 v19, vcc_lo, s9, v26, vcc_lo
	s_mov_b32 s2, -1
	s_clause 0x1
	global_load_u8 v22, v[20:21], off
	global_load_u8 v23, v[18:19], off
	s_mov_b32 s31, exec_lo
	s_waitcnt vmcnt(0)
	v_cmpx_eq_u16_e64 v22, v23
	s_cbranch_execz .LBB167_86
; %bb.80:
	s_mov_b64 s[2:3], 1
	s_mov_b32 s33, 0
                                        ; implicit-def: $sgpr34
	s_set_inst_prefetch_distance 0x1
	s_branch .LBB167_83
	.p2align	6
.LBB167_81:                             ;   in Loop: Header=BB167_83 Depth=1
	v_add_co_u32 v22, vcc_lo, v20, s2
	v_add_co_ci_u32_e32 v23, vcc_lo, s3, v21, vcc_lo
	v_add_co_u32 v26, vcc_lo, v18, s2
	v_add_co_ci_u32_e32 v27, vcc_lo, s3, v19, vcc_lo
	s_add_u32 s6, s2, 1
	s_clause 0x1
	global_load_u8 v22, v[22:23], off
	global_load_u8 v23, v[26:27], off
	s_addc_u32 s7, s3, 0
	s_and_not1_b32 s34, s34, exec_lo
	s_waitcnt vmcnt(0)
	v_cmp_ne_u16_e32 vcc_lo, v22, v23
	s_and_b32 s35, vcc_lo, exec_lo
	s_delay_alu instid0(SALU_CYCLE_1)
	s_or_b32 s34, s34, s35
.LBB167_82:                             ;   in Loop: Header=BB167_83 Depth=1
	v_dual_mov_b32 v23, s3 :: v_dual_mov_b32 v22, s2
	s_and_b32 s35, exec_lo, s34
	s_mov_b64 s[2:3], s[6:7]
	s_or_b32 s33, s35, s33
	s_delay_alu instid0(SALU_CYCLE_1)
	s_and_not1_b32 exec_lo, exec_lo, s33
	s_cbranch_execz .LBB167_85
.LBB167_83:                             ; =>This Inner Loop Header: Depth=1
	s_or_b32 s34, s34, exec_lo
	s_cmp_eq_u64 s[22:23], s[2:3]
	s_cbranch_scc0 .LBB167_81
; %bb.84:                               ;   in Loop: Header=BB167_83 Depth=1
	s_mov_b64 s[2:3], s[22:23]
                                        ; implicit-def: $sgpr6_sgpr7
	s_branch .LBB167_82
.LBB167_85:
	s_set_inst_prefetch_distance 0x2
	s_or_b32 exec_lo, exec_lo, s33
	v_cmp_gt_i64_e32 vcc_lo, s[22:23], v[22:23]
	s_or_not1_b32 s2, vcc_lo, exec_lo
.LBB167_86:
	s_or_b32 exec_lo, exec_lo, s31
.LBB167_87:
	s_waitcnt lgkmcnt(0)
	v_dual_mov_b32 v21, s5 :: v_dual_mov_b32 v20, s4
	s_mov_b32 s3, exec_lo
	s_barrier
	buffer_gl0_inv
	v_cmpx_ne_u32_e32 0, v0
	s_cbranch_execz .LBB167_89
; %bb.88:
	v_add_nc_u32_e32 v18, -8, v39
	ds_load_b64 v[20:21], v18
.LBB167_89:
	s_or_b32 exec_lo, exec_lo, s3
	v_cndmask_b32_e64 v19, 0, 1, s30
	v_cndmask_b32_e64 v23, 0, 1, s28
	;; [unrolled: 1-line block ×7, first 2 shown]
	v_lshlrev_b16 v19, 8, v19
	v_lshlrev_b16 v23, 8, v23
	;; [unrolled: 1-line block ×4, first 2 shown]
	s_mov_b32 s25, 0
	v_or_b32_e32 v18, v18, v19
	v_or_b32_e32 v19, v22, v23
	;; [unrolled: 1-line block ×3, first 2 shown]
	v_and_b32_e32 v26, 0xffff, v27
	s_and_not1_b32 vcc_lo, exec_lo, s24
	v_lshlrev_b32_e32 v27, 16, v18
	v_and_b32_e32 v28, 0xffff, v19
	v_lshlrev_b32_e32 v29, 16, v22
	s_mov_b32 s2, 0
	s_cbranch_vccnz .LBB167_98
; %bb.90:
	s_waitcnt lgkmcnt(0)
	v_mad_u64_u32 v[18:19], null, v20, s22, s[8:9]
	v_mul_lo_u32 v20, v20, s23
	v_mul_lo_u32 v21, v21, s22
	s_mov_b32 s2, -1
	s_mov_b32 s26, exec_lo
	s_delay_alu instid0(VALU_DEP_1)
	v_add3_u32 v19, v21, v19, v20
	v_add_co_u32 v20, vcc_lo, s8, v17
	v_add_co_ci_u32_e32 v21, vcc_lo, s9, v25, vcc_lo
	s_clause 0x1
	global_load_u8 v17, v[18:19], off
	global_load_u8 v22, v[20:21], off
	s_waitcnt vmcnt(0)
	v_cmpx_eq_u16_e64 v17, v22
	s_cbranch_execz .LBB167_97
; %bb.91:
	s_mov_b64 s[2:3], 1
	s_mov_b32 s27, 0
                                        ; implicit-def: $sgpr28
	s_set_inst_prefetch_distance 0x1
	s_branch .LBB167_94
	.p2align	6
.LBB167_92:                             ;   in Loop: Header=BB167_94 Depth=1
	v_add_co_u32 v22, vcc_lo, v18, s2
	v_add_co_ci_u32_e32 v23, vcc_lo, s3, v19, vcc_lo
	v_add_co_u32 v30, vcc_lo, v20, s2
	v_add_co_ci_u32_e32 v31, vcc_lo, s3, v21, vcc_lo
	s_add_u32 s6, s2, 1
	s_clause 0x1
	global_load_u8 v17, v[22:23], off
	global_load_u8 v22, v[30:31], off
	s_addc_u32 s7, s3, 0
	s_and_not1_b32 s28, s28, exec_lo
	s_waitcnt vmcnt(0)
	v_cmp_ne_u16_e32 vcc_lo, v17, v22
	s_and_b32 s29, vcc_lo, exec_lo
	s_delay_alu instid0(SALU_CYCLE_1)
	s_or_b32 s28, s28, s29
.LBB167_93:                             ;   in Loop: Header=BB167_94 Depth=1
	v_dual_mov_b32 v23, s3 :: v_dual_mov_b32 v22, s2
	s_and_b32 s29, exec_lo, s28
	s_mov_b64 s[2:3], s[6:7]
	s_or_b32 s27, s29, s27
	s_delay_alu instid0(SALU_CYCLE_1)
	s_and_not1_b32 exec_lo, exec_lo, s27
	s_cbranch_execz .LBB167_96
.LBB167_94:                             ; =>This Inner Loop Header: Depth=1
	s_or_b32 s28, s28, exec_lo
	s_cmp_eq_u64 s[22:23], s[2:3]
	s_cbranch_scc0 .LBB167_92
; %bb.95:                               ;   in Loop: Header=BB167_94 Depth=1
	s_mov_b64 s[2:3], s[22:23]
                                        ; implicit-def: $sgpr6_sgpr7
	s_branch .LBB167_93
.LBB167_96:
	s_set_inst_prefetch_distance 0x2
	s_or_b32 exec_lo, exec_lo, s27
	v_cmp_gt_i64_e32 vcc_lo, s[22:23], v[22:23]
	s_or_not1_b32 s2, vcc_lo, exec_lo
.LBB167_97:
	s_or_b32 exec_lo, exec_lo, s26
.LBB167_98:
	v_or_b32_e32 v17, v26, v27
	s_delay_alu instid0(VALU_DEP_2)
	v_or_b32_e32 v18, v28, v29
	s_and_b32 vcc_lo, exec_lo, s25
	s_cbranch_vccz .LBB167_190
.LBB167_99:
	v_or_b32_e32 v17, 7, v39
	s_mov_b32 s25, 0
	s_mov_b32 s26, 0
	s_mov_b32 s27, exec_lo
	s_delay_alu instid0(VALU_DEP_1)
	v_cmpx_gt_u32_e64 s20, v17
	s_cbranch_execz .LBB167_110
; %bb.100:
	s_and_not1_b32 vcc_lo, exec_lo, s24
	s_mov_b32 s2, 0
	s_cbranch_vccnz .LBB167_109
; %bb.101:
	v_mad_u64_u32 v[17:18], null, v1, s22, s[8:9]
	s_waitcnt lgkmcnt(0)
	v_mul_lo_u32 v21, v1, s23
	v_mul_lo_u32 v22, v2, s22
	v_mad_u64_u32 v[19:20], null, v3, s22, s[8:9]
	v_mul_lo_u32 v23, v3, s23
	v_mul_lo_u32 v25, v4, s22
	s_mov_b32 s2, -1
	s_mov_b32 s24, exec_lo
	s_delay_alu instid0(VALU_DEP_4) | instskip(NEXT) | instid1(VALU_DEP_2)
	v_add3_u32 v18, v22, v18, v21
	v_add3_u32 v20, v25, v20, v23
	s_clause 0x1
	global_load_u8 v21, v[17:18], off
	global_load_u8 v22, v[19:20], off
	s_waitcnt vmcnt(0)
	v_cmpx_eq_u16_e64 v21, v22
	s_cbranch_execz .LBB167_108
; %bb.102:
	s_mov_b64 s[2:3], 1
                                        ; implicit-def: $sgpr28
	s_set_inst_prefetch_distance 0x1
	s_branch .LBB167_105
	.p2align	6
.LBB167_103:                            ;   in Loop: Header=BB167_105 Depth=1
	v_add_co_u32 v21, vcc_lo, v17, s2
	v_add_co_ci_u32_e32 v22, vcc_lo, s3, v18, vcc_lo
	v_add_co_u32 v25, vcc_lo, v19, s2
	v_add_co_ci_u32_e32 v26, vcc_lo, s3, v20, vcc_lo
	s_add_u32 s6, s2, 1
	s_clause 0x1
	global_load_u8 v21, v[21:22], off
	global_load_u8 v22, v[25:26], off
	s_addc_u32 s7, s3, 0
	s_and_not1_b32 s28, s28, exec_lo
	s_waitcnt vmcnt(0)
	v_cmp_ne_u16_e32 vcc_lo, v21, v22
	s_and_b32 s29, vcc_lo, exec_lo
	s_delay_alu instid0(SALU_CYCLE_1)
	s_or_b32 s28, s28, s29
.LBB167_104:                            ;   in Loop: Header=BB167_105 Depth=1
	v_dual_mov_b32 v22, s3 :: v_dual_mov_b32 v21, s2
	s_and_b32 s29, exec_lo, s28
	s_mov_b64 s[2:3], s[6:7]
	s_or_b32 s26, s29, s26
	s_delay_alu instid0(SALU_CYCLE_1)
	s_and_not1_b32 exec_lo, exec_lo, s26
	s_cbranch_execz .LBB167_107
.LBB167_105:                            ; =>This Inner Loop Header: Depth=1
	s_or_b32 s28, s28, exec_lo
	s_cmp_eq_u64 s[22:23], s[2:3]
	s_cbranch_scc0 .LBB167_103
; %bb.106:                              ;   in Loop: Header=BB167_105 Depth=1
	s_mov_b64 s[2:3], s[22:23]
                                        ; implicit-def: $sgpr6_sgpr7
	s_branch .LBB167_104
.LBB167_107:
	s_set_inst_prefetch_distance 0x2
	s_or_b32 exec_lo, exec_lo, s26
	v_cmp_gt_i64_e32 vcc_lo, s[22:23], v[21:22]
	s_or_not1_b32 s2, vcc_lo, exec_lo
.LBB167_108:
	s_or_b32 exec_lo, exec_lo, s24
.LBB167_109:
	s_delay_alu instid0(SALU_CYCLE_1)
	s_and_b32 s26, s2, exec_lo
.LBB167_110:
	s_or_b32 exec_lo, exec_lo, s27
	v_or_b32_e32 v17, 6, v39
	s_mov_b32 s24, exec_lo
	s_delay_alu instid0(VALU_DEP_1)
	v_cmpx_gt_u32_e64 s20, v17
	s_cbranch_execz .LBB167_121
; %bb.111:
	v_cmp_ne_u32_e32 vcc_lo, 1, v24
	s_mov_b32 s2, 0
	s_cbranch_vccnz .LBB167_120
; %bb.112:
	v_mad_u64_u32 v[17:18], null, v7, s22, s[8:9]
	s_waitcnt lgkmcnt(0)
	v_mul_lo_u32 v21, v7, s23
	v_mul_lo_u32 v22, v8, s22
	v_mad_u64_u32 v[19:20], null, v1, s22, s[8:9]
	v_mul_lo_u32 v23, v1, s23
	v_mul_lo_u32 v25, v2, s22
	s_mov_b32 s2, -1
	s_mov_b32 s25, exec_lo
	s_delay_alu instid0(VALU_DEP_4) | instskip(NEXT) | instid1(VALU_DEP_2)
	v_add3_u32 v18, v22, v18, v21
	v_add3_u32 v20, v25, v20, v23
	s_clause 0x1
	global_load_u8 v21, v[17:18], off
	global_load_u8 v22, v[19:20], off
	s_waitcnt vmcnt(0)
	v_cmpx_eq_u16_e64 v21, v22
	s_cbranch_execz .LBB167_119
; %bb.113:
	s_mov_b64 s[2:3], 1
	s_mov_b32 s27, 0
                                        ; implicit-def: $sgpr28
	s_set_inst_prefetch_distance 0x1
	s_branch .LBB167_116
	.p2align	6
.LBB167_114:                            ;   in Loop: Header=BB167_116 Depth=1
	v_add_co_u32 v21, vcc_lo, v17, s2
	v_add_co_ci_u32_e32 v22, vcc_lo, s3, v18, vcc_lo
	v_add_co_u32 v25, vcc_lo, v19, s2
	v_add_co_ci_u32_e32 v26, vcc_lo, s3, v20, vcc_lo
	s_add_u32 s6, s2, 1
	s_clause 0x1
	global_load_u8 v21, v[21:22], off
	global_load_u8 v22, v[25:26], off
	s_addc_u32 s7, s3, 0
	s_and_not1_b32 s28, s28, exec_lo
	s_waitcnt vmcnt(0)
	v_cmp_ne_u16_e32 vcc_lo, v21, v22
	s_and_b32 s29, vcc_lo, exec_lo
	s_delay_alu instid0(SALU_CYCLE_1)
	s_or_b32 s28, s28, s29
.LBB167_115:                            ;   in Loop: Header=BB167_116 Depth=1
	v_dual_mov_b32 v22, s3 :: v_dual_mov_b32 v21, s2
	s_and_b32 s29, exec_lo, s28
	s_mov_b64 s[2:3], s[6:7]
	s_or_b32 s27, s29, s27
	s_delay_alu instid0(SALU_CYCLE_1)
	s_and_not1_b32 exec_lo, exec_lo, s27
	s_cbranch_execz .LBB167_118
.LBB167_116:                            ; =>This Inner Loop Header: Depth=1
	s_or_b32 s28, s28, exec_lo
	s_cmp_eq_u64 s[22:23], s[2:3]
	s_cbranch_scc0 .LBB167_114
; %bb.117:                              ;   in Loop: Header=BB167_116 Depth=1
	s_mov_b64 s[2:3], s[22:23]
                                        ; implicit-def: $sgpr6_sgpr7
	s_branch .LBB167_115
.LBB167_118:
	s_set_inst_prefetch_distance 0x2
	s_or_b32 exec_lo, exec_lo, s27
	v_cmp_gt_i64_e32 vcc_lo, s[22:23], v[21:22]
	s_or_not1_b32 s2, vcc_lo, exec_lo
.LBB167_119:
	s_or_b32 exec_lo, exec_lo, s25
.LBB167_120:
	s_delay_alu instid0(SALU_CYCLE_1)
	s_and_b32 s25, s2, exec_lo
.LBB167_121:
	s_or_b32 exec_lo, exec_lo, s24
	v_or_b32_e32 v17, 5, v39
	s_mov_b32 s27, 0
	s_mov_b32 s24, 0
	s_mov_b32 s28, exec_lo
	s_delay_alu instid0(VALU_DEP_1)
	v_cmpx_gt_u32_e64 s20, v17
	s_cbranch_execz .LBB167_132
; %bb.122:
	v_cmp_ne_u32_e32 vcc_lo, 1, v24
	s_mov_b32 s2, 0
	s_cbranch_vccnz .LBB167_131
; %bb.123:
	v_mad_u64_u32 v[17:18], null, v5, s22, s[8:9]
	s_waitcnt lgkmcnt(0)
	v_mul_lo_u32 v21, v5, s23
	v_mul_lo_u32 v22, v6, s22
	v_mad_u64_u32 v[19:20], null, v7, s22, s[8:9]
	v_mul_lo_u32 v23, v7, s23
	v_mul_lo_u32 v25, v8, s22
	s_mov_b32 s2, -1
	s_mov_b32 s24, exec_lo
	s_delay_alu instid0(VALU_DEP_4) | instskip(NEXT) | instid1(VALU_DEP_2)
	v_add3_u32 v18, v22, v18, v21
	v_add3_u32 v20, v25, v20, v23
	s_clause 0x1
	global_load_u8 v21, v[17:18], off
	global_load_u8 v22, v[19:20], off
	s_waitcnt vmcnt(0)
	v_cmpx_eq_u16_e64 v21, v22
	s_cbranch_execz .LBB167_130
; %bb.124:
	s_mov_b64 s[2:3], 1
	s_mov_b32 s29, 0
                                        ; implicit-def: $sgpr30
	s_set_inst_prefetch_distance 0x1
	s_branch .LBB167_127
	.p2align	6
.LBB167_125:                            ;   in Loop: Header=BB167_127 Depth=1
	v_add_co_u32 v21, vcc_lo, v17, s2
	v_add_co_ci_u32_e32 v22, vcc_lo, s3, v18, vcc_lo
	v_add_co_u32 v25, vcc_lo, v19, s2
	v_add_co_ci_u32_e32 v26, vcc_lo, s3, v20, vcc_lo
	s_add_u32 s6, s2, 1
	s_clause 0x1
	global_load_u8 v21, v[21:22], off
	global_load_u8 v22, v[25:26], off
	s_addc_u32 s7, s3, 0
	s_and_not1_b32 s30, s30, exec_lo
	s_waitcnt vmcnt(0)
	v_cmp_ne_u16_e32 vcc_lo, v21, v22
	s_and_b32 s31, vcc_lo, exec_lo
	s_delay_alu instid0(SALU_CYCLE_1)
	s_or_b32 s30, s30, s31
.LBB167_126:                            ;   in Loop: Header=BB167_127 Depth=1
	v_dual_mov_b32 v22, s3 :: v_dual_mov_b32 v21, s2
	s_and_b32 s31, exec_lo, s30
	s_mov_b64 s[2:3], s[6:7]
	s_or_b32 s29, s31, s29
	s_delay_alu instid0(SALU_CYCLE_1)
	s_and_not1_b32 exec_lo, exec_lo, s29
	s_cbranch_execz .LBB167_129
.LBB167_127:                            ; =>This Inner Loop Header: Depth=1
	s_or_b32 s30, s30, exec_lo
	s_cmp_eq_u64 s[22:23], s[2:3]
	s_cbranch_scc0 .LBB167_125
; %bb.128:                              ;   in Loop: Header=BB167_127 Depth=1
	s_mov_b64 s[2:3], s[22:23]
                                        ; implicit-def: $sgpr6_sgpr7
	s_branch .LBB167_126
.LBB167_129:
	s_set_inst_prefetch_distance 0x2
	s_or_b32 exec_lo, exec_lo, s29
	v_cmp_gt_i64_e32 vcc_lo, s[22:23], v[21:22]
	s_or_not1_b32 s2, vcc_lo, exec_lo
.LBB167_130:
	s_or_b32 exec_lo, exec_lo, s24
.LBB167_131:
	s_delay_alu instid0(SALU_CYCLE_1)
	s_and_b32 s24, s2, exec_lo
.LBB167_132:
	s_or_b32 exec_lo, exec_lo, s28
	v_or_b32_e32 v17, 4, v39
	s_mov_b32 s28, exec_lo
	s_delay_alu instid0(VALU_DEP_1)
	v_cmpx_gt_u32_e64 s20, v17
	s_cbranch_execz .LBB167_143
; %bb.133:
	v_cmp_ne_u32_e32 vcc_lo, 1, v24
	s_mov_b32 s2, 0
	s_cbranch_vccnz .LBB167_142
; %bb.134:
	v_mad_u64_u32 v[17:18], null, v11, s22, s[8:9]
	s_waitcnt lgkmcnt(0)
	v_mul_lo_u32 v21, v11, s23
	v_mul_lo_u32 v22, v12, s22
	v_mad_u64_u32 v[19:20], null, v5, s22, s[8:9]
	v_mul_lo_u32 v23, v5, s23
	v_mul_lo_u32 v25, v6, s22
	s_mov_b32 s2, -1
	s_mov_b32 s27, exec_lo
	s_delay_alu instid0(VALU_DEP_4) | instskip(NEXT) | instid1(VALU_DEP_2)
	v_add3_u32 v18, v22, v18, v21
	v_add3_u32 v20, v25, v20, v23
	s_clause 0x1
	global_load_u8 v21, v[17:18], off
	global_load_u8 v22, v[19:20], off
	s_waitcnt vmcnt(0)
	v_cmpx_eq_u16_e64 v21, v22
	s_cbranch_execz .LBB167_141
; %bb.135:
	s_mov_b64 s[2:3], 1
	s_mov_b32 s29, 0
                                        ; implicit-def: $sgpr30
	s_set_inst_prefetch_distance 0x1
	s_branch .LBB167_138
	.p2align	6
.LBB167_136:                            ;   in Loop: Header=BB167_138 Depth=1
	v_add_co_u32 v21, vcc_lo, v17, s2
	v_add_co_ci_u32_e32 v22, vcc_lo, s3, v18, vcc_lo
	v_add_co_u32 v25, vcc_lo, v19, s2
	v_add_co_ci_u32_e32 v26, vcc_lo, s3, v20, vcc_lo
	s_add_u32 s6, s2, 1
	s_clause 0x1
	global_load_u8 v21, v[21:22], off
	global_load_u8 v22, v[25:26], off
	s_addc_u32 s7, s3, 0
	s_and_not1_b32 s30, s30, exec_lo
	s_waitcnt vmcnt(0)
	v_cmp_ne_u16_e32 vcc_lo, v21, v22
	s_and_b32 s31, vcc_lo, exec_lo
	s_delay_alu instid0(SALU_CYCLE_1)
	s_or_b32 s30, s30, s31
.LBB167_137:                            ;   in Loop: Header=BB167_138 Depth=1
	v_dual_mov_b32 v22, s3 :: v_dual_mov_b32 v21, s2
	s_and_b32 s31, exec_lo, s30
	s_mov_b64 s[2:3], s[6:7]
	s_or_b32 s29, s31, s29
	s_delay_alu instid0(SALU_CYCLE_1)
	s_and_not1_b32 exec_lo, exec_lo, s29
	s_cbranch_execz .LBB167_140
.LBB167_138:                            ; =>This Inner Loop Header: Depth=1
	s_or_b32 s30, s30, exec_lo
	s_cmp_eq_u64 s[22:23], s[2:3]
	s_cbranch_scc0 .LBB167_136
; %bb.139:                              ;   in Loop: Header=BB167_138 Depth=1
	s_mov_b64 s[2:3], s[22:23]
                                        ; implicit-def: $sgpr6_sgpr7
	s_branch .LBB167_137
.LBB167_140:
	s_set_inst_prefetch_distance 0x2
	s_or_b32 exec_lo, exec_lo, s29
	v_cmp_gt_i64_e32 vcc_lo, s[22:23], v[21:22]
	s_or_not1_b32 s2, vcc_lo, exec_lo
.LBB167_141:
	s_or_b32 exec_lo, exec_lo, s27
.LBB167_142:
	s_delay_alu instid0(SALU_CYCLE_1)
	s_and_b32 s27, s2, exec_lo
.LBB167_143:
	s_or_b32 exec_lo, exec_lo, s28
	v_or_b32_e32 v17, 3, v39
	s_mov_b32 s29, 0
	s_mov_b32 s28, 0
	s_mov_b32 s30, exec_lo
	s_delay_alu instid0(VALU_DEP_1)
	v_cmpx_gt_u32_e64 s20, v17
	s_cbranch_execz .LBB167_154
; %bb.144:
	v_cmp_ne_u32_e32 vcc_lo, 1, v24
	s_mov_b32 s2, 0
	s_cbranch_vccnz .LBB167_153
; %bb.145:
	v_mad_u64_u32 v[17:18], null, v9, s22, s[8:9]
	s_waitcnt lgkmcnt(0)
	v_mul_lo_u32 v21, v9, s23
	v_mul_lo_u32 v22, v10, s22
	v_mad_u64_u32 v[19:20], null, v11, s22, s[8:9]
	v_mul_lo_u32 v23, v11, s23
	v_mul_lo_u32 v25, v12, s22
	s_mov_b32 s2, -1
	s_mov_b32 s28, exec_lo
	s_delay_alu instid0(VALU_DEP_4) | instskip(NEXT) | instid1(VALU_DEP_2)
	v_add3_u32 v18, v22, v18, v21
	v_add3_u32 v20, v25, v20, v23
	s_clause 0x1
	global_load_u8 v21, v[17:18], off
	global_load_u8 v22, v[19:20], off
	s_waitcnt vmcnt(0)
	v_cmpx_eq_u16_e64 v21, v22
	s_cbranch_execz .LBB167_152
; %bb.146:
	s_mov_b64 s[2:3], 1
	s_mov_b32 s31, 0
                                        ; implicit-def: $sgpr33
	s_set_inst_prefetch_distance 0x1
	s_branch .LBB167_149
	.p2align	6
.LBB167_147:                            ;   in Loop: Header=BB167_149 Depth=1
	v_add_co_u32 v21, vcc_lo, v17, s2
	v_add_co_ci_u32_e32 v22, vcc_lo, s3, v18, vcc_lo
	v_add_co_u32 v25, vcc_lo, v19, s2
	v_add_co_ci_u32_e32 v26, vcc_lo, s3, v20, vcc_lo
	s_add_u32 s6, s2, 1
	s_clause 0x1
	global_load_u8 v21, v[21:22], off
	global_load_u8 v22, v[25:26], off
	s_addc_u32 s7, s3, 0
	s_and_not1_b32 s33, s33, exec_lo
	s_waitcnt vmcnt(0)
	v_cmp_ne_u16_e32 vcc_lo, v21, v22
	s_and_b32 s34, vcc_lo, exec_lo
	s_delay_alu instid0(SALU_CYCLE_1)
	s_or_b32 s33, s33, s34
.LBB167_148:                            ;   in Loop: Header=BB167_149 Depth=1
	v_dual_mov_b32 v22, s3 :: v_dual_mov_b32 v21, s2
	s_and_b32 s34, exec_lo, s33
	s_mov_b64 s[2:3], s[6:7]
	s_or_b32 s31, s34, s31
	s_delay_alu instid0(SALU_CYCLE_1)
	s_and_not1_b32 exec_lo, exec_lo, s31
	s_cbranch_execz .LBB167_151
.LBB167_149:                            ; =>This Inner Loop Header: Depth=1
	s_or_b32 s33, s33, exec_lo
	s_cmp_eq_u64 s[22:23], s[2:3]
	s_cbranch_scc0 .LBB167_147
; %bb.150:                              ;   in Loop: Header=BB167_149 Depth=1
	s_mov_b64 s[2:3], s[22:23]
                                        ; implicit-def: $sgpr6_sgpr7
	s_branch .LBB167_148
.LBB167_151:
	s_set_inst_prefetch_distance 0x2
	s_or_b32 exec_lo, exec_lo, s31
	v_cmp_gt_i64_e32 vcc_lo, s[22:23], v[21:22]
	s_or_not1_b32 s2, vcc_lo, exec_lo
.LBB167_152:
	s_or_b32 exec_lo, exec_lo, s28
.LBB167_153:
	s_delay_alu instid0(SALU_CYCLE_1)
	s_and_b32 s28, s2, exec_lo
.LBB167_154:
	s_or_b32 exec_lo, exec_lo, s30
	v_or_b32_e32 v17, 2, v39
	s_mov_b32 s30, exec_lo
	s_delay_alu instid0(VALU_DEP_1)
	v_cmpx_gt_u32_e64 s20, v17
	s_cbranch_execz .LBB167_165
; %bb.155:
	v_cmp_ne_u32_e32 vcc_lo, 1, v24
	s_mov_b32 s2, 0
	s_cbranch_vccnz .LBB167_164
; %bb.156:
	v_mad_u64_u32 v[17:18], null, v15, s22, s[8:9]
	s_waitcnt lgkmcnt(0)
	v_mul_lo_u32 v21, v15, s23
	v_mul_lo_u32 v22, v16, s22
	v_mad_u64_u32 v[19:20], null, v9, s22, s[8:9]
	v_mul_lo_u32 v23, v9, s23
	v_mul_lo_u32 v25, v10, s22
	s_mov_b32 s2, -1
	s_mov_b32 s29, exec_lo
	s_delay_alu instid0(VALU_DEP_4) | instskip(NEXT) | instid1(VALU_DEP_2)
	v_add3_u32 v18, v22, v18, v21
	v_add3_u32 v20, v25, v20, v23
	s_clause 0x1
	global_load_u8 v21, v[17:18], off
	global_load_u8 v22, v[19:20], off
	s_waitcnt vmcnt(0)
	v_cmpx_eq_u16_e64 v21, v22
	s_cbranch_execz .LBB167_163
; %bb.157:
	s_mov_b64 s[2:3], 1
	s_mov_b32 s31, 0
                                        ; implicit-def: $sgpr33
	s_set_inst_prefetch_distance 0x1
	s_branch .LBB167_160
	.p2align	6
.LBB167_158:                            ;   in Loop: Header=BB167_160 Depth=1
	v_add_co_u32 v21, vcc_lo, v17, s2
	v_add_co_ci_u32_e32 v22, vcc_lo, s3, v18, vcc_lo
	v_add_co_u32 v25, vcc_lo, v19, s2
	v_add_co_ci_u32_e32 v26, vcc_lo, s3, v20, vcc_lo
	s_add_u32 s6, s2, 1
	s_clause 0x1
	global_load_u8 v21, v[21:22], off
	global_load_u8 v22, v[25:26], off
	s_addc_u32 s7, s3, 0
	s_and_not1_b32 s33, s33, exec_lo
	s_waitcnt vmcnt(0)
	v_cmp_ne_u16_e32 vcc_lo, v21, v22
	s_and_b32 s34, vcc_lo, exec_lo
	s_delay_alu instid0(SALU_CYCLE_1)
	s_or_b32 s33, s33, s34
.LBB167_159:                            ;   in Loop: Header=BB167_160 Depth=1
	v_dual_mov_b32 v22, s3 :: v_dual_mov_b32 v21, s2
	s_and_b32 s34, exec_lo, s33
	s_mov_b64 s[2:3], s[6:7]
	s_or_b32 s31, s34, s31
	s_delay_alu instid0(SALU_CYCLE_1)
	s_and_not1_b32 exec_lo, exec_lo, s31
	s_cbranch_execz .LBB167_162
.LBB167_160:                            ; =>This Inner Loop Header: Depth=1
	s_or_b32 s33, s33, exec_lo
	s_cmp_eq_u64 s[22:23], s[2:3]
	s_cbranch_scc0 .LBB167_158
; %bb.161:                              ;   in Loop: Header=BB167_160 Depth=1
	s_mov_b64 s[2:3], s[22:23]
                                        ; implicit-def: $sgpr6_sgpr7
	s_branch .LBB167_159
.LBB167_162:
	s_set_inst_prefetch_distance 0x2
	s_or_b32 exec_lo, exec_lo, s31
	v_cmp_gt_i64_e32 vcc_lo, s[22:23], v[21:22]
	s_or_not1_b32 s2, vcc_lo, exec_lo
.LBB167_163:
	s_or_b32 exec_lo, exec_lo, s29
.LBB167_164:
	s_delay_alu instid0(SALU_CYCLE_1)
	s_and_b32 s29, s2, exec_lo
.LBB167_165:
	s_or_b32 exec_lo, exec_lo, s30
	v_or_b32_e32 v17, 1, v39
	s_mov_b32 s2, 0
	s_mov_b32 s30, exec_lo
	s_delay_alu instid0(VALU_DEP_1)
	v_cmpx_gt_u32_e64 s20, v17
	s_cbranch_execz .LBB167_176
; %bb.166:
	v_cmp_ne_u32_e32 vcc_lo, 1, v24
	s_cbranch_vccnz .LBB167_175
; %bb.167:
	v_mad_u64_u32 v[17:18], null, v13, s22, s[8:9]
	s_waitcnt lgkmcnt(0)
	v_mul_lo_u32 v21, v13, s23
	v_mul_lo_u32 v22, v14, s22
	v_mad_u64_u32 v[19:20], null, v15, s22, s[8:9]
	v_mul_lo_u32 v23, v15, s23
	v_mul_lo_u32 v25, v16, s22
	s_mov_b32 s2, -1
	s_mov_b32 s31, exec_lo
	s_delay_alu instid0(VALU_DEP_4) | instskip(NEXT) | instid1(VALU_DEP_2)
	v_add3_u32 v18, v22, v18, v21
	v_add3_u32 v20, v25, v20, v23
	s_clause 0x1
	global_load_u8 v21, v[17:18], off
	global_load_u8 v22, v[19:20], off
	s_waitcnt vmcnt(0)
	v_cmpx_eq_u16_e64 v21, v22
	s_cbranch_execz .LBB167_174
; %bb.168:
	s_mov_b64 s[2:3], 1
	s_mov_b32 s33, 0
                                        ; implicit-def: $sgpr34
	s_set_inst_prefetch_distance 0x1
	s_branch .LBB167_171
	.p2align	6
.LBB167_169:                            ;   in Loop: Header=BB167_171 Depth=1
	v_add_co_u32 v21, vcc_lo, v17, s2
	v_add_co_ci_u32_e32 v22, vcc_lo, s3, v18, vcc_lo
	v_add_co_u32 v25, vcc_lo, v19, s2
	v_add_co_ci_u32_e32 v26, vcc_lo, s3, v20, vcc_lo
	s_add_u32 s6, s2, 1
	s_clause 0x1
	global_load_u8 v21, v[21:22], off
	global_load_u8 v22, v[25:26], off
	s_addc_u32 s7, s3, 0
	s_and_not1_b32 s34, s34, exec_lo
	s_waitcnt vmcnt(0)
	v_cmp_ne_u16_e32 vcc_lo, v21, v22
	s_and_b32 s35, vcc_lo, exec_lo
	s_delay_alu instid0(SALU_CYCLE_1)
	s_or_b32 s34, s34, s35
.LBB167_170:                            ;   in Loop: Header=BB167_171 Depth=1
	v_dual_mov_b32 v22, s3 :: v_dual_mov_b32 v21, s2
	s_and_b32 s35, exec_lo, s34
	s_mov_b64 s[2:3], s[6:7]
	s_or_b32 s33, s35, s33
	s_delay_alu instid0(SALU_CYCLE_1)
	s_and_not1_b32 exec_lo, exec_lo, s33
	s_cbranch_execz .LBB167_173
.LBB167_171:                            ; =>This Inner Loop Header: Depth=1
	s_or_b32 s34, s34, exec_lo
	s_cmp_eq_u64 s[22:23], s[2:3]
	s_cbranch_scc0 .LBB167_169
; %bb.172:                              ;   in Loop: Header=BB167_171 Depth=1
	s_mov_b64 s[2:3], s[22:23]
                                        ; implicit-def: $sgpr6_sgpr7
	s_branch .LBB167_170
.LBB167_173:
	s_set_inst_prefetch_distance 0x2
	s_or_b32 exec_lo, exec_lo, s33
	v_cmp_gt_i64_e32 vcc_lo, s[22:23], v[21:22]
	s_or_not1_b32 s2, vcc_lo, exec_lo
.LBB167_174:
	s_or_b32 exec_lo, exec_lo, s31
.LBB167_175:
	s_delay_alu instid0(SALU_CYCLE_1)
	s_and_b32 s2, s2, exec_lo
.LBB167_176:
	s_or_b32 exec_lo, exec_lo, s30
	s_waitcnt lgkmcnt(0)
	v_dual_mov_b32 v20, s5 :: v_dual_mov_b32 v19, s4
	s_mov_b32 s3, exec_lo
	s_barrier
	buffer_gl0_inv
	v_cmpx_ne_u32_e32 0, v0
	s_cbranch_execz .LBB167_178
; %bb.177:
	v_add_nc_u32_e32 v17, -8, v39
	ds_load_b64 v[19:20], v17
.LBB167_178:
	s_or_b32 exec_lo, exec_lo, s3
	v_cndmask_b32_e64 v18, 0, 1, s28
	v_cndmask_b32_e64 v22, 0, 1, s24
	;; [unrolled: 1-line block ×7, first 2 shown]
	v_lshlrev_b16 v18, 8, v18
	v_lshlrev_b16 v22, 8, v22
	;; [unrolled: 1-line block ×3, first 2 shown]
	s_mov_b32 s2, 0
	v_lshlrev_b16 v26, 8, v26
	v_or_b32_e32 v17, v17, v18
	v_or_b32_e32 v18, v21, v22
	;; [unrolled: 1-line block ×3, first 2 shown]
	s_mov_b32 s6, exec_lo
	v_and_b32_e32 v23, 0xffff, v26
	v_lshlrev_b32_e32 v25, 16, v17
	v_and_b32_e32 v26, 0xffff, v18
	v_lshlrev_b32_e32 v27, 16, v21
	v_cmpx_gt_u32_e64 s20, v39
	s_cbranch_execz .LBB167_189
; %bb.179:
	v_cmp_ne_u32_e32 vcc_lo, 1, v24
	s_cbranch_vccnz .LBB167_188
; %bb.180:
	s_waitcnt lgkmcnt(0)
	v_mad_u64_u32 v[17:18], null, v19, s22, s[8:9]
	v_mul_lo_u32 v21, v19, s23
	v_mul_lo_u32 v22, v20, s22
	v_mad_u64_u32 v[19:20], null, v13, s22, s[8:9]
	v_mul_lo_u32 v24, v13, s23
	v_mul_lo_u32 v28, v14, s22
	s_mov_b32 s2, -1
	s_mov_b32 s7, exec_lo
	s_delay_alu instid0(VALU_DEP_4) | instskip(NEXT) | instid1(VALU_DEP_2)
	v_add3_u32 v18, v22, v18, v21
	v_add3_u32 v20, v28, v20, v24
	s_clause 0x1
	global_load_u8 v21, v[17:18], off
	global_load_u8 v22, v[19:20], off
	s_waitcnt vmcnt(0)
	v_cmpx_eq_u16_e64 v21, v22
	s_cbranch_execz .LBB167_187
; %bb.181:
	s_mov_b64 s[2:3], 1
	s_mov_b32 s24, 0
                                        ; implicit-def: $sgpr25
	s_set_inst_prefetch_distance 0x1
	s_branch .LBB167_184
	.p2align	6
.LBB167_182:                            ;   in Loop: Header=BB167_184 Depth=1
	v_add_co_u32 v21, vcc_lo, v17, s2
	v_add_co_ci_u32_e32 v22, vcc_lo, s3, v18, vcc_lo
	v_add_co_u32 v28, vcc_lo, v19, s2
	v_add_co_ci_u32_e32 v29, vcc_lo, s3, v20, vcc_lo
	s_add_u32 s4, s2, 1
	s_clause 0x1
	global_load_u8 v21, v[21:22], off
	global_load_u8 v22, v[28:29], off
	s_addc_u32 s5, s3, 0
	s_and_not1_b32 s25, s25, exec_lo
	s_waitcnt vmcnt(0)
	v_cmp_ne_u16_e32 vcc_lo, v21, v22
	s_and_b32 s26, vcc_lo, exec_lo
	s_delay_alu instid0(SALU_CYCLE_1)
	s_or_b32 s25, s25, s26
.LBB167_183:                            ;   in Loop: Header=BB167_184 Depth=1
	v_dual_mov_b32 v22, s3 :: v_dual_mov_b32 v21, s2
	s_and_b32 s26, exec_lo, s25
	s_mov_b64 s[2:3], s[4:5]
	s_or_b32 s24, s26, s24
	s_delay_alu instid0(SALU_CYCLE_1)
	s_and_not1_b32 exec_lo, exec_lo, s24
	s_cbranch_execz .LBB167_186
.LBB167_184:                            ; =>This Inner Loop Header: Depth=1
	s_or_b32 s25, s25, exec_lo
	s_cmp_eq_u64 s[22:23], s[2:3]
	s_cbranch_scc0 .LBB167_182
; %bb.185:                              ;   in Loop: Header=BB167_184 Depth=1
	s_mov_b64 s[2:3], s[22:23]
                                        ; implicit-def: $sgpr4_sgpr5
	s_branch .LBB167_183
.LBB167_186:
	s_set_inst_prefetch_distance 0x2
	s_or_b32 exec_lo, exec_lo, s24
	v_cmp_gt_i64_e32 vcc_lo, s[22:23], v[21:22]
	s_or_not1_b32 s2, vcc_lo, exec_lo
.LBB167_187:
	s_or_b32 exec_lo, exec_lo, s7
.LBB167_188:
	s_delay_alu instid0(SALU_CYCLE_1)
	s_and_b32 s2, s2, exec_lo
.LBB167_189:
	s_or_b32 exec_lo, exec_lo, s6
	v_or_b32_e32 v17, v23, v25
	v_or_b32_e32 v18, v26, v27
.LBB167_190:
	s_mov_b32 s6, -1
	s_cbranch_execnz .LBB167_359
.LBB167_191:
	v_cmp_gt_i64_e64 s7, s[22:23], 0
	s_and_b32 vcc_lo, exec_lo, s18
	ds_store_b64 v39, v[3:4]
	s_cbranch_vccz .LBB167_199
; %bb.192:
	s_waitcnt lgkmcnt(0)
	v_mul_lo_u32 v19, v2, s22
	v_mul_lo_u32 v20, v1, s23
	v_mad_u64_u32 v[17:18], null, v1, s22, 0
	s_mov_b32 s24, 0
	s_and_not1_b32 vcc_lo, exec_lo, s7
	s_mov_b32 s25, 0
	s_delay_alu instid0(VALU_DEP_1)
	v_add3_u32 v24, v18, v20, v19
	s_cbranch_vccnz .LBB167_202
; %bb.193:
	v_mad_u64_u32 v[18:19], null, v3, s22, s[8:9]
	v_mul_lo_u32 v22, v3, s23
	v_mul_lo_u32 v23, v4, s22
	v_add_co_u32 v20, vcc_lo, s8, v17
	v_add_co_ci_u32_e32 v21, vcc_lo, s9, v24, vcc_lo
	s_mov_b32 s25, -1
	s_mov_b32 s26, exec_lo
	s_delay_alu instid0(VALU_DEP_3)
	v_add3_u32 v19, v23, v19, v22
	s_clause 0x1
	global_load_u8 v22, v[20:21], off
	global_load_u8 v23, v[18:19], off
	s_waitcnt vmcnt(0)
	v_cmpx_eq_u16_e64 v22, v23
	s_cbranch_execz .LBB167_201
; %bb.194:
	s_mov_b64 s[2:3], 1
	s_mov_b32 s25, 0
                                        ; implicit-def: $sgpr27
	s_set_inst_prefetch_distance 0x1
	s_branch .LBB167_197
	.p2align	6
.LBB167_195:                            ;   in Loop: Header=BB167_197 Depth=1
	v_add_co_u32 v22, vcc_lo, v20, s2
	v_add_co_ci_u32_e32 v23, vcc_lo, s3, v21, vcc_lo
	v_add_co_u32 v25, vcc_lo, v18, s2
	v_add_co_ci_u32_e32 v26, vcc_lo, s3, v19, vcc_lo
	s_add_u32 s4, s2, 1
	s_clause 0x1
	global_load_u8 v22, v[22:23], off
	global_load_u8 v23, v[25:26], off
	s_addc_u32 s5, s3, 0
	s_and_not1_b32 s27, s27, exec_lo
	s_waitcnt vmcnt(0)
	v_cmp_ne_u16_e32 vcc_lo, v22, v23
	s_and_b32 s28, vcc_lo, exec_lo
	s_delay_alu instid0(SALU_CYCLE_1)
	s_or_b32 s27, s27, s28
.LBB167_196:                            ;   in Loop: Header=BB167_197 Depth=1
	v_dual_mov_b32 v23, s3 :: v_dual_mov_b32 v22, s2
	s_and_b32 s28, exec_lo, s27
	s_mov_b64 s[2:3], s[4:5]
	s_or_b32 s25, s28, s25
	s_delay_alu instid0(SALU_CYCLE_1)
	s_and_not1_b32 exec_lo, exec_lo, s25
	s_cbranch_execz .LBB167_200
.LBB167_197:                            ; =>This Inner Loop Header: Depth=1
	s_or_b32 s27, s27, exec_lo
	s_cmp_eq_u64 s[22:23], s[2:3]
	s_cbranch_scc0 .LBB167_195
; %bb.198:                              ;   in Loop: Header=BB167_197 Depth=1
	s_mov_b64 s[2:3], s[22:23]
                                        ; implicit-def: $sgpr4_sgpr5
	s_branch .LBB167_196
.LBB167_199:
                                        ; implicit-def: $sgpr2
                                        ; implicit-def: $vgpr18
	s_cbranch_execnz .LBB167_268
	s_branch .LBB167_359
.LBB167_200:
	s_set_inst_prefetch_distance 0x2
	s_or_b32 exec_lo, exec_lo, s25
	v_cmp_gt_i64_e32 vcc_lo, s[22:23], v[22:23]
	s_or_not1_b32 s25, vcc_lo, exec_lo
.LBB167_201:
	s_or_b32 exec_lo, exec_lo, s26
.LBB167_202:
	v_mul_lo_u32 v20, v8, s22
	v_mul_lo_u32 v21, v7, s23
	v_mad_u64_u32 v[18:19], null, v7, s22, 0
	s_and_not1_b32 vcc_lo, exec_lo, s7
	s_delay_alu instid0(VALU_DEP_1)
	v_add3_u32 v25, v19, v21, v20
	s_cbranch_vccnz .LBB167_211
; %bb.203:
	s_delay_alu instid0(VALU_DEP_2) | instskip(NEXT) | instid1(VALU_DEP_2)
	v_add_co_u32 v19, vcc_lo, s8, v18
	v_add_co_ci_u32_e32 v20, vcc_lo, s9, v25, vcc_lo
	v_add_co_u32 v21, vcc_lo, s8, v17
	v_add_co_ci_u32_e32 v22, vcc_lo, s9, v24, vcc_lo
	s_mov_b32 s24, -1
	s_clause 0x1
	global_load_u8 v17, v[19:20], off
	global_load_u8 v23, v[21:22], off
	s_mov_b32 s26, exec_lo
	s_waitcnt vmcnt(0)
	v_cmpx_eq_u16_e64 v17, v23
	s_cbranch_execz .LBB167_210
; %bb.204:
	s_mov_b64 s[2:3], 1
	s_mov_b32 s24, 0
                                        ; implicit-def: $sgpr27
	s_set_inst_prefetch_distance 0x1
	s_branch .LBB167_207
	.p2align	6
.LBB167_205:                            ;   in Loop: Header=BB167_207 Depth=1
	v_add_co_u32 v23, vcc_lo, v19, s2
	v_add_co_ci_u32_e32 v24, vcc_lo, s3, v20, vcc_lo
	v_add_co_u32 v26, vcc_lo, v21, s2
	v_add_co_ci_u32_e32 v27, vcc_lo, s3, v22, vcc_lo
	s_add_u32 s4, s2, 1
	s_clause 0x1
	global_load_u8 v17, v[23:24], off
	global_load_u8 v23, v[26:27], off
	s_addc_u32 s5, s3, 0
	s_and_not1_b32 s27, s27, exec_lo
	s_waitcnt vmcnt(0)
	v_cmp_ne_u16_e32 vcc_lo, v17, v23
	s_and_b32 s28, vcc_lo, exec_lo
	s_delay_alu instid0(SALU_CYCLE_1)
	s_or_b32 s27, s27, s28
.LBB167_206:                            ;   in Loop: Header=BB167_207 Depth=1
	v_dual_mov_b32 v24, s3 :: v_dual_mov_b32 v23, s2
	s_and_b32 s28, exec_lo, s27
	s_mov_b64 s[2:3], s[4:5]
	s_or_b32 s24, s28, s24
	s_delay_alu instid0(SALU_CYCLE_1)
	s_and_not1_b32 exec_lo, exec_lo, s24
	s_cbranch_execz .LBB167_209
.LBB167_207:                            ; =>This Inner Loop Header: Depth=1
	s_or_b32 s27, s27, exec_lo
	s_cmp_eq_u64 s[22:23], s[2:3]
	s_cbranch_scc0 .LBB167_205
; %bb.208:                              ;   in Loop: Header=BB167_207 Depth=1
	s_mov_b64 s[2:3], s[22:23]
                                        ; implicit-def: $sgpr4_sgpr5
	s_branch .LBB167_206
.LBB167_209:
	s_set_inst_prefetch_distance 0x2
	s_or_b32 exec_lo, exec_lo, s24
	v_cmp_gt_i64_e32 vcc_lo, s[22:23], v[23:24]
	s_or_not1_b32 s24, vcc_lo, exec_lo
.LBB167_210:
	s_or_b32 exec_lo, exec_lo, s26
.LBB167_211:
	v_mul_lo_u32 v17, v6, s22
	v_mul_lo_u32 v21, v5, s23
	v_mad_u64_u32 v[19:20], null, v5, s22, 0
	s_mov_b32 s26, 0
	s_and_not1_b32 vcc_lo, exec_lo, s7
	s_mov_b32 s27, 0
	s_delay_alu instid0(VALU_DEP_1)
	v_add3_u32 v26, v20, v21, v17
	s_cbranch_vccnz .LBB167_220
; %bb.212:
	s_delay_alu instid0(VALU_DEP_2) | instskip(NEXT) | instid1(VALU_DEP_2)
	v_add_co_u32 v20, vcc_lo, s8, v19
	v_add_co_ci_u32_e32 v21, vcc_lo, s9, v26, vcc_lo
	v_add_co_u32 v17, vcc_lo, s8, v18
	v_add_co_ci_u32_e32 v18, vcc_lo, s9, v25, vcc_lo
	s_mov_b32 s27, -1
	s_clause 0x1
	global_load_u8 v22, v[20:21], off
	global_load_u8 v23, v[17:18], off
	s_mov_b32 s28, exec_lo
	s_waitcnt vmcnt(0)
	v_cmpx_eq_u16_e64 v22, v23
	s_cbranch_execz .LBB167_219
; %bb.213:
	s_mov_b64 s[2:3], 1
	s_mov_b32 s27, 0
                                        ; implicit-def: $sgpr29
	s_set_inst_prefetch_distance 0x1
	s_branch .LBB167_216
	.p2align	6
.LBB167_214:                            ;   in Loop: Header=BB167_216 Depth=1
	v_add_co_u32 v22, vcc_lo, v20, s2
	v_add_co_ci_u32_e32 v23, vcc_lo, s3, v21, vcc_lo
	v_add_co_u32 v24, vcc_lo, v17, s2
	v_add_co_ci_u32_e32 v25, vcc_lo, s3, v18, vcc_lo
	s_add_u32 s4, s2, 1
	s_clause 0x1
	global_load_u8 v22, v[22:23], off
	global_load_u8 v23, v[24:25], off
	s_addc_u32 s5, s3, 0
	s_and_not1_b32 s29, s29, exec_lo
	s_waitcnt vmcnt(0)
	v_cmp_ne_u16_e32 vcc_lo, v22, v23
	s_and_b32 s30, vcc_lo, exec_lo
	s_delay_alu instid0(SALU_CYCLE_1)
	s_or_b32 s29, s29, s30
.LBB167_215:                            ;   in Loop: Header=BB167_216 Depth=1
	v_dual_mov_b32 v23, s3 :: v_dual_mov_b32 v22, s2
	s_and_b32 s30, exec_lo, s29
	s_mov_b64 s[2:3], s[4:5]
	s_or_b32 s27, s30, s27
	s_delay_alu instid0(SALU_CYCLE_1)
	s_and_not1_b32 exec_lo, exec_lo, s27
	s_cbranch_execz .LBB167_218
.LBB167_216:                            ; =>This Inner Loop Header: Depth=1
	s_or_b32 s29, s29, exec_lo
	s_cmp_eq_u64 s[22:23], s[2:3]
	s_cbranch_scc0 .LBB167_214
; %bb.217:                              ;   in Loop: Header=BB167_216 Depth=1
	s_mov_b64 s[2:3], s[22:23]
                                        ; implicit-def: $sgpr4_sgpr5
	s_branch .LBB167_215
.LBB167_218:
	s_set_inst_prefetch_distance 0x2
	s_or_b32 exec_lo, exec_lo, s27
	v_cmp_gt_i64_e32 vcc_lo, s[22:23], v[22:23]
	s_or_not1_b32 s27, vcc_lo, exec_lo
.LBB167_219:
	s_or_b32 exec_lo, exec_lo, s28
.LBB167_220:
	v_mul_lo_u32 v20, v12, s22
	v_mul_lo_u32 v21, v11, s23
	v_mad_u64_u32 v[17:18], null, v11, s22, 0
	s_and_not1_b32 vcc_lo, exec_lo, s7
	s_delay_alu instid0(VALU_DEP_1)
	v_add3_u32 v24, v18, v21, v20
	s_cbranch_vccnz .LBB167_229
; %bb.221:
	s_delay_alu instid0(VALU_DEP_2) | instskip(NEXT) | instid1(VALU_DEP_2)
	v_add_co_u32 v20, vcc_lo, s8, v17
	v_add_co_ci_u32_e32 v21, vcc_lo, s9, v24, vcc_lo
	v_add_co_u32 v18, vcc_lo, s8, v19
	v_add_co_ci_u32_e32 v19, vcc_lo, s9, v26, vcc_lo
	s_mov_b32 s26, -1
	s_clause 0x1
	global_load_u8 v22, v[20:21], off
	global_load_u8 v23, v[18:19], off
	s_mov_b32 s28, exec_lo
	s_waitcnt vmcnt(0)
	v_cmpx_eq_u16_e64 v22, v23
	s_cbranch_execz .LBB167_228
; %bb.222:
	s_mov_b64 s[2:3], 1
	s_mov_b32 s26, 0
                                        ; implicit-def: $sgpr29
	s_set_inst_prefetch_distance 0x1
	s_branch .LBB167_225
	.p2align	6
.LBB167_223:                            ;   in Loop: Header=BB167_225 Depth=1
	v_add_co_u32 v22, vcc_lo, v20, s2
	v_add_co_ci_u32_e32 v23, vcc_lo, s3, v21, vcc_lo
	v_add_co_u32 v25, vcc_lo, v18, s2
	v_add_co_ci_u32_e32 v26, vcc_lo, s3, v19, vcc_lo
	s_add_u32 s4, s2, 1
	s_clause 0x1
	global_load_u8 v22, v[22:23], off
	global_load_u8 v23, v[25:26], off
	s_addc_u32 s5, s3, 0
	s_and_not1_b32 s29, s29, exec_lo
	s_waitcnt vmcnt(0)
	v_cmp_ne_u16_e32 vcc_lo, v22, v23
	s_and_b32 s30, vcc_lo, exec_lo
	s_delay_alu instid0(SALU_CYCLE_1)
	s_or_b32 s29, s29, s30
.LBB167_224:                            ;   in Loop: Header=BB167_225 Depth=1
	v_dual_mov_b32 v23, s3 :: v_dual_mov_b32 v22, s2
	s_and_b32 s30, exec_lo, s29
	s_mov_b64 s[2:3], s[4:5]
	s_or_b32 s26, s30, s26
	s_delay_alu instid0(SALU_CYCLE_1)
	s_and_not1_b32 exec_lo, exec_lo, s26
	s_cbranch_execz .LBB167_227
.LBB167_225:                            ; =>This Inner Loop Header: Depth=1
	s_or_b32 s29, s29, exec_lo
	s_cmp_eq_u64 s[22:23], s[2:3]
	s_cbranch_scc0 .LBB167_223
; %bb.226:                              ;   in Loop: Header=BB167_225 Depth=1
	s_mov_b64 s[2:3], s[22:23]
                                        ; implicit-def: $sgpr4_sgpr5
	s_branch .LBB167_224
.LBB167_227:
	s_set_inst_prefetch_distance 0x2
	s_or_b32 exec_lo, exec_lo, s26
	v_cmp_gt_i64_e32 vcc_lo, s[22:23], v[22:23]
	s_or_not1_b32 s26, vcc_lo, exec_lo
.LBB167_228:
	s_or_b32 exec_lo, exec_lo, s28
.LBB167_229:
	v_mul_lo_u32 v18, v10, s22
	v_mul_lo_u32 v21, v9, s23
	v_mad_u64_u32 v[19:20], null, v9, s22, 0
	s_mov_b32 s28, 0
	s_and_not1_b32 vcc_lo, exec_lo, s7
	s_mov_b32 s29, 0
	s_delay_alu instid0(VALU_DEP_1)
	v_add3_u32 v26, v20, v21, v18
	s_cbranch_vccnz .LBB167_238
; %bb.230:
	s_delay_alu instid0(VALU_DEP_2) | instskip(NEXT) | instid1(VALU_DEP_2)
	v_add_co_u32 v20, vcc_lo, s8, v19
	v_add_co_ci_u32_e32 v21, vcc_lo, s9, v26, vcc_lo
	v_add_co_u32 v17, vcc_lo, s8, v17
	v_add_co_ci_u32_e32 v18, vcc_lo, s9, v24, vcc_lo
	s_mov_b32 s29, -1
	s_clause 0x1
	global_load_u8 v22, v[20:21], off
	global_load_u8 v23, v[17:18], off
	s_mov_b32 s30, exec_lo
	s_waitcnt vmcnt(0)
	v_cmpx_eq_u16_e64 v22, v23
	s_cbranch_execz .LBB167_237
; %bb.231:
	s_mov_b64 s[2:3], 1
	s_mov_b32 s29, 0
                                        ; implicit-def: $sgpr31
	s_set_inst_prefetch_distance 0x1
	s_branch .LBB167_234
	.p2align	6
.LBB167_232:                            ;   in Loop: Header=BB167_234 Depth=1
	v_add_co_u32 v22, vcc_lo, v20, s2
	v_add_co_ci_u32_e32 v23, vcc_lo, s3, v21, vcc_lo
	v_add_co_u32 v24, vcc_lo, v17, s2
	v_add_co_ci_u32_e32 v25, vcc_lo, s3, v18, vcc_lo
	s_add_u32 s4, s2, 1
	s_clause 0x1
	global_load_u8 v22, v[22:23], off
	global_load_u8 v23, v[24:25], off
	s_addc_u32 s5, s3, 0
	s_and_not1_b32 s31, s31, exec_lo
	s_waitcnt vmcnt(0)
	v_cmp_ne_u16_e32 vcc_lo, v22, v23
	s_and_b32 s33, vcc_lo, exec_lo
	s_delay_alu instid0(SALU_CYCLE_1)
	s_or_b32 s31, s31, s33
.LBB167_233:                            ;   in Loop: Header=BB167_234 Depth=1
	v_dual_mov_b32 v23, s3 :: v_dual_mov_b32 v22, s2
	s_and_b32 s33, exec_lo, s31
	s_mov_b64 s[2:3], s[4:5]
	s_or_b32 s29, s33, s29
	s_delay_alu instid0(SALU_CYCLE_1)
	s_and_not1_b32 exec_lo, exec_lo, s29
	s_cbranch_execz .LBB167_236
.LBB167_234:                            ; =>This Inner Loop Header: Depth=1
	s_or_b32 s31, s31, exec_lo
	s_cmp_eq_u64 s[22:23], s[2:3]
	s_cbranch_scc0 .LBB167_232
; %bb.235:                              ;   in Loop: Header=BB167_234 Depth=1
	s_mov_b64 s[2:3], s[22:23]
                                        ; implicit-def: $sgpr4_sgpr5
	s_branch .LBB167_233
.LBB167_236:
	s_set_inst_prefetch_distance 0x2
	s_or_b32 exec_lo, exec_lo, s29
	v_cmp_gt_i64_e32 vcc_lo, s[22:23], v[22:23]
	s_or_not1_b32 s29, vcc_lo, exec_lo
.LBB167_237:
	s_or_b32 exec_lo, exec_lo, s30
.LBB167_238:
	v_mul_lo_u32 v20, v16, s22
	v_mul_lo_u32 v21, v15, s23
	v_mad_u64_u32 v[17:18], null, v15, s22, 0
	s_and_not1_b32 vcc_lo, exec_lo, s7
	s_delay_alu instid0(VALU_DEP_1)
	v_add3_u32 v25, v18, v21, v20
	s_cbranch_vccnz .LBB167_247
; %bb.239:
	s_delay_alu instid0(VALU_DEP_2) | instskip(NEXT) | instid1(VALU_DEP_2)
	v_add_co_u32 v20, vcc_lo, s8, v17
	v_add_co_ci_u32_e32 v21, vcc_lo, s9, v25, vcc_lo
	v_add_co_u32 v18, vcc_lo, s8, v19
	v_add_co_ci_u32_e32 v19, vcc_lo, s9, v26, vcc_lo
	s_mov_b32 s28, -1
	s_clause 0x1
	global_load_u8 v22, v[20:21], off
	global_load_u8 v23, v[18:19], off
	s_mov_b32 s30, exec_lo
	s_waitcnt vmcnt(0)
	v_cmpx_eq_u16_e64 v22, v23
	s_cbranch_execz .LBB167_246
; %bb.240:
	s_mov_b64 s[2:3], 1
	s_mov_b32 s28, 0
                                        ; implicit-def: $sgpr31
	s_set_inst_prefetch_distance 0x1
	s_branch .LBB167_243
	.p2align	6
.LBB167_241:                            ;   in Loop: Header=BB167_243 Depth=1
	v_add_co_u32 v22, vcc_lo, v20, s2
	v_add_co_ci_u32_e32 v23, vcc_lo, s3, v21, vcc_lo
	v_add_co_u32 v26, vcc_lo, v18, s2
	v_add_co_ci_u32_e32 v27, vcc_lo, s3, v19, vcc_lo
	s_add_u32 s4, s2, 1
	s_clause 0x1
	global_load_u8 v22, v[22:23], off
	global_load_u8 v23, v[26:27], off
	s_addc_u32 s5, s3, 0
	s_and_not1_b32 s31, s31, exec_lo
	s_waitcnt vmcnt(0)
	v_cmp_ne_u16_e32 vcc_lo, v22, v23
	s_and_b32 s33, vcc_lo, exec_lo
	s_delay_alu instid0(SALU_CYCLE_1)
	s_or_b32 s31, s31, s33
.LBB167_242:                            ;   in Loop: Header=BB167_243 Depth=1
	v_dual_mov_b32 v23, s3 :: v_dual_mov_b32 v22, s2
	s_and_b32 s33, exec_lo, s31
	s_mov_b64 s[2:3], s[4:5]
	s_or_b32 s28, s33, s28
	s_delay_alu instid0(SALU_CYCLE_1)
	s_and_not1_b32 exec_lo, exec_lo, s28
	s_cbranch_execz .LBB167_245
.LBB167_243:                            ; =>This Inner Loop Header: Depth=1
	s_or_b32 s31, s31, exec_lo
	s_cmp_eq_u64 s[22:23], s[2:3]
	s_cbranch_scc0 .LBB167_241
; %bb.244:                              ;   in Loop: Header=BB167_243 Depth=1
	s_mov_b64 s[2:3], s[22:23]
                                        ; implicit-def: $sgpr4_sgpr5
	s_branch .LBB167_242
.LBB167_245:
	s_set_inst_prefetch_distance 0x2
	s_or_b32 exec_lo, exec_lo, s28
	v_cmp_gt_i64_e32 vcc_lo, s[22:23], v[22:23]
	s_or_not1_b32 s28, vcc_lo, exec_lo
.LBB167_246:
	s_or_b32 exec_lo, exec_lo, s30
.LBB167_247:
	v_mul_lo_u32 v18, v14, s22
	v_mul_lo_u32 v21, v13, s23
	v_mad_u64_u32 v[19:20], null, v13, s22, 0
	s_and_not1_b32 vcc_lo, exec_lo, s7
	s_mov_b32 s2, 0
	s_delay_alu instid0(VALU_DEP_1)
	v_add3_u32 v24, v20, v21, v18
	s_cbranch_vccnz .LBB167_256
; %bb.248:
	s_delay_alu instid0(VALU_DEP_2) | instskip(NEXT) | instid1(VALU_DEP_2)
	v_add_co_u32 v20, vcc_lo, s8, v19
	v_add_co_ci_u32_e32 v21, vcc_lo, s9, v24, vcc_lo
	v_add_co_u32 v17, vcc_lo, s8, v17
	v_add_co_ci_u32_e32 v18, vcc_lo, s9, v25, vcc_lo
	s_mov_b32 s2, -1
	s_clause 0x1
	global_load_u8 v22, v[20:21], off
	global_load_u8 v23, v[17:18], off
	s_mov_b32 s30, exec_lo
	s_waitcnt vmcnt(0)
	v_cmpx_eq_u16_e64 v22, v23
	s_cbranch_execz .LBB167_255
; %bb.249:
	s_mov_b64 s[2:3], 1
	s_mov_b32 s31, 0
                                        ; implicit-def: $sgpr33
	s_set_inst_prefetch_distance 0x1
	s_branch .LBB167_252
	.p2align	6
.LBB167_250:                            ;   in Loop: Header=BB167_252 Depth=1
	v_add_co_u32 v22, vcc_lo, v20, s2
	v_add_co_ci_u32_e32 v23, vcc_lo, s3, v21, vcc_lo
	v_add_co_u32 v25, vcc_lo, v17, s2
	v_add_co_ci_u32_e32 v26, vcc_lo, s3, v18, vcc_lo
	s_add_u32 s4, s2, 1
	s_clause 0x1
	global_load_u8 v22, v[22:23], off
	global_load_u8 v23, v[25:26], off
	s_addc_u32 s5, s3, 0
	s_and_not1_b32 s33, s33, exec_lo
	s_waitcnt vmcnt(0)
	v_cmp_ne_u16_e32 vcc_lo, v22, v23
	s_and_b32 s34, vcc_lo, exec_lo
	s_delay_alu instid0(SALU_CYCLE_1)
	s_or_b32 s33, s33, s34
.LBB167_251:                            ;   in Loop: Header=BB167_252 Depth=1
	v_dual_mov_b32 v23, s3 :: v_dual_mov_b32 v22, s2
	s_and_b32 s34, exec_lo, s33
	s_mov_b64 s[2:3], s[4:5]
	s_or_b32 s31, s34, s31
	s_delay_alu instid0(SALU_CYCLE_1)
	s_and_not1_b32 exec_lo, exec_lo, s31
	s_cbranch_execz .LBB167_254
.LBB167_252:                            ; =>This Inner Loop Header: Depth=1
	s_or_b32 s33, s33, exec_lo
	s_cmp_eq_u64 s[22:23], s[2:3]
	s_cbranch_scc0 .LBB167_250
; %bb.253:                              ;   in Loop: Header=BB167_252 Depth=1
	s_mov_b64 s[2:3], s[22:23]
                                        ; implicit-def: $sgpr4_sgpr5
	s_branch .LBB167_251
.LBB167_254:
	s_set_inst_prefetch_distance 0x2
	s_or_b32 exec_lo, exec_lo, s31
	v_cmp_gt_i64_e32 vcc_lo, s[22:23], v[22:23]
	s_or_not1_b32 s2, vcc_lo, exec_lo
.LBB167_255:
	s_or_b32 exec_lo, exec_lo, s30
.LBB167_256:
	v_cndmask_b32_e64 v18, 0, 1, s29
	v_cndmask_b32_e64 v20, 0, 1, s27
	;; [unrolled: 1-line block ×7, first 2 shown]
	v_lshlrev_b16 v20, 8, v20
	v_lshlrev_b16 v21, 8, v21
	v_lshlrev_b16 v22, 8, v22
	v_lshlrev_b16 v18, 8, v18
	s_delay_alu instid0(VALU_DEP_4) | instskip(NEXT) | instid1(VALU_DEP_4)
	v_or_b32_e32 v20, v23, v20
	v_or_b32_e32 v21, v25, v21
	s_delay_alu instid0(VALU_DEP_4) | instskip(NEXT) | instid1(VALU_DEP_4)
	v_or_b32_e32 v22, 1, v22
	v_or_b32_e32 v17, v17, v18
	s_barrier
	v_and_b32_e32 v18, 0xffff, v20
	v_lshlrev_b32_e32 v20, 16, v21
	v_and_b32_e32 v21, 0xffff, v22
	v_lshlrev_b32_e32 v17, 16, v17
	buffer_gl0_inv
                                        ; implicit-def: $sgpr2
	s_mov_b32 s3, exec_lo
	v_or_b32_e32 v18, v18, v20
	v_or_b32_e32 v17, v21, v17
	v_cmpx_ne_u32_e32 0, v0
	s_xor_b32 s24, exec_lo, s3
	s_cbranch_execz .LBB167_267
; %bb.257:
	s_and_not1_b32 vcc_lo, exec_lo, s7
	s_mov_b32 s2, 0
	s_cbranch_vccnz .LBB167_266
; %bb.258:
	v_add_nc_u32_e32 v20, -8, v39
	s_mov_b32 s2, -1
	s_mov_b32 s25, exec_lo
	ds_load_b64 v[22:23], v20
	s_waitcnt lgkmcnt(0)
	v_mul_lo_u32 v25, v22, s23
	v_mul_lo_u32 v23, v23, s22
	v_mad_u64_u32 v[20:21], null, v22, s22, s[8:9]
	v_add_co_u32 v22, vcc_lo, s8, v19
	s_delay_alu instid0(VALU_DEP_2)
	v_add3_u32 v21, v23, v21, v25
	v_add_co_ci_u32_e32 v23, vcc_lo, s9, v24, vcc_lo
	s_clause 0x1
	global_load_u8 v19, v[20:21], off
	global_load_u8 v24, v[22:23], off
	s_waitcnt vmcnt(0)
	v_cmpx_eq_u16_e64 v19, v24
	s_cbranch_execz .LBB167_265
; %bb.259:
	s_mov_b64 s[2:3], 1
	s_mov_b32 s26, 0
                                        ; implicit-def: $sgpr27
	s_set_inst_prefetch_distance 0x1
	s_branch .LBB167_262
	.p2align	6
.LBB167_260:                            ;   in Loop: Header=BB167_262 Depth=1
	v_add_co_u32 v24, vcc_lo, v20, s2
	v_add_co_ci_u32_e32 v25, vcc_lo, s3, v21, vcc_lo
	v_add_co_u32 v26, vcc_lo, v22, s2
	v_add_co_ci_u32_e32 v27, vcc_lo, s3, v23, vcc_lo
	s_add_u32 s4, s2, 1
	s_clause 0x1
	global_load_u8 v19, v[24:25], off
	global_load_u8 v24, v[26:27], off
	s_addc_u32 s5, s3, 0
	s_and_not1_b32 s27, s27, exec_lo
	s_waitcnt vmcnt(0)
	v_cmp_ne_u16_e32 vcc_lo, v19, v24
	s_and_b32 s28, vcc_lo, exec_lo
	s_delay_alu instid0(SALU_CYCLE_1)
	s_or_b32 s27, s27, s28
.LBB167_261:                            ;   in Loop: Header=BB167_262 Depth=1
	v_dual_mov_b32 v25, s3 :: v_dual_mov_b32 v24, s2
	s_and_b32 s28, exec_lo, s27
	s_mov_b64 s[2:3], s[4:5]
	s_or_b32 s26, s28, s26
	s_delay_alu instid0(SALU_CYCLE_1)
	s_and_not1_b32 exec_lo, exec_lo, s26
	s_cbranch_execz .LBB167_264
.LBB167_262:                            ; =>This Inner Loop Header: Depth=1
	s_or_b32 s27, s27, exec_lo
	s_cmp_eq_u64 s[22:23], s[2:3]
	s_cbranch_scc0 .LBB167_260
; %bb.263:                              ;   in Loop: Header=BB167_262 Depth=1
	s_mov_b64 s[2:3], s[22:23]
                                        ; implicit-def: $sgpr4_sgpr5
	s_branch .LBB167_261
.LBB167_264:
	s_set_inst_prefetch_distance 0x2
	s_or_b32 exec_lo, exec_lo, s26
	v_cmp_gt_i64_e32 vcc_lo, s[22:23], v[24:25]
	s_or_not1_b32 s2, vcc_lo, exec_lo
.LBB167_265:
	s_or_b32 exec_lo, exec_lo, s25
.LBB167_266:
	s_delay_alu instid0(SALU_CYCLE_1)
	s_and_b32 s2, s2, exec_lo
	s_or_b32 s6, s6, exec_lo
.LBB167_267:
	s_or_b32 exec_lo, exec_lo, s24
	s_branch .LBB167_359
.LBB167_268:
	v_or_b32_e32 v17, 7, v39
	s_mov_b32 s24, 0
	s_mov_b32 s25, 0
	s_mov_b32 s26, exec_lo
	s_delay_alu instid0(VALU_DEP_1)
	v_cmpx_gt_u32_e64 s20, v17
	s_cbranch_execz .LBB167_279
; %bb.269:
	s_and_not1_b32 vcc_lo, exec_lo, s7
	s_mov_b32 s2, 0
	s_cbranch_vccnz .LBB167_278
; %bb.270:
	v_mad_u64_u32 v[17:18], null, v1, s22, s[8:9]
	s_waitcnt lgkmcnt(0)
	v_mul_lo_u32 v21, v1, s23
	v_mul_lo_u32 v22, v2, s22
	v_mad_u64_u32 v[19:20], null, v3, s22, s[8:9]
	v_mul_lo_u32 v23, v3, s23
	v_mul_lo_u32 v24, v4, s22
	s_mov_b32 s2, -1
	s_mov_b32 s25, exec_lo
	s_delay_alu instid0(VALU_DEP_4) | instskip(NEXT) | instid1(VALU_DEP_2)
	v_add3_u32 v18, v22, v18, v21
	v_add3_u32 v20, v24, v20, v23
	s_clause 0x1
	global_load_u8 v21, v[17:18], off
	global_load_u8 v22, v[19:20], off
	s_waitcnt vmcnt(0)
	v_cmpx_eq_u16_e64 v21, v22
	s_cbranch_execz .LBB167_277
; %bb.271:
	s_mov_b64 s[2:3], 1
	s_mov_b32 s27, 0
                                        ; implicit-def: $sgpr28
	s_set_inst_prefetch_distance 0x1
	s_branch .LBB167_274
	.p2align	6
.LBB167_272:                            ;   in Loop: Header=BB167_274 Depth=1
	v_add_co_u32 v21, vcc_lo, v17, s2
	v_add_co_ci_u32_e32 v22, vcc_lo, s3, v18, vcc_lo
	v_add_co_u32 v23, vcc_lo, v19, s2
	v_add_co_ci_u32_e32 v24, vcc_lo, s3, v20, vcc_lo
	s_add_u32 s4, s2, 1
	s_clause 0x1
	global_load_u8 v21, v[21:22], off
	global_load_u8 v22, v[23:24], off
	s_addc_u32 s5, s3, 0
	s_and_not1_b32 s28, s28, exec_lo
	s_waitcnt vmcnt(0)
	v_cmp_ne_u16_e32 vcc_lo, v21, v22
	s_and_b32 s29, vcc_lo, exec_lo
	s_delay_alu instid0(SALU_CYCLE_1)
	s_or_b32 s28, s28, s29
.LBB167_273:                            ;   in Loop: Header=BB167_274 Depth=1
	v_dual_mov_b32 v22, s3 :: v_dual_mov_b32 v21, s2
	s_and_b32 s29, exec_lo, s28
	s_mov_b64 s[2:3], s[4:5]
	s_or_b32 s27, s29, s27
	s_delay_alu instid0(SALU_CYCLE_1)
	s_and_not1_b32 exec_lo, exec_lo, s27
	s_cbranch_execz .LBB167_276
.LBB167_274:                            ; =>This Inner Loop Header: Depth=1
	s_or_b32 s28, s28, exec_lo
	s_cmp_eq_u64 s[22:23], s[2:3]
	s_cbranch_scc0 .LBB167_272
; %bb.275:                              ;   in Loop: Header=BB167_274 Depth=1
	s_mov_b64 s[2:3], s[22:23]
                                        ; implicit-def: $sgpr4_sgpr5
	s_branch .LBB167_273
.LBB167_276:
	s_set_inst_prefetch_distance 0x2
	s_or_b32 exec_lo, exec_lo, s27
	v_cmp_gt_i64_e32 vcc_lo, s[22:23], v[21:22]
	s_or_not1_b32 s2, vcc_lo, exec_lo
.LBB167_277:
	s_or_b32 exec_lo, exec_lo, s25
.LBB167_278:
	s_delay_alu instid0(SALU_CYCLE_1)
	s_and_b32 s25, s2, exec_lo
.LBB167_279:
	s_or_b32 exec_lo, exec_lo, s26
	v_or_b32_e32 v17, 6, v39
	s_mov_b32 s26, exec_lo
	s_delay_alu instid0(VALU_DEP_1)
	v_cmpx_gt_u32_e64 s20, v17
	s_cbranch_execz .LBB167_290
; %bb.280:
	s_and_not1_b32 vcc_lo, exec_lo, s7
	s_mov_b32 s2, 0
	s_cbranch_vccnz .LBB167_289
; %bb.281:
	v_mad_u64_u32 v[17:18], null, v7, s22, s[8:9]
	s_waitcnt lgkmcnt(0)
	v_mul_lo_u32 v21, v7, s23
	v_mul_lo_u32 v22, v8, s22
	v_mad_u64_u32 v[19:20], null, v1, s22, s[8:9]
	v_mul_lo_u32 v23, v1, s23
	v_mul_lo_u32 v24, v2, s22
	s_mov_b32 s2, -1
	s_mov_b32 s24, exec_lo
	s_delay_alu instid0(VALU_DEP_4) | instskip(NEXT) | instid1(VALU_DEP_2)
	v_add3_u32 v18, v22, v18, v21
	v_add3_u32 v20, v24, v20, v23
	s_clause 0x1
	global_load_u8 v21, v[17:18], off
	global_load_u8 v22, v[19:20], off
	s_waitcnt vmcnt(0)
	v_cmpx_eq_u16_e64 v21, v22
	s_cbranch_execz .LBB167_288
; %bb.282:
	s_mov_b64 s[2:3], 1
	s_mov_b32 s27, 0
                                        ; implicit-def: $sgpr28
	s_set_inst_prefetch_distance 0x1
	s_branch .LBB167_285
	.p2align	6
.LBB167_283:                            ;   in Loop: Header=BB167_285 Depth=1
	v_add_co_u32 v21, vcc_lo, v17, s2
	v_add_co_ci_u32_e32 v22, vcc_lo, s3, v18, vcc_lo
	v_add_co_u32 v23, vcc_lo, v19, s2
	v_add_co_ci_u32_e32 v24, vcc_lo, s3, v20, vcc_lo
	s_add_u32 s4, s2, 1
	s_clause 0x1
	global_load_u8 v21, v[21:22], off
	global_load_u8 v22, v[23:24], off
	s_addc_u32 s5, s3, 0
	s_and_not1_b32 s28, s28, exec_lo
	s_waitcnt vmcnt(0)
	v_cmp_ne_u16_e32 vcc_lo, v21, v22
	s_and_b32 s29, vcc_lo, exec_lo
	s_delay_alu instid0(SALU_CYCLE_1)
	s_or_b32 s28, s28, s29
.LBB167_284:                            ;   in Loop: Header=BB167_285 Depth=1
	v_dual_mov_b32 v22, s3 :: v_dual_mov_b32 v21, s2
	s_and_b32 s29, exec_lo, s28
	s_mov_b64 s[2:3], s[4:5]
	s_or_b32 s27, s29, s27
	s_delay_alu instid0(SALU_CYCLE_1)
	s_and_not1_b32 exec_lo, exec_lo, s27
	s_cbranch_execz .LBB167_287
.LBB167_285:                            ; =>This Inner Loop Header: Depth=1
	s_or_b32 s28, s28, exec_lo
	s_cmp_eq_u64 s[22:23], s[2:3]
	s_cbranch_scc0 .LBB167_283
; %bb.286:                              ;   in Loop: Header=BB167_285 Depth=1
	s_mov_b64 s[2:3], s[22:23]
                                        ; implicit-def: $sgpr4_sgpr5
	s_branch .LBB167_284
.LBB167_287:
	s_set_inst_prefetch_distance 0x2
	s_or_b32 exec_lo, exec_lo, s27
	v_cmp_gt_i64_e32 vcc_lo, s[22:23], v[21:22]
	s_or_not1_b32 s2, vcc_lo, exec_lo
.LBB167_288:
	s_or_b32 exec_lo, exec_lo, s24
.LBB167_289:
	s_delay_alu instid0(SALU_CYCLE_1)
	s_and_b32 s24, s2, exec_lo
.LBB167_290:
	s_or_b32 exec_lo, exec_lo, s26
	v_or_b32_e32 v17, 5, v39
	s_mov_b32 s26, 0
	s_mov_b32 s27, 0
	s_mov_b32 s28, exec_lo
	s_delay_alu instid0(VALU_DEP_1)
	v_cmpx_gt_u32_e64 s20, v17
	s_cbranch_execz .LBB167_301
; %bb.291:
	s_and_not1_b32 vcc_lo, exec_lo, s7
	s_mov_b32 s2, 0
	s_cbranch_vccnz .LBB167_300
; %bb.292:
	v_mad_u64_u32 v[17:18], null, v5, s22, s[8:9]
	s_waitcnt lgkmcnt(0)
	v_mul_lo_u32 v21, v5, s23
	v_mul_lo_u32 v22, v6, s22
	v_mad_u64_u32 v[19:20], null, v7, s22, s[8:9]
	v_mul_lo_u32 v23, v7, s23
	v_mul_lo_u32 v24, v8, s22
	s_mov_b32 s2, -1
	s_mov_b32 s27, exec_lo
	s_delay_alu instid0(VALU_DEP_4) | instskip(NEXT) | instid1(VALU_DEP_2)
	v_add3_u32 v18, v22, v18, v21
	v_add3_u32 v20, v24, v20, v23
	s_clause 0x1
	global_load_u8 v21, v[17:18], off
	global_load_u8 v22, v[19:20], off
	s_waitcnt vmcnt(0)
	v_cmpx_eq_u16_e64 v21, v22
	s_cbranch_execz .LBB167_299
; %bb.293:
	s_mov_b64 s[2:3], 1
	s_mov_b32 s29, 0
                                        ; implicit-def: $sgpr30
	s_set_inst_prefetch_distance 0x1
	s_branch .LBB167_296
	.p2align	6
.LBB167_294:                            ;   in Loop: Header=BB167_296 Depth=1
	v_add_co_u32 v21, vcc_lo, v17, s2
	v_add_co_ci_u32_e32 v22, vcc_lo, s3, v18, vcc_lo
	v_add_co_u32 v23, vcc_lo, v19, s2
	v_add_co_ci_u32_e32 v24, vcc_lo, s3, v20, vcc_lo
	s_add_u32 s4, s2, 1
	s_clause 0x1
	global_load_u8 v21, v[21:22], off
	global_load_u8 v22, v[23:24], off
	s_addc_u32 s5, s3, 0
	s_and_not1_b32 s30, s30, exec_lo
	s_waitcnt vmcnt(0)
	v_cmp_ne_u16_e32 vcc_lo, v21, v22
	s_and_b32 s31, vcc_lo, exec_lo
	s_delay_alu instid0(SALU_CYCLE_1)
	s_or_b32 s30, s30, s31
.LBB167_295:                            ;   in Loop: Header=BB167_296 Depth=1
	v_dual_mov_b32 v22, s3 :: v_dual_mov_b32 v21, s2
	s_and_b32 s31, exec_lo, s30
	s_mov_b64 s[2:3], s[4:5]
	s_or_b32 s29, s31, s29
	s_delay_alu instid0(SALU_CYCLE_1)
	s_and_not1_b32 exec_lo, exec_lo, s29
	s_cbranch_execz .LBB167_298
.LBB167_296:                            ; =>This Inner Loop Header: Depth=1
	s_or_b32 s30, s30, exec_lo
	s_cmp_eq_u64 s[22:23], s[2:3]
	s_cbranch_scc0 .LBB167_294
; %bb.297:                              ;   in Loop: Header=BB167_296 Depth=1
	s_mov_b64 s[2:3], s[22:23]
                                        ; implicit-def: $sgpr4_sgpr5
	s_branch .LBB167_295
.LBB167_298:
	s_set_inst_prefetch_distance 0x2
	s_or_b32 exec_lo, exec_lo, s29
	v_cmp_gt_i64_e32 vcc_lo, s[22:23], v[21:22]
	s_or_not1_b32 s2, vcc_lo, exec_lo
.LBB167_299:
	s_or_b32 exec_lo, exec_lo, s27
.LBB167_300:
	s_delay_alu instid0(SALU_CYCLE_1)
	s_and_b32 s27, s2, exec_lo
.LBB167_301:
	s_or_b32 exec_lo, exec_lo, s28
	v_or_b32_e32 v17, 4, v39
	s_mov_b32 s28, exec_lo
	s_delay_alu instid0(VALU_DEP_1)
	v_cmpx_gt_u32_e64 s20, v17
	s_cbranch_execz .LBB167_312
; %bb.302:
	s_and_not1_b32 vcc_lo, exec_lo, s7
	s_mov_b32 s2, 0
	s_cbranch_vccnz .LBB167_311
; %bb.303:
	v_mad_u64_u32 v[17:18], null, v11, s22, s[8:9]
	s_waitcnt lgkmcnt(0)
	v_mul_lo_u32 v21, v11, s23
	v_mul_lo_u32 v22, v12, s22
	v_mad_u64_u32 v[19:20], null, v5, s22, s[8:9]
	v_mul_lo_u32 v23, v5, s23
	v_mul_lo_u32 v24, v6, s22
	s_mov_b32 s2, -1
	s_mov_b32 s26, exec_lo
	s_delay_alu instid0(VALU_DEP_4) | instskip(NEXT) | instid1(VALU_DEP_2)
	v_add3_u32 v18, v22, v18, v21
	v_add3_u32 v20, v24, v20, v23
	s_clause 0x1
	global_load_u8 v21, v[17:18], off
	global_load_u8 v22, v[19:20], off
	s_waitcnt vmcnt(0)
	v_cmpx_eq_u16_e64 v21, v22
	s_cbranch_execz .LBB167_310
; %bb.304:
	s_mov_b64 s[2:3], 1
	s_mov_b32 s29, 0
                                        ; implicit-def: $sgpr30
	s_set_inst_prefetch_distance 0x1
	s_branch .LBB167_307
	.p2align	6
.LBB167_305:                            ;   in Loop: Header=BB167_307 Depth=1
	v_add_co_u32 v21, vcc_lo, v17, s2
	v_add_co_ci_u32_e32 v22, vcc_lo, s3, v18, vcc_lo
	v_add_co_u32 v23, vcc_lo, v19, s2
	v_add_co_ci_u32_e32 v24, vcc_lo, s3, v20, vcc_lo
	s_add_u32 s4, s2, 1
	s_clause 0x1
	global_load_u8 v21, v[21:22], off
	global_load_u8 v22, v[23:24], off
	s_addc_u32 s5, s3, 0
	s_and_not1_b32 s30, s30, exec_lo
	s_waitcnt vmcnt(0)
	v_cmp_ne_u16_e32 vcc_lo, v21, v22
	s_and_b32 s31, vcc_lo, exec_lo
	s_delay_alu instid0(SALU_CYCLE_1)
	s_or_b32 s30, s30, s31
.LBB167_306:                            ;   in Loop: Header=BB167_307 Depth=1
	v_dual_mov_b32 v22, s3 :: v_dual_mov_b32 v21, s2
	s_and_b32 s31, exec_lo, s30
	s_mov_b64 s[2:3], s[4:5]
	s_or_b32 s29, s31, s29
	s_delay_alu instid0(SALU_CYCLE_1)
	s_and_not1_b32 exec_lo, exec_lo, s29
	s_cbranch_execz .LBB167_309
.LBB167_307:                            ; =>This Inner Loop Header: Depth=1
	s_or_b32 s30, s30, exec_lo
	s_cmp_eq_u64 s[22:23], s[2:3]
	s_cbranch_scc0 .LBB167_305
; %bb.308:                              ;   in Loop: Header=BB167_307 Depth=1
	s_mov_b64 s[2:3], s[22:23]
                                        ; implicit-def: $sgpr4_sgpr5
	s_branch .LBB167_306
.LBB167_309:
	s_set_inst_prefetch_distance 0x2
	s_or_b32 exec_lo, exec_lo, s29
	v_cmp_gt_i64_e32 vcc_lo, s[22:23], v[21:22]
	s_or_not1_b32 s2, vcc_lo, exec_lo
.LBB167_310:
	s_or_b32 exec_lo, exec_lo, s26
.LBB167_311:
	s_delay_alu instid0(SALU_CYCLE_1)
	s_and_b32 s26, s2, exec_lo
.LBB167_312:
	s_or_b32 exec_lo, exec_lo, s28
	v_or_b32_e32 v17, 3, v39
	s_mov_b32 s29, 0
	s_mov_b32 s28, 0
	s_mov_b32 s30, exec_lo
	s_delay_alu instid0(VALU_DEP_1)
	v_cmpx_gt_u32_e64 s20, v17
	s_cbranch_execz .LBB167_323
; %bb.313:
	s_and_not1_b32 vcc_lo, exec_lo, s7
	s_mov_b32 s2, 0
	s_cbranch_vccnz .LBB167_322
; %bb.314:
	v_mad_u64_u32 v[17:18], null, v9, s22, s[8:9]
	s_waitcnt lgkmcnt(0)
	v_mul_lo_u32 v21, v9, s23
	v_mul_lo_u32 v22, v10, s22
	v_mad_u64_u32 v[19:20], null, v11, s22, s[8:9]
	v_mul_lo_u32 v23, v11, s23
	v_mul_lo_u32 v24, v12, s22
	s_mov_b32 s2, -1
	s_mov_b32 s28, exec_lo
	s_delay_alu instid0(VALU_DEP_4) | instskip(NEXT) | instid1(VALU_DEP_2)
	v_add3_u32 v18, v22, v18, v21
	v_add3_u32 v20, v24, v20, v23
	s_clause 0x1
	global_load_u8 v21, v[17:18], off
	global_load_u8 v22, v[19:20], off
	s_waitcnt vmcnt(0)
	v_cmpx_eq_u16_e64 v21, v22
	s_cbranch_execz .LBB167_321
; %bb.315:
	s_mov_b64 s[2:3], 1
	s_mov_b32 s31, 0
                                        ; implicit-def: $sgpr33
	s_set_inst_prefetch_distance 0x1
	s_branch .LBB167_318
	.p2align	6
.LBB167_316:                            ;   in Loop: Header=BB167_318 Depth=1
	v_add_co_u32 v21, vcc_lo, v17, s2
	v_add_co_ci_u32_e32 v22, vcc_lo, s3, v18, vcc_lo
	v_add_co_u32 v23, vcc_lo, v19, s2
	v_add_co_ci_u32_e32 v24, vcc_lo, s3, v20, vcc_lo
	s_add_u32 s4, s2, 1
	s_clause 0x1
	global_load_u8 v21, v[21:22], off
	global_load_u8 v22, v[23:24], off
	s_addc_u32 s5, s3, 0
	s_and_not1_b32 s33, s33, exec_lo
	s_waitcnt vmcnt(0)
	v_cmp_ne_u16_e32 vcc_lo, v21, v22
	s_and_b32 s34, vcc_lo, exec_lo
	s_delay_alu instid0(SALU_CYCLE_1)
	s_or_b32 s33, s33, s34
.LBB167_317:                            ;   in Loop: Header=BB167_318 Depth=1
	v_dual_mov_b32 v22, s3 :: v_dual_mov_b32 v21, s2
	s_and_b32 s34, exec_lo, s33
	s_mov_b64 s[2:3], s[4:5]
	s_or_b32 s31, s34, s31
	s_delay_alu instid0(SALU_CYCLE_1)
	s_and_not1_b32 exec_lo, exec_lo, s31
	s_cbranch_execz .LBB167_320
.LBB167_318:                            ; =>This Inner Loop Header: Depth=1
	s_or_b32 s33, s33, exec_lo
	s_cmp_eq_u64 s[22:23], s[2:3]
	s_cbranch_scc0 .LBB167_316
; %bb.319:                              ;   in Loop: Header=BB167_318 Depth=1
	s_mov_b64 s[2:3], s[22:23]
                                        ; implicit-def: $sgpr4_sgpr5
	s_branch .LBB167_317
.LBB167_320:
	s_set_inst_prefetch_distance 0x2
	s_or_b32 exec_lo, exec_lo, s31
	v_cmp_gt_i64_e32 vcc_lo, s[22:23], v[21:22]
	s_or_not1_b32 s2, vcc_lo, exec_lo
.LBB167_321:
	s_or_b32 exec_lo, exec_lo, s28
.LBB167_322:
	s_delay_alu instid0(SALU_CYCLE_1)
	s_and_b32 s28, s2, exec_lo
.LBB167_323:
	s_or_b32 exec_lo, exec_lo, s30
	v_or_b32_e32 v17, 2, v39
	s_mov_b32 s30, exec_lo
	s_delay_alu instid0(VALU_DEP_1)
	v_cmpx_gt_u32_e64 s20, v17
	s_cbranch_execz .LBB167_334
; %bb.324:
	s_and_not1_b32 vcc_lo, exec_lo, s7
	s_mov_b32 s2, 0
	s_cbranch_vccnz .LBB167_333
; %bb.325:
	v_mad_u64_u32 v[17:18], null, v15, s22, s[8:9]
	s_waitcnt lgkmcnt(0)
	v_mul_lo_u32 v21, v15, s23
	v_mul_lo_u32 v22, v16, s22
	v_mad_u64_u32 v[19:20], null, v9, s22, s[8:9]
	v_mul_lo_u32 v23, v9, s23
	v_mul_lo_u32 v24, v10, s22
	s_mov_b32 s2, -1
	s_mov_b32 s29, exec_lo
	s_delay_alu instid0(VALU_DEP_4) | instskip(NEXT) | instid1(VALU_DEP_2)
	v_add3_u32 v18, v22, v18, v21
	v_add3_u32 v20, v24, v20, v23
	s_clause 0x1
	global_load_u8 v21, v[17:18], off
	global_load_u8 v22, v[19:20], off
	s_waitcnt vmcnt(0)
	v_cmpx_eq_u16_e64 v21, v22
	s_cbranch_execz .LBB167_332
; %bb.326:
	s_mov_b64 s[2:3], 1
	s_mov_b32 s31, 0
                                        ; implicit-def: $sgpr33
	s_set_inst_prefetch_distance 0x1
	s_branch .LBB167_329
	.p2align	6
.LBB167_327:                            ;   in Loop: Header=BB167_329 Depth=1
	v_add_co_u32 v21, vcc_lo, v17, s2
	v_add_co_ci_u32_e32 v22, vcc_lo, s3, v18, vcc_lo
	v_add_co_u32 v23, vcc_lo, v19, s2
	v_add_co_ci_u32_e32 v24, vcc_lo, s3, v20, vcc_lo
	s_add_u32 s4, s2, 1
	s_clause 0x1
	global_load_u8 v21, v[21:22], off
	global_load_u8 v22, v[23:24], off
	s_addc_u32 s5, s3, 0
	s_and_not1_b32 s33, s33, exec_lo
	s_waitcnt vmcnt(0)
	v_cmp_ne_u16_e32 vcc_lo, v21, v22
	s_and_b32 s34, vcc_lo, exec_lo
	s_delay_alu instid0(SALU_CYCLE_1)
	s_or_b32 s33, s33, s34
.LBB167_328:                            ;   in Loop: Header=BB167_329 Depth=1
	v_dual_mov_b32 v22, s3 :: v_dual_mov_b32 v21, s2
	s_and_b32 s34, exec_lo, s33
	s_mov_b64 s[2:3], s[4:5]
	s_or_b32 s31, s34, s31
	s_delay_alu instid0(SALU_CYCLE_1)
	s_and_not1_b32 exec_lo, exec_lo, s31
	s_cbranch_execz .LBB167_331
.LBB167_329:                            ; =>This Inner Loop Header: Depth=1
	s_or_b32 s33, s33, exec_lo
	s_cmp_eq_u64 s[22:23], s[2:3]
	s_cbranch_scc0 .LBB167_327
; %bb.330:                              ;   in Loop: Header=BB167_329 Depth=1
	s_mov_b64 s[2:3], s[22:23]
                                        ; implicit-def: $sgpr4_sgpr5
	s_branch .LBB167_328
.LBB167_331:
	s_set_inst_prefetch_distance 0x2
	s_or_b32 exec_lo, exec_lo, s31
	v_cmp_gt_i64_e32 vcc_lo, s[22:23], v[21:22]
	s_or_not1_b32 s2, vcc_lo, exec_lo
.LBB167_332:
	s_or_b32 exec_lo, exec_lo, s29
.LBB167_333:
	s_delay_alu instid0(SALU_CYCLE_1)
	s_and_b32 s29, s2, exec_lo
.LBB167_334:
	s_or_b32 exec_lo, exec_lo, s30
	v_or_b32_e32 v17, 1, v39
	s_mov_b32 s2, 0
	s_mov_b32 s30, exec_lo
	s_delay_alu instid0(VALU_DEP_1)
	v_cmpx_gt_u32_e64 s20, v17
	s_cbranch_execz .LBB167_345
; %bb.335:
	s_and_not1_b32 vcc_lo, exec_lo, s7
	s_cbranch_vccnz .LBB167_344
; %bb.336:
	v_mad_u64_u32 v[17:18], null, v13, s22, s[8:9]
	s_waitcnt lgkmcnt(0)
	v_mul_lo_u32 v21, v13, s23
	v_mul_lo_u32 v22, v14, s22
	v_mad_u64_u32 v[19:20], null, v15, s22, s[8:9]
	v_mul_lo_u32 v23, v15, s23
	v_mul_lo_u32 v24, v16, s22
	s_mov_b32 s2, -1
	s_mov_b32 s31, exec_lo
	s_delay_alu instid0(VALU_DEP_4) | instskip(NEXT) | instid1(VALU_DEP_2)
	v_add3_u32 v18, v22, v18, v21
	v_add3_u32 v20, v24, v20, v23
	s_clause 0x1
	global_load_u8 v21, v[17:18], off
	global_load_u8 v22, v[19:20], off
	s_waitcnt vmcnt(0)
	v_cmpx_eq_u16_e64 v21, v22
	s_cbranch_execz .LBB167_343
; %bb.337:
	s_mov_b64 s[2:3], 1
	s_mov_b32 s33, 0
                                        ; implicit-def: $sgpr34
	s_set_inst_prefetch_distance 0x1
	s_branch .LBB167_340
	.p2align	6
.LBB167_338:                            ;   in Loop: Header=BB167_340 Depth=1
	v_add_co_u32 v21, vcc_lo, v17, s2
	v_add_co_ci_u32_e32 v22, vcc_lo, s3, v18, vcc_lo
	v_add_co_u32 v23, vcc_lo, v19, s2
	v_add_co_ci_u32_e32 v24, vcc_lo, s3, v20, vcc_lo
	s_add_u32 s4, s2, 1
	s_clause 0x1
	global_load_u8 v21, v[21:22], off
	global_load_u8 v22, v[23:24], off
	s_addc_u32 s5, s3, 0
	s_and_not1_b32 s34, s34, exec_lo
	s_waitcnt vmcnt(0)
	v_cmp_ne_u16_e32 vcc_lo, v21, v22
	s_and_b32 s35, vcc_lo, exec_lo
	s_delay_alu instid0(SALU_CYCLE_1)
	s_or_b32 s34, s34, s35
.LBB167_339:                            ;   in Loop: Header=BB167_340 Depth=1
	v_dual_mov_b32 v22, s3 :: v_dual_mov_b32 v21, s2
	s_and_b32 s35, exec_lo, s34
	s_mov_b64 s[2:3], s[4:5]
	s_or_b32 s33, s35, s33
	s_delay_alu instid0(SALU_CYCLE_1)
	s_and_not1_b32 exec_lo, exec_lo, s33
	s_cbranch_execz .LBB167_342
.LBB167_340:                            ; =>This Inner Loop Header: Depth=1
	s_or_b32 s34, s34, exec_lo
	s_cmp_eq_u64 s[22:23], s[2:3]
	s_cbranch_scc0 .LBB167_338
; %bb.341:                              ;   in Loop: Header=BB167_340 Depth=1
	s_mov_b64 s[2:3], s[22:23]
                                        ; implicit-def: $sgpr4_sgpr5
	s_branch .LBB167_339
.LBB167_342:
	s_set_inst_prefetch_distance 0x2
	s_or_b32 exec_lo, exec_lo, s33
	v_cmp_gt_i64_e32 vcc_lo, s[22:23], v[21:22]
	s_or_not1_b32 s2, vcc_lo, exec_lo
.LBB167_343:
	s_or_b32 exec_lo, exec_lo, s31
.LBB167_344:
	s_delay_alu instid0(SALU_CYCLE_1)
	s_and_b32 s2, s2, exec_lo
.LBB167_345:
	s_or_b32 exec_lo, exec_lo, s30
	v_cndmask_b32_e64 v18, 0, 1, s28
	s_waitcnt lgkmcnt(0)
	v_cndmask_b32_e64 v19, 0, 1, s27
	v_cndmask_b32_e64 v20, 0, 1, s25
	;; [unrolled: 1-line block ×6, first 2 shown]
	v_lshlrev_b16 v19, 8, v19
	v_lshlrev_b16 v20, 8, v20
	v_lshlrev_b16 v21, 8, v21
	v_lshlrev_b16 v18, 8, v18
	s_mov_b32 s24, exec_lo
	v_or_b32_e32 v19, v22, v19
	v_or_b32_e32 v20, v23, v20
	v_or_b32_e32 v21, 1, v21
	v_or_b32_e32 v17, v17, v18
	s_delay_alu instid0(VALU_DEP_4) | instskip(NEXT) | instid1(VALU_DEP_4)
	v_and_b32_e32 v18, 0xffff, v19
	v_lshlrev_b32_e32 v19, 16, v20
	s_delay_alu instid0(VALU_DEP_4) | instskip(NEXT) | instid1(VALU_DEP_4)
	v_and_b32_e32 v20, 0xffff, v21
	v_lshlrev_b32_e32 v17, 16, v17
	s_barrier
	buffer_gl0_inv
	v_or_b32_e32 v18, v18, v19
                                        ; implicit-def: $sgpr2
	v_or_b32_e32 v17, v20, v17
	v_cmpx_ne_u32_e32 0, v0
	s_cbranch_execz .LBB167_358
; %bb.346:
	s_mov_b32 s2, 0
	s_mov_b32 s25, exec_lo
	v_cmpx_gt_u32_e64 s20, v39
	s_cbranch_execz .LBB167_357
; %bb.347:
	s_and_not1_b32 vcc_lo, exec_lo, s7
	s_cbranch_vccnz .LBB167_356
; %bb.348:
	v_add_nc_u32_e32 v19, -8, v39
	v_mul_lo_u32 v25, v13, s23
	s_mov_b32 s2, -1
	s_mov_b32 s7, exec_lo
	ds_load_b64 v[23:24], v19
	v_mad_u64_u32 v[19:20], null, v13, s22, s[8:9]
	s_waitcnt lgkmcnt(0)
	v_mul_lo_u32 v26, v23, s23
	v_mul_lo_u32 v24, v24, s22
	v_mad_u64_u32 v[21:22], null, v23, s22, s[8:9]
	v_mul_lo_u32 v23, v14, s22
	s_delay_alu instid0(VALU_DEP_2) | instskip(NEXT) | instid1(VALU_DEP_2)
	v_add3_u32 v22, v24, v22, v26
	v_add3_u32 v20, v23, v20, v25
	s_clause 0x1
	global_load_u8 v23, v[21:22], off
	global_load_u8 v24, v[19:20], off
	s_waitcnt vmcnt(0)
	v_cmpx_eq_u16_e64 v23, v24
	s_cbranch_execz .LBB167_355
; %bb.349:
	s_mov_b64 s[2:3], 1
	s_mov_b32 s8, 0
                                        ; implicit-def: $sgpr9
	s_set_inst_prefetch_distance 0x1
	s_branch .LBB167_352
	.p2align	6
.LBB167_350:                            ;   in Loop: Header=BB167_352 Depth=1
	v_add_co_u32 v23, vcc_lo, v21, s2
	v_add_co_ci_u32_e32 v24, vcc_lo, s3, v22, vcc_lo
	v_add_co_u32 v25, vcc_lo, v19, s2
	v_add_co_ci_u32_e32 v26, vcc_lo, s3, v20, vcc_lo
	s_add_u32 s4, s2, 1
	s_clause 0x1
	global_load_u8 v23, v[23:24], off
	global_load_u8 v24, v[25:26], off
	s_addc_u32 s5, s3, 0
	s_and_not1_b32 s9, s9, exec_lo
	s_waitcnt vmcnt(0)
	v_cmp_ne_u16_e32 vcc_lo, v23, v24
	s_and_b32 s26, vcc_lo, exec_lo
	s_delay_alu instid0(SALU_CYCLE_1)
	s_or_b32 s9, s9, s26
.LBB167_351:                            ;   in Loop: Header=BB167_352 Depth=1
	v_dual_mov_b32 v24, s3 :: v_dual_mov_b32 v23, s2
	s_and_b32 s26, exec_lo, s9
	s_mov_b64 s[2:3], s[4:5]
	s_or_b32 s8, s26, s8
	s_delay_alu instid0(SALU_CYCLE_1)
	s_and_not1_b32 exec_lo, exec_lo, s8
	s_cbranch_execz .LBB167_354
.LBB167_352:                            ; =>This Inner Loop Header: Depth=1
	s_or_b32 s9, s9, exec_lo
	s_cmp_eq_u64 s[22:23], s[2:3]
	s_cbranch_scc0 .LBB167_350
; %bb.353:                              ;   in Loop: Header=BB167_352 Depth=1
	s_mov_b64 s[2:3], s[22:23]
                                        ; implicit-def: $sgpr4_sgpr5
	s_branch .LBB167_351
.LBB167_354:
	s_set_inst_prefetch_distance 0x2
	s_or_b32 exec_lo, exec_lo, s8
	v_cmp_gt_i64_e32 vcc_lo, s[22:23], v[23:24]
	s_or_not1_b32 s2, vcc_lo, exec_lo
.LBB167_355:
	s_or_b32 exec_lo, exec_lo, s7
.LBB167_356:
	s_delay_alu instid0(SALU_CYCLE_1)
	s_and_b32 s2, s2, exec_lo
.LBB167_357:
	s_or_b32 exec_lo, exec_lo, s25
	s_delay_alu instid0(SALU_CYCLE_1)
	s_and_b32 s2, s2, exec_lo
	s_or_b32 s6, s6, exec_lo
.LBB167_358:
	s_or_b32 exec_lo, exec_lo, s24
.LBB167_359:
	s_and_saveexec_b32 s3, s6
	s_cbranch_execz .LBB167_361
; %bb.360:
	s_waitcnt lgkmcnt(0)
	v_and_b32_e32 v19, 0xffffff00, v17
	v_cndmask_b32_e64 v20, 0, 1, s2
	s_delay_alu instid0(VALU_DEP_1) | instskip(NEXT) | instid1(VALU_DEP_1)
	v_or_b32_e32 v19, v20, v19
	v_and_b32_e32 v19, 0xffff, v19
	s_delay_alu instid0(VALU_DEP_1)
	v_and_or_b32 v17, 0xffff0000, v17, v19
.LBB167_361:
	s_or_b32 exec_lo, exec_lo, s3
	s_delay_alu instid0(SALU_CYCLE_1)
	s_and_not1_b32 vcc_lo, exec_lo, s19
	s_cbranch_vccnz .LBB167_363
; %bb.362:
	v_cmp_gt_u32_e32 vcc_lo, s20, v39
	s_waitcnt lgkmcnt(0)
	v_or_b32_e32 v20, 1, v39
	v_and_b32_e32 v21, 0xffffff00, v18
	v_or_b32_e32 v22, 2, v39
	v_cndmask_b32_e32 v19, 0, v17, vcc_lo
	s_delay_alu instid0(VALU_DEP_4) | instskip(SKIP_1) | instid1(VALU_DEP_4)
	v_cmp_gt_u32_e32 vcc_lo, s20, v20
	v_or_b32_e32 v20, 4, v39
	v_cmp_gt_u32_e64 s2, s20, v22
	v_or_b32_e32 v22, 3, v39
	v_and_b32_e32 v19, 0xff, v19
	s_delay_alu instid0(VALU_DEP_2) | instskip(NEXT) | instid1(VALU_DEP_2)
	v_cmp_gt_u32_e64 s3, s20, v22
	v_cndmask_b32_e32 v19, v19, v17, vcc_lo
	v_cmp_gt_u32_e32 vcc_lo, s20, v20
	v_cndmask_b32_e32 v20, v21, v18, vcc_lo
	v_or_b32_e32 v21, 5, v39
	s_delay_alu instid0(VALU_DEP_2) | instskip(SKIP_1) | instid1(VALU_DEP_1)
	v_and_b32_e32 v20, 0xffff00ff, v20
	v_and_b32_e32 v19, 0xffff, v19
	v_cndmask_b32_e64 v19, v19, v17, s2
	s_delay_alu instid0(VALU_DEP_4) | instskip(SKIP_1) | instid1(VALU_DEP_3)
	v_cmp_gt_u32_e64 s2, s20, v21
	v_or_b32_e32 v21, 6, v39
	v_and_b32_e32 v19, 0xffffff, v19
	s_delay_alu instid0(VALU_DEP_3) | instskip(NEXT) | instid1(VALU_DEP_2)
	v_cndmask_b32_e64 v20, v20, v18, s2
	v_cndmask_b32_e64 v19, v19, v17, s3
	s_delay_alu instid0(VALU_DEP_1) | instskip(SKIP_2) | instid1(VALU_DEP_3)
	v_dual_cndmask_b32 v19, v19, v17 :: v_dual_and_b32 v20, 0xff00ffff, v20
	v_cmp_gt_u32_e32 vcc_lo, s20, v21
	v_or_b32_e32 v21, 7, v39
	v_cndmask_b32_e64 v19, v19, v17, s2
	s_delay_alu instid0(VALU_DEP_1) | instskip(NEXT) | instid1(VALU_DEP_1)
	v_dual_cndmask_b32 v20, v20, v18 :: v_dual_cndmask_b32 v19, v19, v17
	v_and_b32_e32 v20, 0xffffff, v20
	s_delay_alu instid0(VALU_DEP_4) | instskip(NEXT) | instid1(VALU_DEP_2)
	v_cmp_gt_u32_e32 vcc_lo, s20, v21
	v_dual_cndmask_b32 v18, v20, v18 :: v_dual_cndmask_b32 v17, v19, v17
.LBB167_363:
	s_delay_alu instid0(VALU_DEP_1) | instskip(SKIP_1) | instid1(VALU_DEP_2)
	v_and_b32_e32 v26, 0xff, v17
	s_waitcnt lgkmcnt(0)
	v_alignbit_b32 v19, v18, v17, 24
	v_bfe_u32 v28, v17, 8, 8
	v_bfe_u32 v30, v17, 16, 8
	v_and_b32_e32 v34, 0xff, v18
	v_bfe_u32 v36, v18, 8, 8
	v_and_b32_e32 v32, 0xff, v19
	v_add_nc_u32_e32 v19, v28, v26
	v_mbcnt_lo_u32_b32 v41, -1, 0
	v_bfe_u32 v38, v18, 16, 8
	v_lshrrev_b32_e32 v40, 24, v18
	v_lshrrev_b32_e32 v42, 5, v0
	v_add3_u32 v19, v19, v30, v32
	v_and_b32_e32 v20, 15, v41
	v_and_b32_e32 v21, 16, v41
	s_and_b32 vcc_lo, exec_lo, s21
	s_mov_b32 s19, -1
	v_add3_u32 v19, v19, v34, v36
	v_cmp_eq_u32_e64 s4, 0, v20
	v_cmp_lt_u32_e64 s2, 1, v20
	v_cmp_lt_u32_e64 s5, 3, v20
	;; [unrolled: 1-line block ×3, first 2 shown]
	v_add3_u32 v43, v19, v38, v40
	v_or_b32_e32 v19, 31, v0
	v_cmp_eq_u32_e64 s7, 0, v21
	s_barrier
	buffer_gl0_inv
	v_cmp_eq_u32_e64 s6, v19, v0
	s_cbranch_vccz .LBB167_389
; %bb.364:
	v_mov_b32_dpp v19, v43 row_shr:1 row_mask:0xf bank_mask:0xf
	s_delay_alu instid0(VALU_DEP_1) | instskip(NEXT) | instid1(VALU_DEP_1)
	v_cndmask_b32_e64 v19, v19, 0, s4
	v_add_nc_u32_e32 v19, v19, v43
	s_delay_alu instid0(VALU_DEP_1) | instskip(NEXT) | instid1(VALU_DEP_1)
	v_mov_b32_dpp v20, v19 row_shr:2 row_mask:0xf bank_mask:0xf
	v_cndmask_b32_e64 v20, 0, v20, s2
	s_delay_alu instid0(VALU_DEP_1) | instskip(NEXT) | instid1(VALU_DEP_1)
	v_add_nc_u32_e32 v19, v19, v20
	v_mov_b32_dpp v20, v19 row_shr:4 row_mask:0xf bank_mask:0xf
	s_delay_alu instid0(VALU_DEP_1) | instskip(NEXT) | instid1(VALU_DEP_1)
	v_cndmask_b32_e64 v20, 0, v20, s5
	v_add_nc_u32_e32 v19, v19, v20
	s_delay_alu instid0(VALU_DEP_1) | instskip(NEXT) | instid1(VALU_DEP_1)
	v_mov_b32_dpp v20, v19 row_shr:8 row_mask:0xf bank_mask:0xf
	v_cndmask_b32_e64 v20, 0, v20, s3
	s_delay_alu instid0(VALU_DEP_1) | instskip(SKIP_3) | instid1(VALU_DEP_1)
	v_add_nc_u32_e32 v19, v19, v20
	ds_swizzle_b32 v20, v19 offset:swizzle(BROADCAST,32,15)
	s_waitcnt lgkmcnt(0)
	v_cndmask_b32_e64 v20, v20, 0, s7
	v_add_nc_u32_e32 v19, v19, v20
	s_and_saveexec_b32 s8, s6
	s_cbranch_execz .LBB167_366
; %bb.365:
	v_lshlrev_b32_e32 v20, 2, v42
	ds_store_b32 v20, v19
.LBB167_366:
	s_or_b32 exec_lo, exec_lo, s8
	s_delay_alu instid0(SALU_CYCLE_1)
	s_mov_b32 s8, exec_lo
	s_waitcnt lgkmcnt(0)
	s_barrier
	buffer_gl0_inv
	v_cmpx_gt_u32_e32 16, v0
	s_cbranch_execz .LBB167_368
; %bb.367:
	v_lshlrev_b32_e32 v20, 2, v0
	ds_load_b32 v21, v20
	s_waitcnt lgkmcnt(0)
	v_mov_b32_dpp v22, v21 row_shr:1 row_mask:0xf bank_mask:0xf
	s_delay_alu instid0(VALU_DEP_1) | instskip(NEXT) | instid1(VALU_DEP_1)
	v_cndmask_b32_e64 v22, v22, 0, s4
	v_add_nc_u32_e32 v21, v22, v21
	s_delay_alu instid0(VALU_DEP_1) | instskip(NEXT) | instid1(VALU_DEP_1)
	v_mov_b32_dpp v22, v21 row_shr:2 row_mask:0xf bank_mask:0xf
	v_cndmask_b32_e64 v22, 0, v22, s2
	s_delay_alu instid0(VALU_DEP_1) | instskip(NEXT) | instid1(VALU_DEP_1)
	v_add_nc_u32_e32 v21, v21, v22
	v_mov_b32_dpp v22, v21 row_shr:4 row_mask:0xf bank_mask:0xf
	s_delay_alu instid0(VALU_DEP_1) | instskip(NEXT) | instid1(VALU_DEP_1)
	v_cndmask_b32_e64 v22, 0, v22, s5
	v_add_nc_u32_e32 v21, v21, v22
	s_delay_alu instid0(VALU_DEP_1) | instskip(NEXT) | instid1(VALU_DEP_1)
	v_mov_b32_dpp v22, v21 row_shr:8 row_mask:0xf bank_mask:0xf
	v_cndmask_b32_e64 v22, 0, v22, s3
	s_delay_alu instid0(VALU_DEP_1)
	v_add_nc_u32_e32 v21, v21, v22
	ds_store_b32 v20, v21
.LBB167_368:
	s_or_b32 exec_lo, exec_lo, s8
	v_cmp_gt_u32_e32 vcc_lo, 32, v0
	s_mov_b32 s9, exec_lo
	s_waitcnt lgkmcnt(0)
	s_barrier
	buffer_gl0_inv
                                        ; implicit-def: $vgpr27
	v_cmpx_lt_u32_e32 31, v0
	s_cbranch_execz .LBB167_370
; %bb.369:
	v_lshl_add_u32 v20, v42, 2, -4
	ds_load_b32 v27, v20
	s_waitcnt lgkmcnt(0)
	v_add_nc_u32_e32 v19, v27, v19
.LBB167_370:
	s_or_b32 exec_lo, exec_lo, s9
	v_add_nc_u32_e32 v20, -1, v41
	s_delay_alu instid0(VALU_DEP_1) | instskip(NEXT) | instid1(VALU_DEP_1)
	v_cmp_gt_i32_e64 s8, 0, v20
	v_cndmask_b32_e64 v20, v20, v41, s8
	v_cmp_eq_u32_e64 s8, 0, v41
	s_delay_alu instid0(VALU_DEP_2)
	v_lshlrev_b32_e32 v20, 2, v20
	ds_bpermute_b32 v29, v20, v19
	s_and_saveexec_b32 s9, vcc_lo
	s_cbranch_execz .LBB167_388
; %bb.371:
	v_mov_b32_e32 v22, 0
	ds_load_b32 v19, v22 offset:60
	s_and_saveexec_b32 s19, s8
	s_cbranch_execz .LBB167_373
; %bb.372:
	s_add_i32 s20, s15, 32
	s_mov_b32 s21, 0
	v_mov_b32_e32 v20, 1
	s_lshl_b64 s[20:21], s[20:21], 3
	s_delay_alu instid0(SALU_CYCLE_1)
	s_add_u32 s20, s10, s20
	s_addc_u32 s21, s11, s21
	s_waitcnt lgkmcnt(0)
	global_store_b64 v22, v[19:20], s[20:21]
.LBB167_373:
	s_or_b32 exec_lo, exec_lo, s19
	v_xad_u32 v20, v41, -1, s15
	s_mov_b32 s20, 0
	s_mov_b32 s19, exec_lo
	s_delay_alu instid0(VALU_DEP_1) | instskip(NEXT) | instid1(VALU_DEP_1)
	v_add_nc_u32_e32 v21, 32, v20
	v_lshlrev_b64 v[21:22], 3, v[21:22]
	s_delay_alu instid0(VALU_DEP_1) | instskip(NEXT) | instid1(VALU_DEP_2)
	v_add_co_u32 v24, vcc_lo, s10, v21
	v_add_co_ci_u32_e32 v25, vcc_lo, s11, v22, vcc_lo
	global_load_b64 v[22:23], v[24:25], off glc
	s_waitcnt vmcnt(0)
	v_and_b32_e32 v21, 0xff, v23
	s_delay_alu instid0(VALU_DEP_1)
	v_cmpx_eq_u16_e32 0, v21
	s_cbranch_execz .LBB167_376
.LBB167_374:                            ; =>This Inner Loop Header: Depth=1
	global_load_b64 v[22:23], v[24:25], off glc
	s_waitcnt vmcnt(0)
	v_and_b32_e32 v21, 0xff, v23
	s_delay_alu instid0(VALU_DEP_1) | instskip(SKIP_1) | instid1(SALU_CYCLE_1)
	v_cmp_ne_u16_e32 vcc_lo, 0, v21
	s_or_b32 s20, vcc_lo, s20
	s_and_not1_b32 exec_lo, exec_lo, s20
	s_cbranch_execnz .LBB167_374
; %bb.375:
	s_or_b32 exec_lo, exec_lo, s20
.LBB167_376:
	s_delay_alu instid0(SALU_CYCLE_1)
	s_or_b32 exec_lo, exec_lo, s19
	v_cmp_ne_u32_e32 vcc_lo, 31, v41
	v_lshlrev_b32_e64 v33, v41, -1
	v_add_nc_u32_e32 v37, 2, v41
	v_add_nc_u32_e32 v46, 4, v41
	;; [unrolled: 1-line block ×3, first 2 shown]
	v_add_co_ci_u32_e32 v21, vcc_lo, 0, v41, vcc_lo
	v_add_nc_u32_e32 v50, 16, v41
	s_delay_alu instid0(VALU_DEP_2)
	v_lshlrev_b32_e32 v31, 2, v21
	v_and_b32_e32 v21, 0xff, v23
	ds_bpermute_b32 v24, v31, v22
	v_cmp_eq_u16_e32 vcc_lo, 2, v21
	v_and_or_b32 v21, vcc_lo, v33, 0x80000000
	v_cmp_gt_u32_e32 vcc_lo, 30, v41
	s_delay_alu instid0(VALU_DEP_2) | instskip(SKIP_1) | instid1(VALU_DEP_2)
	v_ctz_i32_b32_e32 v21, v21
	v_cndmask_b32_e64 v25, 0, 1, vcc_lo
	v_cmp_lt_u32_e32 vcc_lo, v41, v21
	s_waitcnt lgkmcnt(0)
	s_delay_alu instid0(VALU_DEP_2) | instskip(NEXT) | instid1(VALU_DEP_1)
	v_dual_cndmask_b32 v24, 0, v24 :: v_dual_lshlrev_b32 v25, 1, v25
	v_add_lshl_u32 v35, v25, v41, 2
	v_cmp_gt_u32_e32 vcc_lo, 28, v41
	s_delay_alu instid0(VALU_DEP_3) | instskip(SKIP_4) | instid1(VALU_DEP_1)
	v_add_nc_u32_e32 v22, v24, v22
	v_cndmask_b32_e64 v25, 0, 1, vcc_lo
	v_cmp_le_u32_e32 vcc_lo, v37, v21
	ds_bpermute_b32 v24, v35, v22
	v_lshlrev_b32_e32 v25, 2, v25
	v_add_lshl_u32 v44, v25, v41, 2
	s_waitcnt lgkmcnt(0)
	v_cndmask_b32_e32 v24, 0, v24, vcc_lo
	v_cmp_gt_u32_e32 vcc_lo, 24, v41
	s_delay_alu instid0(VALU_DEP_2) | instskip(SKIP_4) | instid1(VALU_DEP_1)
	v_add_nc_u32_e32 v22, v22, v24
	v_cndmask_b32_e64 v25, 0, 1, vcc_lo
	v_cmp_le_u32_e32 vcc_lo, v46, v21
	ds_bpermute_b32 v24, v44, v22
	v_lshlrev_b32_e32 v25, 3, v25
	v_add_lshl_u32 v47, v25, v41, 2
	s_waitcnt lgkmcnt(0)
	v_cndmask_b32_e32 v24, 0, v24, vcc_lo
	v_cmp_gt_u32_e32 vcc_lo, 16, v41
	s_delay_alu instid0(VALU_DEP_2) | instskip(SKIP_4) | instid1(VALU_DEP_1)
	v_add_nc_u32_e32 v22, v22, v24
	v_cndmask_b32_e64 v25, 0, 1, vcc_lo
	v_cmp_le_u32_e32 vcc_lo, v48, v21
	ds_bpermute_b32 v24, v47, v22
	v_lshlrev_b32_e32 v25, 4, v25
	v_add_lshl_u32 v49, v25, v41, 2
	s_waitcnt lgkmcnt(0)
	v_cndmask_b32_e32 v24, 0, v24, vcc_lo
	v_cmp_le_u32_e32 vcc_lo, v50, v21
	s_delay_alu instid0(VALU_DEP_2) | instskip(SKIP_3) | instid1(VALU_DEP_1)
	v_add_nc_u32_e32 v22, v22, v24
	ds_bpermute_b32 v24, v49, v22
	s_waitcnt lgkmcnt(0)
	v_cndmask_b32_e32 v21, 0, v24, vcc_lo
	v_dual_mov_b32 v21, 0 :: v_dual_add_nc_u32 v22, v22, v21
	s_branch .LBB167_378
.LBB167_377:                            ;   in Loop: Header=BB167_378 Depth=1
	s_or_b32 exec_lo, exec_lo, s19
	ds_bpermute_b32 v25, v31, v22
	v_and_b32_e32 v24, 0xff, v23
	v_subrev_nc_u32_e32 v20, 32, v20
	s_delay_alu instid0(VALU_DEP_2) | instskip(SKIP_1) | instid1(VALU_DEP_1)
	v_cmp_eq_u16_e32 vcc_lo, 2, v24
	v_and_or_b32 v24, vcc_lo, v33, 0x80000000
	v_ctz_i32_b32_e32 v24, v24
	s_delay_alu instid0(VALU_DEP_1) | instskip(SKIP_3) | instid1(VALU_DEP_2)
	v_cmp_lt_u32_e32 vcc_lo, v41, v24
	s_waitcnt lgkmcnt(0)
	v_cndmask_b32_e32 v25, 0, v25, vcc_lo
	v_cmp_le_u32_e32 vcc_lo, v37, v24
	v_add_nc_u32_e32 v22, v25, v22
	ds_bpermute_b32 v25, v35, v22
	s_waitcnt lgkmcnt(0)
	v_cndmask_b32_e32 v25, 0, v25, vcc_lo
	v_cmp_le_u32_e32 vcc_lo, v46, v24
	s_delay_alu instid0(VALU_DEP_2) | instskip(SKIP_4) | instid1(VALU_DEP_2)
	v_add_nc_u32_e32 v22, v22, v25
	ds_bpermute_b32 v25, v44, v22
	s_waitcnt lgkmcnt(0)
	v_cndmask_b32_e32 v25, 0, v25, vcc_lo
	v_cmp_le_u32_e32 vcc_lo, v48, v24
	v_add_nc_u32_e32 v22, v22, v25
	ds_bpermute_b32 v25, v47, v22
	s_waitcnt lgkmcnt(0)
	v_cndmask_b32_e32 v25, 0, v25, vcc_lo
	v_cmp_le_u32_e32 vcc_lo, v50, v24
	s_delay_alu instid0(VALU_DEP_2) | instskip(SKIP_3) | instid1(VALU_DEP_1)
	v_add_nc_u32_e32 v22, v22, v25
	ds_bpermute_b32 v25, v49, v22
	s_waitcnt lgkmcnt(0)
	v_cndmask_b32_e32 v24, 0, v25, vcc_lo
	v_add3_u32 v22, v24, v45, v22
.LBB167_378:                            ; =>This Loop Header: Depth=1
                                        ;     Child Loop BB167_381 Depth 2
	v_and_b32_e32 v23, 0xff, v23
	s_delay_alu instid0(VALU_DEP_2) | instskip(NEXT) | instid1(VALU_DEP_2)
	v_mov_b32_e32 v45, v22
	v_cmp_ne_u16_e32 vcc_lo, 2, v23
	v_cndmask_b32_e64 v23, 0, 1, vcc_lo
	;;#ASMSTART
	;;#ASMEND
	s_delay_alu instid0(VALU_DEP_1)
	v_cmp_ne_u32_e32 vcc_lo, 0, v23
	s_cmp_lg_u32 vcc_lo, exec_lo
	s_cbranch_scc1 .LBB167_383
; %bb.379:                              ;   in Loop: Header=BB167_378 Depth=1
	v_lshlrev_b64 v[22:23], 3, v[20:21]
	s_mov_b32 s19, exec_lo
	s_delay_alu instid0(VALU_DEP_1) | instskip(NEXT) | instid1(VALU_DEP_2)
	v_add_co_u32 v24, vcc_lo, s10, v22
	v_add_co_ci_u32_e32 v25, vcc_lo, s11, v23, vcc_lo
	global_load_b64 v[22:23], v[24:25], off glc
	s_waitcnt vmcnt(0)
	v_and_b32_e32 v51, 0xff, v23
	s_delay_alu instid0(VALU_DEP_1)
	v_cmpx_eq_u16_e32 0, v51
	s_cbranch_execz .LBB167_377
; %bb.380:                              ;   in Loop: Header=BB167_378 Depth=1
	s_mov_b32 s20, 0
.LBB167_381:                            ;   Parent Loop BB167_378 Depth=1
                                        ; =>  This Inner Loop Header: Depth=2
	global_load_b64 v[22:23], v[24:25], off glc
	s_waitcnt vmcnt(0)
	v_and_b32_e32 v51, 0xff, v23
	s_delay_alu instid0(VALU_DEP_1) | instskip(SKIP_1) | instid1(SALU_CYCLE_1)
	v_cmp_ne_u16_e32 vcc_lo, 0, v51
	s_or_b32 s20, vcc_lo, s20
	s_and_not1_b32 exec_lo, exec_lo, s20
	s_cbranch_execnz .LBB167_381
; %bb.382:                              ;   in Loop: Header=BB167_378 Depth=1
	s_or_b32 exec_lo, exec_lo, s20
	s_branch .LBB167_377
.LBB167_383:                            ;   in Loop: Header=BB167_378 Depth=1
                                        ; implicit-def: $vgpr22
                                        ; implicit-def: $vgpr23
	s_cbranch_execz .LBB167_378
; %bb.384:
	s_and_saveexec_b32 s19, s8
	s_cbranch_execz .LBB167_386
; %bb.385:
	s_add_i32 s20, s15, 32
	s_mov_b32 s21, 0
	v_dual_mov_b32 v21, 2 :: v_dual_add_nc_u32 v20, v45, v19
	s_lshl_b64 s[20:21], s[20:21], 3
	v_mov_b32_e32 v22, 0
	v_add_nc_u32_e64 v23, 0x8400, 0
	s_add_u32 s20, s10, s20
	s_addc_u32 s21, s11, s21
	global_store_b64 v22, v[20:21], s[20:21]
	ds_store_2addr_b32 v23, v19, v45 offset1:2
.LBB167_386:
	s_or_b32 exec_lo, exec_lo, s19
	v_cmp_eq_u32_e32 vcc_lo, 0, v0
	s_and_b32 exec_lo, exec_lo, vcc_lo
	s_cbranch_execz .LBB167_388
; %bb.387:
	v_mov_b32_e32 v19, 0
	ds_store_b32 v19, v45 offset:60
.LBB167_388:
	s_or_b32 exec_lo, exec_lo, s9
	s_waitcnt lgkmcnt(0)
	v_cndmask_b32_e64 v20, v29, v27, s8
	v_cmp_ne_u32_e32 vcc_lo, 0, v0
	v_mov_b32_e32 v19, 0
	s_waitcnt_vscnt null, 0x0
	s_barrier
	buffer_gl0_inv
	v_cndmask_b32_e32 v20, 0, v20, vcc_lo
	ds_load_b32 v19, v19 offset:60
	s_waitcnt lgkmcnt(0)
	s_barrier
	buffer_gl0_inv
	v_add_nc_u32_e32 v37, v19, v20
	v_add_nc_u32_e64 v19, 0x8400, 0
	s_delay_alu instid0(VALU_DEP_2) | instskip(SKIP_2) | instid1(VALU_DEP_1)
	v_add_nc_u32_e32 v35, v37, v26
	ds_load_2addr_b32 v[19:20], v19 offset1:2
	v_add_nc_u32_e32 v33, v35, v28
	v_add_nc_u32_e32 v31, v33, v30
	s_delay_alu instid0(VALU_DEP_1) | instskip(NEXT) | instid1(VALU_DEP_1)
	v_add_nc_u32_e32 v29, v31, v32
	v_add_nc_u32_e32 v27, v29, v34
	s_delay_alu instid0(VALU_DEP_1) | instskip(NEXT) | instid1(VALU_DEP_1)
	v_add_nc_u32_e32 v25, v27, v36
	v_add_nc_u32_e32 v23, v25, v38
	s_load_b64 s[8:9], s[0:1], 0x28
	v_lshrrev_b64 v[21:22], 24, v[17:18]
	s_branch .LBB167_399
.LBB167_389:
                                        ; implicit-def: $vgpr23
                                        ; implicit-def: $vgpr25
                                        ; implicit-def: $vgpr27
                                        ; implicit-def: $vgpr29
                                        ; implicit-def: $vgpr31
                                        ; implicit-def: $vgpr33
                                        ; implicit-def: $vgpr35
                                        ; implicit-def: $vgpr37
                                        ; implicit-def: $vgpr20
	s_load_b64 s[8:9], s[0:1], 0x28
	v_lshrrev_b64 v[21:22], 24, v[17:18]
	s_and_b32 vcc_lo, exec_lo, s19
	s_cbranch_vccz .LBB167_399
; %bb.390:
	s_waitcnt lgkmcnt(0)
	v_mov_b32_dpp v19, v43 row_shr:1 row_mask:0xf bank_mask:0xf
	s_delay_alu instid0(VALU_DEP_1) | instskip(NEXT) | instid1(VALU_DEP_1)
	v_cndmask_b32_e64 v19, v19, 0, s4
	v_add_nc_u32_e32 v19, v19, v43
	s_delay_alu instid0(VALU_DEP_1) | instskip(NEXT) | instid1(VALU_DEP_1)
	v_mov_b32_dpp v20, v19 row_shr:2 row_mask:0xf bank_mask:0xf
	v_cndmask_b32_e64 v20, 0, v20, s2
	s_delay_alu instid0(VALU_DEP_1) | instskip(NEXT) | instid1(VALU_DEP_1)
	v_add_nc_u32_e32 v19, v19, v20
	v_mov_b32_dpp v20, v19 row_shr:4 row_mask:0xf bank_mask:0xf
	s_delay_alu instid0(VALU_DEP_1) | instskip(NEXT) | instid1(VALU_DEP_1)
	v_cndmask_b32_e64 v20, 0, v20, s5
	v_add_nc_u32_e32 v19, v19, v20
	s_delay_alu instid0(VALU_DEP_1) | instskip(NEXT) | instid1(VALU_DEP_1)
	v_mov_b32_dpp v20, v19 row_shr:8 row_mask:0xf bank_mask:0xf
	v_cndmask_b32_e64 v20, 0, v20, s3
	s_delay_alu instid0(VALU_DEP_1) | instskip(SKIP_3) | instid1(VALU_DEP_1)
	v_add_nc_u32_e32 v19, v19, v20
	ds_swizzle_b32 v20, v19 offset:swizzle(BROADCAST,32,15)
	s_waitcnt lgkmcnt(0)
	v_cndmask_b32_e64 v20, v20, 0, s7
	v_add_nc_u32_e32 v19, v19, v20
	s_and_saveexec_b32 s0, s6
	s_cbranch_execz .LBB167_392
; %bb.391:
	v_lshlrev_b32_e32 v20, 2, v42
	ds_store_b32 v20, v19
.LBB167_392:
	s_or_b32 exec_lo, exec_lo, s0
	s_delay_alu instid0(SALU_CYCLE_1)
	s_mov_b32 s0, exec_lo
	s_waitcnt lgkmcnt(0)
	s_barrier
	buffer_gl0_inv
	v_cmpx_gt_u32_e32 16, v0
	s_cbranch_execz .LBB167_394
; %bb.393:
	v_lshlrev_b32_e32 v20, 2, v0
	ds_load_b32 v22, v20
	s_waitcnt lgkmcnt(0)
	v_mov_b32_dpp v23, v22 row_shr:1 row_mask:0xf bank_mask:0xf
	s_delay_alu instid0(VALU_DEP_1) | instskip(NEXT) | instid1(VALU_DEP_1)
	v_cndmask_b32_e64 v23, v23, 0, s4
	v_add_nc_u32_e32 v22, v23, v22
	s_delay_alu instid0(VALU_DEP_1) | instskip(NEXT) | instid1(VALU_DEP_1)
	v_mov_b32_dpp v23, v22 row_shr:2 row_mask:0xf bank_mask:0xf
	v_cndmask_b32_e64 v23, 0, v23, s2
	s_delay_alu instid0(VALU_DEP_1) | instskip(NEXT) | instid1(VALU_DEP_1)
	v_add_nc_u32_e32 v22, v22, v23
	v_mov_b32_dpp v23, v22 row_shr:4 row_mask:0xf bank_mask:0xf
	s_delay_alu instid0(VALU_DEP_1) | instskip(NEXT) | instid1(VALU_DEP_1)
	v_cndmask_b32_e64 v23, 0, v23, s5
	v_add_nc_u32_e32 v22, v22, v23
	s_delay_alu instid0(VALU_DEP_1) | instskip(NEXT) | instid1(VALU_DEP_1)
	v_mov_b32_dpp v23, v22 row_shr:8 row_mask:0xf bank_mask:0xf
	v_cndmask_b32_e64 v23, 0, v23, s3
	s_delay_alu instid0(VALU_DEP_1)
	v_add_nc_u32_e32 v22, v22, v23
	ds_store_b32 v20, v22
.LBB167_394:
	s_or_b32 exec_lo, exec_lo, s0
	v_mov_b32_e32 v20, 0
	v_mov_b32_e32 v22, 0
	s_mov_b32 s0, exec_lo
	s_waitcnt lgkmcnt(0)
	s_barrier
	buffer_gl0_inv
	v_cmpx_lt_u32_e32 31, v0
	s_cbranch_execz .LBB167_396
; %bb.395:
	v_lshl_add_u32 v22, v42, 2, -4
	ds_load_b32 v22, v22
.LBB167_396:
	s_or_b32 exec_lo, exec_lo, s0
	v_add_nc_u32_e32 v23, -1, v41
	s_waitcnt lgkmcnt(0)
	v_add_nc_u32_e32 v19, v22, v19
	s_delay_alu instid0(VALU_DEP_2) | instskip(SKIP_2) | instid1(VALU_DEP_2)
	v_cmp_gt_i32_e32 vcc_lo, 0, v23
	v_cndmask_b32_e32 v23, v23, v41, vcc_lo
	v_cmp_eq_u32_e32 vcc_lo, 0, v0
	v_lshlrev_b32_e32 v23, 2, v23
	ds_bpermute_b32 v23, v23, v19
	ds_load_b32 v19, v20 offset:60
	s_and_saveexec_b32 s0, vcc_lo
	s_cbranch_execz .LBB167_398
; %bb.397:
	v_mov_b32_e32 v24, 0
	v_mov_b32_e32 v20, 2
	s_waitcnt lgkmcnt(0)
	global_store_b64 v24, v[19:20], s[10:11] offset:256
.LBB167_398:
	s_or_b32 exec_lo, exec_lo, s0
	v_cmp_eq_u32_e64 s0, 0, v41
	s_waitcnt lgkmcnt(0)
	s_waitcnt_vscnt null, 0x0
	s_barrier
	buffer_gl0_inv
	v_cndmask_b32_e64 v20, v23, v22, s0
	s_delay_alu instid0(VALU_DEP_1) | instskip(NEXT) | instid1(VALU_DEP_1)
	v_cndmask_b32_e64 v37, v20, 0, vcc_lo
	v_dual_mov_b32 v20, 0 :: v_dual_add_nc_u32 v35, v37, v26
	s_delay_alu instid0(VALU_DEP_1) | instskip(NEXT) | instid1(VALU_DEP_1)
	v_add_nc_u32_e32 v33, v35, v28
	v_add_nc_u32_e32 v31, v33, v30
	s_delay_alu instid0(VALU_DEP_1) | instskip(NEXT) | instid1(VALU_DEP_1)
	v_add_nc_u32_e32 v29, v31, v32
	v_add_nc_u32_e32 v27, v29, v34
	;; [unrolled: 3-line block ×3, first 2 shown]
.LBB167_399:
	s_waitcnt lgkmcnt(0)
	v_cmp_gt_u32_e32 vcc_lo, 0x201, v19
	v_lshrrev_b32_e32 v43, 8, v17
	v_lshrrev_b32_e32 v42, 16, v17
	;; [unrolled: 1-line block ×4, first 2 shown]
	s_mov_b32 s0, -1
	s_cbranch_vccnz .LBB167_403
; %bb.400:
	s_and_b32 vcc_lo, exec_lo, s0
	s_cbranch_vccnz .LBB167_428
.LBB167_401:
	v_cmp_eq_u32_e32 vcc_lo, 0, v0
	s_and_b32 s0, vcc_lo, s14
	s_delay_alu instid0(SALU_CYCLE_1)
	s_and_saveexec_b32 s1, s0
	s_cbranch_execnz .LBB167_448
.LBB167_402:
	s_nop 0
	s_sendmsg sendmsg(MSG_DEALLOC_VGPRS)
	s_endpgm
.LBB167_403:
	v_add_nc_u32_e32 v24, v20, v19
	s_delay_alu instid0(VALU_DEP_1) | instskip(SKIP_1) | instid1(SALU_CYCLE_1)
	v_cmp_lt_u32_e32 vcc_lo, v37, v24
	s_or_b32 s1, s18, vcc_lo
	s_and_saveexec_b32 s0, s1
	s_cbranch_execz .LBB167_406
; %bb.404:
	v_and_b32_e32 v26, 1, v17
	s_delay_alu instid0(VALU_DEP_1)
	v_cmp_eq_u32_e32 vcc_lo, 1, v26
	s_and_b32 exec_lo, exec_lo, vcc_lo
	s_cbranch_execz .LBB167_406
; %bb.405:
	v_mov_b32_e32 v38, 0
	s_lshl_b64 s[2:3], s[12:13], 3
	s_delay_alu instid0(SALU_CYCLE_1) | instskip(SKIP_1) | instid1(VALU_DEP_1)
	s_add_u32 s1, s8, s2
	s_addc_u32 s2, s9, s3
	v_lshlrev_b64 v[44:45], 3, v[37:38]
	s_delay_alu instid0(VALU_DEP_1) | instskip(NEXT) | instid1(VALU_DEP_2)
	v_add_co_u32 v44, vcc_lo, s1, v44
	v_add_co_ci_u32_e32 v45, vcc_lo, s2, v45, vcc_lo
	global_store_b64 v[44:45], v[13:14], off
.LBB167_406:
	s_or_b32 exec_lo, exec_lo, s0
	v_cmp_lt_u32_e32 vcc_lo, v35, v24
	s_or_b32 s1, s18, vcc_lo
	s_delay_alu instid0(SALU_CYCLE_1)
	s_and_saveexec_b32 s0, s1
	s_cbranch_execz .LBB167_409
; %bb.407:
	v_and_b32_e32 v26, 1, v43
	s_delay_alu instid0(VALU_DEP_1)
	v_cmp_eq_u32_e32 vcc_lo, 1, v26
	s_and_b32 exec_lo, exec_lo, vcc_lo
	s_cbranch_execz .LBB167_409
; %bb.408:
	v_mov_b32_e32 v36, 0
	s_lshl_b64 s[2:3], s[12:13], 3
	s_delay_alu instid0(SALU_CYCLE_1) | instskip(SKIP_1) | instid1(VALU_DEP_1)
	s_add_u32 s1, s8, s2
	s_addc_u32 s2, s9, s3
	v_lshlrev_b64 v[44:45], 3, v[35:36]
	s_delay_alu instid0(VALU_DEP_1) | instskip(NEXT) | instid1(VALU_DEP_2)
	v_add_co_u32 v44, vcc_lo, s1, v44
	v_add_co_ci_u32_e32 v45, vcc_lo, s2, v45, vcc_lo
	global_store_b64 v[44:45], v[15:16], off
.LBB167_409:
	s_or_b32 exec_lo, exec_lo, s0
	v_cmp_lt_u32_e32 vcc_lo, v33, v24
	s_or_b32 s1, s18, vcc_lo
	s_delay_alu instid0(SALU_CYCLE_1)
	;; [unrolled: 24-line block ×7, first 2 shown]
	s_and_saveexec_b32 s0, s1
	s_cbranch_execz .LBB167_427
; %bb.425:
	v_and_b32_e32 v24, 1, v40
	s_delay_alu instid0(VALU_DEP_1)
	v_cmp_eq_u32_e32 vcc_lo, 1, v24
	s_and_b32 exec_lo, exec_lo, vcc_lo
	s_cbranch_execz .LBB167_427
; %bb.426:
	v_mov_b32_e32 v24, 0
	s_lshl_b64 s[2:3], s[12:13], 3
	s_delay_alu instid0(SALU_CYCLE_1) | instskip(SKIP_1) | instid1(VALU_DEP_1)
	s_add_u32 s1, s8, s2
	s_addc_u32 s2, s9, s3
	v_lshlrev_b64 v[44:45], 3, v[23:24]
	s_delay_alu instid0(VALU_DEP_1) | instskip(NEXT) | instid1(VALU_DEP_2)
	v_add_co_u32 v44, vcc_lo, s1, v44
	v_add_co_ci_u32_e32 v45, vcc_lo, s2, v45, vcc_lo
	global_store_b64 v[44:45], v[3:4], off
.LBB167_427:
	s_or_b32 exec_lo, exec_lo, s0
	s_branch .LBB167_401
.LBB167_428:
	v_and_b32_e32 v17, 1, v17
	s_mov_b32 s0, exec_lo
	s_delay_alu instid0(VALU_DEP_1)
	v_cmpx_eq_u32_e32 1, v17
	s_cbranch_execz .LBB167_430
; %bb.429:
	v_sub_nc_u32_e32 v17, v37, v20
	s_delay_alu instid0(VALU_DEP_1)
	v_lshlrev_b32_e32 v17, 3, v17
	ds_store_b64 v17, v[13:14]
.LBB167_430:
	s_or_b32 exec_lo, exec_lo, s0
	v_and_b32_e32 v13, 1, v43
	s_mov_b32 s0, exec_lo
	s_delay_alu instid0(VALU_DEP_1)
	v_cmpx_eq_u32_e32 1, v13
	s_cbranch_execz .LBB167_432
; %bb.431:
	v_sub_nc_u32_e32 v13, v35, v20
	s_delay_alu instid0(VALU_DEP_1)
	v_lshlrev_b32_e32 v13, 3, v13
	ds_store_b64 v13, v[15:16]
.LBB167_432:
	s_or_b32 exec_lo, exec_lo, s0
	;; [unrolled: 12-line block ×8, first 2 shown]
	s_delay_alu instid0(SALU_CYCLE_1)
	s_mov_b32 s1, exec_lo
	s_waitcnt lgkmcnt(0)
	s_waitcnt_vscnt null, 0x0
	s_barrier
	buffer_gl0_inv
	v_cmpx_lt_u32_e64 v0, v19
	s_cbranch_execz .LBB167_447
; %bb.445:
	v_dual_mov_b32 v2, 0 :: v_dual_mov_b32 v1, v20
	s_lshl_b64 s[2:3], s[12:13], 3
	v_mov_b32_e32 v3, v0
	s_delay_alu instid0(VALU_DEP_2) | instskip(NEXT) | instid1(VALU_DEP_1)
	v_lshlrev_b64 v[1:2], 3, v[1:2]
	v_add_co_u32 v1, vcc_lo, s2, v1
	s_delay_alu instid0(VALU_DEP_2) | instskip(SKIP_1) | instid1(VALU_DEP_2)
	v_add_co_ci_u32_e32 v2, vcc_lo, s3, v2, vcc_lo
	s_mov_b32 s2, 0
	v_add_co_u32 v1, vcc_lo, s8, v1
	s_delay_alu instid0(VALU_DEP_2) | instskip(NEXT) | instid1(VALU_DEP_2)
	v_add_co_ci_u32_e32 v2, vcc_lo, s9, v2, vcc_lo
	v_add_co_u32 v1, vcc_lo, v1, v39
	s_delay_alu instid0(VALU_DEP_2)
	v_add_co_ci_u32_e32 v2, vcc_lo, 0, v2, vcc_lo
	.p2align	6
.LBB167_446:                            ; =>This Inner Loop Header: Depth=1
	ds_load_b64 v[4:5], v39
	v_add_nc_u32_e32 v3, 0x200, v3
	v_add_nc_u32_e32 v39, 0x1000, v39
	s_delay_alu instid0(VALU_DEP_2) | instskip(SKIP_4) | instid1(VALU_DEP_1)
	v_cmp_ge_u32_e32 vcc_lo, v3, v19
	s_or_b32 s2, vcc_lo, s2
	s_waitcnt lgkmcnt(0)
	global_store_b64 v[1:2], v[4:5], off
	v_add_co_u32 v1, s0, 0x1000, v1
	v_add_co_ci_u32_e64 v2, s0, 0, v2, s0
	s_and_not1_b32 exec_lo, exec_lo, s2
	s_cbranch_execnz .LBB167_446
.LBB167_447:
	s_or_b32 exec_lo, exec_lo, s1
	v_cmp_eq_u32_e32 vcc_lo, 0, v0
	s_and_b32 s0, vcc_lo, s14
	s_delay_alu instid0(SALU_CYCLE_1)
	s_and_saveexec_b32 s1, s0
	s_cbranch_execz .LBB167_402
.LBB167_448:
	v_add_co_u32 v0, s0, s12, v19
	s_delay_alu instid0(VALU_DEP_1) | instskip(SKIP_1) | instid1(VALU_DEP_3)
	v_add_co_ci_u32_e64 v1, null, s13, 0, s0
	v_mov_b32_e32 v2, 0
	v_add_co_u32 v0, vcc_lo, v0, v20
	s_delay_alu instid0(VALU_DEP_3)
	v_add_co_ci_u32_e32 v1, vcc_lo, 0, v1, vcc_lo
	global_store_b64 v2, v[0:1], s[16:17]
	s_nop 0
	s_sendmsg sendmsg(MSG_DEALLOC_VGPRS)
	s_endpgm
	.section	.rodata,"a",@progbits
	.p2align	6, 0x0
	.amdhsa_kernel _ZN7rocprim17ROCPRIM_400000_NS6detail17trampoline_kernelINS0_14default_configENS1_25partition_config_selectorILNS1_17partition_subalgoE8ElNS0_10empty_typeEbEEZZNS1_14partition_implILS5_8ELb0ES3_jPlPS6_PKS6_NS0_5tupleIJS9_S6_EEENSD_IJSA_SA_EEENS0_18inequality_wrapperIZN2at6native12_GLOBAL__N_124unique_dim_cuda_templateIhEESt5tupleIJNSH_6TensorESM_SM_EERKSM_lbbbEUlllE0_EEPmJS6_EEE10hipError_tPvRmT3_T4_T5_T6_T7_T9_mT8_P12ihipStream_tbDpT10_ENKUlT_T0_E_clISt17integral_constantIbLb0EES1C_EEDaS17_S18_EUlS17_E_NS1_11comp_targetILNS1_3genE9ELNS1_11target_archE1100ELNS1_3gpuE3ELNS1_3repE0EEENS1_30default_config_static_selectorELNS0_4arch9wavefront6targetE0EEEvT1_
		.amdhsa_group_segment_fixed_size 33804
		.amdhsa_private_segment_fixed_size 0
		.amdhsa_kernarg_size 120
		.amdhsa_user_sgpr_count 15
		.amdhsa_user_sgpr_dispatch_ptr 0
		.amdhsa_user_sgpr_queue_ptr 0
		.amdhsa_user_sgpr_kernarg_segment_ptr 1
		.amdhsa_user_sgpr_dispatch_id 0
		.amdhsa_user_sgpr_private_segment_size 0
		.amdhsa_wavefront_size32 1
		.amdhsa_uses_dynamic_stack 0
		.amdhsa_enable_private_segment 0
		.amdhsa_system_sgpr_workgroup_id_x 1
		.amdhsa_system_sgpr_workgroup_id_y 0
		.amdhsa_system_sgpr_workgroup_id_z 0
		.amdhsa_system_sgpr_workgroup_info 0
		.amdhsa_system_vgpr_workitem_id 0
		.amdhsa_next_free_vgpr 52
		.amdhsa_next_free_sgpr 36
		.amdhsa_reserve_vcc 1
		.amdhsa_float_round_mode_32 0
		.amdhsa_float_round_mode_16_64 0
		.amdhsa_float_denorm_mode_32 3
		.amdhsa_float_denorm_mode_16_64 3
		.amdhsa_dx10_clamp 1
		.amdhsa_ieee_mode 1
		.amdhsa_fp16_overflow 0
		.amdhsa_workgroup_processor_mode 1
		.amdhsa_memory_ordered 1
		.amdhsa_forward_progress 0
		.amdhsa_shared_vgpr_count 0
		.amdhsa_exception_fp_ieee_invalid_op 0
		.amdhsa_exception_fp_denorm_src 0
		.amdhsa_exception_fp_ieee_div_zero 0
		.amdhsa_exception_fp_ieee_overflow 0
		.amdhsa_exception_fp_ieee_underflow 0
		.amdhsa_exception_fp_ieee_inexact 0
		.amdhsa_exception_int_div_zero 0
	.end_amdhsa_kernel
	.section	.text._ZN7rocprim17ROCPRIM_400000_NS6detail17trampoline_kernelINS0_14default_configENS1_25partition_config_selectorILNS1_17partition_subalgoE8ElNS0_10empty_typeEbEEZZNS1_14partition_implILS5_8ELb0ES3_jPlPS6_PKS6_NS0_5tupleIJS9_S6_EEENSD_IJSA_SA_EEENS0_18inequality_wrapperIZN2at6native12_GLOBAL__N_124unique_dim_cuda_templateIhEESt5tupleIJNSH_6TensorESM_SM_EERKSM_lbbbEUlllE0_EEPmJS6_EEE10hipError_tPvRmT3_T4_T5_T6_T7_T9_mT8_P12ihipStream_tbDpT10_ENKUlT_T0_E_clISt17integral_constantIbLb0EES1C_EEDaS17_S18_EUlS17_E_NS1_11comp_targetILNS1_3genE9ELNS1_11target_archE1100ELNS1_3gpuE3ELNS1_3repE0EEENS1_30default_config_static_selectorELNS0_4arch9wavefront6targetE0EEEvT1_,"axG",@progbits,_ZN7rocprim17ROCPRIM_400000_NS6detail17trampoline_kernelINS0_14default_configENS1_25partition_config_selectorILNS1_17partition_subalgoE8ElNS0_10empty_typeEbEEZZNS1_14partition_implILS5_8ELb0ES3_jPlPS6_PKS6_NS0_5tupleIJS9_S6_EEENSD_IJSA_SA_EEENS0_18inequality_wrapperIZN2at6native12_GLOBAL__N_124unique_dim_cuda_templateIhEESt5tupleIJNSH_6TensorESM_SM_EERKSM_lbbbEUlllE0_EEPmJS6_EEE10hipError_tPvRmT3_T4_T5_T6_T7_T9_mT8_P12ihipStream_tbDpT10_ENKUlT_T0_E_clISt17integral_constantIbLb0EES1C_EEDaS17_S18_EUlS17_E_NS1_11comp_targetILNS1_3genE9ELNS1_11target_archE1100ELNS1_3gpuE3ELNS1_3repE0EEENS1_30default_config_static_selectorELNS0_4arch9wavefront6targetE0EEEvT1_,comdat
.Lfunc_end167:
	.size	_ZN7rocprim17ROCPRIM_400000_NS6detail17trampoline_kernelINS0_14default_configENS1_25partition_config_selectorILNS1_17partition_subalgoE8ElNS0_10empty_typeEbEEZZNS1_14partition_implILS5_8ELb0ES3_jPlPS6_PKS6_NS0_5tupleIJS9_S6_EEENSD_IJSA_SA_EEENS0_18inequality_wrapperIZN2at6native12_GLOBAL__N_124unique_dim_cuda_templateIhEESt5tupleIJNSH_6TensorESM_SM_EERKSM_lbbbEUlllE0_EEPmJS6_EEE10hipError_tPvRmT3_T4_T5_T6_T7_T9_mT8_P12ihipStream_tbDpT10_ENKUlT_T0_E_clISt17integral_constantIbLb0EES1C_EEDaS17_S18_EUlS17_E_NS1_11comp_targetILNS1_3genE9ELNS1_11target_archE1100ELNS1_3gpuE3ELNS1_3repE0EEENS1_30default_config_static_selectorELNS0_4arch9wavefront6targetE0EEEvT1_, .Lfunc_end167-_ZN7rocprim17ROCPRIM_400000_NS6detail17trampoline_kernelINS0_14default_configENS1_25partition_config_selectorILNS1_17partition_subalgoE8ElNS0_10empty_typeEbEEZZNS1_14partition_implILS5_8ELb0ES3_jPlPS6_PKS6_NS0_5tupleIJS9_S6_EEENSD_IJSA_SA_EEENS0_18inequality_wrapperIZN2at6native12_GLOBAL__N_124unique_dim_cuda_templateIhEESt5tupleIJNSH_6TensorESM_SM_EERKSM_lbbbEUlllE0_EEPmJS6_EEE10hipError_tPvRmT3_T4_T5_T6_T7_T9_mT8_P12ihipStream_tbDpT10_ENKUlT_T0_E_clISt17integral_constantIbLb0EES1C_EEDaS17_S18_EUlS17_E_NS1_11comp_targetILNS1_3genE9ELNS1_11target_archE1100ELNS1_3gpuE3ELNS1_3repE0EEENS1_30default_config_static_selectorELNS0_4arch9wavefront6targetE0EEEvT1_
                                        ; -- End function
	.section	.AMDGPU.csdata,"",@progbits
; Kernel info:
; codeLenInByte = 16180
; NumSgprs: 38
; NumVgprs: 52
; ScratchSize: 0
; MemoryBound: 0
; FloatMode: 240
; IeeeMode: 1
; LDSByteSize: 33804 bytes/workgroup (compile time only)
; SGPRBlocks: 4
; VGPRBlocks: 6
; NumSGPRsForWavesPerEU: 38
; NumVGPRsForWavesPerEU: 52
; Occupancy: 12
; WaveLimiterHint : 1
; COMPUTE_PGM_RSRC2:SCRATCH_EN: 0
; COMPUTE_PGM_RSRC2:USER_SGPR: 15
; COMPUTE_PGM_RSRC2:TRAP_HANDLER: 0
; COMPUTE_PGM_RSRC2:TGID_X_EN: 1
; COMPUTE_PGM_RSRC2:TGID_Y_EN: 0
; COMPUTE_PGM_RSRC2:TGID_Z_EN: 0
; COMPUTE_PGM_RSRC2:TIDIG_COMP_CNT: 0
	.section	.text._ZN7rocprim17ROCPRIM_400000_NS6detail17trampoline_kernelINS0_14default_configENS1_25partition_config_selectorILNS1_17partition_subalgoE8ElNS0_10empty_typeEbEEZZNS1_14partition_implILS5_8ELb0ES3_jPlPS6_PKS6_NS0_5tupleIJS9_S6_EEENSD_IJSA_SA_EEENS0_18inequality_wrapperIZN2at6native12_GLOBAL__N_124unique_dim_cuda_templateIhEESt5tupleIJNSH_6TensorESM_SM_EERKSM_lbbbEUlllE0_EEPmJS6_EEE10hipError_tPvRmT3_T4_T5_T6_T7_T9_mT8_P12ihipStream_tbDpT10_ENKUlT_T0_E_clISt17integral_constantIbLb0EES1C_EEDaS17_S18_EUlS17_E_NS1_11comp_targetILNS1_3genE8ELNS1_11target_archE1030ELNS1_3gpuE2ELNS1_3repE0EEENS1_30default_config_static_selectorELNS0_4arch9wavefront6targetE0EEEvT1_,"axG",@progbits,_ZN7rocprim17ROCPRIM_400000_NS6detail17trampoline_kernelINS0_14default_configENS1_25partition_config_selectorILNS1_17partition_subalgoE8ElNS0_10empty_typeEbEEZZNS1_14partition_implILS5_8ELb0ES3_jPlPS6_PKS6_NS0_5tupleIJS9_S6_EEENSD_IJSA_SA_EEENS0_18inequality_wrapperIZN2at6native12_GLOBAL__N_124unique_dim_cuda_templateIhEESt5tupleIJNSH_6TensorESM_SM_EERKSM_lbbbEUlllE0_EEPmJS6_EEE10hipError_tPvRmT3_T4_T5_T6_T7_T9_mT8_P12ihipStream_tbDpT10_ENKUlT_T0_E_clISt17integral_constantIbLb0EES1C_EEDaS17_S18_EUlS17_E_NS1_11comp_targetILNS1_3genE8ELNS1_11target_archE1030ELNS1_3gpuE2ELNS1_3repE0EEENS1_30default_config_static_selectorELNS0_4arch9wavefront6targetE0EEEvT1_,comdat
	.globl	_ZN7rocprim17ROCPRIM_400000_NS6detail17trampoline_kernelINS0_14default_configENS1_25partition_config_selectorILNS1_17partition_subalgoE8ElNS0_10empty_typeEbEEZZNS1_14partition_implILS5_8ELb0ES3_jPlPS6_PKS6_NS0_5tupleIJS9_S6_EEENSD_IJSA_SA_EEENS0_18inequality_wrapperIZN2at6native12_GLOBAL__N_124unique_dim_cuda_templateIhEESt5tupleIJNSH_6TensorESM_SM_EERKSM_lbbbEUlllE0_EEPmJS6_EEE10hipError_tPvRmT3_T4_T5_T6_T7_T9_mT8_P12ihipStream_tbDpT10_ENKUlT_T0_E_clISt17integral_constantIbLb0EES1C_EEDaS17_S18_EUlS17_E_NS1_11comp_targetILNS1_3genE8ELNS1_11target_archE1030ELNS1_3gpuE2ELNS1_3repE0EEENS1_30default_config_static_selectorELNS0_4arch9wavefront6targetE0EEEvT1_ ; -- Begin function _ZN7rocprim17ROCPRIM_400000_NS6detail17trampoline_kernelINS0_14default_configENS1_25partition_config_selectorILNS1_17partition_subalgoE8ElNS0_10empty_typeEbEEZZNS1_14partition_implILS5_8ELb0ES3_jPlPS6_PKS6_NS0_5tupleIJS9_S6_EEENSD_IJSA_SA_EEENS0_18inequality_wrapperIZN2at6native12_GLOBAL__N_124unique_dim_cuda_templateIhEESt5tupleIJNSH_6TensorESM_SM_EERKSM_lbbbEUlllE0_EEPmJS6_EEE10hipError_tPvRmT3_T4_T5_T6_T7_T9_mT8_P12ihipStream_tbDpT10_ENKUlT_T0_E_clISt17integral_constantIbLb0EES1C_EEDaS17_S18_EUlS17_E_NS1_11comp_targetILNS1_3genE8ELNS1_11target_archE1030ELNS1_3gpuE2ELNS1_3repE0EEENS1_30default_config_static_selectorELNS0_4arch9wavefront6targetE0EEEvT1_
	.p2align	8
	.type	_ZN7rocprim17ROCPRIM_400000_NS6detail17trampoline_kernelINS0_14default_configENS1_25partition_config_selectorILNS1_17partition_subalgoE8ElNS0_10empty_typeEbEEZZNS1_14partition_implILS5_8ELb0ES3_jPlPS6_PKS6_NS0_5tupleIJS9_S6_EEENSD_IJSA_SA_EEENS0_18inequality_wrapperIZN2at6native12_GLOBAL__N_124unique_dim_cuda_templateIhEESt5tupleIJNSH_6TensorESM_SM_EERKSM_lbbbEUlllE0_EEPmJS6_EEE10hipError_tPvRmT3_T4_T5_T6_T7_T9_mT8_P12ihipStream_tbDpT10_ENKUlT_T0_E_clISt17integral_constantIbLb0EES1C_EEDaS17_S18_EUlS17_E_NS1_11comp_targetILNS1_3genE8ELNS1_11target_archE1030ELNS1_3gpuE2ELNS1_3repE0EEENS1_30default_config_static_selectorELNS0_4arch9wavefront6targetE0EEEvT1_,@function
_ZN7rocprim17ROCPRIM_400000_NS6detail17trampoline_kernelINS0_14default_configENS1_25partition_config_selectorILNS1_17partition_subalgoE8ElNS0_10empty_typeEbEEZZNS1_14partition_implILS5_8ELb0ES3_jPlPS6_PKS6_NS0_5tupleIJS9_S6_EEENSD_IJSA_SA_EEENS0_18inequality_wrapperIZN2at6native12_GLOBAL__N_124unique_dim_cuda_templateIhEESt5tupleIJNSH_6TensorESM_SM_EERKSM_lbbbEUlllE0_EEPmJS6_EEE10hipError_tPvRmT3_T4_T5_T6_T7_T9_mT8_P12ihipStream_tbDpT10_ENKUlT_T0_E_clISt17integral_constantIbLb0EES1C_EEDaS17_S18_EUlS17_E_NS1_11comp_targetILNS1_3genE8ELNS1_11target_archE1030ELNS1_3gpuE2ELNS1_3repE0EEENS1_30default_config_static_selectorELNS0_4arch9wavefront6targetE0EEEvT1_: ; @_ZN7rocprim17ROCPRIM_400000_NS6detail17trampoline_kernelINS0_14default_configENS1_25partition_config_selectorILNS1_17partition_subalgoE8ElNS0_10empty_typeEbEEZZNS1_14partition_implILS5_8ELb0ES3_jPlPS6_PKS6_NS0_5tupleIJS9_S6_EEENSD_IJSA_SA_EEENS0_18inequality_wrapperIZN2at6native12_GLOBAL__N_124unique_dim_cuda_templateIhEESt5tupleIJNSH_6TensorESM_SM_EERKSM_lbbbEUlllE0_EEPmJS6_EEE10hipError_tPvRmT3_T4_T5_T6_T7_T9_mT8_P12ihipStream_tbDpT10_ENKUlT_T0_E_clISt17integral_constantIbLb0EES1C_EEDaS17_S18_EUlS17_E_NS1_11comp_targetILNS1_3genE8ELNS1_11target_archE1030ELNS1_3gpuE2ELNS1_3repE0EEENS1_30default_config_static_selectorELNS0_4arch9wavefront6targetE0EEEvT1_
; %bb.0:
	.section	.rodata,"a",@progbits
	.p2align	6, 0x0
	.amdhsa_kernel _ZN7rocprim17ROCPRIM_400000_NS6detail17trampoline_kernelINS0_14default_configENS1_25partition_config_selectorILNS1_17partition_subalgoE8ElNS0_10empty_typeEbEEZZNS1_14partition_implILS5_8ELb0ES3_jPlPS6_PKS6_NS0_5tupleIJS9_S6_EEENSD_IJSA_SA_EEENS0_18inequality_wrapperIZN2at6native12_GLOBAL__N_124unique_dim_cuda_templateIhEESt5tupleIJNSH_6TensorESM_SM_EERKSM_lbbbEUlllE0_EEPmJS6_EEE10hipError_tPvRmT3_T4_T5_T6_T7_T9_mT8_P12ihipStream_tbDpT10_ENKUlT_T0_E_clISt17integral_constantIbLb0EES1C_EEDaS17_S18_EUlS17_E_NS1_11comp_targetILNS1_3genE8ELNS1_11target_archE1030ELNS1_3gpuE2ELNS1_3repE0EEENS1_30default_config_static_selectorELNS0_4arch9wavefront6targetE0EEEvT1_
		.amdhsa_group_segment_fixed_size 0
		.amdhsa_private_segment_fixed_size 0
		.amdhsa_kernarg_size 120
		.amdhsa_user_sgpr_count 15
		.amdhsa_user_sgpr_dispatch_ptr 0
		.amdhsa_user_sgpr_queue_ptr 0
		.amdhsa_user_sgpr_kernarg_segment_ptr 1
		.amdhsa_user_sgpr_dispatch_id 0
		.amdhsa_user_sgpr_private_segment_size 0
		.amdhsa_wavefront_size32 1
		.amdhsa_uses_dynamic_stack 0
		.amdhsa_enable_private_segment 0
		.amdhsa_system_sgpr_workgroup_id_x 1
		.amdhsa_system_sgpr_workgroup_id_y 0
		.amdhsa_system_sgpr_workgroup_id_z 0
		.amdhsa_system_sgpr_workgroup_info 0
		.amdhsa_system_vgpr_workitem_id 0
		.amdhsa_next_free_vgpr 1
		.amdhsa_next_free_sgpr 1
		.amdhsa_reserve_vcc 0
		.amdhsa_float_round_mode_32 0
		.amdhsa_float_round_mode_16_64 0
		.amdhsa_float_denorm_mode_32 3
		.amdhsa_float_denorm_mode_16_64 3
		.amdhsa_dx10_clamp 1
		.amdhsa_ieee_mode 1
		.amdhsa_fp16_overflow 0
		.amdhsa_workgroup_processor_mode 1
		.amdhsa_memory_ordered 1
		.amdhsa_forward_progress 0
		.amdhsa_shared_vgpr_count 0
		.amdhsa_exception_fp_ieee_invalid_op 0
		.amdhsa_exception_fp_denorm_src 0
		.amdhsa_exception_fp_ieee_div_zero 0
		.amdhsa_exception_fp_ieee_overflow 0
		.amdhsa_exception_fp_ieee_underflow 0
		.amdhsa_exception_fp_ieee_inexact 0
		.amdhsa_exception_int_div_zero 0
	.end_amdhsa_kernel
	.section	.text._ZN7rocprim17ROCPRIM_400000_NS6detail17trampoline_kernelINS0_14default_configENS1_25partition_config_selectorILNS1_17partition_subalgoE8ElNS0_10empty_typeEbEEZZNS1_14partition_implILS5_8ELb0ES3_jPlPS6_PKS6_NS0_5tupleIJS9_S6_EEENSD_IJSA_SA_EEENS0_18inequality_wrapperIZN2at6native12_GLOBAL__N_124unique_dim_cuda_templateIhEESt5tupleIJNSH_6TensorESM_SM_EERKSM_lbbbEUlllE0_EEPmJS6_EEE10hipError_tPvRmT3_T4_T5_T6_T7_T9_mT8_P12ihipStream_tbDpT10_ENKUlT_T0_E_clISt17integral_constantIbLb0EES1C_EEDaS17_S18_EUlS17_E_NS1_11comp_targetILNS1_3genE8ELNS1_11target_archE1030ELNS1_3gpuE2ELNS1_3repE0EEENS1_30default_config_static_selectorELNS0_4arch9wavefront6targetE0EEEvT1_,"axG",@progbits,_ZN7rocprim17ROCPRIM_400000_NS6detail17trampoline_kernelINS0_14default_configENS1_25partition_config_selectorILNS1_17partition_subalgoE8ElNS0_10empty_typeEbEEZZNS1_14partition_implILS5_8ELb0ES3_jPlPS6_PKS6_NS0_5tupleIJS9_S6_EEENSD_IJSA_SA_EEENS0_18inequality_wrapperIZN2at6native12_GLOBAL__N_124unique_dim_cuda_templateIhEESt5tupleIJNSH_6TensorESM_SM_EERKSM_lbbbEUlllE0_EEPmJS6_EEE10hipError_tPvRmT3_T4_T5_T6_T7_T9_mT8_P12ihipStream_tbDpT10_ENKUlT_T0_E_clISt17integral_constantIbLb0EES1C_EEDaS17_S18_EUlS17_E_NS1_11comp_targetILNS1_3genE8ELNS1_11target_archE1030ELNS1_3gpuE2ELNS1_3repE0EEENS1_30default_config_static_selectorELNS0_4arch9wavefront6targetE0EEEvT1_,comdat
.Lfunc_end168:
	.size	_ZN7rocprim17ROCPRIM_400000_NS6detail17trampoline_kernelINS0_14default_configENS1_25partition_config_selectorILNS1_17partition_subalgoE8ElNS0_10empty_typeEbEEZZNS1_14partition_implILS5_8ELb0ES3_jPlPS6_PKS6_NS0_5tupleIJS9_S6_EEENSD_IJSA_SA_EEENS0_18inequality_wrapperIZN2at6native12_GLOBAL__N_124unique_dim_cuda_templateIhEESt5tupleIJNSH_6TensorESM_SM_EERKSM_lbbbEUlllE0_EEPmJS6_EEE10hipError_tPvRmT3_T4_T5_T6_T7_T9_mT8_P12ihipStream_tbDpT10_ENKUlT_T0_E_clISt17integral_constantIbLb0EES1C_EEDaS17_S18_EUlS17_E_NS1_11comp_targetILNS1_3genE8ELNS1_11target_archE1030ELNS1_3gpuE2ELNS1_3repE0EEENS1_30default_config_static_selectorELNS0_4arch9wavefront6targetE0EEEvT1_, .Lfunc_end168-_ZN7rocprim17ROCPRIM_400000_NS6detail17trampoline_kernelINS0_14default_configENS1_25partition_config_selectorILNS1_17partition_subalgoE8ElNS0_10empty_typeEbEEZZNS1_14partition_implILS5_8ELb0ES3_jPlPS6_PKS6_NS0_5tupleIJS9_S6_EEENSD_IJSA_SA_EEENS0_18inequality_wrapperIZN2at6native12_GLOBAL__N_124unique_dim_cuda_templateIhEESt5tupleIJNSH_6TensorESM_SM_EERKSM_lbbbEUlllE0_EEPmJS6_EEE10hipError_tPvRmT3_T4_T5_T6_T7_T9_mT8_P12ihipStream_tbDpT10_ENKUlT_T0_E_clISt17integral_constantIbLb0EES1C_EEDaS17_S18_EUlS17_E_NS1_11comp_targetILNS1_3genE8ELNS1_11target_archE1030ELNS1_3gpuE2ELNS1_3repE0EEENS1_30default_config_static_selectorELNS0_4arch9wavefront6targetE0EEEvT1_
                                        ; -- End function
	.section	.AMDGPU.csdata,"",@progbits
; Kernel info:
; codeLenInByte = 0
; NumSgprs: 0
; NumVgprs: 0
; ScratchSize: 0
; MemoryBound: 0
; FloatMode: 240
; IeeeMode: 1
; LDSByteSize: 0 bytes/workgroup (compile time only)
; SGPRBlocks: 0
; VGPRBlocks: 0
; NumSGPRsForWavesPerEU: 1
; NumVGPRsForWavesPerEU: 1
; Occupancy: 16
; WaveLimiterHint : 0
; COMPUTE_PGM_RSRC2:SCRATCH_EN: 0
; COMPUTE_PGM_RSRC2:USER_SGPR: 15
; COMPUTE_PGM_RSRC2:TRAP_HANDLER: 0
; COMPUTE_PGM_RSRC2:TGID_X_EN: 1
; COMPUTE_PGM_RSRC2:TGID_Y_EN: 0
; COMPUTE_PGM_RSRC2:TGID_Z_EN: 0
; COMPUTE_PGM_RSRC2:TIDIG_COMP_CNT: 0
	.section	.text._ZN7rocprim17ROCPRIM_400000_NS6detail17trampoline_kernelINS0_14default_configENS1_25transform_config_selectorImLb1EEEZNS1_14transform_implILb1ES3_S5_PmS7_NS0_8identityIvEEEE10hipError_tT2_T3_mT4_P12ihipStream_tbEUlT_E_NS1_11comp_targetILNS1_3genE0ELNS1_11target_archE4294967295ELNS1_3gpuE0ELNS1_3repE0EEENS1_30default_config_static_selectorELNS0_4arch9wavefront6targetE0EEEvT1_,"axG",@progbits,_ZN7rocprim17ROCPRIM_400000_NS6detail17trampoline_kernelINS0_14default_configENS1_25transform_config_selectorImLb1EEEZNS1_14transform_implILb1ES3_S5_PmS7_NS0_8identityIvEEEE10hipError_tT2_T3_mT4_P12ihipStream_tbEUlT_E_NS1_11comp_targetILNS1_3genE0ELNS1_11target_archE4294967295ELNS1_3gpuE0ELNS1_3repE0EEENS1_30default_config_static_selectorELNS0_4arch9wavefront6targetE0EEEvT1_,comdat
	.protected	_ZN7rocprim17ROCPRIM_400000_NS6detail17trampoline_kernelINS0_14default_configENS1_25transform_config_selectorImLb1EEEZNS1_14transform_implILb1ES3_S5_PmS7_NS0_8identityIvEEEE10hipError_tT2_T3_mT4_P12ihipStream_tbEUlT_E_NS1_11comp_targetILNS1_3genE0ELNS1_11target_archE4294967295ELNS1_3gpuE0ELNS1_3repE0EEENS1_30default_config_static_selectorELNS0_4arch9wavefront6targetE0EEEvT1_ ; -- Begin function _ZN7rocprim17ROCPRIM_400000_NS6detail17trampoline_kernelINS0_14default_configENS1_25transform_config_selectorImLb1EEEZNS1_14transform_implILb1ES3_S5_PmS7_NS0_8identityIvEEEE10hipError_tT2_T3_mT4_P12ihipStream_tbEUlT_E_NS1_11comp_targetILNS1_3genE0ELNS1_11target_archE4294967295ELNS1_3gpuE0ELNS1_3repE0EEENS1_30default_config_static_selectorELNS0_4arch9wavefront6targetE0EEEvT1_
	.globl	_ZN7rocprim17ROCPRIM_400000_NS6detail17trampoline_kernelINS0_14default_configENS1_25transform_config_selectorImLb1EEEZNS1_14transform_implILb1ES3_S5_PmS7_NS0_8identityIvEEEE10hipError_tT2_T3_mT4_P12ihipStream_tbEUlT_E_NS1_11comp_targetILNS1_3genE0ELNS1_11target_archE4294967295ELNS1_3gpuE0ELNS1_3repE0EEENS1_30default_config_static_selectorELNS0_4arch9wavefront6targetE0EEEvT1_
	.p2align	8
	.type	_ZN7rocprim17ROCPRIM_400000_NS6detail17trampoline_kernelINS0_14default_configENS1_25transform_config_selectorImLb1EEEZNS1_14transform_implILb1ES3_S5_PmS7_NS0_8identityIvEEEE10hipError_tT2_T3_mT4_P12ihipStream_tbEUlT_E_NS1_11comp_targetILNS1_3genE0ELNS1_11target_archE4294967295ELNS1_3gpuE0ELNS1_3repE0EEENS1_30default_config_static_selectorELNS0_4arch9wavefront6targetE0EEEvT1_,@function
_ZN7rocprim17ROCPRIM_400000_NS6detail17trampoline_kernelINS0_14default_configENS1_25transform_config_selectorImLb1EEEZNS1_14transform_implILb1ES3_S5_PmS7_NS0_8identityIvEEEE10hipError_tT2_T3_mT4_P12ihipStream_tbEUlT_E_NS1_11comp_targetILNS1_3genE0ELNS1_11target_archE4294967295ELNS1_3gpuE0ELNS1_3repE0EEENS1_30default_config_static_selectorELNS0_4arch9wavefront6targetE0EEEvT1_: ; @_ZN7rocprim17ROCPRIM_400000_NS6detail17trampoline_kernelINS0_14default_configENS1_25transform_config_selectorImLb1EEEZNS1_14transform_implILb1ES3_S5_PmS7_NS0_8identityIvEEEE10hipError_tT2_T3_mT4_P12ihipStream_tbEUlT_E_NS1_11comp_targetILNS1_3genE0ELNS1_11target_archE4294967295ELNS1_3gpuE0ELNS1_3repE0EEENS1_30default_config_static_selectorELNS0_4arch9wavefront6targetE0EEEvT1_
; %bb.0:
	.section	.rodata,"a",@progbits
	.p2align	6, 0x0
	.amdhsa_kernel _ZN7rocprim17ROCPRIM_400000_NS6detail17trampoline_kernelINS0_14default_configENS1_25transform_config_selectorImLb1EEEZNS1_14transform_implILb1ES3_S5_PmS7_NS0_8identityIvEEEE10hipError_tT2_T3_mT4_P12ihipStream_tbEUlT_E_NS1_11comp_targetILNS1_3genE0ELNS1_11target_archE4294967295ELNS1_3gpuE0ELNS1_3repE0EEENS1_30default_config_static_selectorELNS0_4arch9wavefront6targetE0EEEvT1_
		.amdhsa_group_segment_fixed_size 0
		.amdhsa_private_segment_fixed_size 0
		.amdhsa_kernarg_size 40
		.amdhsa_user_sgpr_count 15
		.amdhsa_user_sgpr_dispatch_ptr 0
		.amdhsa_user_sgpr_queue_ptr 0
		.amdhsa_user_sgpr_kernarg_segment_ptr 1
		.amdhsa_user_sgpr_dispatch_id 0
		.amdhsa_user_sgpr_private_segment_size 0
		.amdhsa_wavefront_size32 1
		.amdhsa_uses_dynamic_stack 0
		.amdhsa_enable_private_segment 0
		.amdhsa_system_sgpr_workgroup_id_x 1
		.amdhsa_system_sgpr_workgroup_id_y 0
		.amdhsa_system_sgpr_workgroup_id_z 0
		.amdhsa_system_sgpr_workgroup_info 0
		.amdhsa_system_vgpr_workitem_id 0
		.amdhsa_next_free_vgpr 1
		.amdhsa_next_free_sgpr 1
		.amdhsa_reserve_vcc 0
		.amdhsa_float_round_mode_32 0
		.amdhsa_float_round_mode_16_64 0
		.amdhsa_float_denorm_mode_32 3
		.amdhsa_float_denorm_mode_16_64 3
		.amdhsa_dx10_clamp 1
		.amdhsa_ieee_mode 1
		.amdhsa_fp16_overflow 0
		.amdhsa_workgroup_processor_mode 1
		.amdhsa_memory_ordered 1
		.amdhsa_forward_progress 0
		.amdhsa_shared_vgpr_count 0
		.amdhsa_exception_fp_ieee_invalid_op 0
		.amdhsa_exception_fp_denorm_src 0
		.amdhsa_exception_fp_ieee_div_zero 0
		.amdhsa_exception_fp_ieee_overflow 0
		.amdhsa_exception_fp_ieee_underflow 0
		.amdhsa_exception_fp_ieee_inexact 0
		.amdhsa_exception_int_div_zero 0
	.end_amdhsa_kernel
	.section	.text._ZN7rocprim17ROCPRIM_400000_NS6detail17trampoline_kernelINS0_14default_configENS1_25transform_config_selectorImLb1EEEZNS1_14transform_implILb1ES3_S5_PmS7_NS0_8identityIvEEEE10hipError_tT2_T3_mT4_P12ihipStream_tbEUlT_E_NS1_11comp_targetILNS1_3genE0ELNS1_11target_archE4294967295ELNS1_3gpuE0ELNS1_3repE0EEENS1_30default_config_static_selectorELNS0_4arch9wavefront6targetE0EEEvT1_,"axG",@progbits,_ZN7rocprim17ROCPRIM_400000_NS6detail17trampoline_kernelINS0_14default_configENS1_25transform_config_selectorImLb1EEEZNS1_14transform_implILb1ES3_S5_PmS7_NS0_8identityIvEEEE10hipError_tT2_T3_mT4_P12ihipStream_tbEUlT_E_NS1_11comp_targetILNS1_3genE0ELNS1_11target_archE4294967295ELNS1_3gpuE0ELNS1_3repE0EEENS1_30default_config_static_selectorELNS0_4arch9wavefront6targetE0EEEvT1_,comdat
.Lfunc_end169:
	.size	_ZN7rocprim17ROCPRIM_400000_NS6detail17trampoline_kernelINS0_14default_configENS1_25transform_config_selectorImLb1EEEZNS1_14transform_implILb1ES3_S5_PmS7_NS0_8identityIvEEEE10hipError_tT2_T3_mT4_P12ihipStream_tbEUlT_E_NS1_11comp_targetILNS1_3genE0ELNS1_11target_archE4294967295ELNS1_3gpuE0ELNS1_3repE0EEENS1_30default_config_static_selectorELNS0_4arch9wavefront6targetE0EEEvT1_, .Lfunc_end169-_ZN7rocprim17ROCPRIM_400000_NS6detail17trampoline_kernelINS0_14default_configENS1_25transform_config_selectorImLb1EEEZNS1_14transform_implILb1ES3_S5_PmS7_NS0_8identityIvEEEE10hipError_tT2_T3_mT4_P12ihipStream_tbEUlT_E_NS1_11comp_targetILNS1_3genE0ELNS1_11target_archE4294967295ELNS1_3gpuE0ELNS1_3repE0EEENS1_30default_config_static_selectorELNS0_4arch9wavefront6targetE0EEEvT1_
                                        ; -- End function
	.section	.AMDGPU.csdata,"",@progbits
; Kernel info:
; codeLenInByte = 0
; NumSgprs: 0
; NumVgprs: 0
; ScratchSize: 0
; MemoryBound: 0
; FloatMode: 240
; IeeeMode: 1
; LDSByteSize: 0 bytes/workgroup (compile time only)
; SGPRBlocks: 0
; VGPRBlocks: 0
; NumSGPRsForWavesPerEU: 1
; NumVGPRsForWavesPerEU: 1
; Occupancy: 16
; WaveLimiterHint : 0
; COMPUTE_PGM_RSRC2:SCRATCH_EN: 0
; COMPUTE_PGM_RSRC2:USER_SGPR: 15
; COMPUTE_PGM_RSRC2:TRAP_HANDLER: 0
; COMPUTE_PGM_RSRC2:TGID_X_EN: 1
; COMPUTE_PGM_RSRC2:TGID_Y_EN: 0
; COMPUTE_PGM_RSRC2:TGID_Z_EN: 0
; COMPUTE_PGM_RSRC2:TIDIG_COMP_CNT: 0
	.section	.text._ZN7rocprim17ROCPRIM_400000_NS6detail17trampoline_kernelINS0_14default_configENS1_25transform_config_selectorImLb1EEEZNS1_14transform_implILb1ES3_S5_PmS7_NS0_8identityIvEEEE10hipError_tT2_T3_mT4_P12ihipStream_tbEUlT_E_NS1_11comp_targetILNS1_3genE10ELNS1_11target_archE1201ELNS1_3gpuE5ELNS1_3repE0EEENS1_30default_config_static_selectorELNS0_4arch9wavefront6targetE0EEEvT1_,"axG",@progbits,_ZN7rocprim17ROCPRIM_400000_NS6detail17trampoline_kernelINS0_14default_configENS1_25transform_config_selectorImLb1EEEZNS1_14transform_implILb1ES3_S5_PmS7_NS0_8identityIvEEEE10hipError_tT2_T3_mT4_P12ihipStream_tbEUlT_E_NS1_11comp_targetILNS1_3genE10ELNS1_11target_archE1201ELNS1_3gpuE5ELNS1_3repE0EEENS1_30default_config_static_selectorELNS0_4arch9wavefront6targetE0EEEvT1_,comdat
	.protected	_ZN7rocprim17ROCPRIM_400000_NS6detail17trampoline_kernelINS0_14default_configENS1_25transform_config_selectorImLb1EEEZNS1_14transform_implILb1ES3_S5_PmS7_NS0_8identityIvEEEE10hipError_tT2_T3_mT4_P12ihipStream_tbEUlT_E_NS1_11comp_targetILNS1_3genE10ELNS1_11target_archE1201ELNS1_3gpuE5ELNS1_3repE0EEENS1_30default_config_static_selectorELNS0_4arch9wavefront6targetE0EEEvT1_ ; -- Begin function _ZN7rocprim17ROCPRIM_400000_NS6detail17trampoline_kernelINS0_14default_configENS1_25transform_config_selectorImLb1EEEZNS1_14transform_implILb1ES3_S5_PmS7_NS0_8identityIvEEEE10hipError_tT2_T3_mT4_P12ihipStream_tbEUlT_E_NS1_11comp_targetILNS1_3genE10ELNS1_11target_archE1201ELNS1_3gpuE5ELNS1_3repE0EEENS1_30default_config_static_selectorELNS0_4arch9wavefront6targetE0EEEvT1_
	.globl	_ZN7rocprim17ROCPRIM_400000_NS6detail17trampoline_kernelINS0_14default_configENS1_25transform_config_selectorImLb1EEEZNS1_14transform_implILb1ES3_S5_PmS7_NS0_8identityIvEEEE10hipError_tT2_T3_mT4_P12ihipStream_tbEUlT_E_NS1_11comp_targetILNS1_3genE10ELNS1_11target_archE1201ELNS1_3gpuE5ELNS1_3repE0EEENS1_30default_config_static_selectorELNS0_4arch9wavefront6targetE0EEEvT1_
	.p2align	8
	.type	_ZN7rocprim17ROCPRIM_400000_NS6detail17trampoline_kernelINS0_14default_configENS1_25transform_config_selectorImLb1EEEZNS1_14transform_implILb1ES3_S5_PmS7_NS0_8identityIvEEEE10hipError_tT2_T3_mT4_P12ihipStream_tbEUlT_E_NS1_11comp_targetILNS1_3genE10ELNS1_11target_archE1201ELNS1_3gpuE5ELNS1_3repE0EEENS1_30default_config_static_selectorELNS0_4arch9wavefront6targetE0EEEvT1_,@function
_ZN7rocprim17ROCPRIM_400000_NS6detail17trampoline_kernelINS0_14default_configENS1_25transform_config_selectorImLb1EEEZNS1_14transform_implILb1ES3_S5_PmS7_NS0_8identityIvEEEE10hipError_tT2_T3_mT4_P12ihipStream_tbEUlT_E_NS1_11comp_targetILNS1_3genE10ELNS1_11target_archE1201ELNS1_3gpuE5ELNS1_3repE0EEENS1_30default_config_static_selectorELNS0_4arch9wavefront6targetE0EEEvT1_: ; @_ZN7rocprim17ROCPRIM_400000_NS6detail17trampoline_kernelINS0_14default_configENS1_25transform_config_selectorImLb1EEEZNS1_14transform_implILb1ES3_S5_PmS7_NS0_8identityIvEEEE10hipError_tT2_T3_mT4_P12ihipStream_tbEUlT_E_NS1_11comp_targetILNS1_3genE10ELNS1_11target_archE1201ELNS1_3gpuE5ELNS1_3repE0EEENS1_30default_config_static_selectorELNS0_4arch9wavefront6targetE0EEEvT1_
; %bb.0:
	.section	.rodata,"a",@progbits
	.p2align	6, 0x0
	.amdhsa_kernel _ZN7rocprim17ROCPRIM_400000_NS6detail17trampoline_kernelINS0_14default_configENS1_25transform_config_selectorImLb1EEEZNS1_14transform_implILb1ES3_S5_PmS7_NS0_8identityIvEEEE10hipError_tT2_T3_mT4_P12ihipStream_tbEUlT_E_NS1_11comp_targetILNS1_3genE10ELNS1_11target_archE1201ELNS1_3gpuE5ELNS1_3repE0EEENS1_30default_config_static_selectorELNS0_4arch9wavefront6targetE0EEEvT1_
		.amdhsa_group_segment_fixed_size 0
		.amdhsa_private_segment_fixed_size 0
		.amdhsa_kernarg_size 40
		.amdhsa_user_sgpr_count 15
		.amdhsa_user_sgpr_dispatch_ptr 0
		.amdhsa_user_sgpr_queue_ptr 0
		.amdhsa_user_sgpr_kernarg_segment_ptr 1
		.amdhsa_user_sgpr_dispatch_id 0
		.amdhsa_user_sgpr_private_segment_size 0
		.amdhsa_wavefront_size32 1
		.amdhsa_uses_dynamic_stack 0
		.amdhsa_enable_private_segment 0
		.amdhsa_system_sgpr_workgroup_id_x 1
		.amdhsa_system_sgpr_workgroup_id_y 0
		.amdhsa_system_sgpr_workgroup_id_z 0
		.amdhsa_system_sgpr_workgroup_info 0
		.amdhsa_system_vgpr_workitem_id 0
		.amdhsa_next_free_vgpr 1
		.amdhsa_next_free_sgpr 1
		.amdhsa_reserve_vcc 0
		.amdhsa_float_round_mode_32 0
		.amdhsa_float_round_mode_16_64 0
		.amdhsa_float_denorm_mode_32 3
		.amdhsa_float_denorm_mode_16_64 3
		.amdhsa_dx10_clamp 1
		.amdhsa_ieee_mode 1
		.amdhsa_fp16_overflow 0
		.amdhsa_workgroup_processor_mode 1
		.amdhsa_memory_ordered 1
		.amdhsa_forward_progress 0
		.amdhsa_shared_vgpr_count 0
		.amdhsa_exception_fp_ieee_invalid_op 0
		.amdhsa_exception_fp_denorm_src 0
		.amdhsa_exception_fp_ieee_div_zero 0
		.amdhsa_exception_fp_ieee_overflow 0
		.amdhsa_exception_fp_ieee_underflow 0
		.amdhsa_exception_fp_ieee_inexact 0
		.amdhsa_exception_int_div_zero 0
	.end_amdhsa_kernel
	.section	.text._ZN7rocprim17ROCPRIM_400000_NS6detail17trampoline_kernelINS0_14default_configENS1_25transform_config_selectorImLb1EEEZNS1_14transform_implILb1ES3_S5_PmS7_NS0_8identityIvEEEE10hipError_tT2_T3_mT4_P12ihipStream_tbEUlT_E_NS1_11comp_targetILNS1_3genE10ELNS1_11target_archE1201ELNS1_3gpuE5ELNS1_3repE0EEENS1_30default_config_static_selectorELNS0_4arch9wavefront6targetE0EEEvT1_,"axG",@progbits,_ZN7rocprim17ROCPRIM_400000_NS6detail17trampoline_kernelINS0_14default_configENS1_25transform_config_selectorImLb1EEEZNS1_14transform_implILb1ES3_S5_PmS7_NS0_8identityIvEEEE10hipError_tT2_T3_mT4_P12ihipStream_tbEUlT_E_NS1_11comp_targetILNS1_3genE10ELNS1_11target_archE1201ELNS1_3gpuE5ELNS1_3repE0EEENS1_30default_config_static_selectorELNS0_4arch9wavefront6targetE0EEEvT1_,comdat
.Lfunc_end170:
	.size	_ZN7rocprim17ROCPRIM_400000_NS6detail17trampoline_kernelINS0_14default_configENS1_25transform_config_selectorImLb1EEEZNS1_14transform_implILb1ES3_S5_PmS7_NS0_8identityIvEEEE10hipError_tT2_T3_mT4_P12ihipStream_tbEUlT_E_NS1_11comp_targetILNS1_3genE10ELNS1_11target_archE1201ELNS1_3gpuE5ELNS1_3repE0EEENS1_30default_config_static_selectorELNS0_4arch9wavefront6targetE0EEEvT1_, .Lfunc_end170-_ZN7rocprim17ROCPRIM_400000_NS6detail17trampoline_kernelINS0_14default_configENS1_25transform_config_selectorImLb1EEEZNS1_14transform_implILb1ES3_S5_PmS7_NS0_8identityIvEEEE10hipError_tT2_T3_mT4_P12ihipStream_tbEUlT_E_NS1_11comp_targetILNS1_3genE10ELNS1_11target_archE1201ELNS1_3gpuE5ELNS1_3repE0EEENS1_30default_config_static_selectorELNS0_4arch9wavefront6targetE0EEEvT1_
                                        ; -- End function
	.section	.AMDGPU.csdata,"",@progbits
; Kernel info:
; codeLenInByte = 0
; NumSgprs: 0
; NumVgprs: 0
; ScratchSize: 0
; MemoryBound: 0
; FloatMode: 240
; IeeeMode: 1
; LDSByteSize: 0 bytes/workgroup (compile time only)
; SGPRBlocks: 0
; VGPRBlocks: 0
; NumSGPRsForWavesPerEU: 1
; NumVGPRsForWavesPerEU: 1
; Occupancy: 16
; WaveLimiterHint : 0
; COMPUTE_PGM_RSRC2:SCRATCH_EN: 0
; COMPUTE_PGM_RSRC2:USER_SGPR: 15
; COMPUTE_PGM_RSRC2:TRAP_HANDLER: 0
; COMPUTE_PGM_RSRC2:TGID_X_EN: 1
; COMPUTE_PGM_RSRC2:TGID_Y_EN: 0
; COMPUTE_PGM_RSRC2:TGID_Z_EN: 0
; COMPUTE_PGM_RSRC2:TIDIG_COMP_CNT: 0
	.section	.text._ZN7rocprim17ROCPRIM_400000_NS6detail17trampoline_kernelINS0_14default_configENS1_25transform_config_selectorImLb1EEEZNS1_14transform_implILb1ES3_S5_PmS7_NS0_8identityIvEEEE10hipError_tT2_T3_mT4_P12ihipStream_tbEUlT_E_NS1_11comp_targetILNS1_3genE5ELNS1_11target_archE942ELNS1_3gpuE9ELNS1_3repE0EEENS1_30default_config_static_selectorELNS0_4arch9wavefront6targetE0EEEvT1_,"axG",@progbits,_ZN7rocprim17ROCPRIM_400000_NS6detail17trampoline_kernelINS0_14default_configENS1_25transform_config_selectorImLb1EEEZNS1_14transform_implILb1ES3_S5_PmS7_NS0_8identityIvEEEE10hipError_tT2_T3_mT4_P12ihipStream_tbEUlT_E_NS1_11comp_targetILNS1_3genE5ELNS1_11target_archE942ELNS1_3gpuE9ELNS1_3repE0EEENS1_30default_config_static_selectorELNS0_4arch9wavefront6targetE0EEEvT1_,comdat
	.protected	_ZN7rocprim17ROCPRIM_400000_NS6detail17trampoline_kernelINS0_14default_configENS1_25transform_config_selectorImLb1EEEZNS1_14transform_implILb1ES3_S5_PmS7_NS0_8identityIvEEEE10hipError_tT2_T3_mT4_P12ihipStream_tbEUlT_E_NS1_11comp_targetILNS1_3genE5ELNS1_11target_archE942ELNS1_3gpuE9ELNS1_3repE0EEENS1_30default_config_static_selectorELNS0_4arch9wavefront6targetE0EEEvT1_ ; -- Begin function _ZN7rocprim17ROCPRIM_400000_NS6detail17trampoline_kernelINS0_14default_configENS1_25transform_config_selectorImLb1EEEZNS1_14transform_implILb1ES3_S5_PmS7_NS0_8identityIvEEEE10hipError_tT2_T3_mT4_P12ihipStream_tbEUlT_E_NS1_11comp_targetILNS1_3genE5ELNS1_11target_archE942ELNS1_3gpuE9ELNS1_3repE0EEENS1_30default_config_static_selectorELNS0_4arch9wavefront6targetE0EEEvT1_
	.globl	_ZN7rocprim17ROCPRIM_400000_NS6detail17trampoline_kernelINS0_14default_configENS1_25transform_config_selectorImLb1EEEZNS1_14transform_implILb1ES3_S5_PmS7_NS0_8identityIvEEEE10hipError_tT2_T3_mT4_P12ihipStream_tbEUlT_E_NS1_11comp_targetILNS1_3genE5ELNS1_11target_archE942ELNS1_3gpuE9ELNS1_3repE0EEENS1_30default_config_static_selectorELNS0_4arch9wavefront6targetE0EEEvT1_
	.p2align	8
	.type	_ZN7rocprim17ROCPRIM_400000_NS6detail17trampoline_kernelINS0_14default_configENS1_25transform_config_selectorImLb1EEEZNS1_14transform_implILb1ES3_S5_PmS7_NS0_8identityIvEEEE10hipError_tT2_T3_mT4_P12ihipStream_tbEUlT_E_NS1_11comp_targetILNS1_3genE5ELNS1_11target_archE942ELNS1_3gpuE9ELNS1_3repE0EEENS1_30default_config_static_selectorELNS0_4arch9wavefront6targetE0EEEvT1_,@function
_ZN7rocprim17ROCPRIM_400000_NS6detail17trampoline_kernelINS0_14default_configENS1_25transform_config_selectorImLb1EEEZNS1_14transform_implILb1ES3_S5_PmS7_NS0_8identityIvEEEE10hipError_tT2_T3_mT4_P12ihipStream_tbEUlT_E_NS1_11comp_targetILNS1_3genE5ELNS1_11target_archE942ELNS1_3gpuE9ELNS1_3repE0EEENS1_30default_config_static_selectorELNS0_4arch9wavefront6targetE0EEEvT1_: ; @_ZN7rocprim17ROCPRIM_400000_NS6detail17trampoline_kernelINS0_14default_configENS1_25transform_config_selectorImLb1EEEZNS1_14transform_implILb1ES3_S5_PmS7_NS0_8identityIvEEEE10hipError_tT2_T3_mT4_P12ihipStream_tbEUlT_E_NS1_11comp_targetILNS1_3genE5ELNS1_11target_archE942ELNS1_3gpuE9ELNS1_3repE0EEENS1_30default_config_static_selectorELNS0_4arch9wavefront6targetE0EEEvT1_
; %bb.0:
	.section	.rodata,"a",@progbits
	.p2align	6, 0x0
	.amdhsa_kernel _ZN7rocprim17ROCPRIM_400000_NS6detail17trampoline_kernelINS0_14default_configENS1_25transform_config_selectorImLb1EEEZNS1_14transform_implILb1ES3_S5_PmS7_NS0_8identityIvEEEE10hipError_tT2_T3_mT4_P12ihipStream_tbEUlT_E_NS1_11comp_targetILNS1_3genE5ELNS1_11target_archE942ELNS1_3gpuE9ELNS1_3repE0EEENS1_30default_config_static_selectorELNS0_4arch9wavefront6targetE0EEEvT1_
		.amdhsa_group_segment_fixed_size 0
		.amdhsa_private_segment_fixed_size 0
		.amdhsa_kernarg_size 40
		.amdhsa_user_sgpr_count 15
		.amdhsa_user_sgpr_dispatch_ptr 0
		.amdhsa_user_sgpr_queue_ptr 0
		.amdhsa_user_sgpr_kernarg_segment_ptr 1
		.amdhsa_user_sgpr_dispatch_id 0
		.amdhsa_user_sgpr_private_segment_size 0
		.amdhsa_wavefront_size32 1
		.amdhsa_uses_dynamic_stack 0
		.amdhsa_enable_private_segment 0
		.amdhsa_system_sgpr_workgroup_id_x 1
		.amdhsa_system_sgpr_workgroup_id_y 0
		.amdhsa_system_sgpr_workgroup_id_z 0
		.amdhsa_system_sgpr_workgroup_info 0
		.amdhsa_system_vgpr_workitem_id 0
		.amdhsa_next_free_vgpr 1
		.amdhsa_next_free_sgpr 1
		.amdhsa_reserve_vcc 0
		.amdhsa_float_round_mode_32 0
		.amdhsa_float_round_mode_16_64 0
		.amdhsa_float_denorm_mode_32 3
		.amdhsa_float_denorm_mode_16_64 3
		.amdhsa_dx10_clamp 1
		.amdhsa_ieee_mode 1
		.amdhsa_fp16_overflow 0
		.amdhsa_workgroup_processor_mode 1
		.amdhsa_memory_ordered 1
		.amdhsa_forward_progress 0
		.amdhsa_shared_vgpr_count 0
		.amdhsa_exception_fp_ieee_invalid_op 0
		.amdhsa_exception_fp_denorm_src 0
		.amdhsa_exception_fp_ieee_div_zero 0
		.amdhsa_exception_fp_ieee_overflow 0
		.amdhsa_exception_fp_ieee_underflow 0
		.amdhsa_exception_fp_ieee_inexact 0
		.amdhsa_exception_int_div_zero 0
	.end_amdhsa_kernel
	.section	.text._ZN7rocprim17ROCPRIM_400000_NS6detail17trampoline_kernelINS0_14default_configENS1_25transform_config_selectorImLb1EEEZNS1_14transform_implILb1ES3_S5_PmS7_NS0_8identityIvEEEE10hipError_tT2_T3_mT4_P12ihipStream_tbEUlT_E_NS1_11comp_targetILNS1_3genE5ELNS1_11target_archE942ELNS1_3gpuE9ELNS1_3repE0EEENS1_30default_config_static_selectorELNS0_4arch9wavefront6targetE0EEEvT1_,"axG",@progbits,_ZN7rocprim17ROCPRIM_400000_NS6detail17trampoline_kernelINS0_14default_configENS1_25transform_config_selectorImLb1EEEZNS1_14transform_implILb1ES3_S5_PmS7_NS0_8identityIvEEEE10hipError_tT2_T3_mT4_P12ihipStream_tbEUlT_E_NS1_11comp_targetILNS1_3genE5ELNS1_11target_archE942ELNS1_3gpuE9ELNS1_3repE0EEENS1_30default_config_static_selectorELNS0_4arch9wavefront6targetE0EEEvT1_,comdat
.Lfunc_end171:
	.size	_ZN7rocprim17ROCPRIM_400000_NS6detail17trampoline_kernelINS0_14default_configENS1_25transform_config_selectorImLb1EEEZNS1_14transform_implILb1ES3_S5_PmS7_NS0_8identityIvEEEE10hipError_tT2_T3_mT4_P12ihipStream_tbEUlT_E_NS1_11comp_targetILNS1_3genE5ELNS1_11target_archE942ELNS1_3gpuE9ELNS1_3repE0EEENS1_30default_config_static_selectorELNS0_4arch9wavefront6targetE0EEEvT1_, .Lfunc_end171-_ZN7rocprim17ROCPRIM_400000_NS6detail17trampoline_kernelINS0_14default_configENS1_25transform_config_selectorImLb1EEEZNS1_14transform_implILb1ES3_S5_PmS7_NS0_8identityIvEEEE10hipError_tT2_T3_mT4_P12ihipStream_tbEUlT_E_NS1_11comp_targetILNS1_3genE5ELNS1_11target_archE942ELNS1_3gpuE9ELNS1_3repE0EEENS1_30default_config_static_selectorELNS0_4arch9wavefront6targetE0EEEvT1_
                                        ; -- End function
	.section	.AMDGPU.csdata,"",@progbits
; Kernel info:
; codeLenInByte = 0
; NumSgprs: 0
; NumVgprs: 0
; ScratchSize: 0
; MemoryBound: 0
; FloatMode: 240
; IeeeMode: 1
; LDSByteSize: 0 bytes/workgroup (compile time only)
; SGPRBlocks: 0
; VGPRBlocks: 0
; NumSGPRsForWavesPerEU: 1
; NumVGPRsForWavesPerEU: 1
; Occupancy: 16
; WaveLimiterHint : 0
; COMPUTE_PGM_RSRC2:SCRATCH_EN: 0
; COMPUTE_PGM_RSRC2:USER_SGPR: 15
; COMPUTE_PGM_RSRC2:TRAP_HANDLER: 0
; COMPUTE_PGM_RSRC2:TGID_X_EN: 1
; COMPUTE_PGM_RSRC2:TGID_Y_EN: 0
; COMPUTE_PGM_RSRC2:TGID_Z_EN: 0
; COMPUTE_PGM_RSRC2:TIDIG_COMP_CNT: 0
	.section	.text._ZN7rocprim17ROCPRIM_400000_NS6detail17trampoline_kernelINS0_14default_configENS1_25transform_config_selectorImLb1EEEZNS1_14transform_implILb1ES3_S5_PmS7_NS0_8identityIvEEEE10hipError_tT2_T3_mT4_P12ihipStream_tbEUlT_E_NS1_11comp_targetILNS1_3genE4ELNS1_11target_archE910ELNS1_3gpuE8ELNS1_3repE0EEENS1_30default_config_static_selectorELNS0_4arch9wavefront6targetE0EEEvT1_,"axG",@progbits,_ZN7rocprim17ROCPRIM_400000_NS6detail17trampoline_kernelINS0_14default_configENS1_25transform_config_selectorImLb1EEEZNS1_14transform_implILb1ES3_S5_PmS7_NS0_8identityIvEEEE10hipError_tT2_T3_mT4_P12ihipStream_tbEUlT_E_NS1_11comp_targetILNS1_3genE4ELNS1_11target_archE910ELNS1_3gpuE8ELNS1_3repE0EEENS1_30default_config_static_selectorELNS0_4arch9wavefront6targetE0EEEvT1_,comdat
	.protected	_ZN7rocprim17ROCPRIM_400000_NS6detail17trampoline_kernelINS0_14default_configENS1_25transform_config_selectorImLb1EEEZNS1_14transform_implILb1ES3_S5_PmS7_NS0_8identityIvEEEE10hipError_tT2_T3_mT4_P12ihipStream_tbEUlT_E_NS1_11comp_targetILNS1_3genE4ELNS1_11target_archE910ELNS1_3gpuE8ELNS1_3repE0EEENS1_30default_config_static_selectorELNS0_4arch9wavefront6targetE0EEEvT1_ ; -- Begin function _ZN7rocprim17ROCPRIM_400000_NS6detail17trampoline_kernelINS0_14default_configENS1_25transform_config_selectorImLb1EEEZNS1_14transform_implILb1ES3_S5_PmS7_NS0_8identityIvEEEE10hipError_tT2_T3_mT4_P12ihipStream_tbEUlT_E_NS1_11comp_targetILNS1_3genE4ELNS1_11target_archE910ELNS1_3gpuE8ELNS1_3repE0EEENS1_30default_config_static_selectorELNS0_4arch9wavefront6targetE0EEEvT1_
	.globl	_ZN7rocprim17ROCPRIM_400000_NS6detail17trampoline_kernelINS0_14default_configENS1_25transform_config_selectorImLb1EEEZNS1_14transform_implILb1ES3_S5_PmS7_NS0_8identityIvEEEE10hipError_tT2_T3_mT4_P12ihipStream_tbEUlT_E_NS1_11comp_targetILNS1_3genE4ELNS1_11target_archE910ELNS1_3gpuE8ELNS1_3repE0EEENS1_30default_config_static_selectorELNS0_4arch9wavefront6targetE0EEEvT1_
	.p2align	8
	.type	_ZN7rocprim17ROCPRIM_400000_NS6detail17trampoline_kernelINS0_14default_configENS1_25transform_config_selectorImLb1EEEZNS1_14transform_implILb1ES3_S5_PmS7_NS0_8identityIvEEEE10hipError_tT2_T3_mT4_P12ihipStream_tbEUlT_E_NS1_11comp_targetILNS1_3genE4ELNS1_11target_archE910ELNS1_3gpuE8ELNS1_3repE0EEENS1_30default_config_static_selectorELNS0_4arch9wavefront6targetE0EEEvT1_,@function
_ZN7rocprim17ROCPRIM_400000_NS6detail17trampoline_kernelINS0_14default_configENS1_25transform_config_selectorImLb1EEEZNS1_14transform_implILb1ES3_S5_PmS7_NS0_8identityIvEEEE10hipError_tT2_T3_mT4_P12ihipStream_tbEUlT_E_NS1_11comp_targetILNS1_3genE4ELNS1_11target_archE910ELNS1_3gpuE8ELNS1_3repE0EEENS1_30default_config_static_selectorELNS0_4arch9wavefront6targetE0EEEvT1_: ; @_ZN7rocprim17ROCPRIM_400000_NS6detail17trampoline_kernelINS0_14default_configENS1_25transform_config_selectorImLb1EEEZNS1_14transform_implILb1ES3_S5_PmS7_NS0_8identityIvEEEE10hipError_tT2_T3_mT4_P12ihipStream_tbEUlT_E_NS1_11comp_targetILNS1_3genE4ELNS1_11target_archE910ELNS1_3gpuE8ELNS1_3repE0EEENS1_30default_config_static_selectorELNS0_4arch9wavefront6targetE0EEEvT1_
; %bb.0:
	.section	.rodata,"a",@progbits
	.p2align	6, 0x0
	.amdhsa_kernel _ZN7rocprim17ROCPRIM_400000_NS6detail17trampoline_kernelINS0_14default_configENS1_25transform_config_selectorImLb1EEEZNS1_14transform_implILb1ES3_S5_PmS7_NS0_8identityIvEEEE10hipError_tT2_T3_mT4_P12ihipStream_tbEUlT_E_NS1_11comp_targetILNS1_3genE4ELNS1_11target_archE910ELNS1_3gpuE8ELNS1_3repE0EEENS1_30default_config_static_selectorELNS0_4arch9wavefront6targetE0EEEvT1_
		.amdhsa_group_segment_fixed_size 0
		.amdhsa_private_segment_fixed_size 0
		.amdhsa_kernarg_size 40
		.amdhsa_user_sgpr_count 15
		.amdhsa_user_sgpr_dispatch_ptr 0
		.amdhsa_user_sgpr_queue_ptr 0
		.amdhsa_user_sgpr_kernarg_segment_ptr 1
		.amdhsa_user_sgpr_dispatch_id 0
		.amdhsa_user_sgpr_private_segment_size 0
		.amdhsa_wavefront_size32 1
		.amdhsa_uses_dynamic_stack 0
		.amdhsa_enable_private_segment 0
		.amdhsa_system_sgpr_workgroup_id_x 1
		.amdhsa_system_sgpr_workgroup_id_y 0
		.amdhsa_system_sgpr_workgroup_id_z 0
		.amdhsa_system_sgpr_workgroup_info 0
		.amdhsa_system_vgpr_workitem_id 0
		.amdhsa_next_free_vgpr 1
		.amdhsa_next_free_sgpr 1
		.amdhsa_reserve_vcc 0
		.amdhsa_float_round_mode_32 0
		.amdhsa_float_round_mode_16_64 0
		.amdhsa_float_denorm_mode_32 3
		.amdhsa_float_denorm_mode_16_64 3
		.amdhsa_dx10_clamp 1
		.amdhsa_ieee_mode 1
		.amdhsa_fp16_overflow 0
		.amdhsa_workgroup_processor_mode 1
		.amdhsa_memory_ordered 1
		.amdhsa_forward_progress 0
		.amdhsa_shared_vgpr_count 0
		.amdhsa_exception_fp_ieee_invalid_op 0
		.amdhsa_exception_fp_denorm_src 0
		.amdhsa_exception_fp_ieee_div_zero 0
		.amdhsa_exception_fp_ieee_overflow 0
		.amdhsa_exception_fp_ieee_underflow 0
		.amdhsa_exception_fp_ieee_inexact 0
		.amdhsa_exception_int_div_zero 0
	.end_amdhsa_kernel
	.section	.text._ZN7rocprim17ROCPRIM_400000_NS6detail17trampoline_kernelINS0_14default_configENS1_25transform_config_selectorImLb1EEEZNS1_14transform_implILb1ES3_S5_PmS7_NS0_8identityIvEEEE10hipError_tT2_T3_mT4_P12ihipStream_tbEUlT_E_NS1_11comp_targetILNS1_3genE4ELNS1_11target_archE910ELNS1_3gpuE8ELNS1_3repE0EEENS1_30default_config_static_selectorELNS0_4arch9wavefront6targetE0EEEvT1_,"axG",@progbits,_ZN7rocprim17ROCPRIM_400000_NS6detail17trampoline_kernelINS0_14default_configENS1_25transform_config_selectorImLb1EEEZNS1_14transform_implILb1ES3_S5_PmS7_NS0_8identityIvEEEE10hipError_tT2_T3_mT4_P12ihipStream_tbEUlT_E_NS1_11comp_targetILNS1_3genE4ELNS1_11target_archE910ELNS1_3gpuE8ELNS1_3repE0EEENS1_30default_config_static_selectorELNS0_4arch9wavefront6targetE0EEEvT1_,comdat
.Lfunc_end172:
	.size	_ZN7rocprim17ROCPRIM_400000_NS6detail17trampoline_kernelINS0_14default_configENS1_25transform_config_selectorImLb1EEEZNS1_14transform_implILb1ES3_S5_PmS7_NS0_8identityIvEEEE10hipError_tT2_T3_mT4_P12ihipStream_tbEUlT_E_NS1_11comp_targetILNS1_3genE4ELNS1_11target_archE910ELNS1_3gpuE8ELNS1_3repE0EEENS1_30default_config_static_selectorELNS0_4arch9wavefront6targetE0EEEvT1_, .Lfunc_end172-_ZN7rocprim17ROCPRIM_400000_NS6detail17trampoline_kernelINS0_14default_configENS1_25transform_config_selectorImLb1EEEZNS1_14transform_implILb1ES3_S5_PmS7_NS0_8identityIvEEEE10hipError_tT2_T3_mT4_P12ihipStream_tbEUlT_E_NS1_11comp_targetILNS1_3genE4ELNS1_11target_archE910ELNS1_3gpuE8ELNS1_3repE0EEENS1_30default_config_static_selectorELNS0_4arch9wavefront6targetE0EEEvT1_
                                        ; -- End function
	.section	.AMDGPU.csdata,"",@progbits
; Kernel info:
; codeLenInByte = 0
; NumSgprs: 0
; NumVgprs: 0
; ScratchSize: 0
; MemoryBound: 0
; FloatMode: 240
; IeeeMode: 1
; LDSByteSize: 0 bytes/workgroup (compile time only)
; SGPRBlocks: 0
; VGPRBlocks: 0
; NumSGPRsForWavesPerEU: 1
; NumVGPRsForWavesPerEU: 1
; Occupancy: 16
; WaveLimiterHint : 0
; COMPUTE_PGM_RSRC2:SCRATCH_EN: 0
; COMPUTE_PGM_RSRC2:USER_SGPR: 15
; COMPUTE_PGM_RSRC2:TRAP_HANDLER: 0
; COMPUTE_PGM_RSRC2:TGID_X_EN: 1
; COMPUTE_PGM_RSRC2:TGID_Y_EN: 0
; COMPUTE_PGM_RSRC2:TGID_Z_EN: 0
; COMPUTE_PGM_RSRC2:TIDIG_COMP_CNT: 0
	.section	.text._ZN7rocprim17ROCPRIM_400000_NS6detail17trampoline_kernelINS0_14default_configENS1_25transform_config_selectorImLb1EEEZNS1_14transform_implILb1ES3_S5_PmS7_NS0_8identityIvEEEE10hipError_tT2_T3_mT4_P12ihipStream_tbEUlT_E_NS1_11comp_targetILNS1_3genE3ELNS1_11target_archE908ELNS1_3gpuE7ELNS1_3repE0EEENS1_30default_config_static_selectorELNS0_4arch9wavefront6targetE0EEEvT1_,"axG",@progbits,_ZN7rocprim17ROCPRIM_400000_NS6detail17trampoline_kernelINS0_14default_configENS1_25transform_config_selectorImLb1EEEZNS1_14transform_implILb1ES3_S5_PmS7_NS0_8identityIvEEEE10hipError_tT2_T3_mT4_P12ihipStream_tbEUlT_E_NS1_11comp_targetILNS1_3genE3ELNS1_11target_archE908ELNS1_3gpuE7ELNS1_3repE0EEENS1_30default_config_static_selectorELNS0_4arch9wavefront6targetE0EEEvT1_,comdat
	.protected	_ZN7rocprim17ROCPRIM_400000_NS6detail17trampoline_kernelINS0_14default_configENS1_25transform_config_selectorImLb1EEEZNS1_14transform_implILb1ES3_S5_PmS7_NS0_8identityIvEEEE10hipError_tT2_T3_mT4_P12ihipStream_tbEUlT_E_NS1_11comp_targetILNS1_3genE3ELNS1_11target_archE908ELNS1_3gpuE7ELNS1_3repE0EEENS1_30default_config_static_selectorELNS0_4arch9wavefront6targetE0EEEvT1_ ; -- Begin function _ZN7rocprim17ROCPRIM_400000_NS6detail17trampoline_kernelINS0_14default_configENS1_25transform_config_selectorImLb1EEEZNS1_14transform_implILb1ES3_S5_PmS7_NS0_8identityIvEEEE10hipError_tT2_T3_mT4_P12ihipStream_tbEUlT_E_NS1_11comp_targetILNS1_3genE3ELNS1_11target_archE908ELNS1_3gpuE7ELNS1_3repE0EEENS1_30default_config_static_selectorELNS0_4arch9wavefront6targetE0EEEvT1_
	.globl	_ZN7rocprim17ROCPRIM_400000_NS6detail17trampoline_kernelINS0_14default_configENS1_25transform_config_selectorImLb1EEEZNS1_14transform_implILb1ES3_S5_PmS7_NS0_8identityIvEEEE10hipError_tT2_T3_mT4_P12ihipStream_tbEUlT_E_NS1_11comp_targetILNS1_3genE3ELNS1_11target_archE908ELNS1_3gpuE7ELNS1_3repE0EEENS1_30default_config_static_selectorELNS0_4arch9wavefront6targetE0EEEvT1_
	.p2align	8
	.type	_ZN7rocprim17ROCPRIM_400000_NS6detail17trampoline_kernelINS0_14default_configENS1_25transform_config_selectorImLb1EEEZNS1_14transform_implILb1ES3_S5_PmS7_NS0_8identityIvEEEE10hipError_tT2_T3_mT4_P12ihipStream_tbEUlT_E_NS1_11comp_targetILNS1_3genE3ELNS1_11target_archE908ELNS1_3gpuE7ELNS1_3repE0EEENS1_30default_config_static_selectorELNS0_4arch9wavefront6targetE0EEEvT1_,@function
_ZN7rocprim17ROCPRIM_400000_NS6detail17trampoline_kernelINS0_14default_configENS1_25transform_config_selectorImLb1EEEZNS1_14transform_implILb1ES3_S5_PmS7_NS0_8identityIvEEEE10hipError_tT2_T3_mT4_P12ihipStream_tbEUlT_E_NS1_11comp_targetILNS1_3genE3ELNS1_11target_archE908ELNS1_3gpuE7ELNS1_3repE0EEENS1_30default_config_static_selectorELNS0_4arch9wavefront6targetE0EEEvT1_: ; @_ZN7rocprim17ROCPRIM_400000_NS6detail17trampoline_kernelINS0_14default_configENS1_25transform_config_selectorImLb1EEEZNS1_14transform_implILb1ES3_S5_PmS7_NS0_8identityIvEEEE10hipError_tT2_T3_mT4_P12ihipStream_tbEUlT_E_NS1_11comp_targetILNS1_3genE3ELNS1_11target_archE908ELNS1_3gpuE7ELNS1_3repE0EEENS1_30default_config_static_selectorELNS0_4arch9wavefront6targetE0EEEvT1_
; %bb.0:
	.section	.rodata,"a",@progbits
	.p2align	6, 0x0
	.amdhsa_kernel _ZN7rocprim17ROCPRIM_400000_NS6detail17trampoline_kernelINS0_14default_configENS1_25transform_config_selectorImLb1EEEZNS1_14transform_implILb1ES3_S5_PmS7_NS0_8identityIvEEEE10hipError_tT2_T3_mT4_P12ihipStream_tbEUlT_E_NS1_11comp_targetILNS1_3genE3ELNS1_11target_archE908ELNS1_3gpuE7ELNS1_3repE0EEENS1_30default_config_static_selectorELNS0_4arch9wavefront6targetE0EEEvT1_
		.amdhsa_group_segment_fixed_size 0
		.amdhsa_private_segment_fixed_size 0
		.amdhsa_kernarg_size 40
		.amdhsa_user_sgpr_count 15
		.amdhsa_user_sgpr_dispatch_ptr 0
		.amdhsa_user_sgpr_queue_ptr 0
		.amdhsa_user_sgpr_kernarg_segment_ptr 1
		.amdhsa_user_sgpr_dispatch_id 0
		.amdhsa_user_sgpr_private_segment_size 0
		.amdhsa_wavefront_size32 1
		.amdhsa_uses_dynamic_stack 0
		.amdhsa_enable_private_segment 0
		.amdhsa_system_sgpr_workgroup_id_x 1
		.amdhsa_system_sgpr_workgroup_id_y 0
		.amdhsa_system_sgpr_workgroup_id_z 0
		.amdhsa_system_sgpr_workgroup_info 0
		.amdhsa_system_vgpr_workitem_id 0
		.amdhsa_next_free_vgpr 1
		.amdhsa_next_free_sgpr 1
		.amdhsa_reserve_vcc 0
		.amdhsa_float_round_mode_32 0
		.amdhsa_float_round_mode_16_64 0
		.amdhsa_float_denorm_mode_32 3
		.amdhsa_float_denorm_mode_16_64 3
		.amdhsa_dx10_clamp 1
		.amdhsa_ieee_mode 1
		.amdhsa_fp16_overflow 0
		.amdhsa_workgroup_processor_mode 1
		.amdhsa_memory_ordered 1
		.amdhsa_forward_progress 0
		.amdhsa_shared_vgpr_count 0
		.amdhsa_exception_fp_ieee_invalid_op 0
		.amdhsa_exception_fp_denorm_src 0
		.amdhsa_exception_fp_ieee_div_zero 0
		.amdhsa_exception_fp_ieee_overflow 0
		.amdhsa_exception_fp_ieee_underflow 0
		.amdhsa_exception_fp_ieee_inexact 0
		.amdhsa_exception_int_div_zero 0
	.end_amdhsa_kernel
	.section	.text._ZN7rocprim17ROCPRIM_400000_NS6detail17trampoline_kernelINS0_14default_configENS1_25transform_config_selectorImLb1EEEZNS1_14transform_implILb1ES3_S5_PmS7_NS0_8identityIvEEEE10hipError_tT2_T3_mT4_P12ihipStream_tbEUlT_E_NS1_11comp_targetILNS1_3genE3ELNS1_11target_archE908ELNS1_3gpuE7ELNS1_3repE0EEENS1_30default_config_static_selectorELNS0_4arch9wavefront6targetE0EEEvT1_,"axG",@progbits,_ZN7rocprim17ROCPRIM_400000_NS6detail17trampoline_kernelINS0_14default_configENS1_25transform_config_selectorImLb1EEEZNS1_14transform_implILb1ES3_S5_PmS7_NS0_8identityIvEEEE10hipError_tT2_T3_mT4_P12ihipStream_tbEUlT_E_NS1_11comp_targetILNS1_3genE3ELNS1_11target_archE908ELNS1_3gpuE7ELNS1_3repE0EEENS1_30default_config_static_selectorELNS0_4arch9wavefront6targetE0EEEvT1_,comdat
.Lfunc_end173:
	.size	_ZN7rocprim17ROCPRIM_400000_NS6detail17trampoline_kernelINS0_14default_configENS1_25transform_config_selectorImLb1EEEZNS1_14transform_implILb1ES3_S5_PmS7_NS0_8identityIvEEEE10hipError_tT2_T3_mT4_P12ihipStream_tbEUlT_E_NS1_11comp_targetILNS1_3genE3ELNS1_11target_archE908ELNS1_3gpuE7ELNS1_3repE0EEENS1_30default_config_static_selectorELNS0_4arch9wavefront6targetE0EEEvT1_, .Lfunc_end173-_ZN7rocprim17ROCPRIM_400000_NS6detail17trampoline_kernelINS0_14default_configENS1_25transform_config_selectorImLb1EEEZNS1_14transform_implILb1ES3_S5_PmS7_NS0_8identityIvEEEE10hipError_tT2_T3_mT4_P12ihipStream_tbEUlT_E_NS1_11comp_targetILNS1_3genE3ELNS1_11target_archE908ELNS1_3gpuE7ELNS1_3repE0EEENS1_30default_config_static_selectorELNS0_4arch9wavefront6targetE0EEEvT1_
                                        ; -- End function
	.section	.AMDGPU.csdata,"",@progbits
; Kernel info:
; codeLenInByte = 0
; NumSgprs: 0
; NumVgprs: 0
; ScratchSize: 0
; MemoryBound: 0
; FloatMode: 240
; IeeeMode: 1
; LDSByteSize: 0 bytes/workgroup (compile time only)
; SGPRBlocks: 0
; VGPRBlocks: 0
; NumSGPRsForWavesPerEU: 1
; NumVGPRsForWavesPerEU: 1
; Occupancy: 16
; WaveLimiterHint : 0
; COMPUTE_PGM_RSRC2:SCRATCH_EN: 0
; COMPUTE_PGM_RSRC2:USER_SGPR: 15
; COMPUTE_PGM_RSRC2:TRAP_HANDLER: 0
; COMPUTE_PGM_RSRC2:TGID_X_EN: 1
; COMPUTE_PGM_RSRC2:TGID_Y_EN: 0
; COMPUTE_PGM_RSRC2:TGID_Z_EN: 0
; COMPUTE_PGM_RSRC2:TIDIG_COMP_CNT: 0
	.section	.text._ZN7rocprim17ROCPRIM_400000_NS6detail17trampoline_kernelINS0_14default_configENS1_25transform_config_selectorImLb1EEEZNS1_14transform_implILb1ES3_S5_PmS7_NS0_8identityIvEEEE10hipError_tT2_T3_mT4_P12ihipStream_tbEUlT_E_NS1_11comp_targetILNS1_3genE2ELNS1_11target_archE906ELNS1_3gpuE6ELNS1_3repE0EEENS1_30default_config_static_selectorELNS0_4arch9wavefront6targetE0EEEvT1_,"axG",@progbits,_ZN7rocprim17ROCPRIM_400000_NS6detail17trampoline_kernelINS0_14default_configENS1_25transform_config_selectorImLb1EEEZNS1_14transform_implILb1ES3_S5_PmS7_NS0_8identityIvEEEE10hipError_tT2_T3_mT4_P12ihipStream_tbEUlT_E_NS1_11comp_targetILNS1_3genE2ELNS1_11target_archE906ELNS1_3gpuE6ELNS1_3repE0EEENS1_30default_config_static_selectorELNS0_4arch9wavefront6targetE0EEEvT1_,comdat
	.protected	_ZN7rocprim17ROCPRIM_400000_NS6detail17trampoline_kernelINS0_14default_configENS1_25transform_config_selectorImLb1EEEZNS1_14transform_implILb1ES3_S5_PmS7_NS0_8identityIvEEEE10hipError_tT2_T3_mT4_P12ihipStream_tbEUlT_E_NS1_11comp_targetILNS1_3genE2ELNS1_11target_archE906ELNS1_3gpuE6ELNS1_3repE0EEENS1_30default_config_static_selectorELNS0_4arch9wavefront6targetE0EEEvT1_ ; -- Begin function _ZN7rocprim17ROCPRIM_400000_NS6detail17trampoline_kernelINS0_14default_configENS1_25transform_config_selectorImLb1EEEZNS1_14transform_implILb1ES3_S5_PmS7_NS0_8identityIvEEEE10hipError_tT2_T3_mT4_P12ihipStream_tbEUlT_E_NS1_11comp_targetILNS1_3genE2ELNS1_11target_archE906ELNS1_3gpuE6ELNS1_3repE0EEENS1_30default_config_static_selectorELNS0_4arch9wavefront6targetE0EEEvT1_
	.globl	_ZN7rocprim17ROCPRIM_400000_NS6detail17trampoline_kernelINS0_14default_configENS1_25transform_config_selectorImLb1EEEZNS1_14transform_implILb1ES3_S5_PmS7_NS0_8identityIvEEEE10hipError_tT2_T3_mT4_P12ihipStream_tbEUlT_E_NS1_11comp_targetILNS1_3genE2ELNS1_11target_archE906ELNS1_3gpuE6ELNS1_3repE0EEENS1_30default_config_static_selectorELNS0_4arch9wavefront6targetE0EEEvT1_
	.p2align	8
	.type	_ZN7rocprim17ROCPRIM_400000_NS6detail17trampoline_kernelINS0_14default_configENS1_25transform_config_selectorImLb1EEEZNS1_14transform_implILb1ES3_S5_PmS7_NS0_8identityIvEEEE10hipError_tT2_T3_mT4_P12ihipStream_tbEUlT_E_NS1_11comp_targetILNS1_3genE2ELNS1_11target_archE906ELNS1_3gpuE6ELNS1_3repE0EEENS1_30default_config_static_selectorELNS0_4arch9wavefront6targetE0EEEvT1_,@function
_ZN7rocprim17ROCPRIM_400000_NS6detail17trampoline_kernelINS0_14default_configENS1_25transform_config_selectorImLb1EEEZNS1_14transform_implILb1ES3_S5_PmS7_NS0_8identityIvEEEE10hipError_tT2_T3_mT4_P12ihipStream_tbEUlT_E_NS1_11comp_targetILNS1_3genE2ELNS1_11target_archE906ELNS1_3gpuE6ELNS1_3repE0EEENS1_30default_config_static_selectorELNS0_4arch9wavefront6targetE0EEEvT1_: ; @_ZN7rocprim17ROCPRIM_400000_NS6detail17trampoline_kernelINS0_14default_configENS1_25transform_config_selectorImLb1EEEZNS1_14transform_implILb1ES3_S5_PmS7_NS0_8identityIvEEEE10hipError_tT2_T3_mT4_P12ihipStream_tbEUlT_E_NS1_11comp_targetILNS1_3genE2ELNS1_11target_archE906ELNS1_3gpuE6ELNS1_3repE0EEENS1_30default_config_static_selectorELNS0_4arch9wavefront6targetE0EEEvT1_
; %bb.0:
	.section	.rodata,"a",@progbits
	.p2align	6, 0x0
	.amdhsa_kernel _ZN7rocprim17ROCPRIM_400000_NS6detail17trampoline_kernelINS0_14default_configENS1_25transform_config_selectorImLb1EEEZNS1_14transform_implILb1ES3_S5_PmS7_NS0_8identityIvEEEE10hipError_tT2_T3_mT4_P12ihipStream_tbEUlT_E_NS1_11comp_targetILNS1_3genE2ELNS1_11target_archE906ELNS1_3gpuE6ELNS1_3repE0EEENS1_30default_config_static_selectorELNS0_4arch9wavefront6targetE0EEEvT1_
		.amdhsa_group_segment_fixed_size 0
		.amdhsa_private_segment_fixed_size 0
		.amdhsa_kernarg_size 40
		.amdhsa_user_sgpr_count 15
		.amdhsa_user_sgpr_dispatch_ptr 0
		.amdhsa_user_sgpr_queue_ptr 0
		.amdhsa_user_sgpr_kernarg_segment_ptr 1
		.amdhsa_user_sgpr_dispatch_id 0
		.amdhsa_user_sgpr_private_segment_size 0
		.amdhsa_wavefront_size32 1
		.amdhsa_uses_dynamic_stack 0
		.amdhsa_enable_private_segment 0
		.amdhsa_system_sgpr_workgroup_id_x 1
		.amdhsa_system_sgpr_workgroup_id_y 0
		.amdhsa_system_sgpr_workgroup_id_z 0
		.amdhsa_system_sgpr_workgroup_info 0
		.amdhsa_system_vgpr_workitem_id 0
		.amdhsa_next_free_vgpr 1
		.amdhsa_next_free_sgpr 1
		.amdhsa_reserve_vcc 0
		.amdhsa_float_round_mode_32 0
		.amdhsa_float_round_mode_16_64 0
		.amdhsa_float_denorm_mode_32 3
		.amdhsa_float_denorm_mode_16_64 3
		.amdhsa_dx10_clamp 1
		.amdhsa_ieee_mode 1
		.amdhsa_fp16_overflow 0
		.amdhsa_workgroup_processor_mode 1
		.amdhsa_memory_ordered 1
		.amdhsa_forward_progress 0
		.amdhsa_shared_vgpr_count 0
		.amdhsa_exception_fp_ieee_invalid_op 0
		.amdhsa_exception_fp_denorm_src 0
		.amdhsa_exception_fp_ieee_div_zero 0
		.amdhsa_exception_fp_ieee_overflow 0
		.amdhsa_exception_fp_ieee_underflow 0
		.amdhsa_exception_fp_ieee_inexact 0
		.amdhsa_exception_int_div_zero 0
	.end_amdhsa_kernel
	.section	.text._ZN7rocprim17ROCPRIM_400000_NS6detail17trampoline_kernelINS0_14default_configENS1_25transform_config_selectorImLb1EEEZNS1_14transform_implILb1ES3_S5_PmS7_NS0_8identityIvEEEE10hipError_tT2_T3_mT4_P12ihipStream_tbEUlT_E_NS1_11comp_targetILNS1_3genE2ELNS1_11target_archE906ELNS1_3gpuE6ELNS1_3repE0EEENS1_30default_config_static_selectorELNS0_4arch9wavefront6targetE0EEEvT1_,"axG",@progbits,_ZN7rocprim17ROCPRIM_400000_NS6detail17trampoline_kernelINS0_14default_configENS1_25transform_config_selectorImLb1EEEZNS1_14transform_implILb1ES3_S5_PmS7_NS0_8identityIvEEEE10hipError_tT2_T3_mT4_P12ihipStream_tbEUlT_E_NS1_11comp_targetILNS1_3genE2ELNS1_11target_archE906ELNS1_3gpuE6ELNS1_3repE0EEENS1_30default_config_static_selectorELNS0_4arch9wavefront6targetE0EEEvT1_,comdat
.Lfunc_end174:
	.size	_ZN7rocprim17ROCPRIM_400000_NS6detail17trampoline_kernelINS0_14default_configENS1_25transform_config_selectorImLb1EEEZNS1_14transform_implILb1ES3_S5_PmS7_NS0_8identityIvEEEE10hipError_tT2_T3_mT4_P12ihipStream_tbEUlT_E_NS1_11comp_targetILNS1_3genE2ELNS1_11target_archE906ELNS1_3gpuE6ELNS1_3repE0EEENS1_30default_config_static_selectorELNS0_4arch9wavefront6targetE0EEEvT1_, .Lfunc_end174-_ZN7rocprim17ROCPRIM_400000_NS6detail17trampoline_kernelINS0_14default_configENS1_25transform_config_selectorImLb1EEEZNS1_14transform_implILb1ES3_S5_PmS7_NS0_8identityIvEEEE10hipError_tT2_T3_mT4_P12ihipStream_tbEUlT_E_NS1_11comp_targetILNS1_3genE2ELNS1_11target_archE906ELNS1_3gpuE6ELNS1_3repE0EEENS1_30default_config_static_selectorELNS0_4arch9wavefront6targetE0EEEvT1_
                                        ; -- End function
	.section	.AMDGPU.csdata,"",@progbits
; Kernel info:
; codeLenInByte = 0
; NumSgprs: 0
; NumVgprs: 0
; ScratchSize: 0
; MemoryBound: 0
; FloatMode: 240
; IeeeMode: 1
; LDSByteSize: 0 bytes/workgroup (compile time only)
; SGPRBlocks: 0
; VGPRBlocks: 0
; NumSGPRsForWavesPerEU: 1
; NumVGPRsForWavesPerEU: 1
; Occupancy: 16
; WaveLimiterHint : 0
; COMPUTE_PGM_RSRC2:SCRATCH_EN: 0
; COMPUTE_PGM_RSRC2:USER_SGPR: 15
; COMPUTE_PGM_RSRC2:TRAP_HANDLER: 0
; COMPUTE_PGM_RSRC2:TGID_X_EN: 1
; COMPUTE_PGM_RSRC2:TGID_Y_EN: 0
; COMPUTE_PGM_RSRC2:TGID_Z_EN: 0
; COMPUTE_PGM_RSRC2:TIDIG_COMP_CNT: 0
	.section	.text._ZN7rocprim17ROCPRIM_400000_NS6detail17trampoline_kernelINS0_14default_configENS1_25transform_config_selectorImLb1EEEZNS1_14transform_implILb1ES3_S5_PmS7_NS0_8identityIvEEEE10hipError_tT2_T3_mT4_P12ihipStream_tbEUlT_E_NS1_11comp_targetILNS1_3genE9ELNS1_11target_archE1100ELNS1_3gpuE3ELNS1_3repE0EEENS1_30default_config_static_selectorELNS0_4arch9wavefront6targetE0EEEvT1_,"axG",@progbits,_ZN7rocprim17ROCPRIM_400000_NS6detail17trampoline_kernelINS0_14default_configENS1_25transform_config_selectorImLb1EEEZNS1_14transform_implILb1ES3_S5_PmS7_NS0_8identityIvEEEE10hipError_tT2_T3_mT4_P12ihipStream_tbEUlT_E_NS1_11comp_targetILNS1_3genE9ELNS1_11target_archE1100ELNS1_3gpuE3ELNS1_3repE0EEENS1_30default_config_static_selectorELNS0_4arch9wavefront6targetE0EEEvT1_,comdat
	.protected	_ZN7rocprim17ROCPRIM_400000_NS6detail17trampoline_kernelINS0_14default_configENS1_25transform_config_selectorImLb1EEEZNS1_14transform_implILb1ES3_S5_PmS7_NS0_8identityIvEEEE10hipError_tT2_T3_mT4_P12ihipStream_tbEUlT_E_NS1_11comp_targetILNS1_3genE9ELNS1_11target_archE1100ELNS1_3gpuE3ELNS1_3repE0EEENS1_30default_config_static_selectorELNS0_4arch9wavefront6targetE0EEEvT1_ ; -- Begin function _ZN7rocprim17ROCPRIM_400000_NS6detail17trampoline_kernelINS0_14default_configENS1_25transform_config_selectorImLb1EEEZNS1_14transform_implILb1ES3_S5_PmS7_NS0_8identityIvEEEE10hipError_tT2_T3_mT4_P12ihipStream_tbEUlT_E_NS1_11comp_targetILNS1_3genE9ELNS1_11target_archE1100ELNS1_3gpuE3ELNS1_3repE0EEENS1_30default_config_static_selectorELNS0_4arch9wavefront6targetE0EEEvT1_
	.globl	_ZN7rocprim17ROCPRIM_400000_NS6detail17trampoline_kernelINS0_14default_configENS1_25transform_config_selectorImLb1EEEZNS1_14transform_implILb1ES3_S5_PmS7_NS0_8identityIvEEEE10hipError_tT2_T3_mT4_P12ihipStream_tbEUlT_E_NS1_11comp_targetILNS1_3genE9ELNS1_11target_archE1100ELNS1_3gpuE3ELNS1_3repE0EEENS1_30default_config_static_selectorELNS0_4arch9wavefront6targetE0EEEvT1_
	.p2align	8
	.type	_ZN7rocprim17ROCPRIM_400000_NS6detail17trampoline_kernelINS0_14default_configENS1_25transform_config_selectorImLb1EEEZNS1_14transform_implILb1ES3_S5_PmS7_NS0_8identityIvEEEE10hipError_tT2_T3_mT4_P12ihipStream_tbEUlT_E_NS1_11comp_targetILNS1_3genE9ELNS1_11target_archE1100ELNS1_3gpuE3ELNS1_3repE0EEENS1_30default_config_static_selectorELNS0_4arch9wavefront6targetE0EEEvT1_,@function
_ZN7rocprim17ROCPRIM_400000_NS6detail17trampoline_kernelINS0_14default_configENS1_25transform_config_selectorImLb1EEEZNS1_14transform_implILb1ES3_S5_PmS7_NS0_8identityIvEEEE10hipError_tT2_T3_mT4_P12ihipStream_tbEUlT_E_NS1_11comp_targetILNS1_3genE9ELNS1_11target_archE1100ELNS1_3gpuE3ELNS1_3repE0EEENS1_30default_config_static_selectorELNS0_4arch9wavefront6targetE0EEEvT1_: ; @_ZN7rocprim17ROCPRIM_400000_NS6detail17trampoline_kernelINS0_14default_configENS1_25transform_config_selectorImLb1EEEZNS1_14transform_implILb1ES3_S5_PmS7_NS0_8identityIvEEEE10hipError_tT2_T3_mT4_P12ihipStream_tbEUlT_E_NS1_11comp_targetILNS1_3genE9ELNS1_11target_archE1100ELNS1_3gpuE3ELNS1_3repE0EEENS1_30default_config_static_selectorELNS0_4arch9wavefront6targetE0EEEvT1_
; %bb.0:
	s_load_b256 s[4:11], s[0:1], 0x0
	s_waitcnt lgkmcnt(0)
	s_load_b32 s9, s[0:1], 0x28
	s_lshl_b64 s[0:1], s[6:7], 3
	s_delay_alu instid0(SALU_CYCLE_1)
	s_add_u32 s4, s4, s0
	s_addc_u32 s5, s5, s1
	s_add_u32 s6, s10, s0
	s_addc_u32 s7, s11, s1
	s_lshl_b32 s0, s15, 11
	s_mov_b32 s1, 0
	s_waitcnt lgkmcnt(0)
	s_add_i32 s9, s9, -1
	s_lshl_b64 s[2:3], s[0:1], 3
	s_mov_b32 s1, -1
	s_add_u32 s4, s4, s2
	s_addc_u32 s5, s5, s3
	s_cmp_lg_u32 s15, s9
	s_cbranch_scc0 .LBB175_2
; %bb.1:
	v_lshlrev_b32_e32 v5, 4, v0
	s_add_u32 s10, s6, s2
	s_addc_u32 s11, s7, s3
	s_mov_b32 s1, 0
	global_load_b128 v[1:4], v5, s[4:5] slc dlc
	s_waitcnt vmcnt(0)
	global_store_b128 v5, v[1:4], s[10:11]
.LBB175_2:
	s_and_not1_b32 vcc_lo, exec_lo, s1
	s_cbranch_vccnz .LBB175_11
; %bb.3:
	s_sub_i32 s0, s8, s0
	v_lshlrev_b32_e32 v5, 3, v0
	v_cmp_gt_u32_e32 vcc_lo, s0, v0
                                        ; implicit-def: $vgpr1_vgpr2_vgpr3_vgpr4
	s_and_saveexec_b32 s1, vcc_lo
	s_cbranch_execz .LBB175_5
; %bb.4:
	global_load_b64 v[1:2], v5, s[4:5]
.LBB175_5:
	s_or_b32 exec_lo, exec_lo, s1
	v_or_b32_e32 v0, 0x400, v0
	s_delay_alu instid0(VALU_DEP_1) | instskip(NEXT) | instid1(VALU_DEP_1)
	v_cmp_gt_u32_e64 s0, s0, v0
	s_and_saveexec_b32 s1, s0
	s_cbranch_execz .LBB175_7
; %bb.6:
	v_lshlrev_b32_e32 v0, 3, v0
	global_load_b64 v[3:4], v0, s[4:5]
.LBB175_7:
	s_or_b32 exec_lo, exec_lo, s1
	s_add_u32 s1, s6, s2
	s_addc_u32 s2, s7, s3
	v_add_co_u32 v5, s1, s1, v5
	s_delay_alu instid0(VALU_DEP_1)
	v_add_co_ci_u32_e64 v6, null, s2, 0, s1
	s_and_saveexec_b32 s1, vcc_lo
	s_cbranch_execz .LBB175_9
; %bb.8:
	s_waitcnt vmcnt(0)
	global_store_b64 v[5:6], v[1:2], off
.LBB175_9:
	s_or_b32 exec_lo, exec_lo, s1
	s_and_saveexec_b32 s1, s0
	s_cbranch_execz .LBB175_11
; %bb.10:
	v_add_co_u32 v0, vcc_lo, 0x2000, v5
	s_waitcnt vmcnt(0)
	v_add_co_ci_u32_e32 v1, vcc_lo, 0, v6, vcc_lo
	global_store_b64 v[0:1], v[3:4], off
.LBB175_11:
	s_nop 0
	s_sendmsg sendmsg(MSG_DEALLOC_VGPRS)
	s_endpgm
	.section	.rodata,"a",@progbits
	.p2align	6, 0x0
	.amdhsa_kernel _ZN7rocprim17ROCPRIM_400000_NS6detail17trampoline_kernelINS0_14default_configENS1_25transform_config_selectorImLb1EEEZNS1_14transform_implILb1ES3_S5_PmS7_NS0_8identityIvEEEE10hipError_tT2_T3_mT4_P12ihipStream_tbEUlT_E_NS1_11comp_targetILNS1_3genE9ELNS1_11target_archE1100ELNS1_3gpuE3ELNS1_3repE0EEENS1_30default_config_static_selectorELNS0_4arch9wavefront6targetE0EEEvT1_
		.amdhsa_group_segment_fixed_size 0
		.amdhsa_private_segment_fixed_size 0
		.amdhsa_kernarg_size 296
		.amdhsa_user_sgpr_count 15
		.amdhsa_user_sgpr_dispatch_ptr 0
		.amdhsa_user_sgpr_queue_ptr 0
		.amdhsa_user_sgpr_kernarg_segment_ptr 1
		.amdhsa_user_sgpr_dispatch_id 0
		.amdhsa_user_sgpr_private_segment_size 0
		.amdhsa_wavefront_size32 1
		.amdhsa_uses_dynamic_stack 0
		.amdhsa_enable_private_segment 0
		.amdhsa_system_sgpr_workgroup_id_x 1
		.amdhsa_system_sgpr_workgroup_id_y 0
		.amdhsa_system_sgpr_workgroup_id_z 0
		.amdhsa_system_sgpr_workgroup_info 0
		.amdhsa_system_vgpr_workitem_id 0
		.amdhsa_next_free_vgpr 7
		.amdhsa_next_free_sgpr 16
		.amdhsa_reserve_vcc 1
		.amdhsa_float_round_mode_32 0
		.amdhsa_float_round_mode_16_64 0
		.amdhsa_float_denorm_mode_32 3
		.amdhsa_float_denorm_mode_16_64 3
		.amdhsa_dx10_clamp 1
		.amdhsa_ieee_mode 1
		.amdhsa_fp16_overflow 0
		.amdhsa_workgroup_processor_mode 1
		.amdhsa_memory_ordered 1
		.amdhsa_forward_progress 0
		.amdhsa_shared_vgpr_count 0
		.amdhsa_exception_fp_ieee_invalid_op 0
		.amdhsa_exception_fp_denorm_src 0
		.amdhsa_exception_fp_ieee_div_zero 0
		.amdhsa_exception_fp_ieee_overflow 0
		.amdhsa_exception_fp_ieee_underflow 0
		.amdhsa_exception_fp_ieee_inexact 0
		.amdhsa_exception_int_div_zero 0
	.end_amdhsa_kernel
	.section	.text._ZN7rocprim17ROCPRIM_400000_NS6detail17trampoline_kernelINS0_14default_configENS1_25transform_config_selectorImLb1EEEZNS1_14transform_implILb1ES3_S5_PmS7_NS0_8identityIvEEEE10hipError_tT2_T3_mT4_P12ihipStream_tbEUlT_E_NS1_11comp_targetILNS1_3genE9ELNS1_11target_archE1100ELNS1_3gpuE3ELNS1_3repE0EEENS1_30default_config_static_selectorELNS0_4arch9wavefront6targetE0EEEvT1_,"axG",@progbits,_ZN7rocprim17ROCPRIM_400000_NS6detail17trampoline_kernelINS0_14default_configENS1_25transform_config_selectorImLb1EEEZNS1_14transform_implILb1ES3_S5_PmS7_NS0_8identityIvEEEE10hipError_tT2_T3_mT4_P12ihipStream_tbEUlT_E_NS1_11comp_targetILNS1_3genE9ELNS1_11target_archE1100ELNS1_3gpuE3ELNS1_3repE0EEENS1_30default_config_static_selectorELNS0_4arch9wavefront6targetE0EEEvT1_,comdat
.Lfunc_end175:
	.size	_ZN7rocprim17ROCPRIM_400000_NS6detail17trampoline_kernelINS0_14default_configENS1_25transform_config_selectorImLb1EEEZNS1_14transform_implILb1ES3_S5_PmS7_NS0_8identityIvEEEE10hipError_tT2_T3_mT4_P12ihipStream_tbEUlT_E_NS1_11comp_targetILNS1_3genE9ELNS1_11target_archE1100ELNS1_3gpuE3ELNS1_3repE0EEENS1_30default_config_static_selectorELNS0_4arch9wavefront6targetE0EEEvT1_, .Lfunc_end175-_ZN7rocprim17ROCPRIM_400000_NS6detail17trampoline_kernelINS0_14default_configENS1_25transform_config_selectorImLb1EEEZNS1_14transform_implILb1ES3_S5_PmS7_NS0_8identityIvEEEE10hipError_tT2_T3_mT4_P12ihipStream_tbEUlT_E_NS1_11comp_targetILNS1_3genE9ELNS1_11target_archE1100ELNS1_3gpuE3ELNS1_3repE0EEENS1_30default_config_static_selectorELNS0_4arch9wavefront6targetE0EEEvT1_
                                        ; -- End function
	.section	.AMDGPU.csdata,"",@progbits
; Kernel info:
; codeLenInByte = 304
; NumSgprs: 18
; NumVgprs: 7
; ScratchSize: 0
; MemoryBound: 1
; FloatMode: 240
; IeeeMode: 1
; LDSByteSize: 0 bytes/workgroup (compile time only)
; SGPRBlocks: 2
; VGPRBlocks: 0
; NumSGPRsForWavesPerEU: 18
; NumVGPRsForWavesPerEU: 7
; Occupancy: 16
; WaveLimiterHint : 0
; COMPUTE_PGM_RSRC2:SCRATCH_EN: 0
; COMPUTE_PGM_RSRC2:USER_SGPR: 15
; COMPUTE_PGM_RSRC2:TRAP_HANDLER: 0
; COMPUTE_PGM_RSRC2:TGID_X_EN: 1
; COMPUTE_PGM_RSRC2:TGID_Y_EN: 0
; COMPUTE_PGM_RSRC2:TGID_Z_EN: 0
; COMPUTE_PGM_RSRC2:TIDIG_COMP_CNT: 0
	.section	.text._ZN7rocprim17ROCPRIM_400000_NS6detail17trampoline_kernelINS0_14default_configENS1_25transform_config_selectorImLb1EEEZNS1_14transform_implILb1ES3_S5_PmS7_NS0_8identityIvEEEE10hipError_tT2_T3_mT4_P12ihipStream_tbEUlT_E_NS1_11comp_targetILNS1_3genE8ELNS1_11target_archE1030ELNS1_3gpuE2ELNS1_3repE0EEENS1_30default_config_static_selectorELNS0_4arch9wavefront6targetE0EEEvT1_,"axG",@progbits,_ZN7rocprim17ROCPRIM_400000_NS6detail17trampoline_kernelINS0_14default_configENS1_25transform_config_selectorImLb1EEEZNS1_14transform_implILb1ES3_S5_PmS7_NS0_8identityIvEEEE10hipError_tT2_T3_mT4_P12ihipStream_tbEUlT_E_NS1_11comp_targetILNS1_3genE8ELNS1_11target_archE1030ELNS1_3gpuE2ELNS1_3repE0EEENS1_30default_config_static_selectorELNS0_4arch9wavefront6targetE0EEEvT1_,comdat
	.protected	_ZN7rocprim17ROCPRIM_400000_NS6detail17trampoline_kernelINS0_14default_configENS1_25transform_config_selectorImLb1EEEZNS1_14transform_implILb1ES3_S5_PmS7_NS0_8identityIvEEEE10hipError_tT2_T3_mT4_P12ihipStream_tbEUlT_E_NS1_11comp_targetILNS1_3genE8ELNS1_11target_archE1030ELNS1_3gpuE2ELNS1_3repE0EEENS1_30default_config_static_selectorELNS0_4arch9wavefront6targetE0EEEvT1_ ; -- Begin function _ZN7rocprim17ROCPRIM_400000_NS6detail17trampoline_kernelINS0_14default_configENS1_25transform_config_selectorImLb1EEEZNS1_14transform_implILb1ES3_S5_PmS7_NS0_8identityIvEEEE10hipError_tT2_T3_mT4_P12ihipStream_tbEUlT_E_NS1_11comp_targetILNS1_3genE8ELNS1_11target_archE1030ELNS1_3gpuE2ELNS1_3repE0EEENS1_30default_config_static_selectorELNS0_4arch9wavefront6targetE0EEEvT1_
	.globl	_ZN7rocprim17ROCPRIM_400000_NS6detail17trampoline_kernelINS0_14default_configENS1_25transform_config_selectorImLb1EEEZNS1_14transform_implILb1ES3_S5_PmS7_NS0_8identityIvEEEE10hipError_tT2_T3_mT4_P12ihipStream_tbEUlT_E_NS1_11comp_targetILNS1_3genE8ELNS1_11target_archE1030ELNS1_3gpuE2ELNS1_3repE0EEENS1_30default_config_static_selectorELNS0_4arch9wavefront6targetE0EEEvT1_
	.p2align	8
	.type	_ZN7rocprim17ROCPRIM_400000_NS6detail17trampoline_kernelINS0_14default_configENS1_25transform_config_selectorImLb1EEEZNS1_14transform_implILb1ES3_S5_PmS7_NS0_8identityIvEEEE10hipError_tT2_T3_mT4_P12ihipStream_tbEUlT_E_NS1_11comp_targetILNS1_3genE8ELNS1_11target_archE1030ELNS1_3gpuE2ELNS1_3repE0EEENS1_30default_config_static_selectorELNS0_4arch9wavefront6targetE0EEEvT1_,@function
_ZN7rocprim17ROCPRIM_400000_NS6detail17trampoline_kernelINS0_14default_configENS1_25transform_config_selectorImLb1EEEZNS1_14transform_implILb1ES3_S5_PmS7_NS0_8identityIvEEEE10hipError_tT2_T3_mT4_P12ihipStream_tbEUlT_E_NS1_11comp_targetILNS1_3genE8ELNS1_11target_archE1030ELNS1_3gpuE2ELNS1_3repE0EEENS1_30default_config_static_selectorELNS0_4arch9wavefront6targetE0EEEvT1_: ; @_ZN7rocprim17ROCPRIM_400000_NS6detail17trampoline_kernelINS0_14default_configENS1_25transform_config_selectorImLb1EEEZNS1_14transform_implILb1ES3_S5_PmS7_NS0_8identityIvEEEE10hipError_tT2_T3_mT4_P12ihipStream_tbEUlT_E_NS1_11comp_targetILNS1_3genE8ELNS1_11target_archE1030ELNS1_3gpuE2ELNS1_3repE0EEENS1_30default_config_static_selectorELNS0_4arch9wavefront6targetE0EEEvT1_
; %bb.0:
	.section	.rodata,"a",@progbits
	.p2align	6, 0x0
	.amdhsa_kernel _ZN7rocprim17ROCPRIM_400000_NS6detail17trampoline_kernelINS0_14default_configENS1_25transform_config_selectorImLb1EEEZNS1_14transform_implILb1ES3_S5_PmS7_NS0_8identityIvEEEE10hipError_tT2_T3_mT4_P12ihipStream_tbEUlT_E_NS1_11comp_targetILNS1_3genE8ELNS1_11target_archE1030ELNS1_3gpuE2ELNS1_3repE0EEENS1_30default_config_static_selectorELNS0_4arch9wavefront6targetE0EEEvT1_
		.amdhsa_group_segment_fixed_size 0
		.amdhsa_private_segment_fixed_size 0
		.amdhsa_kernarg_size 40
		.amdhsa_user_sgpr_count 15
		.amdhsa_user_sgpr_dispatch_ptr 0
		.amdhsa_user_sgpr_queue_ptr 0
		.amdhsa_user_sgpr_kernarg_segment_ptr 1
		.amdhsa_user_sgpr_dispatch_id 0
		.amdhsa_user_sgpr_private_segment_size 0
		.amdhsa_wavefront_size32 1
		.amdhsa_uses_dynamic_stack 0
		.amdhsa_enable_private_segment 0
		.amdhsa_system_sgpr_workgroup_id_x 1
		.amdhsa_system_sgpr_workgroup_id_y 0
		.amdhsa_system_sgpr_workgroup_id_z 0
		.amdhsa_system_sgpr_workgroup_info 0
		.amdhsa_system_vgpr_workitem_id 0
		.amdhsa_next_free_vgpr 1
		.amdhsa_next_free_sgpr 1
		.amdhsa_reserve_vcc 0
		.amdhsa_float_round_mode_32 0
		.amdhsa_float_round_mode_16_64 0
		.amdhsa_float_denorm_mode_32 3
		.amdhsa_float_denorm_mode_16_64 3
		.amdhsa_dx10_clamp 1
		.amdhsa_ieee_mode 1
		.amdhsa_fp16_overflow 0
		.amdhsa_workgroup_processor_mode 1
		.amdhsa_memory_ordered 1
		.amdhsa_forward_progress 0
		.amdhsa_shared_vgpr_count 0
		.amdhsa_exception_fp_ieee_invalid_op 0
		.amdhsa_exception_fp_denorm_src 0
		.amdhsa_exception_fp_ieee_div_zero 0
		.amdhsa_exception_fp_ieee_overflow 0
		.amdhsa_exception_fp_ieee_underflow 0
		.amdhsa_exception_fp_ieee_inexact 0
		.amdhsa_exception_int_div_zero 0
	.end_amdhsa_kernel
	.section	.text._ZN7rocprim17ROCPRIM_400000_NS6detail17trampoline_kernelINS0_14default_configENS1_25transform_config_selectorImLb1EEEZNS1_14transform_implILb1ES3_S5_PmS7_NS0_8identityIvEEEE10hipError_tT2_T3_mT4_P12ihipStream_tbEUlT_E_NS1_11comp_targetILNS1_3genE8ELNS1_11target_archE1030ELNS1_3gpuE2ELNS1_3repE0EEENS1_30default_config_static_selectorELNS0_4arch9wavefront6targetE0EEEvT1_,"axG",@progbits,_ZN7rocprim17ROCPRIM_400000_NS6detail17trampoline_kernelINS0_14default_configENS1_25transform_config_selectorImLb1EEEZNS1_14transform_implILb1ES3_S5_PmS7_NS0_8identityIvEEEE10hipError_tT2_T3_mT4_P12ihipStream_tbEUlT_E_NS1_11comp_targetILNS1_3genE8ELNS1_11target_archE1030ELNS1_3gpuE2ELNS1_3repE0EEENS1_30default_config_static_selectorELNS0_4arch9wavefront6targetE0EEEvT1_,comdat
.Lfunc_end176:
	.size	_ZN7rocprim17ROCPRIM_400000_NS6detail17trampoline_kernelINS0_14default_configENS1_25transform_config_selectorImLb1EEEZNS1_14transform_implILb1ES3_S5_PmS7_NS0_8identityIvEEEE10hipError_tT2_T3_mT4_P12ihipStream_tbEUlT_E_NS1_11comp_targetILNS1_3genE8ELNS1_11target_archE1030ELNS1_3gpuE2ELNS1_3repE0EEENS1_30default_config_static_selectorELNS0_4arch9wavefront6targetE0EEEvT1_, .Lfunc_end176-_ZN7rocprim17ROCPRIM_400000_NS6detail17trampoline_kernelINS0_14default_configENS1_25transform_config_selectorImLb1EEEZNS1_14transform_implILb1ES3_S5_PmS7_NS0_8identityIvEEEE10hipError_tT2_T3_mT4_P12ihipStream_tbEUlT_E_NS1_11comp_targetILNS1_3genE8ELNS1_11target_archE1030ELNS1_3gpuE2ELNS1_3repE0EEENS1_30default_config_static_selectorELNS0_4arch9wavefront6targetE0EEEvT1_
                                        ; -- End function
	.section	.AMDGPU.csdata,"",@progbits
; Kernel info:
; codeLenInByte = 0
; NumSgprs: 0
; NumVgprs: 0
; ScratchSize: 0
; MemoryBound: 0
; FloatMode: 240
; IeeeMode: 1
; LDSByteSize: 0 bytes/workgroup (compile time only)
; SGPRBlocks: 0
; VGPRBlocks: 0
; NumSGPRsForWavesPerEU: 1
; NumVGPRsForWavesPerEU: 1
; Occupancy: 16
; WaveLimiterHint : 0
; COMPUTE_PGM_RSRC2:SCRATCH_EN: 0
; COMPUTE_PGM_RSRC2:USER_SGPR: 15
; COMPUTE_PGM_RSRC2:TRAP_HANDLER: 0
; COMPUTE_PGM_RSRC2:TGID_X_EN: 1
; COMPUTE_PGM_RSRC2:TGID_Y_EN: 0
; COMPUTE_PGM_RSRC2:TGID_Z_EN: 0
; COMPUTE_PGM_RSRC2:TIDIG_COMP_CNT: 0
	.section	.text._ZN7rocprim17ROCPRIM_400000_NS6detail31init_lookback_scan_state_kernelINS1_19lookback_scan_stateIjLb1ELb1EEENS1_16block_id_wrapperIjLb1EEEEEvT_jT0_jPNS7_10value_typeE,"axG",@progbits,_ZN7rocprim17ROCPRIM_400000_NS6detail31init_lookback_scan_state_kernelINS1_19lookback_scan_stateIjLb1ELb1EEENS1_16block_id_wrapperIjLb1EEEEEvT_jT0_jPNS7_10value_typeE,comdat
	.protected	_ZN7rocprim17ROCPRIM_400000_NS6detail31init_lookback_scan_state_kernelINS1_19lookback_scan_stateIjLb1ELb1EEENS1_16block_id_wrapperIjLb1EEEEEvT_jT0_jPNS7_10value_typeE ; -- Begin function _ZN7rocprim17ROCPRIM_400000_NS6detail31init_lookback_scan_state_kernelINS1_19lookback_scan_stateIjLb1ELb1EEENS1_16block_id_wrapperIjLb1EEEEEvT_jT0_jPNS7_10value_typeE
	.globl	_ZN7rocprim17ROCPRIM_400000_NS6detail31init_lookback_scan_state_kernelINS1_19lookback_scan_stateIjLb1ELb1EEENS1_16block_id_wrapperIjLb1EEEEEvT_jT0_jPNS7_10value_typeE
	.p2align	8
	.type	_ZN7rocprim17ROCPRIM_400000_NS6detail31init_lookback_scan_state_kernelINS1_19lookback_scan_stateIjLb1ELb1EEENS1_16block_id_wrapperIjLb1EEEEEvT_jT0_jPNS7_10value_typeE,@function
_ZN7rocprim17ROCPRIM_400000_NS6detail31init_lookback_scan_state_kernelINS1_19lookback_scan_stateIjLb1ELb1EEENS1_16block_id_wrapperIjLb1EEEEEvT_jT0_jPNS7_10value_typeE: ; @_ZN7rocprim17ROCPRIM_400000_NS6detail31init_lookback_scan_state_kernelINS1_19lookback_scan_stateIjLb1ELb1EEENS1_16block_id_wrapperIjLb1EEEEEvT_jT0_jPNS7_10value_typeE
; %bb.0:
	s_clause 0x3
	s_load_b32 s6, s[0:1], 0x34
	s_load_b64 s[4:5], s[0:1], 0x20
	s_load_b64 s[2:3], s[0:1], 0x0
	s_load_b32 s8, s[0:1], 0x8
	s_waitcnt lgkmcnt(0)
	s_and_b32 s6, s6, 0xffff
	s_cmp_eq_u64 s[4:5], 0
	v_mad_u64_u32 v[1:2], null, s15, s6, v[0:1]
	s_cbranch_scc1 .LBB177_9
; %bb.1:
	s_load_b32 s6, s[0:1], 0x18
	s_waitcnt lgkmcnt(0)
	s_cmp_lt_u32 s6, s8
	s_cselect_b32 s7, s6, 0
	s_delay_alu instid0(VALU_DEP_1) | instid1(SALU_CYCLE_1)
	v_cmp_eq_u32_e32 vcc_lo, s7, v1
	s_mov_b32 s7, 0
	s_and_saveexec_b32 s9, vcc_lo
	s_cbranch_execz .LBB177_8
; %bb.2:
	s_add_i32 s6, s6, 32
	v_mov_b32_e32 v2, 0
	s_lshl_b64 s[6:7], s[6:7], 3
	s_delay_alu instid0(SALU_CYCLE_1) | instskip(SKIP_4) | instid1(VALU_DEP_1)
	s_add_u32 s6, s2, s6
	s_addc_u32 s7, s3, s7
	global_load_b64 v[4:5], v2, s[6:7] glc
	s_waitcnt vmcnt(0)
	v_and_b32_e32 v3, 0xff, v5
	v_cmp_ne_u64_e32 vcc_lo, 0, v[2:3]
	s_cbranch_vccnz .LBB177_7
; %bb.3:
	s_mov_b32 s10, 1
.LBB177_4:                              ; =>This Loop Header: Depth=1
                                        ;     Child Loop BB177_5 Depth 2
	s_delay_alu instid0(SALU_CYCLE_1)
	s_max_u32 s11, s10, 1
.LBB177_5:                              ;   Parent Loop BB177_4 Depth=1
                                        ; =>  This Inner Loop Header: Depth=2
	s_delay_alu instid0(SALU_CYCLE_1)
	s_add_i32 s11, s11, -1
	s_sleep 1
	s_cmp_eq_u32 s11, 0
	s_cbranch_scc0 .LBB177_5
; %bb.6:                                ;   in Loop: Header=BB177_4 Depth=1
	global_load_b64 v[4:5], v2, s[6:7] glc
	s_cmp_lt_u32 s10, 32
	s_cselect_b32 s11, -1, 0
	s_delay_alu instid0(SALU_CYCLE_1) | instskip(SKIP_3) | instid1(VALU_DEP_1)
	s_cmp_lg_u32 s11, 0
	s_addc_u32 s10, s10, 0
	s_waitcnt vmcnt(0)
	v_and_b32_e32 v3, 0xff, v5
	v_cmp_ne_u64_e32 vcc_lo, 0, v[2:3]
	s_cbranch_vccz .LBB177_4
.LBB177_7:
	v_mov_b32_e32 v0, 0
	global_store_b32 v0, v4, s[4:5]
.LBB177_8:
	s_or_b32 exec_lo, exec_lo, s9
.LBB177_9:
	s_delay_alu instid0(SALU_CYCLE_1) | instskip(NEXT) | instid1(VALU_DEP_1)
	s_mov_b32 s4, exec_lo
	v_cmpx_eq_u32_e32 0, v1
	s_cbranch_execz .LBB177_11
; %bb.10:
	s_load_b64 s[0:1], s[0:1], 0x10
	v_mov_b32_e32 v0, 0
	s_waitcnt lgkmcnt(0)
	global_store_b32 v0, v0, s[0:1]
.LBB177_11:
	s_or_b32 exec_lo, exec_lo, s4
	s_delay_alu instid0(SALU_CYCLE_1)
	s_mov_b32 s0, exec_lo
	v_cmpx_gt_u32_e64 s8, v1
	s_cbranch_execz .LBB177_13
; %bb.12:
	v_dual_mov_b32 v3, 0 :: v_dual_add_nc_u32 v2, 32, v1
	s_delay_alu instid0(VALU_DEP_1) | instskip(SKIP_1) | instid1(VALU_DEP_2)
	v_lshlrev_b64 v[4:5], 3, v[2:3]
	v_mov_b32_e32 v2, v3
	v_add_co_u32 v4, vcc_lo, s2, v4
	s_delay_alu instid0(VALU_DEP_3)
	v_add_co_ci_u32_e32 v5, vcc_lo, s3, v5, vcc_lo
	global_store_b64 v[4:5], v[2:3], off
.LBB177_13:
	s_or_b32 exec_lo, exec_lo, s0
	s_delay_alu instid0(SALU_CYCLE_1)
	s_mov_b32 s0, exec_lo
	v_cmpx_gt_u32_e32 32, v1
	s_cbranch_execz .LBB177_15
; %bb.14:
	v_dual_mov_b32 v2, 0 :: v_dual_mov_b32 v3, 0xff
	s_delay_alu instid0(VALU_DEP_1) | instskip(NEXT) | instid1(VALU_DEP_1)
	v_lshlrev_b64 v[0:1], 3, v[1:2]
	v_add_co_u32 v0, vcc_lo, s2, v0
	s_delay_alu instid0(VALU_DEP_2)
	v_add_co_ci_u32_e32 v1, vcc_lo, s3, v1, vcc_lo
	global_store_b64 v[0:1], v[2:3], off
.LBB177_15:
	s_nop 0
	s_sendmsg sendmsg(MSG_DEALLOC_VGPRS)
	s_endpgm
	.section	.rodata,"a",@progbits
	.p2align	6, 0x0
	.amdhsa_kernel _ZN7rocprim17ROCPRIM_400000_NS6detail31init_lookback_scan_state_kernelINS1_19lookback_scan_stateIjLb1ELb1EEENS1_16block_id_wrapperIjLb1EEEEEvT_jT0_jPNS7_10value_typeE
		.amdhsa_group_segment_fixed_size 0
		.amdhsa_private_segment_fixed_size 0
		.amdhsa_kernarg_size 296
		.amdhsa_user_sgpr_count 15
		.amdhsa_user_sgpr_dispatch_ptr 0
		.amdhsa_user_sgpr_queue_ptr 0
		.amdhsa_user_sgpr_kernarg_segment_ptr 1
		.amdhsa_user_sgpr_dispatch_id 0
		.amdhsa_user_sgpr_private_segment_size 0
		.amdhsa_wavefront_size32 1
		.amdhsa_uses_dynamic_stack 0
		.amdhsa_enable_private_segment 0
		.amdhsa_system_sgpr_workgroup_id_x 1
		.amdhsa_system_sgpr_workgroup_id_y 0
		.amdhsa_system_sgpr_workgroup_id_z 0
		.amdhsa_system_sgpr_workgroup_info 0
		.amdhsa_system_vgpr_workitem_id 0
		.amdhsa_next_free_vgpr 6
		.amdhsa_next_free_sgpr 16
		.amdhsa_reserve_vcc 1
		.amdhsa_float_round_mode_32 0
		.amdhsa_float_round_mode_16_64 0
		.amdhsa_float_denorm_mode_32 3
		.amdhsa_float_denorm_mode_16_64 3
		.amdhsa_dx10_clamp 1
		.amdhsa_ieee_mode 1
		.amdhsa_fp16_overflow 0
		.amdhsa_workgroup_processor_mode 1
		.amdhsa_memory_ordered 1
		.amdhsa_forward_progress 0
		.amdhsa_shared_vgpr_count 0
		.amdhsa_exception_fp_ieee_invalid_op 0
		.amdhsa_exception_fp_denorm_src 0
		.amdhsa_exception_fp_ieee_div_zero 0
		.amdhsa_exception_fp_ieee_overflow 0
		.amdhsa_exception_fp_ieee_underflow 0
		.amdhsa_exception_fp_ieee_inexact 0
		.amdhsa_exception_int_div_zero 0
	.end_amdhsa_kernel
	.section	.text._ZN7rocprim17ROCPRIM_400000_NS6detail31init_lookback_scan_state_kernelINS1_19lookback_scan_stateIjLb1ELb1EEENS1_16block_id_wrapperIjLb1EEEEEvT_jT0_jPNS7_10value_typeE,"axG",@progbits,_ZN7rocprim17ROCPRIM_400000_NS6detail31init_lookback_scan_state_kernelINS1_19lookback_scan_stateIjLb1ELb1EEENS1_16block_id_wrapperIjLb1EEEEEvT_jT0_jPNS7_10value_typeE,comdat
.Lfunc_end177:
	.size	_ZN7rocprim17ROCPRIM_400000_NS6detail31init_lookback_scan_state_kernelINS1_19lookback_scan_stateIjLb1ELb1EEENS1_16block_id_wrapperIjLb1EEEEEvT_jT0_jPNS7_10value_typeE, .Lfunc_end177-_ZN7rocprim17ROCPRIM_400000_NS6detail31init_lookback_scan_state_kernelINS1_19lookback_scan_stateIjLb1ELb1EEENS1_16block_id_wrapperIjLb1EEEEEvT_jT0_jPNS7_10value_typeE
                                        ; -- End function
	.section	.AMDGPU.csdata,"",@progbits
; Kernel info:
; codeLenInByte = 444
; NumSgprs: 18
; NumVgprs: 6
; ScratchSize: 0
; MemoryBound: 0
; FloatMode: 240
; IeeeMode: 1
; LDSByteSize: 0 bytes/workgroup (compile time only)
; SGPRBlocks: 2
; VGPRBlocks: 0
; NumSGPRsForWavesPerEU: 18
; NumVGPRsForWavesPerEU: 6
; Occupancy: 16
; WaveLimiterHint : 0
; COMPUTE_PGM_RSRC2:SCRATCH_EN: 0
; COMPUTE_PGM_RSRC2:USER_SGPR: 15
; COMPUTE_PGM_RSRC2:TRAP_HANDLER: 0
; COMPUTE_PGM_RSRC2:TGID_X_EN: 1
; COMPUTE_PGM_RSRC2:TGID_Y_EN: 0
; COMPUTE_PGM_RSRC2:TGID_Z_EN: 0
; COMPUTE_PGM_RSRC2:TIDIG_COMP_CNT: 0
	.section	.text._ZN7rocprim17ROCPRIM_400000_NS6detail17trampoline_kernelINS0_14default_configENS1_25partition_config_selectorILNS1_17partition_subalgoE8ElNS0_10empty_typeEbEEZZNS1_14partition_implILS5_8ELb0ES3_jPlPS6_PKS6_NS0_5tupleIJS9_S6_EEENSD_IJSA_SA_EEENS0_18inequality_wrapperIZN2at6native12_GLOBAL__N_124unique_dim_cuda_templateIhEESt5tupleIJNSH_6TensorESM_SM_EERKSM_lbbbEUlllE0_EEPmJS6_EEE10hipError_tPvRmT3_T4_T5_T6_T7_T9_mT8_P12ihipStream_tbDpT10_ENKUlT_T0_E_clISt17integral_constantIbLb1EES1C_EEDaS17_S18_EUlS17_E_NS1_11comp_targetILNS1_3genE0ELNS1_11target_archE4294967295ELNS1_3gpuE0ELNS1_3repE0EEENS1_30default_config_static_selectorELNS0_4arch9wavefront6targetE0EEEvT1_,"axG",@progbits,_ZN7rocprim17ROCPRIM_400000_NS6detail17trampoline_kernelINS0_14default_configENS1_25partition_config_selectorILNS1_17partition_subalgoE8ElNS0_10empty_typeEbEEZZNS1_14partition_implILS5_8ELb0ES3_jPlPS6_PKS6_NS0_5tupleIJS9_S6_EEENSD_IJSA_SA_EEENS0_18inequality_wrapperIZN2at6native12_GLOBAL__N_124unique_dim_cuda_templateIhEESt5tupleIJNSH_6TensorESM_SM_EERKSM_lbbbEUlllE0_EEPmJS6_EEE10hipError_tPvRmT3_T4_T5_T6_T7_T9_mT8_P12ihipStream_tbDpT10_ENKUlT_T0_E_clISt17integral_constantIbLb1EES1C_EEDaS17_S18_EUlS17_E_NS1_11comp_targetILNS1_3genE0ELNS1_11target_archE4294967295ELNS1_3gpuE0ELNS1_3repE0EEENS1_30default_config_static_selectorELNS0_4arch9wavefront6targetE0EEEvT1_,comdat
	.globl	_ZN7rocprim17ROCPRIM_400000_NS6detail17trampoline_kernelINS0_14default_configENS1_25partition_config_selectorILNS1_17partition_subalgoE8ElNS0_10empty_typeEbEEZZNS1_14partition_implILS5_8ELb0ES3_jPlPS6_PKS6_NS0_5tupleIJS9_S6_EEENSD_IJSA_SA_EEENS0_18inequality_wrapperIZN2at6native12_GLOBAL__N_124unique_dim_cuda_templateIhEESt5tupleIJNSH_6TensorESM_SM_EERKSM_lbbbEUlllE0_EEPmJS6_EEE10hipError_tPvRmT3_T4_T5_T6_T7_T9_mT8_P12ihipStream_tbDpT10_ENKUlT_T0_E_clISt17integral_constantIbLb1EES1C_EEDaS17_S18_EUlS17_E_NS1_11comp_targetILNS1_3genE0ELNS1_11target_archE4294967295ELNS1_3gpuE0ELNS1_3repE0EEENS1_30default_config_static_selectorELNS0_4arch9wavefront6targetE0EEEvT1_ ; -- Begin function _ZN7rocprim17ROCPRIM_400000_NS6detail17trampoline_kernelINS0_14default_configENS1_25partition_config_selectorILNS1_17partition_subalgoE8ElNS0_10empty_typeEbEEZZNS1_14partition_implILS5_8ELb0ES3_jPlPS6_PKS6_NS0_5tupleIJS9_S6_EEENSD_IJSA_SA_EEENS0_18inequality_wrapperIZN2at6native12_GLOBAL__N_124unique_dim_cuda_templateIhEESt5tupleIJNSH_6TensorESM_SM_EERKSM_lbbbEUlllE0_EEPmJS6_EEE10hipError_tPvRmT3_T4_T5_T6_T7_T9_mT8_P12ihipStream_tbDpT10_ENKUlT_T0_E_clISt17integral_constantIbLb1EES1C_EEDaS17_S18_EUlS17_E_NS1_11comp_targetILNS1_3genE0ELNS1_11target_archE4294967295ELNS1_3gpuE0ELNS1_3repE0EEENS1_30default_config_static_selectorELNS0_4arch9wavefront6targetE0EEEvT1_
	.p2align	8
	.type	_ZN7rocprim17ROCPRIM_400000_NS6detail17trampoline_kernelINS0_14default_configENS1_25partition_config_selectorILNS1_17partition_subalgoE8ElNS0_10empty_typeEbEEZZNS1_14partition_implILS5_8ELb0ES3_jPlPS6_PKS6_NS0_5tupleIJS9_S6_EEENSD_IJSA_SA_EEENS0_18inequality_wrapperIZN2at6native12_GLOBAL__N_124unique_dim_cuda_templateIhEESt5tupleIJNSH_6TensorESM_SM_EERKSM_lbbbEUlllE0_EEPmJS6_EEE10hipError_tPvRmT3_T4_T5_T6_T7_T9_mT8_P12ihipStream_tbDpT10_ENKUlT_T0_E_clISt17integral_constantIbLb1EES1C_EEDaS17_S18_EUlS17_E_NS1_11comp_targetILNS1_3genE0ELNS1_11target_archE4294967295ELNS1_3gpuE0ELNS1_3repE0EEENS1_30default_config_static_selectorELNS0_4arch9wavefront6targetE0EEEvT1_,@function
_ZN7rocprim17ROCPRIM_400000_NS6detail17trampoline_kernelINS0_14default_configENS1_25partition_config_selectorILNS1_17partition_subalgoE8ElNS0_10empty_typeEbEEZZNS1_14partition_implILS5_8ELb0ES3_jPlPS6_PKS6_NS0_5tupleIJS9_S6_EEENSD_IJSA_SA_EEENS0_18inequality_wrapperIZN2at6native12_GLOBAL__N_124unique_dim_cuda_templateIhEESt5tupleIJNSH_6TensorESM_SM_EERKSM_lbbbEUlllE0_EEPmJS6_EEE10hipError_tPvRmT3_T4_T5_T6_T7_T9_mT8_P12ihipStream_tbDpT10_ENKUlT_T0_E_clISt17integral_constantIbLb1EES1C_EEDaS17_S18_EUlS17_E_NS1_11comp_targetILNS1_3genE0ELNS1_11target_archE4294967295ELNS1_3gpuE0ELNS1_3repE0EEENS1_30default_config_static_selectorELNS0_4arch9wavefront6targetE0EEEvT1_: ; @_ZN7rocprim17ROCPRIM_400000_NS6detail17trampoline_kernelINS0_14default_configENS1_25partition_config_selectorILNS1_17partition_subalgoE8ElNS0_10empty_typeEbEEZZNS1_14partition_implILS5_8ELb0ES3_jPlPS6_PKS6_NS0_5tupleIJS9_S6_EEENSD_IJSA_SA_EEENS0_18inequality_wrapperIZN2at6native12_GLOBAL__N_124unique_dim_cuda_templateIhEESt5tupleIJNSH_6TensorESM_SM_EERKSM_lbbbEUlllE0_EEPmJS6_EEE10hipError_tPvRmT3_T4_T5_T6_T7_T9_mT8_P12ihipStream_tbDpT10_ENKUlT_T0_E_clISt17integral_constantIbLb1EES1C_EEDaS17_S18_EUlS17_E_NS1_11comp_targetILNS1_3genE0ELNS1_11target_archE4294967295ELNS1_3gpuE0ELNS1_3repE0EEENS1_30default_config_static_selectorELNS0_4arch9wavefront6targetE0EEEvT1_
; %bb.0:
	.section	.rodata,"a",@progbits
	.p2align	6, 0x0
	.amdhsa_kernel _ZN7rocprim17ROCPRIM_400000_NS6detail17trampoline_kernelINS0_14default_configENS1_25partition_config_selectorILNS1_17partition_subalgoE8ElNS0_10empty_typeEbEEZZNS1_14partition_implILS5_8ELb0ES3_jPlPS6_PKS6_NS0_5tupleIJS9_S6_EEENSD_IJSA_SA_EEENS0_18inequality_wrapperIZN2at6native12_GLOBAL__N_124unique_dim_cuda_templateIhEESt5tupleIJNSH_6TensorESM_SM_EERKSM_lbbbEUlllE0_EEPmJS6_EEE10hipError_tPvRmT3_T4_T5_T6_T7_T9_mT8_P12ihipStream_tbDpT10_ENKUlT_T0_E_clISt17integral_constantIbLb1EES1C_EEDaS17_S18_EUlS17_E_NS1_11comp_targetILNS1_3genE0ELNS1_11target_archE4294967295ELNS1_3gpuE0ELNS1_3repE0EEENS1_30default_config_static_selectorELNS0_4arch9wavefront6targetE0EEEvT1_
		.amdhsa_group_segment_fixed_size 0
		.amdhsa_private_segment_fixed_size 0
		.amdhsa_kernarg_size 136
		.amdhsa_user_sgpr_count 15
		.amdhsa_user_sgpr_dispatch_ptr 0
		.amdhsa_user_sgpr_queue_ptr 0
		.amdhsa_user_sgpr_kernarg_segment_ptr 1
		.amdhsa_user_sgpr_dispatch_id 0
		.amdhsa_user_sgpr_private_segment_size 0
		.amdhsa_wavefront_size32 1
		.amdhsa_uses_dynamic_stack 0
		.amdhsa_enable_private_segment 0
		.amdhsa_system_sgpr_workgroup_id_x 1
		.amdhsa_system_sgpr_workgroup_id_y 0
		.amdhsa_system_sgpr_workgroup_id_z 0
		.amdhsa_system_sgpr_workgroup_info 0
		.amdhsa_system_vgpr_workitem_id 0
		.amdhsa_next_free_vgpr 1
		.amdhsa_next_free_sgpr 1
		.amdhsa_reserve_vcc 0
		.amdhsa_float_round_mode_32 0
		.amdhsa_float_round_mode_16_64 0
		.amdhsa_float_denorm_mode_32 3
		.amdhsa_float_denorm_mode_16_64 3
		.amdhsa_dx10_clamp 1
		.amdhsa_ieee_mode 1
		.amdhsa_fp16_overflow 0
		.amdhsa_workgroup_processor_mode 1
		.amdhsa_memory_ordered 1
		.amdhsa_forward_progress 0
		.amdhsa_shared_vgpr_count 0
		.amdhsa_exception_fp_ieee_invalid_op 0
		.amdhsa_exception_fp_denorm_src 0
		.amdhsa_exception_fp_ieee_div_zero 0
		.amdhsa_exception_fp_ieee_overflow 0
		.amdhsa_exception_fp_ieee_underflow 0
		.amdhsa_exception_fp_ieee_inexact 0
		.amdhsa_exception_int_div_zero 0
	.end_amdhsa_kernel
	.section	.text._ZN7rocprim17ROCPRIM_400000_NS6detail17trampoline_kernelINS0_14default_configENS1_25partition_config_selectorILNS1_17partition_subalgoE8ElNS0_10empty_typeEbEEZZNS1_14partition_implILS5_8ELb0ES3_jPlPS6_PKS6_NS0_5tupleIJS9_S6_EEENSD_IJSA_SA_EEENS0_18inequality_wrapperIZN2at6native12_GLOBAL__N_124unique_dim_cuda_templateIhEESt5tupleIJNSH_6TensorESM_SM_EERKSM_lbbbEUlllE0_EEPmJS6_EEE10hipError_tPvRmT3_T4_T5_T6_T7_T9_mT8_P12ihipStream_tbDpT10_ENKUlT_T0_E_clISt17integral_constantIbLb1EES1C_EEDaS17_S18_EUlS17_E_NS1_11comp_targetILNS1_3genE0ELNS1_11target_archE4294967295ELNS1_3gpuE0ELNS1_3repE0EEENS1_30default_config_static_selectorELNS0_4arch9wavefront6targetE0EEEvT1_,"axG",@progbits,_ZN7rocprim17ROCPRIM_400000_NS6detail17trampoline_kernelINS0_14default_configENS1_25partition_config_selectorILNS1_17partition_subalgoE8ElNS0_10empty_typeEbEEZZNS1_14partition_implILS5_8ELb0ES3_jPlPS6_PKS6_NS0_5tupleIJS9_S6_EEENSD_IJSA_SA_EEENS0_18inequality_wrapperIZN2at6native12_GLOBAL__N_124unique_dim_cuda_templateIhEESt5tupleIJNSH_6TensorESM_SM_EERKSM_lbbbEUlllE0_EEPmJS6_EEE10hipError_tPvRmT3_T4_T5_T6_T7_T9_mT8_P12ihipStream_tbDpT10_ENKUlT_T0_E_clISt17integral_constantIbLb1EES1C_EEDaS17_S18_EUlS17_E_NS1_11comp_targetILNS1_3genE0ELNS1_11target_archE4294967295ELNS1_3gpuE0ELNS1_3repE0EEENS1_30default_config_static_selectorELNS0_4arch9wavefront6targetE0EEEvT1_,comdat
.Lfunc_end178:
	.size	_ZN7rocprim17ROCPRIM_400000_NS6detail17trampoline_kernelINS0_14default_configENS1_25partition_config_selectorILNS1_17partition_subalgoE8ElNS0_10empty_typeEbEEZZNS1_14partition_implILS5_8ELb0ES3_jPlPS6_PKS6_NS0_5tupleIJS9_S6_EEENSD_IJSA_SA_EEENS0_18inequality_wrapperIZN2at6native12_GLOBAL__N_124unique_dim_cuda_templateIhEESt5tupleIJNSH_6TensorESM_SM_EERKSM_lbbbEUlllE0_EEPmJS6_EEE10hipError_tPvRmT3_T4_T5_T6_T7_T9_mT8_P12ihipStream_tbDpT10_ENKUlT_T0_E_clISt17integral_constantIbLb1EES1C_EEDaS17_S18_EUlS17_E_NS1_11comp_targetILNS1_3genE0ELNS1_11target_archE4294967295ELNS1_3gpuE0ELNS1_3repE0EEENS1_30default_config_static_selectorELNS0_4arch9wavefront6targetE0EEEvT1_, .Lfunc_end178-_ZN7rocprim17ROCPRIM_400000_NS6detail17trampoline_kernelINS0_14default_configENS1_25partition_config_selectorILNS1_17partition_subalgoE8ElNS0_10empty_typeEbEEZZNS1_14partition_implILS5_8ELb0ES3_jPlPS6_PKS6_NS0_5tupleIJS9_S6_EEENSD_IJSA_SA_EEENS0_18inequality_wrapperIZN2at6native12_GLOBAL__N_124unique_dim_cuda_templateIhEESt5tupleIJNSH_6TensorESM_SM_EERKSM_lbbbEUlllE0_EEPmJS6_EEE10hipError_tPvRmT3_T4_T5_T6_T7_T9_mT8_P12ihipStream_tbDpT10_ENKUlT_T0_E_clISt17integral_constantIbLb1EES1C_EEDaS17_S18_EUlS17_E_NS1_11comp_targetILNS1_3genE0ELNS1_11target_archE4294967295ELNS1_3gpuE0ELNS1_3repE0EEENS1_30default_config_static_selectorELNS0_4arch9wavefront6targetE0EEEvT1_
                                        ; -- End function
	.section	.AMDGPU.csdata,"",@progbits
; Kernel info:
; codeLenInByte = 0
; NumSgprs: 0
; NumVgprs: 0
; ScratchSize: 0
; MemoryBound: 0
; FloatMode: 240
; IeeeMode: 1
; LDSByteSize: 0 bytes/workgroup (compile time only)
; SGPRBlocks: 0
; VGPRBlocks: 0
; NumSGPRsForWavesPerEU: 1
; NumVGPRsForWavesPerEU: 1
; Occupancy: 16
; WaveLimiterHint : 0
; COMPUTE_PGM_RSRC2:SCRATCH_EN: 0
; COMPUTE_PGM_RSRC2:USER_SGPR: 15
; COMPUTE_PGM_RSRC2:TRAP_HANDLER: 0
; COMPUTE_PGM_RSRC2:TGID_X_EN: 1
; COMPUTE_PGM_RSRC2:TGID_Y_EN: 0
; COMPUTE_PGM_RSRC2:TGID_Z_EN: 0
; COMPUTE_PGM_RSRC2:TIDIG_COMP_CNT: 0
	.section	.text._ZN7rocprim17ROCPRIM_400000_NS6detail17trampoline_kernelINS0_14default_configENS1_25partition_config_selectorILNS1_17partition_subalgoE8ElNS0_10empty_typeEbEEZZNS1_14partition_implILS5_8ELb0ES3_jPlPS6_PKS6_NS0_5tupleIJS9_S6_EEENSD_IJSA_SA_EEENS0_18inequality_wrapperIZN2at6native12_GLOBAL__N_124unique_dim_cuda_templateIhEESt5tupleIJNSH_6TensorESM_SM_EERKSM_lbbbEUlllE0_EEPmJS6_EEE10hipError_tPvRmT3_T4_T5_T6_T7_T9_mT8_P12ihipStream_tbDpT10_ENKUlT_T0_E_clISt17integral_constantIbLb1EES1C_EEDaS17_S18_EUlS17_E_NS1_11comp_targetILNS1_3genE5ELNS1_11target_archE942ELNS1_3gpuE9ELNS1_3repE0EEENS1_30default_config_static_selectorELNS0_4arch9wavefront6targetE0EEEvT1_,"axG",@progbits,_ZN7rocprim17ROCPRIM_400000_NS6detail17trampoline_kernelINS0_14default_configENS1_25partition_config_selectorILNS1_17partition_subalgoE8ElNS0_10empty_typeEbEEZZNS1_14partition_implILS5_8ELb0ES3_jPlPS6_PKS6_NS0_5tupleIJS9_S6_EEENSD_IJSA_SA_EEENS0_18inequality_wrapperIZN2at6native12_GLOBAL__N_124unique_dim_cuda_templateIhEESt5tupleIJNSH_6TensorESM_SM_EERKSM_lbbbEUlllE0_EEPmJS6_EEE10hipError_tPvRmT3_T4_T5_T6_T7_T9_mT8_P12ihipStream_tbDpT10_ENKUlT_T0_E_clISt17integral_constantIbLb1EES1C_EEDaS17_S18_EUlS17_E_NS1_11comp_targetILNS1_3genE5ELNS1_11target_archE942ELNS1_3gpuE9ELNS1_3repE0EEENS1_30default_config_static_selectorELNS0_4arch9wavefront6targetE0EEEvT1_,comdat
	.globl	_ZN7rocprim17ROCPRIM_400000_NS6detail17trampoline_kernelINS0_14default_configENS1_25partition_config_selectorILNS1_17partition_subalgoE8ElNS0_10empty_typeEbEEZZNS1_14partition_implILS5_8ELb0ES3_jPlPS6_PKS6_NS0_5tupleIJS9_S6_EEENSD_IJSA_SA_EEENS0_18inequality_wrapperIZN2at6native12_GLOBAL__N_124unique_dim_cuda_templateIhEESt5tupleIJNSH_6TensorESM_SM_EERKSM_lbbbEUlllE0_EEPmJS6_EEE10hipError_tPvRmT3_T4_T5_T6_T7_T9_mT8_P12ihipStream_tbDpT10_ENKUlT_T0_E_clISt17integral_constantIbLb1EES1C_EEDaS17_S18_EUlS17_E_NS1_11comp_targetILNS1_3genE5ELNS1_11target_archE942ELNS1_3gpuE9ELNS1_3repE0EEENS1_30default_config_static_selectorELNS0_4arch9wavefront6targetE0EEEvT1_ ; -- Begin function _ZN7rocprim17ROCPRIM_400000_NS6detail17trampoline_kernelINS0_14default_configENS1_25partition_config_selectorILNS1_17partition_subalgoE8ElNS0_10empty_typeEbEEZZNS1_14partition_implILS5_8ELb0ES3_jPlPS6_PKS6_NS0_5tupleIJS9_S6_EEENSD_IJSA_SA_EEENS0_18inequality_wrapperIZN2at6native12_GLOBAL__N_124unique_dim_cuda_templateIhEESt5tupleIJNSH_6TensorESM_SM_EERKSM_lbbbEUlllE0_EEPmJS6_EEE10hipError_tPvRmT3_T4_T5_T6_T7_T9_mT8_P12ihipStream_tbDpT10_ENKUlT_T0_E_clISt17integral_constantIbLb1EES1C_EEDaS17_S18_EUlS17_E_NS1_11comp_targetILNS1_3genE5ELNS1_11target_archE942ELNS1_3gpuE9ELNS1_3repE0EEENS1_30default_config_static_selectorELNS0_4arch9wavefront6targetE0EEEvT1_
	.p2align	8
	.type	_ZN7rocprim17ROCPRIM_400000_NS6detail17trampoline_kernelINS0_14default_configENS1_25partition_config_selectorILNS1_17partition_subalgoE8ElNS0_10empty_typeEbEEZZNS1_14partition_implILS5_8ELb0ES3_jPlPS6_PKS6_NS0_5tupleIJS9_S6_EEENSD_IJSA_SA_EEENS0_18inequality_wrapperIZN2at6native12_GLOBAL__N_124unique_dim_cuda_templateIhEESt5tupleIJNSH_6TensorESM_SM_EERKSM_lbbbEUlllE0_EEPmJS6_EEE10hipError_tPvRmT3_T4_T5_T6_T7_T9_mT8_P12ihipStream_tbDpT10_ENKUlT_T0_E_clISt17integral_constantIbLb1EES1C_EEDaS17_S18_EUlS17_E_NS1_11comp_targetILNS1_3genE5ELNS1_11target_archE942ELNS1_3gpuE9ELNS1_3repE0EEENS1_30default_config_static_selectorELNS0_4arch9wavefront6targetE0EEEvT1_,@function
_ZN7rocprim17ROCPRIM_400000_NS6detail17trampoline_kernelINS0_14default_configENS1_25partition_config_selectorILNS1_17partition_subalgoE8ElNS0_10empty_typeEbEEZZNS1_14partition_implILS5_8ELb0ES3_jPlPS6_PKS6_NS0_5tupleIJS9_S6_EEENSD_IJSA_SA_EEENS0_18inequality_wrapperIZN2at6native12_GLOBAL__N_124unique_dim_cuda_templateIhEESt5tupleIJNSH_6TensorESM_SM_EERKSM_lbbbEUlllE0_EEPmJS6_EEE10hipError_tPvRmT3_T4_T5_T6_T7_T9_mT8_P12ihipStream_tbDpT10_ENKUlT_T0_E_clISt17integral_constantIbLb1EES1C_EEDaS17_S18_EUlS17_E_NS1_11comp_targetILNS1_3genE5ELNS1_11target_archE942ELNS1_3gpuE9ELNS1_3repE0EEENS1_30default_config_static_selectorELNS0_4arch9wavefront6targetE0EEEvT1_: ; @_ZN7rocprim17ROCPRIM_400000_NS6detail17trampoline_kernelINS0_14default_configENS1_25partition_config_selectorILNS1_17partition_subalgoE8ElNS0_10empty_typeEbEEZZNS1_14partition_implILS5_8ELb0ES3_jPlPS6_PKS6_NS0_5tupleIJS9_S6_EEENSD_IJSA_SA_EEENS0_18inequality_wrapperIZN2at6native12_GLOBAL__N_124unique_dim_cuda_templateIhEESt5tupleIJNSH_6TensorESM_SM_EERKSM_lbbbEUlllE0_EEPmJS6_EEE10hipError_tPvRmT3_T4_T5_T6_T7_T9_mT8_P12ihipStream_tbDpT10_ENKUlT_T0_E_clISt17integral_constantIbLb1EES1C_EEDaS17_S18_EUlS17_E_NS1_11comp_targetILNS1_3genE5ELNS1_11target_archE942ELNS1_3gpuE9ELNS1_3repE0EEENS1_30default_config_static_selectorELNS0_4arch9wavefront6targetE0EEEvT1_
; %bb.0:
	.section	.rodata,"a",@progbits
	.p2align	6, 0x0
	.amdhsa_kernel _ZN7rocprim17ROCPRIM_400000_NS6detail17trampoline_kernelINS0_14default_configENS1_25partition_config_selectorILNS1_17partition_subalgoE8ElNS0_10empty_typeEbEEZZNS1_14partition_implILS5_8ELb0ES3_jPlPS6_PKS6_NS0_5tupleIJS9_S6_EEENSD_IJSA_SA_EEENS0_18inequality_wrapperIZN2at6native12_GLOBAL__N_124unique_dim_cuda_templateIhEESt5tupleIJNSH_6TensorESM_SM_EERKSM_lbbbEUlllE0_EEPmJS6_EEE10hipError_tPvRmT3_T4_T5_T6_T7_T9_mT8_P12ihipStream_tbDpT10_ENKUlT_T0_E_clISt17integral_constantIbLb1EES1C_EEDaS17_S18_EUlS17_E_NS1_11comp_targetILNS1_3genE5ELNS1_11target_archE942ELNS1_3gpuE9ELNS1_3repE0EEENS1_30default_config_static_selectorELNS0_4arch9wavefront6targetE0EEEvT1_
		.amdhsa_group_segment_fixed_size 0
		.amdhsa_private_segment_fixed_size 0
		.amdhsa_kernarg_size 136
		.amdhsa_user_sgpr_count 15
		.amdhsa_user_sgpr_dispatch_ptr 0
		.amdhsa_user_sgpr_queue_ptr 0
		.amdhsa_user_sgpr_kernarg_segment_ptr 1
		.amdhsa_user_sgpr_dispatch_id 0
		.amdhsa_user_sgpr_private_segment_size 0
		.amdhsa_wavefront_size32 1
		.amdhsa_uses_dynamic_stack 0
		.amdhsa_enable_private_segment 0
		.amdhsa_system_sgpr_workgroup_id_x 1
		.amdhsa_system_sgpr_workgroup_id_y 0
		.amdhsa_system_sgpr_workgroup_id_z 0
		.amdhsa_system_sgpr_workgroup_info 0
		.amdhsa_system_vgpr_workitem_id 0
		.amdhsa_next_free_vgpr 1
		.amdhsa_next_free_sgpr 1
		.amdhsa_reserve_vcc 0
		.amdhsa_float_round_mode_32 0
		.amdhsa_float_round_mode_16_64 0
		.amdhsa_float_denorm_mode_32 3
		.amdhsa_float_denorm_mode_16_64 3
		.amdhsa_dx10_clamp 1
		.amdhsa_ieee_mode 1
		.amdhsa_fp16_overflow 0
		.amdhsa_workgroup_processor_mode 1
		.amdhsa_memory_ordered 1
		.amdhsa_forward_progress 0
		.amdhsa_shared_vgpr_count 0
		.amdhsa_exception_fp_ieee_invalid_op 0
		.amdhsa_exception_fp_denorm_src 0
		.amdhsa_exception_fp_ieee_div_zero 0
		.amdhsa_exception_fp_ieee_overflow 0
		.amdhsa_exception_fp_ieee_underflow 0
		.amdhsa_exception_fp_ieee_inexact 0
		.amdhsa_exception_int_div_zero 0
	.end_amdhsa_kernel
	.section	.text._ZN7rocprim17ROCPRIM_400000_NS6detail17trampoline_kernelINS0_14default_configENS1_25partition_config_selectorILNS1_17partition_subalgoE8ElNS0_10empty_typeEbEEZZNS1_14partition_implILS5_8ELb0ES3_jPlPS6_PKS6_NS0_5tupleIJS9_S6_EEENSD_IJSA_SA_EEENS0_18inequality_wrapperIZN2at6native12_GLOBAL__N_124unique_dim_cuda_templateIhEESt5tupleIJNSH_6TensorESM_SM_EERKSM_lbbbEUlllE0_EEPmJS6_EEE10hipError_tPvRmT3_T4_T5_T6_T7_T9_mT8_P12ihipStream_tbDpT10_ENKUlT_T0_E_clISt17integral_constantIbLb1EES1C_EEDaS17_S18_EUlS17_E_NS1_11comp_targetILNS1_3genE5ELNS1_11target_archE942ELNS1_3gpuE9ELNS1_3repE0EEENS1_30default_config_static_selectorELNS0_4arch9wavefront6targetE0EEEvT1_,"axG",@progbits,_ZN7rocprim17ROCPRIM_400000_NS6detail17trampoline_kernelINS0_14default_configENS1_25partition_config_selectorILNS1_17partition_subalgoE8ElNS0_10empty_typeEbEEZZNS1_14partition_implILS5_8ELb0ES3_jPlPS6_PKS6_NS0_5tupleIJS9_S6_EEENSD_IJSA_SA_EEENS0_18inequality_wrapperIZN2at6native12_GLOBAL__N_124unique_dim_cuda_templateIhEESt5tupleIJNSH_6TensorESM_SM_EERKSM_lbbbEUlllE0_EEPmJS6_EEE10hipError_tPvRmT3_T4_T5_T6_T7_T9_mT8_P12ihipStream_tbDpT10_ENKUlT_T0_E_clISt17integral_constantIbLb1EES1C_EEDaS17_S18_EUlS17_E_NS1_11comp_targetILNS1_3genE5ELNS1_11target_archE942ELNS1_3gpuE9ELNS1_3repE0EEENS1_30default_config_static_selectorELNS0_4arch9wavefront6targetE0EEEvT1_,comdat
.Lfunc_end179:
	.size	_ZN7rocprim17ROCPRIM_400000_NS6detail17trampoline_kernelINS0_14default_configENS1_25partition_config_selectorILNS1_17partition_subalgoE8ElNS0_10empty_typeEbEEZZNS1_14partition_implILS5_8ELb0ES3_jPlPS6_PKS6_NS0_5tupleIJS9_S6_EEENSD_IJSA_SA_EEENS0_18inequality_wrapperIZN2at6native12_GLOBAL__N_124unique_dim_cuda_templateIhEESt5tupleIJNSH_6TensorESM_SM_EERKSM_lbbbEUlllE0_EEPmJS6_EEE10hipError_tPvRmT3_T4_T5_T6_T7_T9_mT8_P12ihipStream_tbDpT10_ENKUlT_T0_E_clISt17integral_constantIbLb1EES1C_EEDaS17_S18_EUlS17_E_NS1_11comp_targetILNS1_3genE5ELNS1_11target_archE942ELNS1_3gpuE9ELNS1_3repE0EEENS1_30default_config_static_selectorELNS0_4arch9wavefront6targetE0EEEvT1_, .Lfunc_end179-_ZN7rocprim17ROCPRIM_400000_NS6detail17trampoline_kernelINS0_14default_configENS1_25partition_config_selectorILNS1_17partition_subalgoE8ElNS0_10empty_typeEbEEZZNS1_14partition_implILS5_8ELb0ES3_jPlPS6_PKS6_NS0_5tupleIJS9_S6_EEENSD_IJSA_SA_EEENS0_18inequality_wrapperIZN2at6native12_GLOBAL__N_124unique_dim_cuda_templateIhEESt5tupleIJNSH_6TensorESM_SM_EERKSM_lbbbEUlllE0_EEPmJS6_EEE10hipError_tPvRmT3_T4_T5_T6_T7_T9_mT8_P12ihipStream_tbDpT10_ENKUlT_T0_E_clISt17integral_constantIbLb1EES1C_EEDaS17_S18_EUlS17_E_NS1_11comp_targetILNS1_3genE5ELNS1_11target_archE942ELNS1_3gpuE9ELNS1_3repE0EEENS1_30default_config_static_selectorELNS0_4arch9wavefront6targetE0EEEvT1_
                                        ; -- End function
	.section	.AMDGPU.csdata,"",@progbits
; Kernel info:
; codeLenInByte = 0
; NumSgprs: 0
; NumVgprs: 0
; ScratchSize: 0
; MemoryBound: 0
; FloatMode: 240
; IeeeMode: 1
; LDSByteSize: 0 bytes/workgroup (compile time only)
; SGPRBlocks: 0
; VGPRBlocks: 0
; NumSGPRsForWavesPerEU: 1
; NumVGPRsForWavesPerEU: 1
; Occupancy: 16
; WaveLimiterHint : 0
; COMPUTE_PGM_RSRC2:SCRATCH_EN: 0
; COMPUTE_PGM_RSRC2:USER_SGPR: 15
; COMPUTE_PGM_RSRC2:TRAP_HANDLER: 0
; COMPUTE_PGM_RSRC2:TGID_X_EN: 1
; COMPUTE_PGM_RSRC2:TGID_Y_EN: 0
; COMPUTE_PGM_RSRC2:TGID_Z_EN: 0
; COMPUTE_PGM_RSRC2:TIDIG_COMP_CNT: 0
	.section	.text._ZN7rocprim17ROCPRIM_400000_NS6detail17trampoline_kernelINS0_14default_configENS1_25partition_config_selectorILNS1_17partition_subalgoE8ElNS0_10empty_typeEbEEZZNS1_14partition_implILS5_8ELb0ES3_jPlPS6_PKS6_NS0_5tupleIJS9_S6_EEENSD_IJSA_SA_EEENS0_18inequality_wrapperIZN2at6native12_GLOBAL__N_124unique_dim_cuda_templateIhEESt5tupleIJNSH_6TensorESM_SM_EERKSM_lbbbEUlllE0_EEPmJS6_EEE10hipError_tPvRmT3_T4_T5_T6_T7_T9_mT8_P12ihipStream_tbDpT10_ENKUlT_T0_E_clISt17integral_constantIbLb1EES1C_EEDaS17_S18_EUlS17_E_NS1_11comp_targetILNS1_3genE4ELNS1_11target_archE910ELNS1_3gpuE8ELNS1_3repE0EEENS1_30default_config_static_selectorELNS0_4arch9wavefront6targetE0EEEvT1_,"axG",@progbits,_ZN7rocprim17ROCPRIM_400000_NS6detail17trampoline_kernelINS0_14default_configENS1_25partition_config_selectorILNS1_17partition_subalgoE8ElNS0_10empty_typeEbEEZZNS1_14partition_implILS5_8ELb0ES3_jPlPS6_PKS6_NS0_5tupleIJS9_S6_EEENSD_IJSA_SA_EEENS0_18inequality_wrapperIZN2at6native12_GLOBAL__N_124unique_dim_cuda_templateIhEESt5tupleIJNSH_6TensorESM_SM_EERKSM_lbbbEUlllE0_EEPmJS6_EEE10hipError_tPvRmT3_T4_T5_T6_T7_T9_mT8_P12ihipStream_tbDpT10_ENKUlT_T0_E_clISt17integral_constantIbLb1EES1C_EEDaS17_S18_EUlS17_E_NS1_11comp_targetILNS1_3genE4ELNS1_11target_archE910ELNS1_3gpuE8ELNS1_3repE0EEENS1_30default_config_static_selectorELNS0_4arch9wavefront6targetE0EEEvT1_,comdat
	.globl	_ZN7rocprim17ROCPRIM_400000_NS6detail17trampoline_kernelINS0_14default_configENS1_25partition_config_selectorILNS1_17partition_subalgoE8ElNS0_10empty_typeEbEEZZNS1_14partition_implILS5_8ELb0ES3_jPlPS6_PKS6_NS0_5tupleIJS9_S6_EEENSD_IJSA_SA_EEENS0_18inequality_wrapperIZN2at6native12_GLOBAL__N_124unique_dim_cuda_templateIhEESt5tupleIJNSH_6TensorESM_SM_EERKSM_lbbbEUlllE0_EEPmJS6_EEE10hipError_tPvRmT3_T4_T5_T6_T7_T9_mT8_P12ihipStream_tbDpT10_ENKUlT_T0_E_clISt17integral_constantIbLb1EES1C_EEDaS17_S18_EUlS17_E_NS1_11comp_targetILNS1_3genE4ELNS1_11target_archE910ELNS1_3gpuE8ELNS1_3repE0EEENS1_30default_config_static_selectorELNS0_4arch9wavefront6targetE0EEEvT1_ ; -- Begin function _ZN7rocprim17ROCPRIM_400000_NS6detail17trampoline_kernelINS0_14default_configENS1_25partition_config_selectorILNS1_17partition_subalgoE8ElNS0_10empty_typeEbEEZZNS1_14partition_implILS5_8ELb0ES3_jPlPS6_PKS6_NS0_5tupleIJS9_S6_EEENSD_IJSA_SA_EEENS0_18inequality_wrapperIZN2at6native12_GLOBAL__N_124unique_dim_cuda_templateIhEESt5tupleIJNSH_6TensorESM_SM_EERKSM_lbbbEUlllE0_EEPmJS6_EEE10hipError_tPvRmT3_T4_T5_T6_T7_T9_mT8_P12ihipStream_tbDpT10_ENKUlT_T0_E_clISt17integral_constantIbLb1EES1C_EEDaS17_S18_EUlS17_E_NS1_11comp_targetILNS1_3genE4ELNS1_11target_archE910ELNS1_3gpuE8ELNS1_3repE0EEENS1_30default_config_static_selectorELNS0_4arch9wavefront6targetE0EEEvT1_
	.p2align	8
	.type	_ZN7rocprim17ROCPRIM_400000_NS6detail17trampoline_kernelINS0_14default_configENS1_25partition_config_selectorILNS1_17partition_subalgoE8ElNS0_10empty_typeEbEEZZNS1_14partition_implILS5_8ELb0ES3_jPlPS6_PKS6_NS0_5tupleIJS9_S6_EEENSD_IJSA_SA_EEENS0_18inequality_wrapperIZN2at6native12_GLOBAL__N_124unique_dim_cuda_templateIhEESt5tupleIJNSH_6TensorESM_SM_EERKSM_lbbbEUlllE0_EEPmJS6_EEE10hipError_tPvRmT3_T4_T5_T6_T7_T9_mT8_P12ihipStream_tbDpT10_ENKUlT_T0_E_clISt17integral_constantIbLb1EES1C_EEDaS17_S18_EUlS17_E_NS1_11comp_targetILNS1_3genE4ELNS1_11target_archE910ELNS1_3gpuE8ELNS1_3repE0EEENS1_30default_config_static_selectorELNS0_4arch9wavefront6targetE0EEEvT1_,@function
_ZN7rocprim17ROCPRIM_400000_NS6detail17trampoline_kernelINS0_14default_configENS1_25partition_config_selectorILNS1_17partition_subalgoE8ElNS0_10empty_typeEbEEZZNS1_14partition_implILS5_8ELb0ES3_jPlPS6_PKS6_NS0_5tupleIJS9_S6_EEENSD_IJSA_SA_EEENS0_18inequality_wrapperIZN2at6native12_GLOBAL__N_124unique_dim_cuda_templateIhEESt5tupleIJNSH_6TensorESM_SM_EERKSM_lbbbEUlllE0_EEPmJS6_EEE10hipError_tPvRmT3_T4_T5_T6_T7_T9_mT8_P12ihipStream_tbDpT10_ENKUlT_T0_E_clISt17integral_constantIbLb1EES1C_EEDaS17_S18_EUlS17_E_NS1_11comp_targetILNS1_3genE4ELNS1_11target_archE910ELNS1_3gpuE8ELNS1_3repE0EEENS1_30default_config_static_selectorELNS0_4arch9wavefront6targetE0EEEvT1_: ; @_ZN7rocprim17ROCPRIM_400000_NS6detail17trampoline_kernelINS0_14default_configENS1_25partition_config_selectorILNS1_17partition_subalgoE8ElNS0_10empty_typeEbEEZZNS1_14partition_implILS5_8ELb0ES3_jPlPS6_PKS6_NS0_5tupleIJS9_S6_EEENSD_IJSA_SA_EEENS0_18inequality_wrapperIZN2at6native12_GLOBAL__N_124unique_dim_cuda_templateIhEESt5tupleIJNSH_6TensorESM_SM_EERKSM_lbbbEUlllE0_EEPmJS6_EEE10hipError_tPvRmT3_T4_T5_T6_T7_T9_mT8_P12ihipStream_tbDpT10_ENKUlT_T0_E_clISt17integral_constantIbLb1EES1C_EEDaS17_S18_EUlS17_E_NS1_11comp_targetILNS1_3genE4ELNS1_11target_archE910ELNS1_3gpuE8ELNS1_3repE0EEENS1_30default_config_static_selectorELNS0_4arch9wavefront6targetE0EEEvT1_
; %bb.0:
	.section	.rodata,"a",@progbits
	.p2align	6, 0x0
	.amdhsa_kernel _ZN7rocprim17ROCPRIM_400000_NS6detail17trampoline_kernelINS0_14default_configENS1_25partition_config_selectorILNS1_17partition_subalgoE8ElNS0_10empty_typeEbEEZZNS1_14partition_implILS5_8ELb0ES3_jPlPS6_PKS6_NS0_5tupleIJS9_S6_EEENSD_IJSA_SA_EEENS0_18inequality_wrapperIZN2at6native12_GLOBAL__N_124unique_dim_cuda_templateIhEESt5tupleIJNSH_6TensorESM_SM_EERKSM_lbbbEUlllE0_EEPmJS6_EEE10hipError_tPvRmT3_T4_T5_T6_T7_T9_mT8_P12ihipStream_tbDpT10_ENKUlT_T0_E_clISt17integral_constantIbLb1EES1C_EEDaS17_S18_EUlS17_E_NS1_11comp_targetILNS1_3genE4ELNS1_11target_archE910ELNS1_3gpuE8ELNS1_3repE0EEENS1_30default_config_static_selectorELNS0_4arch9wavefront6targetE0EEEvT1_
		.amdhsa_group_segment_fixed_size 0
		.amdhsa_private_segment_fixed_size 0
		.amdhsa_kernarg_size 136
		.amdhsa_user_sgpr_count 15
		.amdhsa_user_sgpr_dispatch_ptr 0
		.amdhsa_user_sgpr_queue_ptr 0
		.amdhsa_user_sgpr_kernarg_segment_ptr 1
		.amdhsa_user_sgpr_dispatch_id 0
		.amdhsa_user_sgpr_private_segment_size 0
		.amdhsa_wavefront_size32 1
		.amdhsa_uses_dynamic_stack 0
		.amdhsa_enable_private_segment 0
		.amdhsa_system_sgpr_workgroup_id_x 1
		.amdhsa_system_sgpr_workgroup_id_y 0
		.amdhsa_system_sgpr_workgroup_id_z 0
		.amdhsa_system_sgpr_workgroup_info 0
		.amdhsa_system_vgpr_workitem_id 0
		.amdhsa_next_free_vgpr 1
		.amdhsa_next_free_sgpr 1
		.amdhsa_reserve_vcc 0
		.amdhsa_float_round_mode_32 0
		.amdhsa_float_round_mode_16_64 0
		.amdhsa_float_denorm_mode_32 3
		.amdhsa_float_denorm_mode_16_64 3
		.amdhsa_dx10_clamp 1
		.amdhsa_ieee_mode 1
		.amdhsa_fp16_overflow 0
		.amdhsa_workgroup_processor_mode 1
		.amdhsa_memory_ordered 1
		.amdhsa_forward_progress 0
		.amdhsa_shared_vgpr_count 0
		.amdhsa_exception_fp_ieee_invalid_op 0
		.amdhsa_exception_fp_denorm_src 0
		.amdhsa_exception_fp_ieee_div_zero 0
		.amdhsa_exception_fp_ieee_overflow 0
		.amdhsa_exception_fp_ieee_underflow 0
		.amdhsa_exception_fp_ieee_inexact 0
		.amdhsa_exception_int_div_zero 0
	.end_amdhsa_kernel
	.section	.text._ZN7rocprim17ROCPRIM_400000_NS6detail17trampoline_kernelINS0_14default_configENS1_25partition_config_selectorILNS1_17partition_subalgoE8ElNS0_10empty_typeEbEEZZNS1_14partition_implILS5_8ELb0ES3_jPlPS6_PKS6_NS0_5tupleIJS9_S6_EEENSD_IJSA_SA_EEENS0_18inequality_wrapperIZN2at6native12_GLOBAL__N_124unique_dim_cuda_templateIhEESt5tupleIJNSH_6TensorESM_SM_EERKSM_lbbbEUlllE0_EEPmJS6_EEE10hipError_tPvRmT3_T4_T5_T6_T7_T9_mT8_P12ihipStream_tbDpT10_ENKUlT_T0_E_clISt17integral_constantIbLb1EES1C_EEDaS17_S18_EUlS17_E_NS1_11comp_targetILNS1_3genE4ELNS1_11target_archE910ELNS1_3gpuE8ELNS1_3repE0EEENS1_30default_config_static_selectorELNS0_4arch9wavefront6targetE0EEEvT1_,"axG",@progbits,_ZN7rocprim17ROCPRIM_400000_NS6detail17trampoline_kernelINS0_14default_configENS1_25partition_config_selectorILNS1_17partition_subalgoE8ElNS0_10empty_typeEbEEZZNS1_14partition_implILS5_8ELb0ES3_jPlPS6_PKS6_NS0_5tupleIJS9_S6_EEENSD_IJSA_SA_EEENS0_18inequality_wrapperIZN2at6native12_GLOBAL__N_124unique_dim_cuda_templateIhEESt5tupleIJNSH_6TensorESM_SM_EERKSM_lbbbEUlllE0_EEPmJS6_EEE10hipError_tPvRmT3_T4_T5_T6_T7_T9_mT8_P12ihipStream_tbDpT10_ENKUlT_T0_E_clISt17integral_constantIbLb1EES1C_EEDaS17_S18_EUlS17_E_NS1_11comp_targetILNS1_3genE4ELNS1_11target_archE910ELNS1_3gpuE8ELNS1_3repE0EEENS1_30default_config_static_selectorELNS0_4arch9wavefront6targetE0EEEvT1_,comdat
.Lfunc_end180:
	.size	_ZN7rocprim17ROCPRIM_400000_NS6detail17trampoline_kernelINS0_14default_configENS1_25partition_config_selectorILNS1_17partition_subalgoE8ElNS0_10empty_typeEbEEZZNS1_14partition_implILS5_8ELb0ES3_jPlPS6_PKS6_NS0_5tupleIJS9_S6_EEENSD_IJSA_SA_EEENS0_18inequality_wrapperIZN2at6native12_GLOBAL__N_124unique_dim_cuda_templateIhEESt5tupleIJNSH_6TensorESM_SM_EERKSM_lbbbEUlllE0_EEPmJS6_EEE10hipError_tPvRmT3_T4_T5_T6_T7_T9_mT8_P12ihipStream_tbDpT10_ENKUlT_T0_E_clISt17integral_constantIbLb1EES1C_EEDaS17_S18_EUlS17_E_NS1_11comp_targetILNS1_3genE4ELNS1_11target_archE910ELNS1_3gpuE8ELNS1_3repE0EEENS1_30default_config_static_selectorELNS0_4arch9wavefront6targetE0EEEvT1_, .Lfunc_end180-_ZN7rocprim17ROCPRIM_400000_NS6detail17trampoline_kernelINS0_14default_configENS1_25partition_config_selectorILNS1_17partition_subalgoE8ElNS0_10empty_typeEbEEZZNS1_14partition_implILS5_8ELb0ES3_jPlPS6_PKS6_NS0_5tupleIJS9_S6_EEENSD_IJSA_SA_EEENS0_18inequality_wrapperIZN2at6native12_GLOBAL__N_124unique_dim_cuda_templateIhEESt5tupleIJNSH_6TensorESM_SM_EERKSM_lbbbEUlllE0_EEPmJS6_EEE10hipError_tPvRmT3_T4_T5_T6_T7_T9_mT8_P12ihipStream_tbDpT10_ENKUlT_T0_E_clISt17integral_constantIbLb1EES1C_EEDaS17_S18_EUlS17_E_NS1_11comp_targetILNS1_3genE4ELNS1_11target_archE910ELNS1_3gpuE8ELNS1_3repE0EEENS1_30default_config_static_selectorELNS0_4arch9wavefront6targetE0EEEvT1_
                                        ; -- End function
	.section	.AMDGPU.csdata,"",@progbits
; Kernel info:
; codeLenInByte = 0
; NumSgprs: 0
; NumVgprs: 0
; ScratchSize: 0
; MemoryBound: 0
; FloatMode: 240
; IeeeMode: 1
; LDSByteSize: 0 bytes/workgroup (compile time only)
; SGPRBlocks: 0
; VGPRBlocks: 0
; NumSGPRsForWavesPerEU: 1
; NumVGPRsForWavesPerEU: 1
; Occupancy: 16
; WaveLimiterHint : 0
; COMPUTE_PGM_RSRC2:SCRATCH_EN: 0
; COMPUTE_PGM_RSRC2:USER_SGPR: 15
; COMPUTE_PGM_RSRC2:TRAP_HANDLER: 0
; COMPUTE_PGM_RSRC2:TGID_X_EN: 1
; COMPUTE_PGM_RSRC2:TGID_Y_EN: 0
; COMPUTE_PGM_RSRC2:TGID_Z_EN: 0
; COMPUTE_PGM_RSRC2:TIDIG_COMP_CNT: 0
	.section	.text._ZN7rocprim17ROCPRIM_400000_NS6detail17trampoline_kernelINS0_14default_configENS1_25partition_config_selectorILNS1_17partition_subalgoE8ElNS0_10empty_typeEbEEZZNS1_14partition_implILS5_8ELb0ES3_jPlPS6_PKS6_NS0_5tupleIJS9_S6_EEENSD_IJSA_SA_EEENS0_18inequality_wrapperIZN2at6native12_GLOBAL__N_124unique_dim_cuda_templateIhEESt5tupleIJNSH_6TensorESM_SM_EERKSM_lbbbEUlllE0_EEPmJS6_EEE10hipError_tPvRmT3_T4_T5_T6_T7_T9_mT8_P12ihipStream_tbDpT10_ENKUlT_T0_E_clISt17integral_constantIbLb1EES1C_EEDaS17_S18_EUlS17_E_NS1_11comp_targetILNS1_3genE3ELNS1_11target_archE908ELNS1_3gpuE7ELNS1_3repE0EEENS1_30default_config_static_selectorELNS0_4arch9wavefront6targetE0EEEvT1_,"axG",@progbits,_ZN7rocprim17ROCPRIM_400000_NS6detail17trampoline_kernelINS0_14default_configENS1_25partition_config_selectorILNS1_17partition_subalgoE8ElNS0_10empty_typeEbEEZZNS1_14partition_implILS5_8ELb0ES3_jPlPS6_PKS6_NS0_5tupleIJS9_S6_EEENSD_IJSA_SA_EEENS0_18inequality_wrapperIZN2at6native12_GLOBAL__N_124unique_dim_cuda_templateIhEESt5tupleIJNSH_6TensorESM_SM_EERKSM_lbbbEUlllE0_EEPmJS6_EEE10hipError_tPvRmT3_T4_T5_T6_T7_T9_mT8_P12ihipStream_tbDpT10_ENKUlT_T0_E_clISt17integral_constantIbLb1EES1C_EEDaS17_S18_EUlS17_E_NS1_11comp_targetILNS1_3genE3ELNS1_11target_archE908ELNS1_3gpuE7ELNS1_3repE0EEENS1_30default_config_static_selectorELNS0_4arch9wavefront6targetE0EEEvT1_,comdat
	.globl	_ZN7rocprim17ROCPRIM_400000_NS6detail17trampoline_kernelINS0_14default_configENS1_25partition_config_selectorILNS1_17partition_subalgoE8ElNS0_10empty_typeEbEEZZNS1_14partition_implILS5_8ELb0ES3_jPlPS6_PKS6_NS0_5tupleIJS9_S6_EEENSD_IJSA_SA_EEENS0_18inequality_wrapperIZN2at6native12_GLOBAL__N_124unique_dim_cuda_templateIhEESt5tupleIJNSH_6TensorESM_SM_EERKSM_lbbbEUlllE0_EEPmJS6_EEE10hipError_tPvRmT3_T4_T5_T6_T7_T9_mT8_P12ihipStream_tbDpT10_ENKUlT_T0_E_clISt17integral_constantIbLb1EES1C_EEDaS17_S18_EUlS17_E_NS1_11comp_targetILNS1_3genE3ELNS1_11target_archE908ELNS1_3gpuE7ELNS1_3repE0EEENS1_30default_config_static_selectorELNS0_4arch9wavefront6targetE0EEEvT1_ ; -- Begin function _ZN7rocprim17ROCPRIM_400000_NS6detail17trampoline_kernelINS0_14default_configENS1_25partition_config_selectorILNS1_17partition_subalgoE8ElNS0_10empty_typeEbEEZZNS1_14partition_implILS5_8ELb0ES3_jPlPS6_PKS6_NS0_5tupleIJS9_S6_EEENSD_IJSA_SA_EEENS0_18inequality_wrapperIZN2at6native12_GLOBAL__N_124unique_dim_cuda_templateIhEESt5tupleIJNSH_6TensorESM_SM_EERKSM_lbbbEUlllE0_EEPmJS6_EEE10hipError_tPvRmT3_T4_T5_T6_T7_T9_mT8_P12ihipStream_tbDpT10_ENKUlT_T0_E_clISt17integral_constantIbLb1EES1C_EEDaS17_S18_EUlS17_E_NS1_11comp_targetILNS1_3genE3ELNS1_11target_archE908ELNS1_3gpuE7ELNS1_3repE0EEENS1_30default_config_static_selectorELNS0_4arch9wavefront6targetE0EEEvT1_
	.p2align	8
	.type	_ZN7rocprim17ROCPRIM_400000_NS6detail17trampoline_kernelINS0_14default_configENS1_25partition_config_selectorILNS1_17partition_subalgoE8ElNS0_10empty_typeEbEEZZNS1_14partition_implILS5_8ELb0ES3_jPlPS6_PKS6_NS0_5tupleIJS9_S6_EEENSD_IJSA_SA_EEENS0_18inequality_wrapperIZN2at6native12_GLOBAL__N_124unique_dim_cuda_templateIhEESt5tupleIJNSH_6TensorESM_SM_EERKSM_lbbbEUlllE0_EEPmJS6_EEE10hipError_tPvRmT3_T4_T5_T6_T7_T9_mT8_P12ihipStream_tbDpT10_ENKUlT_T0_E_clISt17integral_constantIbLb1EES1C_EEDaS17_S18_EUlS17_E_NS1_11comp_targetILNS1_3genE3ELNS1_11target_archE908ELNS1_3gpuE7ELNS1_3repE0EEENS1_30default_config_static_selectorELNS0_4arch9wavefront6targetE0EEEvT1_,@function
_ZN7rocprim17ROCPRIM_400000_NS6detail17trampoline_kernelINS0_14default_configENS1_25partition_config_selectorILNS1_17partition_subalgoE8ElNS0_10empty_typeEbEEZZNS1_14partition_implILS5_8ELb0ES3_jPlPS6_PKS6_NS0_5tupleIJS9_S6_EEENSD_IJSA_SA_EEENS0_18inequality_wrapperIZN2at6native12_GLOBAL__N_124unique_dim_cuda_templateIhEESt5tupleIJNSH_6TensorESM_SM_EERKSM_lbbbEUlllE0_EEPmJS6_EEE10hipError_tPvRmT3_T4_T5_T6_T7_T9_mT8_P12ihipStream_tbDpT10_ENKUlT_T0_E_clISt17integral_constantIbLb1EES1C_EEDaS17_S18_EUlS17_E_NS1_11comp_targetILNS1_3genE3ELNS1_11target_archE908ELNS1_3gpuE7ELNS1_3repE0EEENS1_30default_config_static_selectorELNS0_4arch9wavefront6targetE0EEEvT1_: ; @_ZN7rocprim17ROCPRIM_400000_NS6detail17trampoline_kernelINS0_14default_configENS1_25partition_config_selectorILNS1_17partition_subalgoE8ElNS0_10empty_typeEbEEZZNS1_14partition_implILS5_8ELb0ES3_jPlPS6_PKS6_NS0_5tupleIJS9_S6_EEENSD_IJSA_SA_EEENS0_18inequality_wrapperIZN2at6native12_GLOBAL__N_124unique_dim_cuda_templateIhEESt5tupleIJNSH_6TensorESM_SM_EERKSM_lbbbEUlllE0_EEPmJS6_EEE10hipError_tPvRmT3_T4_T5_T6_T7_T9_mT8_P12ihipStream_tbDpT10_ENKUlT_T0_E_clISt17integral_constantIbLb1EES1C_EEDaS17_S18_EUlS17_E_NS1_11comp_targetILNS1_3genE3ELNS1_11target_archE908ELNS1_3gpuE7ELNS1_3repE0EEENS1_30default_config_static_selectorELNS0_4arch9wavefront6targetE0EEEvT1_
; %bb.0:
	.section	.rodata,"a",@progbits
	.p2align	6, 0x0
	.amdhsa_kernel _ZN7rocprim17ROCPRIM_400000_NS6detail17trampoline_kernelINS0_14default_configENS1_25partition_config_selectorILNS1_17partition_subalgoE8ElNS0_10empty_typeEbEEZZNS1_14partition_implILS5_8ELb0ES3_jPlPS6_PKS6_NS0_5tupleIJS9_S6_EEENSD_IJSA_SA_EEENS0_18inequality_wrapperIZN2at6native12_GLOBAL__N_124unique_dim_cuda_templateIhEESt5tupleIJNSH_6TensorESM_SM_EERKSM_lbbbEUlllE0_EEPmJS6_EEE10hipError_tPvRmT3_T4_T5_T6_T7_T9_mT8_P12ihipStream_tbDpT10_ENKUlT_T0_E_clISt17integral_constantIbLb1EES1C_EEDaS17_S18_EUlS17_E_NS1_11comp_targetILNS1_3genE3ELNS1_11target_archE908ELNS1_3gpuE7ELNS1_3repE0EEENS1_30default_config_static_selectorELNS0_4arch9wavefront6targetE0EEEvT1_
		.amdhsa_group_segment_fixed_size 0
		.amdhsa_private_segment_fixed_size 0
		.amdhsa_kernarg_size 136
		.amdhsa_user_sgpr_count 15
		.amdhsa_user_sgpr_dispatch_ptr 0
		.amdhsa_user_sgpr_queue_ptr 0
		.amdhsa_user_sgpr_kernarg_segment_ptr 1
		.amdhsa_user_sgpr_dispatch_id 0
		.amdhsa_user_sgpr_private_segment_size 0
		.amdhsa_wavefront_size32 1
		.amdhsa_uses_dynamic_stack 0
		.amdhsa_enable_private_segment 0
		.amdhsa_system_sgpr_workgroup_id_x 1
		.amdhsa_system_sgpr_workgroup_id_y 0
		.amdhsa_system_sgpr_workgroup_id_z 0
		.amdhsa_system_sgpr_workgroup_info 0
		.amdhsa_system_vgpr_workitem_id 0
		.amdhsa_next_free_vgpr 1
		.amdhsa_next_free_sgpr 1
		.amdhsa_reserve_vcc 0
		.amdhsa_float_round_mode_32 0
		.amdhsa_float_round_mode_16_64 0
		.amdhsa_float_denorm_mode_32 3
		.amdhsa_float_denorm_mode_16_64 3
		.amdhsa_dx10_clamp 1
		.amdhsa_ieee_mode 1
		.amdhsa_fp16_overflow 0
		.amdhsa_workgroup_processor_mode 1
		.amdhsa_memory_ordered 1
		.amdhsa_forward_progress 0
		.amdhsa_shared_vgpr_count 0
		.amdhsa_exception_fp_ieee_invalid_op 0
		.amdhsa_exception_fp_denorm_src 0
		.amdhsa_exception_fp_ieee_div_zero 0
		.amdhsa_exception_fp_ieee_overflow 0
		.amdhsa_exception_fp_ieee_underflow 0
		.amdhsa_exception_fp_ieee_inexact 0
		.amdhsa_exception_int_div_zero 0
	.end_amdhsa_kernel
	.section	.text._ZN7rocprim17ROCPRIM_400000_NS6detail17trampoline_kernelINS0_14default_configENS1_25partition_config_selectorILNS1_17partition_subalgoE8ElNS0_10empty_typeEbEEZZNS1_14partition_implILS5_8ELb0ES3_jPlPS6_PKS6_NS0_5tupleIJS9_S6_EEENSD_IJSA_SA_EEENS0_18inequality_wrapperIZN2at6native12_GLOBAL__N_124unique_dim_cuda_templateIhEESt5tupleIJNSH_6TensorESM_SM_EERKSM_lbbbEUlllE0_EEPmJS6_EEE10hipError_tPvRmT3_T4_T5_T6_T7_T9_mT8_P12ihipStream_tbDpT10_ENKUlT_T0_E_clISt17integral_constantIbLb1EES1C_EEDaS17_S18_EUlS17_E_NS1_11comp_targetILNS1_3genE3ELNS1_11target_archE908ELNS1_3gpuE7ELNS1_3repE0EEENS1_30default_config_static_selectorELNS0_4arch9wavefront6targetE0EEEvT1_,"axG",@progbits,_ZN7rocprim17ROCPRIM_400000_NS6detail17trampoline_kernelINS0_14default_configENS1_25partition_config_selectorILNS1_17partition_subalgoE8ElNS0_10empty_typeEbEEZZNS1_14partition_implILS5_8ELb0ES3_jPlPS6_PKS6_NS0_5tupleIJS9_S6_EEENSD_IJSA_SA_EEENS0_18inequality_wrapperIZN2at6native12_GLOBAL__N_124unique_dim_cuda_templateIhEESt5tupleIJNSH_6TensorESM_SM_EERKSM_lbbbEUlllE0_EEPmJS6_EEE10hipError_tPvRmT3_T4_T5_T6_T7_T9_mT8_P12ihipStream_tbDpT10_ENKUlT_T0_E_clISt17integral_constantIbLb1EES1C_EEDaS17_S18_EUlS17_E_NS1_11comp_targetILNS1_3genE3ELNS1_11target_archE908ELNS1_3gpuE7ELNS1_3repE0EEENS1_30default_config_static_selectorELNS0_4arch9wavefront6targetE0EEEvT1_,comdat
.Lfunc_end181:
	.size	_ZN7rocprim17ROCPRIM_400000_NS6detail17trampoline_kernelINS0_14default_configENS1_25partition_config_selectorILNS1_17partition_subalgoE8ElNS0_10empty_typeEbEEZZNS1_14partition_implILS5_8ELb0ES3_jPlPS6_PKS6_NS0_5tupleIJS9_S6_EEENSD_IJSA_SA_EEENS0_18inequality_wrapperIZN2at6native12_GLOBAL__N_124unique_dim_cuda_templateIhEESt5tupleIJNSH_6TensorESM_SM_EERKSM_lbbbEUlllE0_EEPmJS6_EEE10hipError_tPvRmT3_T4_T5_T6_T7_T9_mT8_P12ihipStream_tbDpT10_ENKUlT_T0_E_clISt17integral_constantIbLb1EES1C_EEDaS17_S18_EUlS17_E_NS1_11comp_targetILNS1_3genE3ELNS1_11target_archE908ELNS1_3gpuE7ELNS1_3repE0EEENS1_30default_config_static_selectorELNS0_4arch9wavefront6targetE0EEEvT1_, .Lfunc_end181-_ZN7rocprim17ROCPRIM_400000_NS6detail17trampoline_kernelINS0_14default_configENS1_25partition_config_selectorILNS1_17partition_subalgoE8ElNS0_10empty_typeEbEEZZNS1_14partition_implILS5_8ELb0ES3_jPlPS6_PKS6_NS0_5tupleIJS9_S6_EEENSD_IJSA_SA_EEENS0_18inequality_wrapperIZN2at6native12_GLOBAL__N_124unique_dim_cuda_templateIhEESt5tupleIJNSH_6TensorESM_SM_EERKSM_lbbbEUlllE0_EEPmJS6_EEE10hipError_tPvRmT3_T4_T5_T6_T7_T9_mT8_P12ihipStream_tbDpT10_ENKUlT_T0_E_clISt17integral_constantIbLb1EES1C_EEDaS17_S18_EUlS17_E_NS1_11comp_targetILNS1_3genE3ELNS1_11target_archE908ELNS1_3gpuE7ELNS1_3repE0EEENS1_30default_config_static_selectorELNS0_4arch9wavefront6targetE0EEEvT1_
                                        ; -- End function
	.section	.AMDGPU.csdata,"",@progbits
; Kernel info:
; codeLenInByte = 0
; NumSgprs: 0
; NumVgprs: 0
; ScratchSize: 0
; MemoryBound: 0
; FloatMode: 240
; IeeeMode: 1
; LDSByteSize: 0 bytes/workgroup (compile time only)
; SGPRBlocks: 0
; VGPRBlocks: 0
; NumSGPRsForWavesPerEU: 1
; NumVGPRsForWavesPerEU: 1
; Occupancy: 16
; WaveLimiterHint : 0
; COMPUTE_PGM_RSRC2:SCRATCH_EN: 0
; COMPUTE_PGM_RSRC2:USER_SGPR: 15
; COMPUTE_PGM_RSRC2:TRAP_HANDLER: 0
; COMPUTE_PGM_RSRC2:TGID_X_EN: 1
; COMPUTE_PGM_RSRC2:TGID_Y_EN: 0
; COMPUTE_PGM_RSRC2:TGID_Z_EN: 0
; COMPUTE_PGM_RSRC2:TIDIG_COMP_CNT: 0
	.section	.text._ZN7rocprim17ROCPRIM_400000_NS6detail17trampoline_kernelINS0_14default_configENS1_25partition_config_selectorILNS1_17partition_subalgoE8ElNS0_10empty_typeEbEEZZNS1_14partition_implILS5_8ELb0ES3_jPlPS6_PKS6_NS0_5tupleIJS9_S6_EEENSD_IJSA_SA_EEENS0_18inequality_wrapperIZN2at6native12_GLOBAL__N_124unique_dim_cuda_templateIhEESt5tupleIJNSH_6TensorESM_SM_EERKSM_lbbbEUlllE0_EEPmJS6_EEE10hipError_tPvRmT3_T4_T5_T6_T7_T9_mT8_P12ihipStream_tbDpT10_ENKUlT_T0_E_clISt17integral_constantIbLb1EES1C_EEDaS17_S18_EUlS17_E_NS1_11comp_targetILNS1_3genE2ELNS1_11target_archE906ELNS1_3gpuE6ELNS1_3repE0EEENS1_30default_config_static_selectorELNS0_4arch9wavefront6targetE0EEEvT1_,"axG",@progbits,_ZN7rocprim17ROCPRIM_400000_NS6detail17trampoline_kernelINS0_14default_configENS1_25partition_config_selectorILNS1_17partition_subalgoE8ElNS0_10empty_typeEbEEZZNS1_14partition_implILS5_8ELb0ES3_jPlPS6_PKS6_NS0_5tupleIJS9_S6_EEENSD_IJSA_SA_EEENS0_18inequality_wrapperIZN2at6native12_GLOBAL__N_124unique_dim_cuda_templateIhEESt5tupleIJNSH_6TensorESM_SM_EERKSM_lbbbEUlllE0_EEPmJS6_EEE10hipError_tPvRmT3_T4_T5_T6_T7_T9_mT8_P12ihipStream_tbDpT10_ENKUlT_T0_E_clISt17integral_constantIbLb1EES1C_EEDaS17_S18_EUlS17_E_NS1_11comp_targetILNS1_3genE2ELNS1_11target_archE906ELNS1_3gpuE6ELNS1_3repE0EEENS1_30default_config_static_selectorELNS0_4arch9wavefront6targetE0EEEvT1_,comdat
	.globl	_ZN7rocprim17ROCPRIM_400000_NS6detail17trampoline_kernelINS0_14default_configENS1_25partition_config_selectorILNS1_17partition_subalgoE8ElNS0_10empty_typeEbEEZZNS1_14partition_implILS5_8ELb0ES3_jPlPS6_PKS6_NS0_5tupleIJS9_S6_EEENSD_IJSA_SA_EEENS0_18inequality_wrapperIZN2at6native12_GLOBAL__N_124unique_dim_cuda_templateIhEESt5tupleIJNSH_6TensorESM_SM_EERKSM_lbbbEUlllE0_EEPmJS6_EEE10hipError_tPvRmT3_T4_T5_T6_T7_T9_mT8_P12ihipStream_tbDpT10_ENKUlT_T0_E_clISt17integral_constantIbLb1EES1C_EEDaS17_S18_EUlS17_E_NS1_11comp_targetILNS1_3genE2ELNS1_11target_archE906ELNS1_3gpuE6ELNS1_3repE0EEENS1_30default_config_static_selectorELNS0_4arch9wavefront6targetE0EEEvT1_ ; -- Begin function _ZN7rocprim17ROCPRIM_400000_NS6detail17trampoline_kernelINS0_14default_configENS1_25partition_config_selectorILNS1_17partition_subalgoE8ElNS0_10empty_typeEbEEZZNS1_14partition_implILS5_8ELb0ES3_jPlPS6_PKS6_NS0_5tupleIJS9_S6_EEENSD_IJSA_SA_EEENS0_18inequality_wrapperIZN2at6native12_GLOBAL__N_124unique_dim_cuda_templateIhEESt5tupleIJNSH_6TensorESM_SM_EERKSM_lbbbEUlllE0_EEPmJS6_EEE10hipError_tPvRmT3_T4_T5_T6_T7_T9_mT8_P12ihipStream_tbDpT10_ENKUlT_T0_E_clISt17integral_constantIbLb1EES1C_EEDaS17_S18_EUlS17_E_NS1_11comp_targetILNS1_3genE2ELNS1_11target_archE906ELNS1_3gpuE6ELNS1_3repE0EEENS1_30default_config_static_selectorELNS0_4arch9wavefront6targetE0EEEvT1_
	.p2align	8
	.type	_ZN7rocprim17ROCPRIM_400000_NS6detail17trampoline_kernelINS0_14default_configENS1_25partition_config_selectorILNS1_17partition_subalgoE8ElNS0_10empty_typeEbEEZZNS1_14partition_implILS5_8ELb0ES3_jPlPS6_PKS6_NS0_5tupleIJS9_S6_EEENSD_IJSA_SA_EEENS0_18inequality_wrapperIZN2at6native12_GLOBAL__N_124unique_dim_cuda_templateIhEESt5tupleIJNSH_6TensorESM_SM_EERKSM_lbbbEUlllE0_EEPmJS6_EEE10hipError_tPvRmT3_T4_T5_T6_T7_T9_mT8_P12ihipStream_tbDpT10_ENKUlT_T0_E_clISt17integral_constantIbLb1EES1C_EEDaS17_S18_EUlS17_E_NS1_11comp_targetILNS1_3genE2ELNS1_11target_archE906ELNS1_3gpuE6ELNS1_3repE0EEENS1_30default_config_static_selectorELNS0_4arch9wavefront6targetE0EEEvT1_,@function
_ZN7rocprim17ROCPRIM_400000_NS6detail17trampoline_kernelINS0_14default_configENS1_25partition_config_selectorILNS1_17partition_subalgoE8ElNS0_10empty_typeEbEEZZNS1_14partition_implILS5_8ELb0ES3_jPlPS6_PKS6_NS0_5tupleIJS9_S6_EEENSD_IJSA_SA_EEENS0_18inequality_wrapperIZN2at6native12_GLOBAL__N_124unique_dim_cuda_templateIhEESt5tupleIJNSH_6TensorESM_SM_EERKSM_lbbbEUlllE0_EEPmJS6_EEE10hipError_tPvRmT3_T4_T5_T6_T7_T9_mT8_P12ihipStream_tbDpT10_ENKUlT_T0_E_clISt17integral_constantIbLb1EES1C_EEDaS17_S18_EUlS17_E_NS1_11comp_targetILNS1_3genE2ELNS1_11target_archE906ELNS1_3gpuE6ELNS1_3repE0EEENS1_30default_config_static_selectorELNS0_4arch9wavefront6targetE0EEEvT1_: ; @_ZN7rocprim17ROCPRIM_400000_NS6detail17trampoline_kernelINS0_14default_configENS1_25partition_config_selectorILNS1_17partition_subalgoE8ElNS0_10empty_typeEbEEZZNS1_14partition_implILS5_8ELb0ES3_jPlPS6_PKS6_NS0_5tupleIJS9_S6_EEENSD_IJSA_SA_EEENS0_18inequality_wrapperIZN2at6native12_GLOBAL__N_124unique_dim_cuda_templateIhEESt5tupleIJNSH_6TensorESM_SM_EERKSM_lbbbEUlllE0_EEPmJS6_EEE10hipError_tPvRmT3_T4_T5_T6_T7_T9_mT8_P12ihipStream_tbDpT10_ENKUlT_T0_E_clISt17integral_constantIbLb1EES1C_EEDaS17_S18_EUlS17_E_NS1_11comp_targetILNS1_3genE2ELNS1_11target_archE906ELNS1_3gpuE6ELNS1_3repE0EEENS1_30default_config_static_selectorELNS0_4arch9wavefront6targetE0EEEvT1_
; %bb.0:
	.section	.rodata,"a",@progbits
	.p2align	6, 0x0
	.amdhsa_kernel _ZN7rocprim17ROCPRIM_400000_NS6detail17trampoline_kernelINS0_14default_configENS1_25partition_config_selectorILNS1_17partition_subalgoE8ElNS0_10empty_typeEbEEZZNS1_14partition_implILS5_8ELb0ES3_jPlPS6_PKS6_NS0_5tupleIJS9_S6_EEENSD_IJSA_SA_EEENS0_18inequality_wrapperIZN2at6native12_GLOBAL__N_124unique_dim_cuda_templateIhEESt5tupleIJNSH_6TensorESM_SM_EERKSM_lbbbEUlllE0_EEPmJS6_EEE10hipError_tPvRmT3_T4_T5_T6_T7_T9_mT8_P12ihipStream_tbDpT10_ENKUlT_T0_E_clISt17integral_constantIbLb1EES1C_EEDaS17_S18_EUlS17_E_NS1_11comp_targetILNS1_3genE2ELNS1_11target_archE906ELNS1_3gpuE6ELNS1_3repE0EEENS1_30default_config_static_selectorELNS0_4arch9wavefront6targetE0EEEvT1_
		.amdhsa_group_segment_fixed_size 0
		.amdhsa_private_segment_fixed_size 0
		.amdhsa_kernarg_size 136
		.amdhsa_user_sgpr_count 15
		.amdhsa_user_sgpr_dispatch_ptr 0
		.amdhsa_user_sgpr_queue_ptr 0
		.amdhsa_user_sgpr_kernarg_segment_ptr 1
		.amdhsa_user_sgpr_dispatch_id 0
		.amdhsa_user_sgpr_private_segment_size 0
		.amdhsa_wavefront_size32 1
		.amdhsa_uses_dynamic_stack 0
		.amdhsa_enable_private_segment 0
		.amdhsa_system_sgpr_workgroup_id_x 1
		.amdhsa_system_sgpr_workgroup_id_y 0
		.amdhsa_system_sgpr_workgroup_id_z 0
		.amdhsa_system_sgpr_workgroup_info 0
		.amdhsa_system_vgpr_workitem_id 0
		.amdhsa_next_free_vgpr 1
		.amdhsa_next_free_sgpr 1
		.amdhsa_reserve_vcc 0
		.amdhsa_float_round_mode_32 0
		.amdhsa_float_round_mode_16_64 0
		.amdhsa_float_denorm_mode_32 3
		.amdhsa_float_denorm_mode_16_64 3
		.amdhsa_dx10_clamp 1
		.amdhsa_ieee_mode 1
		.amdhsa_fp16_overflow 0
		.amdhsa_workgroup_processor_mode 1
		.amdhsa_memory_ordered 1
		.amdhsa_forward_progress 0
		.amdhsa_shared_vgpr_count 0
		.amdhsa_exception_fp_ieee_invalid_op 0
		.amdhsa_exception_fp_denorm_src 0
		.amdhsa_exception_fp_ieee_div_zero 0
		.amdhsa_exception_fp_ieee_overflow 0
		.amdhsa_exception_fp_ieee_underflow 0
		.amdhsa_exception_fp_ieee_inexact 0
		.amdhsa_exception_int_div_zero 0
	.end_amdhsa_kernel
	.section	.text._ZN7rocprim17ROCPRIM_400000_NS6detail17trampoline_kernelINS0_14default_configENS1_25partition_config_selectorILNS1_17partition_subalgoE8ElNS0_10empty_typeEbEEZZNS1_14partition_implILS5_8ELb0ES3_jPlPS6_PKS6_NS0_5tupleIJS9_S6_EEENSD_IJSA_SA_EEENS0_18inequality_wrapperIZN2at6native12_GLOBAL__N_124unique_dim_cuda_templateIhEESt5tupleIJNSH_6TensorESM_SM_EERKSM_lbbbEUlllE0_EEPmJS6_EEE10hipError_tPvRmT3_T4_T5_T6_T7_T9_mT8_P12ihipStream_tbDpT10_ENKUlT_T0_E_clISt17integral_constantIbLb1EES1C_EEDaS17_S18_EUlS17_E_NS1_11comp_targetILNS1_3genE2ELNS1_11target_archE906ELNS1_3gpuE6ELNS1_3repE0EEENS1_30default_config_static_selectorELNS0_4arch9wavefront6targetE0EEEvT1_,"axG",@progbits,_ZN7rocprim17ROCPRIM_400000_NS6detail17trampoline_kernelINS0_14default_configENS1_25partition_config_selectorILNS1_17partition_subalgoE8ElNS0_10empty_typeEbEEZZNS1_14partition_implILS5_8ELb0ES3_jPlPS6_PKS6_NS0_5tupleIJS9_S6_EEENSD_IJSA_SA_EEENS0_18inequality_wrapperIZN2at6native12_GLOBAL__N_124unique_dim_cuda_templateIhEESt5tupleIJNSH_6TensorESM_SM_EERKSM_lbbbEUlllE0_EEPmJS6_EEE10hipError_tPvRmT3_T4_T5_T6_T7_T9_mT8_P12ihipStream_tbDpT10_ENKUlT_T0_E_clISt17integral_constantIbLb1EES1C_EEDaS17_S18_EUlS17_E_NS1_11comp_targetILNS1_3genE2ELNS1_11target_archE906ELNS1_3gpuE6ELNS1_3repE0EEENS1_30default_config_static_selectorELNS0_4arch9wavefront6targetE0EEEvT1_,comdat
.Lfunc_end182:
	.size	_ZN7rocprim17ROCPRIM_400000_NS6detail17trampoline_kernelINS0_14default_configENS1_25partition_config_selectorILNS1_17partition_subalgoE8ElNS0_10empty_typeEbEEZZNS1_14partition_implILS5_8ELb0ES3_jPlPS6_PKS6_NS0_5tupleIJS9_S6_EEENSD_IJSA_SA_EEENS0_18inequality_wrapperIZN2at6native12_GLOBAL__N_124unique_dim_cuda_templateIhEESt5tupleIJNSH_6TensorESM_SM_EERKSM_lbbbEUlllE0_EEPmJS6_EEE10hipError_tPvRmT3_T4_T5_T6_T7_T9_mT8_P12ihipStream_tbDpT10_ENKUlT_T0_E_clISt17integral_constantIbLb1EES1C_EEDaS17_S18_EUlS17_E_NS1_11comp_targetILNS1_3genE2ELNS1_11target_archE906ELNS1_3gpuE6ELNS1_3repE0EEENS1_30default_config_static_selectorELNS0_4arch9wavefront6targetE0EEEvT1_, .Lfunc_end182-_ZN7rocprim17ROCPRIM_400000_NS6detail17trampoline_kernelINS0_14default_configENS1_25partition_config_selectorILNS1_17partition_subalgoE8ElNS0_10empty_typeEbEEZZNS1_14partition_implILS5_8ELb0ES3_jPlPS6_PKS6_NS0_5tupleIJS9_S6_EEENSD_IJSA_SA_EEENS0_18inequality_wrapperIZN2at6native12_GLOBAL__N_124unique_dim_cuda_templateIhEESt5tupleIJNSH_6TensorESM_SM_EERKSM_lbbbEUlllE0_EEPmJS6_EEE10hipError_tPvRmT3_T4_T5_T6_T7_T9_mT8_P12ihipStream_tbDpT10_ENKUlT_T0_E_clISt17integral_constantIbLb1EES1C_EEDaS17_S18_EUlS17_E_NS1_11comp_targetILNS1_3genE2ELNS1_11target_archE906ELNS1_3gpuE6ELNS1_3repE0EEENS1_30default_config_static_selectorELNS0_4arch9wavefront6targetE0EEEvT1_
                                        ; -- End function
	.section	.AMDGPU.csdata,"",@progbits
; Kernel info:
; codeLenInByte = 0
; NumSgprs: 0
; NumVgprs: 0
; ScratchSize: 0
; MemoryBound: 0
; FloatMode: 240
; IeeeMode: 1
; LDSByteSize: 0 bytes/workgroup (compile time only)
; SGPRBlocks: 0
; VGPRBlocks: 0
; NumSGPRsForWavesPerEU: 1
; NumVGPRsForWavesPerEU: 1
; Occupancy: 16
; WaveLimiterHint : 0
; COMPUTE_PGM_RSRC2:SCRATCH_EN: 0
; COMPUTE_PGM_RSRC2:USER_SGPR: 15
; COMPUTE_PGM_RSRC2:TRAP_HANDLER: 0
; COMPUTE_PGM_RSRC2:TGID_X_EN: 1
; COMPUTE_PGM_RSRC2:TGID_Y_EN: 0
; COMPUTE_PGM_RSRC2:TGID_Z_EN: 0
; COMPUTE_PGM_RSRC2:TIDIG_COMP_CNT: 0
	.section	.text._ZN7rocprim17ROCPRIM_400000_NS6detail17trampoline_kernelINS0_14default_configENS1_25partition_config_selectorILNS1_17partition_subalgoE8ElNS0_10empty_typeEbEEZZNS1_14partition_implILS5_8ELb0ES3_jPlPS6_PKS6_NS0_5tupleIJS9_S6_EEENSD_IJSA_SA_EEENS0_18inequality_wrapperIZN2at6native12_GLOBAL__N_124unique_dim_cuda_templateIhEESt5tupleIJNSH_6TensorESM_SM_EERKSM_lbbbEUlllE0_EEPmJS6_EEE10hipError_tPvRmT3_T4_T5_T6_T7_T9_mT8_P12ihipStream_tbDpT10_ENKUlT_T0_E_clISt17integral_constantIbLb1EES1C_EEDaS17_S18_EUlS17_E_NS1_11comp_targetILNS1_3genE10ELNS1_11target_archE1200ELNS1_3gpuE4ELNS1_3repE0EEENS1_30default_config_static_selectorELNS0_4arch9wavefront6targetE0EEEvT1_,"axG",@progbits,_ZN7rocprim17ROCPRIM_400000_NS6detail17trampoline_kernelINS0_14default_configENS1_25partition_config_selectorILNS1_17partition_subalgoE8ElNS0_10empty_typeEbEEZZNS1_14partition_implILS5_8ELb0ES3_jPlPS6_PKS6_NS0_5tupleIJS9_S6_EEENSD_IJSA_SA_EEENS0_18inequality_wrapperIZN2at6native12_GLOBAL__N_124unique_dim_cuda_templateIhEESt5tupleIJNSH_6TensorESM_SM_EERKSM_lbbbEUlllE0_EEPmJS6_EEE10hipError_tPvRmT3_T4_T5_T6_T7_T9_mT8_P12ihipStream_tbDpT10_ENKUlT_T0_E_clISt17integral_constantIbLb1EES1C_EEDaS17_S18_EUlS17_E_NS1_11comp_targetILNS1_3genE10ELNS1_11target_archE1200ELNS1_3gpuE4ELNS1_3repE0EEENS1_30default_config_static_selectorELNS0_4arch9wavefront6targetE0EEEvT1_,comdat
	.globl	_ZN7rocprim17ROCPRIM_400000_NS6detail17trampoline_kernelINS0_14default_configENS1_25partition_config_selectorILNS1_17partition_subalgoE8ElNS0_10empty_typeEbEEZZNS1_14partition_implILS5_8ELb0ES3_jPlPS6_PKS6_NS0_5tupleIJS9_S6_EEENSD_IJSA_SA_EEENS0_18inequality_wrapperIZN2at6native12_GLOBAL__N_124unique_dim_cuda_templateIhEESt5tupleIJNSH_6TensorESM_SM_EERKSM_lbbbEUlllE0_EEPmJS6_EEE10hipError_tPvRmT3_T4_T5_T6_T7_T9_mT8_P12ihipStream_tbDpT10_ENKUlT_T0_E_clISt17integral_constantIbLb1EES1C_EEDaS17_S18_EUlS17_E_NS1_11comp_targetILNS1_3genE10ELNS1_11target_archE1200ELNS1_3gpuE4ELNS1_3repE0EEENS1_30default_config_static_selectorELNS0_4arch9wavefront6targetE0EEEvT1_ ; -- Begin function _ZN7rocprim17ROCPRIM_400000_NS6detail17trampoline_kernelINS0_14default_configENS1_25partition_config_selectorILNS1_17partition_subalgoE8ElNS0_10empty_typeEbEEZZNS1_14partition_implILS5_8ELb0ES3_jPlPS6_PKS6_NS0_5tupleIJS9_S6_EEENSD_IJSA_SA_EEENS0_18inequality_wrapperIZN2at6native12_GLOBAL__N_124unique_dim_cuda_templateIhEESt5tupleIJNSH_6TensorESM_SM_EERKSM_lbbbEUlllE0_EEPmJS6_EEE10hipError_tPvRmT3_T4_T5_T6_T7_T9_mT8_P12ihipStream_tbDpT10_ENKUlT_T0_E_clISt17integral_constantIbLb1EES1C_EEDaS17_S18_EUlS17_E_NS1_11comp_targetILNS1_3genE10ELNS1_11target_archE1200ELNS1_3gpuE4ELNS1_3repE0EEENS1_30default_config_static_selectorELNS0_4arch9wavefront6targetE0EEEvT1_
	.p2align	8
	.type	_ZN7rocprim17ROCPRIM_400000_NS6detail17trampoline_kernelINS0_14default_configENS1_25partition_config_selectorILNS1_17partition_subalgoE8ElNS0_10empty_typeEbEEZZNS1_14partition_implILS5_8ELb0ES3_jPlPS6_PKS6_NS0_5tupleIJS9_S6_EEENSD_IJSA_SA_EEENS0_18inequality_wrapperIZN2at6native12_GLOBAL__N_124unique_dim_cuda_templateIhEESt5tupleIJNSH_6TensorESM_SM_EERKSM_lbbbEUlllE0_EEPmJS6_EEE10hipError_tPvRmT3_T4_T5_T6_T7_T9_mT8_P12ihipStream_tbDpT10_ENKUlT_T0_E_clISt17integral_constantIbLb1EES1C_EEDaS17_S18_EUlS17_E_NS1_11comp_targetILNS1_3genE10ELNS1_11target_archE1200ELNS1_3gpuE4ELNS1_3repE0EEENS1_30default_config_static_selectorELNS0_4arch9wavefront6targetE0EEEvT1_,@function
_ZN7rocprim17ROCPRIM_400000_NS6detail17trampoline_kernelINS0_14default_configENS1_25partition_config_selectorILNS1_17partition_subalgoE8ElNS0_10empty_typeEbEEZZNS1_14partition_implILS5_8ELb0ES3_jPlPS6_PKS6_NS0_5tupleIJS9_S6_EEENSD_IJSA_SA_EEENS0_18inequality_wrapperIZN2at6native12_GLOBAL__N_124unique_dim_cuda_templateIhEESt5tupleIJNSH_6TensorESM_SM_EERKSM_lbbbEUlllE0_EEPmJS6_EEE10hipError_tPvRmT3_T4_T5_T6_T7_T9_mT8_P12ihipStream_tbDpT10_ENKUlT_T0_E_clISt17integral_constantIbLb1EES1C_EEDaS17_S18_EUlS17_E_NS1_11comp_targetILNS1_3genE10ELNS1_11target_archE1200ELNS1_3gpuE4ELNS1_3repE0EEENS1_30default_config_static_selectorELNS0_4arch9wavefront6targetE0EEEvT1_: ; @_ZN7rocprim17ROCPRIM_400000_NS6detail17trampoline_kernelINS0_14default_configENS1_25partition_config_selectorILNS1_17partition_subalgoE8ElNS0_10empty_typeEbEEZZNS1_14partition_implILS5_8ELb0ES3_jPlPS6_PKS6_NS0_5tupleIJS9_S6_EEENSD_IJSA_SA_EEENS0_18inequality_wrapperIZN2at6native12_GLOBAL__N_124unique_dim_cuda_templateIhEESt5tupleIJNSH_6TensorESM_SM_EERKSM_lbbbEUlllE0_EEPmJS6_EEE10hipError_tPvRmT3_T4_T5_T6_T7_T9_mT8_P12ihipStream_tbDpT10_ENKUlT_T0_E_clISt17integral_constantIbLb1EES1C_EEDaS17_S18_EUlS17_E_NS1_11comp_targetILNS1_3genE10ELNS1_11target_archE1200ELNS1_3gpuE4ELNS1_3repE0EEENS1_30default_config_static_selectorELNS0_4arch9wavefront6targetE0EEEvT1_
; %bb.0:
	.section	.rodata,"a",@progbits
	.p2align	6, 0x0
	.amdhsa_kernel _ZN7rocprim17ROCPRIM_400000_NS6detail17trampoline_kernelINS0_14default_configENS1_25partition_config_selectorILNS1_17partition_subalgoE8ElNS0_10empty_typeEbEEZZNS1_14partition_implILS5_8ELb0ES3_jPlPS6_PKS6_NS0_5tupleIJS9_S6_EEENSD_IJSA_SA_EEENS0_18inequality_wrapperIZN2at6native12_GLOBAL__N_124unique_dim_cuda_templateIhEESt5tupleIJNSH_6TensorESM_SM_EERKSM_lbbbEUlllE0_EEPmJS6_EEE10hipError_tPvRmT3_T4_T5_T6_T7_T9_mT8_P12ihipStream_tbDpT10_ENKUlT_T0_E_clISt17integral_constantIbLb1EES1C_EEDaS17_S18_EUlS17_E_NS1_11comp_targetILNS1_3genE10ELNS1_11target_archE1200ELNS1_3gpuE4ELNS1_3repE0EEENS1_30default_config_static_selectorELNS0_4arch9wavefront6targetE0EEEvT1_
		.amdhsa_group_segment_fixed_size 0
		.amdhsa_private_segment_fixed_size 0
		.amdhsa_kernarg_size 136
		.amdhsa_user_sgpr_count 15
		.amdhsa_user_sgpr_dispatch_ptr 0
		.amdhsa_user_sgpr_queue_ptr 0
		.amdhsa_user_sgpr_kernarg_segment_ptr 1
		.amdhsa_user_sgpr_dispatch_id 0
		.amdhsa_user_sgpr_private_segment_size 0
		.amdhsa_wavefront_size32 1
		.amdhsa_uses_dynamic_stack 0
		.amdhsa_enable_private_segment 0
		.amdhsa_system_sgpr_workgroup_id_x 1
		.amdhsa_system_sgpr_workgroup_id_y 0
		.amdhsa_system_sgpr_workgroup_id_z 0
		.amdhsa_system_sgpr_workgroup_info 0
		.amdhsa_system_vgpr_workitem_id 0
		.amdhsa_next_free_vgpr 1
		.amdhsa_next_free_sgpr 1
		.amdhsa_reserve_vcc 0
		.amdhsa_float_round_mode_32 0
		.amdhsa_float_round_mode_16_64 0
		.amdhsa_float_denorm_mode_32 3
		.amdhsa_float_denorm_mode_16_64 3
		.amdhsa_dx10_clamp 1
		.amdhsa_ieee_mode 1
		.amdhsa_fp16_overflow 0
		.amdhsa_workgroup_processor_mode 1
		.amdhsa_memory_ordered 1
		.amdhsa_forward_progress 0
		.amdhsa_shared_vgpr_count 0
		.amdhsa_exception_fp_ieee_invalid_op 0
		.amdhsa_exception_fp_denorm_src 0
		.amdhsa_exception_fp_ieee_div_zero 0
		.amdhsa_exception_fp_ieee_overflow 0
		.amdhsa_exception_fp_ieee_underflow 0
		.amdhsa_exception_fp_ieee_inexact 0
		.amdhsa_exception_int_div_zero 0
	.end_amdhsa_kernel
	.section	.text._ZN7rocprim17ROCPRIM_400000_NS6detail17trampoline_kernelINS0_14default_configENS1_25partition_config_selectorILNS1_17partition_subalgoE8ElNS0_10empty_typeEbEEZZNS1_14partition_implILS5_8ELb0ES3_jPlPS6_PKS6_NS0_5tupleIJS9_S6_EEENSD_IJSA_SA_EEENS0_18inequality_wrapperIZN2at6native12_GLOBAL__N_124unique_dim_cuda_templateIhEESt5tupleIJNSH_6TensorESM_SM_EERKSM_lbbbEUlllE0_EEPmJS6_EEE10hipError_tPvRmT3_T4_T5_T6_T7_T9_mT8_P12ihipStream_tbDpT10_ENKUlT_T0_E_clISt17integral_constantIbLb1EES1C_EEDaS17_S18_EUlS17_E_NS1_11comp_targetILNS1_3genE10ELNS1_11target_archE1200ELNS1_3gpuE4ELNS1_3repE0EEENS1_30default_config_static_selectorELNS0_4arch9wavefront6targetE0EEEvT1_,"axG",@progbits,_ZN7rocprim17ROCPRIM_400000_NS6detail17trampoline_kernelINS0_14default_configENS1_25partition_config_selectorILNS1_17partition_subalgoE8ElNS0_10empty_typeEbEEZZNS1_14partition_implILS5_8ELb0ES3_jPlPS6_PKS6_NS0_5tupleIJS9_S6_EEENSD_IJSA_SA_EEENS0_18inequality_wrapperIZN2at6native12_GLOBAL__N_124unique_dim_cuda_templateIhEESt5tupleIJNSH_6TensorESM_SM_EERKSM_lbbbEUlllE0_EEPmJS6_EEE10hipError_tPvRmT3_T4_T5_T6_T7_T9_mT8_P12ihipStream_tbDpT10_ENKUlT_T0_E_clISt17integral_constantIbLb1EES1C_EEDaS17_S18_EUlS17_E_NS1_11comp_targetILNS1_3genE10ELNS1_11target_archE1200ELNS1_3gpuE4ELNS1_3repE0EEENS1_30default_config_static_selectorELNS0_4arch9wavefront6targetE0EEEvT1_,comdat
.Lfunc_end183:
	.size	_ZN7rocprim17ROCPRIM_400000_NS6detail17trampoline_kernelINS0_14default_configENS1_25partition_config_selectorILNS1_17partition_subalgoE8ElNS0_10empty_typeEbEEZZNS1_14partition_implILS5_8ELb0ES3_jPlPS6_PKS6_NS0_5tupleIJS9_S6_EEENSD_IJSA_SA_EEENS0_18inequality_wrapperIZN2at6native12_GLOBAL__N_124unique_dim_cuda_templateIhEESt5tupleIJNSH_6TensorESM_SM_EERKSM_lbbbEUlllE0_EEPmJS6_EEE10hipError_tPvRmT3_T4_T5_T6_T7_T9_mT8_P12ihipStream_tbDpT10_ENKUlT_T0_E_clISt17integral_constantIbLb1EES1C_EEDaS17_S18_EUlS17_E_NS1_11comp_targetILNS1_3genE10ELNS1_11target_archE1200ELNS1_3gpuE4ELNS1_3repE0EEENS1_30default_config_static_selectorELNS0_4arch9wavefront6targetE0EEEvT1_, .Lfunc_end183-_ZN7rocprim17ROCPRIM_400000_NS6detail17trampoline_kernelINS0_14default_configENS1_25partition_config_selectorILNS1_17partition_subalgoE8ElNS0_10empty_typeEbEEZZNS1_14partition_implILS5_8ELb0ES3_jPlPS6_PKS6_NS0_5tupleIJS9_S6_EEENSD_IJSA_SA_EEENS0_18inequality_wrapperIZN2at6native12_GLOBAL__N_124unique_dim_cuda_templateIhEESt5tupleIJNSH_6TensorESM_SM_EERKSM_lbbbEUlllE0_EEPmJS6_EEE10hipError_tPvRmT3_T4_T5_T6_T7_T9_mT8_P12ihipStream_tbDpT10_ENKUlT_T0_E_clISt17integral_constantIbLb1EES1C_EEDaS17_S18_EUlS17_E_NS1_11comp_targetILNS1_3genE10ELNS1_11target_archE1200ELNS1_3gpuE4ELNS1_3repE0EEENS1_30default_config_static_selectorELNS0_4arch9wavefront6targetE0EEEvT1_
                                        ; -- End function
	.section	.AMDGPU.csdata,"",@progbits
; Kernel info:
; codeLenInByte = 0
; NumSgprs: 0
; NumVgprs: 0
; ScratchSize: 0
; MemoryBound: 0
; FloatMode: 240
; IeeeMode: 1
; LDSByteSize: 0 bytes/workgroup (compile time only)
; SGPRBlocks: 0
; VGPRBlocks: 0
; NumSGPRsForWavesPerEU: 1
; NumVGPRsForWavesPerEU: 1
; Occupancy: 15
; WaveLimiterHint : 0
; COMPUTE_PGM_RSRC2:SCRATCH_EN: 0
; COMPUTE_PGM_RSRC2:USER_SGPR: 15
; COMPUTE_PGM_RSRC2:TRAP_HANDLER: 0
; COMPUTE_PGM_RSRC2:TGID_X_EN: 1
; COMPUTE_PGM_RSRC2:TGID_Y_EN: 0
; COMPUTE_PGM_RSRC2:TGID_Z_EN: 0
; COMPUTE_PGM_RSRC2:TIDIG_COMP_CNT: 0
	.section	.text._ZN7rocprim17ROCPRIM_400000_NS6detail17trampoline_kernelINS0_14default_configENS1_25partition_config_selectorILNS1_17partition_subalgoE8ElNS0_10empty_typeEbEEZZNS1_14partition_implILS5_8ELb0ES3_jPlPS6_PKS6_NS0_5tupleIJS9_S6_EEENSD_IJSA_SA_EEENS0_18inequality_wrapperIZN2at6native12_GLOBAL__N_124unique_dim_cuda_templateIhEESt5tupleIJNSH_6TensorESM_SM_EERKSM_lbbbEUlllE0_EEPmJS6_EEE10hipError_tPvRmT3_T4_T5_T6_T7_T9_mT8_P12ihipStream_tbDpT10_ENKUlT_T0_E_clISt17integral_constantIbLb1EES1C_EEDaS17_S18_EUlS17_E_NS1_11comp_targetILNS1_3genE9ELNS1_11target_archE1100ELNS1_3gpuE3ELNS1_3repE0EEENS1_30default_config_static_selectorELNS0_4arch9wavefront6targetE0EEEvT1_,"axG",@progbits,_ZN7rocprim17ROCPRIM_400000_NS6detail17trampoline_kernelINS0_14default_configENS1_25partition_config_selectorILNS1_17partition_subalgoE8ElNS0_10empty_typeEbEEZZNS1_14partition_implILS5_8ELb0ES3_jPlPS6_PKS6_NS0_5tupleIJS9_S6_EEENSD_IJSA_SA_EEENS0_18inequality_wrapperIZN2at6native12_GLOBAL__N_124unique_dim_cuda_templateIhEESt5tupleIJNSH_6TensorESM_SM_EERKSM_lbbbEUlllE0_EEPmJS6_EEE10hipError_tPvRmT3_T4_T5_T6_T7_T9_mT8_P12ihipStream_tbDpT10_ENKUlT_T0_E_clISt17integral_constantIbLb1EES1C_EEDaS17_S18_EUlS17_E_NS1_11comp_targetILNS1_3genE9ELNS1_11target_archE1100ELNS1_3gpuE3ELNS1_3repE0EEENS1_30default_config_static_selectorELNS0_4arch9wavefront6targetE0EEEvT1_,comdat
	.globl	_ZN7rocprim17ROCPRIM_400000_NS6detail17trampoline_kernelINS0_14default_configENS1_25partition_config_selectorILNS1_17partition_subalgoE8ElNS0_10empty_typeEbEEZZNS1_14partition_implILS5_8ELb0ES3_jPlPS6_PKS6_NS0_5tupleIJS9_S6_EEENSD_IJSA_SA_EEENS0_18inequality_wrapperIZN2at6native12_GLOBAL__N_124unique_dim_cuda_templateIhEESt5tupleIJNSH_6TensorESM_SM_EERKSM_lbbbEUlllE0_EEPmJS6_EEE10hipError_tPvRmT3_T4_T5_T6_T7_T9_mT8_P12ihipStream_tbDpT10_ENKUlT_T0_E_clISt17integral_constantIbLb1EES1C_EEDaS17_S18_EUlS17_E_NS1_11comp_targetILNS1_3genE9ELNS1_11target_archE1100ELNS1_3gpuE3ELNS1_3repE0EEENS1_30default_config_static_selectorELNS0_4arch9wavefront6targetE0EEEvT1_ ; -- Begin function _ZN7rocprim17ROCPRIM_400000_NS6detail17trampoline_kernelINS0_14default_configENS1_25partition_config_selectorILNS1_17partition_subalgoE8ElNS0_10empty_typeEbEEZZNS1_14partition_implILS5_8ELb0ES3_jPlPS6_PKS6_NS0_5tupleIJS9_S6_EEENSD_IJSA_SA_EEENS0_18inequality_wrapperIZN2at6native12_GLOBAL__N_124unique_dim_cuda_templateIhEESt5tupleIJNSH_6TensorESM_SM_EERKSM_lbbbEUlllE0_EEPmJS6_EEE10hipError_tPvRmT3_T4_T5_T6_T7_T9_mT8_P12ihipStream_tbDpT10_ENKUlT_T0_E_clISt17integral_constantIbLb1EES1C_EEDaS17_S18_EUlS17_E_NS1_11comp_targetILNS1_3genE9ELNS1_11target_archE1100ELNS1_3gpuE3ELNS1_3repE0EEENS1_30default_config_static_selectorELNS0_4arch9wavefront6targetE0EEEvT1_
	.p2align	8
	.type	_ZN7rocprim17ROCPRIM_400000_NS6detail17trampoline_kernelINS0_14default_configENS1_25partition_config_selectorILNS1_17partition_subalgoE8ElNS0_10empty_typeEbEEZZNS1_14partition_implILS5_8ELb0ES3_jPlPS6_PKS6_NS0_5tupleIJS9_S6_EEENSD_IJSA_SA_EEENS0_18inequality_wrapperIZN2at6native12_GLOBAL__N_124unique_dim_cuda_templateIhEESt5tupleIJNSH_6TensorESM_SM_EERKSM_lbbbEUlllE0_EEPmJS6_EEE10hipError_tPvRmT3_T4_T5_T6_T7_T9_mT8_P12ihipStream_tbDpT10_ENKUlT_T0_E_clISt17integral_constantIbLb1EES1C_EEDaS17_S18_EUlS17_E_NS1_11comp_targetILNS1_3genE9ELNS1_11target_archE1100ELNS1_3gpuE3ELNS1_3repE0EEENS1_30default_config_static_selectorELNS0_4arch9wavefront6targetE0EEEvT1_,@function
_ZN7rocprim17ROCPRIM_400000_NS6detail17trampoline_kernelINS0_14default_configENS1_25partition_config_selectorILNS1_17partition_subalgoE8ElNS0_10empty_typeEbEEZZNS1_14partition_implILS5_8ELb0ES3_jPlPS6_PKS6_NS0_5tupleIJS9_S6_EEENSD_IJSA_SA_EEENS0_18inequality_wrapperIZN2at6native12_GLOBAL__N_124unique_dim_cuda_templateIhEESt5tupleIJNSH_6TensorESM_SM_EERKSM_lbbbEUlllE0_EEPmJS6_EEE10hipError_tPvRmT3_T4_T5_T6_T7_T9_mT8_P12ihipStream_tbDpT10_ENKUlT_T0_E_clISt17integral_constantIbLb1EES1C_EEDaS17_S18_EUlS17_E_NS1_11comp_targetILNS1_3genE9ELNS1_11target_archE1100ELNS1_3gpuE3ELNS1_3repE0EEENS1_30default_config_static_selectorELNS0_4arch9wavefront6targetE0EEEvT1_: ; @_ZN7rocprim17ROCPRIM_400000_NS6detail17trampoline_kernelINS0_14default_configENS1_25partition_config_selectorILNS1_17partition_subalgoE8ElNS0_10empty_typeEbEEZZNS1_14partition_implILS5_8ELb0ES3_jPlPS6_PKS6_NS0_5tupleIJS9_S6_EEENSD_IJSA_SA_EEENS0_18inequality_wrapperIZN2at6native12_GLOBAL__N_124unique_dim_cuda_templateIhEESt5tupleIJNSH_6TensorESM_SM_EERKSM_lbbbEUlllE0_EEPmJS6_EEE10hipError_tPvRmT3_T4_T5_T6_T7_T9_mT8_P12ihipStream_tbDpT10_ENKUlT_T0_E_clISt17integral_constantIbLb1EES1C_EEDaS17_S18_EUlS17_E_NS1_11comp_targetILNS1_3genE9ELNS1_11target_archE1100ELNS1_3gpuE3ELNS1_3repE0EEENS1_30default_config_static_selectorELNS0_4arch9wavefront6targetE0EEEvT1_
; %bb.0:
	s_clause 0x2
	s_load_b64 s[20:21], s[0:1], 0x28
	s_load_b256 s[8:15], s[0:1], 0x40
	s_load_b128 s[16:19], s[0:1], 0x60
	v_cmp_ne_u32_e64 s3, 0, v0
	v_cmp_eq_u32_e64 s2, 0, v0
	s_delay_alu instid0(VALU_DEP_1)
	s_and_saveexec_b32 s4, s2
	s_cbranch_execz .LBB184_4
; %bb.1:
	s_mov_b32 s6, exec_lo
	s_mov_b32 s5, exec_lo
	v_mbcnt_lo_u32_b32 v1, s6, 0
                                        ; implicit-def: $vgpr2
	s_delay_alu instid0(VALU_DEP_1)
	v_cmpx_eq_u32_e32 0, v1
	s_cbranch_execz .LBB184_3
; %bb.2:
	s_load_b64 s[22:23], s[0:1], 0x78
	s_bcnt1_i32_b32 s6, s6
	s_delay_alu instid0(SALU_CYCLE_1)
	v_dual_mov_b32 v2, 0 :: v_dual_mov_b32 v3, s6
	s_waitcnt lgkmcnt(0)
	global_atomic_add_u32 v2, v2, v3, s[22:23] glc
.LBB184_3:
	s_or_b32 exec_lo, exec_lo, s5
	s_waitcnt vmcnt(0)
	v_readfirstlane_b32 s5, v2
	s_delay_alu instid0(VALU_DEP_1)
	v_dual_mov_b32 v2, 0 :: v_dual_add_nc_u32 v1, s5, v1
	ds_store_b32 v2, v1
.LBB184_4:
	s_or_b32 exec_lo, exec_lo, s4
	v_dual_mov_b32 v2, 0 :: v_dual_lshlrev_b32 v39, 3, v0
	s_clause 0x1
	s_load_b128 s[4:7], s[0:1], 0x8
	s_load_b32 s0, s[0:1], 0x70
	s_waitcnt lgkmcnt(0)
	s_barrier
	buffer_gl0_inv
	ds_load_b32 v1, v2
	s_waitcnt lgkmcnt(0)
	s_barrier
	buffer_gl0_inv
	global_load_b64 v[3:4], v2, s[10:11]
	v_lshrrev_b32_e32 v19, 2, v0
	v_or_b32_e32 v26, 0x200, v0
	v_or_b32_e32 v25, 0x400, v0
	;; [unrolled: 1-line block ×7, first 2 shown]
	s_lshl_b64 s[10:11], s[6:7], 3
	s_delay_alu instid0(SALU_CYCLE_1)
	s_add_u32 s1, s4, s10
	s_addc_u32 s10, s5, s11
	s_add_i32 s11, s0, -1
	v_readfirstlane_b32 s23, v1
	s_lshl_b32 s4, s11, 12
	v_lshlrev_b32_e32 v1, 12, v1
	s_lshl_b32 s5, s0, 12
	s_add_i32 s0, s6, s4
	s_add_u32 s4, s6, s5
	s_addc_u32 s5, s7, 0
	v_lshlrev_b64 v[1:2], 3, v[1:2]
	v_cmp_ge_u64_e64 s4, s[4:5], s[12:13]
	s_cmp_eq_u32 s23, s11
	s_cselect_b32 s13, -1, 0
	s_delay_alu instid0(VALU_DEP_2) | instskip(NEXT) | instid1(VALU_DEP_2)
	v_add_co_u32 v17, vcc_lo, s1, v1
	s_and_b32 s24, s4, s13
	v_add_co_ci_u32_e32 v18, vcc_lo, s10, v2, vcc_lo
	s_xor_b32 s22, s24, -1
	s_mov_b32 s1, -1
	s_and_b32 vcc_lo, exec_lo, s22
	s_waitcnt vmcnt(0)
	v_readfirstlane_b32 s10, v3
	v_readfirstlane_b32 s11, v4
	s_cbranch_vccz .LBB184_6
; %bb.5:
	v_add_co_u32 v9, vcc_lo, v17, v39
	v_add_co_ci_u32_e32 v10, vcc_lo, 0, v18, vcc_lo
	v_readfirstlane_b32 s4, v17
	s_delay_alu instid0(VALU_DEP_3) | instskip(NEXT) | instid1(VALU_DEP_3)
	v_add_co_u32 v3, vcc_lo, v9, 0x2000
	v_add_co_ci_u32_e32 v4, vcc_lo, 0, v10, vcc_lo
	v_add_co_u32 v5, vcc_lo, v9, 0x4000
	v_add_co_ci_u32_e32 v6, vcc_lo, 0, v10, vcc_lo
	v_add_co_u32 v7, vcc_lo, v9, 0x6000
	v_readfirstlane_b32 s5, v18
	v_add_co_ci_u32_e32 v8, vcc_lo, 0, v10, vcc_lo
	v_add_co_u32 v9, vcc_lo, 0x7000, v9
	v_add_co_ci_u32_e32 v10, vcc_lo, 0, v10, vcc_lo
	s_clause 0x7
	global_load_b64 v[1:2], v39, s[4:5]
	global_load_b64 v[11:12], v[3:4], off offset:-4096
	global_load_b64 v[3:4], v[3:4], off
	global_load_b64 v[13:14], v[5:6], off offset:-4096
	global_load_b64 v[5:6], v[5:6], off
	;; [unrolled: 2-line block ×3, first 2 shown]
	global_load_b64 v[9:10], v[9:10], off
	v_lshrrev_b32_e32 v28, 2, v26
	v_lshrrev_b32_e32 v29, 2, v25
	;; [unrolled: 1-line block ×4, first 2 shown]
	v_and_b32_e32 v27, 0x78, v19
	v_lshrrev_b32_e32 v32, 2, v22
	v_lshrrev_b32_e32 v33, 2, v21
	v_lshrrev_b32_e32 v34, 2, v20
	v_and_b32_e32 v28, 0xf8, v28
	v_and_b32_e32 v29, 0x178, v29
	;; [unrolled: 1-line block ×4, first 2 shown]
	v_add_nc_u32_e32 v27, v27, v39
	v_and_b32_e32 v32, 0x2f8, v32
	v_and_b32_e32 v33, 0x378, v33
	;; [unrolled: 1-line block ×3, first 2 shown]
	v_add_nc_u32_e32 v28, v28, v39
	v_add_nc_u32_e32 v29, v29, v39
	;; [unrolled: 1-line block ×4, first 2 shown]
	s_mov_b32 s1, 0
	v_add_nc_u32_e32 v32, v32, v39
	v_add_nc_u32_e32 v33, v33, v39
	;; [unrolled: 1-line block ×3, first 2 shown]
	s_waitcnt vmcnt(7)
	ds_store_b64 v27, v[1:2]
	s_waitcnt vmcnt(6)
	ds_store_b64 v28, v[11:12] offset:4096
	s_waitcnt vmcnt(5)
	ds_store_b64 v29, v[3:4] offset:8192
	;; [unrolled: 2-line block ×7, first 2 shown]
	s_waitcnt lgkmcnt(0)
	s_barrier
.LBB184_6:
	s_and_not1_b32 vcc_lo, exec_lo, s1
	s_sub_i32 s12, s12, s0
	s_cbranch_vccnz .LBB184_17
; %bb.7:
	s_mov_b32 s0, exec_lo
                                        ; implicit-def: $vgpr1_vgpr2_vgpr3_vgpr4_vgpr5_vgpr6_vgpr7_vgpr8_vgpr9_vgpr10_vgpr11_vgpr12_vgpr13_vgpr14_vgpr15_vgpr16
	v_cmpx_gt_u32_e64 s12, v0
	s_cbranch_execnz .LBB184_27
; %bb.8:
	s_or_b32 exec_lo, exec_lo, s0
	s_delay_alu instid0(SALU_CYCLE_1)
	s_mov_b32 s0, exec_lo
	v_cmpx_gt_u32_e64 s12, v26
	s_cbranch_execnz .LBB184_28
.LBB184_9:
	s_or_b32 exec_lo, exec_lo, s0
	s_delay_alu instid0(SALU_CYCLE_1)
	s_mov_b32 s0, exec_lo
	v_cmpx_gt_u32_e64 s12, v25
	s_cbranch_execnz .LBB184_29
.LBB184_10:
	s_or_b32 exec_lo, exec_lo, s0
	s_delay_alu instid0(SALU_CYCLE_1)
	s_mov_b32 s0, exec_lo
	v_cmpx_gt_u32_e64 s12, v24
	s_cbranch_execnz .LBB184_30
.LBB184_11:
	s_or_b32 exec_lo, exec_lo, s0
	s_delay_alu instid0(SALU_CYCLE_1)
	s_mov_b32 s0, exec_lo
	v_cmpx_gt_u32_e64 s12, v23
	s_cbranch_execnz .LBB184_31
.LBB184_12:
	s_or_b32 exec_lo, exec_lo, s0
	s_delay_alu instid0(SALU_CYCLE_1)
	s_mov_b32 s0, exec_lo
	v_cmpx_gt_u32_e64 s12, v22
	s_cbranch_execnz .LBB184_32
.LBB184_13:
	s_or_b32 exec_lo, exec_lo, s0
	s_delay_alu instid0(SALU_CYCLE_1)
	s_mov_b32 s0, exec_lo
	v_cmpx_gt_u32_e64 s12, v21
	s_cbranch_execnz .LBB184_33
.LBB184_14:
	s_or_b32 exec_lo, exec_lo, s0
	s_delay_alu instid0(SALU_CYCLE_1)
	s_mov_b32 s0, exec_lo
	v_cmpx_gt_u32_e64 s12, v20
	s_cbranch_execz .LBB184_16
.LBB184_15:
	v_lshlrev_b32_e32 v15, 3, v20
	v_readfirstlane_b32 s4, v17
	v_readfirstlane_b32 s5, v18
	global_load_b64 v[15:16], v15, s[4:5]
.LBB184_16:
	s_or_b32 exec_lo, exec_lo, s0
	v_lshrrev_b32_e32 v26, 2, v26
	v_lshrrev_b32_e32 v25, 2, v25
	;; [unrolled: 1-line block ×4, first 2 shown]
	v_and_b32_e32 v27, 0x78, v19
	v_lshrrev_b32_e32 v22, 2, v22
	v_lshrrev_b32_e32 v21, 2, v21
	;; [unrolled: 1-line block ×3, first 2 shown]
	v_and_b32_e32 v26, 0xf8, v26
	v_and_b32_e32 v25, 0x1f8, v25
	;; [unrolled: 1-line block ×4, first 2 shown]
	v_add_nc_u32_e32 v27, v27, v39
	v_and_b32_e32 v22, 0x3f8, v22
	v_and_b32_e32 v21, 0x3f8, v21
	v_and_b32_e32 v20, 0x3f8, v20
	v_add_nc_u32_e32 v26, v26, v39
	v_add_nc_u32_e32 v25, v25, v39
	;; [unrolled: 1-line block ×7, first 2 shown]
	s_waitcnt vmcnt(0)
	ds_store_b64 v27, v[1:2]
	ds_store_b64 v26, v[3:4] offset:4096
	ds_store_b64 v25, v[5:6] offset:8192
	;; [unrolled: 1-line block ×7, first 2 shown]
	s_waitcnt lgkmcnt(0)
	s_barrier
.LBB184_17:
	v_add_lshl_u32 v1, v19, v39, 3
	buffer_gl0_inv
	s_cmp_lg_u32 s23, 0
	ds_load_2addr_b64 v[13:16], v1 offset1:1
	ds_load_2addr_b64 v[9:12], v1 offset0:2 offset1:3
	ds_load_2addr_b64 v[5:8], v1 offset0:4 offset1:5
	;; [unrolled: 1-line block ×3, first 2 shown]
	s_cselect_b32 s25, -1, 0
	s_cmp_lg_u64 s[6:7], 0
	v_cmp_gt_i64_e64 s7, s[14:15], 0
	s_cselect_b32 s0, -1, 0
	s_mov_b32 s6, 0
	s_or_b32 s0, s0, s25
	s_waitcnt lgkmcnt(0)
	s_and_b32 vcc_lo, exec_lo, s0
	s_barrier
	buffer_gl0_inv
	s_cbranch_vccz .LBB184_26
; %bb.18:
	global_load_b64 v[17:18], v[17:18], off offset:-8
	v_cndmask_b32_e64 v26, 0, 1, s7
	s_and_b32 vcc_lo, exec_lo, s22
	ds_store_b64 v39, v[3:4]
	v_cmp_ne_u32_e64 s0, 1, v26
	s_cbranch_vccz .LBB184_34
; %bb.19:
	v_mul_lo_u32 v21, v2, s14
	v_mul_lo_u32 v22, v1, s15
	v_mad_u64_u32 v[19:20], null, v1, s14, 0
	s_and_b32 vcc_lo, exec_lo, s0
	s_mov_b32 s26, 0
	s_delay_alu instid0(VALU_DEP_1)
	v_add3_u32 v27, v20, v22, v21
	s_cbranch_vccnz .LBB184_37
; %bb.20:
	v_mad_u64_u32 v[20:21], null, v3, s14, s[16:17]
	v_mul_lo_u32 v24, v3, s15
	v_mul_lo_u32 v25, v4, s14
	v_add_co_u32 v22, vcc_lo, s16, v19
	v_add_co_ci_u32_e32 v23, vcc_lo, s17, v27, vcc_lo
	s_mov_b32 s26, -1
	s_mov_b32 s27, exec_lo
	s_delay_alu instid0(VALU_DEP_3)
	v_add3_u32 v21, v25, v21, v24
	s_clause 0x1
	global_load_u8 v24, v[22:23], off
	global_load_u8 v25, v[20:21], off
	s_waitcnt vmcnt(0)
	v_cmpx_eq_u16_e64 v24, v25
	s_cbranch_execz .LBB184_36
; %bb.21:
	s_mov_b64 s[0:1], 1
	s_mov_b32 s26, 0
                                        ; implicit-def: $sgpr28
	s_set_inst_prefetch_distance 0x1
	s_branch .LBB184_24
	.p2align	6
.LBB184_22:                             ;   in Loop: Header=BB184_24 Depth=1
	v_add_co_u32 v24, vcc_lo, v22, s0
	v_add_co_ci_u32_e32 v25, vcc_lo, s1, v23, vcc_lo
	v_add_co_u32 v28, vcc_lo, v20, s0
	v_add_co_ci_u32_e32 v29, vcc_lo, s1, v21, vcc_lo
	s_add_u32 s4, s0, 1
	s_clause 0x1
	global_load_u8 v24, v[24:25], off
	global_load_u8 v25, v[28:29], off
	s_addc_u32 s5, s1, 0
	s_and_not1_b32 s28, s28, exec_lo
	s_waitcnt vmcnt(0)
	v_cmp_ne_u16_e32 vcc_lo, v24, v25
	s_and_b32 s29, vcc_lo, exec_lo
	s_delay_alu instid0(SALU_CYCLE_1)
	s_or_b32 s28, s28, s29
.LBB184_23:                             ;   in Loop: Header=BB184_24 Depth=1
	v_dual_mov_b32 v25, s1 :: v_dual_mov_b32 v24, s0
	s_and_b32 s29, exec_lo, s28
	s_mov_b64 s[0:1], s[4:5]
	s_or_b32 s26, s29, s26
	s_delay_alu instid0(SALU_CYCLE_1)
	s_and_not1_b32 exec_lo, exec_lo, s26
	s_cbranch_execz .LBB184_35
.LBB184_24:                             ; =>This Inner Loop Header: Depth=1
	s_or_b32 s28, s28, exec_lo
	s_cmp_eq_u64 s[14:15], s[0:1]
	s_cbranch_scc0 .LBB184_22
; %bb.25:                               ;   in Loop: Header=BB184_24 Depth=1
	s_mov_b64 s[0:1], s[14:15]
                                        ; implicit-def: $sgpr4_sgpr5
	s_branch .LBB184_23
.LBB184_26:
                                        ; implicit-def: $sgpr0
                                        ; implicit-def: $vgpr20
	s_branch .LBB184_195
.LBB184_27:
	v_readfirstlane_b32 s4, v17
	v_readfirstlane_b32 s5, v18
	global_load_b64 v[1:2], v39, s[4:5]
	s_or_b32 exec_lo, exec_lo, s0
	s_delay_alu instid0(SALU_CYCLE_1)
	s_mov_b32 s0, exec_lo
	v_cmpx_gt_u32_e64 s12, v26
	s_cbranch_execz .LBB184_9
.LBB184_28:
	v_lshlrev_b32_e32 v3, 3, v26
	v_readfirstlane_b32 s4, v17
	v_readfirstlane_b32 s5, v18
	global_load_b64 v[3:4], v3, s[4:5]
	s_or_b32 exec_lo, exec_lo, s0
	s_delay_alu instid0(SALU_CYCLE_1)
	s_mov_b32 s0, exec_lo
	v_cmpx_gt_u32_e64 s12, v25
	s_cbranch_execz .LBB184_10
.LBB184_29:
	v_lshlrev_b32_e32 v5, 3, v25
	v_readfirstlane_b32 s4, v17
	v_readfirstlane_b32 s5, v18
	global_load_b64 v[5:6], v5, s[4:5]
	s_or_b32 exec_lo, exec_lo, s0
	s_delay_alu instid0(SALU_CYCLE_1)
	s_mov_b32 s0, exec_lo
	v_cmpx_gt_u32_e64 s12, v24
	s_cbranch_execz .LBB184_11
.LBB184_30:
	v_lshlrev_b32_e32 v7, 3, v24
	v_readfirstlane_b32 s4, v17
	v_readfirstlane_b32 s5, v18
	global_load_b64 v[7:8], v7, s[4:5]
	s_or_b32 exec_lo, exec_lo, s0
	s_delay_alu instid0(SALU_CYCLE_1)
	s_mov_b32 s0, exec_lo
	v_cmpx_gt_u32_e64 s12, v23
	s_cbranch_execz .LBB184_12
.LBB184_31:
	v_lshlrev_b32_e32 v9, 3, v23
	v_readfirstlane_b32 s4, v17
	v_readfirstlane_b32 s5, v18
	global_load_b64 v[9:10], v9, s[4:5]
	s_or_b32 exec_lo, exec_lo, s0
	s_delay_alu instid0(SALU_CYCLE_1)
	s_mov_b32 s0, exec_lo
	v_cmpx_gt_u32_e64 s12, v22
	s_cbranch_execz .LBB184_13
.LBB184_32:
	v_lshlrev_b32_e32 v11, 3, v22
	v_readfirstlane_b32 s4, v17
	v_readfirstlane_b32 s5, v18
	global_load_b64 v[11:12], v11, s[4:5]
	s_or_b32 exec_lo, exec_lo, s0
	s_delay_alu instid0(SALU_CYCLE_1)
	s_mov_b32 s0, exec_lo
	v_cmpx_gt_u32_e64 s12, v21
	s_cbranch_execz .LBB184_14
.LBB184_33:
	v_lshlrev_b32_e32 v13, 3, v21
	v_readfirstlane_b32 s4, v17
	v_readfirstlane_b32 s5, v18
	global_load_b64 v[13:14], v13, s[4:5]
	s_or_b32 exec_lo, exec_lo, s0
	s_delay_alu instid0(SALU_CYCLE_1)
	s_mov_b32 s0, exec_lo
	v_cmpx_gt_u32_e64 s12, v20
	s_cbranch_execnz .LBB184_15
	s_branch .LBB184_16
.LBB184_34:
                                        ; implicit-def: $sgpr0
                                        ; implicit-def: $vgpr20
	s_cbranch_execnz .LBB184_103
	s_branch .LBB184_194
.LBB184_35:
	s_set_inst_prefetch_distance 0x2
	s_or_b32 exec_lo, exec_lo, s26
	v_cmp_gt_i64_e32 vcc_lo, s[14:15], v[24:25]
	s_or_not1_b32 s26, vcc_lo, exec_lo
.LBB184_36:
	s_or_b32 exec_lo, exec_lo, s27
.LBB184_37:
	v_mul_lo_u32 v20, v8, s14
	v_mul_lo_u32 v23, v7, s15
	v_mad_u64_u32 v[21:22], null, v7, s14, 0
	s_and_not1_b32 vcc_lo, exec_lo, s7
	s_delay_alu instid0(VALU_DEP_1)
	v_add3_u32 v28, v22, v23, v20
	s_cbranch_vccnz .LBB184_46
; %bb.38:
	s_delay_alu instid0(VALU_DEP_2) | instskip(NEXT) | instid1(VALU_DEP_2)
	v_add_co_u32 v22, vcc_lo, s16, v21
	v_add_co_ci_u32_e32 v23, vcc_lo, s17, v28, vcc_lo
	v_add_co_u32 v19, vcc_lo, s16, v19
	v_add_co_ci_u32_e32 v20, vcc_lo, s17, v27, vcc_lo
	s_mov_b32 s6, -1
	s_clause 0x1
	global_load_u8 v24, v[22:23], off
	global_load_u8 v25, v[19:20], off
	s_mov_b32 s27, exec_lo
	s_waitcnt vmcnt(0)
	v_cmpx_eq_u16_e64 v24, v25
	s_cbranch_execz .LBB184_45
; %bb.39:
	s_mov_b64 s[0:1], 1
	s_mov_b32 s6, 0
                                        ; implicit-def: $sgpr28
	s_set_inst_prefetch_distance 0x1
	s_branch .LBB184_42
	.p2align	6
.LBB184_40:                             ;   in Loop: Header=BB184_42 Depth=1
	v_add_co_u32 v24, vcc_lo, v22, s0
	v_add_co_ci_u32_e32 v25, vcc_lo, s1, v23, vcc_lo
	v_add_co_u32 v29, vcc_lo, v19, s0
	v_add_co_ci_u32_e32 v30, vcc_lo, s1, v20, vcc_lo
	s_add_u32 s4, s0, 1
	s_clause 0x1
	global_load_u8 v24, v[24:25], off
	global_load_u8 v25, v[29:30], off
	s_addc_u32 s5, s1, 0
	s_and_not1_b32 s28, s28, exec_lo
	s_waitcnt vmcnt(0)
	v_cmp_ne_u16_e32 vcc_lo, v24, v25
	s_and_b32 s29, vcc_lo, exec_lo
	s_delay_alu instid0(SALU_CYCLE_1)
	s_or_b32 s28, s28, s29
.LBB184_41:                             ;   in Loop: Header=BB184_42 Depth=1
	v_dual_mov_b32 v25, s1 :: v_dual_mov_b32 v24, s0
	s_and_b32 s29, exec_lo, s28
	s_mov_b64 s[0:1], s[4:5]
	s_or_b32 s6, s29, s6
	s_delay_alu instid0(SALU_CYCLE_1)
	s_and_not1_b32 exec_lo, exec_lo, s6
	s_cbranch_execz .LBB184_44
.LBB184_42:                             ; =>This Inner Loop Header: Depth=1
	s_or_b32 s28, s28, exec_lo
	s_cmp_eq_u64 s[14:15], s[0:1]
	s_cbranch_scc0 .LBB184_40
; %bb.43:                               ;   in Loop: Header=BB184_42 Depth=1
	s_mov_b64 s[0:1], s[14:15]
                                        ; implicit-def: $sgpr4_sgpr5
	s_branch .LBB184_41
.LBB184_44:
	s_set_inst_prefetch_distance 0x2
	s_or_b32 exec_lo, exec_lo, s6
	v_cmp_gt_i64_e32 vcc_lo, s[14:15], v[24:25]
	s_or_not1_b32 s6, vcc_lo, exec_lo
.LBB184_45:
	s_or_b32 exec_lo, exec_lo, s27
.LBB184_46:
	v_mul_lo_u32 v22, v6, s14
	v_mul_lo_u32 v23, v5, s15
	v_mad_u64_u32 v[19:20], null, v5, s14, 0
	s_mov_b32 s27, 0
	s_and_not1_b32 vcc_lo, exec_lo, s7
	s_mov_b32 s28, 0
	s_delay_alu instid0(VALU_DEP_1)
	v_add3_u32 v29, v20, v23, v22
	s_cbranch_vccnz .LBB184_55
; %bb.47:
	s_delay_alu instid0(VALU_DEP_2) | instskip(NEXT) | instid1(VALU_DEP_2)
	v_add_co_u32 v22, vcc_lo, s16, v19
	v_add_co_ci_u32_e32 v23, vcc_lo, s17, v29, vcc_lo
	v_add_co_u32 v20, vcc_lo, s16, v21
	v_add_co_ci_u32_e32 v21, vcc_lo, s17, v28, vcc_lo
	s_mov_b32 s28, -1
	s_clause 0x1
	global_load_u8 v24, v[22:23], off
	global_load_u8 v25, v[20:21], off
	s_mov_b32 s29, exec_lo
	s_waitcnt vmcnt(0)
	v_cmpx_eq_u16_e64 v24, v25
	s_cbranch_execz .LBB184_54
; %bb.48:
	s_mov_b64 s[0:1], 1
	s_mov_b32 s28, 0
                                        ; implicit-def: $sgpr30
	s_set_inst_prefetch_distance 0x1
	s_branch .LBB184_51
	.p2align	6
.LBB184_49:                             ;   in Loop: Header=BB184_51 Depth=1
	v_add_co_u32 v24, vcc_lo, v22, s0
	v_add_co_ci_u32_e32 v25, vcc_lo, s1, v23, vcc_lo
	v_add_co_u32 v27, vcc_lo, v20, s0
	v_add_co_ci_u32_e32 v28, vcc_lo, s1, v21, vcc_lo
	s_add_u32 s4, s0, 1
	s_clause 0x1
	global_load_u8 v24, v[24:25], off
	global_load_u8 v25, v[27:28], off
	s_addc_u32 s5, s1, 0
	s_and_not1_b32 s30, s30, exec_lo
	s_waitcnt vmcnt(0)
	v_cmp_ne_u16_e32 vcc_lo, v24, v25
	s_and_b32 s31, vcc_lo, exec_lo
	s_delay_alu instid0(SALU_CYCLE_1)
	s_or_b32 s30, s30, s31
.LBB184_50:                             ;   in Loop: Header=BB184_51 Depth=1
	v_dual_mov_b32 v25, s1 :: v_dual_mov_b32 v24, s0
	s_and_b32 s31, exec_lo, s30
	s_mov_b64 s[0:1], s[4:5]
	s_or_b32 s28, s31, s28
	s_delay_alu instid0(SALU_CYCLE_1)
	s_and_not1_b32 exec_lo, exec_lo, s28
	s_cbranch_execz .LBB184_53
.LBB184_51:                             ; =>This Inner Loop Header: Depth=1
	s_or_b32 s30, s30, exec_lo
	s_cmp_eq_u64 s[14:15], s[0:1]
	s_cbranch_scc0 .LBB184_49
; %bb.52:                               ;   in Loop: Header=BB184_51 Depth=1
	s_mov_b64 s[0:1], s[14:15]
                                        ; implicit-def: $sgpr4_sgpr5
	s_branch .LBB184_50
.LBB184_53:
	s_set_inst_prefetch_distance 0x2
	s_or_b32 exec_lo, exec_lo, s28
	v_cmp_gt_i64_e32 vcc_lo, s[14:15], v[24:25]
	s_or_not1_b32 s28, vcc_lo, exec_lo
.LBB184_54:
	s_or_b32 exec_lo, exec_lo, s29
.LBB184_55:
	v_mul_lo_u32 v20, v12, s14
	v_mul_lo_u32 v23, v11, s15
	v_mad_u64_u32 v[21:22], null, v11, s14, 0
	s_and_not1_b32 vcc_lo, exec_lo, s7
	s_delay_alu instid0(VALU_DEP_1)
	v_add3_u32 v27, v22, v23, v20
	s_cbranch_vccnz .LBB184_64
; %bb.56:
	s_delay_alu instid0(VALU_DEP_2) | instskip(NEXT) | instid1(VALU_DEP_2)
	v_add_co_u32 v22, vcc_lo, s16, v21
	v_add_co_ci_u32_e32 v23, vcc_lo, s17, v27, vcc_lo
	v_add_co_u32 v19, vcc_lo, s16, v19
	v_add_co_ci_u32_e32 v20, vcc_lo, s17, v29, vcc_lo
	s_mov_b32 s27, -1
	s_clause 0x1
	global_load_u8 v24, v[22:23], off
	global_load_u8 v25, v[19:20], off
	s_mov_b32 s29, exec_lo
	s_waitcnt vmcnt(0)
	v_cmpx_eq_u16_e64 v24, v25
	s_cbranch_execz .LBB184_63
; %bb.57:
	s_mov_b64 s[0:1], 1
	s_mov_b32 s27, 0
                                        ; implicit-def: $sgpr30
	s_set_inst_prefetch_distance 0x1
	s_branch .LBB184_60
	.p2align	6
.LBB184_58:                             ;   in Loop: Header=BB184_60 Depth=1
	v_add_co_u32 v24, vcc_lo, v22, s0
	v_add_co_ci_u32_e32 v25, vcc_lo, s1, v23, vcc_lo
	v_add_co_u32 v28, vcc_lo, v19, s0
	v_add_co_ci_u32_e32 v29, vcc_lo, s1, v20, vcc_lo
	s_add_u32 s4, s0, 1
	s_clause 0x1
	global_load_u8 v24, v[24:25], off
	global_load_u8 v25, v[28:29], off
	s_addc_u32 s5, s1, 0
	s_and_not1_b32 s30, s30, exec_lo
	s_waitcnt vmcnt(0)
	v_cmp_ne_u16_e32 vcc_lo, v24, v25
	s_and_b32 s31, vcc_lo, exec_lo
	s_delay_alu instid0(SALU_CYCLE_1)
	s_or_b32 s30, s30, s31
.LBB184_59:                             ;   in Loop: Header=BB184_60 Depth=1
	v_dual_mov_b32 v25, s1 :: v_dual_mov_b32 v24, s0
	s_and_b32 s31, exec_lo, s30
	s_mov_b64 s[0:1], s[4:5]
	s_or_b32 s27, s31, s27
	s_delay_alu instid0(SALU_CYCLE_1)
	s_and_not1_b32 exec_lo, exec_lo, s27
	s_cbranch_execz .LBB184_62
.LBB184_60:                             ; =>This Inner Loop Header: Depth=1
	s_or_b32 s30, s30, exec_lo
	s_cmp_eq_u64 s[14:15], s[0:1]
	s_cbranch_scc0 .LBB184_58
; %bb.61:                               ;   in Loop: Header=BB184_60 Depth=1
	s_mov_b64 s[0:1], s[14:15]
                                        ; implicit-def: $sgpr4_sgpr5
	s_branch .LBB184_59
.LBB184_62:
	s_set_inst_prefetch_distance 0x2
	s_or_b32 exec_lo, exec_lo, s27
	v_cmp_gt_i64_e32 vcc_lo, s[14:15], v[24:25]
	s_or_not1_b32 s27, vcc_lo, exec_lo
.LBB184_63:
	s_or_b32 exec_lo, exec_lo, s29
.LBB184_64:
	v_mul_lo_u32 v22, v10, s14
	v_mul_lo_u32 v23, v9, s15
	v_mad_u64_u32 v[19:20], null, v9, s14, 0
	s_mov_b32 s29, 0
	s_and_not1_b32 vcc_lo, exec_lo, s7
	s_mov_b32 s30, 0
	s_delay_alu instid0(VALU_DEP_1)
	v_add3_u32 v29, v20, v23, v22
	s_cbranch_vccnz .LBB184_73
; %bb.65:
	s_delay_alu instid0(VALU_DEP_2) | instskip(NEXT) | instid1(VALU_DEP_2)
	v_add_co_u32 v22, vcc_lo, s16, v19
	v_add_co_ci_u32_e32 v23, vcc_lo, s17, v29, vcc_lo
	v_add_co_u32 v20, vcc_lo, s16, v21
	v_add_co_ci_u32_e32 v21, vcc_lo, s17, v27, vcc_lo
	s_mov_b32 s30, -1
	s_clause 0x1
	global_load_u8 v24, v[22:23], off
	global_load_u8 v25, v[20:21], off
	s_mov_b32 s31, exec_lo
	s_waitcnt vmcnt(0)
	v_cmpx_eq_u16_e64 v24, v25
	s_cbranch_execz .LBB184_72
; %bb.66:
	s_mov_b64 s[0:1], 1
	s_mov_b32 s30, 0
                                        ; implicit-def: $sgpr33
	s_set_inst_prefetch_distance 0x1
	s_branch .LBB184_69
	.p2align	6
.LBB184_67:                             ;   in Loop: Header=BB184_69 Depth=1
	v_add_co_u32 v24, vcc_lo, v22, s0
	v_add_co_ci_u32_e32 v25, vcc_lo, s1, v23, vcc_lo
	v_add_co_u32 v27, vcc_lo, v20, s0
	v_add_co_ci_u32_e32 v28, vcc_lo, s1, v21, vcc_lo
	s_add_u32 s4, s0, 1
	s_clause 0x1
	global_load_u8 v24, v[24:25], off
	global_load_u8 v25, v[27:28], off
	s_addc_u32 s5, s1, 0
	s_and_not1_b32 s33, s33, exec_lo
	s_waitcnt vmcnt(0)
	v_cmp_ne_u16_e32 vcc_lo, v24, v25
	s_and_b32 s34, vcc_lo, exec_lo
	s_delay_alu instid0(SALU_CYCLE_1)
	s_or_b32 s33, s33, s34
.LBB184_68:                             ;   in Loop: Header=BB184_69 Depth=1
	v_dual_mov_b32 v25, s1 :: v_dual_mov_b32 v24, s0
	s_and_b32 s34, exec_lo, s33
	s_mov_b64 s[0:1], s[4:5]
	s_or_b32 s30, s34, s30
	s_delay_alu instid0(SALU_CYCLE_1)
	s_and_not1_b32 exec_lo, exec_lo, s30
	s_cbranch_execz .LBB184_71
.LBB184_69:                             ; =>This Inner Loop Header: Depth=1
	s_or_b32 s33, s33, exec_lo
	s_cmp_eq_u64 s[14:15], s[0:1]
	s_cbranch_scc0 .LBB184_67
; %bb.70:                               ;   in Loop: Header=BB184_69 Depth=1
	s_mov_b64 s[0:1], s[14:15]
                                        ; implicit-def: $sgpr4_sgpr5
	s_branch .LBB184_68
.LBB184_71:
	s_set_inst_prefetch_distance 0x2
	s_or_b32 exec_lo, exec_lo, s30
	v_cmp_gt_i64_e32 vcc_lo, s[14:15], v[24:25]
	s_or_not1_b32 s30, vcc_lo, exec_lo
.LBB184_72:
	s_or_b32 exec_lo, exec_lo, s31
.LBB184_73:
	v_mul_lo_u32 v20, v16, s14
	v_mul_lo_u32 v23, v15, s15
	v_mad_u64_u32 v[21:22], null, v15, s14, 0
	s_and_not1_b32 vcc_lo, exec_lo, s7
	s_delay_alu instid0(VALU_DEP_1)
	v_add3_u32 v28, v22, v23, v20
	s_cbranch_vccnz .LBB184_82
; %bb.74:
	s_delay_alu instid0(VALU_DEP_2) | instskip(NEXT) | instid1(VALU_DEP_2)
	v_add_co_u32 v22, vcc_lo, s16, v21
	v_add_co_ci_u32_e32 v23, vcc_lo, s17, v28, vcc_lo
	v_add_co_u32 v19, vcc_lo, s16, v19
	v_add_co_ci_u32_e32 v20, vcc_lo, s17, v29, vcc_lo
	s_mov_b32 s29, -1
	s_clause 0x1
	global_load_u8 v24, v[22:23], off
	global_load_u8 v25, v[19:20], off
	s_mov_b32 s31, exec_lo
	s_waitcnt vmcnt(0)
	v_cmpx_eq_u16_e64 v24, v25
	s_cbranch_execz .LBB184_81
; %bb.75:
	s_mov_b64 s[0:1], 1
	s_mov_b32 s29, 0
                                        ; implicit-def: $sgpr33
	s_set_inst_prefetch_distance 0x1
	s_branch .LBB184_78
	.p2align	6
.LBB184_76:                             ;   in Loop: Header=BB184_78 Depth=1
	v_add_co_u32 v24, vcc_lo, v22, s0
	v_add_co_ci_u32_e32 v25, vcc_lo, s1, v23, vcc_lo
	v_add_co_u32 v29, vcc_lo, v19, s0
	v_add_co_ci_u32_e32 v30, vcc_lo, s1, v20, vcc_lo
	s_add_u32 s4, s0, 1
	s_clause 0x1
	global_load_u8 v24, v[24:25], off
	global_load_u8 v25, v[29:30], off
	s_addc_u32 s5, s1, 0
	s_and_not1_b32 s33, s33, exec_lo
	s_waitcnt vmcnt(0)
	v_cmp_ne_u16_e32 vcc_lo, v24, v25
	s_and_b32 s34, vcc_lo, exec_lo
	s_delay_alu instid0(SALU_CYCLE_1)
	s_or_b32 s33, s33, s34
.LBB184_77:                             ;   in Loop: Header=BB184_78 Depth=1
	v_dual_mov_b32 v25, s1 :: v_dual_mov_b32 v24, s0
	s_and_b32 s34, exec_lo, s33
	s_mov_b64 s[0:1], s[4:5]
	s_or_b32 s29, s34, s29
	s_delay_alu instid0(SALU_CYCLE_1)
	s_and_not1_b32 exec_lo, exec_lo, s29
	s_cbranch_execz .LBB184_80
.LBB184_78:                             ; =>This Inner Loop Header: Depth=1
	s_or_b32 s33, s33, exec_lo
	s_cmp_eq_u64 s[14:15], s[0:1]
	s_cbranch_scc0 .LBB184_76
; %bb.79:                               ;   in Loop: Header=BB184_78 Depth=1
	s_mov_b64 s[0:1], s[14:15]
                                        ; implicit-def: $sgpr4_sgpr5
	s_branch .LBB184_77
.LBB184_80:
	s_set_inst_prefetch_distance 0x2
	s_or_b32 exec_lo, exec_lo, s29
	v_cmp_gt_i64_e32 vcc_lo, s[14:15], v[24:25]
	s_or_not1_b32 s29, vcc_lo, exec_lo
.LBB184_81:
	s_or_b32 exec_lo, exec_lo, s31
.LBB184_82:
	v_mul_lo_u32 v22, v14, s14
	v_mul_lo_u32 v23, v13, s15
	v_mad_u64_u32 v[19:20], null, v13, s14, 0
	s_and_not1_b32 vcc_lo, exec_lo, s7
	s_mov_b32 s0, 0
	s_delay_alu instid0(VALU_DEP_1)
	v_add3_u32 v27, v20, v23, v22
	s_cbranch_vccnz .LBB184_91
; %bb.83:
	s_delay_alu instid0(VALU_DEP_2) | instskip(NEXT) | instid1(VALU_DEP_2)
	v_add_co_u32 v22, vcc_lo, s16, v19
	v_add_co_ci_u32_e32 v23, vcc_lo, s17, v27, vcc_lo
	v_add_co_u32 v20, vcc_lo, s16, v21
	v_add_co_ci_u32_e32 v21, vcc_lo, s17, v28, vcc_lo
	s_mov_b32 s0, -1
	s_clause 0x1
	global_load_u8 v24, v[22:23], off
	global_load_u8 v25, v[20:21], off
	s_mov_b32 s31, exec_lo
	s_waitcnt vmcnt(0)
	v_cmpx_eq_u16_e64 v24, v25
	s_cbranch_execz .LBB184_90
; %bb.84:
	s_mov_b64 s[0:1], 1
	s_mov_b32 s33, 0
                                        ; implicit-def: $sgpr34
	s_set_inst_prefetch_distance 0x1
	s_branch .LBB184_87
	.p2align	6
.LBB184_85:                             ;   in Loop: Header=BB184_87 Depth=1
	v_add_co_u32 v24, vcc_lo, v22, s0
	v_add_co_ci_u32_e32 v25, vcc_lo, s1, v23, vcc_lo
	v_add_co_u32 v28, vcc_lo, v20, s0
	v_add_co_ci_u32_e32 v29, vcc_lo, s1, v21, vcc_lo
	s_add_u32 s4, s0, 1
	s_clause 0x1
	global_load_u8 v24, v[24:25], off
	global_load_u8 v25, v[28:29], off
	s_addc_u32 s5, s1, 0
	s_and_not1_b32 s34, s34, exec_lo
	s_waitcnt vmcnt(0)
	v_cmp_ne_u16_e32 vcc_lo, v24, v25
	s_and_b32 s35, vcc_lo, exec_lo
	s_delay_alu instid0(SALU_CYCLE_1)
	s_or_b32 s34, s34, s35
.LBB184_86:                             ;   in Loop: Header=BB184_87 Depth=1
	v_dual_mov_b32 v25, s1 :: v_dual_mov_b32 v24, s0
	s_and_b32 s35, exec_lo, s34
	s_mov_b64 s[0:1], s[4:5]
	s_or_b32 s33, s35, s33
	s_delay_alu instid0(SALU_CYCLE_1)
	s_and_not1_b32 exec_lo, exec_lo, s33
	s_cbranch_execz .LBB184_89
.LBB184_87:                             ; =>This Inner Loop Header: Depth=1
	s_or_b32 s34, s34, exec_lo
	s_cmp_eq_u64 s[14:15], s[0:1]
	s_cbranch_scc0 .LBB184_85
; %bb.88:                               ;   in Loop: Header=BB184_87 Depth=1
	s_mov_b64 s[0:1], s[14:15]
                                        ; implicit-def: $sgpr4_sgpr5
	s_branch .LBB184_86
.LBB184_89:
	s_set_inst_prefetch_distance 0x2
	s_or_b32 exec_lo, exec_lo, s33
	v_cmp_gt_i64_e32 vcc_lo, s[14:15], v[24:25]
	s_or_not1_b32 s0, vcc_lo, exec_lo
.LBB184_90:
	s_or_b32 exec_lo, exec_lo, s31
.LBB184_91:
	s_waitcnt vmcnt(0)
	v_dual_mov_b32 v23, v18 :: v_dual_mov_b32 v22, v17
	s_waitcnt lgkmcnt(0)
	s_barrier
	buffer_gl0_inv
	s_and_saveexec_b32 s1, s3
	s_cbranch_execz .LBB184_93
; %bb.92:
	v_add_nc_u32_e32 v20, -8, v39
	ds_load_b64 v[22:23], v20
.LBB184_93:
	s_or_b32 exec_lo, exec_lo, s1
	v_cndmask_b32_e64 v21, 0, 1, s30
	v_cndmask_b32_e64 v25, 0, 1, s28
	;; [unrolled: 1-line block ×7, first 2 shown]
	v_lshlrev_b16 v21, 8, v21
	v_lshlrev_b16 v25, 8, v25
	;; [unrolled: 1-line block ×4, first 2 shown]
	s_mov_b32 s6, 0
	v_or_b32_e32 v20, v20, v21
	v_or_b32_e32 v21, v24, v25
	v_or_b32_e32 v24, v30, v28
	v_and_b32_e32 v28, 0xffff, v29
	s_and_not1_b32 vcc_lo, exec_lo, s7
	v_lshlrev_b32_e32 v29, 16, v20
	v_and_b32_e32 v30, 0xffff, v21
	v_lshlrev_b32_e32 v31, 16, v24
	s_mov_b32 s0, 0
	s_cbranch_vccnz .LBB184_102
; %bb.94:
	s_waitcnt lgkmcnt(0)
	v_mad_u64_u32 v[20:21], null, v22, s14, s[16:17]
	v_mul_lo_u32 v22, v22, s15
	v_mul_lo_u32 v23, v23, s14
	s_mov_b32 s0, -1
	s_mov_b32 s26, exec_lo
	s_delay_alu instid0(VALU_DEP_1)
	v_add3_u32 v21, v23, v21, v22
	v_add_co_u32 v22, vcc_lo, s16, v19
	v_add_co_ci_u32_e32 v23, vcc_lo, s17, v27, vcc_lo
	s_clause 0x1
	global_load_u8 v19, v[20:21], off
	global_load_u8 v24, v[22:23], off
	s_waitcnt vmcnt(0)
	v_cmpx_eq_u16_e64 v19, v24
	s_cbranch_execz .LBB184_101
; %bb.95:
	s_mov_b64 s[0:1], 1
	s_mov_b32 s27, 0
                                        ; implicit-def: $sgpr28
	s_set_inst_prefetch_distance 0x1
	s_branch .LBB184_98
	.p2align	6
.LBB184_96:                             ;   in Loop: Header=BB184_98 Depth=1
	v_add_co_u32 v24, vcc_lo, v20, s0
	v_add_co_ci_u32_e32 v25, vcc_lo, s1, v21, vcc_lo
	v_add_co_u32 v32, vcc_lo, v22, s0
	v_add_co_ci_u32_e32 v33, vcc_lo, s1, v23, vcc_lo
	s_add_u32 s4, s0, 1
	s_clause 0x1
	global_load_u8 v19, v[24:25], off
	global_load_u8 v24, v[32:33], off
	s_addc_u32 s5, s1, 0
	s_and_not1_b32 s28, s28, exec_lo
	s_waitcnt vmcnt(0)
	v_cmp_ne_u16_e32 vcc_lo, v19, v24
	s_and_b32 s29, vcc_lo, exec_lo
	s_delay_alu instid0(SALU_CYCLE_1)
	s_or_b32 s28, s28, s29
.LBB184_97:                             ;   in Loop: Header=BB184_98 Depth=1
	v_dual_mov_b32 v25, s1 :: v_dual_mov_b32 v24, s0
	s_and_b32 s29, exec_lo, s28
	s_mov_b64 s[0:1], s[4:5]
	s_or_b32 s27, s29, s27
	s_delay_alu instid0(SALU_CYCLE_1)
	s_and_not1_b32 exec_lo, exec_lo, s27
	s_cbranch_execz .LBB184_100
.LBB184_98:                             ; =>This Inner Loop Header: Depth=1
	s_or_b32 s28, s28, exec_lo
	s_cmp_eq_u64 s[14:15], s[0:1]
	s_cbranch_scc0 .LBB184_96
; %bb.99:                               ;   in Loop: Header=BB184_98 Depth=1
	s_mov_b64 s[0:1], s[14:15]
                                        ; implicit-def: $sgpr4_sgpr5
	s_branch .LBB184_97
.LBB184_100:
	s_set_inst_prefetch_distance 0x2
	s_or_b32 exec_lo, exec_lo, s27
	v_cmp_gt_i64_e32 vcc_lo, s[14:15], v[24:25]
	s_or_not1_b32 s0, vcc_lo, exec_lo
.LBB184_101:
	s_or_b32 exec_lo, exec_lo, s26
.LBB184_102:
	v_or_b32_e32 v19, v28, v29
	s_delay_alu instid0(VALU_DEP_2)
	v_or_b32_e32 v20, v30, v31
	s_and_b32 vcc_lo, exec_lo, s6
	s_cbranch_vccz .LBB184_194
.LBB184_103:
	v_or_b32_e32 v19, 7, v39
	s_mov_b32 s6, 0
	s_mov_b32 s26, 0
	s_mov_b32 s27, exec_lo
	s_delay_alu instid0(VALU_DEP_1)
	v_cmpx_gt_u32_e64 s12, v19
	s_cbranch_execz .LBB184_114
; %bb.104:
	s_and_not1_b32 vcc_lo, exec_lo, s7
	s_mov_b32 s0, 0
	s_cbranch_vccnz .LBB184_113
; %bb.105:
	v_mad_u64_u32 v[19:20], null, v1, s14, s[16:17]
	s_waitcnt lgkmcnt(0)
	v_mul_lo_u32 v23, v1, s15
	v_mul_lo_u32 v24, v2, s14
	v_mad_u64_u32 v[21:22], null, v3, s14, s[16:17]
	v_mul_lo_u32 v25, v3, s15
	v_mul_lo_u32 v27, v4, s14
	s_mov_b32 s0, -1
	s_mov_b32 s7, exec_lo
	s_delay_alu instid0(VALU_DEP_4) | instskip(NEXT) | instid1(VALU_DEP_2)
	v_add3_u32 v20, v24, v20, v23
	v_add3_u32 v22, v27, v22, v25
	s_clause 0x1
	global_load_u8 v23, v[19:20], off
	global_load_u8 v24, v[21:22], off
	s_waitcnt vmcnt(0)
	v_cmpx_eq_u16_e64 v23, v24
	s_cbranch_execz .LBB184_112
; %bb.106:
	s_mov_b64 s[0:1], 1
                                        ; implicit-def: $sgpr28
	s_set_inst_prefetch_distance 0x1
	s_branch .LBB184_109
	.p2align	6
.LBB184_107:                            ;   in Loop: Header=BB184_109 Depth=1
	v_add_co_u32 v23, vcc_lo, v19, s0
	v_add_co_ci_u32_e32 v24, vcc_lo, s1, v20, vcc_lo
	v_add_co_u32 v27, vcc_lo, v21, s0
	v_add_co_ci_u32_e32 v28, vcc_lo, s1, v22, vcc_lo
	s_add_u32 s4, s0, 1
	s_clause 0x1
	global_load_u8 v23, v[23:24], off
	global_load_u8 v24, v[27:28], off
	s_addc_u32 s5, s1, 0
	s_and_not1_b32 s28, s28, exec_lo
	s_waitcnt vmcnt(0)
	v_cmp_ne_u16_e32 vcc_lo, v23, v24
	s_and_b32 s29, vcc_lo, exec_lo
	s_delay_alu instid0(SALU_CYCLE_1)
	s_or_b32 s28, s28, s29
.LBB184_108:                            ;   in Loop: Header=BB184_109 Depth=1
	v_dual_mov_b32 v24, s1 :: v_dual_mov_b32 v23, s0
	s_and_b32 s29, exec_lo, s28
	s_mov_b64 s[0:1], s[4:5]
	s_or_b32 s26, s29, s26
	s_delay_alu instid0(SALU_CYCLE_1)
	s_and_not1_b32 exec_lo, exec_lo, s26
	s_cbranch_execz .LBB184_111
.LBB184_109:                            ; =>This Inner Loop Header: Depth=1
	s_or_b32 s28, s28, exec_lo
	s_cmp_eq_u64 s[14:15], s[0:1]
	s_cbranch_scc0 .LBB184_107
; %bb.110:                              ;   in Loop: Header=BB184_109 Depth=1
	s_mov_b64 s[0:1], s[14:15]
                                        ; implicit-def: $sgpr4_sgpr5
	s_branch .LBB184_108
.LBB184_111:
	s_set_inst_prefetch_distance 0x2
	s_or_b32 exec_lo, exec_lo, s26
	v_cmp_gt_i64_e32 vcc_lo, s[14:15], v[23:24]
	s_or_not1_b32 s0, vcc_lo, exec_lo
.LBB184_112:
	s_or_b32 exec_lo, exec_lo, s7
.LBB184_113:
	s_delay_alu instid0(SALU_CYCLE_1)
	s_and_b32 s26, s0, exec_lo
.LBB184_114:
	s_or_b32 exec_lo, exec_lo, s27
	v_or_b32_e32 v19, 6, v39
	s_mov_b32 s7, exec_lo
	s_delay_alu instid0(VALU_DEP_1)
	v_cmpx_gt_u32_e64 s12, v19
	s_cbranch_execz .LBB184_125
; %bb.115:
	v_cmp_ne_u32_e32 vcc_lo, 1, v26
	s_mov_b32 s0, 0
	s_cbranch_vccnz .LBB184_124
; %bb.116:
	v_mad_u64_u32 v[19:20], null, v7, s14, s[16:17]
	s_waitcnt lgkmcnt(0)
	v_mul_lo_u32 v23, v7, s15
	v_mul_lo_u32 v24, v8, s14
	v_mad_u64_u32 v[21:22], null, v1, s14, s[16:17]
	v_mul_lo_u32 v25, v1, s15
	v_mul_lo_u32 v27, v2, s14
	s_mov_b32 s0, -1
	s_mov_b32 s6, exec_lo
	s_delay_alu instid0(VALU_DEP_4) | instskip(NEXT) | instid1(VALU_DEP_2)
	v_add3_u32 v20, v24, v20, v23
	v_add3_u32 v22, v27, v22, v25
	s_clause 0x1
	global_load_u8 v23, v[19:20], off
	global_load_u8 v24, v[21:22], off
	s_waitcnt vmcnt(0)
	v_cmpx_eq_u16_e64 v23, v24
	s_cbranch_execz .LBB184_123
; %bb.117:
	s_mov_b64 s[0:1], 1
	s_mov_b32 s27, 0
                                        ; implicit-def: $sgpr28
	s_set_inst_prefetch_distance 0x1
	s_branch .LBB184_120
	.p2align	6
.LBB184_118:                            ;   in Loop: Header=BB184_120 Depth=1
	v_add_co_u32 v23, vcc_lo, v19, s0
	v_add_co_ci_u32_e32 v24, vcc_lo, s1, v20, vcc_lo
	v_add_co_u32 v27, vcc_lo, v21, s0
	v_add_co_ci_u32_e32 v28, vcc_lo, s1, v22, vcc_lo
	s_add_u32 s4, s0, 1
	s_clause 0x1
	global_load_u8 v23, v[23:24], off
	global_load_u8 v24, v[27:28], off
	s_addc_u32 s5, s1, 0
	s_and_not1_b32 s28, s28, exec_lo
	s_waitcnt vmcnt(0)
	v_cmp_ne_u16_e32 vcc_lo, v23, v24
	s_and_b32 s29, vcc_lo, exec_lo
	s_delay_alu instid0(SALU_CYCLE_1)
	s_or_b32 s28, s28, s29
.LBB184_119:                            ;   in Loop: Header=BB184_120 Depth=1
	v_dual_mov_b32 v24, s1 :: v_dual_mov_b32 v23, s0
	s_and_b32 s29, exec_lo, s28
	s_mov_b64 s[0:1], s[4:5]
	s_or_b32 s27, s29, s27
	s_delay_alu instid0(SALU_CYCLE_1)
	s_and_not1_b32 exec_lo, exec_lo, s27
	s_cbranch_execz .LBB184_122
.LBB184_120:                            ; =>This Inner Loop Header: Depth=1
	s_or_b32 s28, s28, exec_lo
	s_cmp_eq_u64 s[14:15], s[0:1]
	s_cbranch_scc0 .LBB184_118
; %bb.121:                              ;   in Loop: Header=BB184_120 Depth=1
	s_mov_b64 s[0:1], s[14:15]
                                        ; implicit-def: $sgpr4_sgpr5
	s_branch .LBB184_119
.LBB184_122:
	s_set_inst_prefetch_distance 0x2
	s_or_b32 exec_lo, exec_lo, s27
	v_cmp_gt_i64_e32 vcc_lo, s[14:15], v[23:24]
	s_or_not1_b32 s0, vcc_lo, exec_lo
.LBB184_123:
	s_or_b32 exec_lo, exec_lo, s6
.LBB184_124:
	s_delay_alu instid0(SALU_CYCLE_1)
	s_and_b32 s6, s0, exec_lo
.LBB184_125:
	s_or_b32 exec_lo, exec_lo, s7
	v_or_b32_e32 v19, 5, v39
	s_mov_b32 s27, 0
	s_mov_b32 s7, 0
	s_mov_b32 s28, exec_lo
	s_delay_alu instid0(VALU_DEP_1)
	v_cmpx_gt_u32_e64 s12, v19
	s_cbranch_execz .LBB184_136
; %bb.126:
	v_cmp_ne_u32_e32 vcc_lo, 1, v26
	s_mov_b32 s0, 0
	s_cbranch_vccnz .LBB184_135
; %bb.127:
	v_mad_u64_u32 v[19:20], null, v5, s14, s[16:17]
	s_waitcnt lgkmcnt(0)
	v_mul_lo_u32 v23, v5, s15
	v_mul_lo_u32 v24, v6, s14
	v_mad_u64_u32 v[21:22], null, v7, s14, s[16:17]
	v_mul_lo_u32 v25, v7, s15
	v_mul_lo_u32 v27, v8, s14
	s_mov_b32 s0, -1
	s_mov_b32 s7, exec_lo
	s_delay_alu instid0(VALU_DEP_4) | instskip(NEXT) | instid1(VALU_DEP_2)
	v_add3_u32 v20, v24, v20, v23
	v_add3_u32 v22, v27, v22, v25
	s_clause 0x1
	global_load_u8 v23, v[19:20], off
	global_load_u8 v24, v[21:22], off
	s_waitcnt vmcnt(0)
	v_cmpx_eq_u16_e64 v23, v24
	s_cbranch_execz .LBB184_134
; %bb.128:
	s_mov_b64 s[0:1], 1
	s_mov_b32 s29, 0
                                        ; implicit-def: $sgpr30
	s_set_inst_prefetch_distance 0x1
	s_branch .LBB184_131
	.p2align	6
.LBB184_129:                            ;   in Loop: Header=BB184_131 Depth=1
	v_add_co_u32 v23, vcc_lo, v19, s0
	v_add_co_ci_u32_e32 v24, vcc_lo, s1, v20, vcc_lo
	v_add_co_u32 v27, vcc_lo, v21, s0
	v_add_co_ci_u32_e32 v28, vcc_lo, s1, v22, vcc_lo
	s_add_u32 s4, s0, 1
	s_clause 0x1
	global_load_u8 v23, v[23:24], off
	global_load_u8 v24, v[27:28], off
	s_addc_u32 s5, s1, 0
	s_and_not1_b32 s30, s30, exec_lo
	s_waitcnt vmcnt(0)
	v_cmp_ne_u16_e32 vcc_lo, v23, v24
	s_and_b32 s31, vcc_lo, exec_lo
	s_delay_alu instid0(SALU_CYCLE_1)
	s_or_b32 s30, s30, s31
.LBB184_130:                            ;   in Loop: Header=BB184_131 Depth=1
	v_dual_mov_b32 v24, s1 :: v_dual_mov_b32 v23, s0
	s_and_b32 s31, exec_lo, s30
	s_mov_b64 s[0:1], s[4:5]
	s_or_b32 s29, s31, s29
	s_delay_alu instid0(SALU_CYCLE_1)
	s_and_not1_b32 exec_lo, exec_lo, s29
	s_cbranch_execz .LBB184_133
.LBB184_131:                            ; =>This Inner Loop Header: Depth=1
	s_or_b32 s30, s30, exec_lo
	s_cmp_eq_u64 s[14:15], s[0:1]
	s_cbranch_scc0 .LBB184_129
; %bb.132:                              ;   in Loop: Header=BB184_131 Depth=1
	s_mov_b64 s[0:1], s[14:15]
                                        ; implicit-def: $sgpr4_sgpr5
	s_branch .LBB184_130
.LBB184_133:
	s_set_inst_prefetch_distance 0x2
	s_or_b32 exec_lo, exec_lo, s29
	v_cmp_gt_i64_e32 vcc_lo, s[14:15], v[23:24]
	s_or_not1_b32 s0, vcc_lo, exec_lo
.LBB184_134:
	s_or_b32 exec_lo, exec_lo, s7
.LBB184_135:
	s_delay_alu instid0(SALU_CYCLE_1)
	s_and_b32 s7, s0, exec_lo
.LBB184_136:
	s_or_b32 exec_lo, exec_lo, s28
	v_or_b32_e32 v19, 4, v39
	s_mov_b32 s28, exec_lo
	s_delay_alu instid0(VALU_DEP_1)
	v_cmpx_gt_u32_e64 s12, v19
	s_cbranch_execz .LBB184_147
; %bb.137:
	v_cmp_ne_u32_e32 vcc_lo, 1, v26
	s_mov_b32 s0, 0
	s_cbranch_vccnz .LBB184_146
; %bb.138:
	v_mad_u64_u32 v[19:20], null, v11, s14, s[16:17]
	s_waitcnt lgkmcnt(0)
	v_mul_lo_u32 v23, v11, s15
	v_mul_lo_u32 v24, v12, s14
	v_mad_u64_u32 v[21:22], null, v5, s14, s[16:17]
	v_mul_lo_u32 v25, v5, s15
	v_mul_lo_u32 v27, v6, s14
	s_mov_b32 s0, -1
	s_mov_b32 s27, exec_lo
	s_delay_alu instid0(VALU_DEP_4) | instskip(NEXT) | instid1(VALU_DEP_2)
	v_add3_u32 v20, v24, v20, v23
	v_add3_u32 v22, v27, v22, v25
	s_clause 0x1
	global_load_u8 v23, v[19:20], off
	global_load_u8 v24, v[21:22], off
	s_waitcnt vmcnt(0)
	v_cmpx_eq_u16_e64 v23, v24
	s_cbranch_execz .LBB184_145
; %bb.139:
	s_mov_b64 s[0:1], 1
	s_mov_b32 s29, 0
                                        ; implicit-def: $sgpr30
	s_set_inst_prefetch_distance 0x1
	s_branch .LBB184_142
	.p2align	6
.LBB184_140:                            ;   in Loop: Header=BB184_142 Depth=1
	v_add_co_u32 v23, vcc_lo, v19, s0
	v_add_co_ci_u32_e32 v24, vcc_lo, s1, v20, vcc_lo
	v_add_co_u32 v27, vcc_lo, v21, s0
	v_add_co_ci_u32_e32 v28, vcc_lo, s1, v22, vcc_lo
	s_add_u32 s4, s0, 1
	s_clause 0x1
	global_load_u8 v23, v[23:24], off
	global_load_u8 v24, v[27:28], off
	s_addc_u32 s5, s1, 0
	s_and_not1_b32 s30, s30, exec_lo
	s_waitcnt vmcnt(0)
	v_cmp_ne_u16_e32 vcc_lo, v23, v24
	s_and_b32 s31, vcc_lo, exec_lo
	s_delay_alu instid0(SALU_CYCLE_1)
	s_or_b32 s30, s30, s31
.LBB184_141:                            ;   in Loop: Header=BB184_142 Depth=1
	v_dual_mov_b32 v24, s1 :: v_dual_mov_b32 v23, s0
	s_and_b32 s31, exec_lo, s30
	s_mov_b64 s[0:1], s[4:5]
	s_or_b32 s29, s31, s29
	s_delay_alu instid0(SALU_CYCLE_1)
	s_and_not1_b32 exec_lo, exec_lo, s29
	s_cbranch_execz .LBB184_144
.LBB184_142:                            ; =>This Inner Loop Header: Depth=1
	s_or_b32 s30, s30, exec_lo
	s_cmp_eq_u64 s[14:15], s[0:1]
	s_cbranch_scc0 .LBB184_140
; %bb.143:                              ;   in Loop: Header=BB184_142 Depth=1
	s_mov_b64 s[0:1], s[14:15]
                                        ; implicit-def: $sgpr4_sgpr5
	s_branch .LBB184_141
.LBB184_144:
	s_set_inst_prefetch_distance 0x2
	s_or_b32 exec_lo, exec_lo, s29
	v_cmp_gt_i64_e32 vcc_lo, s[14:15], v[23:24]
	s_or_not1_b32 s0, vcc_lo, exec_lo
.LBB184_145:
	s_or_b32 exec_lo, exec_lo, s27
.LBB184_146:
	s_delay_alu instid0(SALU_CYCLE_1)
	s_and_b32 s27, s0, exec_lo
.LBB184_147:
	s_or_b32 exec_lo, exec_lo, s28
	v_or_b32_e32 v19, 3, v39
	s_mov_b32 s29, 0
	s_mov_b32 s28, 0
	s_mov_b32 s30, exec_lo
	s_delay_alu instid0(VALU_DEP_1)
	v_cmpx_gt_u32_e64 s12, v19
	s_cbranch_execz .LBB184_158
; %bb.148:
	v_cmp_ne_u32_e32 vcc_lo, 1, v26
	s_mov_b32 s0, 0
	s_cbranch_vccnz .LBB184_157
; %bb.149:
	v_mad_u64_u32 v[19:20], null, v9, s14, s[16:17]
	s_waitcnt lgkmcnt(0)
	v_mul_lo_u32 v23, v9, s15
	v_mul_lo_u32 v24, v10, s14
	v_mad_u64_u32 v[21:22], null, v11, s14, s[16:17]
	v_mul_lo_u32 v25, v11, s15
	v_mul_lo_u32 v27, v12, s14
	s_mov_b32 s0, -1
	s_mov_b32 s28, exec_lo
	s_delay_alu instid0(VALU_DEP_4) | instskip(NEXT) | instid1(VALU_DEP_2)
	v_add3_u32 v20, v24, v20, v23
	v_add3_u32 v22, v27, v22, v25
	s_clause 0x1
	global_load_u8 v23, v[19:20], off
	global_load_u8 v24, v[21:22], off
	s_waitcnt vmcnt(0)
	v_cmpx_eq_u16_e64 v23, v24
	s_cbranch_execz .LBB184_156
; %bb.150:
	s_mov_b64 s[0:1], 1
	s_mov_b32 s31, 0
                                        ; implicit-def: $sgpr33
	s_set_inst_prefetch_distance 0x1
	s_branch .LBB184_153
	.p2align	6
.LBB184_151:                            ;   in Loop: Header=BB184_153 Depth=1
	v_add_co_u32 v23, vcc_lo, v19, s0
	v_add_co_ci_u32_e32 v24, vcc_lo, s1, v20, vcc_lo
	v_add_co_u32 v27, vcc_lo, v21, s0
	v_add_co_ci_u32_e32 v28, vcc_lo, s1, v22, vcc_lo
	s_add_u32 s4, s0, 1
	s_clause 0x1
	global_load_u8 v23, v[23:24], off
	global_load_u8 v24, v[27:28], off
	s_addc_u32 s5, s1, 0
	s_and_not1_b32 s33, s33, exec_lo
	s_waitcnt vmcnt(0)
	v_cmp_ne_u16_e32 vcc_lo, v23, v24
	s_and_b32 s34, vcc_lo, exec_lo
	s_delay_alu instid0(SALU_CYCLE_1)
	s_or_b32 s33, s33, s34
.LBB184_152:                            ;   in Loop: Header=BB184_153 Depth=1
	v_dual_mov_b32 v24, s1 :: v_dual_mov_b32 v23, s0
	s_and_b32 s34, exec_lo, s33
	s_mov_b64 s[0:1], s[4:5]
	s_or_b32 s31, s34, s31
	s_delay_alu instid0(SALU_CYCLE_1)
	s_and_not1_b32 exec_lo, exec_lo, s31
	s_cbranch_execz .LBB184_155
.LBB184_153:                            ; =>This Inner Loop Header: Depth=1
	s_or_b32 s33, s33, exec_lo
	s_cmp_eq_u64 s[14:15], s[0:1]
	s_cbranch_scc0 .LBB184_151
; %bb.154:                              ;   in Loop: Header=BB184_153 Depth=1
	s_mov_b64 s[0:1], s[14:15]
                                        ; implicit-def: $sgpr4_sgpr5
	s_branch .LBB184_152
.LBB184_155:
	s_set_inst_prefetch_distance 0x2
	s_or_b32 exec_lo, exec_lo, s31
	v_cmp_gt_i64_e32 vcc_lo, s[14:15], v[23:24]
	s_or_not1_b32 s0, vcc_lo, exec_lo
.LBB184_156:
	s_or_b32 exec_lo, exec_lo, s28
.LBB184_157:
	s_delay_alu instid0(SALU_CYCLE_1)
	s_and_b32 s28, s0, exec_lo
.LBB184_158:
	s_or_b32 exec_lo, exec_lo, s30
	v_or_b32_e32 v19, 2, v39
	s_mov_b32 s30, exec_lo
	s_delay_alu instid0(VALU_DEP_1)
	v_cmpx_gt_u32_e64 s12, v19
	s_cbranch_execz .LBB184_169
; %bb.159:
	v_cmp_ne_u32_e32 vcc_lo, 1, v26
	s_mov_b32 s0, 0
	s_cbranch_vccnz .LBB184_168
; %bb.160:
	v_mad_u64_u32 v[19:20], null, v15, s14, s[16:17]
	s_waitcnt lgkmcnt(0)
	v_mul_lo_u32 v23, v15, s15
	v_mul_lo_u32 v24, v16, s14
	v_mad_u64_u32 v[21:22], null, v9, s14, s[16:17]
	v_mul_lo_u32 v25, v9, s15
	v_mul_lo_u32 v27, v10, s14
	s_mov_b32 s0, -1
	s_mov_b32 s29, exec_lo
	s_delay_alu instid0(VALU_DEP_4) | instskip(NEXT) | instid1(VALU_DEP_2)
	v_add3_u32 v20, v24, v20, v23
	v_add3_u32 v22, v27, v22, v25
	s_clause 0x1
	global_load_u8 v23, v[19:20], off
	global_load_u8 v24, v[21:22], off
	s_waitcnt vmcnt(0)
	v_cmpx_eq_u16_e64 v23, v24
	s_cbranch_execz .LBB184_167
; %bb.161:
	s_mov_b64 s[0:1], 1
	s_mov_b32 s31, 0
                                        ; implicit-def: $sgpr33
	s_set_inst_prefetch_distance 0x1
	s_branch .LBB184_164
	.p2align	6
.LBB184_162:                            ;   in Loop: Header=BB184_164 Depth=1
	v_add_co_u32 v23, vcc_lo, v19, s0
	v_add_co_ci_u32_e32 v24, vcc_lo, s1, v20, vcc_lo
	v_add_co_u32 v27, vcc_lo, v21, s0
	v_add_co_ci_u32_e32 v28, vcc_lo, s1, v22, vcc_lo
	s_add_u32 s4, s0, 1
	s_clause 0x1
	global_load_u8 v23, v[23:24], off
	global_load_u8 v24, v[27:28], off
	s_addc_u32 s5, s1, 0
	s_and_not1_b32 s33, s33, exec_lo
	s_waitcnt vmcnt(0)
	v_cmp_ne_u16_e32 vcc_lo, v23, v24
	s_and_b32 s34, vcc_lo, exec_lo
	s_delay_alu instid0(SALU_CYCLE_1)
	s_or_b32 s33, s33, s34
.LBB184_163:                            ;   in Loop: Header=BB184_164 Depth=1
	v_dual_mov_b32 v24, s1 :: v_dual_mov_b32 v23, s0
	s_and_b32 s34, exec_lo, s33
	s_mov_b64 s[0:1], s[4:5]
	s_or_b32 s31, s34, s31
	s_delay_alu instid0(SALU_CYCLE_1)
	s_and_not1_b32 exec_lo, exec_lo, s31
	s_cbranch_execz .LBB184_166
.LBB184_164:                            ; =>This Inner Loop Header: Depth=1
	s_or_b32 s33, s33, exec_lo
	s_cmp_eq_u64 s[14:15], s[0:1]
	s_cbranch_scc0 .LBB184_162
; %bb.165:                              ;   in Loop: Header=BB184_164 Depth=1
	s_mov_b64 s[0:1], s[14:15]
                                        ; implicit-def: $sgpr4_sgpr5
	s_branch .LBB184_163
.LBB184_166:
	s_set_inst_prefetch_distance 0x2
	s_or_b32 exec_lo, exec_lo, s31
	v_cmp_gt_i64_e32 vcc_lo, s[14:15], v[23:24]
	s_or_not1_b32 s0, vcc_lo, exec_lo
.LBB184_167:
	s_or_b32 exec_lo, exec_lo, s29
.LBB184_168:
	s_delay_alu instid0(SALU_CYCLE_1)
	s_and_b32 s29, s0, exec_lo
.LBB184_169:
	s_or_b32 exec_lo, exec_lo, s30
	v_or_b32_e32 v19, 1, v39
	s_mov_b32 s0, 0
	s_mov_b32 s30, exec_lo
	s_delay_alu instid0(VALU_DEP_1)
	v_cmpx_gt_u32_e64 s12, v19
	s_cbranch_execz .LBB184_180
; %bb.170:
	v_cmp_ne_u32_e32 vcc_lo, 1, v26
	s_cbranch_vccnz .LBB184_179
; %bb.171:
	v_mad_u64_u32 v[19:20], null, v13, s14, s[16:17]
	s_waitcnt lgkmcnt(0)
	v_mul_lo_u32 v23, v13, s15
	v_mul_lo_u32 v24, v14, s14
	v_mad_u64_u32 v[21:22], null, v15, s14, s[16:17]
	v_mul_lo_u32 v25, v15, s15
	v_mul_lo_u32 v27, v16, s14
	s_mov_b32 s0, -1
	s_mov_b32 s31, exec_lo
	s_delay_alu instid0(VALU_DEP_4) | instskip(NEXT) | instid1(VALU_DEP_2)
	v_add3_u32 v20, v24, v20, v23
	v_add3_u32 v22, v27, v22, v25
	s_clause 0x1
	global_load_u8 v23, v[19:20], off
	global_load_u8 v24, v[21:22], off
	s_waitcnt vmcnt(0)
	v_cmpx_eq_u16_e64 v23, v24
	s_cbranch_execz .LBB184_178
; %bb.172:
	s_mov_b64 s[0:1], 1
	s_mov_b32 s33, 0
                                        ; implicit-def: $sgpr34
	s_set_inst_prefetch_distance 0x1
	s_branch .LBB184_175
	.p2align	6
.LBB184_173:                            ;   in Loop: Header=BB184_175 Depth=1
	v_add_co_u32 v23, vcc_lo, v19, s0
	v_add_co_ci_u32_e32 v24, vcc_lo, s1, v20, vcc_lo
	v_add_co_u32 v27, vcc_lo, v21, s0
	v_add_co_ci_u32_e32 v28, vcc_lo, s1, v22, vcc_lo
	s_add_u32 s4, s0, 1
	s_clause 0x1
	global_load_u8 v23, v[23:24], off
	global_load_u8 v24, v[27:28], off
	s_addc_u32 s5, s1, 0
	s_and_not1_b32 s34, s34, exec_lo
	s_waitcnt vmcnt(0)
	v_cmp_ne_u16_e32 vcc_lo, v23, v24
	s_and_b32 s35, vcc_lo, exec_lo
	s_delay_alu instid0(SALU_CYCLE_1)
	s_or_b32 s34, s34, s35
.LBB184_174:                            ;   in Loop: Header=BB184_175 Depth=1
	v_dual_mov_b32 v24, s1 :: v_dual_mov_b32 v23, s0
	s_and_b32 s35, exec_lo, s34
	s_mov_b64 s[0:1], s[4:5]
	s_or_b32 s33, s35, s33
	s_delay_alu instid0(SALU_CYCLE_1)
	s_and_not1_b32 exec_lo, exec_lo, s33
	s_cbranch_execz .LBB184_177
.LBB184_175:                            ; =>This Inner Loop Header: Depth=1
	s_or_b32 s34, s34, exec_lo
	s_cmp_eq_u64 s[14:15], s[0:1]
	s_cbranch_scc0 .LBB184_173
; %bb.176:                              ;   in Loop: Header=BB184_175 Depth=1
	s_mov_b64 s[0:1], s[14:15]
                                        ; implicit-def: $sgpr4_sgpr5
	s_branch .LBB184_174
.LBB184_177:
	s_set_inst_prefetch_distance 0x2
	s_or_b32 exec_lo, exec_lo, s33
	v_cmp_gt_i64_e32 vcc_lo, s[14:15], v[23:24]
	s_or_not1_b32 s0, vcc_lo, exec_lo
.LBB184_178:
	s_or_b32 exec_lo, exec_lo, s31
.LBB184_179:
	s_delay_alu instid0(SALU_CYCLE_1)
	s_and_b32 s0, s0, exec_lo
.LBB184_180:
	s_or_b32 exec_lo, exec_lo, s30
	s_waitcnt vmcnt(0) lgkmcnt(0)
	s_barrier
	buffer_gl0_inv
	s_and_saveexec_b32 s1, s3
	s_cbranch_execz .LBB184_182
; %bb.181:
	v_add_nc_u32_e32 v17, -8, v39
	ds_load_b64 v[17:18], v17
.LBB184_182:
	s_or_b32 exec_lo, exec_lo, s1
	v_cndmask_b32_e64 v20, 0, 1, s28
	v_cndmask_b32_e64 v22, 0, 1, s7
	;; [unrolled: 1-line block ×7, first 2 shown]
	v_lshlrev_b16 v20, 8, v20
	v_lshlrev_b16 v22, 8, v22
	;; [unrolled: 1-line block ×3, first 2 shown]
	s_mov_b32 s0, 0
	v_lshlrev_b16 v25, 8, v25
	v_or_b32_e32 v19, v19, v20
	v_or_b32_e32 v20, v21, v22
	;; [unrolled: 1-line block ×3, first 2 shown]
	s_mov_b32 s6, exec_lo
	v_and_b32_e32 v23, 0xffff, v25
	v_lshlrev_b32_e32 v24, 16, v19
	v_and_b32_e32 v25, 0xffff, v20
	v_lshlrev_b32_e32 v27, 16, v21
	v_cmpx_gt_u32_e64 s12, v39
	s_cbranch_execz .LBB184_193
; %bb.183:
	v_cmp_ne_u32_e32 vcc_lo, 1, v26
	s_cbranch_vccnz .LBB184_192
; %bb.184:
	s_waitcnt lgkmcnt(0)
	v_mad_u64_u32 v[19:20], null, v17, s14, s[16:17]
	v_mul_lo_u32 v21, v17, s15
	v_mul_lo_u32 v22, v18, s14
	v_mad_u64_u32 v[17:18], null, v13, s14, s[16:17]
	v_mul_lo_u32 v26, v13, s15
	v_mul_lo_u32 v28, v14, s14
	s_mov_b32 s0, -1
	s_mov_b32 s7, exec_lo
	s_delay_alu instid0(VALU_DEP_4) | instskip(NEXT) | instid1(VALU_DEP_2)
	v_add3_u32 v20, v22, v20, v21
	v_add3_u32 v18, v28, v18, v26
	s_clause 0x1
	global_load_u8 v21, v[19:20], off
	global_load_u8 v22, v[17:18], off
	s_waitcnt vmcnt(0)
	v_cmpx_eq_u16_e64 v21, v22
	s_cbranch_execz .LBB184_191
; %bb.185:
	s_mov_b64 s[0:1], 1
	s_mov_b32 s26, 0
                                        ; implicit-def: $sgpr27
	s_set_inst_prefetch_distance 0x1
	s_branch .LBB184_188
	.p2align	6
.LBB184_186:                            ;   in Loop: Header=BB184_188 Depth=1
	v_add_co_u32 v21, vcc_lo, v19, s0
	v_add_co_ci_u32_e32 v22, vcc_lo, s1, v20, vcc_lo
	v_add_co_u32 v28, vcc_lo, v17, s0
	v_add_co_ci_u32_e32 v29, vcc_lo, s1, v18, vcc_lo
	s_add_u32 s4, s0, 1
	s_clause 0x1
	global_load_u8 v21, v[21:22], off
	global_load_u8 v22, v[28:29], off
	s_addc_u32 s5, s1, 0
	s_and_not1_b32 s27, s27, exec_lo
	s_waitcnt vmcnt(0)
	v_cmp_ne_u16_e32 vcc_lo, v21, v22
	s_and_b32 s28, vcc_lo, exec_lo
	s_delay_alu instid0(SALU_CYCLE_1)
	s_or_b32 s27, s27, s28
.LBB184_187:                            ;   in Loop: Header=BB184_188 Depth=1
	v_dual_mov_b32 v22, s1 :: v_dual_mov_b32 v21, s0
	s_and_b32 s28, exec_lo, s27
	s_mov_b64 s[0:1], s[4:5]
	s_or_b32 s26, s28, s26
	s_delay_alu instid0(SALU_CYCLE_1)
	s_and_not1_b32 exec_lo, exec_lo, s26
	s_cbranch_execz .LBB184_190
.LBB184_188:                            ; =>This Inner Loop Header: Depth=1
	s_or_b32 s27, s27, exec_lo
	s_cmp_eq_u64 s[14:15], s[0:1]
	s_cbranch_scc0 .LBB184_186
; %bb.189:                              ;   in Loop: Header=BB184_188 Depth=1
	s_mov_b64 s[0:1], s[14:15]
                                        ; implicit-def: $sgpr4_sgpr5
	s_branch .LBB184_187
.LBB184_190:
	s_set_inst_prefetch_distance 0x2
	s_or_b32 exec_lo, exec_lo, s26
	v_cmp_gt_i64_e32 vcc_lo, s[14:15], v[21:22]
	s_or_not1_b32 s0, vcc_lo, exec_lo
.LBB184_191:
	s_or_b32 exec_lo, exec_lo, s7
.LBB184_192:
	s_delay_alu instid0(SALU_CYCLE_1)
	s_and_b32 s0, s0, exec_lo
.LBB184_193:
	s_or_b32 exec_lo, exec_lo, s6
	v_or_b32_e32 v19, v23, v24
	v_or_b32_e32 v20, v25, v27
.LBB184_194:
	s_mov_b32 s6, -1
	s_cbranch_execnz .LBB184_363
.LBB184_195:
	v_cmp_gt_i64_e64 s7, s[14:15], 0
	s_and_b32 vcc_lo, exec_lo, s22
	ds_store_b64 v39, v[3:4]
	s_cbranch_vccz .LBB184_203
; %bb.196:
	v_mul_lo_u32 v19, v2, s14
	v_mul_lo_u32 v20, v1, s15
	s_waitcnt vmcnt(0) lgkmcnt(1)
	v_mad_u64_u32 v[17:18], null, v1, s14, 0
	s_mov_b32 s26, 0
	s_and_not1_b32 vcc_lo, exec_lo, s7
	s_mov_b32 s27, 0
	s_delay_alu instid0(VALU_DEP_1)
	v_add3_u32 v24, v18, v20, v19
	s_cbranch_vccnz .LBB184_206
; %bb.197:
	v_mad_u64_u32 v[18:19], null, v3, s14, s[16:17]
	v_mul_lo_u32 v22, v3, s15
	v_mul_lo_u32 v23, v4, s14
	v_add_co_u32 v20, vcc_lo, s16, v17
	v_add_co_ci_u32_e32 v21, vcc_lo, s17, v24, vcc_lo
	s_mov_b32 s27, -1
	s_mov_b32 s28, exec_lo
	s_delay_alu instid0(VALU_DEP_3)
	v_add3_u32 v19, v23, v19, v22
	s_clause 0x1
	global_load_u8 v22, v[20:21], off
	global_load_u8 v23, v[18:19], off
	s_waitcnt vmcnt(0)
	v_cmpx_eq_u16_e64 v22, v23
	s_cbranch_execz .LBB184_205
; %bb.198:
	s_mov_b64 s[0:1], 1
	s_mov_b32 s27, 0
                                        ; implicit-def: $sgpr29
	s_set_inst_prefetch_distance 0x1
	s_branch .LBB184_201
	.p2align	6
.LBB184_199:                            ;   in Loop: Header=BB184_201 Depth=1
	v_add_co_u32 v22, vcc_lo, v20, s0
	v_add_co_ci_u32_e32 v23, vcc_lo, s1, v21, vcc_lo
	v_add_co_u32 v25, vcc_lo, v18, s0
	v_add_co_ci_u32_e32 v26, vcc_lo, s1, v19, vcc_lo
	s_add_u32 s4, s0, 1
	s_clause 0x1
	global_load_u8 v22, v[22:23], off
	global_load_u8 v23, v[25:26], off
	s_addc_u32 s5, s1, 0
	s_and_not1_b32 s29, s29, exec_lo
	s_waitcnt vmcnt(0)
	v_cmp_ne_u16_e32 vcc_lo, v22, v23
	s_and_b32 s30, vcc_lo, exec_lo
	s_delay_alu instid0(SALU_CYCLE_1)
	s_or_b32 s29, s29, s30
.LBB184_200:                            ;   in Loop: Header=BB184_201 Depth=1
	v_dual_mov_b32 v23, s1 :: v_dual_mov_b32 v22, s0
	s_and_b32 s30, exec_lo, s29
	s_mov_b64 s[0:1], s[4:5]
	s_or_b32 s27, s30, s27
	s_delay_alu instid0(SALU_CYCLE_1)
	s_and_not1_b32 exec_lo, exec_lo, s27
	s_cbranch_execz .LBB184_204
.LBB184_201:                            ; =>This Inner Loop Header: Depth=1
	s_or_b32 s29, s29, exec_lo
	s_cmp_eq_u64 s[14:15], s[0:1]
	s_cbranch_scc0 .LBB184_199
; %bb.202:                              ;   in Loop: Header=BB184_201 Depth=1
	s_mov_b64 s[0:1], s[14:15]
                                        ; implicit-def: $sgpr4_sgpr5
	s_branch .LBB184_200
.LBB184_203:
                                        ; implicit-def: $sgpr0
                                        ; implicit-def: $vgpr20
	s_cbranch_execnz .LBB184_272
	s_branch .LBB184_363
.LBB184_204:
	s_set_inst_prefetch_distance 0x2
	s_or_b32 exec_lo, exec_lo, s27
	v_cmp_gt_i64_e32 vcc_lo, s[14:15], v[22:23]
	s_or_not1_b32 s27, vcc_lo, exec_lo
.LBB184_205:
	s_or_b32 exec_lo, exec_lo, s28
.LBB184_206:
	v_mul_lo_u32 v18, v8, s14
	v_mul_lo_u32 v21, v7, s15
	v_mad_u64_u32 v[19:20], null, v7, s14, 0
	s_and_not1_b32 vcc_lo, exec_lo, s7
	s_delay_alu instid0(VALU_DEP_1)
	v_add3_u32 v25, v20, v21, v18
	s_cbranch_vccnz .LBB184_215
; %bb.207:
	s_delay_alu instid0(VALU_DEP_2) | instskip(NEXT) | instid1(VALU_DEP_2)
	v_add_co_u32 v20, vcc_lo, s16, v19
	v_add_co_ci_u32_e32 v21, vcc_lo, s17, v25, vcc_lo
	v_add_co_u32 v17, vcc_lo, s16, v17
	v_add_co_ci_u32_e32 v18, vcc_lo, s17, v24, vcc_lo
	s_mov_b32 s26, -1
	s_clause 0x1
	global_load_u8 v22, v[20:21], off
	global_load_u8 v23, v[17:18], off
	s_mov_b32 s28, exec_lo
	s_waitcnt vmcnt(0)
	v_cmpx_eq_u16_e64 v22, v23
	s_cbranch_execz .LBB184_214
; %bb.208:
	s_mov_b64 s[0:1], 1
	s_mov_b32 s26, 0
                                        ; implicit-def: $sgpr29
	s_set_inst_prefetch_distance 0x1
	s_branch .LBB184_211
	.p2align	6
.LBB184_209:                            ;   in Loop: Header=BB184_211 Depth=1
	v_add_co_u32 v22, vcc_lo, v20, s0
	v_add_co_ci_u32_e32 v23, vcc_lo, s1, v21, vcc_lo
	v_add_co_u32 v26, vcc_lo, v17, s0
	v_add_co_ci_u32_e32 v27, vcc_lo, s1, v18, vcc_lo
	s_add_u32 s4, s0, 1
	s_clause 0x1
	global_load_u8 v22, v[22:23], off
	global_load_u8 v23, v[26:27], off
	s_addc_u32 s5, s1, 0
	s_and_not1_b32 s29, s29, exec_lo
	s_waitcnt vmcnt(0)
	v_cmp_ne_u16_e32 vcc_lo, v22, v23
	s_and_b32 s30, vcc_lo, exec_lo
	s_delay_alu instid0(SALU_CYCLE_1)
	s_or_b32 s29, s29, s30
.LBB184_210:                            ;   in Loop: Header=BB184_211 Depth=1
	v_dual_mov_b32 v23, s1 :: v_dual_mov_b32 v22, s0
	s_and_b32 s30, exec_lo, s29
	s_mov_b64 s[0:1], s[4:5]
	s_or_b32 s26, s30, s26
	s_delay_alu instid0(SALU_CYCLE_1)
	s_and_not1_b32 exec_lo, exec_lo, s26
	s_cbranch_execz .LBB184_213
.LBB184_211:                            ; =>This Inner Loop Header: Depth=1
	s_or_b32 s29, s29, exec_lo
	s_cmp_eq_u64 s[14:15], s[0:1]
	s_cbranch_scc0 .LBB184_209
; %bb.212:                              ;   in Loop: Header=BB184_211 Depth=1
	s_mov_b64 s[0:1], s[14:15]
                                        ; implicit-def: $sgpr4_sgpr5
	s_branch .LBB184_210
.LBB184_213:
	s_set_inst_prefetch_distance 0x2
	s_or_b32 exec_lo, exec_lo, s26
	v_cmp_gt_i64_e32 vcc_lo, s[14:15], v[22:23]
	s_or_not1_b32 s26, vcc_lo, exec_lo
.LBB184_214:
	s_or_b32 exec_lo, exec_lo, s28
.LBB184_215:
	v_mul_lo_u32 v20, v6, s14
	v_mul_lo_u32 v21, v5, s15
	v_mad_u64_u32 v[17:18], null, v5, s14, 0
	s_mov_b32 s28, 0
	s_and_not1_b32 vcc_lo, exec_lo, s7
	s_mov_b32 s29, 0
	s_delay_alu instid0(VALU_DEP_1)
	v_add3_u32 v26, v18, v21, v20
	s_cbranch_vccnz .LBB184_224
; %bb.216:
	s_delay_alu instid0(VALU_DEP_2) | instskip(NEXT) | instid1(VALU_DEP_2)
	v_add_co_u32 v20, vcc_lo, s16, v17
	v_add_co_ci_u32_e32 v21, vcc_lo, s17, v26, vcc_lo
	v_add_co_u32 v18, vcc_lo, s16, v19
	v_add_co_ci_u32_e32 v19, vcc_lo, s17, v25, vcc_lo
	s_mov_b32 s29, -1
	s_clause 0x1
	global_load_u8 v22, v[20:21], off
	global_load_u8 v23, v[18:19], off
	s_mov_b32 s30, exec_lo
	s_waitcnt vmcnt(0)
	v_cmpx_eq_u16_e64 v22, v23
	s_cbranch_execz .LBB184_223
; %bb.217:
	s_mov_b64 s[0:1], 1
	s_mov_b32 s29, 0
                                        ; implicit-def: $sgpr31
	s_set_inst_prefetch_distance 0x1
	s_branch .LBB184_220
	.p2align	6
.LBB184_218:                            ;   in Loop: Header=BB184_220 Depth=1
	v_add_co_u32 v22, vcc_lo, v20, s0
	v_add_co_ci_u32_e32 v23, vcc_lo, s1, v21, vcc_lo
	v_add_co_u32 v24, vcc_lo, v18, s0
	v_add_co_ci_u32_e32 v25, vcc_lo, s1, v19, vcc_lo
	s_add_u32 s4, s0, 1
	s_clause 0x1
	global_load_u8 v22, v[22:23], off
	global_load_u8 v23, v[24:25], off
	s_addc_u32 s5, s1, 0
	s_and_not1_b32 s31, s31, exec_lo
	s_waitcnt vmcnt(0)
	v_cmp_ne_u16_e32 vcc_lo, v22, v23
	s_and_b32 s33, vcc_lo, exec_lo
	s_delay_alu instid0(SALU_CYCLE_1)
	s_or_b32 s31, s31, s33
.LBB184_219:                            ;   in Loop: Header=BB184_220 Depth=1
	v_dual_mov_b32 v23, s1 :: v_dual_mov_b32 v22, s0
	s_and_b32 s33, exec_lo, s31
	s_mov_b64 s[0:1], s[4:5]
	s_or_b32 s29, s33, s29
	s_delay_alu instid0(SALU_CYCLE_1)
	s_and_not1_b32 exec_lo, exec_lo, s29
	s_cbranch_execz .LBB184_222
.LBB184_220:                            ; =>This Inner Loop Header: Depth=1
	s_or_b32 s31, s31, exec_lo
	s_cmp_eq_u64 s[14:15], s[0:1]
	s_cbranch_scc0 .LBB184_218
; %bb.221:                              ;   in Loop: Header=BB184_220 Depth=1
	s_mov_b64 s[0:1], s[14:15]
                                        ; implicit-def: $sgpr4_sgpr5
	s_branch .LBB184_219
.LBB184_222:
	s_set_inst_prefetch_distance 0x2
	s_or_b32 exec_lo, exec_lo, s29
	v_cmp_gt_i64_e32 vcc_lo, s[14:15], v[22:23]
	s_or_not1_b32 s29, vcc_lo, exec_lo
.LBB184_223:
	s_or_b32 exec_lo, exec_lo, s30
.LBB184_224:
	v_mul_lo_u32 v18, v12, s14
	v_mul_lo_u32 v21, v11, s15
	v_mad_u64_u32 v[19:20], null, v11, s14, 0
	s_and_not1_b32 vcc_lo, exec_lo, s7
	s_delay_alu instid0(VALU_DEP_1)
	v_add3_u32 v24, v20, v21, v18
	s_cbranch_vccnz .LBB184_233
; %bb.225:
	s_delay_alu instid0(VALU_DEP_2) | instskip(NEXT) | instid1(VALU_DEP_2)
	v_add_co_u32 v20, vcc_lo, s16, v19
	v_add_co_ci_u32_e32 v21, vcc_lo, s17, v24, vcc_lo
	v_add_co_u32 v17, vcc_lo, s16, v17
	v_add_co_ci_u32_e32 v18, vcc_lo, s17, v26, vcc_lo
	s_mov_b32 s28, -1
	s_clause 0x1
	global_load_u8 v22, v[20:21], off
	global_load_u8 v23, v[17:18], off
	s_mov_b32 s30, exec_lo
	s_waitcnt vmcnt(0)
	v_cmpx_eq_u16_e64 v22, v23
	s_cbranch_execz .LBB184_232
; %bb.226:
	s_mov_b64 s[0:1], 1
	s_mov_b32 s28, 0
                                        ; implicit-def: $sgpr31
	s_set_inst_prefetch_distance 0x1
	s_branch .LBB184_229
	.p2align	6
.LBB184_227:                            ;   in Loop: Header=BB184_229 Depth=1
	v_add_co_u32 v22, vcc_lo, v20, s0
	v_add_co_ci_u32_e32 v23, vcc_lo, s1, v21, vcc_lo
	v_add_co_u32 v25, vcc_lo, v17, s0
	v_add_co_ci_u32_e32 v26, vcc_lo, s1, v18, vcc_lo
	s_add_u32 s4, s0, 1
	s_clause 0x1
	global_load_u8 v22, v[22:23], off
	global_load_u8 v23, v[25:26], off
	s_addc_u32 s5, s1, 0
	s_and_not1_b32 s31, s31, exec_lo
	s_waitcnt vmcnt(0)
	v_cmp_ne_u16_e32 vcc_lo, v22, v23
	s_and_b32 s33, vcc_lo, exec_lo
	s_delay_alu instid0(SALU_CYCLE_1)
	s_or_b32 s31, s31, s33
.LBB184_228:                            ;   in Loop: Header=BB184_229 Depth=1
	v_dual_mov_b32 v23, s1 :: v_dual_mov_b32 v22, s0
	s_and_b32 s33, exec_lo, s31
	s_mov_b64 s[0:1], s[4:5]
	s_or_b32 s28, s33, s28
	s_delay_alu instid0(SALU_CYCLE_1)
	s_and_not1_b32 exec_lo, exec_lo, s28
	s_cbranch_execz .LBB184_231
.LBB184_229:                            ; =>This Inner Loop Header: Depth=1
	s_or_b32 s31, s31, exec_lo
	s_cmp_eq_u64 s[14:15], s[0:1]
	s_cbranch_scc0 .LBB184_227
; %bb.230:                              ;   in Loop: Header=BB184_229 Depth=1
	s_mov_b64 s[0:1], s[14:15]
                                        ; implicit-def: $sgpr4_sgpr5
	s_branch .LBB184_228
.LBB184_231:
	s_set_inst_prefetch_distance 0x2
	s_or_b32 exec_lo, exec_lo, s28
	v_cmp_gt_i64_e32 vcc_lo, s[14:15], v[22:23]
	s_or_not1_b32 s28, vcc_lo, exec_lo
.LBB184_232:
	s_or_b32 exec_lo, exec_lo, s30
.LBB184_233:
	v_mul_lo_u32 v20, v10, s14
	v_mul_lo_u32 v21, v9, s15
	v_mad_u64_u32 v[17:18], null, v9, s14, 0
	s_mov_b32 s30, 0
	s_and_not1_b32 vcc_lo, exec_lo, s7
	s_mov_b32 s31, 0
	s_delay_alu instid0(VALU_DEP_1)
	v_add3_u32 v26, v18, v21, v20
	s_cbranch_vccnz .LBB184_242
; %bb.234:
	s_delay_alu instid0(VALU_DEP_2) | instskip(NEXT) | instid1(VALU_DEP_2)
	v_add_co_u32 v20, vcc_lo, s16, v17
	v_add_co_ci_u32_e32 v21, vcc_lo, s17, v26, vcc_lo
	v_add_co_u32 v18, vcc_lo, s16, v19
	v_add_co_ci_u32_e32 v19, vcc_lo, s17, v24, vcc_lo
	s_mov_b32 s31, -1
	s_clause 0x1
	global_load_u8 v22, v[20:21], off
	global_load_u8 v23, v[18:19], off
	s_mov_b32 s33, exec_lo
	s_waitcnt vmcnt(0)
	v_cmpx_eq_u16_e64 v22, v23
	s_cbranch_execz .LBB184_241
; %bb.235:
	s_mov_b64 s[0:1], 1
	s_mov_b32 s31, 0
                                        ; implicit-def: $sgpr34
	s_set_inst_prefetch_distance 0x1
	s_branch .LBB184_238
	.p2align	6
.LBB184_236:                            ;   in Loop: Header=BB184_238 Depth=1
	v_add_co_u32 v22, vcc_lo, v20, s0
	v_add_co_ci_u32_e32 v23, vcc_lo, s1, v21, vcc_lo
	v_add_co_u32 v24, vcc_lo, v18, s0
	v_add_co_ci_u32_e32 v25, vcc_lo, s1, v19, vcc_lo
	s_add_u32 s4, s0, 1
	s_clause 0x1
	global_load_u8 v22, v[22:23], off
	global_load_u8 v23, v[24:25], off
	s_addc_u32 s5, s1, 0
	s_and_not1_b32 s34, s34, exec_lo
	s_waitcnt vmcnt(0)
	v_cmp_ne_u16_e32 vcc_lo, v22, v23
	s_and_b32 s35, vcc_lo, exec_lo
	s_delay_alu instid0(SALU_CYCLE_1)
	s_or_b32 s34, s34, s35
.LBB184_237:                            ;   in Loop: Header=BB184_238 Depth=1
	v_dual_mov_b32 v23, s1 :: v_dual_mov_b32 v22, s0
	s_and_b32 s35, exec_lo, s34
	s_mov_b64 s[0:1], s[4:5]
	s_or_b32 s31, s35, s31
	s_delay_alu instid0(SALU_CYCLE_1)
	s_and_not1_b32 exec_lo, exec_lo, s31
	s_cbranch_execz .LBB184_240
.LBB184_238:                            ; =>This Inner Loop Header: Depth=1
	s_or_b32 s34, s34, exec_lo
	s_cmp_eq_u64 s[14:15], s[0:1]
	s_cbranch_scc0 .LBB184_236
; %bb.239:                              ;   in Loop: Header=BB184_238 Depth=1
	s_mov_b64 s[0:1], s[14:15]
                                        ; implicit-def: $sgpr4_sgpr5
	s_branch .LBB184_237
.LBB184_240:
	s_set_inst_prefetch_distance 0x2
	s_or_b32 exec_lo, exec_lo, s31
	v_cmp_gt_i64_e32 vcc_lo, s[14:15], v[22:23]
	s_or_not1_b32 s31, vcc_lo, exec_lo
.LBB184_241:
	s_or_b32 exec_lo, exec_lo, s33
.LBB184_242:
	v_mul_lo_u32 v18, v16, s14
	v_mul_lo_u32 v21, v15, s15
	v_mad_u64_u32 v[19:20], null, v15, s14, 0
	s_and_not1_b32 vcc_lo, exec_lo, s7
	s_delay_alu instid0(VALU_DEP_1)
	v_add3_u32 v25, v20, v21, v18
	s_cbranch_vccnz .LBB184_251
; %bb.243:
	s_delay_alu instid0(VALU_DEP_2) | instskip(NEXT) | instid1(VALU_DEP_2)
	v_add_co_u32 v20, vcc_lo, s16, v19
	v_add_co_ci_u32_e32 v21, vcc_lo, s17, v25, vcc_lo
	v_add_co_u32 v17, vcc_lo, s16, v17
	v_add_co_ci_u32_e32 v18, vcc_lo, s17, v26, vcc_lo
	s_mov_b32 s30, -1
	s_clause 0x1
	global_load_u8 v22, v[20:21], off
	global_load_u8 v23, v[17:18], off
	s_mov_b32 s33, exec_lo
	s_waitcnt vmcnt(0)
	v_cmpx_eq_u16_e64 v22, v23
	s_cbranch_execz .LBB184_250
; %bb.244:
	s_mov_b64 s[0:1], 1
	s_mov_b32 s30, 0
                                        ; implicit-def: $sgpr34
	s_set_inst_prefetch_distance 0x1
	s_branch .LBB184_247
	.p2align	6
.LBB184_245:                            ;   in Loop: Header=BB184_247 Depth=1
	v_add_co_u32 v22, vcc_lo, v20, s0
	v_add_co_ci_u32_e32 v23, vcc_lo, s1, v21, vcc_lo
	v_add_co_u32 v26, vcc_lo, v17, s0
	v_add_co_ci_u32_e32 v27, vcc_lo, s1, v18, vcc_lo
	s_add_u32 s4, s0, 1
	s_clause 0x1
	global_load_u8 v22, v[22:23], off
	global_load_u8 v23, v[26:27], off
	s_addc_u32 s5, s1, 0
	s_and_not1_b32 s34, s34, exec_lo
	s_waitcnt vmcnt(0)
	v_cmp_ne_u16_e32 vcc_lo, v22, v23
	s_and_b32 s35, vcc_lo, exec_lo
	s_delay_alu instid0(SALU_CYCLE_1)
	s_or_b32 s34, s34, s35
.LBB184_246:                            ;   in Loop: Header=BB184_247 Depth=1
	v_dual_mov_b32 v23, s1 :: v_dual_mov_b32 v22, s0
	s_and_b32 s35, exec_lo, s34
	s_mov_b64 s[0:1], s[4:5]
	s_or_b32 s30, s35, s30
	s_delay_alu instid0(SALU_CYCLE_1)
	s_and_not1_b32 exec_lo, exec_lo, s30
	s_cbranch_execz .LBB184_249
.LBB184_247:                            ; =>This Inner Loop Header: Depth=1
	s_or_b32 s34, s34, exec_lo
	s_cmp_eq_u64 s[14:15], s[0:1]
	s_cbranch_scc0 .LBB184_245
; %bb.248:                              ;   in Loop: Header=BB184_247 Depth=1
	s_mov_b64 s[0:1], s[14:15]
                                        ; implicit-def: $sgpr4_sgpr5
	s_branch .LBB184_246
.LBB184_249:
	s_set_inst_prefetch_distance 0x2
	s_or_b32 exec_lo, exec_lo, s30
	v_cmp_gt_i64_e32 vcc_lo, s[14:15], v[22:23]
	s_or_not1_b32 s30, vcc_lo, exec_lo
.LBB184_250:
	s_or_b32 exec_lo, exec_lo, s33
.LBB184_251:
	v_mul_lo_u32 v20, v14, s14
	v_mul_lo_u32 v21, v13, s15
	v_mad_u64_u32 v[17:18], null, v13, s14, 0
	s_and_not1_b32 vcc_lo, exec_lo, s7
	s_mov_b32 s0, 0
	s_delay_alu instid0(VALU_DEP_1)
	v_add3_u32 v24, v18, v21, v20
	s_cbranch_vccnz .LBB184_260
; %bb.252:
	s_delay_alu instid0(VALU_DEP_2) | instskip(NEXT) | instid1(VALU_DEP_2)
	v_add_co_u32 v20, vcc_lo, s16, v17
	v_add_co_ci_u32_e32 v21, vcc_lo, s17, v24, vcc_lo
	v_add_co_u32 v18, vcc_lo, s16, v19
	v_add_co_ci_u32_e32 v19, vcc_lo, s17, v25, vcc_lo
	s_mov_b32 s0, -1
	s_clause 0x1
	global_load_u8 v22, v[20:21], off
	global_load_u8 v23, v[18:19], off
	s_mov_b32 s33, exec_lo
	s_waitcnt vmcnt(0)
	v_cmpx_eq_u16_e64 v22, v23
	s_cbranch_execz .LBB184_259
; %bb.253:
	s_mov_b64 s[0:1], 1
	s_mov_b32 s34, 0
                                        ; implicit-def: $sgpr35
	s_set_inst_prefetch_distance 0x1
	s_branch .LBB184_256
	.p2align	6
.LBB184_254:                            ;   in Loop: Header=BB184_256 Depth=1
	v_add_co_u32 v22, vcc_lo, v20, s0
	v_add_co_ci_u32_e32 v23, vcc_lo, s1, v21, vcc_lo
	v_add_co_u32 v25, vcc_lo, v18, s0
	v_add_co_ci_u32_e32 v26, vcc_lo, s1, v19, vcc_lo
	s_add_u32 s4, s0, 1
	s_clause 0x1
	global_load_u8 v22, v[22:23], off
	global_load_u8 v23, v[25:26], off
	s_addc_u32 s5, s1, 0
	s_and_not1_b32 s35, s35, exec_lo
	s_waitcnt vmcnt(0)
	v_cmp_ne_u16_e32 vcc_lo, v22, v23
	s_and_b32 s36, vcc_lo, exec_lo
	s_delay_alu instid0(SALU_CYCLE_1)
	s_or_b32 s35, s35, s36
.LBB184_255:                            ;   in Loop: Header=BB184_256 Depth=1
	v_dual_mov_b32 v23, s1 :: v_dual_mov_b32 v22, s0
	s_and_b32 s36, exec_lo, s35
	s_mov_b64 s[0:1], s[4:5]
	s_or_b32 s34, s36, s34
	s_delay_alu instid0(SALU_CYCLE_1)
	s_and_not1_b32 exec_lo, exec_lo, s34
	s_cbranch_execz .LBB184_258
.LBB184_256:                            ; =>This Inner Loop Header: Depth=1
	s_or_b32 s35, s35, exec_lo
	s_cmp_eq_u64 s[14:15], s[0:1]
	s_cbranch_scc0 .LBB184_254
; %bb.257:                              ;   in Loop: Header=BB184_256 Depth=1
	s_mov_b64 s[0:1], s[14:15]
                                        ; implicit-def: $sgpr4_sgpr5
	s_branch .LBB184_255
.LBB184_258:
	s_set_inst_prefetch_distance 0x2
	s_or_b32 exec_lo, exec_lo, s34
	v_cmp_gt_i64_e32 vcc_lo, s[14:15], v[22:23]
	s_or_not1_b32 s0, vcc_lo, exec_lo
.LBB184_259:
	s_or_b32 exec_lo, exec_lo, s33
.LBB184_260:
	v_cndmask_b32_e64 v19, 0, 1, s31
	v_cndmask_b32_e64 v20, 0, 1, s29
	v_cndmask_b32_e64 v21, 0, 1, s27
	v_cndmask_b32_e64 v22, 0, 1, s0
	v_cndmask_b32_e64 v18, 0, 1, s30
	v_cndmask_b32_e64 v23, 0, 1, s28
	v_cndmask_b32_e64 v25, 0, 1, s26
	v_lshlrev_b16 v20, 8, v20
	v_lshlrev_b16 v21, 8, v21
	;; [unrolled: 1-line block ×4, first 2 shown]
	s_waitcnt lgkmcnt(0)
	v_or_b32_e32 v20, v23, v20
	v_or_b32_e32 v21, v25, v21
	v_or_b32_e32 v22, 1, v22
	v_or_b32_e32 v18, v18, v19
	s_barrier
	v_and_b32_e32 v19, 0xffff, v20
	v_lshlrev_b32_e32 v20, 16, v21
	v_and_b32_e32 v21, 0xffff, v22
	v_lshlrev_b32_e32 v18, 16, v18
	buffer_gl0_inv
                                        ; implicit-def: $sgpr0
	v_or_b32_e32 v20, v19, v20
	v_or_b32_e32 v19, v21, v18
	s_and_saveexec_b32 s1, s3
	s_delay_alu instid0(SALU_CYCLE_1)
	s_xor_b32 s26, exec_lo, s1
	s_cbranch_execz .LBB184_271
; %bb.261:
	s_and_not1_b32 vcc_lo, exec_lo, s7
	s_mov_b32 s0, 0
	s_cbranch_vccnz .LBB184_270
; %bb.262:
	v_add_nc_u32_e32 v18, -8, v39
	v_add_co_u32 v17, vcc_lo, s16, v17
	s_mov_b32 s0, -1
	s_mov_b32 s27, exec_lo
	ds_load_b64 v[25:26], v18
	s_waitcnt lgkmcnt(0)
	v_mul_lo_u32 v18, v25, s15
	v_mul_lo_u32 v23, v26, s14
	v_mad_u64_u32 v[21:22], null, v25, s14, s[16:17]
	s_delay_alu instid0(VALU_DEP_1)
	v_add3_u32 v22, v23, v22, v18
	v_add_co_ci_u32_e32 v18, vcc_lo, s17, v24, vcc_lo
	s_clause 0x1
	global_load_u8 v23, v[21:22], off
	global_load_u8 v24, v[17:18], off
	s_waitcnt vmcnt(0)
	v_cmpx_eq_u16_e64 v23, v24
	s_cbranch_execz .LBB184_269
; %bb.263:
	s_mov_b64 s[0:1], 1
	s_mov_b32 s28, 0
                                        ; implicit-def: $sgpr29
	s_set_inst_prefetch_distance 0x1
	s_branch .LBB184_266
	.p2align	6
.LBB184_264:                            ;   in Loop: Header=BB184_266 Depth=1
	v_add_co_u32 v23, vcc_lo, v21, s0
	v_add_co_ci_u32_e32 v24, vcc_lo, s1, v22, vcc_lo
	v_add_co_u32 v25, vcc_lo, v17, s0
	v_add_co_ci_u32_e32 v26, vcc_lo, s1, v18, vcc_lo
	s_add_u32 s4, s0, 1
	s_clause 0x1
	global_load_u8 v23, v[23:24], off
	global_load_u8 v24, v[25:26], off
	s_addc_u32 s5, s1, 0
	s_and_not1_b32 s29, s29, exec_lo
	s_waitcnt vmcnt(0)
	v_cmp_ne_u16_e32 vcc_lo, v23, v24
	s_and_b32 s30, vcc_lo, exec_lo
	s_delay_alu instid0(SALU_CYCLE_1)
	s_or_b32 s29, s29, s30
.LBB184_265:                            ;   in Loop: Header=BB184_266 Depth=1
	v_dual_mov_b32 v24, s1 :: v_dual_mov_b32 v23, s0
	s_and_b32 s30, exec_lo, s29
	s_mov_b64 s[0:1], s[4:5]
	s_or_b32 s28, s30, s28
	s_delay_alu instid0(SALU_CYCLE_1)
	s_and_not1_b32 exec_lo, exec_lo, s28
	s_cbranch_execz .LBB184_268
.LBB184_266:                            ; =>This Inner Loop Header: Depth=1
	s_or_b32 s29, s29, exec_lo
	s_cmp_eq_u64 s[14:15], s[0:1]
	s_cbranch_scc0 .LBB184_264
; %bb.267:                              ;   in Loop: Header=BB184_266 Depth=1
	s_mov_b64 s[0:1], s[14:15]
                                        ; implicit-def: $sgpr4_sgpr5
	s_branch .LBB184_265
.LBB184_268:
	s_set_inst_prefetch_distance 0x2
	s_or_b32 exec_lo, exec_lo, s28
	v_cmp_gt_i64_e32 vcc_lo, s[14:15], v[23:24]
	s_or_not1_b32 s0, vcc_lo, exec_lo
.LBB184_269:
	s_or_b32 exec_lo, exec_lo, s27
.LBB184_270:
	s_delay_alu instid0(SALU_CYCLE_1)
	s_and_b32 s0, s0, exec_lo
	s_or_b32 s6, s6, exec_lo
.LBB184_271:
	s_or_b32 exec_lo, exec_lo, s26
	s_branch .LBB184_363
.LBB184_272:
	s_waitcnt vmcnt(0) lgkmcnt(1)
	v_or_b32_e32 v17, 7, v39
	s_mov_b32 s26, 0
	s_mov_b32 s27, 0
	s_mov_b32 s28, exec_lo
	s_delay_alu instid0(VALU_DEP_1)
	v_cmpx_gt_u32_e64 s12, v17
	s_cbranch_execz .LBB184_283
; %bb.273:
	s_and_not1_b32 vcc_lo, exec_lo, s7
	s_mov_b32 s0, 0
	s_cbranch_vccnz .LBB184_282
; %bb.274:
	v_mad_u64_u32 v[17:18], null, v1, s14, s[16:17]
	v_mul_lo_u32 v21, v1, s15
	v_mul_lo_u32 v22, v2, s14
	v_mad_u64_u32 v[19:20], null, v3, s14, s[16:17]
	v_mul_lo_u32 v23, v3, s15
	v_mul_lo_u32 v24, v4, s14
	s_mov_b32 s0, -1
	s_mov_b32 s27, exec_lo
	s_delay_alu instid0(VALU_DEP_4) | instskip(NEXT) | instid1(VALU_DEP_2)
	v_add3_u32 v18, v22, v18, v21
	v_add3_u32 v20, v24, v20, v23
	s_clause 0x1
	global_load_u8 v21, v[17:18], off
	global_load_u8 v22, v[19:20], off
	s_waitcnt vmcnt(0)
	v_cmpx_eq_u16_e64 v21, v22
	s_cbranch_execz .LBB184_281
; %bb.275:
	s_mov_b64 s[0:1], 1
	s_mov_b32 s29, 0
                                        ; implicit-def: $sgpr30
	s_set_inst_prefetch_distance 0x1
	s_branch .LBB184_278
	.p2align	6
.LBB184_276:                            ;   in Loop: Header=BB184_278 Depth=1
	v_add_co_u32 v21, vcc_lo, v17, s0
	v_add_co_ci_u32_e32 v22, vcc_lo, s1, v18, vcc_lo
	v_add_co_u32 v23, vcc_lo, v19, s0
	v_add_co_ci_u32_e32 v24, vcc_lo, s1, v20, vcc_lo
	s_add_u32 s4, s0, 1
	s_clause 0x1
	global_load_u8 v21, v[21:22], off
	global_load_u8 v22, v[23:24], off
	s_addc_u32 s5, s1, 0
	s_and_not1_b32 s30, s30, exec_lo
	s_waitcnt vmcnt(0)
	v_cmp_ne_u16_e32 vcc_lo, v21, v22
	s_and_b32 s31, vcc_lo, exec_lo
	s_delay_alu instid0(SALU_CYCLE_1)
	s_or_b32 s30, s30, s31
.LBB184_277:                            ;   in Loop: Header=BB184_278 Depth=1
	v_dual_mov_b32 v22, s1 :: v_dual_mov_b32 v21, s0
	s_and_b32 s31, exec_lo, s30
	s_mov_b64 s[0:1], s[4:5]
	s_or_b32 s29, s31, s29
	s_delay_alu instid0(SALU_CYCLE_1)
	s_and_not1_b32 exec_lo, exec_lo, s29
	s_cbranch_execz .LBB184_280
.LBB184_278:                            ; =>This Inner Loop Header: Depth=1
	s_or_b32 s30, s30, exec_lo
	s_cmp_eq_u64 s[14:15], s[0:1]
	s_cbranch_scc0 .LBB184_276
; %bb.279:                              ;   in Loop: Header=BB184_278 Depth=1
	s_mov_b64 s[0:1], s[14:15]
                                        ; implicit-def: $sgpr4_sgpr5
	s_branch .LBB184_277
.LBB184_280:
	s_set_inst_prefetch_distance 0x2
	s_or_b32 exec_lo, exec_lo, s29
	v_cmp_gt_i64_e32 vcc_lo, s[14:15], v[21:22]
	s_or_not1_b32 s0, vcc_lo, exec_lo
.LBB184_281:
	s_or_b32 exec_lo, exec_lo, s27
.LBB184_282:
	s_delay_alu instid0(SALU_CYCLE_1)
	s_and_b32 s27, s0, exec_lo
.LBB184_283:
	s_or_b32 exec_lo, exec_lo, s28
	v_or_b32_e32 v17, 6, v39
	s_mov_b32 s28, exec_lo
	s_delay_alu instid0(VALU_DEP_1)
	v_cmpx_gt_u32_e64 s12, v17
	s_cbranch_execz .LBB184_294
; %bb.284:
	s_and_not1_b32 vcc_lo, exec_lo, s7
	s_mov_b32 s0, 0
	s_cbranch_vccnz .LBB184_293
; %bb.285:
	v_mad_u64_u32 v[17:18], null, v7, s14, s[16:17]
	v_mul_lo_u32 v21, v7, s15
	v_mul_lo_u32 v22, v8, s14
	v_mad_u64_u32 v[19:20], null, v1, s14, s[16:17]
	v_mul_lo_u32 v23, v1, s15
	v_mul_lo_u32 v24, v2, s14
	s_mov_b32 s0, -1
	s_mov_b32 s26, exec_lo
	s_delay_alu instid0(VALU_DEP_4) | instskip(NEXT) | instid1(VALU_DEP_2)
	v_add3_u32 v18, v22, v18, v21
	v_add3_u32 v20, v24, v20, v23
	s_clause 0x1
	global_load_u8 v21, v[17:18], off
	global_load_u8 v22, v[19:20], off
	s_waitcnt vmcnt(0)
	v_cmpx_eq_u16_e64 v21, v22
	s_cbranch_execz .LBB184_292
; %bb.286:
	s_mov_b64 s[0:1], 1
	s_mov_b32 s29, 0
                                        ; implicit-def: $sgpr30
	s_set_inst_prefetch_distance 0x1
	s_branch .LBB184_289
	.p2align	6
.LBB184_287:                            ;   in Loop: Header=BB184_289 Depth=1
	v_add_co_u32 v21, vcc_lo, v17, s0
	v_add_co_ci_u32_e32 v22, vcc_lo, s1, v18, vcc_lo
	v_add_co_u32 v23, vcc_lo, v19, s0
	v_add_co_ci_u32_e32 v24, vcc_lo, s1, v20, vcc_lo
	s_add_u32 s4, s0, 1
	s_clause 0x1
	global_load_u8 v21, v[21:22], off
	global_load_u8 v22, v[23:24], off
	s_addc_u32 s5, s1, 0
	s_and_not1_b32 s30, s30, exec_lo
	s_waitcnt vmcnt(0)
	v_cmp_ne_u16_e32 vcc_lo, v21, v22
	s_and_b32 s31, vcc_lo, exec_lo
	s_delay_alu instid0(SALU_CYCLE_1)
	s_or_b32 s30, s30, s31
.LBB184_288:                            ;   in Loop: Header=BB184_289 Depth=1
	v_dual_mov_b32 v22, s1 :: v_dual_mov_b32 v21, s0
	s_and_b32 s31, exec_lo, s30
	s_mov_b64 s[0:1], s[4:5]
	s_or_b32 s29, s31, s29
	s_delay_alu instid0(SALU_CYCLE_1)
	s_and_not1_b32 exec_lo, exec_lo, s29
	s_cbranch_execz .LBB184_291
.LBB184_289:                            ; =>This Inner Loop Header: Depth=1
	s_or_b32 s30, s30, exec_lo
	s_cmp_eq_u64 s[14:15], s[0:1]
	s_cbranch_scc0 .LBB184_287
; %bb.290:                              ;   in Loop: Header=BB184_289 Depth=1
	s_mov_b64 s[0:1], s[14:15]
                                        ; implicit-def: $sgpr4_sgpr5
	s_branch .LBB184_288
.LBB184_291:
	s_set_inst_prefetch_distance 0x2
	s_or_b32 exec_lo, exec_lo, s29
	v_cmp_gt_i64_e32 vcc_lo, s[14:15], v[21:22]
	s_or_not1_b32 s0, vcc_lo, exec_lo
.LBB184_292:
	s_or_b32 exec_lo, exec_lo, s26
.LBB184_293:
	s_delay_alu instid0(SALU_CYCLE_1)
	s_and_b32 s26, s0, exec_lo
.LBB184_294:
	s_or_b32 exec_lo, exec_lo, s28
	v_or_b32_e32 v17, 5, v39
	s_mov_b32 s28, 0
	s_mov_b32 s29, 0
	s_mov_b32 s30, exec_lo
	s_delay_alu instid0(VALU_DEP_1)
	v_cmpx_gt_u32_e64 s12, v17
	s_cbranch_execz .LBB184_305
; %bb.295:
	s_and_not1_b32 vcc_lo, exec_lo, s7
	s_mov_b32 s0, 0
	s_cbranch_vccnz .LBB184_304
; %bb.296:
	v_mad_u64_u32 v[17:18], null, v5, s14, s[16:17]
	v_mul_lo_u32 v21, v5, s15
	v_mul_lo_u32 v22, v6, s14
	v_mad_u64_u32 v[19:20], null, v7, s14, s[16:17]
	v_mul_lo_u32 v23, v7, s15
	v_mul_lo_u32 v24, v8, s14
	s_mov_b32 s0, -1
	s_mov_b32 s29, exec_lo
	s_delay_alu instid0(VALU_DEP_4) | instskip(NEXT) | instid1(VALU_DEP_2)
	v_add3_u32 v18, v22, v18, v21
	v_add3_u32 v20, v24, v20, v23
	s_clause 0x1
	global_load_u8 v21, v[17:18], off
	global_load_u8 v22, v[19:20], off
	s_waitcnt vmcnt(0)
	v_cmpx_eq_u16_e64 v21, v22
	s_cbranch_execz .LBB184_303
; %bb.297:
	s_mov_b64 s[0:1], 1
	s_mov_b32 s31, 0
                                        ; implicit-def: $sgpr33
	s_set_inst_prefetch_distance 0x1
	s_branch .LBB184_300
	.p2align	6
.LBB184_298:                            ;   in Loop: Header=BB184_300 Depth=1
	v_add_co_u32 v21, vcc_lo, v17, s0
	v_add_co_ci_u32_e32 v22, vcc_lo, s1, v18, vcc_lo
	v_add_co_u32 v23, vcc_lo, v19, s0
	v_add_co_ci_u32_e32 v24, vcc_lo, s1, v20, vcc_lo
	s_add_u32 s4, s0, 1
	s_clause 0x1
	global_load_u8 v21, v[21:22], off
	global_load_u8 v22, v[23:24], off
	s_addc_u32 s5, s1, 0
	s_and_not1_b32 s33, s33, exec_lo
	s_waitcnt vmcnt(0)
	v_cmp_ne_u16_e32 vcc_lo, v21, v22
	s_and_b32 s34, vcc_lo, exec_lo
	s_delay_alu instid0(SALU_CYCLE_1)
	s_or_b32 s33, s33, s34
.LBB184_299:                            ;   in Loop: Header=BB184_300 Depth=1
	v_dual_mov_b32 v22, s1 :: v_dual_mov_b32 v21, s0
	s_and_b32 s34, exec_lo, s33
	s_mov_b64 s[0:1], s[4:5]
	s_or_b32 s31, s34, s31
	s_delay_alu instid0(SALU_CYCLE_1)
	s_and_not1_b32 exec_lo, exec_lo, s31
	s_cbranch_execz .LBB184_302
.LBB184_300:                            ; =>This Inner Loop Header: Depth=1
	s_or_b32 s33, s33, exec_lo
	s_cmp_eq_u64 s[14:15], s[0:1]
	s_cbranch_scc0 .LBB184_298
; %bb.301:                              ;   in Loop: Header=BB184_300 Depth=1
	s_mov_b64 s[0:1], s[14:15]
                                        ; implicit-def: $sgpr4_sgpr5
	s_branch .LBB184_299
.LBB184_302:
	s_set_inst_prefetch_distance 0x2
	s_or_b32 exec_lo, exec_lo, s31
	v_cmp_gt_i64_e32 vcc_lo, s[14:15], v[21:22]
	s_or_not1_b32 s0, vcc_lo, exec_lo
.LBB184_303:
	s_or_b32 exec_lo, exec_lo, s29
.LBB184_304:
	s_delay_alu instid0(SALU_CYCLE_1)
	s_and_b32 s29, s0, exec_lo
.LBB184_305:
	s_or_b32 exec_lo, exec_lo, s30
	v_or_b32_e32 v17, 4, v39
	s_mov_b32 s30, exec_lo
	s_delay_alu instid0(VALU_DEP_1)
	v_cmpx_gt_u32_e64 s12, v17
	s_cbranch_execz .LBB184_316
; %bb.306:
	s_and_not1_b32 vcc_lo, exec_lo, s7
	s_mov_b32 s0, 0
	s_cbranch_vccnz .LBB184_315
; %bb.307:
	v_mad_u64_u32 v[17:18], null, v11, s14, s[16:17]
	v_mul_lo_u32 v21, v11, s15
	v_mul_lo_u32 v22, v12, s14
	v_mad_u64_u32 v[19:20], null, v5, s14, s[16:17]
	v_mul_lo_u32 v23, v5, s15
	v_mul_lo_u32 v24, v6, s14
	s_mov_b32 s0, -1
	s_mov_b32 s28, exec_lo
	s_delay_alu instid0(VALU_DEP_4) | instskip(NEXT) | instid1(VALU_DEP_2)
	v_add3_u32 v18, v22, v18, v21
	v_add3_u32 v20, v24, v20, v23
	s_clause 0x1
	global_load_u8 v21, v[17:18], off
	global_load_u8 v22, v[19:20], off
	s_waitcnt vmcnt(0)
	v_cmpx_eq_u16_e64 v21, v22
	s_cbranch_execz .LBB184_314
; %bb.308:
	s_mov_b64 s[0:1], 1
	s_mov_b32 s31, 0
                                        ; implicit-def: $sgpr33
	s_set_inst_prefetch_distance 0x1
	s_branch .LBB184_311
	.p2align	6
.LBB184_309:                            ;   in Loop: Header=BB184_311 Depth=1
	v_add_co_u32 v21, vcc_lo, v17, s0
	v_add_co_ci_u32_e32 v22, vcc_lo, s1, v18, vcc_lo
	v_add_co_u32 v23, vcc_lo, v19, s0
	v_add_co_ci_u32_e32 v24, vcc_lo, s1, v20, vcc_lo
	s_add_u32 s4, s0, 1
	s_clause 0x1
	global_load_u8 v21, v[21:22], off
	global_load_u8 v22, v[23:24], off
	s_addc_u32 s5, s1, 0
	s_and_not1_b32 s33, s33, exec_lo
	s_waitcnt vmcnt(0)
	v_cmp_ne_u16_e32 vcc_lo, v21, v22
	s_and_b32 s34, vcc_lo, exec_lo
	s_delay_alu instid0(SALU_CYCLE_1)
	s_or_b32 s33, s33, s34
.LBB184_310:                            ;   in Loop: Header=BB184_311 Depth=1
	v_dual_mov_b32 v22, s1 :: v_dual_mov_b32 v21, s0
	s_and_b32 s34, exec_lo, s33
	s_mov_b64 s[0:1], s[4:5]
	s_or_b32 s31, s34, s31
	s_delay_alu instid0(SALU_CYCLE_1)
	s_and_not1_b32 exec_lo, exec_lo, s31
	s_cbranch_execz .LBB184_313
.LBB184_311:                            ; =>This Inner Loop Header: Depth=1
	s_or_b32 s33, s33, exec_lo
	s_cmp_eq_u64 s[14:15], s[0:1]
	s_cbranch_scc0 .LBB184_309
; %bb.312:                              ;   in Loop: Header=BB184_311 Depth=1
	s_mov_b64 s[0:1], s[14:15]
                                        ; implicit-def: $sgpr4_sgpr5
	s_branch .LBB184_310
.LBB184_313:
	s_set_inst_prefetch_distance 0x2
	s_or_b32 exec_lo, exec_lo, s31
	v_cmp_gt_i64_e32 vcc_lo, s[14:15], v[21:22]
	s_or_not1_b32 s0, vcc_lo, exec_lo
.LBB184_314:
	s_or_b32 exec_lo, exec_lo, s28
.LBB184_315:
	s_delay_alu instid0(SALU_CYCLE_1)
	s_and_b32 s28, s0, exec_lo
.LBB184_316:
	s_or_b32 exec_lo, exec_lo, s30
	v_or_b32_e32 v17, 3, v39
	s_mov_b32 s31, 0
	s_mov_b32 s30, 0
	s_mov_b32 s33, exec_lo
	s_delay_alu instid0(VALU_DEP_1)
	v_cmpx_gt_u32_e64 s12, v17
	s_cbranch_execz .LBB184_327
; %bb.317:
	s_and_not1_b32 vcc_lo, exec_lo, s7
	s_mov_b32 s0, 0
	s_cbranch_vccnz .LBB184_326
; %bb.318:
	v_mad_u64_u32 v[17:18], null, v9, s14, s[16:17]
	v_mul_lo_u32 v21, v9, s15
	v_mul_lo_u32 v22, v10, s14
	v_mad_u64_u32 v[19:20], null, v11, s14, s[16:17]
	v_mul_lo_u32 v23, v11, s15
	v_mul_lo_u32 v24, v12, s14
	s_mov_b32 s0, -1
	s_mov_b32 s30, exec_lo
	s_delay_alu instid0(VALU_DEP_4) | instskip(NEXT) | instid1(VALU_DEP_2)
	v_add3_u32 v18, v22, v18, v21
	v_add3_u32 v20, v24, v20, v23
	s_clause 0x1
	global_load_u8 v21, v[17:18], off
	global_load_u8 v22, v[19:20], off
	s_waitcnt vmcnt(0)
	v_cmpx_eq_u16_e64 v21, v22
	s_cbranch_execz .LBB184_325
; %bb.319:
	s_mov_b64 s[0:1], 1
	s_mov_b32 s34, 0
                                        ; implicit-def: $sgpr35
	s_set_inst_prefetch_distance 0x1
	s_branch .LBB184_322
	.p2align	6
.LBB184_320:                            ;   in Loop: Header=BB184_322 Depth=1
	v_add_co_u32 v21, vcc_lo, v17, s0
	v_add_co_ci_u32_e32 v22, vcc_lo, s1, v18, vcc_lo
	v_add_co_u32 v23, vcc_lo, v19, s0
	v_add_co_ci_u32_e32 v24, vcc_lo, s1, v20, vcc_lo
	s_add_u32 s4, s0, 1
	s_clause 0x1
	global_load_u8 v21, v[21:22], off
	global_load_u8 v22, v[23:24], off
	s_addc_u32 s5, s1, 0
	s_and_not1_b32 s35, s35, exec_lo
	s_waitcnt vmcnt(0)
	v_cmp_ne_u16_e32 vcc_lo, v21, v22
	s_and_b32 s36, vcc_lo, exec_lo
	s_delay_alu instid0(SALU_CYCLE_1)
	s_or_b32 s35, s35, s36
.LBB184_321:                            ;   in Loop: Header=BB184_322 Depth=1
	v_dual_mov_b32 v22, s1 :: v_dual_mov_b32 v21, s0
	s_and_b32 s36, exec_lo, s35
	s_mov_b64 s[0:1], s[4:5]
	s_or_b32 s34, s36, s34
	s_delay_alu instid0(SALU_CYCLE_1)
	s_and_not1_b32 exec_lo, exec_lo, s34
	s_cbranch_execz .LBB184_324
.LBB184_322:                            ; =>This Inner Loop Header: Depth=1
	s_or_b32 s35, s35, exec_lo
	s_cmp_eq_u64 s[14:15], s[0:1]
	s_cbranch_scc0 .LBB184_320
; %bb.323:                              ;   in Loop: Header=BB184_322 Depth=1
	s_mov_b64 s[0:1], s[14:15]
                                        ; implicit-def: $sgpr4_sgpr5
	s_branch .LBB184_321
.LBB184_324:
	s_set_inst_prefetch_distance 0x2
	s_or_b32 exec_lo, exec_lo, s34
	v_cmp_gt_i64_e32 vcc_lo, s[14:15], v[21:22]
	s_or_not1_b32 s0, vcc_lo, exec_lo
.LBB184_325:
	s_or_b32 exec_lo, exec_lo, s30
.LBB184_326:
	s_delay_alu instid0(SALU_CYCLE_1)
	s_and_b32 s30, s0, exec_lo
.LBB184_327:
	s_or_b32 exec_lo, exec_lo, s33
	v_or_b32_e32 v17, 2, v39
	s_mov_b32 s33, exec_lo
	s_delay_alu instid0(VALU_DEP_1)
	v_cmpx_gt_u32_e64 s12, v17
	s_cbranch_execz .LBB184_338
; %bb.328:
	s_and_not1_b32 vcc_lo, exec_lo, s7
	s_mov_b32 s0, 0
	s_cbranch_vccnz .LBB184_337
; %bb.329:
	v_mad_u64_u32 v[17:18], null, v15, s14, s[16:17]
	v_mul_lo_u32 v21, v15, s15
	v_mul_lo_u32 v22, v16, s14
	v_mad_u64_u32 v[19:20], null, v9, s14, s[16:17]
	v_mul_lo_u32 v23, v9, s15
	v_mul_lo_u32 v24, v10, s14
	s_mov_b32 s0, -1
	s_mov_b32 s31, exec_lo
	s_delay_alu instid0(VALU_DEP_4) | instskip(NEXT) | instid1(VALU_DEP_2)
	v_add3_u32 v18, v22, v18, v21
	v_add3_u32 v20, v24, v20, v23
	s_clause 0x1
	global_load_u8 v21, v[17:18], off
	global_load_u8 v22, v[19:20], off
	s_waitcnt vmcnt(0)
	v_cmpx_eq_u16_e64 v21, v22
	s_cbranch_execz .LBB184_336
; %bb.330:
	s_mov_b64 s[0:1], 1
	s_mov_b32 s34, 0
                                        ; implicit-def: $sgpr35
	s_set_inst_prefetch_distance 0x1
	s_branch .LBB184_333
	.p2align	6
.LBB184_331:                            ;   in Loop: Header=BB184_333 Depth=1
	v_add_co_u32 v21, vcc_lo, v17, s0
	v_add_co_ci_u32_e32 v22, vcc_lo, s1, v18, vcc_lo
	v_add_co_u32 v23, vcc_lo, v19, s0
	v_add_co_ci_u32_e32 v24, vcc_lo, s1, v20, vcc_lo
	s_add_u32 s4, s0, 1
	s_clause 0x1
	global_load_u8 v21, v[21:22], off
	global_load_u8 v22, v[23:24], off
	s_addc_u32 s5, s1, 0
	s_and_not1_b32 s35, s35, exec_lo
	s_waitcnt vmcnt(0)
	v_cmp_ne_u16_e32 vcc_lo, v21, v22
	s_and_b32 s36, vcc_lo, exec_lo
	s_delay_alu instid0(SALU_CYCLE_1)
	s_or_b32 s35, s35, s36
.LBB184_332:                            ;   in Loop: Header=BB184_333 Depth=1
	v_dual_mov_b32 v22, s1 :: v_dual_mov_b32 v21, s0
	s_and_b32 s36, exec_lo, s35
	s_mov_b64 s[0:1], s[4:5]
	s_or_b32 s34, s36, s34
	s_delay_alu instid0(SALU_CYCLE_1)
	s_and_not1_b32 exec_lo, exec_lo, s34
	s_cbranch_execz .LBB184_335
.LBB184_333:                            ; =>This Inner Loop Header: Depth=1
	s_or_b32 s35, s35, exec_lo
	s_cmp_eq_u64 s[14:15], s[0:1]
	s_cbranch_scc0 .LBB184_331
; %bb.334:                              ;   in Loop: Header=BB184_333 Depth=1
	s_mov_b64 s[0:1], s[14:15]
                                        ; implicit-def: $sgpr4_sgpr5
	s_branch .LBB184_332
.LBB184_335:
	s_set_inst_prefetch_distance 0x2
	s_or_b32 exec_lo, exec_lo, s34
	v_cmp_gt_i64_e32 vcc_lo, s[14:15], v[21:22]
	s_or_not1_b32 s0, vcc_lo, exec_lo
.LBB184_336:
	s_or_b32 exec_lo, exec_lo, s31
.LBB184_337:
	s_delay_alu instid0(SALU_CYCLE_1)
	s_and_b32 s31, s0, exec_lo
.LBB184_338:
	s_or_b32 exec_lo, exec_lo, s33
	v_or_b32_e32 v17, 1, v39
	s_mov_b32 s0, 0
	s_mov_b32 s33, exec_lo
	s_delay_alu instid0(VALU_DEP_1)
	v_cmpx_gt_u32_e64 s12, v17
	s_cbranch_execz .LBB184_349
; %bb.339:
	s_and_not1_b32 vcc_lo, exec_lo, s7
	s_cbranch_vccnz .LBB184_348
; %bb.340:
	v_mad_u64_u32 v[17:18], null, v13, s14, s[16:17]
	v_mul_lo_u32 v21, v13, s15
	v_mul_lo_u32 v22, v14, s14
	v_mad_u64_u32 v[19:20], null, v15, s14, s[16:17]
	v_mul_lo_u32 v23, v15, s15
	v_mul_lo_u32 v24, v16, s14
	s_mov_b32 s0, -1
	s_mov_b32 s34, exec_lo
	s_delay_alu instid0(VALU_DEP_4) | instskip(NEXT) | instid1(VALU_DEP_2)
	v_add3_u32 v18, v22, v18, v21
	v_add3_u32 v20, v24, v20, v23
	s_clause 0x1
	global_load_u8 v21, v[17:18], off
	global_load_u8 v22, v[19:20], off
	s_waitcnt vmcnt(0)
	v_cmpx_eq_u16_e64 v21, v22
	s_cbranch_execz .LBB184_347
; %bb.341:
	s_mov_b64 s[0:1], 1
	s_mov_b32 s35, 0
                                        ; implicit-def: $sgpr36
	s_set_inst_prefetch_distance 0x1
	s_branch .LBB184_344
	.p2align	6
.LBB184_342:                            ;   in Loop: Header=BB184_344 Depth=1
	v_add_co_u32 v21, vcc_lo, v17, s0
	v_add_co_ci_u32_e32 v22, vcc_lo, s1, v18, vcc_lo
	v_add_co_u32 v23, vcc_lo, v19, s0
	v_add_co_ci_u32_e32 v24, vcc_lo, s1, v20, vcc_lo
	s_add_u32 s4, s0, 1
	s_clause 0x1
	global_load_u8 v21, v[21:22], off
	global_load_u8 v22, v[23:24], off
	s_addc_u32 s5, s1, 0
	s_and_not1_b32 s36, s36, exec_lo
	s_waitcnt vmcnt(0)
	v_cmp_ne_u16_e32 vcc_lo, v21, v22
	s_and_b32 s37, vcc_lo, exec_lo
	s_delay_alu instid0(SALU_CYCLE_1)
	s_or_b32 s36, s36, s37
.LBB184_343:                            ;   in Loop: Header=BB184_344 Depth=1
	v_dual_mov_b32 v22, s1 :: v_dual_mov_b32 v21, s0
	s_and_b32 s37, exec_lo, s36
	s_mov_b64 s[0:1], s[4:5]
	s_or_b32 s35, s37, s35
	s_delay_alu instid0(SALU_CYCLE_1)
	s_and_not1_b32 exec_lo, exec_lo, s35
	s_cbranch_execz .LBB184_346
.LBB184_344:                            ; =>This Inner Loop Header: Depth=1
	s_or_b32 s36, s36, exec_lo
	s_cmp_eq_u64 s[14:15], s[0:1]
	s_cbranch_scc0 .LBB184_342
; %bb.345:                              ;   in Loop: Header=BB184_344 Depth=1
	s_mov_b64 s[0:1], s[14:15]
                                        ; implicit-def: $sgpr4_sgpr5
	s_branch .LBB184_343
.LBB184_346:
	s_set_inst_prefetch_distance 0x2
	s_or_b32 exec_lo, exec_lo, s35
	v_cmp_gt_i64_e32 vcc_lo, s[14:15], v[21:22]
	s_or_not1_b32 s0, vcc_lo, exec_lo
.LBB184_347:
	s_or_b32 exec_lo, exec_lo, s34
.LBB184_348:
	s_delay_alu instid0(SALU_CYCLE_1)
	s_and_b32 s0, s0, exec_lo
.LBB184_349:
	s_or_b32 exec_lo, exec_lo, s33
	v_cndmask_b32_e64 v18, 0, 1, s30
	v_cndmask_b32_e64 v19, 0, 1, s29
	v_cndmask_b32_e64 v20, 0, 1, s27
	v_cndmask_b32_e64 v21, 0, 1, s0
	v_cndmask_b32_e64 v17, 0, 1, s31
	v_cndmask_b32_e64 v22, 0, 1, s28
	v_cndmask_b32_e64 v23, 0, 1, s26
	v_lshlrev_b16 v19, 8, v19
	v_lshlrev_b16 v20, 8, v20
	v_lshlrev_b16 v21, 8, v21
	v_lshlrev_b16 v18, 8, v18
	s_waitcnt lgkmcnt(0)
	v_or_b32_e32 v19, v22, v19
	v_or_b32_e32 v20, v23, v20
	;; [unrolled: 1-line block ×4, first 2 shown]
	s_barrier
	v_and_b32_e32 v18, 0xffff, v19
	v_lshlrev_b32_e32 v19, 16, v20
	v_and_b32_e32 v21, 0xffff, v21
	v_lshlrev_b32_e32 v17, 16, v17
	buffer_gl0_inv
                                        ; implicit-def: $sgpr0
	v_or_b32_e32 v20, v18, v19
	v_or_b32_e32 v19, v21, v17
	s_and_saveexec_b32 s26, s3
	s_cbranch_execz .LBB184_362
; %bb.350:
	s_mov_b32 s0, 0
	s_mov_b32 s3, exec_lo
	v_cmpx_gt_u32_e64 s12, v39
	s_cbranch_execz .LBB184_361
; %bb.351:
	s_and_not1_b32 vcc_lo, exec_lo, s7
	s_cbranch_vccnz .LBB184_360
; %bb.352:
	v_add_nc_u32_e32 v17, -8, v39
	v_mul_lo_u32 v25, v13, s15
	s_mov_b32 s0, -1
	s_mov_b32 s7, exec_lo
	ds_load_b64 v[23:24], v17
	v_mad_u64_u32 v[17:18], null, v13, s14, s[16:17]
	s_waitcnt lgkmcnt(0)
	v_mul_lo_u32 v26, v23, s15
	v_mul_lo_u32 v24, v24, s14
	v_mad_u64_u32 v[21:22], null, v23, s14, s[16:17]
	v_mul_lo_u32 v23, v14, s14
	s_delay_alu instid0(VALU_DEP_2) | instskip(NEXT) | instid1(VALU_DEP_2)
	v_add3_u32 v22, v24, v22, v26
	v_add3_u32 v18, v23, v18, v25
	s_clause 0x1
	global_load_u8 v23, v[21:22], off
	global_load_u8 v24, v[17:18], off
	s_waitcnt vmcnt(0)
	v_cmpx_eq_u16_e64 v23, v24
	s_cbranch_execz .LBB184_359
; %bb.353:
	s_mov_b64 s[0:1], 1
	s_mov_b32 s16, 0
                                        ; implicit-def: $sgpr17
	s_set_inst_prefetch_distance 0x1
	s_branch .LBB184_356
	.p2align	6
.LBB184_354:                            ;   in Loop: Header=BB184_356 Depth=1
	v_add_co_u32 v23, vcc_lo, v21, s0
	v_add_co_ci_u32_e32 v24, vcc_lo, s1, v22, vcc_lo
	v_add_co_u32 v25, vcc_lo, v17, s0
	v_add_co_ci_u32_e32 v26, vcc_lo, s1, v18, vcc_lo
	s_add_u32 s4, s0, 1
	s_clause 0x1
	global_load_u8 v23, v[23:24], off
	global_load_u8 v24, v[25:26], off
	s_addc_u32 s5, s1, 0
	s_and_not1_b32 s17, s17, exec_lo
	s_waitcnt vmcnt(0)
	v_cmp_ne_u16_e32 vcc_lo, v23, v24
	s_and_b32 s27, vcc_lo, exec_lo
	s_delay_alu instid0(SALU_CYCLE_1)
	s_or_b32 s17, s17, s27
.LBB184_355:                            ;   in Loop: Header=BB184_356 Depth=1
	v_dual_mov_b32 v24, s1 :: v_dual_mov_b32 v23, s0
	s_and_b32 s27, exec_lo, s17
	s_mov_b64 s[0:1], s[4:5]
	s_or_b32 s16, s27, s16
	s_delay_alu instid0(SALU_CYCLE_1)
	s_and_not1_b32 exec_lo, exec_lo, s16
	s_cbranch_execz .LBB184_358
.LBB184_356:                            ; =>This Inner Loop Header: Depth=1
	s_or_b32 s17, s17, exec_lo
	s_cmp_eq_u64 s[14:15], s[0:1]
	s_cbranch_scc0 .LBB184_354
; %bb.357:                              ;   in Loop: Header=BB184_356 Depth=1
	s_mov_b64 s[0:1], s[14:15]
                                        ; implicit-def: $sgpr4_sgpr5
	s_branch .LBB184_355
.LBB184_358:
	s_set_inst_prefetch_distance 0x2
	s_or_b32 exec_lo, exec_lo, s16
	v_cmp_gt_i64_e32 vcc_lo, s[14:15], v[23:24]
	s_or_not1_b32 s0, vcc_lo, exec_lo
.LBB184_359:
	s_or_b32 exec_lo, exec_lo, s7
.LBB184_360:
	s_delay_alu instid0(SALU_CYCLE_1)
	s_and_b32 s0, s0, exec_lo
.LBB184_361:
	s_or_b32 exec_lo, exec_lo, s3
	s_delay_alu instid0(SALU_CYCLE_1)
	s_and_b32 s0, s0, exec_lo
	s_or_b32 s6, s6, exec_lo
.LBB184_362:
	s_or_b32 exec_lo, exec_lo, s26
.LBB184_363:
	s_and_saveexec_b32 s1, s6
	s_cbranch_execz .LBB184_365
; %bb.364:
	s_waitcnt vmcnt(0) lgkmcnt(0)
	v_and_b32_e32 v17, 0xffffff00, v19
	v_cndmask_b32_e64 v18, 0, 1, s0
	s_delay_alu instid0(VALU_DEP_1) | instskip(NEXT) | instid1(VALU_DEP_1)
	v_or_b32_e32 v17, v18, v17
	v_and_b32_e32 v17, 0xffff, v17
	s_delay_alu instid0(VALU_DEP_1)
	v_and_or_b32 v19, 0xffff0000, v19, v17
.LBB184_365:
	s_or_b32 exec_lo, exec_lo, s1
	s_delay_alu instid0(SALU_CYCLE_1)
	s_and_not1_b32 vcc_lo, exec_lo, s24
	s_cbranch_vccnz .LBB184_367
; %bb.366:
	v_cmp_gt_u32_e32 vcc_lo, s12, v39
	s_waitcnt vmcnt(0) lgkmcnt(0)
	v_or_b32_e32 v18, 1, v39
	v_and_b32_e32 v21, 0xffffff00, v20
	v_or_b32_e32 v22, 2, v39
	v_cndmask_b32_e32 v17, 0, v19, vcc_lo
	s_delay_alu instid0(VALU_DEP_4) | instskip(SKIP_1) | instid1(VALU_DEP_4)
	v_cmp_gt_u32_e32 vcc_lo, s12, v18
	v_or_b32_e32 v18, 4, v39
	v_cmp_gt_u32_e64 s0, s12, v22
	v_or_b32_e32 v22, 3, v39
	v_and_b32_e32 v17, 0xff, v17
	s_delay_alu instid0(VALU_DEP_2) | instskip(NEXT) | instid1(VALU_DEP_2)
	v_cmp_gt_u32_e64 s1, s12, v22
	v_cndmask_b32_e32 v17, v17, v19, vcc_lo
	v_cmp_gt_u32_e32 vcc_lo, s12, v18
	v_cndmask_b32_e32 v18, v21, v20, vcc_lo
	v_or_b32_e32 v21, 5, v39
	s_delay_alu instid0(VALU_DEP_2) | instskip(SKIP_1) | instid1(VALU_DEP_1)
	v_and_b32_e32 v18, 0xffff00ff, v18
	v_and_b32_e32 v17, 0xffff, v17
	v_cndmask_b32_e64 v17, v17, v19, s0
	s_delay_alu instid0(VALU_DEP_4) | instskip(SKIP_1) | instid1(VALU_DEP_3)
	v_cmp_gt_u32_e64 s0, s12, v21
	v_or_b32_e32 v21, 6, v39
	v_and_b32_e32 v17, 0xffffff, v17
	s_delay_alu instid0(VALU_DEP_3) | instskip(NEXT) | instid1(VALU_DEP_2)
	v_cndmask_b32_e64 v18, v18, v20, s0
	v_cndmask_b32_e64 v17, v17, v19, s1
	s_delay_alu instid0(VALU_DEP_1) | instskip(SKIP_2) | instid1(VALU_DEP_3)
	v_dual_cndmask_b32 v17, v17, v19 :: v_dual_and_b32 v18, 0xff00ffff, v18
	v_cmp_gt_u32_e32 vcc_lo, s12, v21
	v_or_b32_e32 v21, 7, v39
	v_cndmask_b32_e64 v17, v17, v19, s0
	s_delay_alu instid0(VALU_DEP_1) | instskip(NEXT) | instid1(VALU_DEP_1)
	v_dual_cndmask_b32 v18, v18, v20 :: v_dual_cndmask_b32 v17, v17, v19
	v_and_b32_e32 v18, 0xffffff, v18
	s_delay_alu instid0(VALU_DEP_4) | instskip(NEXT) | instid1(VALU_DEP_2)
	v_cmp_gt_u32_e32 vcc_lo, s12, v21
	v_dual_cndmask_b32 v20, v18, v20 :: v_dual_cndmask_b32 v19, v17, v19
.LBB184_367:
	s_delay_alu instid0(VALU_DEP_1) | instskip(SKIP_1) | instid1(VALU_DEP_2)
	v_and_b32_e32 v28, 0xff, v19
	s_waitcnt vmcnt(0) lgkmcnt(0)
	v_alignbit_b32 v17, v20, v19, 24
	v_bfe_u32 v30, v19, 8, 8
	v_bfe_u32 v32, v19, 16, 8
	v_and_b32_e32 v36, 0xff, v20
	v_bfe_u32 v38, v20, 8, 8
	v_and_b32_e32 v34, 0xff, v17
	v_add_nc_u32_e32 v17, v30, v28
	v_mbcnt_lo_u32_b32 v42, -1, 0
	v_bfe_u32 v41, v20, 16, 8
	v_lshrrev_b32_e32 v40, 24, v20
	v_lshrrev_b32_e32 v43, 5, v0
	v_add3_u32 v17, v17, v32, v34
	v_and_b32_e32 v18, 15, v42
	v_and_b32_e32 v21, 16, v42
	s_and_b32 vcc_lo, exec_lo, s25
	s_mov_b32 s7, -1
	v_add3_u32 v17, v17, v36, v38
	v_cmp_eq_u32_e64 s3, 0, v18
	v_cmp_lt_u32_e64 s0, 1, v18
	v_cmp_lt_u32_e64 s4, 3, v18
	;; [unrolled: 1-line block ×3, first 2 shown]
	v_add3_u32 v44, v17, v41, v40
	v_or_b32_e32 v17, 31, v0
	v_cmp_eq_u32_e64 s6, 0, v21
	s_barrier
	buffer_gl0_inv
	v_cmp_eq_u32_e64 s5, v17, v0
	s_cbranch_vccz .LBB184_398
; %bb.368:
	v_mov_b32_dpp v17, v44 row_shr:1 row_mask:0xf bank_mask:0xf
	s_delay_alu instid0(VALU_DEP_1) | instskip(NEXT) | instid1(VALU_DEP_1)
	v_cndmask_b32_e64 v17, v17, 0, s3
	v_add_nc_u32_e32 v17, v17, v44
	s_delay_alu instid0(VALU_DEP_1) | instskip(NEXT) | instid1(VALU_DEP_1)
	v_mov_b32_dpp v18, v17 row_shr:2 row_mask:0xf bank_mask:0xf
	v_cndmask_b32_e64 v18, 0, v18, s0
	s_delay_alu instid0(VALU_DEP_1) | instskip(NEXT) | instid1(VALU_DEP_1)
	v_add_nc_u32_e32 v17, v17, v18
	v_mov_b32_dpp v18, v17 row_shr:4 row_mask:0xf bank_mask:0xf
	s_delay_alu instid0(VALU_DEP_1) | instskip(NEXT) | instid1(VALU_DEP_1)
	v_cndmask_b32_e64 v18, 0, v18, s4
	v_add_nc_u32_e32 v17, v17, v18
	s_delay_alu instid0(VALU_DEP_1) | instskip(NEXT) | instid1(VALU_DEP_1)
	v_mov_b32_dpp v18, v17 row_shr:8 row_mask:0xf bank_mask:0xf
	v_cndmask_b32_e64 v18, 0, v18, s1
	s_delay_alu instid0(VALU_DEP_1) | instskip(SKIP_3) | instid1(VALU_DEP_1)
	v_add_nc_u32_e32 v17, v17, v18
	ds_swizzle_b32 v18, v17 offset:swizzle(BROADCAST,32,15)
	s_waitcnt lgkmcnt(0)
	v_cndmask_b32_e64 v18, v18, 0, s6
	v_add_nc_u32_e32 v17, v17, v18
	s_and_saveexec_b32 s7, s5
	s_cbranch_execz .LBB184_370
; %bb.369:
	v_lshlrev_b32_e32 v18, 2, v43
	ds_store_b32 v18, v17
.LBB184_370:
	s_or_b32 exec_lo, exec_lo, s7
	s_delay_alu instid0(SALU_CYCLE_1)
	s_mov_b32 s7, exec_lo
	s_waitcnt lgkmcnt(0)
	s_barrier
	buffer_gl0_inv
	v_cmpx_gt_u32_e32 16, v0
	s_cbranch_execz .LBB184_372
; %bb.371:
	v_lshlrev_b32_e32 v18, 2, v0
	ds_load_b32 v21, v18
	s_waitcnt lgkmcnt(0)
	v_mov_b32_dpp v22, v21 row_shr:1 row_mask:0xf bank_mask:0xf
	s_delay_alu instid0(VALU_DEP_1) | instskip(NEXT) | instid1(VALU_DEP_1)
	v_cndmask_b32_e64 v22, v22, 0, s3
	v_add_nc_u32_e32 v21, v22, v21
	s_delay_alu instid0(VALU_DEP_1) | instskip(NEXT) | instid1(VALU_DEP_1)
	v_mov_b32_dpp v22, v21 row_shr:2 row_mask:0xf bank_mask:0xf
	v_cndmask_b32_e64 v22, 0, v22, s0
	s_delay_alu instid0(VALU_DEP_1) | instskip(NEXT) | instid1(VALU_DEP_1)
	v_add_nc_u32_e32 v21, v21, v22
	v_mov_b32_dpp v22, v21 row_shr:4 row_mask:0xf bank_mask:0xf
	s_delay_alu instid0(VALU_DEP_1) | instskip(NEXT) | instid1(VALU_DEP_1)
	v_cndmask_b32_e64 v22, 0, v22, s4
	v_add_nc_u32_e32 v21, v21, v22
	s_delay_alu instid0(VALU_DEP_1) | instskip(NEXT) | instid1(VALU_DEP_1)
	v_mov_b32_dpp v22, v21 row_shr:8 row_mask:0xf bank_mask:0xf
	v_cndmask_b32_e64 v22, 0, v22, s1
	s_delay_alu instid0(VALU_DEP_1)
	v_add_nc_u32_e32 v21, v21, v22
	ds_store_b32 v18, v21
.LBB184_372:
	s_or_b32 exec_lo, exec_lo, s7
	v_cmp_gt_u32_e32 vcc_lo, 32, v0
	s_mov_b32 s12, exec_lo
	s_waitcnt lgkmcnt(0)
	s_barrier
	buffer_gl0_inv
                                        ; implicit-def: $vgpr27
	v_cmpx_lt_u32_e32 31, v0
	s_cbranch_execz .LBB184_374
; %bb.373:
	v_lshl_add_u32 v18, v43, 2, -4
	ds_load_b32 v27, v18
	s_waitcnt lgkmcnt(0)
	v_add_nc_u32_e32 v17, v27, v17
.LBB184_374:
	s_or_b32 exec_lo, exec_lo, s12
	v_add_nc_u32_e32 v18, -1, v42
	s_delay_alu instid0(VALU_DEP_1) | instskip(NEXT) | instid1(VALU_DEP_1)
	v_cmp_gt_i32_e64 s7, 0, v18
	v_cndmask_b32_e64 v18, v18, v42, s7
	v_cmp_eq_u32_e64 s7, 0, v42
	s_delay_alu instid0(VALU_DEP_2)
	v_lshlrev_b32_e32 v18, 2, v18
	ds_bpermute_b32 v29, v18, v17
	s_and_saveexec_b32 s12, vcc_lo
	s_cbranch_execz .LBB184_397
; %bb.375:
	v_mov_b32_e32 v23, 0
	ds_load_b32 v17, v23 offset:60
	s_and_saveexec_b32 s14, s7
	s_cbranch_execz .LBB184_377
; %bb.376:
	s_add_i32 s16, s23, 32
	s_mov_b32 s17, 0
	v_mov_b32_e32 v18, 1
	s_lshl_b64 s[16:17], s[16:17], 3
	s_delay_alu instid0(SALU_CYCLE_1)
	s_add_u32 s16, s18, s16
	s_addc_u32 s17, s19, s17
	s_waitcnt lgkmcnt(0)
	global_store_b64 v23, v[17:18], s[16:17]
.LBB184_377:
	s_or_b32 exec_lo, exec_lo, s14
	v_xad_u32 v21, v42, -1, s23
	s_mov_b32 s15, 0
	s_mov_b32 s14, exec_lo
	s_delay_alu instid0(VALU_DEP_1) | instskip(NEXT) | instid1(VALU_DEP_1)
	v_add_nc_u32_e32 v22, 32, v21
	v_lshlrev_b64 v[22:23], 3, v[22:23]
	s_delay_alu instid0(VALU_DEP_1) | instskip(NEXT) | instid1(VALU_DEP_2)
	v_add_co_u32 v25, vcc_lo, s18, v22
	v_add_co_ci_u32_e32 v26, vcc_lo, s19, v23, vcc_lo
	global_load_b64 v[23:24], v[25:26], off glc
	s_waitcnt vmcnt(0)
	v_and_b32_e32 v18, 0xff, v24
	s_delay_alu instid0(VALU_DEP_1)
	v_cmpx_eq_u16_e32 0, v18
	s_cbranch_execz .LBB184_383
; %bb.378:
	s_mov_b32 s16, 1
	.p2align	6
.LBB184_379:                            ; =>This Loop Header: Depth=1
                                        ;     Child Loop BB184_380 Depth 2
	s_delay_alu instid0(SALU_CYCLE_1)
	s_max_u32 s17, s16, 1
.LBB184_380:                            ;   Parent Loop BB184_379 Depth=1
                                        ; =>  This Inner Loop Header: Depth=2
	s_delay_alu instid0(SALU_CYCLE_1)
	s_add_i32 s17, s17, -1
	s_sleep 1
	s_cmp_eq_u32 s17, 0
	s_cbranch_scc0 .LBB184_380
; %bb.381:                              ;   in Loop: Header=BB184_379 Depth=1
	global_load_b64 v[23:24], v[25:26], off glc
	s_cmp_lt_u32 s16, 32
	s_cselect_b32 s17, -1, 0
	s_delay_alu instid0(SALU_CYCLE_1) | instskip(SKIP_3) | instid1(VALU_DEP_1)
	s_cmp_lg_u32 s17, 0
	s_addc_u32 s16, s16, 0
	s_waitcnt vmcnt(0)
	v_and_b32_e32 v18, 0xff, v24
	v_cmp_ne_u16_e32 vcc_lo, 0, v18
	s_or_b32 s15, vcc_lo, s15
	s_delay_alu instid0(SALU_CYCLE_1)
	s_and_not1_b32 exec_lo, exec_lo, s15
	s_cbranch_execnz .LBB184_379
; %bb.382:
	s_or_b32 exec_lo, exec_lo, s15
.LBB184_383:
	s_delay_alu instid0(SALU_CYCLE_1)
	s_or_b32 exec_lo, exec_lo, s14
	v_cmp_ne_u32_e32 vcc_lo, 31, v42
	v_and_b32_e32 v22, 0xff, v24
	v_lshlrev_b32_e64 v31, v42, -1
	v_add_nc_u32_e32 v35, 2, v42
	v_add_nc_u32_e32 v45, 4, v42
	v_add_co_ci_u32_e32 v18, vcc_lo, 0, v42, vcc_lo
	v_cmp_eq_u16_e32 vcc_lo, 2, v22
	v_add_nc_u32_e32 v48, 8, v42
	v_add_nc_u32_e32 v50, 16, v42
	v_and_or_b32 v22, vcc_lo, v31, 0x80000000
	v_cmp_gt_u32_e32 vcc_lo, 30, v42
	s_delay_alu instid0(VALU_DEP_2) | instskip(SKIP_1) | instid1(VALU_DEP_2)
	v_ctz_i32_b32_e32 v22, v22
	v_cndmask_b32_e64 v26, 0, 1, vcc_lo
	v_cmp_lt_u32_e32 vcc_lo, v42, v22
	v_lshlrev_b32_e32 v18, 2, v18
	s_delay_alu instid0(VALU_DEP_3)
	v_lshlrev_b32_e32 v26, 1, v26
	ds_bpermute_b32 v25, v18, v23
	v_add_lshl_u32 v33, v26, v42, 2
	s_waitcnt lgkmcnt(0)
	v_cndmask_b32_e32 v25, 0, v25, vcc_lo
	v_cmp_gt_u32_e32 vcc_lo, 28, v42
	s_delay_alu instid0(VALU_DEP_2) | instskip(SKIP_4) | instid1(VALU_DEP_1)
	v_add_nc_u32_e32 v23, v25, v23
	v_cndmask_b32_e64 v26, 0, 1, vcc_lo
	v_cmp_le_u32_e32 vcc_lo, v35, v22
	ds_bpermute_b32 v25, v33, v23
	v_lshlrev_b32_e32 v26, 2, v26
	v_add_lshl_u32 v37, v26, v42, 2
	s_waitcnt lgkmcnt(0)
	v_cndmask_b32_e32 v25, 0, v25, vcc_lo
	v_cmp_gt_u32_e32 vcc_lo, 24, v42
	s_delay_alu instid0(VALU_DEP_2) | instskip(SKIP_4) | instid1(VALU_DEP_1)
	v_add_nc_u32_e32 v23, v23, v25
	v_cndmask_b32_e64 v26, 0, 1, vcc_lo
	v_cmp_le_u32_e32 vcc_lo, v45, v22
	ds_bpermute_b32 v25, v37, v23
	v_lshlrev_b32_e32 v26, 3, v26
	;; [unrolled: 10-line block ×3, first 2 shown]
	v_add_lshl_u32 v49, v26, v42, 2
	s_waitcnt lgkmcnt(0)
	v_cndmask_b32_e32 v25, 0, v25, vcc_lo
	v_cmp_le_u32_e32 vcc_lo, v50, v22
	s_delay_alu instid0(VALU_DEP_2) | instskip(SKIP_3) | instid1(VALU_DEP_1)
	v_add_nc_u32_e32 v23, v23, v25
	ds_bpermute_b32 v25, v49, v23
	s_waitcnt lgkmcnt(0)
	v_cndmask_b32_e32 v22, 0, v25, vcc_lo
	v_dual_mov_b32 v22, 0 :: v_dual_add_nc_u32 v23, v23, v22
	s_branch .LBB184_385
.LBB184_384:                            ;   in Loop: Header=BB184_385 Depth=1
	s_or_b32 exec_lo, exec_lo, s14
	ds_bpermute_b32 v26, v18, v23
	v_and_b32_e32 v25, 0xff, v24
	v_subrev_nc_u32_e32 v21, 32, v21
	s_delay_alu instid0(VALU_DEP_2) | instskip(SKIP_1) | instid1(VALU_DEP_1)
	v_cmp_eq_u16_e32 vcc_lo, 2, v25
	v_and_or_b32 v25, vcc_lo, v31, 0x80000000
	v_ctz_i32_b32_e32 v25, v25
	s_delay_alu instid0(VALU_DEP_1) | instskip(SKIP_3) | instid1(VALU_DEP_2)
	v_cmp_lt_u32_e32 vcc_lo, v42, v25
	s_waitcnt lgkmcnt(0)
	v_cndmask_b32_e32 v26, 0, v26, vcc_lo
	v_cmp_le_u32_e32 vcc_lo, v35, v25
	v_add_nc_u32_e32 v23, v26, v23
	ds_bpermute_b32 v26, v33, v23
	s_waitcnt lgkmcnt(0)
	v_cndmask_b32_e32 v26, 0, v26, vcc_lo
	v_cmp_le_u32_e32 vcc_lo, v45, v25
	s_delay_alu instid0(VALU_DEP_2) | instskip(SKIP_4) | instid1(VALU_DEP_2)
	v_add_nc_u32_e32 v23, v23, v26
	ds_bpermute_b32 v26, v37, v23
	s_waitcnt lgkmcnt(0)
	v_cndmask_b32_e32 v26, 0, v26, vcc_lo
	v_cmp_le_u32_e32 vcc_lo, v48, v25
	v_add_nc_u32_e32 v23, v23, v26
	ds_bpermute_b32 v26, v47, v23
	s_waitcnt lgkmcnt(0)
	v_cndmask_b32_e32 v26, 0, v26, vcc_lo
	v_cmp_le_u32_e32 vcc_lo, v50, v25
	s_delay_alu instid0(VALU_DEP_2) | instskip(SKIP_3) | instid1(VALU_DEP_1)
	v_add_nc_u32_e32 v23, v23, v26
	ds_bpermute_b32 v26, v49, v23
	s_waitcnt lgkmcnt(0)
	v_cndmask_b32_e32 v25, 0, v26, vcc_lo
	v_add3_u32 v23, v25, v46, v23
.LBB184_385:                            ; =>This Loop Header: Depth=1
                                        ;     Child Loop BB184_388 Depth 2
                                        ;       Child Loop BB184_389 Depth 3
	v_and_b32_e32 v24, 0xff, v24
	s_delay_alu instid0(VALU_DEP_2) | instskip(NEXT) | instid1(VALU_DEP_2)
	v_mov_b32_e32 v46, v23
	v_cmp_ne_u16_e32 vcc_lo, 2, v24
	v_cndmask_b32_e64 v24, 0, 1, vcc_lo
	;;#ASMSTART
	;;#ASMEND
	s_delay_alu instid0(VALU_DEP_1)
	v_cmp_ne_u32_e32 vcc_lo, 0, v24
	s_cmp_lg_u32 vcc_lo, exec_lo
	s_cbranch_scc1 .LBB184_392
; %bb.386:                              ;   in Loop: Header=BB184_385 Depth=1
	v_lshlrev_b64 v[23:24], 3, v[21:22]
	s_mov_b32 s14, exec_lo
	s_delay_alu instid0(VALU_DEP_1) | instskip(NEXT) | instid1(VALU_DEP_2)
	v_add_co_u32 v25, vcc_lo, s18, v23
	v_add_co_ci_u32_e32 v26, vcc_lo, s19, v24, vcc_lo
	global_load_b64 v[23:24], v[25:26], off glc
	s_waitcnt vmcnt(0)
	v_and_b32_e32 v51, 0xff, v24
	s_delay_alu instid0(VALU_DEP_1)
	v_cmpx_eq_u16_e32 0, v51
	s_cbranch_execz .LBB184_384
; %bb.387:                              ;   in Loop: Header=BB184_385 Depth=1
	s_mov_b32 s16, 1
	s_mov_b32 s15, 0
	.p2align	6
.LBB184_388:                            ;   Parent Loop BB184_385 Depth=1
                                        ; =>  This Loop Header: Depth=2
                                        ;       Child Loop BB184_389 Depth 3
	s_max_u32 s17, s16, 1
.LBB184_389:                            ;   Parent Loop BB184_385 Depth=1
                                        ;     Parent Loop BB184_388 Depth=2
                                        ; =>    This Inner Loop Header: Depth=3
	s_delay_alu instid0(SALU_CYCLE_1)
	s_add_i32 s17, s17, -1
	s_sleep 1
	s_cmp_eq_u32 s17, 0
	s_cbranch_scc0 .LBB184_389
; %bb.390:                              ;   in Loop: Header=BB184_388 Depth=2
	global_load_b64 v[23:24], v[25:26], off glc
	s_cmp_lt_u32 s16, 32
	s_cselect_b32 s17, -1, 0
	s_delay_alu instid0(SALU_CYCLE_1) | instskip(SKIP_3) | instid1(VALU_DEP_1)
	s_cmp_lg_u32 s17, 0
	s_addc_u32 s16, s16, 0
	s_waitcnt vmcnt(0)
	v_and_b32_e32 v51, 0xff, v24
	v_cmp_ne_u16_e32 vcc_lo, 0, v51
	s_or_b32 s15, vcc_lo, s15
	s_delay_alu instid0(SALU_CYCLE_1)
	s_and_not1_b32 exec_lo, exec_lo, s15
	s_cbranch_execnz .LBB184_388
; %bb.391:                              ;   in Loop: Header=BB184_385 Depth=1
	s_or_b32 exec_lo, exec_lo, s15
	s_branch .LBB184_384
.LBB184_392:                            ;   in Loop: Header=BB184_385 Depth=1
                                        ; implicit-def: $vgpr23
                                        ; implicit-def: $vgpr24
	s_cbranch_execz .LBB184_385
; %bb.393:
	s_and_saveexec_b32 s14, s7
	s_cbranch_execz .LBB184_395
; %bb.394:
	s_add_i32 s16, s23, 32
	s_mov_b32 s17, 0
	v_dual_mov_b32 v22, 2 :: v_dual_add_nc_u32 v21, v46, v17
	s_lshl_b64 s[16:17], s[16:17], 3
	v_mov_b32_e32 v18, 0
	v_add_nc_u32_e64 v23, 0x8400, 0
	s_add_u32 s16, s18, s16
	s_addc_u32 s17, s19, s17
	global_store_b64 v18, v[21:22], s[16:17]
	ds_store_2addr_b32 v23, v17, v46 offset1:2
.LBB184_395:
	s_or_b32 exec_lo, exec_lo, s14
	s_delay_alu instid0(SALU_CYCLE_1)
	s_and_b32 exec_lo, exec_lo, s2
	s_cbranch_execz .LBB184_397
; %bb.396:
	v_mov_b32_e32 v17, 0
	ds_store_b32 v17, v46 offset:60
.LBB184_397:
	s_or_b32 exec_lo, exec_lo, s12
	v_mov_b32_e32 v17, 0
	s_waitcnt lgkmcnt(0)
	s_waitcnt_vscnt null, 0x0
	s_barrier
	buffer_gl0_inv
	v_cndmask_b32_e64 v18, v29, v27, s7
	ds_load_b32 v17, v17 offset:60
	s_waitcnt lgkmcnt(0)
	s_barrier
	buffer_gl0_inv
	v_cndmask_b32_e64 v18, v18, 0, s2
	s_delay_alu instid0(VALU_DEP_1) | instskip(SKIP_1) | instid1(VALU_DEP_2)
	v_add_nc_u32_e32 v37, v17, v18
	v_add_nc_u32_e64 v17, 0x8400, 0
	v_add_nc_u32_e32 v35, v37, v28
	ds_load_2addr_b32 v[17:18], v17 offset1:2
	v_add_nc_u32_e32 v33, v35, v30
	s_delay_alu instid0(VALU_DEP_1) | instskip(NEXT) | instid1(VALU_DEP_1)
	v_add_nc_u32_e32 v31, v33, v32
	v_add_nc_u32_e32 v29, v31, v34
	s_delay_alu instid0(VALU_DEP_1) | instskip(NEXT) | instid1(VALU_DEP_1)
	v_add_nc_u32_e32 v27, v29, v36
	v_add_nc_u32_e32 v25, v27, v38
	s_delay_alu instid0(VALU_DEP_1)
	v_add_nc_u32_e32 v23, v25, v41
	v_lshrrev_b64 v[21:22], 24, v[19:20]
	s_branch .LBB184_408
.LBB184_398:
                                        ; implicit-def: $vgpr23
                                        ; implicit-def: $vgpr25
                                        ; implicit-def: $vgpr27
                                        ; implicit-def: $vgpr29
                                        ; implicit-def: $vgpr31
                                        ; implicit-def: $vgpr33
                                        ; implicit-def: $vgpr35
                                        ; implicit-def: $vgpr37
                                        ; implicit-def: $vgpr18
	v_lshrrev_b64 v[21:22], 24, v[19:20]
	s_and_b32 vcc_lo, exec_lo, s7
	s_cbranch_vccz .LBB184_408
; %bb.399:
	s_waitcnt lgkmcnt(0)
	v_mov_b32_dpp v17, v44 row_shr:1 row_mask:0xf bank_mask:0xf
	s_delay_alu instid0(VALU_DEP_1) | instskip(NEXT) | instid1(VALU_DEP_1)
	v_cndmask_b32_e64 v17, v17, 0, s3
	v_add_nc_u32_e32 v17, v17, v44
	s_delay_alu instid0(VALU_DEP_1) | instskip(NEXT) | instid1(VALU_DEP_1)
	v_mov_b32_dpp v18, v17 row_shr:2 row_mask:0xf bank_mask:0xf
	v_cndmask_b32_e64 v18, 0, v18, s0
	s_delay_alu instid0(VALU_DEP_1) | instskip(NEXT) | instid1(VALU_DEP_1)
	v_add_nc_u32_e32 v17, v17, v18
	v_mov_b32_dpp v18, v17 row_shr:4 row_mask:0xf bank_mask:0xf
	s_delay_alu instid0(VALU_DEP_1) | instskip(NEXT) | instid1(VALU_DEP_1)
	v_cndmask_b32_e64 v18, 0, v18, s4
	v_add_nc_u32_e32 v17, v17, v18
	s_delay_alu instid0(VALU_DEP_1) | instskip(NEXT) | instid1(VALU_DEP_1)
	v_mov_b32_dpp v18, v17 row_shr:8 row_mask:0xf bank_mask:0xf
	v_cndmask_b32_e64 v18, 0, v18, s1
	s_delay_alu instid0(VALU_DEP_1) | instskip(SKIP_3) | instid1(VALU_DEP_1)
	v_add_nc_u32_e32 v17, v17, v18
	ds_swizzle_b32 v18, v17 offset:swizzle(BROADCAST,32,15)
	s_waitcnt lgkmcnt(0)
	v_cndmask_b32_e64 v18, v18, 0, s6
	v_add_nc_u32_e32 v17, v17, v18
	s_and_saveexec_b32 s6, s5
	s_cbranch_execz .LBB184_401
; %bb.400:
	v_lshlrev_b32_e32 v18, 2, v43
	ds_store_b32 v18, v17
.LBB184_401:
	s_or_b32 exec_lo, exec_lo, s6
	s_delay_alu instid0(SALU_CYCLE_1)
	s_mov_b32 s5, exec_lo
	s_waitcnt lgkmcnt(0)
	s_barrier
	buffer_gl0_inv
	v_cmpx_gt_u32_e32 16, v0
	s_cbranch_execz .LBB184_403
; %bb.402:
	v_lshlrev_b32_e32 v18, 2, v0
	ds_load_b32 v22, v18
	s_waitcnt lgkmcnt(0)
	v_mov_b32_dpp v23, v22 row_shr:1 row_mask:0xf bank_mask:0xf
	s_delay_alu instid0(VALU_DEP_1) | instskip(NEXT) | instid1(VALU_DEP_1)
	v_cndmask_b32_e64 v23, v23, 0, s3
	v_add_nc_u32_e32 v22, v23, v22
	s_delay_alu instid0(VALU_DEP_1) | instskip(NEXT) | instid1(VALU_DEP_1)
	v_mov_b32_dpp v23, v22 row_shr:2 row_mask:0xf bank_mask:0xf
	v_cndmask_b32_e64 v23, 0, v23, s0
	s_delay_alu instid0(VALU_DEP_1) | instskip(NEXT) | instid1(VALU_DEP_1)
	v_add_nc_u32_e32 v22, v22, v23
	v_mov_b32_dpp v23, v22 row_shr:4 row_mask:0xf bank_mask:0xf
	s_delay_alu instid0(VALU_DEP_1) | instskip(NEXT) | instid1(VALU_DEP_1)
	v_cndmask_b32_e64 v23, 0, v23, s4
	v_add_nc_u32_e32 v22, v22, v23
	s_delay_alu instid0(VALU_DEP_1) | instskip(NEXT) | instid1(VALU_DEP_1)
	v_mov_b32_dpp v23, v22 row_shr:8 row_mask:0xf bank_mask:0xf
	v_cndmask_b32_e64 v23, 0, v23, s1
	s_delay_alu instid0(VALU_DEP_1)
	v_add_nc_u32_e32 v22, v22, v23
	ds_store_b32 v18, v22
.LBB184_403:
	s_or_b32 exec_lo, exec_lo, s5
	v_mov_b32_e32 v18, 0
	v_mov_b32_e32 v22, 0
	s_mov_b32 s0, exec_lo
	s_waitcnt lgkmcnt(0)
	s_barrier
	buffer_gl0_inv
	v_cmpx_lt_u32_e32 31, v0
	s_cbranch_execz .LBB184_405
; %bb.404:
	v_lshl_add_u32 v22, v43, 2, -4
	ds_load_b32 v22, v22
.LBB184_405:
	s_or_b32 exec_lo, exec_lo, s0
	v_add_nc_u32_e32 v23, -1, v42
	s_waitcnt lgkmcnt(0)
	v_add_nc_u32_e32 v17, v22, v17
	s_delay_alu instid0(VALU_DEP_2) | instskip(SKIP_1) | instid1(VALU_DEP_1)
	v_cmp_gt_i32_e32 vcc_lo, 0, v23
	v_cndmask_b32_e32 v23, v23, v42, vcc_lo
	v_lshlrev_b32_e32 v23, 2, v23
	ds_bpermute_b32 v23, v23, v17
	ds_load_b32 v17, v18 offset:60
	s_and_saveexec_b32 s0, s2
	s_cbranch_execz .LBB184_407
; %bb.406:
	v_mov_b32_e32 v24, 0
	v_mov_b32_e32 v18, 2
	s_waitcnt lgkmcnt(0)
	global_store_b64 v24, v[17:18], s[18:19] offset:256
.LBB184_407:
	s_or_b32 exec_lo, exec_lo, s0
	v_cmp_eq_u32_e32 vcc_lo, 0, v42
	s_waitcnt lgkmcnt(0)
	s_waitcnt_vscnt null, 0x0
	s_barrier
	buffer_gl0_inv
	v_cndmask_b32_e32 v18, v23, v22, vcc_lo
	s_delay_alu instid0(VALU_DEP_1) | instskip(NEXT) | instid1(VALU_DEP_1)
	v_cndmask_b32_e64 v37, v18, 0, s2
	v_dual_mov_b32 v18, 0 :: v_dual_add_nc_u32 v35, v37, v28
	s_delay_alu instid0(VALU_DEP_1) | instskip(NEXT) | instid1(VALU_DEP_1)
	v_add_nc_u32_e32 v33, v35, v30
	v_add_nc_u32_e32 v31, v33, v32
	s_delay_alu instid0(VALU_DEP_1) | instskip(NEXT) | instid1(VALU_DEP_1)
	v_add_nc_u32_e32 v29, v31, v34
	v_add_nc_u32_e32 v27, v29, v36
	;; [unrolled: 3-line block ×3, first 2 shown]
.LBB184_408:
	s_waitcnt lgkmcnt(0)
	v_cmp_gt_u32_e32 vcc_lo, 0x201, v17
	v_lshrrev_b32_e32 v43, 8, v19
	v_lshrrev_b32_e32 v42, 16, v19
	;; [unrolled: 1-line block ×4, first 2 shown]
	s_mov_b32 s0, -1
	s_cbranch_vccnz .LBB184_412
; %bb.409:
	s_and_b32 vcc_lo, exec_lo, s0
	s_cbranch_vccnz .LBB184_437
.LBB184_410:
	s_and_b32 s0, s2, s13
	s_delay_alu instid0(SALU_CYCLE_1)
	s_and_saveexec_b32 s1, s0
	s_cbranch_execnz .LBB184_457
.LBB184_411:
	s_nop 0
	s_sendmsg sendmsg(MSG_DEALLOC_VGPRS)
	s_endpgm
.LBB184_412:
	v_add_nc_u32_e32 v24, v18, v17
	s_delay_alu instid0(VALU_DEP_1) | instskip(SKIP_1) | instid1(SALU_CYCLE_1)
	v_cmp_lt_u32_e32 vcc_lo, v37, v24
	s_or_b32 s1, s22, vcc_lo
	s_and_saveexec_b32 s0, s1
	s_cbranch_execz .LBB184_415
; %bb.413:
	v_and_b32_e32 v26, 1, v19
	s_delay_alu instid0(VALU_DEP_1)
	v_cmp_eq_u32_e32 vcc_lo, 1, v26
	s_and_b32 exec_lo, exec_lo, vcc_lo
	s_cbranch_execz .LBB184_415
; %bb.414:
	v_mov_b32_e32 v38, 0
	s_lshl_b64 s[4:5], s[10:11], 3
	s_delay_alu instid0(SALU_CYCLE_1) | instskip(SKIP_1) | instid1(VALU_DEP_1)
	s_add_u32 s1, s20, s4
	s_addc_u32 s3, s21, s5
	v_lshlrev_b64 v[44:45], 3, v[37:38]
	s_delay_alu instid0(VALU_DEP_1) | instskip(NEXT) | instid1(VALU_DEP_2)
	v_add_co_u32 v44, vcc_lo, s1, v44
	v_add_co_ci_u32_e32 v45, vcc_lo, s3, v45, vcc_lo
	global_store_b64 v[44:45], v[13:14], off
.LBB184_415:
	s_or_b32 exec_lo, exec_lo, s0
	v_cmp_lt_u32_e32 vcc_lo, v35, v24
	s_or_b32 s1, s22, vcc_lo
	s_delay_alu instid0(SALU_CYCLE_1)
	s_and_saveexec_b32 s0, s1
	s_cbranch_execz .LBB184_418
; %bb.416:
	v_and_b32_e32 v26, 1, v43
	s_delay_alu instid0(VALU_DEP_1)
	v_cmp_eq_u32_e32 vcc_lo, 1, v26
	s_and_b32 exec_lo, exec_lo, vcc_lo
	s_cbranch_execz .LBB184_418
; %bb.417:
	v_mov_b32_e32 v36, 0
	s_lshl_b64 s[4:5], s[10:11], 3
	s_delay_alu instid0(SALU_CYCLE_1) | instskip(SKIP_1) | instid1(VALU_DEP_1)
	s_add_u32 s1, s20, s4
	s_addc_u32 s3, s21, s5
	v_lshlrev_b64 v[44:45], 3, v[35:36]
	s_delay_alu instid0(VALU_DEP_1) | instskip(NEXT) | instid1(VALU_DEP_2)
	v_add_co_u32 v44, vcc_lo, s1, v44
	v_add_co_ci_u32_e32 v45, vcc_lo, s3, v45, vcc_lo
	global_store_b64 v[44:45], v[15:16], off
.LBB184_418:
	s_or_b32 exec_lo, exec_lo, s0
	v_cmp_lt_u32_e32 vcc_lo, v33, v24
	s_or_b32 s1, s22, vcc_lo
	s_delay_alu instid0(SALU_CYCLE_1)
	;; [unrolled: 24-line block ×7, first 2 shown]
	s_and_saveexec_b32 s0, s1
	s_cbranch_execz .LBB184_436
; %bb.434:
	v_and_b32_e32 v24, 1, v40
	s_delay_alu instid0(VALU_DEP_1)
	v_cmp_eq_u32_e32 vcc_lo, 1, v24
	s_and_b32 exec_lo, exec_lo, vcc_lo
	s_cbranch_execz .LBB184_436
; %bb.435:
	v_mov_b32_e32 v24, 0
	s_lshl_b64 s[4:5], s[10:11], 3
	s_delay_alu instid0(SALU_CYCLE_1) | instskip(SKIP_1) | instid1(VALU_DEP_1)
	s_add_u32 s1, s20, s4
	s_addc_u32 s3, s21, s5
	v_lshlrev_b64 v[44:45], 3, v[23:24]
	s_delay_alu instid0(VALU_DEP_1) | instskip(NEXT) | instid1(VALU_DEP_2)
	v_add_co_u32 v44, vcc_lo, s1, v44
	v_add_co_ci_u32_e32 v45, vcc_lo, s3, v45, vcc_lo
	global_store_b64 v[44:45], v[3:4], off
.LBB184_436:
	s_or_b32 exec_lo, exec_lo, s0
	s_branch .LBB184_410
.LBB184_437:
	v_and_b32_e32 v19, 1, v19
	s_mov_b32 s0, exec_lo
	s_delay_alu instid0(VALU_DEP_1)
	v_cmpx_eq_u32_e32 1, v19
	s_cbranch_execz .LBB184_439
; %bb.438:
	v_sub_nc_u32_e32 v19, v37, v18
	s_delay_alu instid0(VALU_DEP_1)
	v_lshlrev_b32_e32 v19, 3, v19
	ds_store_b64 v19, v[13:14]
.LBB184_439:
	s_or_b32 exec_lo, exec_lo, s0
	v_and_b32_e32 v13, 1, v43
	s_mov_b32 s0, exec_lo
	s_delay_alu instid0(VALU_DEP_1)
	v_cmpx_eq_u32_e32 1, v13
	s_cbranch_execz .LBB184_441
; %bb.440:
	v_sub_nc_u32_e32 v13, v35, v18
	s_delay_alu instid0(VALU_DEP_1)
	v_lshlrev_b32_e32 v13, 3, v13
	ds_store_b64 v13, v[15:16]
.LBB184_441:
	s_or_b32 exec_lo, exec_lo, s0
	;; [unrolled: 12-line block ×8, first 2 shown]
	s_delay_alu instid0(SALU_CYCLE_1)
	s_mov_b32 s1, exec_lo
	s_waitcnt lgkmcnt(0)
	s_waitcnt_vscnt null, 0x0
	s_barrier
	buffer_gl0_inv
	v_cmpx_lt_u32_e64 v0, v17
	s_cbranch_execz .LBB184_456
; %bb.454:
	v_dual_mov_b32 v2, 0 :: v_dual_mov_b32 v1, v18
	s_lshl_b64 s[4:5], s[10:11], 3
	s_mov_b32 s3, 0
	s_delay_alu instid0(VALU_DEP_1) | instskip(NEXT) | instid1(VALU_DEP_1)
	v_lshlrev_b64 v[1:2], 3, v[1:2]
	v_add_co_u32 v1, vcc_lo, s4, v1
	s_delay_alu instid0(VALU_DEP_2) | instskip(NEXT) | instid1(VALU_DEP_2)
	v_add_co_ci_u32_e32 v2, vcc_lo, s5, v2, vcc_lo
	v_add_co_u32 v1, vcc_lo, s20, v1
	s_delay_alu instid0(VALU_DEP_2) | instskip(NEXT) | instid1(VALU_DEP_2)
	v_add_co_ci_u32_e32 v2, vcc_lo, s21, v2, vcc_lo
	v_add_co_u32 v1, vcc_lo, v1, v39
	s_delay_alu instid0(VALU_DEP_2)
	v_add_co_ci_u32_e32 v2, vcc_lo, 0, v2, vcc_lo
	.p2align	6
.LBB184_455:                            ; =>This Inner Loop Header: Depth=1
	ds_load_b64 v[3:4], v39
	v_add_nc_u32_e32 v0, 0x200, v0
	v_add_nc_u32_e32 v39, 0x1000, v39
	s_delay_alu instid0(VALU_DEP_2) | instskip(SKIP_4) | instid1(VALU_DEP_1)
	v_cmp_ge_u32_e32 vcc_lo, v0, v17
	s_or_b32 s3, vcc_lo, s3
	s_waitcnt lgkmcnt(0)
	global_store_b64 v[1:2], v[3:4], off
	v_add_co_u32 v1, s0, 0x1000, v1
	v_add_co_ci_u32_e64 v2, s0, 0, v2, s0
	s_and_not1_b32 exec_lo, exec_lo, s3
	s_cbranch_execnz .LBB184_455
.LBB184_456:
	s_or_b32 exec_lo, exec_lo, s1
	s_and_b32 s0, s2, s13
	s_delay_alu instid0(SALU_CYCLE_1)
	s_and_saveexec_b32 s1, s0
	s_cbranch_execz .LBB184_411
.LBB184_457:
	v_add_co_u32 v0, s0, s10, v17
	s_delay_alu instid0(VALU_DEP_1) | instskip(SKIP_1) | instid1(VALU_DEP_3)
	v_add_co_ci_u32_e64 v1, null, s11, 0, s0
	v_mov_b32_e32 v2, 0
	v_add_co_u32 v0, vcc_lo, v0, v18
	s_delay_alu instid0(VALU_DEP_3)
	v_add_co_ci_u32_e32 v1, vcc_lo, 0, v1, vcc_lo
	global_store_b64 v2, v[0:1], s[8:9]
	s_nop 0
	s_sendmsg sendmsg(MSG_DEALLOC_VGPRS)
	s_endpgm
	.section	.rodata,"a",@progbits
	.p2align	6, 0x0
	.amdhsa_kernel _ZN7rocprim17ROCPRIM_400000_NS6detail17trampoline_kernelINS0_14default_configENS1_25partition_config_selectorILNS1_17partition_subalgoE8ElNS0_10empty_typeEbEEZZNS1_14partition_implILS5_8ELb0ES3_jPlPS6_PKS6_NS0_5tupleIJS9_S6_EEENSD_IJSA_SA_EEENS0_18inequality_wrapperIZN2at6native12_GLOBAL__N_124unique_dim_cuda_templateIhEESt5tupleIJNSH_6TensorESM_SM_EERKSM_lbbbEUlllE0_EEPmJS6_EEE10hipError_tPvRmT3_T4_T5_T6_T7_T9_mT8_P12ihipStream_tbDpT10_ENKUlT_T0_E_clISt17integral_constantIbLb1EES1C_EEDaS17_S18_EUlS17_E_NS1_11comp_targetILNS1_3genE9ELNS1_11target_archE1100ELNS1_3gpuE3ELNS1_3repE0EEENS1_30default_config_static_selectorELNS0_4arch9wavefront6targetE0EEEvT1_
		.amdhsa_group_segment_fixed_size 33804
		.amdhsa_private_segment_fixed_size 0
		.amdhsa_kernarg_size 136
		.amdhsa_user_sgpr_count 15
		.amdhsa_user_sgpr_dispatch_ptr 0
		.amdhsa_user_sgpr_queue_ptr 0
		.amdhsa_user_sgpr_kernarg_segment_ptr 1
		.amdhsa_user_sgpr_dispatch_id 0
		.amdhsa_user_sgpr_private_segment_size 0
		.amdhsa_wavefront_size32 1
		.amdhsa_uses_dynamic_stack 0
		.amdhsa_enable_private_segment 0
		.amdhsa_system_sgpr_workgroup_id_x 1
		.amdhsa_system_sgpr_workgroup_id_y 0
		.amdhsa_system_sgpr_workgroup_id_z 0
		.amdhsa_system_sgpr_workgroup_info 0
		.amdhsa_system_vgpr_workitem_id 0
		.amdhsa_next_free_vgpr 52
		.amdhsa_next_free_sgpr 38
		.amdhsa_reserve_vcc 1
		.amdhsa_float_round_mode_32 0
		.amdhsa_float_round_mode_16_64 0
		.amdhsa_float_denorm_mode_32 3
		.amdhsa_float_denorm_mode_16_64 3
		.amdhsa_dx10_clamp 1
		.amdhsa_ieee_mode 1
		.amdhsa_fp16_overflow 0
		.amdhsa_workgroup_processor_mode 1
		.amdhsa_memory_ordered 1
		.amdhsa_forward_progress 0
		.amdhsa_shared_vgpr_count 0
		.amdhsa_exception_fp_ieee_invalid_op 0
		.amdhsa_exception_fp_denorm_src 0
		.amdhsa_exception_fp_ieee_div_zero 0
		.amdhsa_exception_fp_ieee_overflow 0
		.amdhsa_exception_fp_ieee_underflow 0
		.amdhsa_exception_fp_ieee_inexact 0
		.amdhsa_exception_int_div_zero 0
	.end_amdhsa_kernel
	.section	.text._ZN7rocprim17ROCPRIM_400000_NS6detail17trampoline_kernelINS0_14default_configENS1_25partition_config_selectorILNS1_17partition_subalgoE8ElNS0_10empty_typeEbEEZZNS1_14partition_implILS5_8ELb0ES3_jPlPS6_PKS6_NS0_5tupleIJS9_S6_EEENSD_IJSA_SA_EEENS0_18inequality_wrapperIZN2at6native12_GLOBAL__N_124unique_dim_cuda_templateIhEESt5tupleIJNSH_6TensorESM_SM_EERKSM_lbbbEUlllE0_EEPmJS6_EEE10hipError_tPvRmT3_T4_T5_T6_T7_T9_mT8_P12ihipStream_tbDpT10_ENKUlT_T0_E_clISt17integral_constantIbLb1EES1C_EEDaS17_S18_EUlS17_E_NS1_11comp_targetILNS1_3genE9ELNS1_11target_archE1100ELNS1_3gpuE3ELNS1_3repE0EEENS1_30default_config_static_selectorELNS0_4arch9wavefront6targetE0EEEvT1_,"axG",@progbits,_ZN7rocprim17ROCPRIM_400000_NS6detail17trampoline_kernelINS0_14default_configENS1_25partition_config_selectorILNS1_17partition_subalgoE8ElNS0_10empty_typeEbEEZZNS1_14partition_implILS5_8ELb0ES3_jPlPS6_PKS6_NS0_5tupleIJS9_S6_EEENSD_IJSA_SA_EEENS0_18inequality_wrapperIZN2at6native12_GLOBAL__N_124unique_dim_cuda_templateIhEESt5tupleIJNSH_6TensorESM_SM_EERKSM_lbbbEUlllE0_EEPmJS6_EEE10hipError_tPvRmT3_T4_T5_T6_T7_T9_mT8_P12ihipStream_tbDpT10_ENKUlT_T0_E_clISt17integral_constantIbLb1EES1C_EEDaS17_S18_EUlS17_E_NS1_11comp_targetILNS1_3genE9ELNS1_11target_archE1100ELNS1_3gpuE3ELNS1_3repE0EEENS1_30default_config_static_selectorELNS0_4arch9wavefront6targetE0EEEvT1_,comdat
.Lfunc_end184:
	.size	_ZN7rocprim17ROCPRIM_400000_NS6detail17trampoline_kernelINS0_14default_configENS1_25partition_config_selectorILNS1_17partition_subalgoE8ElNS0_10empty_typeEbEEZZNS1_14partition_implILS5_8ELb0ES3_jPlPS6_PKS6_NS0_5tupleIJS9_S6_EEENSD_IJSA_SA_EEENS0_18inequality_wrapperIZN2at6native12_GLOBAL__N_124unique_dim_cuda_templateIhEESt5tupleIJNSH_6TensorESM_SM_EERKSM_lbbbEUlllE0_EEPmJS6_EEE10hipError_tPvRmT3_T4_T5_T6_T7_T9_mT8_P12ihipStream_tbDpT10_ENKUlT_T0_E_clISt17integral_constantIbLb1EES1C_EEDaS17_S18_EUlS17_E_NS1_11comp_targetILNS1_3genE9ELNS1_11target_archE1100ELNS1_3gpuE3ELNS1_3repE0EEENS1_30default_config_static_selectorELNS0_4arch9wavefront6targetE0EEEvT1_, .Lfunc_end184-_ZN7rocprim17ROCPRIM_400000_NS6detail17trampoline_kernelINS0_14default_configENS1_25partition_config_selectorILNS1_17partition_subalgoE8ElNS0_10empty_typeEbEEZZNS1_14partition_implILS5_8ELb0ES3_jPlPS6_PKS6_NS0_5tupleIJS9_S6_EEENSD_IJSA_SA_EEENS0_18inequality_wrapperIZN2at6native12_GLOBAL__N_124unique_dim_cuda_templateIhEESt5tupleIJNSH_6TensorESM_SM_EERKSM_lbbbEUlllE0_EEPmJS6_EEE10hipError_tPvRmT3_T4_T5_T6_T7_T9_mT8_P12ihipStream_tbDpT10_ENKUlT_T0_E_clISt17integral_constantIbLb1EES1C_EEDaS17_S18_EUlS17_E_NS1_11comp_targetILNS1_3genE9ELNS1_11target_archE1100ELNS1_3gpuE3ELNS1_3repE0EEENS1_30default_config_static_selectorELNS0_4arch9wavefront6targetE0EEEvT1_
                                        ; -- End function
	.section	.AMDGPU.csdata,"",@progbits
; Kernel info:
; codeLenInByte = 16444
; NumSgprs: 40
; NumVgprs: 52
; ScratchSize: 0
; MemoryBound: 0
; FloatMode: 240
; IeeeMode: 1
; LDSByteSize: 33804 bytes/workgroup (compile time only)
; SGPRBlocks: 4
; VGPRBlocks: 6
; NumSGPRsForWavesPerEU: 40
; NumVGPRsForWavesPerEU: 52
; Occupancy: 12
; WaveLimiterHint : 1
; COMPUTE_PGM_RSRC2:SCRATCH_EN: 0
; COMPUTE_PGM_RSRC2:USER_SGPR: 15
; COMPUTE_PGM_RSRC2:TRAP_HANDLER: 0
; COMPUTE_PGM_RSRC2:TGID_X_EN: 1
; COMPUTE_PGM_RSRC2:TGID_Y_EN: 0
; COMPUTE_PGM_RSRC2:TGID_Z_EN: 0
; COMPUTE_PGM_RSRC2:TIDIG_COMP_CNT: 0
	.section	.text._ZN7rocprim17ROCPRIM_400000_NS6detail17trampoline_kernelINS0_14default_configENS1_25partition_config_selectorILNS1_17partition_subalgoE8ElNS0_10empty_typeEbEEZZNS1_14partition_implILS5_8ELb0ES3_jPlPS6_PKS6_NS0_5tupleIJS9_S6_EEENSD_IJSA_SA_EEENS0_18inequality_wrapperIZN2at6native12_GLOBAL__N_124unique_dim_cuda_templateIhEESt5tupleIJNSH_6TensorESM_SM_EERKSM_lbbbEUlllE0_EEPmJS6_EEE10hipError_tPvRmT3_T4_T5_T6_T7_T9_mT8_P12ihipStream_tbDpT10_ENKUlT_T0_E_clISt17integral_constantIbLb1EES1C_EEDaS17_S18_EUlS17_E_NS1_11comp_targetILNS1_3genE8ELNS1_11target_archE1030ELNS1_3gpuE2ELNS1_3repE0EEENS1_30default_config_static_selectorELNS0_4arch9wavefront6targetE0EEEvT1_,"axG",@progbits,_ZN7rocprim17ROCPRIM_400000_NS6detail17trampoline_kernelINS0_14default_configENS1_25partition_config_selectorILNS1_17partition_subalgoE8ElNS0_10empty_typeEbEEZZNS1_14partition_implILS5_8ELb0ES3_jPlPS6_PKS6_NS0_5tupleIJS9_S6_EEENSD_IJSA_SA_EEENS0_18inequality_wrapperIZN2at6native12_GLOBAL__N_124unique_dim_cuda_templateIhEESt5tupleIJNSH_6TensorESM_SM_EERKSM_lbbbEUlllE0_EEPmJS6_EEE10hipError_tPvRmT3_T4_T5_T6_T7_T9_mT8_P12ihipStream_tbDpT10_ENKUlT_T0_E_clISt17integral_constantIbLb1EES1C_EEDaS17_S18_EUlS17_E_NS1_11comp_targetILNS1_3genE8ELNS1_11target_archE1030ELNS1_3gpuE2ELNS1_3repE0EEENS1_30default_config_static_selectorELNS0_4arch9wavefront6targetE0EEEvT1_,comdat
	.globl	_ZN7rocprim17ROCPRIM_400000_NS6detail17trampoline_kernelINS0_14default_configENS1_25partition_config_selectorILNS1_17partition_subalgoE8ElNS0_10empty_typeEbEEZZNS1_14partition_implILS5_8ELb0ES3_jPlPS6_PKS6_NS0_5tupleIJS9_S6_EEENSD_IJSA_SA_EEENS0_18inequality_wrapperIZN2at6native12_GLOBAL__N_124unique_dim_cuda_templateIhEESt5tupleIJNSH_6TensorESM_SM_EERKSM_lbbbEUlllE0_EEPmJS6_EEE10hipError_tPvRmT3_T4_T5_T6_T7_T9_mT8_P12ihipStream_tbDpT10_ENKUlT_T0_E_clISt17integral_constantIbLb1EES1C_EEDaS17_S18_EUlS17_E_NS1_11comp_targetILNS1_3genE8ELNS1_11target_archE1030ELNS1_3gpuE2ELNS1_3repE0EEENS1_30default_config_static_selectorELNS0_4arch9wavefront6targetE0EEEvT1_ ; -- Begin function _ZN7rocprim17ROCPRIM_400000_NS6detail17trampoline_kernelINS0_14default_configENS1_25partition_config_selectorILNS1_17partition_subalgoE8ElNS0_10empty_typeEbEEZZNS1_14partition_implILS5_8ELb0ES3_jPlPS6_PKS6_NS0_5tupleIJS9_S6_EEENSD_IJSA_SA_EEENS0_18inequality_wrapperIZN2at6native12_GLOBAL__N_124unique_dim_cuda_templateIhEESt5tupleIJNSH_6TensorESM_SM_EERKSM_lbbbEUlllE0_EEPmJS6_EEE10hipError_tPvRmT3_T4_T5_T6_T7_T9_mT8_P12ihipStream_tbDpT10_ENKUlT_T0_E_clISt17integral_constantIbLb1EES1C_EEDaS17_S18_EUlS17_E_NS1_11comp_targetILNS1_3genE8ELNS1_11target_archE1030ELNS1_3gpuE2ELNS1_3repE0EEENS1_30default_config_static_selectorELNS0_4arch9wavefront6targetE0EEEvT1_
	.p2align	8
	.type	_ZN7rocprim17ROCPRIM_400000_NS6detail17trampoline_kernelINS0_14default_configENS1_25partition_config_selectorILNS1_17partition_subalgoE8ElNS0_10empty_typeEbEEZZNS1_14partition_implILS5_8ELb0ES3_jPlPS6_PKS6_NS0_5tupleIJS9_S6_EEENSD_IJSA_SA_EEENS0_18inequality_wrapperIZN2at6native12_GLOBAL__N_124unique_dim_cuda_templateIhEESt5tupleIJNSH_6TensorESM_SM_EERKSM_lbbbEUlllE0_EEPmJS6_EEE10hipError_tPvRmT3_T4_T5_T6_T7_T9_mT8_P12ihipStream_tbDpT10_ENKUlT_T0_E_clISt17integral_constantIbLb1EES1C_EEDaS17_S18_EUlS17_E_NS1_11comp_targetILNS1_3genE8ELNS1_11target_archE1030ELNS1_3gpuE2ELNS1_3repE0EEENS1_30default_config_static_selectorELNS0_4arch9wavefront6targetE0EEEvT1_,@function
_ZN7rocprim17ROCPRIM_400000_NS6detail17trampoline_kernelINS0_14default_configENS1_25partition_config_selectorILNS1_17partition_subalgoE8ElNS0_10empty_typeEbEEZZNS1_14partition_implILS5_8ELb0ES3_jPlPS6_PKS6_NS0_5tupleIJS9_S6_EEENSD_IJSA_SA_EEENS0_18inequality_wrapperIZN2at6native12_GLOBAL__N_124unique_dim_cuda_templateIhEESt5tupleIJNSH_6TensorESM_SM_EERKSM_lbbbEUlllE0_EEPmJS6_EEE10hipError_tPvRmT3_T4_T5_T6_T7_T9_mT8_P12ihipStream_tbDpT10_ENKUlT_T0_E_clISt17integral_constantIbLb1EES1C_EEDaS17_S18_EUlS17_E_NS1_11comp_targetILNS1_3genE8ELNS1_11target_archE1030ELNS1_3gpuE2ELNS1_3repE0EEENS1_30default_config_static_selectorELNS0_4arch9wavefront6targetE0EEEvT1_: ; @_ZN7rocprim17ROCPRIM_400000_NS6detail17trampoline_kernelINS0_14default_configENS1_25partition_config_selectorILNS1_17partition_subalgoE8ElNS0_10empty_typeEbEEZZNS1_14partition_implILS5_8ELb0ES3_jPlPS6_PKS6_NS0_5tupleIJS9_S6_EEENSD_IJSA_SA_EEENS0_18inequality_wrapperIZN2at6native12_GLOBAL__N_124unique_dim_cuda_templateIhEESt5tupleIJNSH_6TensorESM_SM_EERKSM_lbbbEUlllE0_EEPmJS6_EEE10hipError_tPvRmT3_T4_T5_T6_T7_T9_mT8_P12ihipStream_tbDpT10_ENKUlT_T0_E_clISt17integral_constantIbLb1EES1C_EEDaS17_S18_EUlS17_E_NS1_11comp_targetILNS1_3genE8ELNS1_11target_archE1030ELNS1_3gpuE2ELNS1_3repE0EEENS1_30default_config_static_selectorELNS0_4arch9wavefront6targetE0EEEvT1_
; %bb.0:
	.section	.rodata,"a",@progbits
	.p2align	6, 0x0
	.amdhsa_kernel _ZN7rocprim17ROCPRIM_400000_NS6detail17trampoline_kernelINS0_14default_configENS1_25partition_config_selectorILNS1_17partition_subalgoE8ElNS0_10empty_typeEbEEZZNS1_14partition_implILS5_8ELb0ES3_jPlPS6_PKS6_NS0_5tupleIJS9_S6_EEENSD_IJSA_SA_EEENS0_18inequality_wrapperIZN2at6native12_GLOBAL__N_124unique_dim_cuda_templateIhEESt5tupleIJNSH_6TensorESM_SM_EERKSM_lbbbEUlllE0_EEPmJS6_EEE10hipError_tPvRmT3_T4_T5_T6_T7_T9_mT8_P12ihipStream_tbDpT10_ENKUlT_T0_E_clISt17integral_constantIbLb1EES1C_EEDaS17_S18_EUlS17_E_NS1_11comp_targetILNS1_3genE8ELNS1_11target_archE1030ELNS1_3gpuE2ELNS1_3repE0EEENS1_30default_config_static_selectorELNS0_4arch9wavefront6targetE0EEEvT1_
		.amdhsa_group_segment_fixed_size 0
		.amdhsa_private_segment_fixed_size 0
		.amdhsa_kernarg_size 136
		.amdhsa_user_sgpr_count 15
		.amdhsa_user_sgpr_dispatch_ptr 0
		.amdhsa_user_sgpr_queue_ptr 0
		.amdhsa_user_sgpr_kernarg_segment_ptr 1
		.amdhsa_user_sgpr_dispatch_id 0
		.amdhsa_user_sgpr_private_segment_size 0
		.amdhsa_wavefront_size32 1
		.amdhsa_uses_dynamic_stack 0
		.amdhsa_enable_private_segment 0
		.amdhsa_system_sgpr_workgroup_id_x 1
		.amdhsa_system_sgpr_workgroup_id_y 0
		.amdhsa_system_sgpr_workgroup_id_z 0
		.amdhsa_system_sgpr_workgroup_info 0
		.amdhsa_system_vgpr_workitem_id 0
		.amdhsa_next_free_vgpr 1
		.amdhsa_next_free_sgpr 1
		.amdhsa_reserve_vcc 0
		.amdhsa_float_round_mode_32 0
		.amdhsa_float_round_mode_16_64 0
		.amdhsa_float_denorm_mode_32 3
		.amdhsa_float_denorm_mode_16_64 3
		.amdhsa_dx10_clamp 1
		.amdhsa_ieee_mode 1
		.amdhsa_fp16_overflow 0
		.amdhsa_workgroup_processor_mode 1
		.amdhsa_memory_ordered 1
		.amdhsa_forward_progress 0
		.amdhsa_shared_vgpr_count 0
		.amdhsa_exception_fp_ieee_invalid_op 0
		.amdhsa_exception_fp_denorm_src 0
		.amdhsa_exception_fp_ieee_div_zero 0
		.amdhsa_exception_fp_ieee_overflow 0
		.amdhsa_exception_fp_ieee_underflow 0
		.amdhsa_exception_fp_ieee_inexact 0
		.amdhsa_exception_int_div_zero 0
	.end_amdhsa_kernel
	.section	.text._ZN7rocprim17ROCPRIM_400000_NS6detail17trampoline_kernelINS0_14default_configENS1_25partition_config_selectorILNS1_17partition_subalgoE8ElNS0_10empty_typeEbEEZZNS1_14partition_implILS5_8ELb0ES3_jPlPS6_PKS6_NS0_5tupleIJS9_S6_EEENSD_IJSA_SA_EEENS0_18inequality_wrapperIZN2at6native12_GLOBAL__N_124unique_dim_cuda_templateIhEESt5tupleIJNSH_6TensorESM_SM_EERKSM_lbbbEUlllE0_EEPmJS6_EEE10hipError_tPvRmT3_T4_T5_T6_T7_T9_mT8_P12ihipStream_tbDpT10_ENKUlT_T0_E_clISt17integral_constantIbLb1EES1C_EEDaS17_S18_EUlS17_E_NS1_11comp_targetILNS1_3genE8ELNS1_11target_archE1030ELNS1_3gpuE2ELNS1_3repE0EEENS1_30default_config_static_selectorELNS0_4arch9wavefront6targetE0EEEvT1_,"axG",@progbits,_ZN7rocprim17ROCPRIM_400000_NS6detail17trampoline_kernelINS0_14default_configENS1_25partition_config_selectorILNS1_17partition_subalgoE8ElNS0_10empty_typeEbEEZZNS1_14partition_implILS5_8ELb0ES3_jPlPS6_PKS6_NS0_5tupleIJS9_S6_EEENSD_IJSA_SA_EEENS0_18inequality_wrapperIZN2at6native12_GLOBAL__N_124unique_dim_cuda_templateIhEESt5tupleIJNSH_6TensorESM_SM_EERKSM_lbbbEUlllE0_EEPmJS6_EEE10hipError_tPvRmT3_T4_T5_T6_T7_T9_mT8_P12ihipStream_tbDpT10_ENKUlT_T0_E_clISt17integral_constantIbLb1EES1C_EEDaS17_S18_EUlS17_E_NS1_11comp_targetILNS1_3genE8ELNS1_11target_archE1030ELNS1_3gpuE2ELNS1_3repE0EEENS1_30default_config_static_selectorELNS0_4arch9wavefront6targetE0EEEvT1_,comdat
.Lfunc_end185:
	.size	_ZN7rocprim17ROCPRIM_400000_NS6detail17trampoline_kernelINS0_14default_configENS1_25partition_config_selectorILNS1_17partition_subalgoE8ElNS0_10empty_typeEbEEZZNS1_14partition_implILS5_8ELb0ES3_jPlPS6_PKS6_NS0_5tupleIJS9_S6_EEENSD_IJSA_SA_EEENS0_18inequality_wrapperIZN2at6native12_GLOBAL__N_124unique_dim_cuda_templateIhEESt5tupleIJNSH_6TensorESM_SM_EERKSM_lbbbEUlllE0_EEPmJS6_EEE10hipError_tPvRmT3_T4_T5_T6_T7_T9_mT8_P12ihipStream_tbDpT10_ENKUlT_T0_E_clISt17integral_constantIbLb1EES1C_EEDaS17_S18_EUlS17_E_NS1_11comp_targetILNS1_3genE8ELNS1_11target_archE1030ELNS1_3gpuE2ELNS1_3repE0EEENS1_30default_config_static_selectorELNS0_4arch9wavefront6targetE0EEEvT1_, .Lfunc_end185-_ZN7rocprim17ROCPRIM_400000_NS6detail17trampoline_kernelINS0_14default_configENS1_25partition_config_selectorILNS1_17partition_subalgoE8ElNS0_10empty_typeEbEEZZNS1_14partition_implILS5_8ELb0ES3_jPlPS6_PKS6_NS0_5tupleIJS9_S6_EEENSD_IJSA_SA_EEENS0_18inequality_wrapperIZN2at6native12_GLOBAL__N_124unique_dim_cuda_templateIhEESt5tupleIJNSH_6TensorESM_SM_EERKSM_lbbbEUlllE0_EEPmJS6_EEE10hipError_tPvRmT3_T4_T5_T6_T7_T9_mT8_P12ihipStream_tbDpT10_ENKUlT_T0_E_clISt17integral_constantIbLb1EES1C_EEDaS17_S18_EUlS17_E_NS1_11comp_targetILNS1_3genE8ELNS1_11target_archE1030ELNS1_3gpuE2ELNS1_3repE0EEENS1_30default_config_static_selectorELNS0_4arch9wavefront6targetE0EEEvT1_
                                        ; -- End function
	.section	.AMDGPU.csdata,"",@progbits
; Kernel info:
; codeLenInByte = 0
; NumSgprs: 0
; NumVgprs: 0
; ScratchSize: 0
; MemoryBound: 0
; FloatMode: 240
; IeeeMode: 1
; LDSByteSize: 0 bytes/workgroup (compile time only)
; SGPRBlocks: 0
; VGPRBlocks: 0
; NumSGPRsForWavesPerEU: 1
; NumVGPRsForWavesPerEU: 1
; Occupancy: 16
; WaveLimiterHint : 0
; COMPUTE_PGM_RSRC2:SCRATCH_EN: 0
; COMPUTE_PGM_RSRC2:USER_SGPR: 15
; COMPUTE_PGM_RSRC2:TRAP_HANDLER: 0
; COMPUTE_PGM_RSRC2:TGID_X_EN: 1
; COMPUTE_PGM_RSRC2:TGID_Y_EN: 0
; COMPUTE_PGM_RSRC2:TGID_Z_EN: 0
; COMPUTE_PGM_RSRC2:TIDIG_COMP_CNT: 0
	.section	.text._ZN7rocprim17ROCPRIM_400000_NS6detail31init_lookback_scan_state_kernelINS1_19lookback_scan_stateIjLb1ELb1EEENS1_16block_id_wrapperIjLb0EEEEEvT_jT0_jPNS7_10value_typeE,"axG",@progbits,_ZN7rocprim17ROCPRIM_400000_NS6detail31init_lookback_scan_state_kernelINS1_19lookback_scan_stateIjLb1ELb1EEENS1_16block_id_wrapperIjLb0EEEEEvT_jT0_jPNS7_10value_typeE,comdat
	.protected	_ZN7rocprim17ROCPRIM_400000_NS6detail31init_lookback_scan_state_kernelINS1_19lookback_scan_stateIjLb1ELb1EEENS1_16block_id_wrapperIjLb0EEEEEvT_jT0_jPNS7_10value_typeE ; -- Begin function _ZN7rocprim17ROCPRIM_400000_NS6detail31init_lookback_scan_state_kernelINS1_19lookback_scan_stateIjLb1ELb1EEENS1_16block_id_wrapperIjLb0EEEEEvT_jT0_jPNS7_10value_typeE
	.globl	_ZN7rocprim17ROCPRIM_400000_NS6detail31init_lookback_scan_state_kernelINS1_19lookback_scan_stateIjLb1ELb1EEENS1_16block_id_wrapperIjLb0EEEEEvT_jT0_jPNS7_10value_typeE
	.p2align	8
	.type	_ZN7rocprim17ROCPRIM_400000_NS6detail31init_lookback_scan_state_kernelINS1_19lookback_scan_stateIjLb1ELb1EEENS1_16block_id_wrapperIjLb0EEEEEvT_jT0_jPNS7_10value_typeE,@function
_ZN7rocprim17ROCPRIM_400000_NS6detail31init_lookback_scan_state_kernelINS1_19lookback_scan_stateIjLb1ELb1EEENS1_16block_id_wrapperIjLb0EEEEEvT_jT0_jPNS7_10value_typeE: ; @_ZN7rocprim17ROCPRIM_400000_NS6detail31init_lookback_scan_state_kernelINS1_19lookback_scan_stateIjLb1ELb1EEENS1_16block_id_wrapperIjLb0EEEEEvT_jT0_jPNS7_10value_typeE
; %bb.0:
	s_clause 0x3
	s_load_b32 s7, s[0:1], 0x2c
	s_load_b64 s[4:5], s[0:1], 0x18
	s_load_b64 s[2:3], s[0:1], 0x0
	s_load_b32 s6, s[0:1], 0x8
	s_waitcnt lgkmcnt(0)
	s_and_b32 s7, s7, 0xffff
	s_cmp_eq_u64 s[4:5], 0
	v_mad_u64_u32 v[1:2], null, s15, s7, v[0:1]
	s_cbranch_scc1 .LBB186_9
; %bb.1:
	s_load_b32 s0, s[0:1], 0x10
	s_waitcnt lgkmcnt(0)
	s_cmp_lt_u32 s0, s6
	s_cselect_b32 s1, s0, 0
	s_delay_alu instid0(VALU_DEP_1) | instid1(SALU_CYCLE_1)
	v_cmp_eq_u32_e32 vcc_lo, s1, v1
	s_mov_b32 s1, 0
	s_and_saveexec_b32 s7, vcc_lo
	s_cbranch_execz .LBB186_8
; %bb.2:
	s_add_i32 s0, s0, 32
	v_mov_b32_e32 v2, 0
	s_lshl_b64 s[0:1], s[0:1], 3
	s_delay_alu instid0(SALU_CYCLE_1) | instskip(SKIP_4) | instid1(VALU_DEP_1)
	s_add_u32 s0, s2, s0
	s_addc_u32 s1, s3, s1
	global_load_b64 v[4:5], v2, s[0:1] glc
	s_waitcnt vmcnt(0)
	v_and_b32_e32 v3, 0xff, v5
	v_cmp_ne_u64_e32 vcc_lo, 0, v[2:3]
	s_cbranch_vccnz .LBB186_7
; %bb.3:
	s_mov_b32 s8, 1
.LBB186_4:                              ; =>This Loop Header: Depth=1
                                        ;     Child Loop BB186_5 Depth 2
	s_delay_alu instid0(SALU_CYCLE_1)
	s_max_u32 s9, s8, 1
.LBB186_5:                              ;   Parent Loop BB186_4 Depth=1
                                        ; =>  This Inner Loop Header: Depth=2
	s_delay_alu instid0(SALU_CYCLE_1)
	s_add_i32 s9, s9, -1
	s_sleep 1
	s_cmp_eq_u32 s9, 0
	s_cbranch_scc0 .LBB186_5
; %bb.6:                                ;   in Loop: Header=BB186_4 Depth=1
	global_load_b64 v[4:5], v2, s[0:1] glc
	s_cmp_lt_u32 s8, 32
	s_cselect_b32 s9, -1, 0
	s_delay_alu instid0(SALU_CYCLE_1) | instskip(SKIP_3) | instid1(VALU_DEP_1)
	s_cmp_lg_u32 s9, 0
	s_addc_u32 s8, s8, 0
	s_waitcnt vmcnt(0)
	v_and_b32_e32 v3, 0xff, v5
	v_cmp_ne_u64_e32 vcc_lo, 0, v[2:3]
	s_cbranch_vccz .LBB186_4
.LBB186_7:
	v_mov_b32_e32 v0, 0
	global_store_b32 v0, v4, s[4:5]
.LBB186_8:
	s_or_b32 exec_lo, exec_lo, s7
.LBB186_9:
	s_delay_alu instid0(SALU_CYCLE_1) | instskip(NEXT) | instid1(VALU_DEP_1)
	s_mov_b32 s0, exec_lo
	v_cmpx_gt_u32_e64 s6, v1
	s_cbranch_execz .LBB186_11
; %bb.10:
	v_dual_mov_b32 v3, 0 :: v_dual_add_nc_u32 v2, 32, v1
	s_delay_alu instid0(VALU_DEP_1) | instskip(SKIP_1) | instid1(VALU_DEP_2)
	v_lshlrev_b64 v[4:5], 3, v[2:3]
	v_mov_b32_e32 v2, v3
	v_add_co_u32 v4, vcc_lo, s2, v4
	s_delay_alu instid0(VALU_DEP_3)
	v_add_co_ci_u32_e32 v5, vcc_lo, s3, v5, vcc_lo
	global_store_b64 v[4:5], v[2:3], off
.LBB186_11:
	s_or_b32 exec_lo, exec_lo, s0
	s_delay_alu instid0(SALU_CYCLE_1)
	s_mov_b32 s0, exec_lo
	v_cmpx_gt_u32_e32 32, v1
	s_cbranch_execz .LBB186_13
; %bb.12:
	v_dual_mov_b32 v2, 0 :: v_dual_mov_b32 v3, 0xff
	s_delay_alu instid0(VALU_DEP_1) | instskip(NEXT) | instid1(VALU_DEP_1)
	v_lshlrev_b64 v[0:1], 3, v[1:2]
	v_add_co_u32 v0, vcc_lo, s2, v0
	s_delay_alu instid0(VALU_DEP_2)
	v_add_co_ci_u32_e32 v1, vcc_lo, s3, v1, vcc_lo
	global_store_b64 v[0:1], v[2:3], off
.LBB186_13:
	s_nop 0
	s_sendmsg sendmsg(MSG_DEALLOC_VGPRS)
	s_endpgm
	.section	.rodata,"a",@progbits
	.p2align	6, 0x0
	.amdhsa_kernel _ZN7rocprim17ROCPRIM_400000_NS6detail31init_lookback_scan_state_kernelINS1_19lookback_scan_stateIjLb1ELb1EEENS1_16block_id_wrapperIjLb0EEEEEvT_jT0_jPNS7_10value_typeE
		.amdhsa_group_segment_fixed_size 0
		.amdhsa_private_segment_fixed_size 0
		.amdhsa_kernarg_size 288
		.amdhsa_user_sgpr_count 15
		.amdhsa_user_sgpr_dispatch_ptr 0
		.amdhsa_user_sgpr_queue_ptr 0
		.amdhsa_user_sgpr_kernarg_segment_ptr 1
		.amdhsa_user_sgpr_dispatch_id 0
		.amdhsa_user_sgpr_private_segment_size 0
		.amdhsa_wavefront_size32 1
		.amdhsa_uses_dynamic_stack 0
		.amdhsa_enable_private_segment 0
		.amdhsa_system_sgpr_workgroup_id_x 1
		.amdhsa_system_sgpr_workgroup_id_y 0
		.amdhsa_system_sgpr_workgroup_id_z 0
		.amdhsa_system_sgpr_workgroup_info 0
		.amdhsa_system_vgpr_workitem_id 0
		.amdhsa_next_free_vgpr 6
		.amdhsa_next_free_sgpr 16
		.amdhsa_reserve_vcc 1
		.amdhsa_float_round_mode_32 0
		.amdhsa_float_round_mode_16_64 0
		.amdhsa_float_denorm_mode_32 3
		.amdhsa_float_denorm_mode_16_64 3
		.amdhsa_dx10_clamp 1
		.amdhsa_ieee_mode 1
		.amdhsa_fp16_overflow 0
		.amdhsa_workgroup_processor_mode 1
		.amdhsa_memory_ordered 1
		.amdhsa_forward_progress 0
		.amdhsa_shared_vgpr_count 0
		.amdhsa_exception_fp_ieee_invalid_op 0
		.amdhsa_exception_fp_denorm_src 0
		.amdhsa_exception_fp_ieee_div_zero 0
		.amdhsa_exception_fp_ieee_overflow 0
		.amdhsa_exception_fp_ieee_underflow 0
		.amdhsa_exception_fp_ieee_inexact 0
		.amdhsa_exception_int_div_zero 0
	.end_amdhsa_kernel
	.section	.text._ZN7rocprim17ROCPRIM_400000_NS6detail31init_lookback_scan_state_kernelINS1_19lookback_scan_stateIjLb1ELb1EEENS1_16block_id_wrapperIjLb0EEEEEvT_jT0_jPNS7_10value_typeE,"axG",@progbits,_ZN7rocprim17ROCPRIM_400000_NS6detail31init_lookback_scan_state_kernelINS1_19lookback_scan_stateIjLb1ELb1EEENS1_16block_id_wrapperIjLb0EEEEEvT_jT0_jPNS7_10value_typeE,comdat
.Lfunc_end186:
	.size	_ZN7rocprim17ROCPRIM_400000_NS6detail31init_lookback_scan_state_kernelINS1_19lookback_scan_stateIjLb1ELb1EEENS1_16block_id_wrapperIjLb0EEEEEvT_jT0_jPNS7_10value_typeE, .Lfunc_end186-_ZN7rocprim17ROCPRIM_400000_NS6detail31init_lookback_scan_state_kernelINS1_19lookback_scan_stateIjLb1ELb1EEENS1_16block_id_wrapperIjLb0EEEEEvT_jT0_jPNS7_10value_typeE
                                        ; -- End function
	.section	.AMDGPU.csdata,"",@progbits
; Kernel info:
; codeLenInByte = 400
; NumSgprs: 18
; NumVgprs: 6
; ScratchSize: 0
; MemoryBound: 0
; FloatMode: 240
; IeeeMode: 1
; LDSByteSize: 0 bytes/workgroup (compile time only)
; SGPRBlocks: 2
; VGPRBlocks: 0
; NumSGPRsForWavesPerEU: 18
; NumVGPRsForWavesPerEU: 6
; Occupancy: 16
; WaveLimiterHint : 0
; COMPUTE_PGM_RSRC2:SCRATCH_EN: 0
; COMPUTE_PGM_RSRC2:USER_SGPR: 15
; COMPUTE_PGM_RSRC2:TRAP_HANDLER: 0
; COMPUTE_PGM_RSRC2:TGID_X_EN: 1
; COMPUTE_PGM_RSRC2:TGID_Y_EN: 0
; COMPUTE_PGM_RSRC2:TGID_Z_EN: 0
; COMPUTE_PGM_RSRC2:TIDIG_COMP_CNT: 0
	.section	.text._ZN7rocprim17ROCPRIM_400000_NS6detail17trampoline_kernelINS0_14default_configENS1_25partition_config_selectorILNS1_17partition_subalgoE8ElNS0_10empty_typeEbEEZZNS1_14partition_implILS5_8ELb0ES3_jPlPS6_PKS6_NS0_5tupleIJS9_S6_EEENSD_IJSA_SA_EEENS0_18inequality_wrapperIZN2at6native12_GLOBAL__N_124unique_dim_cuda_templateIhEESt5tupleIJNSH_6TensorESM_SM_EERKSM_lbbbEUlllE0_EEPmJS6_EEE10hipError_tPvRmT3_T4_T5_T6_T7_T9_mT8_P12ihipStream_tbDpT10_ENKUlT_T0_E_clISt17integral_constantIbLb1EES1B_IbLb0EEEEDaS17_S18_EUlS17_E_NS1_11comp_targetILNS1_3genE0ELNS1_11target_archE4294967295ELNS1_3gpuE0ELNS1_3repE0EEENS1_30default_config_static_selectorELNS0_4arch9wavefront6targetE0EEEvT1_,"axG",@progbits,_ZN7rocprim17ROCPRIM_400000_NS6detail17trampoline_kernelINS0_14default_configENS1_25partition_config_selectorILNS1_17partition_subalgoE8ElNS0_10empty_typeEbEEZZNS1_14partition_implILS5_8ELb0ES3_jPlPS6_PKS6_NS0_5tupleIJS9_S6_EEENSD_IJSA_SA_EEENS0_18inequality_wrapperIZN2at6native12_GLOBAL__N_124unique_dim_cuda_templateIhEESt5tupleIJNSH_6TensorESM_SM_EERKSM_lbbbEUlllE0_EEPmJS6_EEE10hipError_tPvRmT3_T4_T5_T6_T7_T9_mT8_P12ihipStream_tbDpT10_ENKUlT_T0_E_clISt17integral_constantIbLb1EES1B_IbLb0EEEEDaS17_S18_EUlS17_E_NS1_11comp_targetILNS1_3genE0ELNS1_11target_archE4294967295ELNS1_3gpuE0ELNS1_3repE0EEENS1_30default_config_static_selectorELNS0_4arch9wavefront6targetE0EEEvT1_,comdat
	.globl	_ZN7rocprim17ROCPRIM_400000_NS6detail17trampoline_kernelINS0_14default_configENS1_25partition_config_selectorILNS1_17partition_subalgoE8ElNS0_10empty_typeEbEEZZNS1_14partition_implILS5_8ELb0ES3_jPlPS6_PKS6_NS0_5tupleIJS9_S6_EEENSD_IJSA_SA_EEENS0_18inequality_wrapperIZN2at6native12_GLOBAL__N_124unique_dim_cuda_templateIhEESt5tupleIJNSH_6TensorESM_SM_EERKSM_lbbbEUlllE0_EEPmJS6_EEE10hipError_tPvRmT3_T4_T5_T6_T7_T9_mT8_P12ihipStream_tbDpT10_ENKUlT_T0_E_clISt17integral_constantIbLb1EES1B_IbLb0EEEEDaS17_S18_EUlS17_E_NS1_11comp_targetILNS1_3genE0ELNS1_11target_archE4294967295ELNS1_3gpuE0ELNS1_3repE0EEENS1_30default_config_static_selectorELNS0_4arch9wavefront6targetE0EEEvT1_ ; -- Begin function _ZN7rocprim17ROCPRIM_400000_NS6detail17trampoline_kernelINS0_14default_configENS1_25partition_config_selectorILNS1_17partition_subalgoE8ElNS0_10empty_typeEbEEZZNS1_14partition_implILS5_8ELb0ES3_jPlPS6_PKS6_NS0_5tupleIJS9_S6_EEENSD_IJSA_SA_EEENS0_18inequality_wrapperIZN2at6native12_GLOBAL__N_124unique_dim_cuda_templateIhEESt5tupleIJNSH_6TensorESM_SM_EERKSM_lbbbEUlllE0_EEPmJS6_EEE10hipError_tPvRmT3_T4_T5_T6_T7_T9_mT8_P12ihipStream_tbDpT10_ENKUlT_T0_E_clISt17integral_constantIbLb1EES1B_IbLb0EEEEDaS17_S18_EUlS17_E_NS1_11comp_targetILNS1_3genE0ELNS1_11target_archE4294967295ELNS1_3gpuE0ELNS1_3repE0EEENS1_30default_config_static_selectorELNS0_4arch9wavefront6targetE0EEEvT1_
	.p2align	8
	.type	_ZN7rocprim17ROCPRIM_400000_NS6detail17trampoline_kernelINS0_14default_configENS1_25partition_config_selectorILNS1_17partition_subalgoE8ElNS0_10empty_typeEbEEZZNS1_14partition_implILS5_8ELb0ES3_jPlPS6_PKS6_NS0_5tupleIJS9_S6_EEENSD_IJSA_SA_EEENS0_18inequality_wrapperIZN2at6native12_GLOBAL__N_124unique_dim_cuda_templateIhEESt5tupleIJNSH_6TensorESM_SM_EERKSM_lbbbEUlllE0_EEPmJS6_EEE10hipError_tPvRmT3_T4_T5_T6_T7_T9_mT8_P12ihipStream_tbDpT10_ENKUlT_T0_E_clISt17integral_constantIbLb1EES1B_IbLb0EEEEDaS17_S18_EUlS17_E_NS1_11comp_targetILNS1_3genE0ELNS1_11target_archE4294967295ELNS1_3gpuE0ELNS1_3repE0EEENS1_30default_config_static_selectorELNS0_4arch9wavefront6targetE0EEEvT1_,@function
_ZN7rocprim17ROCPRIM_400000_NS6detail17trampoline_kernelINS0_14default_configENS1_25partition_config_selectorILNS1_17partition_subalgoE8ElNS0_10empty_typeEbEEZZNS1_14partition_implILS5_8ELb0ES3_jPlPS6_PKS6_NS0_5tupleIJS9_S6_EEENSD_IJSA_SA_EEENS0_18inequality_wrapperIZN2at6native12_GLOBAL__N_124unique_dim_cuda_templateIhEESt5tupleIJNSH_6TensorESM_SM_EERKSM_lbbbEUlllE0_EEPmJS6_EEE10hipError_tPvRmT3_T4_T5_T6_T7_T9_mT8_P12ihipStream_tbDpT10_ENKUlT_T0_E_clISt17integral_constantIbLb1EES1B_IbLb0EEEEDaS17_S18_EUlS17_E_NS1_11comp_targetILNS1_3genE0ELNS1_11target_archE4294967295ELNS1_3gpuE0ELNS1_3repE0EEENS1_30default_config_static_selectorELNS0_4arch9wavefront6targetE0EEEvT1_: ; @_ZN7rocprim17ROCPRIM_400000_NS6detail17trampoline_kernelINS0_14default_configENS1_25partition_config_selectorILNS1_17partition_subalgoE8ElNS0_10empty_typeEbEEZZNS1_14partition_implILS5_8ELb0ES3_jPlPS6_PKS6_NS0_5tupleIJS9_S6_EEENSD_IJSA_SA_EEENS0_18inequality_wrapperIZN2at6native12_GLOBAL__N_124unique_dim_cuda_templateIhEESt5tupleIJNSH_6TensorESM_SM_EERKSM_lbbbEUlllE0_EEPmJS6_EEE10hipError_tPvRmT3_T4_T5_T6_T7_T9_mT8_P12ihipStream_tbDpT10_ENKUlT_T0_E_clISt17integral_constantIbLb1EES1B_IbLb0EEEEDaS17_S18_EUlS17_E_NS1_11comp_targetILNS1_3genE0ELNS1_11target_archE4294967295ELNS1_3gpuE0ELNS1_3repE0EEENS1_30default_config_static_selectorELNS0_4arch9wavefront6targetE0EEEvT1_
; %bb.0:
	.section	.rodata,"a",@progbits
	.p2align	6, 0x0
	.amdhsa_kernel _ZN7rocprim17ROCPRIM_400000_NS6detail17trampoline_kernelINS0_14default_configENS1_25partition_config_selectorILNS1_17partition_subalgoE8ElNS0_10empty_typeEbEEZZNS1_14partition_implILS5_8ELb0ES3_jPlPS6_PKS6_NS0_5tupleIJS9_S6_EEENSD_IJSA_SA_EEENS0_18inequality_wrapperIZN2at6native12_GLOBAL__N_124unique_dim_cuda_templateIhEESt5tupleIJNSH_6TensorESM_SM_EERKSM_lbbbEUlllE0_EEPmJS6_EEE10hipError_tPvRmT3_T4_T5_T6_T7_T9_mT8_P12ihipStream_tbDpT10_ENKUlT_T0_E_clISt17integral_constantIbLb1EES1B_IbLb0EEEEDaS17_S18_EUlS17_E_NS1_11comp_targetILNS1_3genE0ELNS1_11target_archE4294967295ELNS1_3gpuE0ELNS1_3repE0EEENS1_30default_config_static_selectorELNS0_4arch9wavefront6targetE0EEEvT1_
		.amdhsa_group_segment_fixed_size 0
		.amdhsa_private_segment_fixed_size 0
		.amdhsa_kernarg_size 120
		.amdhsa_user_sgpr_count 15
		.amdhsa_user_sgpr_dispatch_ptr 0
		.amdhsa_user_sgpr_queue_ptr 0
		.amdhsa_user_sgpr_kernarg_segment_ptr 1
		.amdhsa_user_sgpr_dispatch_id 0
		.amdhsa_user_sgpr_private_segment_size 0
		.amdhsa_wavefront_size32 1
		.amdhsa_uses_dynamic_stack 0
		.amdhsa_enable_private_segment 0
		.amdhsa_system_sgpr_workgroup_id_x 1
		.amdhsa_system_sgpr_workgroup_id_y 0
		.amdhsa_system_sgpr_workgroup_id_z 0
		.amdhsa_system_sgpr_workgroup_info 0
		.amdhsa_system_vgpr_workitem_id 0
		.amdhsa_next_free_vgpr 1
		.amdhsa_next_free_sgpr 1
		.amdhsa_reserve_vcc 0
		.amdhsa_float_round_mode_32 0
		.amdhsa_float_round_mode_16_64 0
		.amdhsa_float_denorm_mode_32 3
		.amdhsa_float_denorm_mode_16_64 3
		.amdhsa_dx10_clamp 1
		.amdhsa_ieee_mode 1
		.amdhsa_fp16_overflow 0
		.amdhsa_workgroup_processor_mode 1
		.amdhsa_memory_ordered 1
		.amdhsa_forward_progress 0
		.amdhsa_shared_vgpr_count 0
		.amdhsa_exception_fp_ieee_invalid_op 0
		.amdhsa_exception_fp_denorm_src 0
		.amdhsa_exception_fp_ieee_div_zero 0
		.amdhsa_exception_fp_ieee_overflow 0
		.amdhsa_exception_fp_ieee_underflow 0
		.amdhsa_exception_fp_ieee_inexact 0
		.amdhsa_exception_int_div_zero 0
	.end_amdhsa_kernel
	.section	.text._ZN7rocprim17ROCPRIM_400000_NS6detail17trampoline_kernelINS0_14default_configENS1_25partition_config_selectorILNS1_17partition_subalgoE8ElNS0_10empty_typeEbEEZZNS1_14partition_implILS5_8ELb0ES3_jPlPS6_PKS6_NS0_5tupleIJS9_S6_EEENSD_IJSA_SA_EEENS0_18inequality_wrapperIZN2at6native12_GLOBAL__N_124unique_dim_cuda_templateIhEESt5tupleIJNSH_6TensorESM_SM_EERKSM_lbbbEUlllE0_EEPmJS6_EEE10hipError_tPvRmT3_T4_T5_T6_T7_T9_mT8_P12ihipStream_tbDpT10_ENKUlT_T0_E_clISt17integral_constantIbLb1EES1B_IbLb0EEEEDaS17_S18_EUlS17_E_NS1_11comp_targetILNS1_3genE0ELNS1_11target_archE4294967295ELNS1_3gpuE0ELNS1_3repE0EEENS1_30default_config_static_selectorELNS0_4arch9wavefront6targetE0EEEvT1_,"axG",@progbits,_ZN7rocprim17ROCPRIM_400000_NS6detail17trampoline_kernelINS0_14default_configENS1_25partition_config_selectorILNS1_17partition_subalgoE8ElNS0_10empty_typeEbEEZZNS1_14partition_implILS5_8ELb0ES3_jPlPS6_PKS6_NS0_5tupleIJS9_S6_EEENSD_IJSA_SA_EEENS0_18inequality_wrapperIZN2at6native12_GLOBAL__N_124unique_dim_cuda_templateIhEESt5tupleIJNSH_6TensorESM_SM_EERKSM_lbbbEUlllE0_EEPmJS6_EEE10hipError_tPvRmT3_T4_T5_T6_T7_T9_mT8_P12ihipStream_tbDpT10_ENKUlT_T0_E_clISt17integral_constantIbLb1EES1B_IbLb0EEEEDaS17_S18_EUlS17_E_NS1_11comp_targetILNS1_3genE0ELNS1_11target_archE4294967295ELNS1_3gpuE0ELNS1_3repE0EEENS1_30default_config_static_selectorELNS0_4arch9wavefront6targetE0EEEvT1_,comdat
.Lfunc_end187:
	.size	_ZN7rocprim17ROCPRIM_400000_NS6detail17trampoline_kernelINS0_14default_configENS1_25partition_config_selectorILNS1_17partition_subalgoE8ElNS0_10empty_typeEbEEZZNS1_14partition_implILS5_8ELb0ES3_jPlPS6_PKS6_NS0_5tupleIJS9_S6_EEENSD_IJSA_SA_EEENS0_18inequality_wrapperIZN2at6native12_GLOBAL__N_124unique_dim_cuda_templateIhEESt5tupleIJNSH_6TensorESM_SM_EERKSM_lbbbEUlllE0_EEPmJS6_EEE10hipError_tPvRmT3_T4_T5_T6_T7_T9_mT8_P12ihipStream_tbDpT10_ENKUlT_T0_E_clISt17integral_constantIbLb1EES1B_IbLb0EEEEDaS17_S18_EUlS17_E_NS1_11comp_targetILNS1_3genE0ELNS1_11target_archE4294967295ELNS1_3gpuE0ELNS1_3repE0EEENS1_30default_config_static_selectorELNS0_4arch9wavefront6targetE0EEEvT1_, .Lfunc_end187-_ZN7rocprim17ROCPRIM_400000_NS6detail17trampoline_kernelINS0_14default_configENS1_25partition_config_selectorILNS1_17partition_subalgoE8ElNS0_10empty_typeEbEEZZNS1_14partition_implILS5_8ELb0ES3_jPlPS6_PKS6_NS0_5tupleIJS9_S6_EEENSD_IJSA_SA_EEENS0_18inequality_wrapperIZN2at6native12_GLOBAL__N_124unique_dim_cuda_templateIhEESt5tupleIJNSH_6TensorESM_SM_EERKSM_lbbbEUlllE0_EEPmJS6_EEE10hipError_tPvRmT3_T4_T5_T6_T7_T9_mT8_P12ihipStream_tbDpT10_ENKUlT_T0_E_clISt17integral_constantIbLb1EES1B_IbLb0EEEEDaS17_S18_EUlS17_E_NS1_11comp_targetILNS1_3genE0ELNS1_11target_archE4294967295ELNS1_3gpuE0ELNS1_3repE0EEENS1_30default_config_static_selectorELNS0_4arch9wavefront6targetE0EEEvT1_
                                        ; -- End function
	.section	.AMDGPU.csdata,"",@progbits
; Kernel info:
; codeLenInByte = 0
; NumSgprs: 0
; NumVgprs: 0
; ScratchSize: 0
; MemoryBound: 0
; FloatMode: 240
; IeeeMode: 1
; LDSByteSize: 0 bytes/workgroup (compile time only)
; SGPRBlocks: 0
; VGPRBlocks: 0
; NumSGPRsForWavesPerEU: 1
; NumVGPRsForWavesPerEU: 1
; Occupancy: 16
; WaveLimiterHint : 0
; COMPUTE_PGM_RSRC2:SCRATCH_EN: 0
; COMPUTE_PGM_RSRC2:USER_SGPR: 15
; COMPUTE_PGM_RSRC2:TRAP_HANDLER: 0
; COMPUTE_PGM_RSRC2:TGID_X_EN: 1
; COMPUTE_PGM_RSRC2:TGID_Y_EN: 0
; COMPUTE_PGM_RSRC2:TGID_Z_EN: 0
; COMPUTE_PGM_RSRC2:TIDIG_COMP_CNT: 0
	.section	.text._ZN7rocprim17ROCPRIM_400000_NS6detail17trampoline_kernelINS0_14default_configENS1_25partition_config_selectorILNS1_17partition_subalgoE8ElNS0_10empty_typeEbEEZZNS1_14partition_implILS5_8ELb0ES3_jPlPS6_PKS6_NS0_5tupleIJS9_S6_EEENSD_IJSA_SA_EEENS0_18inequality_wrapperIZN2at6native12_GLOBAL__N_124unique_dim_cuda_templateIhEESt5tupleIJNSH_6TensorESM_SM_EERKSM_lbbbEUlllE0_EEPmJS6_EEE10hipError_tPvRmT3_T4_T5_T6_T7_T9_mT8_P12ihipStream_tbDpT10_ENKUlT_T0_E_clISt17integral_constantIbLb1EES1B_IbLb0EEEEDaS17_S18_EUlS17_E_NS1_11comp_targetILNS1_3genE5ELNS1_11target_archE942ELNS1_3gpuE9ELNS1_3repE0EEENS1_30default_config_static_selectorELNS0_4arch9wavefront6targetE0EEEvT1_,"axG",@progbits,_ZN7rocprim17ROCPRIM_400000_NS6detail17trampoline_kernelINS0_14default_configENS1_25partition_config_selectorILNS1_17partition_subalgoE8ElNS0_10empty_typeEbEEZZNS1_14partition_implILS5_8ELb0ES3_jPlPS6_PKS6_NS0_5tupleIJS9_S6_EEENSD_IJSA_SA_EEENS0_18inequality_wrapperIZN2at6native12_GLOBAL__N_124unique_dim_cuda_templateIhEESt5tupleIJNSH_6TensorESM_SM_EERKSM_lbbbEUlllE0_EEPmJS6_EEE10hipError_tPvRmT3_T4_T5_T6_T7_T9_mT8_P12ihipStream_tbDpT10_ENKUlT_T0_E_clISt17integral_constantIbLb1EES1B_IbLb0EEEEDaS17_S18_EUlS17_E_NS1_11comp_targetILNS1_3genE5ELNS1_11target_archE942ELNS1_3gpuE9ELNS1_3repE0EEENS1_30default_config_static_selectorELNS0_4arch9wavefront6targetE0EEEvT1_,comdat
	.globl	_ZN7rocprim17ROCPRIM_400000_NS6detail17trampoline_kernelINS0_14default_configENS1_25partition_config_selectorILNS1_17partition_subalgoE8ElNS0_10empty_typeEbEEZZNS1_14partition_implILS5_8ELb0ES3_jPlPS6_PKS6_NS0_5tupleIJS9_S6_EEENSD_IJSA_SA_EEENS0_18inequality_wrapperIZN2at6native12_GLOBAL__N_124unique_dim_cuda_templateIhEESt5tupleIJNSH_6TensorESM_SM_EERKSM_lbbbEUlllE0_EEPmJS6_EEE10hipError_tPvRmT3_T4_T5_T6_T7_T9_mT8_P12ihipStream_tbDpT10_ENKUlT_T0_E_clISt17integral_constantIbLb1EES1B_IbLb0EEEEDaS17_S18_EUlS17_E_NS1_11comp_targetILNS1_3genE5ELNS1_11target_archE942ELNS1_3gpuE9ELNS1_3repE0EEENS1_30default_config_static_selectorELNS0_4arch9wavefront6targetE0EEEvT1_ ; -- Begin function _ZN7rocprim17ROCPRIM_400000_NS6detail17trampoline_kernelINS0_14default_configENS1_25partition_config_selectorILNS1_17partition_subalgoE8ElNS0_10empty_typeEbEEZZNS1_14partition_implILS5_8ELb0ES3_jPlPS6_PKS6_NS0_5tupleIJS9_S6_EEENSD_IJSA_SA_EEENS0_18inequality_wrapperIZN2at6native12_GLOBAL__N_124unique_dim_cuda_templateIhEESt5tupleIJNSH_6TensorESM_SM_EERKSM_lbbbEUlllE0_EEPmJS6_EEE10hipError_tPvRmT3_T4_T5_T6_T7_T9_mT8_P12ihipStream_tbDpT10_ENKUlT_T0_E_clISt17integral_constantIbLb1EES1B_IbLb0EEEEDaS17_S18_EUlS17_E_NS1_11comp_targetILNS1_3genE5ELNS1_11target_archE942ELNS1_3gpuE9ELNS1_3repE0EEENS1_30default_config_static_selectorELNS0_4arch9wavefront6targetE0EEEvT1_
	.p2align	8
	.type	_ZN7rocprim17ROCPRIM_400000_NS6detail17trampoline_kernelINS0_14default_configENS1_25partition_config_selectorILNS1_17partition_subalgoE8ElNS0_10empty_typeEbEEZZNS1_14partition_implILS5_8ELb0ES3_jPlPS6_PKS6_NS0_5tupleIJS9_S6_EEENSD_IJSA_SA_EEENS0_18inequality_wrapperIZN2at6native12_GLOBAL__N_124unique_dim_cuda_templateIhEESt5tupleIJNSH_6TensorESM_SM_EERKSM_lbbbEUlllE0_EEPmJS6_EEE10hipError_tPvRmT3_T4_T5_T6_T7_T9_mT8_P12ihipStream_tbDpT10_ENKUlT_T0_E_clISt17integral_constantIbLb1EES1B_IbLb0EEEEDaS17_S18_EUlS17_E_NS1_11comp_targetILNS1_3genE5ELNS1_11target_archE942ELNS1_3gpuE9ELNS1_3repE0EEENS1_30default_config_static_selectorELNS0_4arch9wavefront6targetE0EEEvT1_,@function
_ZN7rocprim17ROCPRIM_400000_NS6detail17trampoline_kernelINS0_14default_configENS1_25partition_config_selectorILNS1_17partition_subalgoE8ElNS0_10empty_typeEbEEZZNS1_14partition_implILS5_8ELb0ES3_jPlPS6_PKS6_NS0_5tupleIJS9_S6_EEENSD_IJSA_SA_EEENS0_18inequality_wrapperIZN2at6native12_GLOBAL__N_124unique_dim_cuda_templateIhEESt5tupleIJNSH_6TensorESM_SM_EERKSM_lbbbEUlllE0_EEPmJS6_EEE10hipError_tPvRmT3_T4_T5_T6_T7_T9_mT8_P12ihipStream_tbDpT10_ENKUlT_T0_E_clISt17integral_constantIbLb1EES1B_IbLb0EEEEDaS17_S18_EUlS17_E_NS1_11comp_targetILNS1_3genE5ELNS1_11target_archE942ELNS1_3gpuE9ELNS1_3repE0EEENS1_30default_config_static_selectorELNS0_4arch9wavefront6targetE0EEEvT1_: ; @_ZN7rocprim17ROCPRIM_400000_NS6detail17trampoline_kernelINS0_14default_configENS1_25partition_config_selectorILNS1_17partition_subalgoE8ElNS0_10empty_typeEbEEZZNS1_14partition_implILS5_8ELb0ES3_jPlPS6_PKS6_NS0_5tupleIJS9_S6_EEENSD_IJSA_SA_EEENS0_18inequality_wrapperIZN2at6native12_GLOBAL__N_124unique_dim_cuda_templateIhEESt5tupleIJNSH_6TensorESM_SM_EERKSM_lbbbEUlllE0_EEPmJS6_EEE10hipError_tPvRmT3_T4_T5_T6_T7_T9_mT8_P12ihipStream_tbDpT10_ENKUlT_T0_E_clISt17integral_constantIbLb1EES1B_IbLb0EEEEDaS17_S18_EUlS17_E_NS1_11comp_targetILNS1_3genE5ELNS1_11target_archE942ELNS1_3gpuE9ELNS1_3repE0EEENS1_30default_config_static_selectorELNS0_4arch9wavefront6targetE0EEEvT1_
; %bb.0:
	.section	.rodata,"a",@progbits
	.p2align	6, 0x0
	.amdhsa_kernel _ZN7rocprim17ROCPRIM_400000_NS6detail17trampoline_kernelINS0_14default_configENS1_25partition_config_selectorILNS1_17partition_subalgoE8ElNS0_10empty_typeEbEEZZNS1_14partition_implILS5_8ELb0ES3_jPlPS6_PKS6_NS0_5tupleIJS9_S6_EEENSD_IJSA_SA_EEENS0_18inequality_wrapperIZN2at6native12_GLOBAL__N_124unique_dim_cuda_templateIhEESt5tupleIJNSH_6TensorESM_SM_EERKSM_lbbbEUlllE0_EEPmJS6_EEE10hipError_tPvRmT3_T4_T5_T6_T7_T9_mT8_P12ihipStream_tbDpT10_ENKUlT_T0_E_clISt17integral_constantIbLb1EES1B_IbLb0EEEEDaS17_S18_EUlS17_E_NS1_11comp_targetILNS1_3genE5ELNS1_11target_archE942ELNS1_3gpuE9ELNS1_3repE0EEENS1_30default_config_static_selectorELNS0_4arch9wavefront6targetE0EEEvT1_
		.amdhsa_group_segment_fixed_size 0
		.amdhsa_private_segment_fixed_size 0
		.amdhsa_kernarg_size 120
		.amdhsa_user_sgpr_count 15
		.amdhsa_user_sgpr_dispatch_ptr 0
		.amdhsa_user_sgpr_queue_ptr 0
		.amdhsa_user_sgpr_kernarg_segment_ptr 1
		.amdhsa_user_sgpr_dispatch_id 0
		.amdhsa_user_sgpr_private_segment_size 0
		.amdhsa_wavefront_size32 1
		.amdhsa_uses_dynamic_stack 0
		.amdhsa_enable_private_segment 0
		.amdhsa_system_sgpr_workgroup_id_x 1
		.amdhsa_system_sgpr_workgroup_id_y 0
		.amdhsa_system_sgpr_workgroup_id_z 0
		.amdhsa_system_sgpr_workgroup_info 0
		.amdhsa_system_vgpr_workitem_id 0
		.amdhsa_next_free_vgpr 1
		.amdhsa_next_free_sgpr 1
		.amdhsa_reserve_vcc 0
		.amdhsa_float_round_mode_32 0
		.amdhsa_float_round_mode_16_64 0
		.amdhsa_float_denorm_mode_32 3
		.amdhsa_float_denorm_mode_16_64 3
		.amdhsa_dx10_clamp 1
		.amdhsa_ieee_mode 1
		.amdhsa_fp16_overflow 0
		.amdhsa_workgroup_processor_mode 1
		.amdhsa_memory_ordered 1
		.amdhsa_forward_progress 0
		.amdhsa_shared_vgpr_count 0
		.amdhsa_exception_fp_ieee_invalid_op 0
		.amdhsa_exception_fp_denorm_src 0
		.amdhsa_exception_fp_ieee_div_zero 0
		.amdhsa_exception_fp_ieee_overflow 0
		.amdhsa_exception_fp_ieee_underflow 0
		.amdhsa_exception_fp_ieee_inexact 0
		.amdhsa_exception_int_div_zero 0
	.end_amdhsa_kernel
	.section	.text._ZN7rocprim17ROCPRIM_400000_NS6detail17trampoline_kernelINS0_14default_configENS1_25partition_config_selectorILNS1_17partition_subalgoE8ElNS0_10empty_typeEbEEZZNS1_14partition_implILS5_8ELb0ES3_jPlPS6_PKS6_NS0_5tupleIJS9_S6_EEENSD_IJSA_SA_EEENS0_18inequality_wrapperIZN2at6native12_GLOBAL__N_124unique_dim_cuda_templateIhEESt5tupleIJNSH_6TensorESM_SM_EERKSM_lbbbEUlllE0_EEPmJS6_EEE10hipError_tPvRmT3_T4_T5_T6_T7_T9_mT8_P12ihipStream_tbDpT10_ENKUlT_T0_E_clISt17integral_constantIbLb1EES1B_IbLb0EEEEDaS17_S18_EUlS17_E_NS1_11comp_targetILNS1_3genE5ELNS1_11target_archE942ELNS1_3gpuE9ELNS1_3repE0EEENS1_30default_config_static_selectorELNS0_4arch9wavefront6targetE0EEEvT1_,"axG",@progbits,_ZN7rocprim17ROCPRIM_400000_NS6detail17trampoline_kernelINS0_14default_configENS1_25partition_config_selectorILNS1_17partition_subalgoE8ElNS0_10empty_typeEbEEZZNS1_14partition_implILS5_8ELb0ES3_jPlPS6_PKS6_NS0_5tupleIJS9_S6_EEENSD_IJSA_SA_EEENS0_18inequality_wrapperIZN2at6native12_GLOBAL__N_124unique_dim_cuda_templateIhEESt5tupleIJNSH_6TensorESM_SM_EERKSM_lbbbEUlllE0_EEPmJS6_EEE10hipError_tPvRmT3_T4_T5_T6_T7_T9_mT8_P12ihipStream_tbDpT10_ENKUlT_T0_E_clISt17integral_constantIbLb1EES1B_IbLb0EEEEDaS17_S18_EUlS17_E_NS1_11comp_targetILNS1_3genE5ELNS1_11target_archE942ELNS1_3gpuE9ELNS1_3repE0EEENS1_30default_config_static_selectorELNS0_4arch9wavefront6targetE0EEEvT1_,comdat
.Lfunc_end188:
	.size	_ZN7rocprim17ROCPRIM_400000_NS6detail17trampoline_kernelINS0_14default_configENS1_25partition_config_selectorILNS1_17partition_subalgoE8ElNS0_10empty_typeEbEEZZNS1_14partition_implILS5_8ELb0ES3_jPlPS6_PKS6_NS0_5tupleIJS9_S6_EEENSD_IJSA_SA_EEENS0_18inequality_wrapperIZN2at6native12_GLOBAL__N_124unique_dim_cuda_templateIhEESt5tupleIJNSH_6TensorESM_SM_EERKSM_lbbbEUlllE0_EEPmJS6_EEE10hipError_tPvRmT3_T4_T5_T6_T7_T9_mT8_P12ihipStream_tbDpT10_ENKUlT_T0_E_clISt17integral_constantIbLb1EES1B_IbLb0EEEEDaS17_S18_EUlS17_E_NS1_11comp_targetILNS1_3genE5ELNS1_11target_archE942ELNS1_3gpuE9ELNS1_3repE0EEENS1_30default_config_static_selectorELNS0_4arch9wavefront6targetE0EEEvT1_, .Lfunc_end188-_ZN7rocprim17ROCPRIM_400000_NS6detail17trampoline_kernelINS0_14default_configENS1_25partition_config_selectorILNS1_17partition_subalgoE8ElNS0_10empty_typeEbEEZZNS1_14partition_implILS5_8ELb0ES3_jPlPS6_PKS6_NS0_5tupleIJS9_S6_EEENSD_IJSA_SA_EEENS0_18inequality_wrapperIZN2at6native12_GLOBAL__N_124unique_dim_cuda_templateIhEESt5tupleIJNSH_6TensorESM_SM_EERKSM_lbbbEUlllE0_EEPmJS6_EEE10hipError_tPvRmT3_T4_T5_T6_T7_T9_mT8_P12ihipStream_tbDpT10_ENKUlT_T0_E_clISt17integral_constantIbLb1EES1B_IbLb0EEEEDaS17_S18_EUlS17_E_NS1_11comp_targetILNS1_3genE5ELNS1_11target_archE942ELNS1_3gpuE9ELNS1_3repE0EEENS1_30default_config_static_selectorELNS0_4arch9wavefront6targetE0EEEvT1_
                                        ; -- End function
	.section	.AMDGPU.csdata,"",@progbits
; Kernel info:
; codeLenInByte = 0
; NumSgprs: 0
; NumVgprs: 0
; ScratchSize: 0
; MemoryBound: 0
; FloatMode: 240
; IeeeMode: 1
; LDSByteSize: 0 bytes/workgroup (compile time only)
; SGPRBlocks: 0
; VGPRBlocks: 0
; NumSGPRsForWavesPerEU: 1
; NumVGPRsForWavesPerEU: 1
; Occupancy: 16
; WaveLimiterHint : 0
; COMPUTE_PGM_RSRC2:SCRATCH_EN: 0
; COMPUTE_PGM_RSRC2:USER_SGPR: 15
; COMPUTE_PGM_RSRC2:TRAP_HANDLER: 0
; COMPUTE_PGM_RSRC2:TGID_X_EN: 1
; COMPUTE_PGM_RSRC2:TGID_Y_EN: 0
; COMPUTE_PGM_RSRC2:TGID_Z_EN: 0
; COMPUTE_PGM_RSRC2:TIDIG_COMP_CNT: 0
	.section	.text._ZN7rocprim17ROCPRIM_400000_NS6detail17trampoline_kernelINS0_14default_configENS1_25partition_config_selectorILNS1_17partition_subalgoE8ElNS0_10empty_typeEbEEZZNS1_14partition_implILS5_8ELb0ES3_jPlPS6_PKS6_NS0_5tupleIJS9_S6_EEENSD_IJSA_SA_EEENS0_18inequality_wrapperIZN2at6native12_GLOBAL__N_124unique_dim_cuda_templateIhEESt5tupleIJNSH_6TensorESM_SM_EERKSM_lbbbEUlllE0_EEPmJS6_EEE10hipError_tPvRmT3_T4_T5_T6_T7_T9_mT8_P12ihipStream_tbDpT10_ENKUlT_T0_E_clISt17integral_constantIbLb1EES1B_IbLb0EEEEDaS17_S18_EUlS17_E_NS1_11comp_targetILNS1_3genE4ELNS1_11target_archE910ELNS1_3gpuE8ELNS1_3repE0EEENS1_30default_config_static_selectorELNS0_4arch9wavefront6targetE0EEEvT1_,"axG",@progbits,_ZN7rocprim17ROCPRIM_400000_NS6detail17trampoline_kernelINS0_14default_configENS1_25partition_config_selectorILNS1_17partition_subalgoE8ElNS0_10empty_typeEbEEZZNS1_14partition_implILS5_8ELb0ES3_jPlPS6_PKS6_NS0_5tupleIJS9_S6_EEENSD_IJSA_SA_EEENS0_18inequality_wrapperIZN2at6native12_GLOBAL__N_124unique_dim_cuda_templateIhEESt5tupleIJNSH_6TensorESM_SM_EERKSM_lbbbEUlllE0_EEPmJS6_EEE10hipError_tPvRmT3_T4_T5_T6_T7_T9_mT8_P12ihipStream_tbDpT10_ENKUlT_T0_E_clISt17integral_constantIbLb1EES1B_IbLb0EEEEDaS17_S18_EUlS17_E_NS1_11comp_targetILNS1_3genE4ELNS1_11target_archE910ELNS1_3gpuE8ELNS1_3repE0EEENS1_30default_config_static_selectorELNS0_4arch9wavefront6targetE0EEEvT1_,comdat
	.globl	_ZN7rocprim17ROCPRIM_400000_NS6detail17trampoline_kernelINS0_14default_configENS1_25partition_config_selectorILNS1_17partition_subalgoE8ElNS0_10empty_typeEbEEZZNS1_14partition_implILS5_8ELb0ES3_jPlPS6_PKS6_NS0_5tupleIJS9_S6_EEENSD_IJSA_SA_EEENS0_18inequality_wrapperIZN2at6native12_GLOBAL__N_124unique_dim_cuda_templateIhEESt5tupleIJNSH_6TensorESM_SM_EERKSM_lbbbEUlllE0_EEPmJS6_EEE10hipError_tPvRmT3_T4_T5_T6_T7_T9_mT8_P12ihipStream_tbDpT10_ENKUlT_T0_E_clISt17integral_constantIbLb1EES1B_IbLb0EEEEDaS17_S18_EUlS17_E_NS1_11comp_targetILNS1_3genE4ELNS1_11target_archE910ELNS1_3gpuE8ELNS1_3repE0EEENS1_30default_config_static_selectorELNS0_4arch9wavefront6targetE0EEEvT1_ ; -- Begin function _ZN7rocprim17ROCPRIM_400000_NS6detail17trampoline_kernelINS0_14default_configENS1_25partition_config_selectorILNS1_17partition_subalgoE8ElNS0_10empty_typeEbEEZZNS1_14partition_implILS5_8ELb0ES3_jPlPS6_PKS6_NS0_5tupleIJS9_S6_EEENSD_IJSA_SA_EEENS0_18inequality_wrapperIZN2at6native12_GLOBAL__N_124unique_dim_cuda_templateIhEESt5tupleIJNSH_6TensorESM_SM_EERKSM_lbbbEUlllE0_EEPmJS6_EEE10hipError_tPvRmT3_T4_T5_T6_T7_T9_mT8_P12ihipStream_tbDpT10_ENKUlT_T0_E_clISt17integral_constantIbLb1EES1B_IbLb0EEEEDaS17_S18_EUlS17_E_NS1_11comp_targetILNS1_3genE4ELNS1_11target_archE910ELNS1_3gpuE8ELNS1_3repE0EEENS1_30default_config_static_selectorELNS0_4arch9wavefront6targetE0EEEvT1_
	.p2align	8
	.type	_ZN7rocprim17ROCPRIM_400000_NS6detail17trampoline_kernelINS0_14default_configENS1_25partition_config_selectorILNS1_17partition_subalgoE8ElNS0_10empty_typeEbEEZZNS1_14partition_implILS5_8ELb0ES3_jPlPS6_PKS6_NS0_5tupleIJS9_S6_EEENSD_IJSA_SA_EEENS0_18inequality_wrapperIZN2at6native12_GLOBAL__N_124unique_dim_cuda_templateIhEESt5tupleIJNSH_6TensorESM_SM_EERKSM_lbbbEUlllE0_EEPmJS6_EEE10hipError_tPvRmT3_T4_T5_T6_T7_T9_mT8_P12ihipStream_tbDpT10_ENKUlT_T0_E_clISt17integral_constantIbLb1EES1B_IbLb0EEEEDaS17_S18_EUlS17_E_NS1_11comp_targetILNS1_3genE4ELNS1_11target_archE910ELNS1_3gpuE8ELNS1_3repE0EEENS1_30default_config_static_selectorELNS0_4arch9wavefront6targetE0EEEvT1_,@function
_ZN7rocprim17ROCPRIM_400000_NS6detail17trampoline_kernelINS0_14default_configENS1_25partition_config_selectorILNS1_17partition_subalgoE8ElNS0_10empty_typeEbEEZZNS1_14partition_implILS5_8ELb0ES3_jPlPS6_PKS6_NS0_5tupleIJS9_S6_EEENSD_IJSA_SA_EEENS0_18inequality_wrapperIZN2at6native12_GLOBAL__N_124unique_dim_cuda_templateIhEESt5tupleIJNSH_6TensorESM_SM_EERKSM_lbbbEUlllE0_EEPmJS6_EEE10hipError_tPvRmT3_T4_T5_T6_T7_T9_mT8_P12ihipStream_tbDpT10_ENKUlT_T0_E_clISt17integral_constantIbLb1EES1B_IbLb0EEEEDaS17_S18_EUlS17_E_NS1_11comp_targetILNS1_3genE4ELNS1_11target_archE910ELNS1_3gpuE8ELNS1_3repE0EEENS1_30default_config_static_selectorELNS0_4arch9wavefront6targetE0EEEvT1_: ; @_ZN7rocprim17ROCPRIM_400000_NS6detail17trampoline_kernelINS0_14default_configENS1_25partition_config_selectorILNS1_17partition_subalgoE8ElNS0_10empty_typeEbEEZZNS1_14partition_implILS5_8ELb0ES3_jPlPS6_PKS6_NS0_5tupleIJS9_S6_EEENSD_IJSA_SA_EEENS0_18inequality_wrapperIZN2at6native12_GLOBAL__N_124unique_dim_cuda_templateIhEESt5tupleIJNSH_6TensorESM_SM_EERKSM_lbbbEUlllE0_EEPmJS6_EEE10hipError_tPvRmT3_T4_T5_T6_T7_T9_mT8_P12ihipStream_tbDpT10_ENKUlT_T0_E_clISt17integral_constantIbLb1EES1B_IbLb0EEEEDaS17_S18_EUlS17_E_NS1_11comp_targetILNS1_3genE4ELNS1_11target_archE910ELNS1_3gpuE8ELNS1_3repE0EEENS1_30default_config_static_selectorELNS0_4arch9wavefront6targetE0EEEvT1_
; %bb.0:
	.section	.rodata,"a",@progbits
	.p2align	6, 0x0
	.amdhsa_kernel _ZN7rocprim17ROCPRIM_400000_NS6detail17trampoline_kernelINS0_14default_configENS1_25partition_config_selectorILNS1_17partition_subalgoE8ElNS0_10empty_typeEbEEZZNS1_14partition_implILS5_8ELb0ES3_jPlPS6_PKS6_NS0_5tupleIJS9_S6_EEENSD_IJSA_SA_EEENS0_18inequality_wrapperIZN2at6native12_GLOBAL__N_124unique_dim_cuda_templateIhEESt5tupleIJNSH_6TensorESM_SM_EERKSM_lbbbEUlllE0_EEPmJS6_EEE10hipError_tPvRmT3_T4_T5_T6_T7_T9_mT8_P12ihipStream_tbDpT10_ENKUlT_T0_E_clISt17integral_constantIbLb1EES1B_IbLb0EEEEDaS17_S18_EUlS17_E_NS1_11comp_targetILNS1_3genE4ELNS1_11target_archE910ELNS1_3gpuE8ELNS1_3repE0EEENS1_30default_config_static_selectorELNS0_4arch9wavefront6targetE0EEEvT1_
		.amdhsa_group_segment_fixed_size 0
		.amdhsa_private_segment_fixed_size 0
		.amdhsa_kernarg_size 120
		.amdhsa_user_sgpr_count 15
		.amdhsa_user_sgpr_dispatch_ptr 0
		.amdhsa_user_sgpr_queue_ptr 0
		.amdhsa_user_sgpr_kernarg_segment_ptr 1
		.amdhsa_user_sgpr_dispatch_id 0
		.amdhsa_user_sgpr_private_segment_size 0
		.amdhsa_wavefront_size32 1
		.amdhsa_uses_dynamic_stack 0
		.amdhsa_enable_private_segment 0
		.amdhsa_system_sgpr_workgroup_id_x 1
		.amdhsa_system_sgpr_workgroup_id_y 0
		.amdhsa_system_sgpr_workgroup_id_z 0
		.amdhsa_system_sgpr_workgroup_info 0
		.amdhsa_system_vgpr_workitem_id 0
		.amdhsa_next_free_vgpr 1
		.amdhsa_next_free_sgpr 1
		.amdhsa_reserve_vcc 0
		.amdhsa_float_round_mode_32 0
		.amdhsa_float_round_mode_16_64 0
		.amdhsa_float_denorm_mode_32 3
		.amdhsa_float_denorm_mode_16_64 3
		.amdhsa_dx10_clamp 1
		.amdhsa_ieee_mode 1
		.amdhsa_fp16_overflow 0
		.amdhsa_workgroup_processor_mode 1
		.amdhsa_memory_ordered 1
		.amdhsa_forward_progress 0
		.amdhsa_shared_vgpr_count 0
		.amdhsa_exception_fp_ieee_invalid_op 0
		.amdhsa_exception_fp_denorm_src 0
		.amdhsa_exception_fp_ieee_div_zero 0
		.amdhsa_exception_fp_ieee_overflow 0
		.amdhsa_exception_fp_ieee_underflow 0
		.amdhsa_exception_fp_ieee_inexact 0
		.amdhsa_exception_int_div_zero 0
	.end_amdhsa_kernel
	.section	.text._ZN7rocprim17ROCPRIM_400000_NS6detail17trampoline_kernelINS0_14default_configENS1_25partition_config_selectorILNS1_17partition_subalgoE8ElNS0_10empty_typeEbEEZZNS1_14partition_implILS5_8ELb0ES3_jPlPS6_PKS6_NS0_5tupleIJS9_S6_EEENSD_IJSA_SA_EEENS0_18inequality_wrapperIZN2at6native12_GLOBAL__N_124unique_dim_cuda_templateIhEESt5tupleIJNSH_6TensorESM_SM_EERKSM_lbbbEUlllE0_EEPmJS6_EEE10hipError_tPvRmT3_T4_T5_T6_T7_T9_mT8_P12ihipStream_tbDpT10_ENKUlT_T0_E_clISt17integral_constantIbLb1EES1B_IbLb0EEEEDaS17_S18_EUlS17_E_NS1_11comp_targetILNS1_3genE4ELNS1_11target_archE910ELNS1_3gpuE8ELNS1_3repE0EEENS1_30default_config_static_selectorELNS0_4arch9wavefront6targetE0EEEvT1_,"axG",@progbits,_ZN7rocprim17ROCPRIM_400000_NS6detail17trampoline_kernelINS0_14default_configENS1_25partition_config_selectorILNS1_17partition_subalgoE8ElNS0_10empty_typeEbEEZZNS1_14partition_implILS5_8ELb0ES3_jPlPS6_PKS6_NS0_5tupleIJS9_S6_EEENSD_IJSA_SA_EEENS0_18inequality_wrapperIZN2at6native12_GLOBAL__N_124unique_dim_cuda_templateIhEESt5tupleIJNSH_6TensorESM_SM_EERKSM_lbbbEUlllE0_EEPmJS6_EEE10hipError_tPvRmT3_T4_T5_T6_T7_T9_mT8_P12ihipStream_tbDpT10_ENKUlT_T0_E_clISt17integral_constantIbLb1EES1B_IbLb0EEEEDaS17_S18_EUlS17_E_NS1_11comp_targetILNS1_3genE4ELNS1_11target_archE910ELNS1_3gpuE8ELNS1_3repE0EEENS1_30default_config_static_selectorELNS0_4arch9wavefront6targetE0EEEvT1_,comdat
.Lfunc_end189:
	.size	_ZN7rocprim17ROCPRIM_400000_NS6detail17trampoline_kernelINS0_14default_configENS1_25partition_config_selectorILNS1_17partition_subalgoE8ElNS0_10empty_typeEbEEZZNS1_14partition_implILS5_8ELb0ES3_jPlPS6_PKS6_NS0_5tupleIJS9_S6_EEENSD_IJSA_SA_EEENS0_18inequality_wrapperIZN2at6native12_GLOBAL__N_124unique_dim_cuda_templateIhEESt5tupleIJNSH_6TensorESM_SM_EERKSM_lbbbEUlllE0_EEPmJS6_EEE10hipError_tPvRmT3_T4_T5_T6_T7_T9_mT8_P12ihipStream_tbDpT10_ENKUlT_T0_E_clISt17integral_constantIbLb1EES1B_IbLb0EEEEDaS17_S18_EUlS17_E_NS1_11comp_targetILNS1_3genE4ELNS1_11target_archE910ELNS1_3gpuE8ELNS1_3repE0EEENS1_30default_config_static_selectorELNS0_4arch9wavefront6targetE0EEEvT1_, .Lfunc_end189-_ZN7rocprim17ROCPRIM_400000_NS6detail17trampoline_kernelINS0_14default_configENS1_25partition_config_selectorILNS1_17partition_subalgoE8ElNS0_10empty_typeEbEEZZNS1_14partition_implILS5_8ELb0ES3_jPlPS6_PKS6_NS0_5tupleIJS9_S6_EEENSD_IJSA_SA_EEENS0_18inequality_wrapperIZN2at6native12_GLOBAL__N_124unique_dim_cuda_templateIhEESt5tupleIJNSH_6TensorESM_SM_EERKSM_lbbbEUlllE0_EEPmJS6_EEE10hipError_tPvRmT3_T4_T5_T6_T7_T9_mT8_P12ihipStream_tbDpT10_ENKUlT_T0_E_clISt17integral_constantIbLb1EES1B_IbLb0EEEEDaS17_S18_EUlS17_E_NS1_11comp_targetILNS1_3genE4ELNS1_11target_archE910ELNS1_3gpuE8ELNS1_3repE0EEENS1_30default_config_static_selectorELNS0_4arch9wavefront6targetE0EEEvT1_
                                        ; -- End function
	.section	.AMDGPU.csdata,"",@progbits
; Kernel info:
; codeLenInByte = 0
; NumSgprs: 0
; NumVgprs: 0
; ScratchSize: 0
; MemoryBound: 0
; FloatMode: 240
; IeeeMode: 1
; LDSByteSize: 0 bytes/workgroup (compile time only)
; SGPRBlocks: 0
; VGPRBlocks: 0
; NumSGPRsForWavesPerEU: 1
; NumVGPRsForWavesPerEU: 1
; Occupancy: 16
; WaveLimiterHint : 0
; COMPUTE_PGM_RSRC2:SCRATCH_EN: 0
; COMPUTE_PGM_RSRC2:USER_SGPR: 15
; COMPUTE_PGM_RSRC2:TRAP_HANDLER: 0
; COMPUTE_PGM_RSRC2:TGID_X_EN: 1
; COMPUTE_PGM_RSRC2:TGID_Y_EN: 0
; COMPUTE_PGM_RSRC2:TGID_Z_EN: 0
; COMPUTE_PGM_RSRC2:TIDIG_COMP_CNT: 0
	.section	.text._ZN7rocprim17ROCPRIM_400000_NS6detail17trampoline_kernelINS0_14default_configENS1_25partition_config_selectorILNS1_17partition_subalgoE8ElNS0_10empty_typeEbEEZZNS1_14partition_implILS5_8ELb0ES3_jPlPS6_PKS6_NS0_5tupleIJS9_S6_EEENSD_IJSA_SA_EEENS0_18inequality_wrapperIZN2at6native12_GLOBAL__N_124unique_dim_cuda_templateIhEESt5tupleIJNSH_6TensorESM_SM_EERKSM_lbbbEUlllE0_EEPmJS6_EEE10hipError_tPvRmT3_T4_T5_T6_T7_T9_mT8_P12ihipStream_tbDpT10_ENKUlT_T0_E_clISt17integral_constantIbLb1EES1B_IbLb0EEEEDaS17_S18_EUlS17_E_NS1_11comp_targetILNS1_3genE3ELNS1_11target_archE908ELNS1_3gpuE7ELNS1_3repE0EEENS1_30default_config_static_selectorELNS0_4arch9wavefront6targetE0EEEvT1_,"axG",@progbits,_ZN7rocprim17ROCPRIM_400000_NS6detail17trampoline_kernelINS0_14default_configENS1_25partition_config_selectorILNS1_17partition_subalgoE8ElNS0_10empty_typeEbEEZZNS1_14partition_implILS5_8ELb0ES3_jPlPS6_PKS6_NS0_5tupleIJS9_S6_EEENSD_IJSA_SA_EEENS0_18inequality_wrapperIZN2at6native12_GLOBAL__N_124unique_dim_cuda_templateIhEESt5tupleIJNSH_6TensorESM_SM_EERKSM_lbbbEUlllE0_EEPmJS6_EEE10hipError_tPvRmT3_T4_T5_T6_T7_T9_mT8_P12ihipStream_tbDpT10_ENKUlT_T0_E_clISt17integral_constantIbLb1EES1B_IbLb0EEEEDaS17_S18_EUlS17_E_NS1_11comp_targetILNS1_3genE3ELNS1_11target_archE908ELNS1_3gpuE7ELNS1_3repE0EEENS1_30default_config_static_selectorELNS0_4arch9wavefront6targetE0EEEvT1_,comdat
	.globl	_ZN7rocprim17ROCPRIM_400000_NS6detail17trampoline_kernelINS0_14default_configENS1_25partition_config_selectorILNS1_17partition_subalgoE8ElNS0_10empty_typeEbEEZZNS1_14partition_implILS5_8ELb0ES3_jPlPS6_PKS6_NS0_5tupleIJS9_S6_EEENSD_IJSA_SA_EEENS0_18inequality_wrapperIZN2at6native12_GLOBAL__N_124unique_dim_cuda_templateIhEESt5tupleIJNSH_6TensorESM_SM_EERKSM_lbbbEUlllE0_EEPmJS6_EEE10hipError_tPvRmT3_T4_T5_T6_T7_T9_mT8_P12ihipStream_tbDpT10_ENKUlT_T0_E_clISt17integral_constantIbLb1EES1B_IbLb0EEEEDaS17_S18_EUlS17_E_NS1_11comp_targetILNS1_3genE3ELNS1_11target_archE908ELNS1_3gpuE7ELNS1_3repE0EEENS1_30default_config_static_selectorELNS0_4arch9wavefront6targetE0EEEvT1_ ; -- Begin function _ZN7rocprim17ROCPRIM_400000_NS6detail17trampoline_kernelINS0_14default_configENS1_25partition_config_selectorILNS1_17partition_subalgoE8ElNS0_10empty_typeEbEEZZNS1_14partition_implILS5_8ELb0ES3_jPlPS6_PKS6_NS0_5tupleIJS9_S6_EEENSD_IJSA_SA_EEENS0_18inequality_wrapperIZN2at6native12_GLOBAL__N_124unique_dim_cuda_templateIhEESt5tupleIJNSH_6TensorESM_SM_EERKSM_lbbbEUlllE0_EEPmJS6_EEE10hipError_tPvRmT3_T4_T5_T6_T7_T9_mT8_P12ihipStream_tbDpT10_ENKUlT_T0_E_clISt17integral_constantIbLb1EES1B_IbLb0EEEEDaS17_S18_EUlS17_E_NS1_11comp_targetILNS1_3genE3ELNS1_11target_archE908ELNS1_3gpuE7ELNS1_3repE0EEENS1_30default_config_static_selectorELNS0_4arch9wavefront6targetE0EEEvT1_
	.p2align	8
	.type	_ZN7rocprim17ROCPRIM_400000_NS6detail17trampoline_kernelINS0_14default_configENS1_25partition_config_selectorILNS1_17partition_subalgoE8ElNS0_10empty_typeEbEEZZNS1_14partition_implILS5_8ELb0ES3_jPlPS6_PKS6_NS0_5tupleIJS9_S6_EEENSD_IJSA_SA_EEENS0_18inequality_wrapperIZN2at6native12_GLOBAL__N_124unique_dim_cuda_templateIhEESt5tupleIJNSH_6TensorESM_SM_EERKSM_lbbbEUlllE0_EEPmJS6_EEE10hipError_tPvRmT3_T4_T5_T6_T7_T9_mT8_P12ihipStream_tbDpT10_ENKUlT_T0_E_clISt17integral_constantIbLb1EES1B_IbLb0EEEEDaS17_S18_EUlS17_E_NS1_11comp_targetILNS1_3genE3ELNS1_11target_archE908ELNS1_3gpuE7ELNS1_3repE0EEENS1_30default_config_static_selectorELNS0_4arch9wavefront6targetE0EEEvT1_,@function
_ZN7rocprim17ROCPRIM_400000_NS6detail17trampoline_kernelINS0_14default_configENS1_25partition_config_selectorILNS1_17partition_subalgoE8ElNS0_10empty_typeEbEEZZNS1_14partition_implILS5_8ELb0ES3_jPlPS6_PKS6_NS0_5tupleIJS9_S6_EEENSD_IJSA_SA_EEENS0_18inequality_wrapperIZN2at6native12_GLOBAL__N_124unique_dim_cuda_templateIhEESt5tupleIJNSH_6TensorESM_SM_EERKSM_lbbbEUlllE0_EEPmJS6_EEE10hipError_tPvRmT3_T4_T5_T6_T7_T9_mT8_P12ihipStream_tbDpT10_ENKUlT_T0_E_clISt17integral_constantIbLb1EES1B_IbLb0EEEEDaS17_S18_EUlS17_E_NS1_11comp_targetILNS1_3genE3ELNS1_11target_archE908ELNS1_3gpuE7ELNS1_3repE0EEENS1_30default_config_static_selectorELNS0_4arch9wavefront6targetE0EEEvT1_: ; @_ZN7rocprim17ROCPRIM_400000_NS6detail17trampoline_kernelINS0_14default_configENS1_25partition_config_selectorILNS1_17partition_subalgoE8ElNS0_10empty_typeEbEEZZNS1_14partition_implILS5_8ELb0ES3_jPlPS6_PKS6_NS0_5tupleIJS9_S6_EEENSD_IJSA_SA_EEENS0_18inequality_wrapperIZN2at6native12_GLOBAL__N_124unique_dim_cuda_templateIhEESt5tupleIJNSH_6TensorESM_SM_EERKSM_lbbbEUlllE0_EEPmJS6_EEE10hipError_tPvRmT3_T4_T5_T6_T7_T9_mT8_P12ihipStream_tbDpT10_ENKUlT_T0_E_clISt17integral_constantIbLb1EES1B_IbLb0EEEEDaS17_S18_EUlS17_E_NS1_11comp_targetILNS1_3genE3ELNS1_11target_archE908ELNS1_3gpuE7ELNS1_3repE0EEENS1_30default_config_static_selectorELNS0_4arch9wavefront6targetE0EEEvT1_
; %bb.0:
	.section	.rodata,"a",@progbits
	.p2align	6, 0x0
	.amdhsa_kernel _ZN7rocprim17ROCPRIM_400000_NS6detail17trampoline_kernelINS0_14default_configENS1_25partition_config_selectorILNS1_17partition_subalgoE8ElNS0_10empty_typeEbEEZZNS1_14partition_implILS5_8ELb0ES3_jPlPS6_PKS6_NS0_5tupleIJS9_S6_EEENSD_IJSA_SA_EEENS0_18inequality_wrapperIZN2at6native12_GLOBAL__N_124unique_dim_cuda_templateIhEESt5tupleIJNSH_6TensorESM_SM_EERKSM_lbbbEUlllE0_EEPmJS6_EEE10hipError_tPvRmT3_T4_T5_T6_T7_T9_mT8_P12ihipStream_tbDpT10_ENKUlT_T0_E_clISt17integral_constantIbLb1EES1B_IbLb0EEEEDaS17_S18_EUlS17_E_NS1_11comp_targetILNS1_3genE3ELNS1_11target_archE908ELNS1_3gpuE7ELNS1_3repE0EEENS1_30default_config_static_selectorELNS0_4arch9wavefront6targetE0EEEvT1_
		.amdhsa_group_segment_fixed_size 0
		.amdhsa_private_segment_fixed_size 0
		.amdhsa_kernarg_size 120
		.amdhsa_user_sgpr_count 15
		.amdhsa_user_sgpr_dispatch_ptr 0
		.amdhsa_user_sgpr_queue_ptr 0
		.amdhsa_user_sgpr_kernarg_segment_ptr 1
		.amdhsa_user_sgpr_dispatch_id 0
		.amdhsa_user_sgpr_private_segment_size 0
		.amdhsa_wavefront_size32 1
		.amdhsa_uses_dynamic_stack 0
		.amdhsa_enable_private_segment 0
		.amdhsa_system_sgpr_workgroup_id_x 1
		.amdhsa_system_sgpr_workgroup_id_y 0
		.amdhsa_system_sgpr_workgroup_id_z 0
		.amdhsa_system_sgpr_workgroup_info 0
		.amdhsa_system_vgpr_workitem_id 0
		.amdhsa_next_free_vgpr 1
		.amdhsa_next_free_sgpr 1
		.amdhsa_reserve_vcc 0
		.amdhsa_float_round_mode_32 0
		.amdhsa_float_round_mode_16_64 0
		.amdhsa_float_denorm_mode_32 3
		.amdhsa_float_denorm_mode_16_64 3
		.amdhsa_dx10_clamp 1
		.amdhsa_ieee_mode 1
		.amdhsa_fp16_overflow 0
		.amdhsa_workgroup_processor_mode 1
		.amdhsa_memory_ordered 1
		.amdhsa_forward_progress 0
		.amdhsa_shared_vgpr_count 0
		.amdhsa_exception_fp_ieee_invalid_op 0
		.amdhsa_exception_fp_denorm_src 0
		.amdhsa_exception_fp_ieee_div_zero 0
		.amdhsa_exception_fp_ieee_overflow 0
		.amdhsa_exception_fp_ieee_underflow 0
		.amdhsa_exception_fp_ieee_inexact 0
		.amdhsa_exception_int_div_zero 0
	.end_amdhsa_kernel
	.section	.text._ZN7rocprim17ROCPRIM_400000_NS6detail17trampoline_kernelINS0_14default_configENS1_25partition_config_selectorILNS1_17partition_subalgoE8ElNS0_10empty_typeEbEEZZNS1_14partition_implILS5_8ELb0ES3_jPlPS6_PKS6_NS0_5tupleIJS9_S6_EEENSD_IJSA_SA_EEENS0_18inequality_wrapperIZN2at6native12_GLOBAL__N_124unique_dim_cuda_templateIhEESt5tupleIJNSH_6TensorESM_SM_EERKSM_lbbbEUlllE0_EEPmJS6_EEE10hipError_tPvRmT3_T4_T5_T6_T7_T9_mT8_P12ihipStream_tbDpT10_ENKUlT_T0_E_clISt17integral_constantIbLb1EES1B_IbLb0EEEEDaS17_S18_EUlS17_E_NS1_11comp_targetILNS1_3genE3ELNS1_11target_archE908ELNS1_3gpuE7ELNS1_3repE0EEENS1_30default_config_static_selectorELNS0_4arch9wavefront6targetE0EEEvT1_,"axG",@progbits,_ZN7rocprim17ROCPRIM_400000_NS6detail17trampoline_kernelINS0_14default_configENS1_25partition_config_selectorILNS1_17partition_subalgoE8ElNS0_10empty_typeEbEEZZNS1_14partition_implILS5_8ELb0ES3_jPlPS6_PKS6_NS0_5tupleIJS9_S6_EEENSD_IJSA_SA_EEENS0_18inequality_wrapperIZN2at6native12_GLOBAL__N_124unique_dim_cuda_templateIhEESt5tupleIJNSH_6TensorESM_SM_EERKSM_lbbbEUlllE0_EEPmJS6_EEE10hipError_tPvRmT3_T4_T5_T6_T7_T9_mT8_P12ihipStream_tbDpT10_ENKUlT_T0_E_clISt17integral_constantIbLb1EES1B_IbLb0EEEEDaS17_S18_EUlS17_E_NS1_11comp_targetILNS1_3genE3ELNS1_11target_archE908ELNS1_3gpuE7ELNS1_3repE0EEENS1_30default_config_static_selectorELNS0_4arch9wavefront6targetE0EEEvT1_,comdat
.Lfunc_end190:
	.size	_ZN7rocprim17ROCPRIM_400000_NS6detail17trampoline_kernelINS0_14default_configENS1_25partition_config_selectorILNS1_17partition_subalgoE8ElNS0_10empty_typeEbEEZZNS1_14partition_implILS5_8ELb0ES3_jPlPS6_PKS6_NS0_5tupleIJS9_S6_EEENSD_IJSA_SA_EEENS0_18inequality_wrapperIZN2at6native12_GLOBAL__N_124unique_dim_cuda_templateIhEESt5tupleIJNSH_6TensorESM_SM_EERKSM_lbbbEUlllE0_EEPmJS6_EEE10hipError_tPvRmT3_T4_T5_T6_T7_T9_mT8_P12ihipStream_tbDpT10_ENKUlT_T0_E_clISt17integral_constantIbLb1EES1B_IbLb0EEEEDaS17_S18_EUlS17_E_NS1_11comp_targetILNS1_3genE3ELNS1_11target_archE908ELNS1_3gpuE7ELNS1_3repE0EEENS1_30default_config_static_selectorELNS0_4arch9wavefront6targetE0EEEvT1_, .Lfunc_end190-_ZN7rocprim17ROCPRIM_400000_NS6detail17trampoline_kernelINS0_14default_configENS1_25partition_config_selectorILNS1_17partition_subalgoE8ElNS0_10empty_typeEbEEZZNS1_14partition_implILS5_8ELb0ES3_jPlPS6_PKS6_NS0_5tupleIJS9_S6_EEENSD_IJSA_SA_EEENS0_18inequality_wrapperIZN2at6native12_GLOBAL__N_124unique_dim_cuda_templateIhEESt5tupleIJNSH_6TensorESM_SM_EERKSM_lbbbEUlllE0_EEPmJS6_EEE10hipError_tPvRmT3_T4_T5_T6_T7_T9_mT8_P12ihipStream_tbDpT10_ENKUlT_T0_E_clISt17integral_constantIbLb1EES1B_IbLb0EEEEDaS17_S18_EUlS17_E_NS1_11comp_targetILNS1_3genE3ELNS1_11target_archE908ELNS1_3gpuE7ELNS1_3repE0EEENS1_30default_config_static_selectorELNS0_4arch9wavefront6targetE0EEEvT1_
                                        ; -- End function
	.section	.AMDGPU.csdata,"",@progbits
; Kernel info:
; codeLenInByte = 0
; NumSgprs: 0
; NumVgprs: 0
; ScratchSize: 0
; MemoryBound: 0
; FloatMode: 240
; IeeeMode: 1
; LDSByteSize: 0 bytes/workgroup (compile time only)
; SGPRBlocks: 0
; VGPRBlocks: 0
; NumSGPRsForWavesPerEU: 1
; NumVGPRsForWavesPerEU: 1
; Occupancy: 16
; WaveLimiterHint : 0
; COMPUTE_PGM_RSRC2:SCRATCH_EN: 0
; COMPUTE_PGM_RSRC2:USER_SGPR: 15
; COMPUTE_PGM_RSRC2:TRAP_HANDLER: 0
; COMPUTE_PGM_RSRC2:TGID_X_EN: 1
; COMPUTE_PGM_RSRC2:TGID_Y_EN: 0
; COMPUTE_PGM_RSRC2:TGID_Z_EN: 0
; COMPUTE_PGM_RSRC2:TIDIG_COMP_CNT: 0
	.section	.text._ZN7rocprim17ROCPRIM_400000_NS6detail17trampoline_kernelINS0_14default_configENS1_25partition_config_selectorILNS1_17partition_subalgoE8ElNS0_10empty_typeEbEEZZNS1_14partition_implILS5_8ELb0ES3_jPlPS6_PKS6_NS0_5tupleIJS9_S6_EEENSD_IJSA_SA_EEENS0_18inequality_wrapperIZN2at6native12_GLOBAL__N_124unique_dim_cuda_templateIhEESt5tupleIJNSH_6TensorESM_SM_EERKSM_lbbbEUlllE0_EEPmJS6_EEE10hipError_tPvRmT3_T4_T5_T6_T7_T9_mT8_P12ihipStream_tbDpT10_ENKUlT_T0_E_clISt17integral_constantIbLb1EES1B_IbLb0EEEEDaS17_S18_EUlS17_E_NS1_11comp_targetILNS1_3genE2ELNS1_11target_archE906ELNS1_3gpuE6ELNS1_3repE0EEENS1_30default_config_static_selectorELNS0_4arch9wavefront6targetE0EEEvT1_,"axG",@progbits,_ZN7rocprim17ROCPRIM_400000_NS6detail17trampoline_kernelINS0_14default_configENS1_25partition_config_selectorILNS1_17partition_subalgoE8ElNS0_10empty_typeEbEEZZNS1_14partition_implILS5_8ELb0ES3_jPlPS6_PKS6_NS0_5tupleIJS9_S6_EEENSD_IJSA_SA_EEENS0_18inequality_wrapperIZN2at6native12_GLOBAL__N_124unique_dim_cuda_templateIhEESt5tupleIJNSH_6TensorESM_SM_EERKSM_lbbbEUlllE0_EEPmJS6_EEE10hipError_tPvRmT3_T4_T5_T6_T7_T9_mT8_P12ihipStream_tbDpT10_ENKUlT_T0_E_clISt17integral_constantIbLb1EES1B_IbLb0EEEEDaS17_S18_EUlS17_E_NS1_11comp_targetILNS1_3genE2ELNS1_11target_archE906ELNS1_3gpuE6ELNS1_3repE0EEENS1_30default_config_static_selectorELNS0_4arch9wavefront6targetE0EEEvT1_,comdat
	.globl	_ZN7rocprim17ROCPRIM_400000_NS6detail17trampoline_kernelINS0_14default_configENS1_25partition_config_selectorILNS1_17partition_subalgoE8ElNS0_10empty_typeEbEEZZNS1_14partition_implILS5_8ELb0ES3_jPlPS6_PKS6_NS0_5tupleIJS9_S6_EEENSD_IJSA_SA_EEENS0_18inequality_wrapperIZN2at6native12_GLOBAL__N_124unique_dim_cuda_templateIhEESt5tupleIJNSH_6TensorESM_SM_EERKSM_lbbbEUlllE0_EEPmJS6_EEE10hipError_tPvRmT3_T4_T5_T6_T7_T9_mT8_P12ihipStream_tbDpT10_ENKUlT_T0_E_clISt17integral_constantIbLb1EES1B_IbLb0EEEEDaS17_S18_EUlS17_E_NS1_11comp_targetILNS1_3genE2ELNS1_11target_archE906ELNS1_3gpuE6ELNS1_3repE0EEENS1_30default_config_static_selectorELNS0_4arch9wavefront6targetE0EEEvT1_ ; -- Begin function _ZN7rocprim17ROCPRIM_400000_NS6detail17trampoline_kernelINS0_14default_configENS1_25partition_config_selectorILNS1_17partition_subalgoE8ElNS0_10empty_typeEbEEZZNS1_14partition_implILS5_8ELb0ES3_jPlPS6_PKS6_NS0_5tupleIJS9_S6_EEENSD_IJSA_SA_EEENS0_18inequality_wrapperIZN2at6native12_GLOBAL__N_124unique_dim_cuda_templateIhEESt5tupleIJNSH_6TensorESM_SM_EERKSM_lbbbEUlllE0_EEPmJS6_EEE10hipError_tPvRmT3_T4_T5_T6_T7_T9_mT8_P12ihipStream_tbDpT10_ENKUlT_T0_E_clISt17integral_constantIbLb1EES1B_IbLb0EEEEDaS17_S18_EUlS17_E_NS1_11comp_targetILNS1_3genE2ELNS1_11target_archE906ELNS1_3gpuE6ELNS1_3repE0EEENS1_30default_config_static_selectorELNS0_4arch9wavefront6targetE0EEEvT1_
	.p2align	8
	.type	_ZN7rocprim17ROCPRIM_400000_NS6detail17trampoline_kernelINS0_14default_configENS1_25partition_config_selectorILNS1_17partition_subalgoE8ElNS0_10empty_typeEbEEZZNS1_14partition_implILS5_8ELb0ES3_jPlPS6_PKS6_NS0_5tupleIJS9_S6_EEENSD_IJSA_SA_EEENS0_18inequality_wrapperIZN2at6native12_GLOBAL__N_124unique_dim_cuda_templateIhEESt5tupleIJNSH_6TensorESM_SM_EERKSM_lbbbEUlllE0_EEPmJS6_EEE10hipError_tPvRmT3_T4_T5_T6_T7_T9_mT8_P12ihipStream_tbDpT10_ENKUlT_T0_E_clISt17integral_constantIbLb1EES1B_IbLb0EEEEDaS17_S18_EUlS17_E_NS1_11comp_targetILNS1_3genE2ELNS1_11target_archE906ELNS1_3gpuE6ELNS1_3repE0EEENS1_30default_config_static_selectorELNS0_4arch9wavefront6targetE0EEEvT1_,@function
_ZN7rocprim17ROCPRIM_400000_NS6detail17trampoline_kernelINS0_14default_configENS1_25partition_config_selectorILNS1_17partition_subalgoE8ElNS0_10empty_typeEbEEZZNS1_14partition_implILS5_8ELb0ES3_jPlPS6_PKS6_NS0_5tupleIJS9_S6_EEENSD_IJSA_SA_EEENS0_18inequality_wrapperIZN2at6native12_GLOBAL__N_124unique_dim_cuda_templateIhEESt5tupleIJNSH_6TensorESM_SM_EERKSM_lbbbEUlllE0_EEPmJS6_EEE10hipError_tPvRmT3_T4_T5_T6_T7_T9_mT8_P12ihipStream_tbDpT10_ENKUlT_T0_E_clISt17integral_constantIbLb1EES1B_IbLb0EEEEDaS17_S18_EUlS17_E_NS1_11comp_targetILNS1_3genE2ELNS1_11target_archE906ELNS1_3gpuE6ELNS1_3repE0EEENS1_30default_config_static_selectorELNS0_4arch9wavefront6targetE0EEEvT1_: ; @_ZN7rocprim17ROCPRIM_400000_NS6detail17trampoline_kernelINS0_14default_configENS1_25partition_config_selectorILNS1_17partition_subalgoE8ElNS0_10empty_typeEbEEZZNS1_14partition_implILS5_8ELb0ES3_jPlPS6_PKS6_NS0_5tupleIJS9_S6_EEENSD_IJSA_SA_EEENS0_18inequality_wrapperIZN2at6native12_GLOBAL__N_124unique_dim_cuda_templateIhEESt5tupleIJNSH_6TensorESM_SM_EERKSM_lbbbEUlllE0_EEPmJS6_EEE10hipError_tPvRmT3_T4_T5_T6_T7_T9_mT8_P12ihipStream_tbDpT10_ENKUlT_T0_E_clISt17integral_constantIbLb1EES1B_IbLb0EEEEDaS17_S18_EUlS17_E_NS1_11comp_targetILNS1_3genE2ELNS1_11target_archE906ELNS1_3gpuE6ELNS1_3repE0EEENS1_30default_config_static_selectorELNS0_4arch9wavefront6targetE0EEEvT1_
; %bb.0:
	.section	.rodata,"a",@progbits
	.p2align	6, 0x0
	.amdhsa_kernel _ZN7rocprim17ROCPRIM_400000_NS6detail17trampoline_kernelINS0_14default_configENS1_25partition_config_selectorILNS1_17partition_subalgoE8ElNS0_10empty_typeEbEEZZNS1_14partition_implILS5_8ELb0ES3_jPlPS6_PKS6_NS0_5tupleIJS9_S6_EEENSD_IJSA_SA_EEENS0_18inequality_wrapperIZN2at6native12_GLOBAL__N_124unique_dim_cuda_templateIhEESt5tupleIJNSH_6TensorESM_SM_EERKSM_lbbbEUlllE0_EEPmJS6_EEE10hipError_tPvRmT3_T4_T5_T6_T7_T9_mT8_P12ihipStream_tbDpT10_ENKUlT_T0_E_clISt17integral_constantIbLb1EES1B_IbLb0EEEEDaS17_S18_EUlS17_E_NS1_11comp_targetILNS1_3genE2ELNS1_11target_archE906ELNS1_3gpuE6ELNS1_3repE0EEENS1_30default_config_static_selectorELNS0_4arch9wavefront6targetE0EEEvT1_
		.amdhsa_group_segment_fixed_size 0
		.amdhsa_private_segment_fixed_size 0
		.amdhsa_kernarg_size 120
		.amdhsa_user_sgpr_count 15
		.amdhsa_user_sgpr_dispatch_ptr 0
		.amdhsa_user_sgpr_queue_ptr 0
		.amdhsa_user_sgpr_kernarg_segment_ptr 1
		.amdhsa_user_sgpr_dispatch_id 0
		.amdhsa_user_sgpr_private_segment_size 0
		.amdhsa_wavefront_size32 1
		.amdhsa_uses_dynamic_stack 0
		.amdhsa_enable_private_segment 0
		.amdhsa_system_sgpr_workgroup_id_x 1
		.amdhsa_system_sgpr_workgroup_id_y 0
		.amdhsa_system_sgpr_workgroup_id_z 0
		.amdhsa_system_sgpr_workgroup_info 0
		.amdhsa_system_vgpr_workitem_id 0
		.amdhsa_next_free_vgpr 1
		.amdhsa_next_free_sgpr 1
		.amdhsa_reserve_vcc 0
		.amdhsa_float_round_mode_32 0
		.amdhsa_float_round_mode_16_64 0
		.amdhsa_float_denorm_mode_32 3
		.amdhsa_float_denorm_mode_16_64 3
		.amdhsa_dx10_clamp 1
		.amdhsa_ieee_mode 1
		.amdhsa_fp16_overflow 0
		.amdhsa_workgroup_processor_mode 1
		.amdhsa_memory_ordered 1
		.amdhsa_forward_progress 0
		.amdhsa_shared_vgpr_count 0
		.amdhsa_exception_fp_ieee_invalid_op 0
		.amdhsa_exception_fp_denorm_src 0
		.amdhsa_exception_fp_ieee_div_zero 0
		.amdhsa_exception_fp_ieee_overflow 0
		.amdhsa_exception_fp_ieee_underflow 0
		.amdhsa_exception_fp_ieee_inexact 0
		.amdhsa_exception_int_div_zero 0
	.end_amdhsa_kernel
	.section	.text._ZN7rocprim17ROCPRIM_400000_NS6detail17trampoline_kernelINS0_14default_configENS1_25partition_config_selectorILNS1_17partition_subalgoE8ElNS0_10empty_typeEbEEZZNS1_14partition_implILS5_8ELb0ES3_jPlPS6_PKS6_NS0_5tupleIJS9_S6_EEENSD_IJSA_SA_EEENS0_18inequality_wrapperIZN2at6native12_GLOBAL__N_124unique_dim_cuda_templateIhEESt5tupleIJNSH_6TensorESM_SM_EERKSM_lbbbEUlllE0_EEPmJS6_EEE10hipError_tPvRmT3_T4_T5_T6_T7_T9_mT8_P12ihipStream_tbDpT10_ENKUlT_T0_E_clISt17integral_constantIbLb1EES1B_IbLb0EEEEDaS17_S18_EUlS17_E_NS1_11comp_targetILNS1_3genE2ELNS1_11target_archE906ELNS1_3gpuE6ELNS1_3repE0EEENS1_30default_config_static_selectorELNS0_4arch9wavefront6targetE0EEEvT1_,"axG",@progbits,_ZN7rocprim17ROCPRIM_400000_NS6detail17trampoline_kernelINS0_14default_configENS1_25partition_config_selectorILNS1_17partition_subalgoE8ElNS0_10empty_typeEbEEZZNS1_14partition_implILS5_8ELb0ES3_jPlPS6_PKS6_NS0_5tupleIJS9_S6_EEENSD_IJSA_SA_EEENS0_18inequality_wrapperIZN2at6native12_GLOBAL__N_124unique_dim_cuda_templateIhEESt5tupleIJNSH_6TensorESM_SM_EERKSM_lbbbEUlllE0_EEPmJS6_EEE10hipError_tPvRmT3_T4_T5_T6_T7_T9_mT8_P12ihipStream_tbDpT10_ENKUlT_T0_E_clISt17integral_constantIbLb1EES1B_IbLb0EEEEDaS17_S18_EUlS17_E_NS1_11comp_targetILNS1_3genE2ELNS1_11target_archE906ELNS1_3gpuE6ELNS1_3repE0EEENS1_30default_config_static_selectorELNS0_4arch9wavefront6targetE0EEEvT1_,comdat
.Lfunc_end191:
	.size	_ZN7rocprim17ROCPRIM_400000_NS6detail17trampoline_kernelINS0_14default_configENS1_25partition_config_selectorILNS1_17partition_subalgoE8ElNS0_10empty_typeEbEEZZNS1_14partition_implILS5_8ELb0ES3_jPlPS6_PKS6_NS0_5tupleIJS9_S6_EEENSD_IJSA_SA_EEENS0_18inequality_wrapperIZN2at6native12_GLOBAL__N_124unique_dim_cuda_templateIhEESt5tupleIJNSH_6TensorESM_SM_EERKSM_lbbbEUlllE0_EEPmJS6_EEE10hipError_tPvRmT3_T4_T5_T6_T7_T9_mT8_P12ihipStream_tbDpT10_ENKUlT_T0_E_clISt17integral_constantIbLb1EES1B_IbLb0EEEEDaS17_S18_EUlS17_E_NS1_11comp_targetILNS1_3genE2ELNS1_11target_archE906ELNS1_3gpuE6ELNS1_3repE0EEENS1_30default_config_static_selectorELNS0_4arch9wavefront6targetE0EEEvT1_, .Lfunc_end191-_ZN7rocprim17ROCPRIM_400000_NS6detail17trampoline_kernelINS0_14default_configENS1_25partition_config_selectorILNS1_17partition_subalgoE8ElNS0_10empty_typeEbEEZZNS1_14partition_implILS5_8ELb0ES3_jPlPS6_PKS6_NS0_5tupleIJS9_S6_EEENSD_IJSA_SA_EEENS0_18inequality_wrapperIZN2at6native12_GLOBAL__N_124unique_dim_cuda_templateIhEESt5tupleIJNSH_6TensorESM_SM_EERKSM_lbbbEUlllE0_EEPmJS6_EEE10hipError_tPvRmT3_T4_T5_T6_T7_T9_mT8_P12ihipStream_tbDpT10_ENKUlT_T0_E_clISt17integral_constantIbLb1EES1B_IbLb0EEEEDaS17_S18_EUlS17_E_NS1_11comp_targetILNS1_3genE2ELNS1_11target_archE906ELNS1_3gpuE6ELNS1_3repE0EEENS1_30default_config_static_selectorELNS0_4arch9wavefront6targetE0EEEvT1_
                                        ; -- End function
	.section	.AMDGPU.csdata,"",@progbits
; Kernel info:
; codeLenInByte = 0
; NumSgprs: 0
; NumVgprs: 0
; ScratchSize: 0
; MemoryBound: 0
; FloatMode: 240
; IeeeMode: 1
; LDSByteSize: 0 bytes/workgroup (compile time only)
; SGPRBlocks: 0
; VGPRBlocks: 0
; NumSGPRsForWavesPerEU: 1
; NumVGPRsForWavesPerEU: 1
; Occupancy: 16
; WaveLimiterHint : 0
; COMPUTE_PGM_RSRC2:SCRATCH_EN: 0
; COMPUTE_PGM_RSRC2:USER_SGPR: 15
; COMPUTE_PGM_RSRC2:TRAP_HANDLER: 0
; COMPUTE_PGM_RSRC2:TGID_X_EN: 1
; COMPUTE_PGM_RSRC2:TGID_Y_EN: 0
; COMPUTE_PGM_RSRC2:TGID_Z_EN: 0
; COMPUTE_PGM_RSRC2:TIDIG_COMP_CNT: 0
	.section	.text._ZN7rocprim17ROCPRIM_400000_NS6detail17trampoline_kernelINS0_14default_configENS1_25partition_config_selectorILNS1_17partition_subalgoE8ElNS0_10empty_typeEbEEZZNS1_14partition_implILS5_8ELb0ES3_jPlPS6_PKS6_NS0_5tupleIJS9_S6_EEENSD_IJSA_SA_EEENS0_18inequality_wrapperIZN2at6native12_GLOBAL__N_124unique_dim_cuda_templateIhEESt5tupleIJNSH_6TensorESM_SM_EERKSM_lbbbEUlllE0_EEPmJS6_EEE10hipError_tPvRmT3_T4_T5_T6_T7_T9_mT8_P12ihipStream_tbDpT10_ENKUlT_T0_E_clISt17integral_constantIbLb1EES1B_IbLb0EEEEDaS17_S18_EUlS17_E_NS1_11comp_targetILNS1_3genE10ELNS1_11target_archE1200ELNS1_3gpuE4ELNS1_3repE0EEENS1_30default_config_static_selectorELNS0_4arch9wavefront6targetE0EEEvT1_,"axG",@progbits,_ZN7rocprim17ROCPRIM_400000_NS6detail17trampoline_kernelINS0_14default_configENS1_25partition_config_selectorILNS1_17partition_subalgoE8ElNS0_10empty_typeEbEEZZNS1_14partition_implILS5_8ELb0ES3_jPlPS6_PKS6_NS0_5tupleIJS9_S6_EEENSD_IJSA_SA_EEENS0_18inequality_wrapperIZN2at6native12_GLOBAL__N_124unique_dim_cuda_templateIhEESt5tupleIJNSH_6TensorESM_SM_EERKSM_lbbbEUlllE0_EEPmJS6_EEE10hipError_tPvRmT3_T4_T5_T6_T7_T9_mT8_P12ihipStream_tbDpT10_ENKUlT_T0_E_clISt17integral_constantIbLb1EES1B_IbLb0EEEEDaS17_S18_EUlS17_E_NS1_11comp_targetILNS1_3genE10ELNS1_11target_archE1200ELNS1_3gpuE4ELNS1_3repE0EEENS1_30default_config_static_selectorELNS0_4arch9wavefront6targetE0EEEvT1_,comdat
	.globl	_ZN7rocprim17ROCPRIM_400000_NS6detail17trampoline_kernelINS0_14default_configENS1_25partition_config_selectorILNS1_17partition_subalgoE8ElNS0_10empty_typeEbEEZZNS1_14partition_implILS5_8ELb0ES3_jPlPS6_PKS6_NS0_5tupleIJS9_S6_EEENSD_IJSA_SA_EEENS0_18inequality_wrapperIZN2at6native12_GLOBAL__N_124unique_dim_cuda_templateIhEESt5tupleIJNSH_6TensorESM_SM_EERKSM_lbbbEUlllE0_EEPmJS6_EEE10hipError_tPvRmT3_T4_T5_T6_T7_T9_mT8_P12ihipStream_tbDpT10_ENKUlT_T0_E_clISt17integral_constantIbLb1EES1B_IbLb0EEEEDaS17_S18_EUlS17_E_NS1_11comp_targetILNS1_3genE10ELNS1_11target_archE1200ELNS1_3gpuE4ELNS1_3repE0EEENS1_30default_config_static_selectorELNS0_4arch9wavefront6targetE0EEEvT1_ ; -- Begin function _ZN7rocprim17ROCPRIM_400000_NS6detail17trampoline_kernelINS0_14default_configENS1_25partition_config_selectorILNS1_17partition_subalgoE8ElNS0_10empty_typeEbEEZZNS1_14partition_implILS5_8ELb0ES3_jPlPS6_PKS6_NS0_5tupleIJS9_S6_EEENSD_IJSA_SA_EEENS0_18inequality_wrapperIZN2at6native12_GLOBAL__N_124unique_dim_cuda_templateIhEESt5tupleIJNSH_6TensorESM_SM_EERKSM_lbbbEUlllE0_EEPmJS6_EEE10hipError_tPvRmT3_T4_T5_T6_T7_T9_mT8_P12ihipStream_tbDpT10_ENKUlT_T0_E_clISt17integral_constantIbLb1EES1B_IbLb0EEEEDaS17_S18_EUlS17_E_NS1_11comp_targetILNS1_3genE10ELNS1_11target_archE1200ELNS1_3gpuE4ELNS1_3repE0EEENS1_30default_config_static_selectorELNS0_4arch9wavefront6targetE0EEEvT1_
	.p2align	8
	.type	_ZN7rocprim17ROCPRIM_400000_NS6detail17trampoline_kernelINS0_14default_configENS1_25partition_config_selectorILNS1_17partition_subalgoE8ElNS0_10empty_typeEbEEZZNS1_14partition_implILS5_8ELb0ES3_jPlPS6_PKS6_NS0_5tupleIJS9_S6_EEENSD_IJSA_SA_EEENS0_18inequality_wrapperIZN2at6native12_GLOBAL__N_124unique_dim_cuda_templateIhEESt5tupleIJNSH_6TensorESM_SM_EERKSM_lbbbEUlllE0_EEPmJS6_EEE10hipError_tPvRmT3_T4_T5_T6_T7_T9_mT8_P12ihipStream_tbDpT10_ENKUlT_T0_E_clISt17integral_constantIbLb1EES1B_IbLb0EEEEDaS17_S18_EUlS17_E_NS1_11comp_targetILNS1_3genE10ELNS1_11target_archE1200ELNS1_3gpuE4ELNS1_3repE0EEENS1_30default_config_static_selectorELNS0_4arch9wavefront6targetE0EEEvT1_,@function
_ZN7rocprim17ROCPRIM_400000_NS6detail17trampoline_kernelINS0_14default_configENS1_25partition_config_selectorILNS1_17partition_subalgoE8ElNS0_10empty_typeEbEEZZNS1_14partition_implILS5_8ELb0ES3_jPlPS6_PKS6_NS0_5tupleIJS9_S6_EEENSD_IJSA_SA_EEENS0_18inequality_wrapperIZN2at6native12_GLOBAL__N_124unique_dim_cuda_templateIhEESt5tupleIJNSH_6TensorESM_SM_EERKSM_lbbbEUlllE0_EEPmJS6_EEE10hipError_tPvRmT3_T4_T5_T6_T7_T9_mT8_P12ihipStream_tbDpT10_ENKUlT_T0_E_clISt17integral_constantIbLb1EES1B_IbLb0EEEEDaS17_S18_EUlS17_E_NS1_11comp_targetILNS1_3genE10ELNS1_11target_archE1200ELNS1_3gpuE4ELNS1_3repE0EEENS1_30default_config_static_selectorELNS0_4arch9wavefront6targetE0EEEvT1_: ; @_ZN7rocprim17ROCPRIM_400000_NS6detail17trampoline_kernelINS0_14default_configENS1_25partition_config_selectorILNS1_17partition_subalgoE8ElNS0_10empty_typeEbEEZZNS1_14partition_implILS5_8ELb0ES3_jPlPS6_PKS6_NS0_5tupleIJS9_S6_EEENSD_IJSA_SA_EEENS0_18inequality_wrapperIZN2at6native12_GLOBAL__N_124unique_dim_cuda_templateIhEESt5tupleIJNSH_6TensorESM_SM_EERKSM_lbbbEUlllE0_EEPmJS6_EEE10hipError_tPvRmT3_T4_T5_T6_T7_T9_mT8_P12ihipStream_tbDpT10_ENKUlT_T0_E_clISt17integral_constantIbLb1EES1B_IbLb0EEEEDaS17_S18_EUlS17_E_NS1_11comp_targetILNS1_3genE10ELNS1_11target_archE1200ELNS1_3gpuE4ELNS1_3repE0EEENS1_30default_config_static_selectorELNS0_4arch9wavefront6targetE0EEEvT1_
; %bb.0:
	.section	.rodata,"a",@progbits
	.p2align	6, 0x0
	.amdhsa_kernel _ZN7rocprim17ROCPRIM_400000_NS6detail17trampoline_kernelINS0_14default_configENS1_25partition_config_selectorILNS1_17partition_subalgoE8ElNS0_10empty_typeEbEEZZNS1_14partition_implILS5_8ELb0ES3_jPlPS6_PKS6_NS0_5tupleIJS9_S6_EEENSD_IJSA_SA_EEENS0_18inequality_wrapperIZN2at6native12_GLOBAL__N_124unique_dim_cuda_templateIhEESt5tupleIJNSH_6TensorESM_SM_EERKSM_lbbbEUlllE0_EEPmJS6_EEE10hipError_tPvRmT3_T4_T5_T6_T7_T9_mT8_P12ihipStream_tbDpT10_ENKUlT_T0_E_clISt17integral_constantIbLb1EES1B_IbLb0EEEEDaS17_S18_EUlS17_E_NS1_11comp_targetILNS1_3genE10ELNS1_11target_archE1200ELNS1_3gpuE4ELNS1_3repE0EEENS1_30default_config_static_selectorELNS0_4arch9wavefront6targetE0EEEvT1_
		.amdhsa_group_segment_fixed_size 0
		.amdhsa_private_segment_fixed_size 0
		.amdhsa_kernarg_size 120
		.amdhsa_user_sgpr_count 15
		.amdhsa_user_sgpr_dispatch_ptr 0
		.amdhsa_user_sgpr_queue_ptr 0
		.amdhsa_user_sgpr_kernarg_segment_ptr 1
		.amdhsa_user_sgpr_dispatch_id 0
		.amdhsa_user_sgpr_private_segment_size 0
		.amdhsa_wavefront_size32 1
		.amdhsa_uses_dynamic_stack 0
		.amdhsa_enable_private_segment 0
		.amdhsa_system_sgpr_workgroup_id_x 1
		.amdhsa_system_sgpr_workgroup_id_y 0
		.amdhsa_system_sgpr_workgroup_id_z 0
		.amdhsa_system_sgpr_workgroup_info 0
		.amdhsa_system_vgpr_workitem_id 0
		.amdhsa_next_free_vgpr 1
		.amdhsa_next_free_sgpr 1
		.amdhsa_reserve_vcc 0
		.amdhsa_float_round_mode_32 0
		.amdhsa_float_round_mode_16_64 0
		.amdhsa_float_denorm_mode_32 3
		.amdhsa_float_denorm_mode_16_64 3
		.amdhsa_dx10_clamp 1
		.amdhsa_ieee_mode 1
		.amdhsa_fp16_overflow 0
		.amdhsa_workgroup_processor_mode 1
		.amdhsa_memory_ordered 1
		.amdhsa_forward_progress 0
		.amdhsa_shared_vgpr_count 0
		.amdhsa_exception_fp_ieee_invalid_op 0
		.amdhsa_exception_fp_denorm_src 0
		.amdhsa_exception_fp_ieee_div_zero 0
		.amdhsa_exception_fp_ieee_overflow 0
		.amdhsa_exception_fp_ieee_underflow 0
		.amdhsa_exception_fp_ieee_inexact 0
		.amdhsa_exception_int_div_zero 0
	.end_amdhsa_kernel
	.section	.text._ZN7rocprim17ROCPRIM_400000_NS6detail17trampoline_kernelINS0_14default_configENS1_25partition_config_selectorILNS1_17partition_subalgoE8ElNS0_10empty_typeEbEEZZNS1_14partition_implILS5_8ELb0ES3_jPlPS6_PKS6_NS0_5tupleIJS9_S6_EEENSD_IJSA_SA_EEENS0_18inequality_wrapperIZN2at6native12_GLOBAL__N_124unique_dim_cuda_templateIhEESt5tupleIJNSH_6TensorESM_SM_EERKSM_lbbbEUlllE0_EEPmJS6_EEE10hipError_tPvRmT3_T4_T5_T6_T7_T9_mT8_P12ihipStream_tbDpT10_ENKUlT_T0_E_clISt17integral_constantIbLb1EES1B_IbLb0EEEEDaS17_S18_EUlS17_E_NS1_11comp_targetILNS1_3genE10ELNS1_11target_archE1200ELNS1_3gpuE4ELNS1_3repE0EEENS1_30default_config_static_selectorELNS0_4arch9wavefront6targetE0EEEvT1_,"axG",@progbits,_ZN7rocprim17ROCPRIM_400000_NS6detail17trampoline_kernelINS0_14default_configENS1_25partition_config_selectorILNS1_17partition_subalgoE8ElNS0_10empty_typeEbEEZZNS1_14partition_implILS5_8ELb0ES3_jPlPS6_PKS6_NS0_5tupleIJS9_S6_EEENSD_IJSA_SA_EEENS0_18inequality_wrapperIZN2at6native12_GLOBAL__N_124unique_dim_cuda_templateIhEESt5tupleIJNSH_6TensorESM_SM_EERKSM_lbbbEUlllE0_EEPmJS6_EEE10hipError_tPvRmT3_T4_T5_T6_T7_T9_mT8_P12ihipStream_tbDpT10_ENKUlT_T0_E_clISt17integral_constantIbLb1EES1B_IbLb0EEEEDaS17_S18_EUlS17_E_NS1_11comp_targetILNS1_3genE10ELNS1_11target_archE1200ELNS1_3gpuE4ELNS1_3repE0EEENS1_30default_config_static_selectorELNS0_4arch9wavefront6targetE0EEEvT1_,comdat
.Lfunc_end192:
	.size	_ZN7rocprim17ROCPRIM_400000_NS6detail17trampoline_kernelINS0_14default_configENS1_25partition_config_selectorILNS1_17partition_subalgoE8ElNS0_10empty_typeEbEEZZNS1_14partition_implILS5_8ELb0ES3_jPlPS6_PKS6_NS0_5tupleIJS9_S6_EEENSD_IJSA_SA_EEENS0_18inequality_wrapperIZN2at6native12_GLOBAL__N_124unique_dim_cuda_templateIhEESt5tupleIJNSH_6TensorESM_SM_EERKSM_lbbbEUlllE0_EEPmJS6_EEE10hipError_tPvRmT3_T4_T5_T6_T7_T9_mT8_P12ihipStream_tbDpT10_ENKUlT_T0_E_clISt17integral_constantIbLb1EES1B_IbLb0EEEEDaS17_S18_EUlS17_E_NS1_11comp_targetILNS1_3genE10ELNS1_11target_archE1200ELNS1_3gpuE4ELNS1_3repE0EEENS1_30default_config_static_selectorELNS0_4arch9wavefront6targetE0EEEvT1_, .Lfunc_end192-_ZN7rocprim17ROCPRIM_400000_NS6detail17trampoline_kernelINS0_14default_configENS1_25partition_config_selectorILNS1_17partition_subalgoE8ElNS0_10empty_typeEbEEZZNS1_14partition_implILS5_8ELb0ES3_jPlPS6_PKS6_NS0_5tupleIJS9_S6_EEENSD_IJSA_SA_EEENS0_18inequality_wrapperIZN2at6native12_GLOBAL__N_124unique_dim_cuda_templateIhEESt5tupleIJNSH_6TensorESM_SM_EERKSM_lbbbEUlllE0_EEPmJS6_EEE10hipError_tPvRmT3_T4_T5_T6_T7_T9_mT8_P12ihipStream_tbDpT10_ENKUlT_T0_E_clISt17integral_constantIbLb1EES1B_IbLb0EEEEDaS17_S18_EUlS17_E_NS1_11comp_targetILNS1_3genE10ELNS1_11target_archE1200ELNS1_3gpuE4ELNS1_3repE0EEENS1_30default_config_static_selectorELNS0_4arch9wavefront6targetE0EEEvT1_
                                        ; -- End function
	.section	.AMDGPU.csdata,"",@progbits
; Kernel info:
; codeLenInByte = 0
; NumSgprs: 0
; NumVgprs: 0
; ScratchSize: 0
; MemoryBound: 0
; FloatMode: 240
; IeeeMode: 1
; LDSByteSize: 0 bytes/workgroup (compile time only)
; SGPRBlocks: 0
; VGPRBlocks: 0
; NumSGPRsForWavesPerEU: 1
; NumVGPRsForWavesPerEU: 1
; Occupancy: 15
; WaveLimiterHint : 0
; COMPUTE_PGM_RSRC2:SCRATCH_EN: 0
; COMPUTE_PGM_RSRC2:USER_SGPR: 15
; COMPUTE_PGM_RSRC2:TRAP_HANDLER: 0
; COMPUTE_PGM_RSRC2:TGID_X_EN: 1
; COMPUTE_PGM_RSRC2:TGID_Y_EN: 0
; COMPUTE_PGM_RSRC2:TGID_Z_EN: 0
; COMPUTE_PGM_RSRC2:TIDIG_COMP_CNT: 0
	.section	.text._ZN7rocprim17ROCPRIM_400000_NS6detail17trampoline_kernelINS0_14default_configENS1_25partition_config_selectorILNS1_17partition_subalgoE8ElNS0_10empty_typeEbEEZZNS1_14partition_implILS5_8ELb0ES3_jPlPS6_PKS6_NS0_5tupleIJS9_S6_EEENSD_IJSA_SA_EEENS0_18inequality_wrapperIZN2at6native12_GLOBAL__N_124unique_dim_cuda_templateIhEESt5tupleIJNSH_6TensorESM_SM_EERKSM_lbbbEUlllE0_EEPmJS6_EEE10hipError_tPvRmT3_T4_T5_T6_T7_T9_mT8_P12ihipStream_tbDpT10_ENKUlT_T0_E_clISt17integral_constantIbLb1EES1B_IbLb0EEEEDaS17_S18_EUlS17_E_NS1_11comp_targetILNS1_3genE9ELNS1_11target_archE1100ELNS1_3gpuE3ELNS1_3repE0EEENS1_30default_config_static_selectorELNS0_4arch9wavefront6targetE0EEEvT1_,"axG",@progbits,_ZN7rocprim17ROCPRIM_400000_NS6detail17trampoline_kernelINS0_14default_configENS1_25partition_config_selectorILNS1_17partition_subalgoE8ElNS0_10empty_typeEbEEZZNS1_14partition_implILS5_8ELb0ES3_jPlPS6_PKS6_NS0_5tupleIJS9_S6_EEENSD_IJSA_SA_EEENS0_18inequality_wrapperIZN2at6native12_GLOBAL__N_124unique_dim_cuda_templateIhEESt5tupleIJNSH_6TensorESM_SM_EERKSM_lbbbEUlllE0_EEPmJS6_EEE10hipError_tPvRmT3_T4_T5_T6_T7_T9_mT8_P12ihipStream_tbDpT10_ENKUlT_T0_E_clISt17integral_constantIbLb1EES1B_IbLb0EEEEDaS17_S18_EUlS17_E_NS1_11comp_targetILNS1_3genE9ELNS1_11target_archE1100ELNS1_3gpuE3ELNS1_3repE0EEENS1_30default_config_static_selectorELNS0_4arch9wavefront6targetE0EEEvT1_,comdat
	.globl	_ZN7rocprim17ROCPRIM_400000_NS6detail17trampoline_kernelINS0_14default_configENS1_25partition_config_selectorILNS1_17partition_subalgoE8ElNS0_10empty_typeEbEEZZNS1_14partition_implILS5_8ELb0ES3_jPlPS6_PKS6_NS0_5tupleIJS9_S6_EEENSD_IJSA_SA_EEENS0_18inequality_wrapperIZN2at6native12_GLOBAL__N_124unique_dim_cuda_templateIhEESt5tupleIJNSH_6TensorESM_SM_EERKSM_lbbbEUlllE0_EEPmJS6_EEE10hipError_tPvRmT3_T4_T5_T6_T7_T9_mT8_P12ihipStream_tbDpT10_ENKUlT_T0_E_clISt17integral_constantIbLb1EES1B_IbLb0EEEEDaS17_S18_EUlS17_E_NS1_11comp_targetILNS1_3genE9ELNS1_11target_archE1100ELNS1_3gpuE3ELNS1_3repE0EEENS1_30default_config_static_selectorELNS0_4arch9wavefront6targetE0EEEvT1_ ; -- Begin function _ZN7rocprim17ROCPRIM_400000_NS6detail17trampoline_kernelINS0_14default_configENS1_25partition_config_selectorILNS1_17partition_subalgoE8ElNS0_10empty_typeEbEEZZNS1_14partition_implILS5_8ELb0ES3_jPlPS6_PKS6_NS0_5tupleIJS9_S6_EEENSD_IJSA_SA_EEENS0_18inequality_wrapperIZN2at6native12_GLOBAL__N_124unique_dim_cuda_templateIhEESt5tupleIJNSH_6TensorESM_SM_EERKSM_lbbbEUlllE0_EEPmJS6_EEE10hipError_tPvRmT3_T4_T5_T6_T7_T9_mT8_P12ihipStream_tbDpT10_ENKUlT_T0_E_clISt17integral_constantIbLb1EES1B_IbLb0EEEEDaS17_S18_EUlS17_E_NS1_11comp_targetILNS1_3genE9ELNS1_11target_archE1100ELNS1_3gpuE3ELNS1_3repE0EEENS1_30default_config_static_selectorELNS0_4arch9wavefront6targetE0EEEvT1_
	.p2align	8
	.type	_ZN7rocprim17ROCPRIM_400000_NS6detail17trampoline_kernelINS0_14default_configENS1_25partition_config_selectorILNS1_17partition_subalgoE8ElNS0_10empty_typeEbEEZZNS1_14partition_implILS5_8ELb0ES3_jPlPS6_PKS6_NS0_5tupleIJS9_S6_EEENSD_IJSA_SA_EEENS0_18inequality_wrapperIZN2at6native12_GLOBAL__N_124unique_dim_cuda_templateIhEESt5tupleIJNSH_6TensorESM_SM_EERKSM_lbbbEUlllE0_EEPmJS6_EEE10hipError_tPvRmT3_T4_T5_T6_T7_T9_mT8_P12ihipStream_tbDpT10_ENKUlT_T0_E_clISt17integral_constantIbLb1EES1B_IbLb0EEEEDaS17_S18_EUlS17_E_NS1_11comp_targetILNS1_3genE9ELNS1_11target_archE1100ELNS1_3gpuE3ELNS1_3repE0EEENS1_30default_config_static_selectorELNS0_4arch9wavefront6targetE0EEEvT1_,@function
_ZN7rocprim17ROCPRIM_400000_NS6detail17trampoline_kernelINS0_14default_configENS1_25partition_config_selectorILNS1_17partition_subalgoE8ElNS0_10empty_typeEbEEZZNS1_14partition_implILS5_8ELb0ES3_jPlPS6_PKS6_NS0_5tupleIJS9_S6_EEENSD_IJSA_SA_EEENS0_18inequality_wrapperIZN2at6native12_GLOBAL__N_124unique_dim_cuda_templateIhEESt5tupleIJNSH_6TensorESM_SM_EERKSM_lbbbEUlllE0_EEPmJS6_EEE10hipError_tPvRmT3_T4_T5_T6_T7_T9_mT8_P12ihipStream_tbDpT10_ENKUlT_T0_E_clISt17integral_constantIbLb1EES1B_IbLb0EEEEDaS17_S18_EUlS17_E_NS1_11comp_targetILNS1_3genE9ELNS1_11target_archE1100ELNS1_3gpuE3ELNS1_3repE0EEENS1_30default_config_static_selectorELNS0_4arch9wavefront6targetE0EEEvT1_: ; @_ZN7rocprim17ROCPRIM_400000_NS6detail17trampoline_kernelINS0_14default_configENS1_25partition_config_selectorILNS1_17partition_subalgoE8ElNS0_10empty_typeEbEEZZNS1_14partition_implILS5_8ELb0ES3_jPlPS6_PKS6_NS0_5tupleIJS9_S6_EEENSD_IJSA_SA_EEENS0_18inequality_wrapperIZN2at6native12_GLOBAL__N_124unique_dim_cuda_templateIhEESt5tupleIJNSH_6TensorESM_SM_EERKSM_lbbbEUlllE0_EEPmJS6_EEE10hipError_tPvRmT3_T4_T5_T6_T7_T9_mT8_P12ihipStream_tbDpT10_ENKUlT_T0_E_clISt17integral_constantIbLb1EES1B_IbLb0EEEEDaS17_S18_EUlS17_E_NS1_11comp_targetILNS1_3genE9ELNS1_11target_archE1100ELNS1_3gpuE3ELNS1_3repE0EEENS1_30default_config_static_selectorELNS0_4arch9wavefront6targetE0EEEvT1_
; %bb.0:
	s_clause 0x3
	s_load_b128 s[4:7], s[0:1], 0x8
	s_load_b256 s[16:23], s[0:1], 0x40
	s_load_b32 s14, s[0:1], 0x70
	s_load_b128 s[8:11], s[0:1], 0x60
	s_mov_b32 s3, 0
	v_lshlrev_b32_e32 v39, 3, v0
	v_lshrrev_b32_e32 v17, 2, v0
	v_or_b32_e32 v24, 0x200, v0
	v_or_b32_e32 v22, 0x400, v0
	;; [unrolled: 1-line block ×7, first 2 shown]
	s_waitcnt lgkmcnt(0)
	s_lshl_b64 s[24:25], s[6:7], 3
	s_load_b64 s[12:13], s[18:19], 0x0
	s_add_u32 s24, s4, s24
	s_addc_u32 s5, s5, s25
	s_add_i32 s25, s14, -1
	s_lshl_b32 s14, s14, 12
	s_lshl_b32 s4, s25, 12
	s_lshl_b32 s2, s15, 12
	s_add_i32 s4, s6, s4
	s_add_u32 s18, s6, s14
	s_addc_u32 s19, s7, 0
	s_cmp_eq_u32 s15, s25
	v_cmp_ge_u64_e64 s18, s[18:19], s[20:21]
	s_cselect_b32 s14, -1, 0
	s_lshl_b64 s[2:3], s[2:3], 3
	s_delay_alu instid0(VALU_DEP_1) | instskip(NEXT) | instid1(SALU_CYCLE_1)
	s_and_b32 s19, s14, s18
	s_xor_b32 s18, s19, -1
	s_add_u32 s2, s24, s2
	s_addc_u32 s3, s5, s3
	s_and_b32 vcc_lo, exec_lo, s18
	s_mov_b32 s5, -1
	s_cbranch_vccz .LBB193_2
; %bb.1:
	v_add_co_u32 v9, s5, s2, v39
	s_delay_alu instid0(VALU_DEP_1)
	v_add_co_ci_u32_e64 v10, null, s3, 0, s5
	global_load_b64 v[1:2], v39, s[2:3]
	v_add_co_u32 v3, vcc_lo, v9, 0x2000
	v_add_co_ci_u32_e32 v4, vcc_lo, 0, v10, vcc_lo
	v_add_co_u32 v5, vcc_lo, v9, 0x4000
	v_add_co_ci_u32_e32 v6, vcc_lo, 0, v10, vcc_lo
	;; [unrolled: 2-line block ×4, first 2 shown]
	s_clause 0x6
	global_load_b64 v[11:12], v[3:4], off offset:-4096
	global_load_b64 v[3:4], v[3:4], off
	global_load_b64 v[13:14], v[5:6], off offset:-4096
	global_load_b64 v[5:6], v[5:6], off
	;; [unrolled: 2-line block ×3, first 2 shown]
	global_load_b64 v[9:10], v[9:10], off
	v_lshrrev_b32_e32 v26, 2, v24
	v_lshrrev_b32_e32 v27, 2, v22
	;; [unrolled: 1-line block ×4, first 2 shown]
	v_and_b32_e32 v25, 0x78, v17
	v_lshrrev_b32_e32 v30, 2, v20
	v_lshrrev_b32_e32 v31, 2, v19
	;; [unrolled: 1-line block ×3, first 2 shown]
	v_and_b32_e32 v26, 0xf8, v26
	v_and_b32_e32 v27, 0x178, v27
	;; [unrolled: 1-line block ×4, first 2 shown]
	v_add_nc_u32_e32 v25, v25, v39
	v_and_b32_e32 v30, 0x2f8, v30
	v_and_b32_e32 v31, 0x378, v31
	;; [unrolled: 1-line block ×3, first 2 shown]
	v_add_nc_u32_e32 v26, v26, v39
	v_add_nc_u32_e32 v27, v27, v39
	;; [unrolled: 1-line block ×4, first 2 shown]
	s_mov_b32 s5, 0
	v_add_nc_u32_e32 v30, v30, v39
	v_add_nc_u32_e32 v31, v31, v39
	;; [unrolled: 1-line block ×3, first 2 shown]
	s_waitcnt vmcnt(7)
	ds_store_b64 v25, v[1:2]
	s_waitcnt vmcnt(6)
	ds_store_b64 v26, v[11:12] offset:4096
	s_waitcnt vmcnt(5)
	ds_store_b64 v27, v[3:4] offset:8192
	;; [unrolled: 2-line block ×7, first 2 shown]
	s_waitcnt lgkmcnt(0)
	s_barrier
.LBB193_2:
	s_and_not1_b32 vcc_lo, exec_lo, s5
	s_sub_i32 s20, s20, s4
	s_cbranch_vccnz .LBB193_13
; %bb.3:
	s_mov_b32 s4, exec_lo
                                        ; implicit-def: $vgpr1_vgpr2_vgpr3_vgpr4_vgpr5_vgpr6_vgpr7_vgpr8_vgpr9_vgpr10_vgpr11_vgpr12_vgpr13_vgpr14_vgpr15_vgpr16
	v_cmpx_gt_u32_e64 s20, v0
	s_cbranch_execnz .LBB193_23
; %bb.4:
	s_or_b32 exec_lo, exec_lo, s4
	s_delay_alu instid0(SALU_CYCLE_1)
	s_mov_b32 s4, exec_lo
	v_cmpx_gt_u32_e64 s20, v24
	s_cbranch_execnz .LBB193_24
.LBB193_5:
	s_or_b32 exec_lo, exec_lo, s4
	s_delay_alu instid0(SALU_CYCLE_1)
	s_mov_b32 s4, exec_lo
	v_cmpx_gt_u32_e64 s20, v22
	s_cbranch_execnz .LBB193_25
.LBB193_6:
	s_or_b32 exec_lo, exec_lo, s4
	s_delay_alu instid0(SALU_CYCLE_1)
	s_mov_b32 s4, exec_lo
	v_cmpx_gt_u32_e64 s20, v23
	s_cbranch_execnz .LBB193_26
.LBB193_7:
	s_or_b32 exec_lo, exec_lo, s4
	s_delay_alu instid0(SALU_CYCLE_1)
	s_mov_b32 s4, exec_lo
	v_cmpx_gt_u32_e64 s20, v21
	s_cbranch_execnz .LBB193_27
.LBB193_8:
	s_or_b32 exec_lo, exec_lo, s4
	s_delay_alu instid0(SALU_CYCLE_1)
	s_mov_b32 s4, exec_lo
	v_cmpx_gt_u32_e64 s20, v20
	s_cbranch_execnz .LBB193_28
.LBB193_9:
	s_or_b32 exec_lo, exec_lo, s4
	s_delay_alu instid0(SALU_CYCLE_1)
	s_mov_b32 s4, exec_lo
	v_cmpx_gt_u32_e64 s20, v19
	s_cbranch_execnz .LBB193_29
.LBB193_10:
	s_or_b32 exec_lo, exec_lo, s4
	s_delay_alu instid0(SALU_CYCLE_1)
	s_mov_b32 s4, exec_lo
	v_cmpx_gt_u32_e64 s20, v18
	s_cbranch_execz .LBB193_12
.LBB193_11:
	v_lshlrev_b32_e32 v15, 3, v18
	global_load_b64 v[15:16], v15, s[2:3]
.LBB193_12:
	s_or_b32 exec_lo, exec_lo, s4
	v_lshrrev_b32_e32 v24, 2, v24
	v_lshrrev_b32_e32 v22, 2, v22
	;; [unrolled: 1-line block ×4, first 2 shown]
	v_and_b32_e32 v25, 0x78, v17
	v_lshrrev_b32_e32 v20, 2, v20
	v_lshrrev_b32_e32 v19, 2, v19
	v_lshrrev_b32_e32 v18, 2, v18
	v_and_b32_e32 v24, 0xf8, v24
	v_and_b32_e32 v22, 0x1f8, v22
	;; [unrolled: 1-line block ×4, first 2 shown]
	v_add_nc_u32_e32 v25, v25, v39
	v_and_b32_e32 v20, 0x3f8, v20
	v_and_b32_e32 v19, 0x3f8, v19
	v_and_b32_e32 v18, 0x3f8, v18
	v_add_nc_u32_e32 v24, v24, v39
	v_add_nc_u32_e32 v22, v22, v39
	;; [unrolled: 1-line block ×7, first 2 shown]
	s_waitcnt vmcnt(0)
	ds_store_b64 v25, v[1:2]
	ds_store_b64 v24, v[3:4] offset:4096
	ds_store_b64 v22, v[5:6] offset:8192
	;; [unrolled: 1-line block ×7, first 2 shown]
	s_waitcnt lgkmcnt(0)
	s_barrier
.LBB193_13:
	v_add_lshl_u32 v1, v17, v39, 3
	s_waitcnt lgkmcnt(0)
	buffer_gl0_inv
	s_cmp_lg_u32 s15, 0
	v_cmp_gt_i64_e64 s24, s[22:23], 0
	s_cselect_b32 s21, -1, 0
	ds_load_2addr_b64 v[13:16], v1 offset1:1
	ds_load_2addr_b64 v[9:12], v1 offset0:2 offset1:3
	ds_load_2addr_b64 v[5:8], v1 offset0:4 offset1:5
	;; [unrolled: 1-line block ×3, first 2 shown]
	s_cmp_lg_u64 s[6:7], 0
	s_mov_b32 s6, 0
	s_cselect_b32 s4, -1, 0
	s_waitcnt lgkmcnt(0)
	s_or_b32 s4, s21, s4
	s_barrier
	s_and_b32 vcc_lo, exec_lo, s4
	buffer_gl0_inv
	s_cbranch_vccz .LBB193_22
; %bb.14:
	s_add_u32 s2, s2, -8
	s_addc_u32 s3, s3, -1
	v_cndmask_b32_e64 v24, 0, 1, s24
	s_load_b64 s[4:5], s[2:3], 0x0
	s_and_b32 vcc_lo, exec_lo, s18
	ds_store_b64 v39, v[3:4]
	v_cmp_ne_u32_e64 s2, 1, v24
	s_cbranch_vccz .LBB193_30
; %bb.15:
	v_mul_lo_u32 v19, v2, s22
	v_mul_lo_u32 v20, v1, s23
	v_mad_u64_u32 v[17:18], null, v1, s22, 0
	s_mov_b32 s25, 0
	s_and_b32 vcc_lo, exec_lo, s2
	s_mov_b32 s26, 0
	s_delay_alu instid0(VALU_DEP_1)
	v_add3_u32 v25, v18, v20, v19
	s_cbranch_vccnz .LBB193_33
; %bb.16:
	v_mad_u64_u32 v[18:19], null, v3, s22, s[8:9]
	v_mul_lo_u32 v22, v3, s23
	v_mul_lo_u32 v23, v4, s22
	v_add_co_u32 v20, vcc_lo, s8, v17
	v_add_co_ci_u32_e32 v21, vcc_lo, s9, v25, vcc_lo
	s_mov_b32 s26, -1
	s_mov_b32 s27, exec_lo
	s_delay_alu instid0(VALU_DEP_3)
	v_add3_u32 v19, v23, v19, v22
	s_clause 0x1
	global_load_u8 v22, v[20:21], off
	global_load_u8 v23, v[18:19], off
	s_waitcnt vmcnt(0)
	v_cmpx_eq_u16_e64 v22, v23
	s_cbranch_execz .LBB193_32
; %bb.17:
	s_mov_b64 s[2:3], 1
	s_mov_b32 s26, 0
                                        ; implicit-def: $sgpr28
	s_set_inst_prefetch_distance 0x1
	s_branch .LBB193_20
	.p2align	6
.LBB193_18:                             ;   in Loop: Header=BB193_20 Depth=1
	v_add_co_u32 v22, vcc_lo, v20, s2
	v_add_co_ci_u32_e32 v23, vcc_lo, s3, v21, vcc_lo
	v_add_co_u32 v26, vcc_lo, v18, s2
	v_add_co_ci_u32_e32 v27, vcc_lo, s3, v19, vcc_lo
	s_add_u32 s6, s2, 1
	s_clause 0x1
	global_load_u8 v22, v[22:23], off
	global_load_u8 v23, v[26:27], off
	s_addc_u32 s7, s3, 0
	s_and_not1_b32 s28, s28, exec_lo
	s_waitcnt vmcnt(0)
	v_cmp_ne_u16_e32 vcc_lo, v22, v23
	s_and_b32 s29, vcc_lo, exec_lo
	s_delay_alu instid0(SALU_CYCLE_1)
	s_or_b32 s28, s28, s29
.LBB193_19:                             ;   in Loop: Header=BB193_20 Depth=1
	v_dual_mov_b32 v23, s3 :: v_dual_mov_b32 v22, s2
	s_and_b32 s29, exec_lo, s28
	s_mov_b64 s[2:3], s[6:7]
	s_or_b32 s26, s29, s26
	s_delay_alu instid0(SALU_CYCLE_1)
	s_and_not1_b32 exec_lo, exec_lo, s26
	s_cbranch_execz .LBB193_31
.LBB193_20:                             ; =>This Inner Loop Header: Depth=1
	s_or_b32 s28, s28, exec_lo
	s_cmp_eq_u64 s[22:23], s[2:3]
	s_cbranch_scc0 .LBB193_18
; %bb.21:                               ;   in Loop: Header=BB193_20 Depth=1
	s_mov_b64 s[2:3], s[22:23]
                                        ; implicit-def: $sgpr6_sgpr7
	s_branch .LBB193_19
.LBB193_22:
                                        ; implicit-def: $sgpr2
                                        ; implicit-def: $vgpr18
	s_branch .LBB193_191
.LBB193_23:
	global_load_b64 v[1:2], v39, s[2:3]
	s_or_b32 exec_lo, exec_lo, s4
	s_delay_alu instid0(SALU_CYCLE_1)
	s_mov_b32 s4, exec_lo
	v_cmpx_gt_u32_e64 s20, v24
	s_cbranch_execz .LBB193_5
.LBB193_24:
	v_lshlrev_b32_e32 v3, 3, v24
	global_load_b64 v[3:4], v3, s[2:3]
	s_or_b32 exec_lo, exec_lo, s4
	s_delay_alu instid0(SALU_CYCLE_1)
	s_mov_b32 s4, exec_lo
	v_cmpx_gt_u32_e64 s20, v22
	s_cbranch_execz .LBB193_6
.LBB193_25:
	v_lshlrev_b32_e32 v5, 3, v22
	global_load_b64 v[5:6], v5, s[2:3]
	s_or_b32 exec_lo, exec_lo, s4
	s_delay_alu instid0(SALU_CYCLE_1)
	s_mov_b32 s4, exec_lo
	v_cmpx_gt_u32_e64 s20, v23
	s_cbranch_execz .LBB193_7
.LBB193_26:
	v_lshlrev_b32_e32 v7, 3, v23
	global_load_b64 v[7:8], v7, s[2:3]
	s_or_b32 exec_lo, exec_lo, s4
	s_delay_alu instid0(SALU_CYCLE_1)
	s_mov_b32 s4, exec_lo
	v_cmpx_gt_u32_e64 s20, v21
	s_cbranch_execz .LBB193_8
.LBB193_27:
	v_lshlrev_b32_e32 v9, 3, v21
	global_load_b64 v[9:10], v9, s[2:3]
	s_or_b32 exec_lo, exec_lo, s4
	s_delay_alu instid0(SALU_CYCLE_1)
	s_mov_b32 s4, exec_lo
	v_cmpx_gt_u32_e64 s20, v20
	s_cbranch_execz .LBB193_9
.LBB193_28:
	v_lshlrev_b32_e32 v11, 3, v20
	global_load_b64 v[11:12], v11, s[2:3]
	s_or_b32 exec_lo, exec_lo, s4
	s_delay_alu instid0(SALU_CYCLE_1)
	s_mov_b32 s4, exec_lo
	v_cmpx_gt_u32_e64 s20, v19
	s_cbranch_execz .LBB193_10
.LBB193_29:
	v_lshlrev_b32_e32 v13, 3, v19
	global_load_b64 v[13:14], v13, s[2:3]
	s_or_b32 exec_lo, exec_lo, s4
	s_delay_alu instid0(SALU_CYCLE_1)
	s_mov_b32 s4, exec_lo
	v_cmpx_gt_u32_e64 s20, v18
	s_cbranch_execnz .LBB193_11
	s_branch .LBB193_12
.LBB193_30:
                                        ; implicit-def: $sgpr2
                                        ; implicit-def: $vgpr18
	s_cbranch_execnz .LBB193_99
	s_branch .LBB193_190
.LBB193_31:
	s_set_inst_prefetch_distance 0x2
	s_or_b32 exec_lo, exec_lo, s26
	v_cmp_gt_i64_e32 vcc_lo, s[22:23], v[22:23]
	s_or_not1_b32 s26, vcc_lo, exec_lo
.LBB193_32:
	s_or_b32 exec_lo, exec_lo, s27
.LBB193_33:
	v_mul_lo_u32 v18, v8, s22
	v_mul_lo_u32 v21, v7, s23
	v_mad_u64_u32 v[19:20], null, v7, s22, 0
	s_and_not1_b32 vcc_lo, exec_lo, s24
	s_delay_alu instid0(VALU_DEP_1)
	v_add3_u32 v26, v20, v21, v18
	s_cbranch_vccnz .LBB193_42
; %bb.34:
	s_delay_alu instid0(VALU_DEP_2) | instskip(NEXT) | instid1(VALU_DEP_2)
	v_add_co_u32 v20, vcc_lo, s8, v19
	v_add_co_ci_u32_e32 v21, vcc_lo, s9, v26, vcc_lo
	v_add_co_u32 v17, vcc_lo, s8, v17
	v_add_co_ci_u32_e32 v18, vcc_lo, s9, v25, vcc_lo
	s_mov_b32 s25, -1
	s_clause 0x1
	global_load_u8 v22, v[20:21], off
	global_load_u8 v23, v[17:18], off
	s_mov_b32 s27, exec_lo
	s_waitcnt vmcnt(0)
	v_cmpx_eq_u16_e64 v22, v23
	s_cbranch_execz .LBB193_41
; %bb.35:
	s_mov_b64 s[2:3], 1
	s_mov_b32 s25, 0
                                        ; implicit-def: $sgpr28
	s_set_inst_prefetch_distance 0x1
	s_branch .LBB193_38
	.p2align	6
.LBB193_36:                             ;   in Loop: Header=BB193_38 Depth=1
	v_add_co_u32 v22, vcc_lo, v20, s2
	v_add_co_ci_u32_e32 v23, vcc_lo, s3, v21, vcc_lo
	v_add_co_u32 v27, vcc_lo, v17, s2
	v_add_co_ci_u32_e32 v28, vcc_lo, s3, v18, vcc_lo
	s_add_u32 s6, s2, 1
	s_clause 0x1
	global_load_u8 v22, v[22:23], off
	global_load_u8 v23, v[27:28], off
	s_addc_u32 s7, s3, 0
	s_and_not1_b32 s28, s28, exec_lo
	s_waitcnt vmcnt(0)
	v_cmp_ne_u16_e32 vcc_lo, v22, v23
	s_and_b32 s29, vcc_lo, exec_lo
	s_delay_alu instid0(SALU_CYCLE_1)
	s_or_b32 s28, s28, s29
.LBB193_37:                             ;   in Loop: Header=BB193_38 Depth=1
	v_dual_mov_b32 v23, s3 :: v_dual_mov_b32 v22, s2
	s_and_b32 s29, exec_lo, s28
	s_mov_b64 s[2:3], s[6:7]
	s_or_b32 s25, s29, s25
	s_delay_alu instid0(SALU_CYCLE_1)
	s_and_not1_b32 exec_lo, exec_lo, s25
	s_cbranch_execz .LBB193_40
.LBB193_38:                             ; =>This Inner Loop Header: Depth=1
	s_or_b32 s28, s28, exec_lo
	s_cmp_eq_u64 s[22:23], s[2:3]
	s_cbranch_scc0 .LBB193_36
; %bb.39:                               ;   in Loop: Header=BB193_38 Depth=1
	s_mov_b64 s[2:3], s[22:23]
                                        ; implicit-def: $sgpr6_sgpr7
	s_branch .LBB193_37
.LBB193_40:
	s_set_inst_prefetch_distance 0x2
	s_or_b32 exec_lo, exec_lo, s25
	v_cmp_gt_i64_e32 vcc_lo, s[22:23], v[22:23]
	s_or_not1_b32 s25, vcc_lo, exec_lo
.LBB193_41:
	s_or_b32 exec_lo, exec_lo, s27
.LBB193_42:
	v_mul_lo_u32 v20, v6, s22
	v_mul_lo_u32 v21, v5, s23
	v_mad_u64_u32 v[17:18], null, v5, s22, 0
	s_mov_b32 s27, 0
	s_and_not1_b32 vcc_lo, exec_lo, s24
	s_mov_b32 s28, 0
	s_delay_alu instid0(VALU_DEP_1)
	v_add3_u32 v27, v18, v21, v20
	s_cbranch_vccnz .LBB193_51
; %bb.43:
	s_delay_alu instid0(VALU_DEP_2) | instskip(NEXT) | instid1(VALU_DEP_2)
	v_add_co_u32 v20, vcc_lo, s8, v17
	v_add_co_ci_u32_e32 v21, vcc_lo, s9, v27, vcc_lo
	v_add_co_u32 v18, vcc_lo, s8, v19
	v_add_co_ci_u32_e32 v19, vcc_lo, s9, v26, vcc_lo
	s_mov_b32 s28, -1
	s_clause 0x1
	global_load_u8 v22, v[20:21], off
	global_load_u8 v23, v[18:19], off
	s_mov_b32 s29, exec_lo
	s_waitcnt vmcnt(0)
	v_cmpx_eq_u16_e64 v22, v23
	s_cbranch_execz .LBB193_50
; %bb.44:
	s_mov_b64 s[2:3], 1
	s_mov_b32 s28, 0
                                        ; implicit-def: $sgpr30
	s_set_inst_prefetch_distance 0x1
	s_branch .LBB193_47
	.p2align	6
.LBB193_45:                             ;   in Loop: Header=BB193_47 Depth=1
	v_add_co_u32 v22, vcc_lo, v20, s2
	v_add_co_ci_u32_e32 v23, vcc_lo, s3, v21, vcc_lo
	v_add_co_u32 v25, vcc_lo, v18, s2
	v_add_co_ci_u32_e32 v26, vcc_lo, s3, v19, vcc_lo
	s_add_u32 s6, s2, 1
	s_clause 0x1
	global_load_u8 v22, v[22:23], off
	global_load_u8 v23, v[25:26], off
	s_addc_u32 s7, s3, 0
	s_and_not1_b32 s30, s30, exec_lo
	s_waitcnt vmcnt(0)
	v_cmp_ne_u16_e32 vcc_lo, v22, v23
	s_and_b32 s31, vcc_lo, exec_lo
	s_delay_alu instid0(SALU_CYCLE_1)
	s_or_b32 s30, s30, s31
.LBB193_46:                             ;   in Loop: Header=BB193_47 Depth=1
	v_dual_mov_b32 v23, s3 :: v_dual_mov_b32 v22, s2
	s_and_b32 s31, exec_lo, s30
	s_mov_b64 s[2:3], s[6:7]
	s_or_b32 s28, s31, s28
	s_delay_alu instid0(SALU_CYCLE_1)
	s_and_not1_b32 exec_lo, exec_lo, s28
	s_cbranch_execz .LBB193_49
.LBB193_47:                             ; =>This Inner Loop Header: Depth=1
	s_or_b32 s30, s30, exec_lo
	s_cmp_eq_u64 s[22:23], s[2:3]
	s_cbranch_scc0 .LBB193_45
; %bb.48:                               ;   in Loop: Header=BB193_47 Depth=1
	s_mov_b64 s[2:3], s[22:23]
                                        ; implicit-def: $sgpr6_sgpr7
	s_branch .LBB193_46
.LBB193_49:
	s_set_inst_prefetch_distance 0x2
	s_or_b32 exec_lo, exec_lo, s28
	v_cmp_gt_i64_e32 vcc_lo, s[22:23], v[22:23]
	s_or_not1_b32 s28, vcc_lo, exec_lo
.LBB193_50:
	s_or_b32 exec_lo, exec_lo, s29
.LBB193_51:
	v_mul_lo_u32 v18, v12, s22
	v_mul_lo_u32 v21, v11, s23
	v_mad_u64_u32 v[19:20], null, v11, s22, 0
	s_and_not1_b32 vcc_lo, exec_lo, s24
	s_delay_alu instid0(VALU_DEP_1)
	v_add3_u32 v25, v20, v21, v18
	s_cbranch_vccnz .LBB193_60
; %bb.52:
	s_delay_alu instid0(VALU_DEP_2) | instskip(NEXT) | instid1(VALU_DEP_2)
	v_add_co_u32 v20, vcc_lo, s8, v19
	v_add_co_ci_u32_e32 v21, vcc_lo, s9, v25, vcc_lo
	v_add_co_u32 v17, vcc_lo, s8, v17
	v_add_co_ci_u32_e32 v18, vcc_lo, s9, v27, vcc_lo
	s_mov_b32 s27, -1
	s_clause 0x1
	global_load_u8 v22, v[20:21], off
	global_load_u8 v23, v[17:18], off
	s_mov_b32 s29, exec_lo
	s_waitcnt vmcnt(0)
	v_cmpx_eq_u16_e64 v22, v23
	s_cbranch_execz .LBB193_59
; %bb.53:
	s_mov_b64 s[2:3], 1
	s_mov_b32 s27, 0
                                        ; implicit-def: $sgpr30
	s_set_inst_prefetch_distance 0x1
	s_branch .LBB193_56
	.p2align	6
.LBB193_54:                             ;   in Loop: Header=BB193_56 Depth=1
	v_add_co_u32 v22, vcc_lo, v20, s2
	v_add_co_ci_u32_e32 v23, vcc_lo, s3, v21, vcc_lo
	v_add_co_u32 v26, vcc_lo, v17, s2
	v_add_co_ci_u32_e32 v27, vcc_lo, s3, v18, vcc_lo
	s_add_u32 s6, s2, 1
	s_clause 0x1
	global_load_u8 v22, v[22:23], off
	global_load_u8 v23, v[26:27], off
	s_addc_u32 s7, s3, 0
	s_and_not1_b32 s30, s30, exec_lo
	s_waitcnt vmcnt(0)
	v_cmp_ne_u16_e32 vcc_lo, v22, v23
	s_and_b32 s31, vcc_lo, exec_lo
	s_delay_alu instid0(SALU_CYCLE_1)
	s_or_b32 s30, s30, s31
.LBB193_55:                             ;   in Loop: Header=BB193_56 Depth=1
	v_dual_mov_b32 v23, s3 :: v_dual_mov_b32 v22, s2
	s_and_b32 s31, exec_lo, s30
	s_mov_b64 s[2:3], s[6:7]
	s_or_b32 s27, s31, s27
	s_delay_alu instid0(SALU_CYCLE_1)
	s_and_not1_b32 exec_lo, exec_lo, s27
	s_cbranch_execz .LBB193_58
.LBB193_56:                             ; =>This Inner Loop Header: Depth=1
	s_or_b32 s30, s30, exec_lo
	s_cmp_eq_u64 s[22:23], s[2:3]
	s_cbranch_scc0 .LBB193_54
; %bb.57:                               ;   in Loop: Header=BB193_56 Depth=1
	s_mov_b64 s[2:3], s[22:23]
                                        ; implicit-def: $sgpr6_sgpr7
	s_branch .LBB193_55
.LBB193_58:
	s_set_inst_prefetch_distance 0x2
	s_or_b32 exec_lo, exec_lo, s27
	v_cmp_gt_i64_e32 vcc_lo, s[22:23], v[22:23]
	s_or_not1_b32 s27, vcc_lo, exec_lo
.LBB193_59:
	s_or_b32 exec_lo, exec_lo, s29
.LBB193_60:
	v_mul_lo_u32 v20, v10, s22
	v_mul_lo_u32 v21, v9, s23
	v_mad_u64_u32 v[17:18], null, v9, s22, 0
	s_mov_b32 s29, 0
	s_and_not1_b32 vcc_lo, exec_lo, s24
	s_mov_b32 s30, 0
	s_delay_alu instid0(VALU_DEP_1)
	v_add3_u32 v27, v18, v21, v20
	s_cbranch_vccnz .LBB193_69
; %bb.61:
	s_delay_alu instid0(VALU_DEP_2) | instskip(NEXT) | instid1(VALU_DEP_2)
	v_add_co_u32 v20, vcc_lo, s8, v17
	v_add_co_ci_u32_e32 v21, vcc_lo, s9, v27, vcc_lo
	v_add_co_u32 v18, vcc_lo, s8, v19
	v_add_co_ci_u32_e32 v19, vcc_lo, s9, v25, vcc_lo
	s_mov_b32 s30, -1
	s_clause 0x1
	global_load_u8 v22, v[20:21], off
	global_load_u8 v23, v[18:19], off
	s_mov_b32 s31, exec_lo
	s_waitcnt vmcnt(0)
	v_cmpx_eq_u16_e64 v22, v23
	s_cbranch_execz .LBB193_68
; %bb.62:
	s_mov_b64 s[2:3], 1
	s_mov_b32 s30, 0
                                        ; implicit-def: $sgpr33
	s_set_inst_prefetch_distance 0x1
	s_branch .LBB193_65
	.p2align	6
.LBB193_63:                             ;   in Loop: Header=BB193_65 Depth=1
	v_add_co_u32 v22, vcc_lo, v20, s2
	v_add_co_ci_u32_e32 v23, vcc_lo, s3, v21, vcc_lo
	v_add_co_u32 v25, vcc_lo, v18, s2
	v_add_co_ci_u32_e32 v26, vcc_lo, s3, v19, vcc_lo
	s_add_u32 s6, s2, 1
	s_clause 0x1
	global_load_u8 v22, v[22:23], off
	global_load_u8 v23, v[25:26], off
	s_addc_u32 s7, s3, 0
	s_and_not1_b32 s33, s33, exec_lo
	s_waitcnt vmcnt(0)
	v_cmp_ne_u16_e32 vcc_lo, v22, v23
	s_and_b32 s34, vcc_lo, exec_lo
	s_delay_alu instid0(SALU_CYCLE_1)
	s_or_b32 s33, s33, s34
.LBB193_64:                             ;   in Loop: Header=BB193_65 Depth=1
	v_dual_mov_b32 v23, s3 :: v_dual_mov_b32 v22, s2
	s_and_b32 s34, exec_lo, s33
	s_mov_b64 s[2:3], s[6:7]
	s_or_b32 s30, s34, s30
	s_delay_alu instid0(SALU_CYCLE_1)
	s_and_not1_b32 exec_lo, exec_lo, s30
	s_cbranch_execz .LBB193_67
.LBB193_65:                             ; =>This Inner Loop Header: Depth=1
	s_or_b32 s33, s33, exec_lo
	s_cmp_eq_u64 s[22:23], s[2:3]
	s_cbranch_scc0 .LBB193_63
; %bb.66:                               ;   in Loop: Header=BB193_65 Depth=1
	s_mov_b64 s[2:3], s[22:23]
                                        ; implicit-def: $sgpr6_sgpr7
	s_branch .LBB193_64
.LBB193_67:
	s_set_inst_prefetch_distance 0x2
	s_or_b32 exec_lo, exec_lo, s30
	v_cmp_gt_i64_e32 vcc_lo, s[22:23], v[22:23]
	s_or_not1_b32 s30, vcc_lo, exec_lo
.LBB193_68:
	s_or_b32 exec_lo, exec_lo, s31
.LBB193_69:
	v_mul_lo_u32 v18, v16, s22
	v_mul_lo_u32 v21, v15, s23
	v_mad_u64_u32 v[19:20], null, v15, s22, 0
	s_and_not1_b32 vcc_lo, exec_lo, s24
	s_delay_alu instid0(VALU_DEP_1)
	v_add3_u32 v26, v20, v21, v18
	s_cbranch_vccnz .LBB193_78
; %bb.70:
	s_delay_alu instid0(VALU_DEP_2) | instskip(NEXT) | instid1(VALU_DEP_2)
	v_add_co_u32 v20, vcc_lo, s8, v19
	v_add_co_ci_u32_e32 v21, vcc_lo, s9, v26, vcc_lo
	v_add_co_u32 v17, vcc_lo, s8, v17
	v_add_co_ci_u32_e32 v18, vcc_lo, s9, v27, vcc_lo
	s_mov_b32 s29, -1
	s_clause 0x1
	global_load_u8 v22, v[20:21], off
	global_load_u8 v23, v[17:18], off
	s_mov_b32 s31, exec_lo
	s_waitcnt vmcnt(0)
	v_cmpx_eq_u16_e64 v22, v23
	s_cbranch_execz .LBB193_77
; %bb.71:
	s_mov_b64 s[2:3], 1
	s_mov_b32 s29, 0
                                        ; implicit-def: $sgpr33
	s_set_inst_prefetch_distance 0x1
	s_branch .LBB193_74
	.p2align	6
.LBB193_72:                             ;   in Loop: Header=BB193_74 Depth=1
	v_add_co_u32 v22, vcc_lo, v20, s2
	v_add_co_ci_u32_e32 v23, vcc_lo, s3, v21, vcc_lo
	v_add_co_u32 v27, vcc_lo, v17, s2
	v_add_co_ci_u32_e32 v28, vcc_lo, s3, v18, vcc_lo
	s_add_u32 s6, s2, 1
	s_clause 0x1
	global_load_u8 v22, v[22:23], off
	global_load_u8 v23, v[27:28], off
	s_addc_u32 s7, s3, 0
	s_and_not1_b32 s33, s33, exec_lo
	s_waitcnt vmcnt(0)
	v_cmp_ne_u16_e32 vcc_lo, v22, v23
	s_and_b32 s34, vcc_lo, exec_lo
	s_delay_alu instid0(SALU_CYCLE_1)
	s_or_b32 s33, s33, s34
.LBB193_73:                             ;   in Loop: Header=BB193_74 Depth=1
	v_dual_mov_b32 v23, s3 :: v_dual_mov_b32 v22, s2
	s_and_b32 s34, exec_lo, s33
	s_mov_b64 s[2:3], s[6:7]
	s_or_b32 s29, s34, s29
	s_delay_alu instid0(SALU_CYCLE_1)
	s_and_not1_b32 exec_lo, exec_lo, s29
	s_cbranch_execz .LBB193_76
.LBB193_74:                             ; =>This Inner Loop Header: Depth=1
	s_or_b32 s33, s33, exec_lo
	s_cmp_eq_u64 s[22:23], s[2:3]
	s_cbranch_scc0 .LBB193_72
; %bb.75:                               ;   in Loop: Header=BB193_74 Depth=1
	s_mov_b64 s[2:3], s[22:23]
                                        ; implicit-def: $sgpr6_sgpr7
	s_branch .LBB193_73
.LBB193_76:
	s_set_inst_prefetch_distance 0x2
	s_or_b32 exec_lo, exec_lo, s29
	v_cmp_gt_i64_e32 vcc_lo, s[22:23], v[22:23]
	s_or_not1_b32 s29, vcc_lo, exec_lo
.LBB193_77:
	s_or_b32 exec_lo, exec_lo, s31
.LBB193_78:
	v_mul_lo_u32 v20, v14, s22
	v_mul_lo_u32 v21, v13, s23
	v_mad_u64_u32 v[17:18], null, v13, s22, 0
	s_and_not1_b32 vcc_lo, exec_lo, s24
	s_mov_b32 s2, 0
	s_delay_alu instid0(VALU_DEP_1)
	v_add3_u32 v25, v18, v21, v20
	s_cbranch_vccnz .LBB193_87
; %bb.79:
	s_delay_alu instid0(VALU_DEP_2) | instskip(NEXT) | instid1(VALU_DEP_2)
	v_add_co_u32 v20, vcc_lo, s8, v17
	v_add_co_ci_u32_e32 v21, vcc_lo, s9, v25, vcc_lo
	v_add_co_u32 v18, vcc_lo, s8, v19
	v_add_co_ci_u32_e32 v19, vcc_lo, s9, v26, vcc_lo
	s_mov_b32 s2, -1
	s_clause 0x1
	global_load_u8 v22, v[20:21], off
	global_load_u8 v23, v[18:19], off
	s_mov_b32 s31, exec_lo
	s_waitcnt vmcnt(0)
	v_cmpx_eq_u16_e64 v22, v23
	s_cbranch_execz .LBB193_86
; %bb.80:
	s_mov_b64 s[2:3], 1
	s_mov_b32 s33, 0
                                        ; implicit-def: $sgpr34
	s_set_inst_prefetch_distance 0x1
	s_branch .LBB193_83
	.p2align	6
.LBB193_81:                             ;   in Loop: Header=BB193_83 Depth=1
	v_add_co_u32 v22, vcc_lo, v20, s2
	v_add_co_ci_u32_e32 v23, vcc_lo, s3, v21, vcc_lo
	v_add_co_u32 v26, vcc_lo, v18, s2
	v_add_co_ci_u32_e32 v27, vcc_lo, s3, v19, vcc_lo
	s_add_u32 s6, s2, 1
	s_clause 0x1
	global_load_u8 v22, v[22:23], off
	global_load_u8 v23, v[26:27], off
	s_addc_u32 s7, s3, 0
	s_and_not1_b32 s34, s34, exec_lo
	s_waitcnt vmcnt(0)
	v_cmp_ne_u16_e32 vcc_lo, v22, v23
	s_and_b32 s35, vcc_lo, exec_lo
	s_delay_alu instid0(SALU_CYCLE_1)
	s_or_b32 s34, s34, s35
.LBB193_82:                             ;   in Loop: Header=BB193_83 Depth=1
	v_dual_mov_b32 v23, s3 :: v_dual_mov_b32 v22, s2
	s_and_b32 s35, exec_lo, s34
	s_mov_b64 s[2:3], s[6:7]
	s_or_b32 s33, s35, s33
	s_delay_alu instid0(SALU_CYCLE_1)
	s_and_not1_b32 exec_lo, exec_lo, s33
	s_cbranch_execz .LBB193_85
.LBB193_83:                             ; =>This Inner Loop Header: Depth=1
	s_or_b32 s34, s34, exec_lo
	s_cmp_eq_u64 s[22:23], s[2:3]
	s_cbranch_scc0 .LBB193_81
; %bb.84:                               ;   in Loop: Header=BB193_83 Depth=1
	s_mov_b64 s[2:3], s[22:23]
                                        ; implicit-def: $sgpr6_sgpr7
	s_branch .LBB193_82
.LBB193_85:
	s_set_inst_prefetch_distance 0x2
	s_or_b32 exec_lo, exec_lo, s33
	v_cmp_gt_i64_e32 vcc_lo, s[22:23], v[22:23]
	s_or_not1_b32 s2, vcc_lo, exec_lo
.LBB193_86:
	s_or_b32 exec_lo, exec_lo, s31
.LBB193_87:
	s_waitcnt lgkmcnt(0)
	v_dual_mov_b32 v21, s5 :: v_dual_mov_b32 v20, s4
	s_mov_b32 s3, exec_lo
	s_barrier
	buffer_gl0_inv
	v_cmpx_ne_u32_e32 0, v0
	s_cbranch_execz .LBB193_89
; %bb.88:
	v_add_nc_u32_e32 v18, -8, v39
	ds_load_b64 v[20:21], v18
.LBB193_89:
	s_or_b32 exec_lo, exec_lo, s3
	v_cndmask_b32_e64 v19, 0, 1, s30
	v_cndmask_b32_e64 v23, 0, 1, s28
	;; [unrolled: 1-line block ×7, first 2 shown]
	v_lshlrev_b16 v19, 8, v19
	v_lshlrev_b16 v23, 8, v23
	;; [unrolled: 1-line block ×4, first 2 shown]
	s_mov_b32 s25, 0
	v_or_b32_e32 v18, v18, v19
	v_or_b32_e32 v19, v22, v23
	;; [unrolled: 1-line block ×3, first 2 shown]
	v_and_b32_e32 v26, 0xffff, v27
	s_and_not1_b32 vcc_lo, exec_lo, s24
	v_lshlrev_b32_e32 v27, 16, v18
	v_and_b32_e32 v28, 0xffff, v19
	v_lshlrev_b32_e32 v29, 16, v22
	s_mov_b32 s2, 0
	s_cbranch_vccnz .LBB193_98
; %bb.90:
	s_waitcnt lgkmcnt(0)
	v_mad_u64_u32 v[18:19], null, v20, s22, s[8:9]
	v_mul_lo_u32 v20, v20, s23
	v_mul_lo_u32 v21, v21, s22
	s_mov_b32 s2, -1
	s_mov_b32 s26, exec_lo
	s_delay_alu instid0(VALU_DEP_1)
	v_add3_u32 v19, v21, v19, v20
	v_add_co_u32 v20, vcc_lo, s8, v17
	v_add_co_ci_u32_e32 v21, vcc_lo, s9, v25, vcc_lo
	s_clause 0x1
	global_load_u8 v17, v[18:19], off
	global_load_u8 v22, v[20:21], off
	s_waitcnt vmcnt(0)
	v_cmpx_eq_u16_e64 v17, v22
	s_cbranch_execz .LBB193_97
; %bb.91:
	s_mov_b64 s[2:3], 1
	s_mov_b32 s27, 0
                                        ; implicit-def: $sgpr28
	s_set_inst_prefetch_distance 0x1
	s_branch .LBB193_94
	.p2align	6
.LBB193_92:                             ;   in Loop: Header=BB193_94 Depth=1
	v_add_co_u32 v22, vcc_lo, v18, s2
	v_add_co_ci_u32_e32 v23, vcc_lo, s3, v19, vcc_lo
	v_add_co_u32 v30, vcc_lo, v20, s2
	v_add_co_ci_u32_e32 v31, vcc_lo, s3, v21, vcc_lo
	s_add_u32 s6, s2, 1
	s_clause 0x1
	global_load_u8 v17, v[22:23], off
	global_load_u8 v22, v[30:31], off
	s_addc_u32 s7, s3, 0
	s_and_not1_b32 s28, s28, exec_lo
	s_waitcnt vmcnt(0)
	v_cmp_ne_u16_e32 vcc_lo, v17, v22
	s_and_b32 s29, vcc_lo, exec_lo
	s_delay_alu instid0(SALU_CYCLE_1)
	s_or_b32 s28, s28, s29
.LBB193_93:                             ;   in Loop: Header=BB193_94 Depth=1
	v_dual_mov_b32 v23, s3 :: v_dual_mov_b32 v22, s2
	s_and_b32 s29, exec_lo, s28
	s_mov_b64 s[2:3], s[6:7]
	s_or_b32 s27, s29, s27
	s_delay_alu instid0(SALU_CYCLE_1)
	s_and_not1_b32 exec_lo, exec_lo, s27
	s_cbranch_execz .LBB193_96
.LBB193_94:                             ; =>This Inner Loop Header: Depth=1
	s_or_b32 s28, s28, exec_lo
	s_cmp_eq_u64 s[22:23], s[2:3]
	s_cbranch_scc0 .LBB193_92
; %bb.95:                               ;   in Loop: Header=BB193_94 Depth=1
	s_mov_b64 s[2:3], s[22:23]
                                        ; implicit-def: $sgpr6_sgpr7
	s_branch .LBB193_93
.LBB193_96:
	s_set_inst_prefetch_distance 0x2
	s_or_b32 exec_lo, exec_lo, s27
	v_cmp_gt_i64_e32 vcc_lo, s[22:23], v[22:23]
	s_or_not1_b32 s2, vcc_lo, exec_lo
.LBB193_97:
	s_or_b32 exec_lo, exec_lo, s26
.LBB193_98:
	v_or_b32_e32 v17, v26, v27
	s_delay_alu instid0(VALU_DEP_2)
	v_or_b32_e32 v18, v28, v29
	s_and_b32 vcc_lo, exec_lo, s25
	s_cbranch_vccz .LBB193_190
.LBB193_99:
	v_or_b32_e32 v17, 7, v39
	s_mov_b32 s25, 0
	s_mov_b32 s26, 0
	s_mov_b32 s27, exec_lo
	s_delay_alu instid0(VALU_DEP_1)
	v_cmpx_gt_u32_e64 s20, v17
	s_cbranch_execz .LBB193_110
; %bb.100:
	s_and_not1_b32 vcc_lo, exec_lo, s24
	s_mov_b32 s2, 0
	s_cbranch_vccnz .LBB193_109
; %bb.101:
	v_mad_u64_u32 v[17:18], null, v1, s22, s[8:9]
	s_waitcnt lgkmcnt(0)
	v_mul_lo_u32 v21, v1, s23
	v_mul_lo_u32 v22, v2, s22
	v_mad_u64_u32 v[19:20], null, v3, s22, s[8:9]
	v_mul_lo_u32 v23, v3, s23
	v_mul_lo_u32 v25, v4, s22
	s_mov_b32 s2, -1
	s_mov_b32 s24, exec_lo
	s_delay_alu instid0(VALU_DEP_4) | instskip(NEXT) | instid1(VALU_DEP_2)
	v_add3_u32 v18, v22, v18, v21
	v_add3_u32 v20, v25, v20, v23
	s_clause 0x1
	global_load_u8 v21, v[17:18], off
	global_load_u8 v22, v[19:20], off
	s_waitcnt vmcnt(0)
	v_cmpx_eq_u16_e64 v21, v22
	s_cbranch_execz .LBB193_108
; %bb.102:
	s_mov_b64 s[2:3], 1
                                        ; implicit-def: $sgpr28
	s_set_inst_prefetch_distance 0x1
	s_branch .LBB193_105
	.p2align	6
.LBB193_103:                            ;   in Loop: Header=BB193_105 Depth=1
	v_add_co_u32 v21, vcc_lo, v17, s2
	v_add_co_ci_u32_e32 v22, vcc_lo, s3, v18, vcc_lo
	v_add_co_u32 v25, vcc_lo, v19, s2
	v_add_co_ci_u32_e32 v26, vcc_lo, s3, v20, vcc_lo
	s_add_u32 s6, s2, 1
	s_clause 0x1
	global_load_u8 v21, v[21:22], off
	global_load_u8 v22, v[25:26], off
	s_addc_u32 s7, s3, 0
	s_and_not1_b32 s28, s28, exec_lo
	s_waitcnt vmcnt(0)
	v_cmp_ne_u16_e32 vcc_lo, v21, v22
	s_and_b32 s29, vcc_lo, exec_lo
	s_delay_alu instid0(SALU_CYCLE_1)
	s_or_b32 s28, s28, s29
.LBB193_104:                            ;   in Loop: Header=BB193_105 Depth=1
	v_dual_mov_b32 v22, s3 :: v_dual_mov_b32 v21, s2
	s_and_b32 s29, exec_lo, s28
	s_mov_b64 s[2:3], s[6:7]
	s_or_b32 s26, s29, s26
	s_delay_alu instid0(SALU_CYCLE_1)
	s_and_not1_b32 exec_lo, exec_lo, s26
	s_cbranch_execz .LBB193_107
.LBB193_105:                            ; =>This Inner Loop Header: Depth=1
	s_or_b32 s28, s28, exec_lo
	s_cmp_eq_u64 s[22:23], s[2:3]
	s_cbranch_scc0 .LBB193_103
; %bb.106:                              ;   in Loop: Header=BB193_105 Depth=1
	s_mov_b64 s[2:3], s[22:23]
                                        ; implicit-def: $sgpr6_sgpr7
	s_branch .LBB193_104
.LBB193_107:
	s_set_inst_prefetch_distance 0x2
	s_or_b32 exec_lo, exec_lo, s26
	v_cmp_gt_i64_e32 vcc_lo, s[22:23], v[21:22]
	s_or_not1_b32 s2, vcc_lo, exec_lo
.LBB193_108:
	s_or_b32 exec_lo, exec_lo, s24
.LBB193_109:
	s_delay_alu instid0(SALU_CYCLE_1)
	s_and_b32 s26, s2, exec_lo
.LBB193_110:
	s_or_b32 exec_lo, exec_lo, s27
	v_or_b32_e32 v17, 6, v39
	s_mov_b32 s24, exec_lo
	s_delay_alu instid0(VALU_DEP_1)
	v_cmpx_gt_u32_e64 s20, v17
	s_cbranch_execz .LBB193_121
; %bb.111:
	v_cmp_ne_u32_e32 vcc_lo, 1, v24
	s_mov_b32 s2, 0
	s_cbranch_vccnz .LBB193_120
; %bb.112:
	v_mad_u64_u32 v[17:18], null, v7, s22, s[8:9]
	s_waitcnt lgkmcnt(0)
	v_mul_lo_u32 v21, v7, s23
	v_mul_lo_u32 v22, v8, s22
	v_mad_u64_u32 v[19:20], null, v1, s22, s[8:9]
	v_mul_lo_u32 v23, v1, s23
	v_mul_lo_u32 v25, v2, s22
	s_mov_b32 s2, -1
	s_mov_b32 s25, exec_lo
	s_delay_alu instid0(VALU_DEP_4) | instskip(NEXT) | instid1(VALU_DEP_2)
	v_add3_u32 v18, v22, v18, v21
	v_add3_u32 v20, v25, v20, v23
	s_clause 0x1
	global_load_u8 v21, v[17:18], off
	global_load_u8 v22, v[19:20], off
	s_waitcnt vmcnt(0)
	v_cmpx_eq_u16_e64 v21, v22
	s_cbranch_execz .LBB193_119
; %bb.113:
	s_mov_b64 s[2:3], 1
	s_mov_b32 s27, 0
                                        ; implicit-def: $sgpr28
	s_set_inst_prefetch_distance 0x1
	s_branch .LBB193_116
	.p2align	6
.LBB193_114:                            ;   in Loop: Header=BB193_116 Depth=1
	v_add_co_u32 v21, vcc_lo, v17, s2
	v_add_co_ci_u32_e32 v22, vcc_lo, s3, v18, vcc_lo
	v_add_co_u32 v25, vcc_lo, v19, s2
	v_add_co_ci_u32_e32 v26, vcc_lo, s3, v20, vcc_lo
	s_add_u32 s6, s2, 1
	s_clause 0x1
	global_load_u8 v21, v[21:22], off
	global_load_u8 v22, v[25:26], off
	s_addc_u32 s7, s3, 0
	s_and_not1_b32 s28, s28, exec_lo
	s_waitcnt vmcnt(0)
	v_cmp_ne_u16_e32 vcc_lo, v21, v22
	s_and_b32 s29, vcc_lo, exec_lo
	s_delay_alu instid0(SALU_CYCLE_1)
	s_or_b32 s28, s28, s29
.LBB193_115:                            ;   in Loop: Header=BB193_116 Depth=1
	v_dual_mov_b32 v22, s3 :: v_dual_mov_b32 v21, s2
	s_and_b32 s29, exec_lo, s28
	s_mov_b64 s[2:3], s[6:7]
	s_or_b32 s27, s29, s27
	s_delay_alu instid0(SALU_CYCLE_1)
	s_and_not1_b32 exec_lo, exec_lo, s27
	s_cbranch_execz .LBB193_118
.LBB193_116:                            ; =>This Inner Loop Header: Depth=1
	s_or_b32 s28, s28, exec_lo
	s_cmp_eq_u64 s[22:23], s[2:3]
	s_cbranch_scc0 .LBB193_114
; %bb.117:                              ;   in Loop: Header=BB193_116 Depth=1
	s_mov_b64 s[2:3], s[22:23]
                                        ; implicit-def: $sgpr6_sgpr7
	s_branch .LBB193_115
.LBB193_118:
	s_set_inst_prefetch_distance 0x2
	s_or_b32 exec_lo, exec_lo, s27
	v_cmp_gt_i64_e32 vcc_lo, s[22:23], v[21:22]
	s_or_not1_b32 s2, vcc_lo, exec_lo
.LBB193_119:
	s_or_b32 exec_lo, exec_lo, s25
.LBB193_120:
	s_delay_alu instid0(SALU_CYCLE_1)
	s_and_b32 s25, s2, exec_lo
.LBB193_121:
	s_or_b32 exec_lo, exec_lo, s24
	v_or_b32_e32 v17, 5, v39
	s_mov_b32 s27, 0
	s_mov_b32 s24, 0
	s_mov_b32 s28, exec_lo
	s_delay_alu instid0(VALU_DEP_1)
	v_cmpx_gt_u32_e64 s20, v17
	s_cbranch_execz .LBB193_132
; %bb.122:
	v_cmp_ne_u32_e32 vcc_lo, 1, v24
	s_mov_b32 s2, 0
	s_cbranch_vccnz .LBB193_131
; %bb.123:
	v_mad_u64_u32 v[17:18], null, v5, s22, s[8:9]
	s_waitcnt lgkmcnt(0)
	v_mul_lo_u32 v21, v5, s23
	v_mul_lo_u32 v22, v6, s22
	v_mad_u64_u32 v[19:20], null, v7, s22, s[8:9]
	v_mul_lo_u32 v23, v7, s23
	v_mul_lo_u32 v25, v8, s22
	s_mov_b32 s2, -1
	s_mov_b32 s24, exec_lo
	s_delay_alu instid0(VALU_DEP_4) | instskip(NEXT) | instid1(VALU_DEP_2)
	v_add3_u32 v18, v22, v18, v21
	v_add3_u32 v20, v25, v20, v23
	s_clause 0x1
	global_load_u8 v21, v[17:18], off
	global_load_u8 v22, v[19:20], off
	s_waitcnt vmcnt(0)
	v_cmpx_eq_u16_e64 v21, v22
	s_cbranch_execz .LBB193_130
; %bb.124:
	s_mov_b64 s[2:3], 1
	s_mov_b32 s29, 0
                                        ; implicit-def: $sgpr30
	s_set_inst_prefetch_distance 0x1
	s_branch .LBB193_127
	.p2align	6
.LBB193_125:                            ;   in Loop: Header=BB193_127 Depth=1
	v_add_co_u32 v21, vcc_lo, v17, s2
	v_add_co_ci_u32_e32 v22, vcc_lo, s3, v18, vcc_lo
	v_add_co_u32 v25, vcc_lo, v19, s2
	v_add_co_ci_u32_e32 v26, vcc_lo, s3, v20, vcc_lo
	s_add_u32 s6, s2, 1
	s_clause 0x1
	global_load_u8 v21, v[21:22], off
	global_load_u8 v22, v[25:26], off
	s_addc_u32 s7, s3, 0
	s_and_not1_b32 s30, s30, exec_lo
	s_waitcnt vmcnt(0)
	v_cmp_ne_u16_e32 vcc_lo, v21, v22
	s_and_b32 s31, vcc_lo, exec_lo
	s_delay_alu instid0(SALU_CYCLE_1)
	s_or_b32 s30, s30, s31
.LBB193_126:                            ;   in Loop: Header=BB193_127 Depth=1
	v_dual_mov_b32 v22, s3 :: v_dual_mov_b32 v21, s2
	s_and_b32 s31, exec_lo, s30
	s_mov_b64 s[2:3], s[6:7]
	s_or_b32 s29, s31, s29
	s_delay_alu instid0(SALU_CYCLE_1)
	s_and_not1_b32 exec_lo, exec_lo, s29
	s_cbranch_execz .LBB193_129
.LBB193_127:                            ; =>This Inner Loop Header: Depth=1
	s_or_b32 s30, s30, exec_lo
	s_cmp_eq_u64 s[22:23], s[2:3]
	s_cbranch_scc0 .LBB193_125
; %bb.128:                              ;   in Loop: Header=BB193_127 Depth=1
	s_mov_b64 s[2:3], s[22:23]
                                        ; implicit-def: $sgpr6_sgpr7
	s_branch .LBB193_126
.LBB193_129:
	s_set_inst_prefetch_distance 0x2
	s_or_b32 exec_lo, exec_lo, s29
	v_cmp_gt_i64_e32 vcc_lo, s[22:23], v[21:22]
	s_or_not1_b32 s2, vcc_lo, exec_lo
.LBB193_130:
	s_or_b32 exec_lo, exec_lo, s24
.LBB193_131:
	s_delay_alu instid0(SALU_CYCLE_1)
	s_and_b32 s24, s2, exec_lo
.LBB193_132:
	s_or_b32 exec_lo, exec_lo, s28
	v_or_b32_e32 v17, 4, v39
	s_mov_b32 s28, exec_lo
	s_delay_alu instid0(VALU_DEP_1)
	v_cmpx_gt_u32_e64 s20, v17
	s_cbranch_execz .LBB193_143
; %bb.133:
	v_cmp_ne_u32_e32 vcc_lo, 1, v24
	s_mov_b32 s2, 0
	s_cbranch_vccnz .LBB193_142
; %bb.134:
	v_mad_u64_u32 v[17:18], null, v11, s22, s[8:9]
	s_waitcnt lgkmcnt(0)
	v_mul_lo_u32 v21, v11, s23
	v_mul_lo_u32 v22, v12, s22
	v_mad_u64_u32 v[19:20], null, v5, s22, s[8:9]
	v_mul_lo_u32 v23, v5, s23
	v_mul_lo_u32 v25, v6, s22
	s_mov_b32 s2, -1
	s_mov_b32 s27, exec_lo
	s_delay_alu instid0(VALU_DEP_4) | instskip(NEXT) | instid1(VALU_DEP_2)
	v_add3_u32 v18, v22, v18, v21
	v_add3_u32 v20, v25, v20, v23
	s_clause 0x1
	global_load_u8 v21, v[17:18], off
	global_load_u8 v22, v[19:20], off
	s_waitcnt vmcnt(0)
	v_cmpx_eq_u16_e64 v21, v22
	s_cbranch_execz .LBB193_141
; %bb.135:
	s_mov_b64 s[2:3], 1
	s_mov_b32 s29, 0
                                        ; implicit-def: $sgpr30
	s_set_inst_prefetch_distance 0x1
	s_branch .LBB193_138
	.p2align	6
.LBB193_136:                            ;   in Loop: Header=BB193_138 Depth=1
	v_add_co_u32 v21, vcc_lo, v17, s2
	v_add_co_ci_u32_e32 v22, vcc_lo, s3, v18, vcc_lo
	v_add_co_u32 v25, vcc_lo, v19, s2
	v_add_co_ci_u32_e32 v26, vcc_lo, s3, v20, vcc_lo
	s_add_u32 s6, s2, 1
	s_clause 0x1
	global_load_u8 v21, v[21:22], off
	global_load_u8 v22, v[25:26], off
	s_addc_u32 s7, s3, 0
	s_and_not1_b32 s30, s30, exec_lo
	s_waitcnt vmcnt(0)
	v_cmp_ne_u16_e32 vcc_lo, v21, v22
	s_and_b32 s31, vcc_lo, exec_lo
	s_delay_alu instid0(SALU_CYCLE_1)
	s_or_b32 s30, s30, s31
.LBB193_137:                            ;   in Loop: Header=BB193_138 Depth=1
	v_dual_mov_b32 v22, s3 :: v_dual_mov_b32 v21, s2
	s_and_b32 s31, exec_lo, s30
	s_mov_b64 s[2:3], s[6:7]
	s_or_b32 s29, s31, s29
	s_delay_alu instid0(SALU_CYCLE_1)
	s_and_not1_b32 exec_lo, exec_lo, s29
	s_cbranch_execz .LBB193_140
.LBB193_138:                            ; =>This Inner Loop Header: Depth=1
	s_or_b32 s30, s30, exec_lo
	s_cmp_eq_u64 s[22:23], s[2:3]
	s_cbranch_scc0 .LBB193_136
; %bb.139:                              ;   in Loop: Header=BB193_138 Depth=1
	s_mov_b64 s[2:3], s[22:23]
                                        ; implicit-def: $sgpr6_sgpr7
	s_branch .LBB193_137
.LBB193_140:
	s_set_inst_prefetch_distance 0x2
	s_or_b32 exec_lo, exec_lo, s29
	v_cmp_gt_i64_e32 vcc_lo, s[22:23], v[21:22]
	s_or_not1_b32 s2, vcc_lo, exec_lo
.LBB193_141:
	s_or_b32 exec_lo, exec_lo, s27
.LBB193_142:
	s_delay_alu instid0(SALU_CYCLE_1)
	s_and_b32 s27, s2, exec_lo
.LBB193_143:
	s_or_b32 exec_lo, exec_lo, s28
	v_or_b32_e32 v17, 3, v39
	s_mov_b32 s29, 0
	s_mov_b32 s28, 0
	s_mov_b32 s30, exec_lo
	s_delay_alu instid0(VALU_DEP_1)
	v_cmpx_gt_u32_e64 s20, v17
	s_cbranch_execz .LBB193_154
; %bb.144:
	v_cmp_ne_u32_e32 vcc_lo, 1, v24
	s_mov_b32 s2, 0
	s_cbranch_vccnz .LBB193_153
; %bb.145:
	v_mad_u64_u32 v[17:18], null, v9, s22, s[8:9]
	s_waitcnt lgkmcnt(0)
	v_mul_lo_u32 v21, v9, s23
	v_mul_lo_u32 v22, v10, s22
	v_mad_u64_u32 v[19:20], null, v11, s22, s[8:9]
	v_mul_lo_u32 v23, v11, s23
	v_mul_lo_u32 v25, v12, s22
	s_mov_b32 s2, -1
	s_mov_b32 s28, exec_lo
	s_delay_alu instid0(VALU_DEP_4) | instskip(NEXT) | instid1(VALU_DEP_2)
	v_add3_u32 v18, v22, v18, v21
	v_add3_u32 v20, v25, v20, v23
	s_clause 0x1
	global_load_u8 v21, v[17:18], off
	global_load_u8 v22, v[19:20], off
	s_waitcnt vmcnt(0)
	v_cmpx_eq_u16_e64 v21, v22
	s_cbranch_execz .LBB193_152
; %bb.146:
	s_mov_b64 s[2:3], 1
	s_mov_b32 s31, 0
                                        ; implicit-def: $sgpr33
	s_set_inst_prefetch_distance 0x1
	s_branch .LBB193_149
	.p2align	6
.LBB193_147:                            ;   in Loop: Header=BB193_149 Depth=1
	v_add_co_u32 v21, vcc_lo, v17, s2
	v_add_co_ci_u32_e32 v22, vcc_lo, s3, v18, vcc_lo
	v_add_co_u32 v25, vcc_lo, v19, s2
	v_add_co_ci_u32_e32 v26, vcc_lo, s3, v20, vcc_lo
	s_add_u32 s6, s2, 1
	s_clause 0x1
	global_load_u8 v21, v[21:22], off
	global_load_u8 v22, v[25:26], off
	s_addc_u32 s7, s3, 0
	s_and_not1_b32 s33, s33, exec_lo
	s_waitcnt vmcnt(0)
	v_cmp_ne_u16_e32 vcc_lo, v21, v22
	s_and_b32 s34, vcc_lo, exec_lo
	s_delay_alu instid0(SALU_CYCLE_1)
	s_or_b32 s33, s33, s34
.LBB193_148:                            ;   in Loop: Header=BB193_149 Depth=1
	v_dual_mov_b32 v22, s3 :: v_dual_mov_b32 v21, s2
	s_and_b32 s34, exec_lo, s33
	s_mov_b64 s[2:3], s[6:7]
	s_or_b32 s31, s34, s31
	s_delay_alu instid0(SALU_CYCLE_1)
	s_and_not1_b32 exec_lo, exec_lo, s31
	s_cbranch_execz .LBB193_151
.LBB193_149:                            ; =>This Inner Loop Header: Depth=1
	s_or_b32 s33, s33, exec_lo
	s_cmp_eq_u64 s[22:23], s[2:3]
	s_cbranch_scc0 .LBB193_147
; %bb.150:                              ;   in Loop: Header=BB193_149 Depth=1
	s_mov_b64 s[2:3], s[22:23]
                                        ; implicit-def: $sgpr6_sgpr7
	s_branch .LBB193_148
.LBB193_151:
	s_set_inst_prefetch_distance 0x2
	s_or_b32 exec_lo, exec_lo, s31
	v_cmp_gt_i64_e32 vcc_lo, s[22:23], v[21:22]
	s_or_not1_b32 s2, vcc_lo, exec_lo
.LBB193_152:
	s_or_b32 exec_lo, exec_lo, s28
.LBB193_153:
	s_delay_alu instid0(SALU_CYCLE_1)
	s_and_b32 s28, s2, exec_lo
.LBB193_154:
	s_or_b32 exec_lo, exec_lo, s30
	v_or_b32_e32 v17, 2, v39
	s_mov_b32 s30, exec_lo
	s_delay_alu instid0(VALU_DEP_1)
	v_cmpx_gt_u32_e64 s20, v17
	s_cbranch_execz .LBB193_165
; %bb.155:
	v_cmp_ne_u32_e32 vcc_lo, 1, v24
	s_mov_b32 s2, 0
	s_cbranch_vccnz .LBB193_164
; %bb.156:
	v_mad_u64_u32 v[17:18], null, v15, s22, s[8:9]
	s_waitcnt lgkmcnt(0)
	v_mul_lo_u32 v21, v15, s23
	v_mul_lo_u32 v22, v16, s22
	v_mad_u64_u32 v[19:20], null, v9, s22, s[8:9]
	v_mul_lo_u32 v23, v9, s23
	v_mul_lo_u32 v25, v10, s22
	s_mov_b32 s2, -1
	s_mov_b32 s29, exec_lo
	s_delay_alu instid0(VALU_DEP_4) | instskip(NEXT) | instid1(VALU_DEP_2)
	v_add3_u32 v18, v22, v18, v21
	v_add3_u32 v20, v25, v20, v23
	s_clause 0x1
	global_load_u8 v21, v[17:18], off
	global_load_u8 v22, v[19:20], off
	s_waitcnt vmcnt(0)
	v_cmpx_eq_u16_e64 v21, v22
	s_cbranch_execz .LBB193_163
; %bb.157:
	s_mov_b64 s[2:3], 1
	s_mov_b32 s31, 0
                                        ; implicit-def: $sgpr33
	s_set_inst_prefetch_distance 0x1
	s_branch .LBB193_160
	.p2align	6
.LBB193_158:                            ;   in Loop: Header=BB193_160 Depth=1
	v_add_co_u32 v21, vcc_lo, v17, s2
	v_add_co_ci_u32_e32 v22, vcc_lo, s3, v18, vcc_lo
	v_add_co_u32 v25, vcc_lo, v19, s2
	v_add_co_ci_u32_e32 v26, vcc_lo, s3, v20, vcc_lo
	s_add_u32 s6, s2, 1
	s_clause 0x1
	global_load_u8 v21, v[21:22], off
	global_load_u8 v22, v[25:26], off
	s_addc_u32 s7, s3, 0
	s_and_not1_b32 s33, s33, exec_lo
	s_waitcnt vmcnt(0)
	v_cmp_ne_u16_e32 vcc_lo, v21, v22
	s_and_b32 s34, vcc_lo, exec_lo
	s_delay_alu instid0(SALU_CYCLE_1)
	s_or_b32 s33, s33, s34
.LBB193_159:                            ;   in Loop: Header=BB193_160 Depth=1
	v_dual_mov_b32 v22, s3 :: v_dual_mov_b32 v21, s2
	s_and_b32 s34, exec_lo, s33
	s_mov_b64 s[2:3], s[6:7]
	s_or_b32 s31, s34, s31
	s_delay_alu instid0(SALU_CYCLE_1)
	s_and_not1_b32 exec_lo, exec_lo, s31
	s_cbranch_execz .LBB193_162
.LBB193_160:                            ; =>This Inner Loop Header: Depth=1
	s_or_b32 s33, s33, exec_lo
	s_cmp_eq_u64 s[22:23], s[2:3]
	s_cbranch_scc0 .LBB193_158
; %bb.161:                              ;   in Loop: Header=BB193_160 Depth=1
	s_mov_b64 s[2:3], s[22:23]
                                        ; implicit-def: $sgpr6_sgpr7
	s_branch .LBB193_159
.LBB193_162:
	s_set_inst_prefetch_distance 0x2
	s_or_b32 exec_lo, exec_lo, s31
	v_cmp_gt_i64_e32 vcc_lo, s[22:23], v[21:22]
	s_or_not1_b32 s2, vcc_lo, exec_lo
.LBB193_163:
	s_or_b32 exec_lo, exec_lo, s29
.LBB193_164:
	s_delay_alu instid0(SALU_CYCLE_1)
	s_and_b32 s29, s2, exec_lo
.LBB193_165:
	s_or_b32 exec_lo, exec_lo, s30
	v_or_b32_e32 v17, 1, v39
	s_mov_b32 s2, 0
	s_mov_b32 s30, exec_lo
	s_delay_alu instid0(VALU_DEP_1)
	v_cmpx_gt_u32_e64 s20, v17
	s_cbranch_execz .LBB193_176
; %bb.166:
	v_cmp_ne_u32_e32 vcc_lo, 1, v24
	s_cbranch_vccnz .LBB193_175
; %bb.167:
	v_mad_u64_u32 v[17:18], null, v13, s22, s[8:9]
	s_waitcnt lgkmcnt(0)
	v_mul_lo_u32 v21, v13, s23
	v_mul_lo_u32 v22, v14, s22
	v_mad_u64_u32 v[19:20], null, v15, s22, s[8:9]
	v_mul_lo_u32 v23, v15, s23
	v_mul_lo_u32 v25, v16, s22
	s_mov_b32 s2, -1
	s_mov_b32 s31, exec_lo
	s_delay_alu instid0(VALU_DEP_4) | instskip(NEXT) | instid1(VALU_DEP_2)
	v_add3_u32 v18, v22, v18, v21
	v_add3_u32 v20, v25, v20, v23
	s_clause 0x1
	global_load_u8 v21, v[17:18], off
	global_load_u8 v22, v[19:20], off
	s_waitcnt vmcnt(0)
	v_cmpx_eq_u16_e64 v21, v22
	s_cbranch_execz .LBB193_174
; %bb.168:
	s_mov_b64 s[2:3], 1
	s_mov_b32 s33, 0
                                        ; implicit-def: $sgpr34
	s_set_inst_prefetch_distance 0x1
	s_branch .LBB193_171
	.p2align	6
.LBB193_169:                            ;   in Loop: Header=BB193_171 Depth=1
	v_add_co_u32 v21, vcc_lo, v17, s2
	v_add_co_ci_u32_e32 v22, vcc_lo, s3, v18, vcc_lo
	v_add_co_u32 v25, vcc_lo, v19, s2
	v_add_co_ci_u32_e32 v26, vcc_lo, s3, v20, vcc_lo
	s_add_u32 s6, s2, 1
	s_clause 0x1
	global_load_u8 v21, v[21:22], off
	global_load_u8 v22, v[25:26], off
	s_addc_u32 s7, s3, 0
	s_and_not1_b32 s34, s34, exec_lo
	s_waitcnt vmcnt(0)
	v_cmp_ne_u16_e32 vcc_lo, v21, v22
	s_and_b32 s35, vcc_lo, exec_lo
	s_delay_alu instid0(SALU_CYCLE_1)
	s_or_b32 s34, s34, s35
.LBB193_170:                            ;   in Loop: Header=BB193_171 Depth=1
	v_dual_mov_b32 v22, s3 :: v_dual_mov_b32 v21, s2
	s_and_b32 s35, exec_lo, s34
	s_mov_b64 s[2:3], s[6:7]
	s_or_b32 s33, s35, s33
	s_delay_alu instid0(SALU_CYCLE_1)
	s_and_not1_b32 exec_lo, exec_lo, s33
	s_cbranch_execz .LBB193_173
.LBB193_171:                            ; =>This Inner Loop Header: Depth=1
	s_or_b32 s34, s34, exec_lo
	s_cmp_eq_u64 s[22:23], s[2:3]
	s_cbranch_scc0 .LBB193_169
; %bb.172:                              ;   in Loop: Header=BB193_171 Depth=1
	s_mov_b64 s[2:3], s[22:23]
                                        ; implicit-def: $sgpr6_sgpr7
	s_branch .LBB193_170
.LBB193_173:
	s_set_inst_prefetch_distance 0x2
	s_or_b32 exec_lo, exec_lo, s33
	v_cmp_gt_i64_e32 vcc_lo, s[22:23], v[21:22]
	s_or_not1_b32 s2, vcc_lo, exec_lo
.LBB193_174:
	s_or_b32 exec_lo, exec_lo, s31
.LBB193_175:
	s_delay_alu instid0(SALU_CYCLE_1)
	s_and_b32 s2, s2, exec_lo
.LBB193_176:
	s_or_b32 exec_lo, exec_lo, s30
	s_waitcnt lgkmcnt(0)
	v_dual_mov_b32 v20, s5 :: v_dual_mov_b32 v19, s4
	s_mov_b32 s3, exec_lo
	s_barrier
	buffer_gl0_inv
	v_cmpx_ne_u32_e32 0, v0
	s_cbranch_execz .LBB193_178
; %bb.177:
	v_add_nc_u32_e32 v17, -8, v39
	ds_load_b64 v[19:20], v17
.LBB193_178:
	s_or_b32 exec_lo, exec_lo, s3
	v_cndmask_b32_e64 v18, 0, 1, s28
	v_cndmask_b32_e64 v22, 0, 1, s24
	;; [unrolled: 1-line block ×7, first 2 shown]
	v_lshlrev_b16 v18, 8, v18
	v_lshlrev_b16 v22, 8, v22
	;; [unrolled: 1-line block ×3, first 2 shown]
	s_mov_b32 s2, 0
	v_lshlrev_b16 v26, 8, v26
	v_or_b32_e32 v17, v17, v18
	v_or_b32_e32 v18, v21, v22
	;; [unrolled: 1-line block ×3, first 2 shown]
	s_mov_b32 s6, exec_lo
	v_and_b32_e32 v23, 0xffff, v26
	v_lshlrev_b32_e32 v25, 16, v17
	v_and_b32_e32 v26, 0xffff, v18
	v_lshlrev_b32_e32 v27, 16, v21
	v_cmpx_gt_u32_e64 s20, v39
	s_cbranch_execz .LBB193_189
; %bb.179:
	v_cmp_ne_u32_e32 vcc_lo, 1, v24
	s_cbranch_vccnz .LBB193_188
; %bb.180:
	s_waitcnt lgkmcnt(0)
	v_mad_u64_u32 v[17:18], null, v19, s22, s[8:9]
	v_mul_lo_u32 v21, v19, s23
	v_mul_lo_u32 v22, v20, s22
	v_mad_u64_u32 v[19:20], null, v13, s22, s[8:9]
	v_mul_lo_u32 v24, v13, s23
	v_mul_lo_u32 v28, v14, s22
	s_mov_b32 s2, -1
	s_mov_b32 s7, exec_lo
	s_delay_alu instid0(VALU_DEP_4) | instskip(NEXT) | instid1(VALU_DEP_2)
	v_add3_u32 v18, v22, v18, v21
	v_add3_u32 v20, v28, v20, v24
	s_clause 0x1
	global_load_u8 v21, v[17:18], off
	global_load_u8 v22, v[19:20], off
	s_waitcnt vmcnt(0)
	v_cmpx_eq_u16_e64 v21, v22
	s_cbranch_execz .LBB193_187
; %bb.181:
	s_mov_b64 s[2:3], 1
	s_mov_b32 s24, 0
                                        ; implicit-def: $sgpr25
	s_set_inst_prefetch_distance 0x1
	s_branch .LBB193_184
	.p2align	6
.LBB193_182:                            ;   in Loop: Header=BB193_184 Depth=1
	v_add_co_u32 v21, vcc_lo, v17, s2
	v_add_co_ci_u32_e32 v22, vcc_lo, s3, v18, vcc_lo
	v_add_co_u32 v28, vcc_lo, v19, s2
	v_add_co_ci_u32_e32 v29, vcc_lo, s3, v20, vcc_lo
	s_add_u32 s4, s2, 1
	s_clause 0x1
	global_load_u8 v21, v[21:22], off
	global_load_u8 v22, v[28:29], off
	s_addc_u32 s5, s3, 0
	s_and_not1_b32 s25, s25, exec_lo
	s_waitcnt vmcnt(0)
	v_cmp_ne_u16_e32 vcc_lo, v21, v22
	s_and_b32 s26, vcc_lo, exec_lo
	s_delay_alu instid0(SALU_CYCLE_1)
	s_or_b32 s25, s25, s26
.LBB193_183:                            ;   in Loop: Header=BB193_184 Depth=1
	v_dual_mov_b32 v22, s3 :: v_dual_mov_b32 v21, s2
	s_and_b32 s26, exec_lo, s25
	s_mov_b64 s[2:3], s[4:5]
	s_or_b32 s24, s26, s24
	s_delay_alu instid0(SALU_CYCLE_1)
	s_and_not1_b32 exec_lo, exec_lo, s24
	s_cbranch_execz .LBB193_186
.LBB193_184:                            ; =>This Inner Loop Header: Depth=1
	s_or_b32 s25, s25, exec_lo
	s_cmp_eq_u64 s[22:23], s[2:3]
	s_cbranch_scc0 .LBB193_182
; %bb.185:                              ;   in Loop: Header=BB193_184 Depth=1
	s_mov_b64 s[2:3], s[22:23]
                                        ; implicit-def: $sgpr4_sgpr5
	s_branch .LBB193_183
.LBB193_186:
	s_set_inst_prefetch_distance 0x2
	s_or_b32 exec_lo, exec_lo, s24
	v_cmp_gt_i64_e32 vcc_lo, s[22:23], v[21:22]
	s_or_not1_b32 s2, vcc_lo, exec_lo
.LBB193_187:
	s_or_b32 exec_lo, exec_lo, s7
.LBB193_188:
	s_delay_alu instid0(SALU_CYCLE_1)
	s_and_b32 s2, s2, exec_lo
.LBB193_189:
	s_or_b32 exec_lo, exec_lo, s6
	v_or_b32_e32 v17, v23, v25
	v_or_b32_e32 v18, v26, v27
.LBB193_190:
	s_mov_b32 s6, -1
	s_cbranch_execnz .LBB193_359
.LBB193_191:
	v_cmp_gt_i64_e64 s7, s[22:23], 0
	s_and_b32 vcc_lo, exec_lo, s18
	ds_store_b64 v39, v[3:4]
	s_cbranch_vccz .LBB193_199
; %bb.192:
	s_waitcnt lgkmcnt(0)
	v_mul_lo_u32 v19, v2, s22
	v_mul_lo_u32 v20, v1, s23
	v_mad_u64_u32 v[17:18], null, v1, s22, 0
	s_mov_b32 s24, 0
	s_and_not1_b32 vcc_lo, exec_lo, s7
	s_mov_b32 s25, 0
	s_delay_alu instid0(VALU_DEP_1)
	v_add3_u32 v24, v18, v20, v19
	s_cbranch_vccnz .LBB193_202
; %bb.193:
	v_mad_u64_u32 v[18:19], null, v3, s22, s[8:9]
	v_mul_lo_u32 v22, v3, s23
	v_mul_lo_u32 v23, v4, s22
	v_add_co_u32 v20, vcc_lo, s8, v17
	v_add_co_ci_u32_e32 v21, vcc_lo, s9, v24, vcc_lo
	s_mov_b32 s25, -1
	s_mov_b32 s26, exec_lo
	s_delay_alu instid0(VALU_DEP_3)
	v_add3_u32 v19, v23, v19, v22
	s_clause 0x1
	global_load_u8 v22, v[20:21], off
	global_load_u8 v23, v[18:19], off
	s_waitcnt vmcnt(0)
	v_cmpx_eq_u16_e64 v22, v23
	s_cbranch_execz .LBB193_201
; %bb.194:
	s_mov_b64 s[2:3], 1
	s_mov_b32 s25, 0
                                        ; implicit-def: $sgpr27
	s_set_inst_prefetch_distance 0x1
	s_branch .LBB193_197
	.p2align	6
.LBB193_195:                            ;   in Loop: Header=BB193_197 Depth=1
	v_add_co_u32 v22, vcc_lo, v20, s2
	v_add_co_ci_u32_e32 v23, vcc_lo, s3, v21, vcc_lo
	v_add_co_u32 v25, vcc_lo, v18, s2
	v_add_co_ci_u32_e32 v26, vcc_lo, s3, v19, vcc_lo
	s_add_u32 s4, s2, 1
	s_clause 0x1
	global_load_u8 v22, v[22:23], off
	global_load_u8 v23, v[25:26], off
	s_addc_u32 s5, s3, 0
	s_and_not1_b32 s27, s27, exec_lo
	s_waitcnt vmcnt(0)
	v_cmp_ne_u16_e32 vcc_lo, v22, v23
	s_and_b32 s28, vcc_lo, exec_lo
	s_delay_alu instid0(SALU_CYCLE_1)
	s_or_b32 s27, s27, s28
.LBB193_196:                            ;   in Loop: Header=BB193_197 Depth=1
	v_dual_mov_b32 v23, s3 :: v_dual_mov_b32 v22, s2
	s_and_b32 s28, exec_lo, s27
	s_mov_b64 s[2:3], s[4:5]
	s_or_b32 s25, s28, s25
	s_delay_alu instid0(SALU_CYCLE_1)
	s_and_not1_b32 exec_lo, exec_lo, s25
	s_cbranch_execz .LBB193_200
.LBB193_197:                            ; =>This Inner Loop Header: Depth=1
	s_or_b32 s27, s27, exec_lo
	s_cmp_eq_u64 s[22:23], s[2:3]
	s_cbranch_scc0 .LBB193_195
; %bb.198:                              ;   in Loop: Header=BB193_197 Depth=1
	s_mov_b64 s[2:3], s[22:23]
                                        ; implicit-def: $sgpr4_sgpr5
	s_branch .LBB193_196
.LBB193_199:
                                        ; implicit-def: $sgpr2
                                        ; implicit-def: $vgpr18
	s_cbranch_execnz .LBB193_268
	s_branch .LBB193_359
.LBB193_200:
	s_set_inst_prefetch_distance 0x2
	s_or_b32 exec_lo, exec_lo, s25
	v_cmp_gt_i64_e32 vcc_lo, s[22:23], v[22:23]
	s_or_not1_b32 s25, vcc_lo, exec_lo
.LBB193_201:
	s_or_b32 exec_lo, exec_lo, s26
.LBB193_202:
	v_mul_lo_u32 v20, v8, s22
	v_mul_lo_u32 v21, v7, s23
	v_mad_u64_u32 v[18:19], null, v7, s22, 0
	s_and_not1_b32 vcc_lo, exec_lo, s7
	s_delay_alu instid0(VALU_DEP_1)
	v_add3_u32 v25, v19, v21, v20
	s_cbranch_vccnz .LBB193_211
; %bb.203:
	s_delay_alu instid0(VALU_DEP_2) | instskip(NEXT) | instid1(VALU_DEP_2)
	v_add_co_u32 v19, vcc_lo, s8, v18
	v_add_co_ci_u32_e32 v20, vcc_lo, s9, v25, vcc_lo
	v_add_co_u32 v21, vcc_lo, s8, v17
	v_add_co_ci_u32_e32 v22, vcc_lo, s9, v24, vcc_lo
	s_mov_b32 s24, -1
	s_clause 0x1
	global_load_u8 v17, v[19:20], off
	global_load_u8 v23, v[21:22], off
	s_mov_b32 s26, exec_lo
	s_waitcnt vmcnt(0)
	v_cmpx_eq_u16_e64 v17, v23
	s_cbranch_execz .LBB193_210
; %bb.204:
	s_mov_b64 s[2:3], 1
	s_mov_b32 s24, 0
                                        ; implicit-def: $sgpr27
	s_set_inst_prefetch_distance 0x1
	s_branch .LBB193_207
	.p2align	6
.LBB193_205:                            ;   in Loop: Header=BB193_207 Depth=1
	v_add_co_u32 v23, vcc_lo, v19, s2
	v_add_co_ci_u32_e32 v24, vcc_lo, s3, v20, vcc_lo
	v_add_co_u32 v26, vcc_lo, v21, s2
	v_add_co_ci_u32_e32 v27, vcc_lo, s3, v22, vcc_lo
	s_add_u32 s4, s2, 1
	s_clause 0x1
	global_load_u8 v17, v[23:24], off
	global_load_u8 v23, v[26:27], off
	s_addc_u32 s5, s3, 0
	s_and_not1_b32 s27, s27, exec_lo
	s_waitcnt vmcnt(0)
	v_cmp_ne_u16_e32 vcc_lo, v17, v23
	s_and_b32 s28, vcc_lo, exec_lo
	s_delay_alu instid0(SALU_CYCLE_1)
	s_or_b32 s27, s27, s28
.LBB193_206:                            ;   in Loop: Header=BB193_207 Depth=1
	v_dual_mov_b32 v24, s3 :: v_dual_mov_b32 v23, s2
	s_and_b32 s28, exec_lo, s27
	s_mov_b64 s[2:3], s[4:5]
	s_or_b32 s24, s28, s24
	s_delay_alu instid0(SALU_CYCLE_1)
	s_and_not1_b32 exec_lo, exec_lo, s24
	s_cbranch_execz .LBB193_209
.LBB193_207:                            ; =>This Inner Loop Header: Depth=1
	s_or_b32 s27, s27, exec_lo
	s_cmp_eq_u64 s[22:23], s[2:3]
	s_cbranch_scc0 .LBB193_205
; %bb.208:                              ;   in Loop: Header=BB193_207 Depth=1
	s_mov_b64 s[2:3], s[22:23]
                                        ; implicit-def: $sgpr4_sgpr5
	s_branch .LBB193_206
.LBB193_209:
	s_set_inst_prefetch_distance 0x2
	s_or_b32 exec_lo, exec_lo, s24
	v_cmp_gt_i64_e32 vcc_lo, s[22:23], v[23:24]
	s_or_not1_b32 s24, vcc_lo, exec_lo
.LBB193_210:
	s_or_b32 exec_lo, exec_lo, s26
.LBB193_211:
	v_mul_lo_u32 v17, v6, s22
	v_mul_lo_u32 v21, v5, s23
	v_mad_u64_u32 v[19:20], null, v5, s22, 0
	s_mov_b32 s26, 0
	s_and_not1_b32 vcc_lo, exec_lo, s7
	s_mov_b32 s27, 0
	s_delay_alu instid0(VALU_DEP_1)
	v_add3_u32 v26, v20, v21, v17
	s_cbranch_vccnz .LBB193_220
; %bb.212:
	s_delay_alu instid0(VALU_DEP_2) | instskip(NEXT) | instid1(VALU_DEP_2)
	v_add_co_u32 v20, vcc_lo, s8, v19
	v_add_co_ci_u32_e32 v21, vcc_lo, s9, v26, vcc_lo
	v_add_co_u32 v17, vcc_lo, s8, v18
	v_add_co_ci_u32_e32 v18, vcc_lo, s9, v25, vcc_lo
	s_mov_b32 s27, -1
	s_clause 0x1
	global_load_u8 v22, v[20:21], off
	global_load_u8 v23, v[17:18], off
	s_mov_b32 s28, exec_lo
	s_waitcnt vmcnt(0)
	v_cmpx_eq_u16_e64 v22, v23
	s_cbranch_execz .LBB193_219
; %bb.213:
	s_mov_b64 s[2:3], 1
	s_mov_b32 s27, 0
                                        ; implicit-def: $sgpr29
	s_set_inst_prefetch_distance 0x1
	s_branch .LBB193_216
	.p2align	6
.LBB193_214:                            ;   in Loop: Header=BB193_216 Depth=1
	v_add_co_u32 v22, vcc_lo, v20, s2
	v_add_co_ci_u32_e32 v23, vcc_lo, s3, v21, vcc_lo
	v_add_co_u32 v24, vcc_lo, v17, s2
	v_add_co_ci_u32_e32 v25, vcc_lo, s3, v18, vcc_lo
	s_add_u32 s4, s2, 1
	s_clause 0x1
	global_load_u8 v22, v[22:23], off
	global_load_u8 v23, v[24:25], off
	s_addc_u32 s5, s3, 0
	s_and_not1_b32 s29, s29, exec_lo
	s_waitcnt vmcnt(0)
	v_cmp_ne_u16_e32 vcc_lo, v22, v23
	s_and_b32 s30, vcc_lo, exec_lo
	s_delay_alu instid0(SALU_CYCLE_1)
	s_or_b32 s29, s29, s30
.LBB193_215:                            ;   in Loop: Header=BB193_216 Depth=1
	v_dual_mov_b32 v23, s3 :: v_dual_mov_b32 v22, s2
	s_and_b32 s30, exec_lo, s29
	s_mov_b64 s[2:3], s[4:5]
	s_or_b32 s27, s30, s27
	s_delay_alu instid0(SALU_CYCLE_1)
	s_and_not1_b32 exec_lo, exec_lo, s27
	s_cbranch_execz .LBB193_218
.LBB193_216:                            ; =>This Inner Loop Header: Depth=1
	s_or_b32 s29, s29, exec_lo
	s_cmp_eq_u64 s[22:23], s[2:3]
	s_cbranch_scc0 .LBB193_214
; %bb.217:                              ;   in Loop: Header=BB193_216 Depth=1
	s_mov_b64 s[2:3], s[22:23]
                                        ; implicit-def: $sgpr4_sgpr5
	s_branch .LBB193_215
.LBB193_218:
	s_set_inst_prefetch_distance 0x2
	s_or_b32 exec_lo, exec_lo, s27
	v_cmp_gt_i64_e32 vcc_lo, s[22:23], v[22:23]
	s_or_not1_b32 s27, vcc_lo, exec_lo
.LBB193_219:
	s_or_b32 exec_lo, exec_lo, s28
.LBB193_220:
	v_mul_lo_u32 v20, v12, s22
	v_mul_lo_u32 v21, v11, s23
	v_mad_u64_u32 v[17:18], null, v11, s22, 0
	s_and_not1_b32 vcc_lo, exec_lo, s7
	s_delay_alu instid0(VALU_DEP_1)
	v_add3_u32 v24, v18, v21, v20
	s_cbranch_vccnz .LBB193_229
; %bb.221:
	s_delay_alu instid0(VALU_DEP_2) | instskip(NEXT) | instid1(VALU_DEP_2)
	v_add_co_u32 v20, vcc_lo, s8, v17
	v_add_co_ci_u32_e32 v21, vcc_lo, s9, v24, vcc_lo
	v_add_co_u32 v18, vcc_lo, s8, v19
	v_add_co_ci_u32_e32 v19, vcc_lo, s9, v26, vcc_lo
	s_mov_b32 s26, -1
	s_clause 0x1
	global_load_u8 v22, v[20:21], off
	global_load_u8 v23, v[18:19], off
	s_mov_b32 s28, exec_lo
	s_waitcnt vmcnt(0)
	v_cmpx_eq_u16_e64 v22, v23
	s_cbranch_execz .LBB193_228
; %bb.222:
	s_mov_b64 s[2:3], 1
	s_mov_b32 s26, 0
                                        ; implicit-def: $sgpr29
	s_set_inst_prefetch_distance 0x1
	s_branch .LBB193_225
	.p2align	6
.LBB193_223:                            ;   in Loop: Header=BB193_225 Depth=1
	v_add_co_u32 v22, vcc_lo, v20, s2
	v_add_co_ci_u32_e32 v23, vcc_lo, s3, v21, vcc_lo
	v_add_co_u32 v25, vcc_lo, v18, s2
	v_add_co_ci_u32_e32 v26, vcc_lo, s3, v19, vcc_lo
	s_add_u32 s4, s2, 1
	s_clause 0x1
	global_load_u8 v22, v[22:23], off
	global_load_u8 v23, v[25:26], off
	s_addc_u32 s5, s3, 0
	s_and_not1_b32 s29, s29, exec_lo
	s_waitcnt vmcnt(0)
	v_cmp_ne_u16_e32 vcc_lo, v22, v23
	s_and_b32 s30, vcc_lo, exec_lo
	s_delay_alu instid0(SALU_CYCLE_1)
	s_or_b32 s29, s29, s30
.LBB193_224:                            ;   in Loop: Header=BB193_225 Depth=1
	v_dual_mov_b32 v23, s3 :: v_dual_mov_b32 v22, s2
	s_and_b32 s30, exec_lo, s29
	s_mov_b64 s[2:3], s[4:5]
	s_or_b32 s26, s30, s26
	s_delay_alu instid0(SALU_CYCLE_1)
	s_and_not1_b32 exec_lo, exec_lo, s26
	s_cbranch_execz .LBB193_227
.LBB193_225:                            ; =>This Inner Loop Header: Depth=1
	s_or_b32 s29, s29, exec_lo
	s_cmp_eq_u64 s[22:23], s[2:3]
	s_cbranch_scc0 .LBB193_223
; %bb.226:                              ;   in Loop: Header=BB193_225 Depth=1
	s_mov_b64 s[2:3], s[22:23]
                                        ; implicit-def: $sgpr4_sgpr5
	s_branch .LBB193_224
.LBB193_227:
	s_set_inst_prefetch_distance 0x2
	s_or_b32 exec_lo, exec_lo, s26
	v_cmp_gt_i64_e32 vcc_lo, s[22:23], v[22:23]
	s_or_not1_b32 s26, vcc_lo, exec_lo
.LBB193_228:
	s_or_b32 exec_lo, exec_lo, s28
.LBB193_229:
	v_mul_lo_u32 v18, v10, s22
	v_mul_lo_u32 v21, v9, s23
	v_mad_u64_u32 v[19:20], null, v9, s22, 0
	s_mov_b32 s28, 0
	s_and_not1_b32 vcc_lo, exec_lo, s7
	s_mov_b32 s29, 0
	s_delay_alu instid0(VALU_DEP_1)
	v_add3_u32 v26, v20, v21, v18
	s_cbranch_vccnz .LBB193_238
; %bb.230:
	s_delay_alu instid0(VALU_DEP_2) | instskip(NEXT) | instid1(VALU_DEP_2)
	v_add_co_u32 v20, vcc_lo, s8, v19
	v_add_co_ci_u32_e32 v21, vcc_lo, s9, v26, vcc_lo
	v_add_co_u32 v17, vcc_lo, s8, v17
	v_add_co_ci_u32_e32 v18, vcc_lo, s9, v24, vcc_lo
	s_mov_b32 s29, -1
	s_clause 0x1
	global_load_u8 v22, v[20:21], off
	global_load_u8 v23, v[17:18], off
	s_mov_b32 s30, exec_lo
	s_waitcnt vmcnt(0)
	v_cmpx_eq_u16_e64 v22, v23
	s_cbranch_execz .LBB193_237
; %bb.231:
	s_mov_b64 s[2:3], 1
	s_mov_b32 s29, 0
                                        ; implicit-def: $sgpr31
	s_set_inst_prefetch_distance 0x1
	s_branch .LBB193_234
	.p2align	6
.LBB193_232:                            ;   in Loop: Header=BB193_234 Depth=1
	v_add_co_u32 v22, vcc_lo, v20, s2
	v_add_co_ci_u32_e32 v23, vcc_lo, s3, v21, vcc_lo
	v_add_co_u32 v24, vcc_lo, v17, s2
	v_add_co_ci_u32_e32 v25, vcc_lo, s3, v18, vcc_lo
	s_add_u32 s4, s2, 1
	s_clause 0x1
	global_load_u8 v22, v[22:23], off
	global_load_u8 v23, v[24:25], off
	s_addc_u32 s5, s3, 0
	s_and_not1_b32 s31, s31, exec_lo
	s_waitcnt vmcnt(0)
	v_cmp_ne_u16_e32 vcc_lo, v22, v23
	s_and_b32 s33, vcc_lo, exec_lo
	s_delay_alu instid0(SALU_CYCLE_1)
	s_or_b32 s31, s31, s33
.LBB193_233:                            ;   in Loop: Header=BB193_234 Depth=1
	v_dual_mov_b32 v23, s3 :: v_dual_mov_b32 v22, s2
	s_and_b32 s33, exec_lo, s31
	s_mov_b64 s[2:3], s[4:5]
	s_or_b32 s29, s33, s29
	s_delay_alu instid0(SALU_CYCLE_1)
	s_and_not1_b32 exec_lo, exec_lo, s29
	s_cbranch_execz .LBB193_236
.LBB193_234:                            ; =>This Inner Loop Header: Depth=1
	s_or_b32 s31, s31, exec_lo
	s_cmp_eq_u64 s[22:23], s[2:3]
	s_cbranch_scc0 .LBB193_232
; %bb.235:                              ;   in Loop: Header=BB193_234 Depth=1
	s_mov_b64 s[2:3], s[22:23]
                                        ; implicit-def: $sgpr4_sgpr5
	s_branch .LBB193_233
.LBB193_236:
	s_set_inst_prefetch_distance 0x2
	s_or_b32 exec_lo, exec_lo, s29
	v_cmp_gt_i64_e32 vcc_lo, s[22:23], v[22:23]
	s_or_not1_b32 s29, vcc_lo, exec_lo
.LBB193_237:
	s_or_b32 exec_lo, exec_lo, s30
.LBB193_238:
	v_mul_lo_u32 v20, v16, s22
	v_mul_lo_u32 v21, v15, s23
	v_mad_u64_u32 v[17:18], null, v15, s22, 0
	s_and_not1_b32 vcc_lo, exec_lo, s7
	s_delay_alu instid0(VALU_DEP_1)
	v_add3_u32 v25, v18, v21, v20
	s_cbranch_vccnz .LBB193_247
; %bb.239:
	s_delay_alu instid0(VALU_DEP_2) | instskip(NEXT) | instid1(VALU_DEP_2)
	v_add_co_u32 v20, vcc_lo, s8, v17
	v_add_co_ci_u32_e32 v21, vcc_lo, s9, v25, vcc_lo
	v_add_co_u32 v18, vcc_lo, s8, v19
	v_add_co_ci_u32_e32 v19, vcc_lo, s9, v26, vcc_lo
	s_mov_b32 s28, -1
	s_clause 0x1
	global_load_u8 v22, v[20:21], off
	global_load_u8 v23, v[18:19], off
	s_mov_b32 s30, exec_lo
	s_waitcnt vmcnt(0)
	v_cmpx_eq_u16_e64 v22, v23
	s_cbranch_execz .LBB193_246
; %bb.240:
	s_mov_b64 s[2:3], 1
	s_mov_b32 s28, 0
                                        ; implicit-def: $sgpr31
	s_set_inst_prefetch_distance 0x1
	s_branch .LBB193_243
	.p2align	6
.LBB193_241:                            ;   in Loop: Header=BB193_243 Depth=1
	v_add_co_u32 v22, vcc_lo, v20, s2
	v_add_co_ci_u32_e32 v23, vcc_lo, s3, v21, vcc_lo
	v_add_co_u32 v26, vcc_lo, v18, s2
	v_add_co_ci_u32_e32 v27, vcc_lo, s3, v19, vcc_lo
	s_add_u32 s4, s2, 1
	s_clause 0x1
	global_load_u8 v22, v[22:23], off
	global_load_u8 v23, v[26:27], off
	s_addc_u32 s5, s3, 0
	s_and_not1_b32 s31, s31, exec_lo
	s_waitcnt vmcnt(0)
	v_cmp_ne_u16_e32 vcc_lo, v22, v23
	s_and_b32 s33, vcc_lo, exec_lo
	s_delay_alu instid0(SALU_CYCLE_1)
	s_or_b32 s31, s31, s33
.LBB193_242:                            ;   in Loop: Header=BB193_243 Depth=1
	v_dual_mov_b32 v23, s3 :: v_dual_mov_b32 v22, s2
	s_and_b32 s33, exec_lo, s31
	s_mov_b64 s[2:3], s[4:5]
	s_or_b32 s28, s33, s28
	s_delay_alu instid0(SALU_CYCLE_1)
	s_and_not1_b32 exec_lo, exec_lo, s28
	s_cbranch_execz .LBB193_245
.LBB193_243:                            ; =>This Inner Loop Header: Depth=1
	s_or_b32 s31, s31, exec_lo
	s_cmp_eq_u64 s[22:23], s[2:3]
	s_cbranch_scc0 .LBB193_241
; %bb.244:                              ;   in Loop: Header=BB193_243 Depth=1
	s_mov_b64 s[2:3], s[22:23]
                                        ; implicit-def: $sgpr4_sgpr5
	s_branch .LBB193_242
.LBB193_245:
	s_set_inst_prefetch_distance 0x2
	s_or_b32 exec_lo, exec_lo, s28
	v_cmp_gt_i64_e32 vcc_lo, s[22:23], v[22:23]
	s_or_not1_b32 s28, vcc_lo, exec_lo
.LBB193_246:
	s_or_b32 exec_lo, exec_lo, s30
.LBB193_247:
	v_mul_lo_u32 v18, v14, s22
	v_mul_lo_u32 v21, v13, s23
	v_mad_u64_u32 v[19:20], null, v13, s22, 0
	s_and_not1_b32 vcc_lo, exec_lo, s7
	s_mov_b32 s2, 0
	s_delay_alu instid0(VALU_DEP_1)
	v_add3_u32 v24, v20, v21, v18
	s_cbranch_vccnz .LBB193_256
; %bb.248:
	s_delay_alu instid0(VALU_DEP_2) | instskip(NEXT) | instid1(VALU_DEP_2)
	v_add_co_u32 v20, vcc_lo, s8, v19
	v_add_co_ci_u32_e32 v21, vcc_lo, s9, v24, vcc_lo
	v_add_co_u32 v17, vcc_lo, s8, v17
	v_add_co_ci_u32_e32 v18, vcc_lo, s9, v25, vcc_lo
	s_mov_b32 s2, -1
	s_clause 0x1
	global_load_u8 v22, v[20:21], off
	global_load_u8 v23, v[17:18], off
	s_mov_b32 s30, exec_lo
	s_waitcnt vmcnt(0)
	v_cmpx_eq_u16_e64 v22, v23
	s_cbranch_execz .LBB193_255
; %bb.249:
	s_mov_b64 s[2:3], 1
	s_mov_b32 s31, 0
                                        ; implicit-def: $sgpr33
	s_set_inst_prefetch_distance 0x1
	s_branch .LBB193_252
	.p2align	6
.LBB193_250:                            ;   in Loop: Header=BB193_252 Depth=1
	v_add_co_u32 v22, vcc_lo, v20, s2
	v_add_co_ci_u32_e32 v23, vcc_lo, s3, v21, vcc_lo
	v_add_co_u32 v25, vcc_lo, v17, s2
	v_add_co_ci_u32_e32 v26, vcc_lo, s3, v18, vcc_lo
	s_add_u32 s4, s2, 1
	s_clause 0x1
	global_load_u8 v22, v[22:23], off
	global_load_u8 v23, v[25:26], off
	s_addc_u32 s5, s3, 0
	s_and_not1_b32 s33, s33, exec_lo
	s_waitcnt vmcnt(0)
	v_cmp_ne_u16_e32 vcc_lo, v22, v23
	s_and_b32 s34, vcc_lo, exec_lo
	s_delay_alu instid0(SALU_CYCLE_1)
	s_or_b32 s33, s33, s34
.LBB193_251:                            ;   in Loop: Header=BB193_252 Depth=1
	v_dual_mov_b32 v23, s3 :: v_dual_mov_b32 v22, s2
	s_and_b32 s34, exec_lo, s33
	s_mov_b64 s[2:3], s[4:5]
	s_or_b32 s31, s34, s31
	s_delay_alu instid0(SALU_CYCLE_1)
	s_and_not1_b32 exec_lo, exec_lo, s31
	s_cbranch_execz .LBB193_254
.LBB193_252:                            ; =>This Inner Loop Header: Depth=1
	s_or_b32 s33, s33, exec_lo
	s_cmp_eq_u64 s[22:23], s[2:3]
	s_cbranch_scc0 .LBB193_250
; %bb.253:                              ;   in Loop: Header=BB193_252 Depth=1
	s_mov_b64 s[2:3], s[22:23]
                                        ; implicit-def: $sgpr4_sgpr5
	s_branch .LBB193_251
.LBB193_254:
	s_set_inst_prefetch_distance 0x2
	s_or_b32 exec_lo, exec_lo, s31
	v_cmp_gt_i64_e32 vcc_lo, s[22:23], v[22:23]
	s_or_not1_b32 s2, vcc_lo, exec_lo
.LBB193_255:
	s_or_b32 exec_lo, exec_lo, s30
.LBB193_256:
	v_cndmask_b32_e64 v18, 0, 1, s29
	v_cndmask_b32_e64 v20, 0, 1, s27
	v_cndmask_b32_e64 v21, 0, 1, s25
	v_cndmask_b32_e64 v22, 0, 1, s2
	v_cndmask_b32_e64 v17, 0, 1, s28
	v_cndmask_b32_e64 v23, 0, 1, s26
	v_cndmask_b32_e64 v25, 0, 1, s24
	v_lshlrev_b16 v20, 8, v20
	v_lshlrev_b16 v21, 8, v21
	;; [unrolled: 1-line block ×4, first 2 shown]
	s_delay_alu instid0(VALU_DEP_4) | instskip(NEXT) | instid1(VALU_DEP_4)
	v_or_b32_e32 v20, v23, v20
	v_or_b32_e32 v21, v25, v21
	s_delay_alu instid0(VALU_DEP_4) | instskip(NEXT) | instid1(VALU_DEP_4)
	v_or_b32_e32 v22, 1, v22
	v_or_b32_e32 v17, v17, v18
	s_barrier
	v_and_b32_e32 v18, 0xffff, v20
	v_lshlrev_b32_e32 v20, 16, v21
	v_and_b32_e32 v21, 0xffff, v22
	v_lshlrev_b32_e32 v17, 16, v17
	buffer_gl0_inv
                                        ; implicit-def: $sgpr2
	s_mov_b32 s3, exec_lo
	v_or_b32_e32 v18, v18, v20
	v_or_b32_e32 v17, v21, v17
	v_cmpx_ne_u32_e32 0, v0
	s_xor_b32 s24, exec_lo, s3
	s_cbranch_execz .LBB193_267
; %bb.257:
	s_and_not1_b32 vcc_lo, exec_lo, s7
	s_mov_b32 s2, 0
	s_cbranch_vccnz .LBB193_266
; %bb.258:
	v_add_nc_u32_e32 v20, -8, v39
	s_mov_b32 s2, -1
	s_mov_b32 s25, exec_lo
	ds_load_b64 v[22:23], v20
	s_waitcnt lgkmcnt(0)
	v_mul_lo_u32 v25, v22, s23
	v_mul_lo_u32 v23, v23, s22
	v_mad_u64_u32 v[20:21], null, v22, s22, s[8:9]
	v_add_co_u32 v22, vcc_lo, s8, v19
	s_delay_alu instid0(VALU_DEP_2)
	v_add3_u32 v21, v23, v21, v25
	v_add_co_ci_u32_e32 v23, vcc_lo, s9, v24, vcc_lo
	s_clause 0x1
	global_load_u8 v19, v[20:21], off
	global_load_u8 v24, v[22:23], off
	s_waitcnt vmcnt(0)
	v_cmpx_eq_u16_e64 v19, v24
	s_cbranch_execz .LBB193_265
; %bb.259:
	s_mov_b64 s[2:3], 1
	s_mov_b32 s26, 0
                                        ; implicit-def: $sgpr27
	s_set_inst_prefetch_distance 0x1
	s_branch .LBB193_262
	.p2align	6
.LBB193_260:                            ;   in Loop: Header=BB193_262 Depth=1
	v_add_co_u32 v24, vcc_lo, v20, s2
	v_add_co_ci_u32_e32 v25, vcc_lo, s3, v21, vcc_lo
	v_add_co_u32 v26, vcc_lo, v22, s2
	v_add_co_ci_u32_e32 v27, vcc_lo, s3, v23, vcc_lo
	s_add_u32 s4, s2, 1
	s_clause 0x1
	global_load_u8 v19, v[24:25], off
	global_load_u8 v24, v[26:27], off
	s_addc_u32 s5, s3, 0
	s_and_not1_b32 s27, s27, exec_lo
	s_waitcnt vmcnt(0)
	v_cmp_ne_u16_e32 vcc_lo, v19, v24
	s_and_b32 s28, vcc_lo, exec_lo
	s_delay_alu instid0(SALU_CYCLE_1)
	s_or_b32 s27, s27, s28
.LBB193_261:                            ;   in Loop: Header=BB193_262 Depth=1
	v_dual_mov_b32 v25, s3 :: v_dual_mov_b32 v24, s2
	s_and_b32 s28, exec_lo, s27
	s_mov_b64 s[2:3], s[4:5]
	s_or_b32 s26, s28, s26
	s_delay_alu instid0(SALU_CYCLE_1)
	s_and_not1_b32 exec_lo, exec_lo, s26
	s_cbranch_execz .LBB193_264
.LBB193_262:                            ; =>This Inner Loop Header: Depth=1
	s_or_b32 s27, s27, exec_lo
	s_cmp_eq_u64 s[22:23], s[2:3]
	s_cbranch_scc0 .LBB193_260
; %bb.263:                              ;   in Loop: Header=BB193_262 Depth=1
	s_mov_b64 s[2:3], s[22:23]
                                        ; implicit-def: $sgpr4_sgpr5
	s_branch .LBB193_261
.LBB193_264:
	s_set_inst_prefetch_distance 0x2
	s_or_b32 exec_lo, exec_lo, s26
	v_cmp_gt_i64_e32 vcc_lo, s[22:23], v[24:25]
	s_or_not1_b32 s2, vcc_lo, exec_lo
.LBB193_265:
	s_or_b32 exec_lo, exec_lo, s25
.LBB193_266:
	s_delay_alu instid0(SALU_CYCLE_1)
	s_and_b32 s2, s2, exec_lo
	s_or_b32 s6, s6, exec_lo
.LBB193_267:
	s_or_b32 exec_lo, exec_lo, s24
	s_branch .LBB193_359
.LBB193_268:
	v_or_b32_e32 v17, 7, v39
	s_mov_b32 s24, 0
	s_mov_b32 s25, 0
	s_mov_b32 s26, exec_lo
	s_delay_alu instid0(VALU_DEP_1)
	v_cmpx_gt_u32_e64 s20, v17
	s_cbranch_execz .LBB193_279
; %bb.269:
	s_and_not1_b32 vcc_lo, exec_lo, s7
	s_mov_b32 s2, 0
	s_cbranch_vccnz .LBB193_278
; %bb.270:
	v_mad_u64_u32 v[17:18], null, v1, s22, s[8:9]
	s_waitcnt lgkmcnt(0)
	v_mul_lo_u32 v21, v1, s23
	v_mul_lo_u32 v22, v2, s22
	v_mad_u64_u32 v[19:20], null, v3, s22, s[8:9]
	v_mul_lo_u32 v23, v3, s23
	v_mul_lo_u32 v24, v4, s22
	s_mov_b32 s2, -1
	s_mov_b32 s25, exec_lo
	s_delay_alu instid0(VALU_DEP_4) | instskip(NEXT) | instid1(VALU_DEP_2)
	v_add3_u32 v18, v22, v18, v21
	v_add3_u32 v20, v24, v20, v23
	s_clause 0x1
	global_load_u8 v21, v[17:18], off
	global_load_u8 v22, v[19:20], off
	s_waitcnt vmcnt(0)
	v_cmpx_eq_u16_e64 v21, v22
	s_cbranch_execz .LBB193_277
; %bb.271:
	s_mov_b64 s[2:3], 1
	s_mov_b32 s27, 0
                                        ; implicit-def: $sgpr28
	s_set_inst_prefetch_distance 0x1
	s_branch .LBB193_274
	.p2align	6
.LBB193_272:                            ;   in Loop: Header=BB193_274 Depth=1
	v_add_co_u32 v21, vcc_lo, v17, s2
	v_add_co_ci_u32_e32 v22, vcc_lo, s3, v18, vcc_lo
	v_add_co_u32 v23, vcc_lo, v19, s2
	v_add_co_ci_u32_e32 v24, vcc_lo, s3, v20, vcc_lo
	s_add_u32 s4, s2, 1
	s_clause 0x1
	global_load_u8 v21, v[21:22], off
	global_load_u8 v22, v[23:24], off
	s_addc_u32 s5, s3, 0
	s_and_not1_b32 s28, s28, exec_lo
	s_waitcnt vmcnt(0)
	v_cmp_ne_u16_e32 vcc_lo, v21, v22
	s_and_b32 s29, vcc_lo, exec_lo
	s_delay_alu instid0(SALU_CYCLE_1)
	s_or_b32 s28, s28, s29
.LBB193_273:                            ;   in Loop: Header=BB193_274 Depth=1
	v_dual_mov_b32 v22, s3 :: v_dual_mov_b32 v21, s2
	s_and_b32 s29, exec_lo, s28
	s_mov_b64 s[2:3], s[4:5]
	s_or_b32 s27, s29, s27
	s_delay_alu instid0(SALU_CYCLE_1)
	s_and_not1_b32 exec_lo, exec_lo, s27
	s_cbranch_execz .LBB193_276
.LBB193_274:                            ; =>This Inner Loop Header: Depth=1
	s_or_b32 s28, s28, exec_lo
	s_cmp_eq_u64 s[22:23], s[2:3]
	s_cbranch_scc0 .LBB193_272
; %bb.275:                              ;   in Loop: Header=BB193_274 Depth=1
	s_mov_b64 s[2:3], s[22:23]
                                        ; implicit-def: $sgpr4_sgpr5
	s_branch .LBB193_273
.LBB193_276:
	s_set_inst_prefetch_distance 0x2
	s_or_b32 exec_lo, exec_lo, s27
	v_cmp_gt_i64_e32 vcc_lo, s[22:23], v[21:22]
	s_or_not1_b32 s2, vcc_lo, exec_lo
.LBB193_277:
	s_or_b32 exec_lo, exec_lo, s25
.LBB193_278:
	s_delay_alu instid0(SALU_CYCLE_1)
	s_and_b32 s25, s2, exec_lo
.LBB193_279:
	s_or_b32 exec_lo, exec_lo, s26
	v_or_b32_e32 v17, 6, v39
	s_mov_b32 s26, exec_lo
	s_delay_alu instid0(VALU_DEP_1)
	v_cmpx_gt_u32_e64 s20, v17
	s_cbranch_execz .LBB193_290
; %bb.280:
	s_and_not1_b32 vcc_lo, exec_lo, s7
	s_mov_b32 s2, 0
	s_cbranch_vccnz .LBB193_289
; %bb.281:
	v_mad_u64_u32 v[17:18], null, v7, s22, s[8:9]
	s_waitcnt lgkmcnt(0)
	v_mul_lo_u32 v21, v7, s23
	v_mul_lo_u32 v22, v8, s22
	v_mad_u64_u32 v[19:20], null, v1, s22, s[8:9]
	v_mul_lo_u32 v23, v1, s23
	v_mul_lo_u32 v24, v2, s22
	s_mov_b32 s2, -1
	s_mov_b32 s24, exec_lo
	s_delay_alu instid0(VALU_DEP_4) | instskip(NEXT) | instid1(VALU_DEP_2)
	v_add3_u32 v18, v22, v18, v21
	v_add3_u32 v20, v24, v20, v23
	s_clause 0x1
	global_load_u8 v21, v[17:18], off
	global_load_u8 v22, v[19:20], off
	s_waitcnt vmcnt(0)
	v_cmpx_eq_u16_e64 v21, v22
	s_cbranch_execz .LBB193_288
; %bb.282:
	s_mov_b64 s[2:3], 1
	s_mov_b32 s27, 0
                                        ; implicit-def: $sgpr28
	s_set_inst_prefetch_distance 0x1
	s_branch .LBB193_285
	.p2align	6
.LBB193_283:                            ;   in Loop: Header=BB193_285 Depth=1
	v_add_co_u32 v21, vcc_lo, v17, s2
	v_add_co_ci_u32_e32 v22, vcc_lo, s3, v18, vcc_lo
	v_add_co_u32 v23, vcc_lo, v19, s2
	v_add_co_ci_u32_e32 v24, vcc_lo, s3, v20, vcc_lo
	s_add_u32 s4, s2, 1
	s_clause 0x1
	global_load_u8 v21, v[21:22], off
	global_load_u8 v22, v[23:24], off
	s_addc_u32 s5, s3, 0
	s_and_not1_b32 s28, s28, exec_lo
	s_waitcnt vmcnt(0)
	v_cmp_ne_u16_e32 vcc_lo, v21, v22
	s_and_b32 s29, vcc_lo, exec_lo
	s_delay_alu instid0(SALU_CYCLE_1)
	s_or_b32 s28, s28, s29
.LBB193_284:                            ;   in Loop: Header=BB193_285 Depth=1
	v_dual_mov_b32 v22, s3 :: v_dual_mov_b32 v21, s2
	s_and_b32 s29, exec_lo, s28
	s_mov_b64 s[2:3], s[4:5]
	s_or_b32 s27, s29, s27
	s_delay_alu instid0(SALU_CYCLE_1)
	s_and_not1_b32 exec_lo, exec_lo, s27
	s_cbranch_execz .LBB193_287
.LBB193_285:                            ; =>This Inner Loop Header: Depth=1
	s_or_b32 s28, s28, exec_lo
	s_cmp_eq_u64 s[22:23], s[2:3]
	s_cbranch_scc0 .LBB193_283
; %bb.286:                              ;   in Loop: Header=BB193_285 Depth=1
	s_mov_b64 s[2:3], s[22:23]
                                        ; implicit-def: $sgpr4_sgpr5
	s_branch .LBB193_284
.LBB193_287:
	s_set_inst_prefetch_distance 0x2
	s_or_b32 exec_lo, exec_lo, s27
	v_cmp_gt_i64_e32 vcc_lo, s[22:23], v[21:22]
	s_or_not1_b32 s2, vcc_lo, exec_lo
.LBB193_288:
	s_or_b32 exec_lo, exec_lo, s24
.LBB193_289:
	s_delay_alu instid0(SALU_CYCLE_1)
	s_and_b32 s24, s2, exec_lo
.LBB193_290:
	s_or_b32 exec_lo, exec_lo, s26
	v_or_b32_e32 v17, 5, v39
	s_mov_b32 s26, 0
	s_mov_b32 s27, 0
	s_mov_b32 s28, exec_lo
	s_delay_alu instid0(VALU_DEP_1)
	v_cmpx_gt_u32_e64 s20, v17
	s_cbranch_execz .LBB193_301
; %bb.291:
	s_and_not1_b32 vcc_lo, exec_lo, s7
	s_mov_b32 s2, 0
	s_cbranch_vccnz .LBB193_300
; %bb.292:
	v_mad_u64_u32 v[17:18], null, v5, s22, s[8:9]
	s_waitcnt lgkmcnt(0)
	v_mul_lo_u32 v21, v5, s23
	v_mul_lo_u32 v22, v6, s22
	v_mad_u64_u32 v[19:20], null, v7, s22, s[8:9]
	v_mul_lo_u32 v23, v7, s23
	v_mul_lo_u32 v24, v8, s22
	s_mov_b32 s2, -1
	s_mov_b32 s27, exec_lo
	s_delay_alu instid0(VALU_DEP_4) | instskip(NEXT) | instid1(VALU_DEP_2)
	v_add3_u32 v18, v22, v18, v21
	v_add3_u32 v20, v24, v20, v23
	s_clause 0x1
	global_load_u8 v21, v[17:18], off
	global_load_u8 v22, v[19:20], off
	s_waitcnt vmcnt(0)
	v_cmpx_eq_u16_e64 v21, v22
	s_cbranch_execz .LBB193_299
; %bb.293:
	s_mov_b64 s[2:3], 1
	s_mov_b32 s29, 0
                                        ; implicit-def: $sgpr30
	s_set_inst_prefetch_distance 0x1
	s_branch .LBB193_296
	.p2align	6
.LBB193_294:                            ;   in Loop: Header=BB193_296 Depth=1
	v_add_co_u32 v21, vcc_lo, v17, s2
	v_add_co_ci_u32_e32 v22, vcc_lo, s3, v18, vcc_lo
	v_add_co_u32 v23, vcc_lo, v19, s2
	v_add_co_ci_u32_e32 v24, vcc_lo, s3, v20, vcc_lo
	s_add_u32 s4, s2, 1
	s_clause 0x1
	global_load_u8 v21, v[21:22], off
	global_load_u8 v22, v[23:24], off
	s_addc_u32 s5, s3, 0
	s_and_not1_b32 s30, s30, exec_lo
	s_waitcnt vmcnt(0)
	v_cmp_ne_u16_e32 vcc_lo, v21, v22
	s_and_b32 s31, vcc_lo, exec_lo
	s_delay_alu instid0(SALU_CYCLE_1)
	s_or_b32 s30, s30, s31
.LBB193_295:                            ;   in Loop: Header=BB193_296 Depth=1
	v_dual_mov_b32 v22, s3 :: v_dual_mov_b32 v21, s2
	s_and_b32 s31, exec_lo, s30
	s_mov_b64 s[2:3], s[4:5]
	s_or_b32 s29, s31, s29
	s_delay_alu instid0(SALU_CYCLE_1)
	s_and_not1_b32 exec_lo, exec_lo, s29
	s_cbranch_execz .LBB193_298
.LBB193_296:                            ; =>This Inner Loop Header: Depth=1
	s_or_b32 s30, s30, exec_lo
	s_cmp_eq_u64 s[22:23], s[2:3]
	s_cbranch_scc0 .LBB193_294
; %bb.297:                              ;   in Loop: Header=BB193_296 Depth=1
	s_mov_b64 s[2:3], s[22:23]
                                        ; implicit-def: $sgpr4_sgpr5
	s_branch .LBB193_295
.LBB193_298:
	s_set_inst_prefetch_distance 0x2
	s_or_b32 exec_lo, exec_lo, s29
	v_cmp_gt_i64_e32 vcc_lo, s[22:23], v[21:22]
	s_or_not1_b32 s2, vcc_lo, exec_lo
.LBB193_299:
	s_or_b32 exec_lo, exec_lo, s27
.LBB193_300:
	s_delay_alu instid0(SALU_CYCLE_1)
	s_and_b32 s27, s2, exec_lo
.LBB193_301:
	s_or_b32 exec_lo, exec_lo, s28
	v_or_b32_e32 v17, 4, v39
	s_mov_b32 s28, exec_lo
	s_delay_alu instid0(VALU_DEP_1)
	v_cmpx_gt_u32_e64 s20, v17
	s_cbranch_execz .LBB193_312
; %bb.302:
	s_and_not1_b32 vcc_lo, exec_lo, s7
	s_mov_b32 s2, 0
	s_cbranch_vccnz .LBB193_311
; %bb.303:
	v_mad_u64_u32 v[17:18], null, v11, s22, s[8:9]
	s_waitcnt lgkmcnt(0)
	v_mul_lo_u32 v21, v11, s23
	v_mul_lo_u32 v22, v12, s22
	v_mad_u64_u32 v[19:20], null, v5, s22, s[8:9]
	v_mul_lo_u32 v23, v5, s23
	v_mul_lo_u32 v24, v6, s22
	s_mov_b32 s2, -1
	s_mov_b32 s26, exec_lo
	s_delay_alu instid0(VALU_DEP_4) | instskip(NEXT) | instid1(VALU_DEP_2)
	v_add3_u32 v18, v22, v18, v21
	v_add3_u32 v20, v24, v20, v23
	s_clause 0x1
	global_load_u8 v21, v[17:18], off
	global_load_u8 v22, v[19:20], off
	s_waitcnt vmcnt(0)
	v_cmpx_eq_u16_e64 v21, v22
	s_cbranch_execz .LBB193_310
; %bb.304:
	s_mov_b64 s[2:3], 1
	s_mov_b32 s29, 0
                                        ; implicit-def: $sgpr30
	s_set_inst_prefetch_distance 0x1
	s_branch .LBB193_307
	.p2align	6
.LBB193_305:                            ;   in Loop: Header=BB193_307 Depth=1
	v_add_co_u32 v21, vcc_lo, v17, s2
	v_add_co_ci_u32_e32 v22, vcc_lo, s3, v18, vcc_lo
	v_add_co_u32 v23, vcc_lo, v19, s2
	v_add_co_ci_u32_e32 v24, vcc_lo, s3, v20, vcc_lo
	s_add_u32 s4, s2, 1
	s_clause 0x1
	global_load_u8 v21, v[21:22], off
	global_load_u8 v22, v[23:24], off
	s_addc_u32 s5, s3, 0
	s_and_not1_b32 s30, s30, exec_lo
	s_waitcnt vmcnt(0)
	v_cmp_ne_u16_e32 vcc_lo, v21, v22
	s_and_b32 s31, vcc_lo, exec_lo
	s_delay_alu instid0(SALU_CYCLE_1)
	s_or_b32 s30, s30, s31
.LBB193_306:                            ;   in Loop: Header=BB193_307 Depth=1
	v_dual_mov_b32 v22, s3 :: v_dual_mov_b32 v21, s2
	s_and_b32 s31, exec_lo, s30
	s_mov_b64 s[2:3], s[4:5]
	s_or_b32 s29, s31, s29
	s_delay_alu instid0(SALU_CYCLE_1)
	s_and_not1_b32 exec_lo, exec_lo, s29
	s_cbranch_execz .LBB193_309
.LBB193_307:                            ; =>This Inner Loop Header: Depth=1
	s_or_b32 s30, s30, exec_lo
	s_cmp_eq_u64 s[22:23], s[2:3]
	s_cbranch_scc0 .LBB193_305
; %bb.308:                              ;   in Loop: Header=BB193_307 Depth=1
	s_mov_b64 s[2:3], s[22:23]
                                        ; implicit-def: $sgpr4_sgpr5
	s_branch .LBB193_306
.LBB193_309:
	s_set_inst_prefetch_distance 0x2
	s_or_b32 exec_lo, exec_lo, s29
	v_cmp_gt_i64_e32 vcc_lo, s[22:23], v[21:22]
	s_or_not1_b32 s2, vcc_lo, exec_lo
.LBB193_310:
	s_or_b32 exec_lo, exec_lo, s26
.LBB193_311:
	s_delay_alu instid0(SALU_CYCLE_1)
	s_and_b32 s26, s2, exec_lo
.LBB193_312:
	s_or_b32 exec_lo, exec_lo, s28
	v_or_b32_e32 v17, 3, v39
	s_mov_b32 s29, 0
	s_mov_b32 s28, 0
	s_mov_b32 s30, exec_lo
	s_delay_alu instid0(VALU_DEP_1)
	v_cmpx_gt_u32_e64 s20, v17
	s_cbranch_execz .LBB193_323
; %bb.313:
	s_and_not1_b32 vcc_lo, exec_lo, s7
	s_mov_b32 s2, 0
	s_cbranch_vccnz .LBB193_322
; %bb.314:
	v_mad_u64_u32 v[17:18], null, v9, s22, s[8:9]
	s_waitcnt lgkmcnt(0)
	v_mul_lo_u32 v21, v9, s23
	v_mul_lo_u32 v22, v10, s22
	v_mad_u64_u32 v[19:20], null, v11, s22, s[8:9]
	v_mul_lo_u32 v23, v11, s23
	v_mul_lo_u32 v24, v12, s22
	s_mov_b32 s2, -1
	s_mov_b32 s28, exec_lo
	s_delay_alu instid0(VALU_DEP_4) | instskip(NEXT) | instid1(VALU_DEP_2)
	v_add3_u32 v18, v22, v18, v21
	v_add3_u32 v20, v24, v20, v23
	s_clause 0x1
	global_load_u8 v21, v[17:18], off
	global_load_u8 v22, v[19:20], off
	s_waitcnt vmcnt(0)
	v_cmpx_eq_u16_e64 v21, v22
	s_cbranch_execz .LBB193_321
; %bb.315:
	s_mov_b64 s[2:3], 1
	s_mov_b32 s31, 0
                                        ; implicit-def: $sgpr33
	s_set_inst_prefetch_distance 0x1
	s_branch .LBB193_318
	.p2align	6
.LBB193_316:                            ;   in Loop: Header=BB193_318 Depth=1
	v_add_co_u32 v21, vcc_lo, v17, s2
	v_add_co_ci_u32_e32 v22, vcc_lo, s3, v18, vcc_lo
	v_add_co_u32 v23, vcc_lo, v19, s2
	v_add_co_ci_u32_e32 v24, vcc_lo, s3, v20, vcc_lo
	s_add_u32 s4, s2, 1
	s_clause 0x1
	global_load_u8 v21, v[21:22], off
	global_load_u8 v22, v[23:24], off
	s_addc_u32 s5, s3, 0
	s_and_not1_b32 s33, s33, exec_lo
	s_waitcnt vmcnt(0)
	v_cmp_ne_u16_e32 vcc_lo, v21, v22
	s_and_b32 s34, vcc_lo, exec_lo
	s_delay_alu instid0(SALU_CYCLE_1)
	s_or_b32 s33, s33, s34
.LBB193_317:                            ;   in Loop: Header=BB193_318 Depth=1
	v_dual_mov_b32 v22, s3 :: v_dual_mov_b32 v21, s2
	s_and_b32 s34, exec_lo, s33
	s_mov_b64 s[2:3], s[4:5]
	s_or_b32 s31, s34, s31
	s_delay_alu instid0(SALU_CYCLE_1)
	s_and_not1_b32 exec_lo, exec_lo, s31
	s_cbranch_execz .LBB193_320
.LBB193_318:                            ; =>This Inner Loop Header: Depth=1
	s_or_b32 s33, s33, exec_lo
	s_cmp_eq_u64 s[22:23], s[2:3]
	s_cbranch_scc0 .LBB193_316
; %bb.319:                              ;   in Loop: Header=BB193_318 Depth=1
	s_mov_b64 s[2:3], s[22:23]
                                        ; implicit-def: $sgpr4_sgpr5
	s_branch .LBB193_317
.LBB193_320:
	s_set_inst_prefetch_distance 0x2
	s_or_b32 exec_lo, exec_lo, s31
	v_cmp_gt_i64_e32 vcc_lo, s[22:23], v[21:22]
	s_or_not1_b32 s2, vcc_lo, exec_lo
.LBB193_321:
	s_or_b32 exec_lo, exec_lo, s28
.LBB193_322:
	s_delay_alu instid0(SALU_CYCLE_1)
	s_and_b32 s28, s2, exec_lo
.LBB193_323:
	s_or_b32 exec_lo, exec_lo, s30
	v_or_b32_e32 v17, 2, v39
	s_mov_b32 s30, exec_lo
	s_delay_alu instid0(VALU_DEP_1)
	v_cmpx_gt_u32_e64 s20, v17
	s_cbranch_execz .LBB193_334
; %bb.324:
	s_and_not1_b32 vcc_lo, exec_lo, s7
	s_mov_b32 s2, 0
	s_cbranch_vccnz .LBB193_333
; %bb.325:
	v_mad_u64_u32 v[17:18], null, v15, s22, s[8:9]
	s_waitcnt lgkmcnt(0)
	v_mul_lo_u32 v21, v15, s23
	v_mul_lo_u32 v22, v16, s22
	v_mad_u64_u32 v[19:20], null, v9, s22, s[8:9]
	v_mul_lo_u32 v23, v9, s23
	v_mul_lo_u32 v24, v10, s22
	s_mov_b32 s2, -1
	s_mov_b32 s29, exec_lo
	s_delay_alu instid0(VALU_DEP_4) | instskip(NEXT) | instid1(VALU_DEP_2)
	v_add3_u32 v18, v22, v18, v21
	v_add3_u32 v20, v24, v20, v23
	s_clause 0x1
	global_load_u8 v21, v[17:18], off
	global_load_u8 v22, v[19:20], off
	s_waitcnt vmcnt(0)
	v_cmpx_eq_u16_e64 v21, v22
	s_cbranch_execz .LBB193_332
; %bb.326:
	s_mov_b64 s[2:3], 1
	s_mov_b32 s31, 0
                                        ; implicit-def: $sgpr33
	s_set_inst_prefetch_distance 0x1
	s_branch .LBB193_329
	.p2align	6
.LBB193_327:                            ;   in Loop: Header=BB193_329 Depth=1
	v_add_co_u32 v21, vcc_lo, v17, s2
	v_add_co_ci_u32_e32 v22, vcc_lo, s3, v18, vcc_lo
	v_add_co_u32 v23, vcc_lo, v19, s2
	v_add_co_ci_u32_e32 v24, vcc_lo, s3, v20, vcc_lo
	s_add_u32 s4, s2, 1
	s_clause 0x1
	global_load_u8 v21, v[21:22], off
	global_load_u8 v22, v[23:24], off
	s_addc_u32 s5, s3, 0
	s_and_not1_b32 s33, s33, exec_lo
	s_waitcnt vmcnt(0)
	v_cmp_ne_u16_e32 vcc_lo, v21, v22
	s_and_b32 s34, vcc_lo, exec_lo
	s_delay_alu instid0(SALU_CYCLE_1)
	s_or_b32 s33, s33, s34
.LBB193_328:                            ;   in Loop: Header=BB193_329 Depth=1
	v_dual_mov_b32 v22, s3 :: v_dual_mov_b32 v21, s2
	s_and_b32 s34, exec_lo, s33
	s_mov_b64 s[2:3], s[4:5]
	s_or_b32 s31, s34, s31
	s_delay_alu instid0(SALU_CYCLE_1)
	s_and_not1_b32 exec_lo, exec_lo, s31
	s_cbranch_execz .LBB193_331
.LBB193_329:                            ; =>This Inner Loop Header: Depth=1
	s_or_b32 s33, s33, exec_lo
	s_cmp_eq_u64 s[22:23], s[2:3]
	s_cbranch_scc0 .LBB193_327
; %bb.330:                              ;   in Loop: Header=BB193_329 Depth=1
	s_mov_b64 s[2:3], s[22:23]
                                        ; implicit-def: $sgpr4_sgpr5
	s_branch .LBB193_328
.LBB193_331:
	s_set_inst_prefetch_distance 0x2
	s_or_b32 exec_lo, exec_lo, s31
	v_cmp_gt_i64_e32 vcc_lo, s[22:23], v[21:22]
	s_or_not1_b32 s2, vcc_lo, exec_lo
.LBB193_332:
	s_or_b32 exec_lo, exec_lo, s29
.LBB193_333:
	s_delay_alu instid0(SALU_CYCLE_1)
	s_and_b32 s29, s2, exec_lo
.LBB193_334:
	s_or_b32 exec_lo, exec_lo, s30
	v_or_b32_e32 v17, 1, v39
	s_mov_b32 s2, 0
	s_mov_b32 s30, exec_lo
	s_delay_alu instid0(VALU_DEP_1)
	v_cmpx_gt_u32_e64 s20, v17
	s_cbranch_execz .LBB193_345
; %bb.335:
	s_and_not1_b32 vcc_lo, exec_lo, s7
	s_cbranch_vccnz .LBB193_344
; %bb.336:
	v_mad_u64_u32 v[17:18], null, v13, s22, s[8:9]
	s_waitcnt lgkmcnt(0)
	v_mul_lo_u32 v21, v13, s23
	v_mul_lo_u32 v22, v14, s22
	v_mad_u64_u32 v[19:20], null, v15, s22, s[8:9]
	v_mul_lo_u32 v23, v15, s23
	v_mul_lo_u32 v24, v16, s22
	s_mov_b32 s2, -1
	s_mov_b32 s31, exec_lo
	s_delay_alu instid0(VALU_DEP_4) | instskip(NEXT) | instid1(VALU_DEP_2)
	v_add3_u32 v18, v22, v18, v21
	v_add3_u32 v20, v24, v20, v23
	s_clause 0x1
	global_load_u8 v21, v[17:18], off
	global_load_u8 v22, v[19:20], off
	s_waitcnt vmcnt(0)
	v_cmpx_eq_u16_e64 v21, v22
	s_cbranch_execz .LBB193_343
; %bb.337:
	s_mov_b64 s[2:3], 1
	s_mov_b32 s33, 0
                                        ; implicit-def: $sgpr34
	s_set_inst_prefetch_distance 0x1
	s_branch .LBB193_340
	.p2align	6
.LBB193_338:                            ;   in Loop: Header=BB193_340 Depth=1
	v_add_co_u32 v21, vcc_lo, v17, s2
	v_add_co_ci_u32_e32 v22, vcc_lo, s3, v18, vcc_lo
	v_add_co_u32 v23, vcc_lo, v19, s2
	v_add_co_ci_u32_e32 v24, vcc_lo, s3, v20, vcc_lo
	s_add_u32 s4, s2, 1
	s_clause 0x1
	global_load_u8 v21, v[21:22], off
	global_load_u8 v22, v[23:24], off
	s_addc_u32 s5, s3, 0
	s_and_not1_b32 s34, s34, exec_lo
	s_waitcnt vmcnt(0)
	v_cmp_ne_u16_e32 vcc_lo, v21, v22
	s_and_b32 s35, vcc_lo, exec_lo
	s_delay_alu instid0(SALU_CYCLE_1)
	s_or_b32 s34, s34, s35
.LBB193_339:                            ;   in Loop: Header=BB193_340 Depth=1
	v_dual_mov_b32 v22, s3 :: v_dual_mov_b32 v21, s2
	s_and_b32 s35, exec_lo, s34
	s_mov_b64 s[2:3], s[4:5]
	s_or_b32 s33, s35, s33
	s_delay_alu instid0(SALU_CYCLE_1)
	s_and_not1_b32 exec_lo, exec_lo, s33
	s_cbranch_execz .LBB193_342
.LBB193_340:                            ; =>This Inner Loop Header: Depth=1
	s_or_b32 s34, s34, exec_lo
	s_cmp_eq_u64 s[22:23], s[2:3]
	s_cbranch_scc0 .LBB193_338
; %bb.341:                              ;   in Loop: Header=BB193_340 Depth=1
	s_mov_b64 s[2:3], s[22:23]
                                        ; implicit-def: $sgpr4_sgpr5
	s_branch .LBB193_339
.LBB193_342:
	s_set_inst_prefetch_distance 0x2
	s_or_b32 exec_lo, exec_lo, s33
	v_cmp_gt_i64_e32 vcc_lo, s[22:23], v[21:22]
	s_or_not1_b32 s2, vcc_lo, exec_lo
.LBB193_343:
	s_or_b32 exec_lo, exec_lo, s31
.LBB193_344:
	s_delay_alu instid0(SALU_CYCLE_1)
	s_and_b32 s2, s2, exec_lo
.LBB193_345:
	s_or_b32 exec_lo, exec_lo, s30
	v_cndmask_b32_e64 v18, 0, 1, s28
	s_waitcnt lgkmcnt(0)
	v_cndmask_b32_e64 v19, 0, 1, s27
	v_cndmask_b32_e64 v20, 0, 1, s25
	;; [unrolled: 1-line block ×6, first 2 shown]
	v_lshlrev_b16 v19, 8, v19
	v_lshlrev_b16 v20, 8, v20
	;; [unrolled: 1-line block ×4, first 2 shown]
	s_mov_b32 s24, exec_lo
	v_or_b32_e32 v19, v22, v19
	v_or_b32_e32 v20, v23, v20
	;; [unrolled: 1-line block ×4, first 2 shown]
	s_delay_alu instid0(VALU_DEP_4) | instskip(NEXT) | instid1(VALU_DEP_4)
	v_and_b32_e32 v18, 0xffff, v19
	v_lshlrev_b32_e32 v19, 16, v20
	s_delay_alu instid0(VALU_DEP_4) | instskip(NEXT) | instid1(VALU_DEP_4)
	v_and_b32_e32 v20, 0xffff, v21
	v_lshlrev_b32_e32 v17, 16, v17
	s_barrier
	buffer_gl0_inv
	v_or_b32_e32 v18, v18, v19
                                        ; implicit-def: $sgpr2
	v_or_b32_e32 v17, v20, v17
	v_cmpx_ne_u32_e32 0, v0
	s_cbranch_execz .LBB193_358
; %bb.346:
	s_mov_b32 s2, 0
	s_mov_b32 s25, exec_lo
	v_cmpx_gt_u32_e64 s20, v39
	s_cbranch_execz .LBB193_357
; %bb.347:
	s_and_not1_b32 vcc_lo, exec_lo, s7
	s_cbranch_vccnz .LBB193_356
; %bb.348:
	v_add_nc_u32_e32 v19, -8, v39
	v_mul_lo_u32 v25, v13, s23
	s_mov_b32 s2, -1
	s_mov_b32 s7, exec_lo
	ds_load_b64 v[23:24], v19
	v_mad_u64_u32 v[19:20], null, v13, s22, s[8:9]
	s_waitcnt lgkmcnt(0)
	v_mul_lo_u32 v26, v23, s23
	v_mul_lo_u32 v24, v24, s22
	v_mad_u64_u32 v[21:22], null, v23, s22, s[8:9]
	v_mul_lo_u32 v23, v14, s22
	s_delay_alu instid0(VALU_DEP_2) | instskip(NEXT) | instid1(VALU_DEP_2)
	v_add3_u32 v22, v24, v22, v26
	v_add3_u32 v20, v23, v20, v25
	s_clause 0x1
	global_load_u8 v23, v[21:22], off
	global_load_u8 v24, v[19:20], off
	s_waitcnt vmcnt(0)
	v_cmpx_eq_u16_e64 v23, v24
	s_cbranch_execz .LBB193_355
; %bb.349:
	s_mov_b64 s[2:3], 1
	s_mov_b32 s8, 0
                                        ; implicit-def: $sgpr9
	s_set_inst_prefetch_distance 0x1
	s_branch .LBB193_352
	.p2align	6
.LBB193_350:                            ;   in Loop: Header=BB193_352 Depth=1
	v_add_co_u32 v23, vcc_lo, v21, s2
	v_add_co_ci_u32_e32 v24, vcc_lo, s3, v22, vcc_lo
	v_add_co_u32 v25, vcc_lo, v19, s2
	v_add_co_ci_u32_e32 v26, vcc_lo, s3, v20, vcc_lo
	s_add_u32 s4, s2, 1
	s_clause 0x1
	global_load_u8 v23, v[23:24], off
	global_load_u8 v24, v[25:26], off
	s_addc_u32 s5, s3, 0
	s_and_not1_b32 s9, s9, exec_lo
	s_waitcnt vmcnt(0)
	v_cmp_ne_u16_e32 vcc_lo, v23, v24
	s_and_b32 s26, vcc_lo, exec_lo
	s_delay_alu instid0(SALU_CYCLE_1)
	s_or_b32 s9, s9, s26
.LBB193_351:                            ;   in Loop: Header=BB193_352 Depth=1
	v_dual_mov_b32 v24, s3 :: v_dual_mov_b32 v23, s2
	s_and_b32 s26, exec_lo, s9
	s_mov_b64 s[2:3], s[4:5]
	s_or_b32 s8, s26, s8
	s_delay_alu instid0(SALU_CYCLE_1)
	s_and_not1_b32 exec_lo, exec_lo, s8
	s_cbranch_execz .LBB193_354
.LBB193_352:                            ; =>This Inner Loop Header: Depth=1
	s_or_b32 s9, s9, exec_lo
	s_cmp_eq_u64 s[22:23], s[2:3]
	s_cbranch_scc0 .LBB193_350
; %bb.353:                              ;   in Loop: Header=BB193_352 Depth=1
	s_mov_b64 s[2:3], s[22:23]
                                        ; implicit-def: $sgpr4_sgpr5
	s_branch .LBB193_351
.LBB193_354:
	s_set_inst_prefetch_distance 0x2
	s_or_b32 exec_lo, exec_lo, s8
	v_cmp_gt_i64_e32 vcc_lo, s[22:23], v[23:24]
	s_or_not1_b32 s2, vcc_lo, exec_lo
.LBB193_355:
	s_or_b32 exec_lo, exec_lo, s7
.LBB193_356:
	s_delay_alu instid0(SALU_CYCLE_1)
	s_and_b32 s2, s2, exec_lo
.LBB193_357:
	s_or_b32 exec_lo, exec_lo, s25
	s_delay_alu instid0(SALU_CYCLE_1)
	s_and_b32 s2, s2, exec_lo
	s_or_b32 s6, s6, exec_lo
.LBB193_358:
	s_or_b32 exec_lo, exec_lo, s24
.LBB193_359:
	s_and_saveexec_b32 s3, s6
	s_cbranch_execz .LBB193_361
; %bb.360:
	s_waitcnt lgkmcnt(0)
	v_and_b32_e32 v19, 0xffffff00, v17
	v_cndmask_b32_e64 v20, 0, 1, s2
	s_delay_alu instid0(VALU_DEP_1) | instskip(NEXT) | instid1(VALU_DEP_1)
	v_or_b32_e32 v19, v20, v19
	v_and_b32_e32 v19, 0xffff, v19
	s_delay_alu instid0(VALU_DEP_1)
	v_and_or_b32 v17, 0xffff0000, v17, v19
.LBB193_361:
	s_or_b32 exec_lo, exec_lo, s3
	s_delay_alu instid0(SALU_CYCLE_1)
	s_and_not1_b32 vcc_lo, exec_lo, s19
	s_cbranch_vccnz .LBB193_363
; %bb.362:
	v_cmp_gt_u32_e32 vcc_lo, s20, v39
	s_waitcnt lgkmcnt(0)
	v_or_b32_e32 v20, 1, v39
	v_and_b32_e32 v21, 0xffffff00, v18
	v_or_b32_e32 v22, 2, v39
	v_cndmask_b32_e32 v19, 0, v17, vcc_lo
	s_delay_alu instid0(VALU_DEP_4) | instskip(SKIP_1) | instid1(VALU_DEP_4)
	v_cmp_gt_u32_e32 vcc_lo, s20, v20
	v_or_b32_e32 v20, 4, v39
	v_cmp_gt_u32_e64 s2, s20, v22
	v_or_b32_e32 v22, 3, v39
	v_and_b32_e32 v19, 0xff, v19
	s_delay_alu instid0(VALU_DEP_2) | instskip(NEXT) | instid1(VALU_DEP_2)
	v_cmp_gt_u32_e64 s3, s20, v22
	v_cndmask_b32_e32 v19, v19, v17, vcc_lo
	v_cmp_gt_u32_e32 vcc_lo, s20, v20
	v_cndmask_b32_e32 v20, v21, v18, vcc_lo
	v_or_b32_e32 v21, 5, v39
	s_delay_alu instid0(VALU_DEP_2) | instskip(SKIP_1) | instid1(VALU_DEP_1)
	v_and_b32_e32 v20, 0xffff00ff, v20
	v_and_b32_e32 v19, 0xffff, v19
	v_cndmask_b32_e64 v19, v19, v17, s2
	s_delay_alu instid0(VALU_DEP_4) | instskip(SKIP_1) | instid1(VALU_DEP_3)
	v_cmp_gt_u32_e64 s2, s20, v21
	v_or_b32_e32 v21, 6, v39
	v_and_b32_e32 v19, 0xffffff, v19
	s_delay_alu instid0(VALU_DEP_3) | instskip(NEXT) | instid1(VALU_DEP_2)
	v_cndmask_b32_e64 v20, v20, v18, s2
	v_cndmask_b32_e64 v19, v19, v17, s3
	s_delay_alu instid0(VALU_DEP_1) | instskip(SKIP_2) | instid1(VALU_DEP_3)
	v_dual_cndmask_b32 v19, v19, v17 :: v_dual_and_b32 v20, 0xff00ffff, v20
	v_cmp_gt_u32_e32 vcc_lo, s20, v21
	v_or_b32_e32 v21, 7, v39
	v_cndmask_b32_e64 v19, v19, v17, s2
	s_delay_alu instid0(VALU_DEP_1) | instskip(NEXT) | instid1(VALU_DEP_1)
	v_dual_cndmask_b32 v20, v20, v18 :: v_dual_cndmask_b32 v19, v19, v17
	v_and_b32_e32 v20, 0xffffff, v20
	s_delay_alu instid0(VALU_DEP_4) | instskip(NEXT) | instid1(VALU_DEP_2)
	v_cmp_gt_u32_e32 vcc_lo, s20, v21
	v_dual_cndmask_b32 v18, v20, v18 :: v_dual_cndmask_b32 v17, v19, v17
.LBB193_363:
	s_delay_alu instid0(VALU_DEP_1) | instskip(SKIP_1) | instid1(VALU_DEP_2)
	v_and_b32_e32 v26, 0xff, v17
	s_waitcnt lgkmcnt(0)
	v_alignbit_b32 v19, v18, v17, 24
	v_bfe_u32 v28, v17, 8, 8
	v_bfe_u32 v30, v17, 16, 8
	v_and_b32_e32 v34, 0xff, v18
	v_bfe_u32 v36, v18, 8, 8
	v_and_b32_e32 v32, 0xff, v19
	v_add_nc_u32_e32 v19, v28, v26
	v_mbcnt_lo_u32_b32 v41, -1, 0
	v_bfe_u32 v38, v18, 16, 8
	v_lshrrev_b32_e32 v40, 24, v18
	v_lshrrev_b32_e32 v42, 5, v0
	v_add3_u32 v19, v19, v30, v32
	v_and_b32_e32 v20, 15, v41
	v_and_b32_e32 v21, 16, v41
	s_and_b32 vcc_lo, exec_lo, s21
	s_mov_b32 s19, -1
	v_add3_u32 v19, v19, v34, v36
	v_cmp_eq_u32_e64 s4, 0, v20
	v_cmp_lt_u32_e64 s2, 1, v20
	v_cmp_lt_u32_e64 s5, 3, v20
	;; [unrolled: 1-line block ×3, first 2 shown]
	v_add3_u32 v43, v19, v38, v40
	v_or_b32_e32 v19, 31, v0
	v_cmp_eq_u32_e64 s7, 0, v21
	s_barrier
	buffer_gl0_inv
	v_cmp_eq_u32_e64 s6, v19, v0
	s_cbranch_vccz .LBB193_394
; %bb.364:
	v_mov_b32_dpp v19, v43 row_shr:1 row_mask:0xf bank_mask:0xf
	s_delay_alu instid0(VALU_DEP_1) | instskip(NEXT) | instid1(VALU_DEP_1)
	v_cndmask_b32_e64 v19, v19, 0, s4
	v_add_nc_u32_e32 v19, v19, v43
	s_delay_alu instid0(VALU_DEP_1) | instskip(NEXT) | instid1(VALU_DEP_1)
	v_mov_b32_dpp v20, v19 row_shr:2 row_mask:0xf bank_mask:0xf
	v_cndmask_b32_e64 v20, 0, v20, s2
	s_delay_alu instid0(VALU_DEP_1) | instskip(NEXT) | instid1(VALU_DEP_1)
	v_add_nc_u32_e32 v19, v19, v20
	v_mov_b32_dpp v20, v19 row_shr:4 row_mask:0xf bank_mask:0xf
	s_delay_alu instid0(VALU_DEP_1) | instskip(NEXT) | instid1(VALU_DEP_1)
	v_cndmask_b32_e64 v20, 0, v20, s5
	v_add_nc_u32_e32 v19, v19, v20
	s_delay_alu instid0(VALU_DEP_1) | instskip(NEXT) | instid1(VALU_DEP_1)
	v_mov_b32_dpp v20, v19 row_shr:8 row_mask:0xf bank_mask:0xf
	v_cndmask_b32_e64 v20, 0, v20, s3
	s_delay_alu instid0(VALU_DEP_1) | instskip(SKIP_3) | instid1(VALU_DEP_1)
	v_add_nc_u32_e32 v19, v19, v20
	ds_swizzle_b32 v20, v19 offset:swizzle(BROADCAST,32,15)
	s_waitcnt lgkmcnt(0)
	v_cndmask_b32_e64 v20, v20, 0, s7
	v_add_nc_u32_e32 v19, v19, v20
	s_and_saveexec_b32 s8, s6
	s_cbranch_execz .LBB193_366
; %bb.365:
	v_lshlrev_b32_e32 v20, 2, v42
	ds_store_b32 v20, v19
.LBB193_366:
	s_or_b32 exec_lo, exec_lo, s8
	s_delay_alu instid0(SALU_CYCLE_1)
	s_mov_b32 s8, exec_lo
	s_waitcnt lgkmcnt(0)
	s_barrier
	buffer_gl0_inv
	v_cmpx_gt_u32_e32 16, v0
	s_cbranch_execz .LBB193_368
; %bb.367:
	v_lshlrev_b32_e32 v20, 2, v0
	ds_load_b32 v21, v20
	s_waitcnt lgkmcnt(0)
	v_mov_b32_dpp v22, v21 row_shr:1 row_mask:0xf bank_mask:0xf
	s_delay_alu instid0(VALU_DEP_1) | instskip(NEXT) | instid1(VALU_DEP_1)
	v_cndmask_b32_e64 v22, v22, 0, s4
	v_add_nc_u32_e32 v21, v22, v21
	s_delay_alu instid0(VALU_DEP_1) | instskip(NEXT) | instid1(VALU_DEP_1)
	v_mov_b32_dpp v22, v21 row_shr:2 row_mask:0xf bank_mask:0xf
	v_cndmask_b32_e64 v22, 0, v22, s2
	s_delay_alu instid0(VALU_DEP_1) | instskip(NEXT) | instid1(VALU_DEP_1)
	v_add_nc_u32_e32 v21, v21, v22
	v_mov_b32_dpp v22, v21 row_shr:4 row_mask:0xf bank_mask:0xf
	s_delay_alu instid0(VALU_DEP_1) | instskip(NEXT) | instid1(VALU_DEP_1)
	v_cndmask_b32_e64 v22, 0, v22, s5
	v_add_nc_u32_e32 v21, v21, v22
	s_delay_alu instid0(VALU_DEP_1) | instskip(NEXT) | instid1(VALU_DEP_1)
	v_mov_b32_dpp v22, v21 row_shr:8 row_mask:0xf bank_mask:0xf
	v_cndmask_b32_e64 v22, 0, v22, s3
	s_delay_alu instid0(VALU_DEP_1)
	v_add_nc_u32_e32 v21, v21, v22
	ds_store_b32 v20, v21
.LBB193_368:
	s_or_b32 exec_lo, exec_lo, s8
	v_cmp_gt_u32_e32 vcc_lo, 32, v0
	s_mov_b32 s9, exec_lo
	s_waitcnt lgkmcnt(0)
	s_barrier
	buffer_gl0_inv
                                        ; implicit-def: $vgpr27
	v_cmpx_lt_u32_e32 31, v0
	s_cbranch_execz .LBB193_370
; %bb.369:
	v_lshl_add_u32 v20, v42, 2, -4
	ds_load_b32 v27, v20
	s_waitcnt lgkmcnt(0)
	v_add_nc_u32_e32 v19, v27, v19
.LBB193_370:
	s_or_b32 exec_lo, exec_lo, s9
	v_add_nc_u32_e32 v20, -1, v41
	s_delay_alu instid0(VALU_DEP_1) | instskip(NEXT) | instid1(VALU_DEP_1)
	v_cmp_gt_i32_e64 s8, 0, v20
	v_cndmask_b32_e64 v20, v20, v41, s8
	v_cmp_eq_u32_e64 s8, 0, v41
	s_delay_alu instid0(VALU_DEP_2)
	v_lshlrev_b32_e32 v20, 2, v20
	ds_bpermute_b32 v29, v20, v19
	s_and_saveexec_b32 s9, vcc_lo
	s_cbranch_execz .LBB193_393
; %bb.371:
	v_mov_b32_e32 v22, 0
	ds_load_b32 v19, v22 offset:60
	s_and_saveexec_b32 s19, s8
	s_cbranch_execz .LBB193_373
; %bb.372:
	s_add_i32 s20, s15, 32
	s_mov_b32 s21, 0
	v_mov_b32_e32 v20, 1
	s_lshl_b64 s[20:21], s[20:21], 3
	s_delay_alu instid0(SALU_CYCLE_1)
	s_add_u32 s20, s10, s20
	s_addc_u32 s21, s11, s21
	s_waitcnt lgkmcnt(0)
	global_store_b64 v22, v[19:20], s[20:21]
.LBB193_373:
	s_or_b32 exec_lo, exec_lo, s19
	v_xad_u32 v20, v41, -1, s15
	s_mov_b32 s20, 0
	s_mov_b32 s19, exec_lo
	s_delay_alu instid0(VALU_DEP_1) | instskip(NEXT) | instid1(VALU_DEP_1)
	v_add_nc_u32_e32 v21, 32, v20
	v_lshlrev_b64 v[21:22], 3, v[21:22]
	s_delay_alu instid0(VALU_DEP_1) | instskip(NEXT) | instid1(VALU_DEP_2)
	v_add_co_u32 v24, vcc_lo, s10, v21
	v_add_co_ci_u32_e32 v25, vcc_lo, s11, v22, vcc_lo
	global_load_b64 v[22:23], v[24:25], off glc
	s_waitcnt vmcnt(0)
	v_and_b32_e32 v21, 0xff, v23
	s_delay_alu instid0(VALU_DEP_1)
	v_cmpx_eq_u16_e32 0, v21
	s_cbranch_execz .LBB193_379
; %bb.374:
	s_mov_b32 s21, 1
	.p2align	6
.LBB193_375:                            ; =>This Loop Header: Depth=1
                                        ;     Child Loop BB193_376 Depth 2
	s_delay_alu instid0(SALU_CYCLE_1)
	s_max_u32 s22, s21, 1
.LBB193_376:                            ;   Parent Loop BB193_375 Depth=1
                                        ; =>  This Inner Loop Header: Depth=2
	s_delay_alu instid0(SALU_CYCLE_1)
	s_add_i32 s22, s22, -1
	s_sleep 1
	s_cmp_eq_u32 s22, 0
	s_cbranch_scc0 .LBB193_376
; %bb.377:                              ;   in Loop: Header=BB193_375 Depth=1
	global_load_b64 v[22:23], v[24:25], off glc
	s_cmp_lt_u32 s21, 32
	s_cselect_b32 s22, -1, 0
	s_delay_alu instid0(SALU_CYCLE_1) | instskip(SKIP_3) | instid1(VALU_DEP_1)
	s_cmp_lg_u32 s22, 0
	s_addc_u32 s21, s21, 0
	s_waitcnt vmcnt(0)
	v_and_b32_e32 v21, 0xff, v23
	v_cmp_ne_u16_e32 vcc_lo, 0, v21
	s_or_b32 s20, vcc_lo, s20
	s_delay_alu instid0(SALU_CYCLE_1)
	s_and_not1_b32 exec_lo, exec_lo, s20
	s_cbranch_execnz .LBB193_375
; %bb.378:
	s_or_b32 exec_lo, exec_lo, s20
.LBB193_379:
	s_delay_alu instid0(SALU_CYCLE_1)
	s_or_b32 exec_lo, exec_lo, s19
	v_cmp_ne_u32_e32 vcc_lo, 31, v41
	v_lshlrev_b32_e64 v33, v41, -1
	v_add_nc_u32_e32 v37, 2, v41
	v_add_nc_u32_e32 v46, 4, v41
	;; [unrolled: 1-line block ×3, first 2 shown]
	v_add_co_ci_u32_e32 v21, vcc_lo, 0, v41, vcc_lo
	v_add_nc_u32_e32 v50, 16, v41
	s_delay_alu instid0(VALU_DEP_2)
	v_lshlrev_b32_e32 v31, 2, v21
	v_and_b32_e32 v21, 0xff, v23
	ds_bpermute_b32 v24, v31, v22
	v_cmp_eq_u16_e32 vcc_lo, 2, v21
	v_and_or_b32 v21, vcc_lo, v33, 0x80000000
	v_cmp_gt_u32_e32 vcc_lo, 30, v41
	s_delay_alu instid0(VALU_DEP_2) | instskip(SKIP_1) | instid1(VALU_DEP_2)
	v_ctz_i32_b32_e32 v21, v21
	v_cndmask_b32_e64 v25, 0, 1, vcc_lo
	v_cmp_lt_u32_e32 vcc_lo, v41, v21
	s_waitcnt lgkmcnt(0)
	s_delay_alu instid0(VALU_DEP_2) | instskip(NEXT) | instid1(VALU_DEP_1)
	v_dual_cndmask_b32 v24, 0, v24 :: v_dual_lshlrev_b32 v25, 1, v25
	v_add_lshl_u32 v35, v25, v41, 2
	v_cmp_gt_u32_e32 vcc_lo, 28, v41
	s_delay_alu instid0(VALU_DEP_3) | instskip(SKIP_4) | instid1(VALU_DEP_1)
	v_add_nc_u32_e32 v22, v24, v22
	v_cndmask_b32_e64 v25, 0, 1, vcc_lo
	v_cmp_le_u32_e32 vcc_lo, v37, v21
	ds_bpermute_b32 v24, v35, v22
	v_lshlrev_b32_e32 v25, 2, v25
	v_add_lshl_u32 v44, v25, v41, 2
	s_waitcnt lgkmcnt(0)
	v_cndmask_b32_e32 v24, 0, v24, vcc_lo
	v_cmp_gt_u32_e32 vcc_lo, 24, v41
	s_delay_alu instid0(VALU_DEP_2) | instskip(SKIP_4) | instid1(VALU_DEP_1)
	v_add_nc_u32_e32 v22, v22, v24
	v_cndmask_b32_e64 v25, 0, 1, vcc_lo
	v_cmp_le_u32_e32 vcc_lo, v46, v21
	ds_bpermute_b32 v24, v44, v22
	v_lshlrev_b32_e32 v25, 3, v25
	v_add_lshl_u32 v47, v25, v41, 2
	s_waitcnt lgkmcnt(0)
	v_cndmask_b32_e32 v24, 0, v24, vcc_lo
	v_cmp_gt_u32_e32 vcc_lo, 16, v41
	s_delay_alu instid0(VALU_DEP_2) | instskip(SKIP_4) | instid1(VALU_DEP_1)
	v_add_nc_u32_e32 v22, v22, v24
	v_cndmask_b32_e64 v25, 0, 1, vcc_lo
	v_cmp_le_u32_e32 vcc_lo, v48, v21
	ds_bpermute_b32 v24, v47, v22
	v_lshlrev_b32_e32 v25, 4, v25
	v_add_lshl_u32 v49, v25, v41, 2
	s_waitcnt lgkmcnt(0)
	v_cndmask_b32_e32 v24, 0, v24, vcc_lo
	v_cmp_le_u32_e32 vcc_lo, v50, v21
	s_delay_alu instid0(VALU_DEP_2) | instskip(SKIP_3) | instid1(VALU_DEP_1)
	v_add_nc_u32_e32 v22, v22, v24
	ds_bpermute_b32 v24, v49, v22
	s_waitcnt lgkmcnt(0)
	v_cndmask_b32_e32 v21, 0, v24, vcc_lo
	v_dual_mov_b32 v21, 0 :: v_dual_add_nc_u32 v22, v22, v21
	s_branch .LBB193_381
.LBB193_380:                            ;   in Loop: Header=BB193_381 Depth=1
	s_or_b32 exec_lo, exec_lo, s19
	ds_bpermute_b32 v25, v31, v22
	v_and_b32_e32 v24, 0xff, v23
	v_subrev_nc_u32_e32 v20, 32, v20
	s_delay_alu instid0(VALU_DEP_2) | instskip(SKIP_1) | instid1(VALU_DEP_1)
	v_cmp_eq_u16_e32 vcc_lo, 2, v24
	v_and_or_b32 v24, vcc_lo, v33, 0x80000000
	v_ctz_i32_b32_e32 v24, v24
	s_delay_alu instid0(VALU_DEP_1) | instskip(SKIP_3) | instid1(VALU_DEP_2)
	v_cmp_lt_u32_e32 vcc_lo, v41, v24
	s_waitcnt lgkmcnt(0)
	v_cndmask_b32_e32 v25, 0, v25, vcc_lo
	v_cmp_le_u32_e32 vcc_lo, v37, v24
	v_add_nc_u32_e32 v22, v25, v22
	ds_bpermute_b32 v25, v35, v22
	s_waitcnt lgkmcnt(0)
	v_cndmask_b32_e32 v25, 0, v25, vcc_lo
	v_cmp_le_u32_e32 vcc_lo, v46, v24
	s_delay_alu instid0(VALU_DEP_2) | instskip(SKIP_4) | instid1(VALU_DEP_2)
	v_add_nc_u32_e32 v22, v22, v25
	ds_bpermute_b32 v25, v44, v22
	s_waitcnt lgkmcnt(0)
	v_cndmask_b32_e32 v25, 0, v25, vcc_lo
	v_cmp_le_u32_e32 vcc_lo, v48, v24
	v_add_nc_u32_e32 v22, v22, v25
	ds_bpermute_b32 v25, v47, v22
	s_waitcnt lgkmcnt(0)
	v_cndmask_b32_e32 v25, 0, v25, vcc_lo
	v_cmp_le_u32_e32 vcc_lo, v50, v24
	s_delay_alu instid0(VALU_DEP_2) | instskip(SKIP_3) | instid1(VALU_DEP_1)
	v_add_nc_u32_e32 v22, v22, v25
	ds_bpermute_b32 v25, v49, v22
	s_waitcnt lgkmcnt(0)
	v_cndmask_b32_e32 v24, 0, v25, vcc_lo
	v_add3_u32 v22, v24, v45, v22
.LBB193_381:                            ; =>This Loop Header: Depth=1
                                        ;     Child Loop BB193_384 Depth 2
                                        ;       Child Loop BB193_385 Depth 3
	v_and_b32_e32 v23, 0xff, v23
	s_delay_alu instid0(VALU_DEP_2) | instskip(NEXT) | instid1(VALU_DEP_2)
	v_mov_b32_e32 v45, v22
	v_cmp_ne_u16_e32 vcc_lo, 2, v23
	v_cndmask_b32_e64 v23, 0, 1, vcc_lo
	;;#ASMSTART
	;;#ASMEND
	s_delay_alu instid0(VALU_DEP_1)
	v_cmp_ne_u32_e32 vcc_lo, 0, v23
	s_cmp_lg_u32 vcc_lo, exec_lo
	s_cbranch_scc1 .LBB193_388
; %bb.382:                              ;   in Loop: Header=BB193_381 Depth=1
	v_lshlrev_b64 v[22:23], 3, v[20:21]
	s_mov_b32 s19, exec_lo
	s_delay_alu instid0(VALU_DEP_1) | instskip(NEXT) | instid1(VALU_DEP_2)
	v_add_co_u32 v24, vcc_lo, s10, v22
	v_add_co_ci_u32_e32 v25, vcc_lo, s11, v23, vcc_lo
	global_load_b64 v[22:23], v[24:25], off glc
	s_waitcnt vmcnt(0)
	v_and_b32_e32 v51, 0xff, v23
	s_delay_alu instid0(VALU_DEP_1)
	v_cmpx_eq_u16_e32 0, v51
	s_cbranch_execz .LBB193_380
; %bb.383:                              ;   in Loop: Header=BB193_381 Depth=1
	s_mov_b32 s21, 1
	s_mov_b32 s20, 0
	.p2align	6
.LBB193_384:                            ;   Parent Loop BB193_381 Depth=1
                                        ; =>  This Loop Header: Depth=2
                                        ;       Child Loop BB193_385 Depth 3
	s_max_u32 s22, s21, 1
.LBB193_385:                            ;   Parent Loop BB193_381 Depth=1
                                        ;     Parent Loop BB193_384 Depth=2
                                        ; =>    This Inner Loop Header: Depth=3
	s_delay_alu instid0(SALU_CYCLE_1)
	s_add_i32 s22, s22, -1
	s_sleep 1
	s_cmp_eq_u32 s22, 0
	s_cbranch_scc0 .LBB193_385
; %bb.386:                              ;   in Loop: Header=BB193_384 Depth=2
	global_load_b64 v[22:23], v[24:25], off glc
	s_cmp_lt_u32 s21, 32
	s_cselect_b32 s22, -1, 0
	s_delay_alu instid0(SALU_CYCLE_1) | instskip(SKIP_3) | instid1(VALU_DEP_1)
	s_cmp_lg_u32 s22, 0
	s_addc_u32 s21, s21, 0
	s_waitcnt vmcnt(0)
	v_and_b32_e32 v51, 0xff, v23
	v_cmp_ne_u16_e32 vcc_lo, 0, v51
	s_or_b32 s20, vcc_lo, s20
	s_delay_alu instid0(SALU_CYCLE_1)
	s_and_not1_b32 exec_lo, exec_lo, s20
	s_cbranch_execnz .LBB193_384
; %bb.387:                              ;   in Loop: Header=BB193_381 Depth=1
	s_or_b32 exec_lo, exec_lo, s20
	s_branch .LBB193_380
.LBB193_388:                            ;   in Loop: Header=BB193_381 Depth=1
                                        ; implicit-def: $vgpr22
                                        ; implicit-def: $vgpr23
	s_cbranch_execz .LBB193_381
; %bb.389:
	s_and_saveexec_b32 s19, s8
	s_cbranch_execz .LBB193_391
; %bb.390:
	s_add_i32 s20, s15, 32
	s_mov_b32 s21, 0
	v_dual_mov_b32 v21, 2 :: v_dual_add_nc_u32 v20, v45, v19
	s_lshl_b64 s[20:21], s[20:21], 3
	v_mov_b32_e32 v22, 0
	v_add_nc_u32_e64 v23, 0x8400, 0
	s_add_u32 s20, s10, s20
	s_addc_u32 s21, s11, s21
	global_store_b64 v22, v[20:21], s[20:21]
	ds_store_2addr_b32 v23, v19, v45 offset1:2
.LBB193_391:
	s_or_b32 exec_lo, exec_lo, s19
	v_cmp_eq_u32_e32 vcc_lo, 0, v0
	s_and_b32 exec_lo, exec_lo, vcc_lo
	s_cbranch_execz .LBB193_393
; %bb.392:
	v_mov_b32_e32 v19, 0
	ds_store_b32 v19, v45 offset:60
.LBB193_393:
	s_or_b32 exec_lo, exec_lo, s9
	s_waitcnt lgkmcnt(0)
	v_cndmask_b32_e64 v20, v29, v27, s8
	v_cmp_ne_u32_e32 vcc_lo, 0, v0
	v_mov_b32_e32 v19, 0
	s_waitcnt_vscnt null, 0x0
	s_barrier
	buffer_gl0_inv
	v_cndmask_b32_e32 v20, 0, v20, vcc_lo
	ds_load_b32 v19, v19 offset:60
	s_waitcnt lgkmcnt(0)
	s_barrier
	buffer_gl0_inv
	v_add_nc_u32_e32 v37, v19, v20
	v_add_nc_u32_e64 v19, 0x8400, 0
	s_delay_alu instid0(VALU_DEP_2) | instskip(SKIP_2) | instid1(VALU_DEP_1)
	v_add_nc_u32_e32 v35, v37, v26
	ds_load_2addr_b32 v[19:20], v19 offset1:2
	v_add_nc_u32_e32 v33, v35, v28
	v_add_nc_u32_e32 v31, v33, v30
	s_delay_alu instid0(VALU_DEP_1) | instskip(NEXT) | instid1(VALU_DEP_1)
	v_add_nc_u32_e32 v29, v31, v32
	v_add_nc_u32_e32 v27, v29, v34
	s_delay_alu instid0(VALU_DEP_1) | instskip(NEXT) | instid1(VALU_DEP_1)
	v_add_nc_u32_e32 v25, v27, v36
	v_add_nc_u32_e32 v23, v25, v38
	s_load_b64 s[8:9], s[0:1], 0x28
	v_lshrrev_b64 v[21:22], 24, v[17:18]
	s_branch .LBB193_404
.LBB193_394:
                                        ; implicit-def: $vgpr23
                                        ; implicit-def: $vgpr25
                                        ; implicit-def: $vgpr27
                                        ; implicit-def: $vgpr29
                                        ; implicit-def: $vgpr31
                                        ; implicit-def: $vgpr33
                                        ; implicit-def: $vgpr35
                                        ; implicit-def: $vgpr37
                                        ; implicit-def: $vgpr20
	s_load_b64 s[8:9], s[0:1], 0x28
	v_lshrrev_b64 v[21:22], 24, v[17:18]
	s_and_b32 vcc_lo, exec_lo, s19
	s_cbranch_vccz .LBB193_404
; %bb.395:
	s_waitcnt lgkmcnt(0)
	v_mov_b32_dpp v19, v43 row_shr:1 row_mask:0xf bank_mask:0xf
	s_delay_alu instid0(VALU_DEP_1) | instskip(NEXT) | instid1(VALU_DEP_1)
	v_cndmask_b32_e64 v19, v19, 0, s4
	v_add_nc_u32_e32 v19, v19, v43
	s_delay_alu instid0(VALU_DEP_1) | instskip(NEXT) | instid1(VALU_DEP_1)
	v_mov_b32_dpp v20, v19 row_shr:2 row_mask:0xf bank_mask:0xf
	v_cndmask_b32_e64 v20, 0, v20, s2
	s_delay_alu instid0(VALU_DEP_1) | instskip(NEXT) | instid1(VALU_DEP_1)
	v_add_nc_u32_e32 v19, v19, v20
	v_mov_b32_dpp v20, v19 row_shr:4 row_mask:0xf bank_mask:0xf
	s_delay_alu instid0(VALU_DEP_1) | instskip(NEXT) | instid1(VALU_DEP_1)
	v_cndmask_b32_e64 v20, 0, v20, s5
	v_add_nc_u32_e32 v19, v19, v20
	s_delay_alu instid0(VALU_DEP_1) | instskip(NEXT) | instid1(VALU_DEP_1)
	v_mov_b32_dpp v20, v19 row_shr:8 row_mask:0xf bank_mask:0xf
	v_cndmask_b32_e64 v20, 0, v20, s3
	s_delay_alu instid0(VALU_DEP_1) | instskip(SKIP_3) | instid1(VALU_DEP_1)
	v_add_nc_u32_e32 v19, v19, v20
	ds_swizzle_b32 v20, v19 offset:swizzle(BROADCAST,32,15)
	s_waitcnt lgkmcnt(0)
	v_cndmask_b32_e64 v20, v20, 0, s7
	v_add_nc_u32_e32 v19, v19, v20
	s_and_saveexec_b32 s0, s6
	s_cbranch_execz .LBB193_397
; %bb.396:
	v_lshlrev_b32_e32 v20, 2, v42
	ds_store_b32 v20, v19
.LBB193_397:
	s_or_b32 exec_lo, exec_lo, s0
	s_delay_alu instid0(SALU_CYCLE_1)
	s_mov_b32 s0, exec_lo
	s_waitcnt lgkmcnt(0)
	s_barrier
	buffer_gl0_inv
	v_cmpx_gt_u32_e32 16, v0
	s_cbranch_execz .LBB193_399
; %bb.398:
	v_lshlrev_b32_e32 v20, 2, v0
	ds_load_b32 v22, v20
	s_waitcnt lgkmcnt(0)
	v_mov_b32_dpp v23, v22 row_shr:1 row_mask:0xf bank_mask:0xf
	s_delay_alu instid0(VALU_DEP_1) | instskip(NEXT) | instid1(VALU_DEP_1)
	v_cndmask_b32_e64 v23, v23, 0, s4
	v_add_nc_u32_e32 v22, v23, v22
	s_delay_alu instid0(VALU_DEP_1) | instskip(NEXT) | instid1(VALU_DEP_1)
	v_mov_b32_dpp v23, v22 row_shr:2 row_mask:0xf bank_mask:0xf
	v_cndmask_b32_e64 v23, 0, v23, s2
	s_delay_alu instid0(VALU_DEP_1) | instskip(NEXT) | instid1(VALU_DEP_1)
	v_add_nc_u32_e32 v22, v22, v23
	v_mov_b32_dpp v23, v22 row_shr:4 row_mask:0xf bank_mask:0xf
	s_delay_alu instid0(VALU_DEP_1) | instskip(NEXT) | instid1(VALU_DEP_1)
	v_cndmask_b32_e64 v23, 0, v23, s5
	v_add_nc_u32_e32 v22, v22, v23
	s_delay_alu instid0(VALU_DEP_1) | instskip(NEXT) | instid1(VALU_DEP_1)
	v_mov_b32_dpp v23, v22 row_shr:8 row_mask:0xf bank_mask:0xf
	v_cndmask_b32_e64 v23, 0, v23, s3
	s_delay_alu instid0(VALU_DEP_1)
	v_add_nc_u32_e32 v22, v22, v23
	ds_store_b32 v20, v22
.LBB193_399:
	s_or_b32 exec_lo, exec_lo, s0
	v_mov_b32_e32 v20, 0
	v_mov_b32_e32 v22, 0
	s_mov_b32 s0, exec_lo
	s_waitcnt lgkmcnt(0)
	s_barrier
	buffer_gl0_inv
	v_cmpx_lt_u32_e32 31, v0
	s_cbranch_execz .LBB193_401
; %bb.400:
	v_lshl_add_u32 v22, v42, 2, -4
	ds_load_b32 v22, v22
.LBB193_401:
	s_or_b32 exec_lo, exec_lo, s0
	v_add_nc_u32_e32 v23, -1, v41
	s_waitcnt lgkmcnt(0)
	v_add_nc_u32_e32 v19, v22, v19
	s_delay_alu instid0(VALU_DEP_2) | instskip(SKIP_2) | instid1(VALU_DEP_2)
	v_cmp_gt_i32_e32 vcc_lo, 0, v23
	v_cndmask_b32_e32 v23, v23, v41, vcc_lo
	v_cmp_eq_u32_e32 vcc_lo, 0, v0
	v_lshlrev_b32_e32 v23, 2, v23
	ds_bpermute_b32 v23, v23, v19
	ds_load_b32 v19, v20 offset:60
	s_and_saveexec_b32 s0, vcc_lo
	s_cbranch_execz .LBB193_403
; %bb.402:
	v_mov_b32_e32 v24, 0
	v_mov_b32_e32 v20, 2
	s_waitcnt lgkmcnt(0)
	global_store_b64 v24, v[19:20], s[10:11] offset:256
.LBB193_403:
	s_or_b32 exec_lo, exec_lo, s0
	v_cmp_eq_u32_e64 s0, 0, v41
	s_waitcnt lgkmcnt(0)
	s_waitcnt_vscnt null, 0x0
	s_barrier
	buffer_gl0_inv
	v_cndmask_b32_e64 v20, v23, v22, s0
	s_delay_alu instid0(VALU_DEP_1) | instskip(NEXT) | instid1(VALU_DEP_1)
	v_cndmask_b32_e64 v37, v20, 0, vcc_lo
	v_dual_mov_b32 v20, 0 :: v_dual_add_nc_u32 v35, v37, v26
	s_delay_alu instid0(VALU_DEP_1) | instskip(NEXT) | instid1(VALU_DEP_1)
	v_add_nc_u32_e32 v33, v35, v28
	v_add_nc_u32_e32 v31, v33, v30
	s_delay_alu instid0(VALU_DEP_1) | instskip(NEXT) | instid1(VALU_DEP_1)
	v_add_nc_u32_e32 v29, v31, v32
	v_add_nc_u32_e32 v27, v29, v34
	;; [unrolled: 3-line block ×3, first 2 shown]
.LBB193_404:
	s_waitcnt lgkmcnt(0)
	v_cmp_gt_u32_e32 vcc_lo, 0x201, v19
	v_lshrrev_b32_e32 v43, 8, v17
	v_lshrrev_b32_e32 v42, 16, v17
	;; [unrolled: 1-line block ×4, first 2 shown]
	s_mov_b32 s0, -1
	s_cbranch_vccnz .LBB193_408
; %bb.405:
	s_and_b32 vcc_lo, exec_lo, s0
	s_cbranch_vccnz .LBB193_433
.LBB193_406:
	v_cmp_eq_u32_e32 vcc_lo, 0, v0
	s_and_b32 s0, vcc_lo, s14
	s_delay_alu instid0(SALU_CYCLE_1)
	s_and_saveexec_b32 s1, s0
	s_cbranch_execnz .LBB193_453
.LBB193_407:
	s_nop 0
	s_sendmsg sendmsg(MSG_DEALLOC_VGPRS)
	s_endpgm
.LBB193_408:
	v_add_nc_u32_e32 v24, v20, v19
	s_delay_alu instid0(VALU_DEP_1) | instskip(SKIP_1) | instid1(SALU_CYCLE_1)
	v_cmp_lt_u32_e32 vcc_lo, v37, v24
	s_or_b32 s1, s18, vcc_lo
	s_and_saveexec_b32 s0, s1
	s_cbranch_execz .LBB193_411
; %bb.409:
	v_and_b32_e32 v26, 1, v17
	s_delay_alu instid0(VALU_DEP_1)
	v_cmp_eq_u32_e32 vcc_lo, 1, v26
	s_and_b32 exec_lo, exec_lo, vcc_lo
	s_cbranch_execz .LBB193_411
; %bb.410:
	v_mov_b32_e32 v38, 0
	s_lshl_b64 s[2:3], s[12:13], 3
	s_delay_alu instid0(SALU_CYCLE_1) | instskip(SKIP_1) | instid1(VALU_DEP_1)
	s_add_u32 s1, s8, s2
	s_addc_u32 s2, s9, s3
	v_lshlrev_b64 v[44:45], 3, v[37:38]
	s_delay_alu instid0(VALU_DEP_1) | instskip(NEXT) | instid1(VALU_DEP_2)
	v_add_co_u32 v44, vcc_lo, s1, v44
	v_add_co_ci_u32_e32 v45, vcc_lo, s2, v45, vcc_lo
	global_store_b64 v[44:45], v[13:14], off
.LBB193_411:
	s_or_b32 exec_lo, exec_lo, s0
	v_cmp_lt_u32_e32 vcc_lo, v35, v24
	s_or_b32 s1, s18, vcc_lo
	s_delay_alu instid0(SALU_CYCLE_1)
	s_and_saveexec_b32 s0, s1
	s_cbranch_execz .LBB193_414
; %bb.412:
	v_and_b32_e32 v26, 1, v43
	s_delay_alu instid0(VALU_DEP_1)
	v_cmp_eq_u32_e32 vcc_lo, 1, v26
	s_and_b32 exec_lo, exec_lo, vcc_lo
	s_cbranch_execz .LBB193_414
; %bb.413:
	v_mov_b32_e32 v36, 0
	s_lshl_b64 s[2:3], s[12:13], 3
	s_delay_alu instid0(SALU_CYCLE_1) | instskip(SKIP_1) | instid1(VALU_DEP_1)
	s_add_u32 s1, s8, s2
	s_addc_u32 s2, s9, s3
	v_lshlrev_b64 v[44:45], 3, v[35:36]
	s_delay_alu instid0(VALU_DEP_1) | instskip(NEXT) | instid1(VALU_DEP_2)
	v_add_co_u32 v44, vcc_lo, s1, v44
	v_add_co_ci_u32_e32 v45, vcc_lo, s2, v45, vcc_lo
	global_store_b64 v[44:45], v[15:16], off
.LBB193_414:
	s_or_b32 exec_lo, exec_lo, s0
	v_cmp_lt_u32_e32 vcc_lo, v33, v24
	s_or_b32 s1, s18, vcc_lo
	s_delay_alu instid0(SALU_CYCLE_1)
	;; [unrolled: 24-line block ×7, first 2 shown]
	s_and_saveexec_b32 s0, s1
	s_cbranch_execz .LBB193_432
; %bb.430:
	v_and_b32_e32 v24, 1, v40
	s_delay_alu instid0(VALU_DEP_1)
	v_cmp_eq_u32_e32 vcc_lo, 1, v24
	s_and_b32 exec_lo, exec_lo, vcc_lo
	s_cbranch_execz .LBB193_432
; %bb.431:
	v_mov_b32_e32 v24, 0
	s_lshl_b64 s[2:3], s[12:13], 3
	s_delay_alu instid0(SALU_CYCLE_1) | instskip(SKIP_1) | instid1(VALU_DEP_1)
	s_add_u32 s1, s8, s2
	s_addc_u32 s2, s9, s3
	v_lshlrev_b64 v[44:45], 3, v[23:24]
	s_delay_alu instid0(VALU_DEP_1) | instskip(NEXT) | instid1(VALU_DEP_2)
	v_add_co_u32 v44, vcc_lo, s1, v44
	v_add_co_ci_u32_e32 v45, vcc_lo, s2, v45, vcc_lo
	global_store_b64 v[44:45], v[3:4], off
.LBB193_432:
	s_or_b32 exec_lo, exec_lo, s0
	s_branch .LBB193_406
.LBB193_433:
	v_and_b32_e32 v17, 1, v17
	s_mov_b32 s0, exec_lo
	s_delay_alu instid0(VALU_DEP_1)
	v_cmpx_eq_u32_e32 1, v17
	s_cbranch_execz .LBB193_435
; %bb.434:
	v_sub_nc_u32_e32 v17, v37, v20
	s_delay_alu instid0(VALU_DEP_1)
	v_lshlrev_b32_e32 v17, 3, v17
	ds_store_b64 v17, v[13:14]
.LBB193_435:
	s_or_b32 exec_lo, exec_lo, s0
	v_and_b32_e32 v13, 1, v43
	s_mov_b32 s0, exec_lo
	s_delay_alu instid0(VALU_DEP_1)
	v_cmpx_eq_u32_e32 1, v13
	s_cbranch_execz .LBB193_437
; %bb.436:
	v_sub_nc_u32_e32 v13, v35, v20
	s_delay_alu instid0(VALU_DEP_1)
	v_lshlrev_b32_e32 v13, 3, v13
	ds_store_b64 v13, v[15:16]
.LBB193_437:
	s_or_b32 exec_lo, exec_lo, s0
	;; [unrolled: 12-line block ×8, first 2 shown]
	s_delay_alu instid0(SALU_CYCLE_1)
	s_mov_b32 s1, exec_lo
	s_waitcnt lgkmcnt(0)
	s_waitcnt_vscnt null, 0x0
	s_barrier
	buffer_gl0_inv
	v_cmpx_lt_u32_e64 v0, v19
	s_cbranch_execz .LBB193_452
; %bb.450:
	v_dual_mov_b32 v2, 0 :: v_dual_mov_b32 v1, v20
	s_lshl_b64 s[2:3], s[12:13], 3
	v_mov_b32_e32 v3, v0
	s_delay_alu instid0(VALU_DEP_2) | instskip(NEXT) | instid1(VALU_DEP_1)
	v_lshlrev_b64 v[1:2], 3, v[1:2]
	v_add_co_u32 v1, vcc_lo, s2, v1
	s_delay_alu instid0(VALU_DEP_2) | instskip(SKIP_1) | instid1(VALU_DEP_2)
	v_add_co_ci_u32_e32 v2, vcc_lo, s3, v2, vcc_lo
	s_mov_b32 s2, 0
	v_add_co_u32 v1, vcc_lo, s8, v1
	s_delay_alu instid0(VALU_DEP_2) | instskip(NEXT) | instid1(VALU_DEP_2)
	v_add_co_ci_u32_e32 v2, vcc_lo, s9, v2, vcc_lo
	v_add_co_u32 v1, vcc_lo, v1, v39
	s_delay_alu instid0(VALU_DEP_2)
	v_add_co_ci_u32_e32 v2, vcc_lo, 0, v2, vcc_lo
	.p2align	6
.LBB193_451:                            ; =>This Inner Loop Header: Depth=1
	ds_load_b64 v[4:5], v39
	v_add_nc_u32_e32 v3, 0x200, v3
	v_add_nc_u32_e32 v39, 0x1000, v39
	s_delay_alu instid0(VALU_DEP_2) | instskip(SKIP_4) | instid1(VALU_DEP_1)
	v_cmp_ge_u32_e32 vcc_lo, v3, v19
	s_or_b32 s2, vcc_lo, s2
	s_waitcnt lgkmcnt(0)
	global_store_b64 v[1:2], v[4:5], off
	v_add_co_u32 v1, s0, 0x1000, v1
	v_add_co_ci_u32_e64 v2, s0, 0, v2, s0
	s_and_not1_b32 exec_lo, exec_lo, s2
	s_cbranch_execnz .LBB193_451
.LBB193_452:
	s_or_b32 exec_lo, exec_lo, s1
	v_cmp_eq_u32_e32 vcc_lo, 0, v0
	s_and_b32 s0, vcc_lo, s14
	s_delay_alu instid0(SALU_CYCLE_1)
	s_and_saveexec_b32 s1, s0
	s_cbranch_execz .LBB193_407
.LBB193_453:
	v_add_co_u32 v0, s0, s12, v19
	s_delay_alu instid0(VALU_DEP_1) | instskip(SKIP_1) | instid1(VALU_DEP_3)
	v_add_co_ci_u32_e64 v1, null, s13, 0, s0
	v_mov_b32_e32 v2, 0
	v_add_co_u32 v0, vcc_lo, v0, v20
	s_delay_alu instid0(VALU_DEP_3)
	v_add_co_ci_u32_e32 v1, vcc_lo, 0, v1, vcc_lo
	global_store_b64 v2, v[0:1], s[16:17]
	s_nop 0
	s_sendmsg sendmsg(MSG_DEALLOC_VGPRS)
	s_endpgm
	.section	.rodata,"a",@progbits
	.p2align	6, 0x0
	.amdhsa_kernel _ZN7rocprim17ROCPRIM_400000_NS6detail17trampoline_kernelINS0_14default_configENS1_25partition_config_selectorILNS1_17partition_subalgoE8ElNS0_10empty_typeEbEEZZNS1_14partition_implILS5_8ELb0ES3_jPlPS6_PKS6_NS0_5tupleIJS9_S6_EEENSD_IJSA_SA_EEENS0_18inequality_wrapperIZN2at6native12_GLOBAL__N_124unique_dim_cuda_templateIhEESt5tupleIJNSH_6TensorESM_SM_EERKSM_lbbbEUlllE0_EEPmJS6_EEE10hipError_tPvRmT3_T4_T5_T6_T7_T9_mT8_P12ihipStream_tbDpT10_ENKUlT_T0_E_clISt17integral_constantIbLb1EES1B_IbLb0EEEEDaS17_S18_EUlS17_E_NS1_11comp_targetILNS1_3genE9ELNS1_11target_archE1100ELNS1_3gpuE3ELNS1_3repE0EEENS1_30default_config_static_selectorELNS0_4arch9wavefront6targetE0EEEvT1_
		.amdhsa_group_segment_fixed_size 33804
		.amdhsa_private_segment_fixed_size 0
		.amdhsa_kernarg_size 120
		.amdhsa_user_sgpr_count 15
		.amdhsa_user_sgpr_dispatch_ptr 0
		.amdhsa_user_sgpr_queue_ptr 0
		.amdhsa_user_sgpr_kernarg_segment_ptr 1
		.amdhsa_user_sgpr_dispatch_id 0
		.amdhsa_user_sgpr_private_segment_size 0
		.amdhsa_wavefront_size32 1
		.amdhsa_uses_dynamic_stack 0
		.amdhsa_enable_private_segment 0
		.amdhsa_system_sgpr_workgroup_id_x 1
		.amdhsa_system_sgpr_workgroup_id_y 0
		.amdhsa_system_sgpr_workgroup_id_z 0
		.amdhsa_system_sgpr_workgroup_info 0
		.amdhsa_system_vgpr_workitem_id 0
		.amdhsa_next_free_vgpr 52
		.amdhsa_next_free_sgpr 36
		.amdhsa_reserve_vcc 1
		.amdhsa_float_round_mode_32 0
		.amdhsa_float_round_mode_16_64 0
		.amdhsa_float_denorm_mode_32 3
		.amdhsa_float_denorm_mode_16_64 3
		.amdhsa_dx10_clamp 1
		.amdhsa_ieee_mode 1
		.amdhsa_fp16_overflow 0
		.amdhsa_workgroup_processor_mode 1
		.amdhsa_memory_ordered 1
		.amdhsa_forward_progress 0
		.amdhsa_shared_vgpr_count 0
		.amdhsa_exception_fp_ieee_invalid_op 0
		.amdhsa_exception_fp_denorm_src 0
		.amdhsa_exception_fp_ieee_div_zero 0
		.amdhsa_exception_fp_ieee_overflow 0
		.amdhsa_exception_fp_ieee_underflow 0
		.amdhsa_exception_fp_ieee_inexact 0
		.amdhsa_exception_int_div_zero 0
	.end_amdhsa_kernel
	.section	.text._ZN7rocprim17ROCPRIM_400000_NS6detail17trampoline_kernelINS0_14default_configENS1_25partition_config_selectorILNS1_17partition_subalgoE8ElNS0_10empty_typeEbEEZZNS1_14partition_implILS5_8ELb0ES3_jPlPS6_PKS6_NS0_5tupleIJS9_S6_EEENSD_IJSA_SA_EEENS0_18inequality_wrapperIZN2at6native12_GLOBAL__N_124unique_dim_cuda_templateIhEESt5tupleIJNSH_6TensorESM_SM_EERKSM_lbbbEUlllE0_EEPmJS6_EEE10hipError_tPvRmT3_T4_T5_T6_T7_T9_mT8_P12ihipStream_tbDpT10_ENKUlT_T0_E_clISt17integral_constantIbLb1EES1B_IbLb0EEEEDaS17_S18_EUlS17_E_NS1_11comp_targetILNS1_3genE9ELNS1_11target_archE1100ELNS1_3gpuE3ELNS1_3repE0EEENS1_30default_config_static_selectorELNS0_4arch9wavefront6targetE0EEEvT1_,"axG",@progbits,_ZN7rocprim17ROCPRIM_400000_NS6detail17trampoline_kernelINS0_14default_configENS1_25partition_config_selectorILNS1_17partition_subalgoE8ElNS0_10empty_typeEbEEZZNS1_14partition_implILS5_8ELb0ES3_jPlPS6_PKS6_NS0_5tupleIJS9_S6_EEENSD_IJSA_SA_EEENS0_18inequality_wrapperIZN2at6native12_GLOBAL__N_124unique_dim_cuda_templateIhEESt5tupleIJNSH_6TensorESM_SM_EERKSM_lbbbEUlllE0_EEPmJS6_EEE10hipError_tPvRmT3_T4_T5_T6_T7_T9_mT8_P12ihipStream_tbDpT10_ENKUlT_T0_E_clISt17integral_constantIbLb1EES1B_IbLb0EEEEDaS17_S18_EUlS17_E_NS1_11comp_targetILNS1_3genE9ELNS1_11target_archE1100ELNS1_3gpuE3ELNS1_3repE0EEENS1_30default_config_static_selectorELNS0_4arch9wavefront6targetE0EEEvT1_,comdat
.Lfunc_end193:
	.size	_ZN7rocprim17ROCPRIM_400000_NS6detail17trampoline_kernelINS0_14default_configENS1_25partition_config_selectorILNS1_17partition_subalgoE8ElNS0_10empty_typeEbEEZZNS1_14partition_implILS5_8ELb0ES3_jPlPS6_PKS6_NS0_5tupleIJS9_S6_EEENSD_IJSA_SA_EEENS0_18inequality_wrapperIZN2at6native12_GLOBAL__N_124unique_dim_cuda_templateIhEESt5tupleIJNSH_6TensorESM_SM_EERKSM_lbbbEUlllE0_EEPmJS6_EEE10hipError_tPvRmT3_T4_T5_T6_T7_T9_mT8_P12ihipStream_tbDpT10_ENKUlT_T0_E_clISt17integral_constantIbLb1EES1B_IbLb0EEEEDaS17_S18_EUlS17_E_NS1_11comp_targetILNS1_3genE9ELNS1_11target_archE1100ELNS1_3gpuE3ELNS1_3repE0EEENS1_30default_config_static_selectorELNS0_4arch9wavefront6targetE0EEEvT1_, .Lfunc_end193-_ZN7rocprim17ROCPRIM_400000_NS6detail17trampoline_kernelINS0_14default_configENS1_25partition_config_selectorILNS1_17partition_subalgoE8ElNS0_10empty_typeEbEEZZNS1_14partition_implILS5_8ELb0ES3_jPlPS6_PKS6_NS0_5tupleIJS9_S6_EEENSD_IJSA_SA_EEENS0_18inequality_wrapperIZN2at6native12_GLOBAL__N_124unique_dim_cuda_templateIhEESt5tupleIJNSH_6TensorESM_SM_EERKSM_lbbbEUlllE0_EEPmJS6_EEE10hipError_tPvRmT3_T4_T5_T6_T7_T9_mT8_P12ihipStream_tbDpT10_ENKUlT_T0_E_clISt17integral_constantIbLb1EES1B_IbLb0EEEEDaS17_S18_EUlS17_E_NS1_11comp_targetILNS1_3genE9ELNS1_11target_archE1100ELNS1_3gpuE3ELNS1_3repE0EEENS1_30default_config_static_selectorELNS0_4arch9wavefront6targetE0EEEvT1_
                                        ; -- End function
	.section	.AMDGPU.csdata,"",@progbits
; Kernel info:
; codeLenInByte = 16280
; NumSgprs: 38
; NumVgprs: 52
; ScratchSize: 0
; MemoryBound: 0
; FloatMode: 240
; IeeeMode: 1
; LDSByteSize: 33804 bytes/workgroup (compile time only)
; SGPRBlocks: 4
; VGPRBlocks: 6
; NumSGPRsForWavesPerEU: 38
; NumVGPRsForWavesPerEU: 52
; Occupancy: 12
; WaveLimiterHint : 1
; COMPUTE_PGM_RSRC2:SCRATCH_EN: 0
; COMPUTE_PGM_RSRC2:USER_SGPR: 15
; COMPUTE_PGM_RSRC2:TRAP_HANDLER: 0
; COMPUTE_PGM_RSRC2:TGID_X_EN: 1
; COMPUTE_PGM_RSRC2:TGID_Y_EN: 0
; COMPUTE_PGM_RSRC2:TGID_Z_EN: 0
; COMPUTE_PGM_RSRC2:TIDIG_COMP_CNT: 0
	.section	.text._ZN7rocprim17ROCPRIM_400000_NS6detail17trampoline_kernelINS0_14default_configENS1_25partition_config_selectorILNS1_17partition_subalgoE8ElNS0_10empty_typeEbEEZZNS1_14partition_implILS5_8ELb0ES3_jPlPS6_PKS6_NS0_5tupleIJS9_S6_EEENSD_IJSA_SA_EEENS0_18inequality_wrapperIZN2at6native12_GLOBAL__N_124unique_dim_cuda_templateIhEESt5tupleIJNSH_6TensorESM_SM_EERKSM_lbbbEUlllE0_EEPmJS6_EEE10hipError_tPvRmT3_T4_T5_T6_T7_T9_mT8_P12ihipStream_tbDpT10_ENKUlT_T0_E_clISt17integral_constantIbLb1EES1B_IbLb0EEEEDaS17_S18_EUlS17_E_NS1_11comp_targetILNS1_3genE8ELNS1_11target_archE1030ELNS1_3gpuE2ELNS1_3repE0EEENS1_30default_config_static_selectorELNS0_4arch9wavefront6targetE0EEEvT1_,"axG",@progbits,_ZN7rocprim17ROCPRIM_400000_NS6detail17trampoline_kernelINS0_14default_configENS1_25partition_config_selectorILNS1_17partition_subalgoE8ElNS0_10empty_typeEbEEZZNS1_14partition_implILS5_8ELb0ES3_jPlPS6_PKS6_NS0_5tupleIJS9_S6_EEENSD_IJSA_SA_EEENS0_18inequality_wrapperIZN2at6native12_GLOBAL__N_124unique_dim_cuda_templateIhEESt5tupleIJNSH_6TensorESM_SM_EERKSM_lbbbEUlllE0_EEPmJS6_EEE10hipError_tPvRmT3_T4_T5_T6_T7_T9_mT8_P12ihipStream_tbDpT10_ENKUlT_T0_E_clISt17integral_constantIbLb1EES1B_IbLb0EEEEDaS17_S18_EUlS17_E_NS1_11comp_targetILNS1_3genE8ELNS1_11target_archE1030ELNS1_3gpuE2ELNS1_3repE0EEENS1_30default_config_static_selectorELNS0_4arch9wavefront6targetE0EEEvT1_,comdat
	.globl	_ZN7rocprim17ROCPRIM_400000_NS6detail17trampoline_kernelINS0_14default_configENS1_25partition_config_selectorILNS1_17partition_subalgoE8ElNS0_10empty_typeEbEEZZNS1_14partition_implILS5_8ELb0ES3_jPlPS6_PKS6_NS0_5tupleIJS9_S6_EEENSD_IJSA_SA_EEENS0_18inequality_wrapperIZN2at6native12_GLOBAL__N_124unique_dim_cuda_templateIhEESt5tupleIJNSH_6TensorESM_SM_EERKSM_lbbbEUlllE0_EEPmJS6_EEE10hipError_tPvRmT3_T4_T5_T6_T7_T9_mT8_P12ihipStream_tbDpT10_ENKUlT_T0_E_clISt17integral_constantIbLb1EES1B_IbLb0EEEEDaS17_S18_EUlS17_E_NS1_11comp_targetILNS1_3genE8ELNS1_11target_archE1030ELNS1_3gpuE2ELNS1_3repE0EEENS1_30default_config_static_selectorELNS0_4arch9wavefront6targetE0EEEvT1_ ; -- Begin function _ZN7rocprim17ROCPRIM_400000_NS6detail17trampoline_kernelINS0_14default_configENS1_25partition_config_selectorILNS1_17partition_subalgoE8ElNS0_10empty_typeEbEEZZNS1_14partition_implILS5_8ELb0ES3_jPlPS6_PKS6_NS0_5tupleIJS9_S6_EEENSD_IJSA_SA_EEENS0_18inequality_wrapperIZN2at6native12_GLOBAL__N_124unique_dim_cuda_templateIhEESt5tupleIJNSH_6TensorESM_SM_EERKSM_lbbbEUlllE0_EEPmJS6_EEE10hipError_tPvRmT3_T4_T5_T6_T7_T9_mT8_P12ihipStream_tbDpT10_ENKUlT_T0_E_clISt17integral_constantIbLb1EES1B_IbLb0EEEEDaS17_S18_EUlS17_E_NS1_11comp_targetILNS1_3genE8ELNS1_11target_archE1030ELNS1_3gpuE2ELNS1_3repE0EEENS1_30default_config_static_selectorELNS0_4arch9wavefront6targetE0EEEvT1_
	.p2align	8
	.type	_ZN7rocprim17ROCPRIM_400000_NS6detail17trampoline_kernelINS0_14default_configENS1_25partition_config_selectorILNS1_17partition_subalgoE8ElNS0_10empty_typeEbEEZZNS1_14partition_implILS5_8ELb0ES3_jPlPS6_PKS6_NS0_5tupleIJS9_S6_EEENSD_IJSA_SA_EEENS0_18inequality_wrapperIZN2at6native12_GLOBAL__N_124unique_dim_cuda_templateIhEESt5tupleIJNSH_6TensorESM_SM_EERKSM_lbbbEUlllE0_EEPmJS6_EEE10hipError_tPvRmT3_T4_T5_T6_T7_T9_mT8_P12ihipStream_tbDpT10_ENKUlT_T0_E_clISt17integral_constantIbLb1EES1B_IbLb0EEEEDaS17_S18_EUlS17_E_NS1_11comp_targetILNS1_3genE8ELNS1_11target_archE1030ELNS1_3gpuE2ELNS1_3repE0EEENS1_30default_config_static_selectorELNS0_4arch9wavefront6targetE0EEEvT1_,@function
_ZN7rocprim17ROCPRIM_400000_NS6detail17trampoline_kernelINS0_14default_configENS1_25partition_config_selectorILNS1_17partition_subalgoE8ElNS0_10empty_typeEbEEZZNS1_14partition_implILS5_8ELb0ES3_jPlPS6_PKS6_NS0_5tupleIJS9_S6_EEENSD_IJSA_SA_EEENS0_18inequality_wrapperIZN2at6native12_GLOBAL__N_124unique_dim_cuda_templateIhEESt5tupleIJNSH_6TensorESM_SM_EERKSM_lbbbEUlllE0_EEPmJS6_EEE10hipError_tPvRmT3_T4_T5_T6_T7_T9_mT8_P12ihipStream_tbDpT10_ENKUlT_T0_E_clISt17integral_constantIbLb1EES1B_IbLb0EEEEDaS17_S18_EUlS17_E_NS1_11comp_targetILNS1_3genE8ELNS1_11target_archE1030ELNS1_3gpuE2ELNS1_3repE0EEENS1_30default_config_static_selectorELNS0_4arch9wavefront6targetE0EEEvT1_: ; @_ZN7rocprim17ROCPRIM_400000_NS6detail17trampoline_kernelINS0_14default_configENS1_25partition_config_selectorILNS1_17partition_subalgoE8ElNS0_10empty_typeEbEEZZNS1_14partition_implILS5_8ELb0ES3_jPlPS6_PKS6_NS0_5tupleIJS9_S6_EEENSD_IJSA_SA_EEENS0_18inequality_wrapperIZN2at6native12_GLOBAL__N_124unique_dim_cuda_templateIhEESt5tupleIJNSH_6TensorESM_SM_EERKSM_lbbbEUlllE0_EEPmJS6_EEE10hipError_tPvRmT3_T4_T5_T6_T7_T9_mT8_P12ihipStream_tbDpT10_ENKUlT_T0_E_clISt17integral_constantIbLb1EES1B_IbLb0EEEEDaS17_S18_EUlS17_E_NS1_11comp_targetILNS1_3genE8ELNS1_11target_archE1030ELNS1_3gpuE2ELNS1_3repE0EEENS1_30default_config_static_selectorELNS0_4arch9wavefront6targetE0EEEvT1_
; %bb.0:
	.section	.rodata,"a",@progbits
	.p2align	6, 0x0
	.amdhsa_kernel _ZN7rocprim17ROCPRIM_400000_NS6detail17trampoline_kernelINS0_14default_configENS1_25partition_config_selectorILNS1_17partition_subalgoE8ElNS0_10empty_typeEbEEZZNS1_14partition_implILS5_8ELb0ES3_jPlPS6_PKS6_NS0_5tupleIJS9_S6_EEENSD_IJSA_SA_EEENS0_18inequality_wrapperIZN2at6native12_GLOBAL__N_124unique_dim_cuda_templateIhEESt5tupleIJNSH_6TensorESM_SM_EERKSM_lbbbEUlllE0_EEPmJS6_EEE10hipError_tPvRmT3_T4_T5_T6_T7_T9_mT8_P12ihipStream_tbDpT10_ENKUlT_T0_E_clISt17integral_constantIbLb1EES1B_IbLb0EEEEDaS17_S18_EUlS17_E_NS1_11comp_targetILNS1_3genE8ELNS1_11target_archE1030ELNS1_3gpuE2ELNS1_3repE0EEENS1_30default_config_static_selectorELNS0_4arch9wavefront6targetE0EEEvT1_
		.amdhsa_group_segment_fixed_size 0
		.amdhsa_private_segment_fixed_size 0
		.amdhsa_kernarg_size 120
		.amdhsa_user_sgpr_count 15
		.amdhsa_user_sgpr_dispatch_ptr 0
		.amdhsa_user_sgpr_queue_ptr 0
		.amdhsa_user_sgpr_kernarg_segment_ptr 1
		.amdhsa_user_sgpr_dispatch_id 0
		.amdhsa_user_sgpr_private_segment_size 0
		.amdhsa_wavefront_size32 1
		.amdhsa_uses_dynamic_stack 0
		.amdhsa_enable_private_segment 0
		.amdhsa_system_sgpr_workgroup_id_x 1
		.amdhsa_system_sgpr_workgroup_id_y 0
		.amdhsa_system_sgpr_workgroup_id_z 0
		.amdhsa_system_sgpr_workgroup_info 0
		.amdhsa_system_vgpr_workitem_id 0
		.amdhsa_next_free_vgpr 1
		.amdhsa_next_free_sgpr 1
		.amdhsa_reserve_vcc 0
		.amdhsa_float_round_mode_32 0
		.amdhsa_float_round_mode_16_64 0
		.amdhsa_float_denorm_mode_32 3
		.amdhsa_float_denorm_mode_16_64 3
		.amdhsa_dx10_clamp 1
		.amdhsa_ieee_mode 1
		.amdhsa_fp16_overflow 0
		.amdhsa_workgroup_processor_mode 1
		.amdhsa_memory_ordered 1
		.amdhsa_forward_progress 0
		.amdhsa_shared_vgpr_count 0
		.amdhsa_exception_fp_ieee_invalid_op 0
		.amdhsa_exception_fp_denorm_src 0
		.amdhsa_exception_fp_ieee_div_zero 0
		.amdhsa_exception_fp_ieee_overflow 0
		.amdhsa_exception_fp_ieee_underflow 0
		.amdhsa_exception_fp_ieee_inexact 0
		.amdhsa_exception_int_div_zero 0
	.end_amdhsa_kernel
	.section	.text._ZN7rocprim17ROCPRIM_400000_NS6detail17trampoline_kernelINS0_14default_configENS1_25partition_config_selectorILNS1_17partition_subalgoE8ElNS0_10empty_typeEbEEZZNS1_14partition_implILS5_8ELb0ES3_jPlPS6_PKS6_NS0_5tupleIJS9_S6_EEENSD_IJSA_SA_EEENS0_18inequality_wrapperIZN2at6native12_GLOBAL__N_124unique_dim_cuda_templateIhEESt5tupleIJNSH_6TensorESM_SM_EERKSM_lbbbEUlllE0_EEPmJS6_EEE10hipError_tPvRmT3_T4_T5_T6_T7_T9_mT8_P12ihipStream_tbDpT10_ENKUlT_T0_E_clISt17integral_constantIbLb1EES1B_IbLb0EEEEDaS17_S18_EUlS17_E_NS1_11comp_targetILNS1_3genE8ELNS1_11target_archE1030ELNS1_3gpuE2ELNS1_3repE0EEENS1_30default_config_static_selectorELNS0_4arch9wavefront6targetE0EEEvT1_,"axG",@progbits,_ZN7rocprim17ROCPRIM_400000_NS6detail17trampoline_kernelINS0_14default_configENS1_25partition_config_selectorILNS1_17partition_subalgoE8ElNS0_10empty_typeEbEEZZNS1_14partition_implILS5_8ELb0ES3_jPlPS6_PKS6_NS0_5tupleIJS9_S6_EEENSD_IJSA_SA_EEENS0_18inequality_wrapperIZN2at6native12_GLOBAL__N_124unique_dim_cuda_templateIhEESt5tupleIJNSH_6TensorESM_SM_EERKSM_lbbbEUlllE0_EEPmJS6_EEE10hipError_tPvRmT3_T4_T5_T6_T7_T9_mT8_P12ihipStream_tbDpT10_ENKUlT_T0_E_clISt17integral_constantIbLb1EES1B_IbLb0EEEEDaS17_S18_EUlS17_E_NS1_11comp_targetILNS1_3genE8ELNS1_11target_archE1030ELNS1_3gpuE2ELNS1_3repE0EEENS1_30default_config_static_selectorELNS0_4arch9wavefront6targetE0EEEvT1_,comdat
.Lfunc_end194:
	.size	_ZN7rocprim17ROCPRIM_400000_NS6detail17trampoline_kernelINS0_14default_configENS1_25partition_config_selectorILNS1_17partition_subalgoE8ElNS0_10empty_typeEbEEZZNS1_14partition_implILS5_8ELb0ES3_jPlPS6_PKS6_NS0_5tupleIJS9_S6_EEENSD_IJSA_SA_EEENS0_18inequality_wrapperIZN2at6native12_GLOBAL__N_124unique_dim_cuda_templateIhEESt5tupleIJNSH_6TensorESM_SM_EERKSM_lbbbEUlllE0_EEPmJS6_EEE10hipError_tPvRmT3_T4_T5_T6_T7_T9_mT8_P12ihipStream_tbDpT10_ENKUlT_T0_E_clISt17integral_constantIbLb1EES1B_IbLb0EEEEDaS17_S18_EUlS17_E_NS1_11comp_targetILNS1_3genE8ELNS1_11target_archE1030ELNS1_3gpuE2ELNS1_3repE0EEENS1_30default_config_static_selectorELNS0_4arch9wavefront6targetE0EEEvT1_, .Lfunc_end194-_ZN7rocprim17ROCPRIM_400000_NS6detail17trampoline_kernelINS0_14default_configENS1_25partition_config_selectorILNS1_17partition_subalgoE8ElNS0_10empty_typeEbEEZZNS1_14partition_implILS5_8ELb0ES3_jPlPS6_PKS6_NS0_5tupleIJS9_S6_EEENSD_IJSA_SA_EEENS0_18inequality_wrapperIZN2at6native12_GLOBAL__N_124unique_dim_cuda_templateIhEESt5tupleIJNSH_6TensorESM_SM_EERKSM_lbbbEUlllE0_EEPmJS6_EEE10hipError_tPvRmT3_T4_T5_T6_T7_T9_mT8_P12ihipStream_tbDpT10_ENKUlT_T0_E_clISt17integral_constantIbLb1EES1B_IbLb0EEEEDaS17_S18_EUlS17_E_NS1_11comp_targetILNS1_3genE8ELNS1_11target_archE1030ELNS1_3gpuE2ELNS1_3repE0EEENS1_30default_config_static_selectorELNS0_4arch9wavefront6targetE0EEEvT1_
                                        ; -- End function
	.section	.AMDGPU.csdata,"",@progbits
; Kernel info:
; codeLenInByte = 0
; NumSgprs: 0
; NumVgprs: 0
; ScratchSize: 0
; MemoryBound: 0
; FloatMode: 240
; IeeeMode: 1
; LDSByteSize: 0 bytes/workgroup (compile time only)
; SGPRBlocks: 0
; VGPRBlocks: 0
; NumSGPRsForWavesPerEU: 1
; NumVGPRsForWavesPerEU: 1
; Occupancy: 16
; WaveLimiterHint : 0
; COMPUTE_PGM_RSRC2:SCRATCH_EN: 0
; COMPUTE_PGM_RSRC2:USER_SGPR: 15
; COMPUTE_PGM_RSRC2:TRAP_HANDLER: 0
; COMPUTE_PGM_RSRC2:TGID_X_EN: 1
; COMPUTE_PGM_RSRC2:TGID_Y_EN: 0
; COMPUTE_PGM_RSRC2:TGID_Z_EN: 0
; COMPUTE_PGM_RSRC2:TIDIG_COMP_CNT: 0
	.section	.text._ZN7rocprim17ROCPRIM_400000_NS6detail31init_lookback_scan_state_kernelINS1_19lookback_scan_stateIjLb0ELb1EEENS1_16block_id_wrapperIjLb1EEEEEvT_jT0_jPNS7_10value_typeE,"axG",@progbits,_ZN7rocprim17ROCPRIM_400000_NS6detail31init_lookback_scan_state_kernelINS1_19lookback_scan_stateIjLb0ELb1EEENS1_16block_id_wrapperIjLb1EEEEEvT_jT0_jPNS7_10value_typeE,comdat
	.protected	_ZN7rocprim17ROCPRIM_400000_NS6detail31init_lookback_scan_state_kernelINS1_19lookback_scan_stateIjLb0ELb1EEENS1_16block_id_wrapperIjLb1EEEEEvT_jT0_jPNS7_10value_typeE ; -- Begin function _ZN7rocprim17ROCPRIM_400000_NS6detail31init_lookback_scan_state_kernelINS1_19lookback_scan_stateIjLb0ELb1EEENS1_16block_id_wrapperIjLb1EEEEEvT_jT0_jPNS7_10value_typeE
	.globl	_ZN7rocprim17ROCPRIM_400000_NS6detail31init_lookback_scan_state_kernelINS1_19lookback_scan_stateIjLb0ELb1EEENS1_16block_id_wrapperIjLb1EEEEEvT_jT0_jPNS7_10value_typeE
	.p2align	8
	.type	_ZN7rocprim17ROCPRIM_400000_NS6detail31init_lookback_scan_state_kernelINS1_19lookback_scan_stateIjLb0ELb1EEENS1_16block_id_wrapperIjLb1EEEEEvT_jT0_jPNS7_10value_typeE,@function
_ZN7rocprim17ROCPRIM_400000_NS6detail31init_lookback_scan_state_kernelINS1_19lookback_scan_stateIjLb0ELb1EEENS1_16block_id_wrapperIjLb1EEEEEvT_jT0_jPNS7_10value_typeE: ; @_ZN7rocprim17ROCPRIM_400000_NS6detail31init_lookback_scan_state_kernelINS1_19lookback_scan_stateIjLb0ELb1EEENS1_16block_id_wrapperIjLb1EEEEEvT_jT0_jPNS7_10value_typeE
; %bb.0:
	s_clause 0x3
	s_load_b32 s6, s[0:1], 0x34
	s_load_b64 s[4:5], s[0:1], 0x20
	s_load_b64 s[2:3], s[0:1], 0x0
	s_load_b32 s8, s[0:1], 0x8
	s_waitcnt lgkmcnt(0)
	s_and_b32 s6, s6, 0xffff
	s_cmp_eq_u64 s[4:5], 0
	v_mad_u64_u32 v[1:2], null, s15, s6, v[0:1]
	s_cbranch_scc1 .LBB195_6
; %bb.1:
	s_load_b32 s6, s[0:1], 0x18
	s_waitcnt lgkmcnt(0)
	s_cmp_lt_u32 s6, s8
	s_cselect_b32 s7, s6, 0
	s_delay_alu instid0(VALU_DEP_1) | instid1(SALU_CYCLE_1)
	v_cmp_eq_u32_e32 vcc_lo, s7, v1
	s_mov_b32 s7, 0
	s_and_saveexec_b32 s9, vcc_lo
	s_cbranch_execz .LBB195_5
; %bb.2:
	s_add_i32 s6, s6, 32
	v_mov_b32_e32 v4, 0
	s_lshl_b64 s[6:7], s[6:7], 3
	s_delay_alu instid0(SALU_CYCLE_1) | instskip(SKIP_4) | instid1(VALU_DEP_1)
	s_add_u32 s6, s2, s6
	s_addc_u32 s7, s3, s7
	global_load_b64 v[2:3], v4, s[6:7] glc
	s_waitcnt vmcnt(0)
	v_and_b32_e32 v5, 0xff, v3
	v_cmp_ne_u64_e32 vcc_lo, 0, v[4:5]
	s_cbranch_vccnz .LBB195_4
.LBB195_3:                              ; =>This Inner Loop Header: Depth=1
	global_load_b64 v[2:3], v4, s[6:7] glc
	s_waitcnt vmcnt(0)
	v_and_b32_e32 v5, 0xff, v3
	s_delay_alu instid0(VALU_DEP_1)
	v_cmp_eq_u64_e32 vcc_lo, 0, v[4:5]
	s_cbranch_vccnz .LBB195_3
.LBB195_4:
	v_mov_b32_e32 v0, 0
	global_store_b32 v0, v2, s[4:5]
.LBB195_5:
	s_or_b32 exec_lo, exec_lo, s9
.LBB195_6:
	s_delay_alu instid0(SALU_CYCLE_1) | instskip(NEXT) | instid1(VALU_DEP_1)
	s_mov_b32 s4, exec_lo
	v_cmpx_eq_u32_e32 0, v1
	s_cbranch_execz .LBB195_8
; %bb.7:
	s_load_b64 s[0:1], s[0:1], 0x10
	v_mov_b32_e32 v0, 0
	s_waitcnt lgkmcnt(0)
	global_store_b32 v0, v0, s[0:1]
.LBB195_8:
	s_or_b32 exec_lo, exec_lo, s4
	s_delay_alu instid0(SALU_CYCLE_1)
	s_mov_b32 s0, exec_lo
	v_cmpx_gt_u32_e64 s8, v1
	s_cbranch_execz .LBB195_10
; %bb.9:
	v_dual_mov_b32 v3, 0 :: v_dual_add_nc_u32 v2, 32, v1
	s_delay_alu instid0(VALU_DEP_1) | instskip(SKIP_1) | instid1(VALU_DEP_2)
	v_lshlrev_b64 v[4:5], 3, v[2:3]
	v_mov_b32_e32 v2, v3
	v_add_co_u32 v4, vcc_lo, s2, v4
	s_delay_alu instid0(VALU_DEP_3)
	v_add_co_ci_u32_e32 v5, vcc_lo, s3, v5, vcc_lo
	global_store_b64 v[4:5], v[2:3], off
.LBB195_10:
	s_or_b32 exec_lo, exec_lo, s0
	s_delay_alu instid0(SALU_CYCLE_1)
	s_mov_b32 s0, exec_lo
	v_cmpx_gt_u32_e32 32, v1
	s_cbranch_execz .LBB195_12
; %bb.11:
	v_dual_mov_b32 v2, 0 :: v_dual_mov_b32 v3, 0xff
	s_delay_alu instid0(VALU_DEP_1) | instskip(NEXT) | instid1(VALU_DEP_1)
	v_lshlrev_b64 v[0:1], 3, v[1:2]
	v_add_co_u32 v0, vcc_lo, s2, v0
	s_delay_alu instid0(VALU_DEP_2)
	v_add_co_ci_u32_e32 v1, vcc_lo, s3, v1, vcc_lo
	global_store_b64 v[0:1], v[2:3], off
.LBB195_12:
	s_nop 0
	s_sendmsg sendmsg(MSG_DEALLOC_VGPRS)
	s_endpgm
	.section	.rodata,"a",@progbits
	.p2align	6, 0x0
	.amdhsa_kernel _ZN7rocprim17ROCPRIM_400000_NS6detail31init_lookback_scan_state_kernelINS1_19lookback_scan_stateIjLb0ELb1EEENS1_16block_id_wrapperIjLb1EEEEEvT_jT0_jPNS7_10value_typeE
		.amdhsa_group_segment_fixed_size 0
		.amdhsa_private_segment_fixed_size 0
		.amdhsa_kernarg_size 296
		.amdhsa_user_sgpr_count 15
		.amdhsa_user_sgpr_dispatch_ptr 0
		.amdhsa_user_sgpr_queue_ptr 0
		.amdhsa_user_sgpr_kernarg_segment_ptr 1
		.amdhsa_user_sgpr_dispatch_id 0
		.amdhsa_user_sgpr_private_segment_size 0
		.amdhsa_wavefront_size32 1
		.amdhsa_uses_dynamic_stack 0
		.amdhsa_enable_private_segment 0
		.amdhsa_system_sgpr_workgroup_id_x 1
		.amdhsa_system_sgpr_workgroup_id_y 0
		.amdhsa_system_sgpr_workgroup_id_z 0
		.amdhsa_system_sgpr_workgroup_info 0
		.amdhsa_system_vgpr_workitem_id 0
		.amdhsa_next_free_vgpr 6
		.amdhsa_next_free_sgpr 16
		.amdhsa_reserve_vcc 1
		.amdhsa_float_round_mode_32 0
		.amdhsa_float_round_mode_16_64 0
		.amdhsa_float_denorm_mode_32 3
		.amdhsa_float_denorm_mode_16_64 3
		.amdhsa_dx10_clamp 1
		.amdhsa_ieee_mode 1
		.amdhsa_fp16_overflow 0
		.amdhsa_workgroup_processor_mode 1
		.amdhsa_memory_ordered 1
		.amdhsa_forward_progress 0
		.amdhsa_shared_vgpr_count 0
		.amdhsa_exception_fp_ieee_invalid_op 0
		.amdhsa_exception_fp_denorm_src 0
		.amdhsa_exception_fp_ieee_div_zero 0
		.amdhsa_exception_fp_ieee_overflow 0
		.amdhsa_exception_fp_ieee_underflow 0
		.amdhsa_exception_fp_ieee_inexact 0
		.amdhsa_exception_int_div_zero 0
	.end_amdhsa_kernel
	.section	.text._ZN7rocprim17ROCPRIM_400000_NS6detail31init_lookback_scan_state_kernelINS1_19lookback_scan_stateIjLb0ELb1EEENS1_16block_id_wrapperIjLb1EEEEEvT_jT0_jPNS7_10value_typeE,"axG",@progbits,_ZN7rocprim17ROCPRIM_400000_NS6detail31init_lookback_scan_state_kernelINS1_19lookback_scan_stateIjLb0ELb1EEENS1_16block_id_wrapperIjLb1EEEEEvT_jT0_jPNS7_10value_typeE,comdat
.Lfunc_end195:
	.size	_ZN7rocprim17ROCPRIM_400000_NS6detail31init_lookback_scan_state_kernelINS1_19lookback_scan_stateIjLb0ELb1EEENS1_16block_id_wrapperIjLb1EEEEEvT_jT0_jPNS7_10value_typeE, .Lfunc_end195-_ZN7rocprim17ROCPRIM_400000_NS6detail31init_lookback_scan_state_kernelINS1_19lookback_scan_stateIjLb0ELb1EEENS1_16block_id_wrapperIjLb1EEEEEvT_jT0_jPNS7_10value_typeE
                                        ; -- End function
	.section	.AMDGPU.csdata,"",@progbits
; Kernel info:
; codeLenInByte = 396
; NumSgprs: 18
; NumVgprs: 6
; ScratchSize: 0
; MemoryBound: 0
; FloatMode: 240
; IeeeMode: 1
; LDSByteSize: 0 bytes/workgroup (compile time only)
; SGPRBlocks: 2
; VGPRBlocks: 0
; NumSGPRsForWavesPerEU: 18
; NumVGPRsForWavesPerEU: 6
; Occupancy: 16
; WaveLimiterHint : 0
; COMPUTE_PGM_RSRC2:SCRATCH_EN: 0
; COMPUTE_PGM_RSRC2:USER_SGPR: 15
; COMPUTE_PGM_RSRC2:TRAP_HANDLER: 0
; COMPUTE_PGM_RSRC2:TGID_X_EN: 1
; COMPUTE_PGM_RSRC2:TGID_Y_EN: 0
; COMPUTE_PGM_RSRC2:TGID_Z_EN: 0
; COMPUTE_PGM_RSRC2:TIDIG_COMP_CNT: 0
	.section	.text._ZN7rocprim17ROCPRIM_400000_NS6detail17trampoline_kernelINS0_14default_configENS1_25partition_config_selectorILNS1_17partition_subalgoE8ElNS0_10empty_typeEbEEZZNS1_14partition_implILS5_8ELb0ES3_jPlPS6_PKS6_NS0_5tupleIJS9_S6_EEENSD_IJSA_SA_EEENS0_18inequality_wrapperIZN2at6native12_GLOBAL__N_124unique_dim_cuda_templateIhEESt5tupleIJNSH_6TensorESM_SM_EERKSM_lbbbEUlllE0_EEPmJS6_EEE10hipError_tPvRmT3_T4_T5_T6_T7_T9_mT8_P12ihipStream_tbDpT10_ENKUlT_T0_E_clISt17integral_constantIbLb0EES1B_IbLb1EEEEDaS17_S18_EUlS17_E_NS1_11comp_targetILNS1_3genE0ELNS1_11target_archE4294967295ELNS1_3gpuE0ELNS1_3repE0EEENS1_30default_config_static_selectorELNS0_4arch9wavefront6targetE0EEEvT1_,"axG",@progbits,_ZN7rocprim17ROCPRIM_400000_NS6detail17trampoline_kernelINS0_14default_configENS1_25partition_config_selectorILNS1_17partition_subalgoE8ElNS0_10empty_typeEbEEZZNS1_14partition_implILS5_8ELb0ES3_jPlPS6_PKS6_NS0_5tupleIJS9_S6_EEENSD_IJSA_SA_EEENS0_18inequality_wrapperIZN2at6native12_GLOBAL__N_124unique_dim_cuda_templateIhEESt5tupleIJNSH_6TensorESM_SM_EERKSM_lbbbEUlllE0_EEPmJS6_EEE10hipError_tPvRmT3_T4_T5_T6_T7_T9_mT8_P12ihipStream_tbDpT10_ENKUlT_T0_E_clISt17integral_constantIbLb0EES1B_IbLb1EEEEDaS17_S18_EUlS17_E_NS1_11comp_targetILNS1_3genE0ELNS1_11target_archE4294967295ELNS1_3gpuE0ELNS1_3repE0EEENS1_30default_config_static_selectorELNS0_4arch9wavefront6targetE0EEEvT1_,comdat
	.globl	_ZN7rocprim17ROCPRIM_400000_NS6detail17trampoline_kernelINS0_14default_configENS1_25partition_config_selectorILNS1_17partition_subalgoE8ElNS0_10empty_typeEbEEZZNS1_14partition_implILS5_8ELb0ES3_jPlPS6_PKS6_NS0_5tupleIJS9_S6_EEENSD_IJSA_SA_EEENS0_18inequality_wrapperIZN2at6native12_GLOBAL__N_124unique_dim_cuda_templateIhEESt5tupleIJNSH_6TensorESM_SM_EERKSM_lbbbEUlllE0_EEPmJS6_EEE10hipError_tPvRmT3_T4_T5_T6_T7_T9_mT8_P12ihipStream_tbDpT10_ENKUlT_T0_E_clISt17integral_constantIbLb0EES1B_IbLb1EEEEDaS17_S18_EUlS17_E_NS1_11comp_targetILNS1_3genE0ELNS1_11target_archE4294967295ELNS1_3gpuE0ELNS1_3repE0EEENS1_30default_config_static_selectorELNS0_4arch9wavefront6targetE0EEEvT1_ ; -- Begin function _ZN7rocprim17ROCPRIM_400000_NS6detail17trampoline_kernelINS0_14default_configENS1_25partition_config_selectorILNS1_17partition_subalgoE8ElNS0_10empty_typeEbEEZZNS1_14partition_implILS5_8ELb0ES3_jPlPS6_PKS6_NS0_5tupleIJS9_S6_EEENSD_IJSA_SA_EEENS0_18inequality_wrapperIZN2at6native12_GLOBAL__N_124unique_dim_cuda_templateIhEESt5tupleIJNSH_6TensorESM_SM_EERKSM_lbbbEUlllE0_EEPmJS6_EEE10hipError_tPvRmT3_T4_T5_T6_T7_T9_mT8_P12ihipStream_tbDpT10_ENKUlT_T0_E_clISt17integral_constantIbLb0EES1B_IbLb1EEEEDaS17_S18_EUlS17_E_NS1_11comp_targetILNS1_3genE0ELNS1_11target_archE4294967295ELNS1_3gpuE0ELNS1_3repE0EEENS1_30default_config_static_selectorELNS0_4arch9wavefront6targetE0EEEvT1_
	.p2align	8
	.type	_ZN7rocprim17ROCPRIM_400000_NS6detail17trampoline_kernelINS0_14default_configENS1_25partition_config_selectorILNS1_17partition_subalgoE8ElNS0_10empty_typeEbEEZZNS1_14partition_implILS5_8ELb0ES3_jPlPS6_PKS6_NS0_5tupleIJS9_S6_EEENSD_IJSA_SA_EEENS0_18inequality_wrapperIZN2at6native12_GLOBAL__N_124unique_dim_cuda_templateIhEESt5tupleIJNSH_6TensorESM_SM_EERKSM_lbbbEUlllE0_EEPmJS6_EEE10hipError_tPvRmT3_T4_T5_T6_T7_T9_mT8_P12ihipStream_tbDpT10_ENKUlT_T0_E_clISt17integral_constantIbLb0EES1B_IbLb1EEEEDaS17_S18_EUlS17_E_NS1_11comp_targetILNS1_3genE0ELNS1_11target_archE4294967295ELNS1_3gpuE0ELNS1_3repE0EEENS1_30default_config_static_selectorELNS0_4arch9wavefront6targetE0EEEvT1_,@function
_ZN7rocprim17ROCPRIM_400000_NS6detail17trampoline_kernelINS0_14default_configENS1_25partition_config_selectorILNS1_17partition_subalgoE8ElNS0_10empty_typeEbEEZZNS1_14partition_implILS5_8ELb0ES3_jPlPS6_PKS6_NS0_5tupleIJS9_S6_EEENSD_IJSA_SA_EEENS0_18inequality_wrapperIZN2at6native12_GLOBAL__N_124unique_dim_cuda_templateIhEESt5tupleIJNSH_6TensorESM_SM_EERKSM_lbbbEUlllE0_EEPmJS6_EEE10hipError_tPvRmT3_T4_T5_T6_T7_T9_mT8_P12ihipStream_tbDpT10_ENKUlT_T0_E_clISt17integral_constantIbLb0EES1B_IbLb1EEEEDaS17_S18_EUlS17_E_NS1_11comp_targetILNS1_3genE0ELNS1_11target_archE4294967295ELNS1_3gpuE0ELNS1_3repE0EEENS1_30default_config_static_selectorELNS0_4arch9wavefront6targetE0EEEvT1_: ; @_ZN7rocprim17ROCPRIM_400000_NS6detail17trampoline_kernelINS0_14default_configENS1_25partition_config_selectorILNS1_17partition_subalgoE8ElNS0_10empty_typeEbEEZZNS1_14partition_implILS5_8ELb0ES3_jPlPS6_PKS6_NS0_5tupleIJS9_S6_EEENSD_IJSA_SA_EEENS0_18inequality_wrapperIZN2at6native12_GLOBAL__N_124unique_dim_cuda_templateIhEESt5tupleIJNSH_6TensorESM_SM_EERKSM_lbbbEUlllE0_EEPmJS6_EEE10hipError_tPvRmT3_T4_T5_T6_T7_T9_mT8_P12ihipStream_tbDpT10_ENKUlT_T0_E_clISt17integral_constantIbLb0EES1B_IbLb1EEEEDaS17_S18_EUlS17_E_NS1_11comp_targetILNS1_3genE0ELNS1_11target_archE4294967295ELNS1_3gpuE0ELNS1_3repE0EEENS1_30default_config_static_selectorELNS0_4arch9wavefront6targetE0EEEvT1_
; %bb.0:
	.section	.rodata,"a",@progbits
	.p2align	6, 0x0
	.amdhsa_kernel _ZN7rocprim17ROCPRIM_400000_NS6detail17trampoline_kernelINS0_14default_configENS1_25partition_config_selectorILNS1_17partition_subalgoE8ElNS0_10empty_typeEbEEZZNS1_14partition_implILS5_8ELb0ES3_jPlPS6_PKS6_NS0_5tupleIJS9_S6_EEENSD_IJSA_SA_EEENS0_18inequality_wrapperIZN2at6native12_GLOBAL__N_124unique_dim_cuda_templateIhEESt5tupleIJNSH_6TensorESM_SM_EERKSM_lbbbEUlllE0_EEPmJS6_EEE10hipError_tPvRmT3_T4_T5_T6_T7_T9_mT8_P12ihipStream_tbDpT10_ENKUlT_T0_E_clISt17integral_constantIbLb0EES1B_IbLb1EEEEDaS17_S18_EUlS17_E_NS1_11comp_targetILNS1_3genE0ELNS1_11target_archE4294967295ELNS1_3gpuE0ELNS1_3repE0EEENS1_30default_config_static_selectorELNS0_4arch9wavefront6targetE0EEEvT1_
		.amdhsa_group_segment_fixed_size 0
		.amdhsa_private_segment_fixed_size 0
		.amdhsa_kernarg_size 136
		.amdhsa_user_sgpr_count 15
		.amdhsa_user_sgpr_dispatch_ptr 0
		.amdhsa_user_sgpr_queue_ptr 0
		.amdhsa_user_sgpr_kernarg_segment_ptr 1
		.amdhsa_user_sgpr_dispatch_id 0
		.amdhsa_user_sgpr_private_segment_size 0
		.amdhsa_wavefront_size32 1
		.amdhsa_uses_dynamic_stack 0
		.amdhsa_enable_private_segment 0
		.amdhsa_system_sgpr_workgroup_id_x 1
		.amdhsa_system_sgpr_workgroup_id_y 0
		.amdhsa_system_sgpr_workgroup_id_z 0
		.amdhsa_system_sgpr_workgroup_info 0
		.amdhsa_system_vgpr_workitem_id 0
		.amdhsa_next_free_vgpr 1
		.amdhsa_next_free_sgpr 1
		.amdhsa_reserve_vcc 0
		.amdhsa_float_round_mode_32 0
		.amdhsa_float_round_mode_16_64 0
		.amdhsa_float_denorm_mode_32 3
		.amdhsa_float_denorm_mode_16_64 3
		.amdhsa_dx10_clamp 1
		.amdhsa_ieee_mode 1
		.amdhsa_fp16_overflow 0
		.amdhsa_workgroup_processor_mode 1
		.amdhsa_memory_ordered 1
		.amdhsa_forward_progress 0
		.amdhsa_shared_vgpr_count 0
		.amdhsa_exception_fp_ieee_invalid_op 0
		.amdhsa_exception_fp_denorm_src 0
		.amdhsa_exception_fp_ieee_div_zero 0
		.amdhsa_exception_fp_ieee_overflow 0
		.amdhsa_exception_fp_ieee_underflow 0
		.amdhsa_exception_fp_ieee_inexact 0
		.amdhsa_exception_int_div_zero 0
	.end_amdhsa_kernel
	.section	.text._ZN7rocprim17ROCPRIM_400000_NS6detail17trampoline_kernelINS0_14default_configENS1_25partition_config_selectorILNS1_17partition_subalgoE8ElNS0_10empty_typeEbEEZZNS1_14partition_implILS5_8ELb0ES3_jPlPS6_PKS6_NS0_5tupleIJS9_S6_EEENSD_IJSA_SA_EEENS0_18inequality_wrapperIZN2at6native12_GLOBAL__N_124unique_dim_cuda_templateIhEESt5tupleIJNSH_6TensorESM_SM_EERKSM_lbbbEUlllE0_EEPmJS6_EEE10hipError_tPvRmT3_T4_T5_T6_T7_T9_mT8_P12ihipStream_tbDpT10_ENKUlT_T0_E_clISt17integral_constantIbLb0EES1B_IbLb1EEEEDaS17_S18_EUlS17_E_NS1_11comp_targetILNS1_3genE0ELNS1_11target_archE4294967295ELNS1_3gpuE0ELNS1_3repE0EEENS1_30default_config_static_selectorELNS0_4arch9wavefront6targetE0EEEvT1_,"axG",@progbits,_ZN7rocprim17ROCPRIM_400000_NS6detail17trampoline_kernelINS0_14default_configENS1_25partition_config_selectorILNS1_17partition_subalgoE8ElNS0_10empty_typeEbEEZZNS1_14partition_implILS5_8ELb0ES3_jPlPS6_PKS6_NS0_5tupleIJS9_S6_EEENSD_IJSA_SA_EEENS0_18inequality_wrapperIZN2at6native12_GLOBAL__N_124unique_dim_cuda_templateIhEESt5tupleIJNSH_6TensorESM_SM_EERKSM_lbbbEUlllE0_EEPmJS6_EEE10hipError_tPvRmT3_T4_T5_T6_T7_T9_mT8_P12ihipStream_tbDpT10_ENKUlT_T0_E_clISt17integral_constantIbLb0EES1B_IbLb1EEEEDaS17_S18_EUlS17_E_NS1_11comp_targetILNS1_3genE0ELNS1_11target_archE4294967295ELNS1_3gpuE0ELNS1_3repE0EEENS1_30default_config_static_selectorELNS0_4arch9wavefront6targetE0EEEvT1_,comdat
.Lfunc_end196:
	.size	_ZN7rocprim17ROCPRIM_400000_NS6detail17trampoline_kernelINS0_14default_configENS1_25partition_config_selectorILNS1_17partition_subalgoE8ElNS0_10empty_typeEbEEZZNS1_14partition_implILS5_8ELb0ES3_jPlPS6_PKS6_NS0_5tupleIJS9_S6_EEENSD_IJSA_SA_EEENS0_18inequality_wrapperIZN2at6native12_GLOBAL__N_124unique_dim_cuda_templateIhEESt5tupleIJNSH_6TensorESM_SM_EERKSM_lbbbEUlllE0_EEPmJS6_EEE10hipError_tPvRmT3_T4_T5_T6_T7_T9_mT8_P12ihipStream_tbDpT10_ENKUlT_T0_E_clISt17integral_constantIbLb0EES1B_IbLb1EEEEDaS17_S18_EUlS17_E_NS1_11comp_targetILNS1_3genE0ELNS1_11target_archE4294967295ELNS1_3gpuE0ELNS1_3repE0EEENS1_30default_config_static_selectorELNS0_4arch9wavefront6targetE0EEEvT1_, .Lfunc_end196-_ZN7rocprim17ROCPRIM_400000_NS6detail17trampoline_kernelINS0_14default_configENS1_25partition_config_selectorILNS1_17partition_subalgoE8ElNS0_10empty_typeEbEEZZNS1_14partition_implILS5_8ELb0ES3_jPlPS6_PKS6_NS0_5tupleIJS9_S6_EEENSD_IJSA_SA_EEENS0_18inequality_wrapperIZN2at6native12_GLOBAL__N_124unique_dim_cuda_templateIhEESt5tupleIJNSH_6TensorESM_SM_EERKSM_lbbbEUlllE0_EEPmJS6_EEE10hipError_tPvRmT3_T4_T5_T6_T7_T9_mT8_P12ihipStream_tbDpT10_ENKUlT_T0_E_clISt17integral_constantIbLb0EES1B_IbLb1EEEEDaS17_S18_EUlS17_E_NS1_11comp_targetILNS1_3genE0ELNS1_11target_archE4294967295ELNS1_3gpuE0ELNS1_3repE0EEENS1_30default_config_static_selectorELNS0_4arch9wavefront6targetE0EEEvT1_
                                        ; -- End function
	.section	.AMDGPU.csdata,"",@progbits
; Kernel info:
; codeLenInByte = 0
; NumSgprs: 0
; NumVgprs: 0
; ScratchSize: 0
; MemoryBound: 0
; FloatMode: 240
; IeeeMode: 1
; LDSByteSize: 0 bytes/workgroup (compile time only)
; SGPRBlocks: 0
; VGPRBlocks: 0
; NumSGPRsForWavesPerEU: 1
; NumVGPRsForWavesPerEU: 1
; Occupancy: 16
; WaveLimiterHint : 0
; COMPUTE_PGM_RSRC2:SCRATCH_EN: 0
; COMPUTE_PGM_RSRC2:USER_SGPR: 15
; COMPUTE_PGM_RSRC2:TRAP_HANDLER: 0
; COMPUTE_PGM_RSRC2:TGID_X_EN: 1
; COMPUTE_PGM_RSRC2:TGID_Y_EN: 0
; COMPUTE_PGM_RSRC2:TGID_Z_EN: 0
; COMPUTE_PGM_RSRC2:TIDIG_COMP_CNT: 0
	.section	.text._ZN7rocprim17ROCPRIM_400000_NS6detail17trampoline_kernelINS0_14default_configENS1_25partition_config_selectorILNS1_17partition_subalgoE8ElNS0_10empty_typeEbEEZZNS1_14partition_implILS5_8ELb0ES3_jPlPS6_PKS6_NS0_5tupleIJS9_S6_EEENSD_IJSA_SA_EEENS0_18inequality_wrapperIZN2at6native12_GLOBAL__N_124unique_dim_cuda_templateIhEESt5tupleIJNSH_6TensorESM_SM_EERKSM_lbbbEUlllE0_EEPmJS6_EEE10hipError_tPvRmT3_T4_T5_T6_T7_T9_mT8_P12ihipStream_tbDpT10_ENKUlT_T0_E_clISt17integral_constantIbLb0EES1B_IbLb1EEEEDaS17_S18_EUlS17_E_NS1_11comp_targetILNS1_3genE5ELNS1_11target_archE942ELNS1_3gpuE9ELNS1_3repE0EEENS1_30default_config_static_selectorELNS0_4arch9wavefront6targetE0EEEvT1_,"axG",@progbits,_ZN7rocprim17ROCPRIM_400000_NS6detail17trampoline_kernelINS0_14default_configENS1_25partition_config_selectorILNS1_17partition_subalgoE8ElNS0_10empty_typeEbEEZZNS1_14partition_implILS5_8ELb0ES3_jPlPS6_PKS6_NS0_5tupleIJS9_S6_EEENSD_IJSA_SA_EEENS0_18inequality_wrapperIZN2at6native12_GLOBAL__N_124unique_dim_cuda_templateIhEESt5tupleIJNSH_6TensorESM_SM_EERKSM_lbbbEUlllE0_EEPmJS6_EEE10hipError_tPvRmT3_T4_T5_T6_T7_T9_mT8_P12ihipStream_tbDpT10_ENKUlT_T0_E_clISt17integral_constantIbLb0EES1B_IbLb1EEEEDaS17_S18_EUlS17_E_NS1_11comp_targetILNS1_3genE5ELNS1_11target_archE942ELNS1_3gpuE9ELNS1_3repE0EEENS1_30default_config_static_selectorELNS0_4arch9wavefront6targetE0EEEvT1_,comdat
	.globl	_ZN7rocprim17ROCPRIM_400000_NS6detail17trampoline_kernelINS0_14default_configENS1_25partition_config_selectorILNS1_17partition_subalgoE8ElNS0_10empty_typeEbEEZZNS1_14partition_implILS5_8ELb0ES3_jPlPS6_PKS6_NS0_5tupleIJS9_S6_EEENSD_IJSA_SA_EEENS0_18inequality_wrapperIZN2at6native12_GLOBAL__N_124unique_dim_cuda_templateIhEESt5tupleIJNSH_6TensorESM_SM_EERKSM_lbbbEUlllE0_EEPmJS6_EEE10hipError_tPvRmT3_T4_T5_T6_T7_T9_mT8_P12ihipStream_tbDpT10_ENKUlT_T0_E_clISt17integral_constantIbLb0EES1B_IbLb1EEEEDaS17_S18_EUlS17_E_NS1_11comp_targetILNS1_3genE5ELNS1_11target_archE942ELNS1_3gpuE9ELNS1_3repE0EEENS1_30default_config_static_selectorELNS0_4arch9wavefront6targetE0EEEvT1_ ; -- Begin function _ZN7rocprim17ROCPRIM_400000_NS6detail17trampoline_kernelINS0_14default_configENS1_25partition_config_selectorILNS1_17partition_subalgoE8ElNS0_10empty_typeEbEEZZNS1_14partition_implILS5_8ELb0ES3_jPlPS6_PKS6_NS0_5tupleIJS9_S6_EEENSD_IJSA_SA_EEENS0_18inequality_wrapperIZN2at6native12_GLOBAL__N_124unique_dim_cuda_templateIhEESt5tupleIJNSH_6TensorESM_SM_EERKSM_lbbbEUlllE0_EEPmJS6_EEE10hipError_tPvRmT3_T4_T5_T6_T7_T9_mT8_P12ihipStream_tbDpT10_ENKUlT_T0_E_clISt17integral_constantIbLb0EES1B_IbLb1EEEEDaS17_S18_EUlS17_E_NS1_11comp_targetILNS1_3genE5ELNS1_11target_archE942ELNS1_3gpuE9ELNS1_3repE0EEENS1_30default_config_static_selectorELNS0_4arch9wavefront6targetE0EEEvT1_
	.p2align	8
	.type	_ZN7rocprim17ROCPRIM_400000_NS6detail17trampoline_kernelINS0_14default_configENS1_25partition_config_selectorILNS1_17partition_subalgoE8ElNS0_10empty_typeEbEEZZNS1_14partition_implILS5_8ELb0ES3_jPlPS6_PKS6_NS0_5tupleIJS9_S6_EEENSD_IJSA_SA_EEENS0_18inequality_wrapperIZN2at6native12_GLOBAL__N_124unique_dim_cuda_templateIhEESt5tupleIJNSH_6TensorESM_SM_EERKSM_lbbbEUlllE0_EEPmJS6_EEE10hipError_tPvRmT3_T4_T5_T6_T7_T9_mT8_P12ihipStream_tbDpT10_ENKUlT_T0_E_clISt17integral_constantIbLb0EES1B_IbLb1EEEEDaS17_S18_EUlS17_E_NS1_11comp_targetILNS1_3genE5ELNS1_11target_archE942ELNS1_3gpuE9ELNS1_3repE0EEENS1_30default_config_static_selectorELNS0_4arch9wavefront6targetE0EEEvT1_,@function
_ZN7rocprim17ROCPRIM_400000_NS6detail17trampoline_kernelINS0_14default_configENS1_25partition_config_selectorILNS1_17partition_subalgoE8ElNS0_10empty_typeEbEEZZNS1_14partition_implILS5_8ELb0ES3_jPlPS6_PKS6_NS0_5tupleIJS9_S6_EEENSD_IJSA_SA_EEENS0_18inequality_wrapperIZN2at6native12_GLOBAL__N_124unique_dim_cuda_templateIhEESt5tupleIJNSH_6TensorESM_SM_EERKSM_lbbbEUlllE0_EEPmJS6_EEE10hipError_tPvRmT3_T4_T5_T6_T7_T9_mT8_P12ihipStream_tbDpT10_ENKUlT_T0_E_clISt17integral_constantIbLb0EES1B_IbLb1EEEEDaS17_S18_EUlS17_E_NS1_11comp_targetILNS1_3genE5ELNS1_11target_archE942ELNS1_3gpuE9ELNS1_3repE0EEENS1_30default_config_static_selectorELNS0_4arch9wavefront6targetE0EEEvT1_: ; @_ZN7rocprim17ROCPRIM_400000_NS6detail17trampoline_kernelINS0_14default_configENS1_25partition_config_selectorILNS1_17partition_subalgoE8ElNS0_10empty_typeEbEEZZNS1_14partition_implILS5_8ELb0ES3_jPlPS6_PKS6_NS0_5tupleIJS9_S6_EEENSD_IJSA_SA_EEENS0_18inequality_wrapperIZN2at6native12_GLOBAL__N_124unique_dim_cuda_templateIhEESt5tupleIJNSH_6TensorESM_SM_EERKSM_lbbbEUlllE0_EEPmJS6_EEE10hipError_tPvRmT3_T4_T5_T6_T7_T9_mT8_P12ihipStream_tbDpT10_ENKUlT_T0_E_clISt17integral_constantIbLb0EES1B_IbLb1EEEEDaS17_S18_EUlS17_E_NS1_11comp_targetILNS1_3genE5ELNS1_11target_archE942ELNS1_3gpuE9ELNS1_3repE0EEENS1_30default_config_static_selectorELNS0_4arch9wavefront6targetE0EEEvT1_
; %bb.0:
	.section	.rodata,"a",@progbits
	.p2align	6, 0x0
	.amdhsa_kernel _ZN7rocprim17ROCPRIM_400000_NS6detail17trampoline_kernelINS0_14default_configENS1_25partition_config_selectorILNS1_17partition_subalgoE8ElNS0_10empty_typeEbEEZZNS1_14partition_implILS5_8ELb0ES3_jPlPS6_PKS6_NS0_5tupleIJS9_S6_EEENSD_IJSA_SA_EEENS0_18inequality_wrapperIZN2at6native12_GLOBAL__N_124unique_dim_cuda_templateIhEESt5tupleIJNSH_6TensorESM_SM_EERKSM_lbbbEUlllE0_EEPmJS6_EEE10hipError_tPvRmT3_T4_T5_T6_T7_T9_mT8_P12ihipStream_tbDpT10_ENKUlT_T0_E_clISt17integral_constantIbLb0EES1B_IbLb1EEEEDaS17_S18_EUlS17_E_NS1_11comp_targetILNS1_3genE5ELNS1_11target_archE942ELNS1_3gpuE9ELNS1_3repE0EEENS1_30default_config_static_selectorELNS0_4arch9wavefront6targetE0EEEvT1_
		.amdhsa_group_segment_fixed_size 0
		.amdhsa_private_segment_fixed_size 0
		.amdhsa_kernarg_size 136
		.amdhsa_user_sgpr_count 15
		.amdhsa_user_sgpr_dispatch_ptr 0
		.amdhsa_user_sgpr_queue_ptr 0
		.amdhsa_user_sgpr_kernarg_segment_ptr 1
		.amdhsa_user_sgpr_dispatch_id 0
		.amdhsa_user_sgpr_private_segment_size 0
		.amdhsa_wavefront_size32 1
		.amdhsa_uses_dynamic_stack 0
		.amdhsa_enable_private_segment 0
		.amdhsa_system_sgpr_workgroup_id_x 1
		.amdhsa_system_sgpr_workgroup_id_y 0
		.amdhsa_system_sgpr_workgroup_id_z 0
		.amdhsa_system_sgpr_workgroup_info 0
		.amdhsa_system_vgpr_workitem_id 0
		.amdhsa_next_free_vgpr 1
		.amdhsa_next_free_sgpr 1
		.amdhsa_reserve_vcc 0
		.amdhsa_float_round_mode_32 0
		.amdhsa_float_round_mode_16_64 0
		.amdhsa_float_denorm_mode_32 3
		.amdhsa_float_denorm_mode_16_64 3
		.amdhsa_dx10_clamp 1
		.amdhsa_ieee_mode 1
		.amdhsa_fp16_overflow 0
		.amdhsa_workgroup_processor_mode 1
		.amdhsa_memory_ordered 1
		.amdhsa_forward_progress 0
		.amdhsa_shared_vgpr_count 0
		.amdhsa_exception_fp_ieee_invalid_op 0
		.amdhsa_exception_fp_denorm_src 0
		.amdhsa_exception_fp_ieee_div_zero 0
		.amdhsa_exception_fp_ieee_overflow 0
		.amdhsa_exception_fp_ieee_underflow 0
		.amdhsa_exception_fp_ieee_inexact 0
		.amdhsa_exception_int_div_zero 0
	.end_amdhsa_kernel
	.section	.text._ZN7rocprim17ROCPRIM_400000_NS6detail17trampoline_kernelINS0_14default_configENS1_25partition_config_selectorILNS1_17partition_subalgoE8ElNS0_10empty_typeEbEEZZNS1_14partition_implILS5_8ELb0ES3_jPlPS6_PKS6_NS0_5tupleIJS9_S6_EEENSD_IJSA_SA_EEENS0_18inequality_wrapperIZN2at6native12_GLOBAL__N_124unique_dim_cuda_templateIhEESt5tupleIJNSH_6TensorESM_SM_EERKSM_lbbbEUlllE0_EEPmJS6_EEE10hipError_tPvRmT3_T4_T5_T6_T7_T9_mT8_P12ihipStream_tbDpT10_ENKUlT_T0_E_clISt17integral_constantIbLb0EES1B_IbLb1EEEEDaS17_S18_EUlS17_E_NS1_11comp_targetILNS1_3genE5ELNS1_11target_archE942ELNS1_3gpuE9ELNS1_3repE0EEENS1_30default_config_static_selectorELNS0_4arch9wavefront6targetE0EEEvT1_,"axG",@progbits,_ZN7rocprim17ROCPRIM_400000_NS6detail17trampoline_kernelINS0_14default_configENS1_25partition_config_selectorILNS1_17partition_subalgoE8ElNS0_10empty_typeEbEEZZNS1_14partition_implILS5_8ELb0ES3_jPlPS6_PKS6_NS0_5tupleIJS9_S6_EEENSD_IJSA_SA_EEENS0_18inequality_wrapperIZN2at6native12_GLOBAL__N_124unique_dim_cuda_templateIhEESt5tupleIJNSH_6TensorESM_SM_EERKSM_lbbbEUlllE0_EEPmJS6_EEE10hipError_tPvRmT3_T4_T5_T6_T7_T9_mT8_P12ihipStream_tbDpT10_ENKUlT_T0_E_clISt17integral_constantIbLb0EES1B_IbLb1EEEEDaS17_S18_EUlS17_E_NS1_11comp_targetILNS1_3genE5ELNS1_11target_archE942ELNS1_3gpuE9ELNS1_3repE0EEENS1_30default_config_static_selectorELNS0_4arch9wavefront6targetE0EEEvT1_,comdat
.Lfunc_end197:
	.size	_ZN7rocprim17ROCPRIM_400000_NS6detail17trampoline_kernelINS0_14default_configENS1_25partition_config_selectorILNS1_17partition_subalgoE8ElNS0_10empty_typeEbEEZZNS1_14partition_implILS5_8ELb0ES3_jPlPS6_PKS6_NS0_5tupleIJS9_S6_EEENSD_IJSA_SA_EEENS0_18inequality_wrapperIZN2at6native12_GLOBAL__N_124unique_dim_cuda_templateIhEESt5tupleIJNSH_6TensorESM_SM_EERKSM_lbbbEUlllE0_EEPmJS6_EEE10hipError_tPvRmT3_T4_T5_T6_T7_T9_mT8_P12ihipStream_tbDpT10_ENKUlT_T0_E_clISt17integral_constantIbLb0EES1B_IbLb1EEEEDaS17_S18_EUlS17_E_NS1_11comp_targetILNS1_3genE5ELNS1_11target_archE942ELNS1_3gpuE9ELNS1_3repE0EEENS1_30default_config_static_selectorELNS0_4arch9wavefront6targetE0EEEvT1_, .Lfunc_end197-_ZN7rocprim17ROCPRIM_400000_NS6detail17trampoline_kernelINS0_14default_configENS1_25partition_config_selectorILNS1_17partition_subalgoE8ElNS0_10empty_typeEbEEZZNS1_14partition_implILS5_8ELb0ES3_jPlPS6_PKS6_NS0_5tupleIJS9_S6_EEENSD_IJSA_SA_EEENS0_18inequality_wrapperIZN2at6native12_GLOBAL__N_124unique_dim_cuda_templateIhEESt5tupleIJNSH_6TensorESM_SM_EERKSM_lbbbEUlllE0_EEPmJS6_EEE10hipError_tPvRmT3_T4_T5_T6_T7_T9_mT8_P12ihipStream_tbDpT10_ENKUlT_T0_E_clISt17integral_constantIbLb0EES1B_IbLb1EEEEDaS17_S18_EUlS17_E_NS1_11comp_targetILNS1_3genE5ELNS1_11target_archE942ELNS1_3gpuE9ELNS1_3repE0EEENS1_30default_config_static_selectorELNS0_4arch9wavefront6targetE0EEEvT1_
                                        ; -- End function
	.section	.AMDGPU.csdata,"",@progbits
; Kernel info:
; codeLenInByte = 0
; NumSgprs: 0
; NumVgprs: 0
; ScratchSize: 0
; MemoryBound: 0
; FloatMode: 240
; IeeeMode: 1
; LDSByteSize: 0 bytes/workgroup (compile time only)
; SGPRBlocks: 0
; VGPRBlocks: 0
; NumSGPRsForWavesPerEU: 1
; NumVGPRsForWavesPerEU: 1
; Occupancy: 16
; WaveLimiterHint : 0
; COMPUTE_PGM_RSRC2:SCRATCH_EN: 0
; COMPUTE_PGM_RSRC2:USER_SGPR: 15
; COMPUTE_PGM_RSRC2:TRAP_HANDLER: 0
; COMPUTE_PGM_RSRC2:TGID_X_EN: 1
; COMPUTE_PGM_RSRC2:TGID_Y_EN: 0
; COMPUTE_PGM_RSRC2:TGID_Z_EN: 0
; COMPUTE_PGM_RSRC2:TIDIG_COMP_CNT: 0
	.section	.text._ZN7rocprim17ROCPRIM_400000_NS6detail17trampoline_kernelINS0_14default_configENS1_25partition_config_selectorILNS1_17partition_subalgoE8ElNS0_10empty_typeEbEEZZNS1_14partition_implILS5_8ELb0ES3_jPlPS6_PKS6_NS0_5tupleIJS9_S6_EEENSD_IJSA_SA_EEENS0_18inequality_wrapperIZN2at6native12_GLOBAL__N_124unique_dim_cuda_templateIhEESt5tupleIJNSH_6TensorESM_SM_EERKSM_lbbbEUlllE0_EEPmJS6_EEE10hipError_tPvRmT3_T4_T5_T6_T7_T9_mT8_P12ihipStream_tbDpT10_ENKUlT_T0_E_clISt17integral_constantIbLb0EES1B_IbLb1EEEEDaS17_S18_EUlS17_E_NS1_11comp_targetILNS1_3genE4ELNS1_11target_archE910ELNS1_3gpuE8ELNS1_3repE0EEENS1_30default_config_static_selectorELNS0_4arch9wavefront6targetE0EEEvT1_,"axG",@progbits,_ZN7rocprim17ROCPRIM_400000_NS6detail17trampoline_kernelINS0_14default_configENS1_25partition_config_selectorILNS1_17partition_subalgoE8ElNS0_10empty_typeEbEEZZNS1_14partition_implILS5_8ELb0ES3_jPlPS6_PKS6_NS0_5tupleIJS9_S6_EEENSD_IJSA_SA_EEENS0_18inequality_wrapperIZN2at6native12_GLOBAL__N_124unique_dim_cuda_templateIhEESt5tupleIJNSH_6TensorESM_SM_EERKSM_lbbbEUlllE0_EEPmJS6_EEE10hipError_tPvRmT3_T4_T5_T6_T7_T9_mT8_P12ihipStream_tbDpT10_ENKUlT_T0_E_clISt17integral_constantIbLb0EES1B_IbLb1EEEEDaS17_S18_EUlS17_E_NS1_11comp_targetILNS1_3genE4ELNS1_11target_archE910ELNS1_3gpuE8ELNS1_3repE0EEENS1_30default_config_static_selectorELNS0_4arch9wavefront6targetE0EEEvT1_,comdat
	.globl	_ZN7rocprim17ROCPRIM_400000_NS6detail17trampoline_kernelINS0_14default_configENS1_25partition_config_selectorILNS1_17partition_subalgoE8ElNS0_10empty_typeEbEEZZNS1_14partition_implILS5_8ELb0ES3_jPlPS6_PKS6_NS0_5tupleIJS9_S6_EEENSD_IJSA_SA_EEENS0_18inequality_wrapperIZN2at6native12_GLOBAL__N_124unique_dim_cuda_templateIhEESt5tupleIJNSH_6TensorESM_SM_EERKSM_lbbbEUlllE0_EEPmJS6_EEE10hipError_tPvRmT3_T4_T5_T6_T7_T9_mT8_P12ihipStream_tbDpT10_ENKUlT_T0_E_clISt17integral_constantIbLb0EES1B_IbLb1EEEEDaS17_S18_EUlS17_E_NS1_11comp_targetILNS1_3genE4ELNS1_11target_archE910ELNS1_3gpuE8ELNS1_3repE0EEENS1_30default_config_static_selectorELNS0_4arch9wavefront6targetE0EEEvT1_ ; -- Begin function _ZN7rocprim17ROCPRIM_400000_NS6detail17trampoline_kernelINS0_14default_configENS1_25partition_config_selectorILNS1_17partition_subalgoE8ElNS0_10empty_typeEbEEZZNS1_14partition_implILS5_8ELb0ES3_jPlPS6_PKS6_NS0_5tupleIJS9_S6_EEENSD_IJSA_SA_EEENS0_18inequality_wrapperIZN2at6native12_GLOBAL__N_124unique_dim_cuda_templateIhEESt5tupleIJNSH_6TensorESM_SM_EERKSM_lbbbEUlllE0_EEPmJS6_EEE10hipError_tPvRmT3_T4_T5_T6_T7_T9_mT8_P12ihipStream_tbDpT10_ENKUlT_T0_E_clISt17integral_constantIbLb0EES1B_IbLb1EEEEDaS17_S18_EUlS17_E_NS1_11comp_targetILNS1_3genE4ELNS1_11target_archE910ELNS1_3gpuE8ELNS1_3repE0EEENS1_30default_config_static_selectorELNS0_4arch9wavefront6targetE0EEEvT1_
	.p2align	8
	.type	_ZN7rocprim17ROCPRIM_400000_NS6detail17trampoline_kernelINS0_14default_configENS1_25partition_config_selectorILNS1_17partition_subalgoE8ElNS0_10empty_typeEbEEZZNS1_14partition_implILS5_8ELb0ES3_jPlPS6_PKS6_NS0_5tupleIJS9_S6_EEENSD_IJSA_SA_EEENS0_18inequality_wrapperIZN2at6native12_GLOBAL__N_124unique_dim_cuda_templateIhEESt5tupleIJNSH_6TensorESM_SM_EERKSM_lbbbEUlllE0_EEPmJS6_EEE10hipError_tPvRmT3_T4_T5_T6_T7_T9_mT8_P12ihipStream_tbDpT10_ENKUlT_T0_E_clISt17integral_constantIbLb0EES1B_IbLb1EEEEDaS17_S18_EUlS17_E_NS1_11comp_targetILNS1_3genE4ELNS1_11target_archE910ELNS1_3gpuE8ELNS1_3repE0EEENS1_30default_config_static_selectorELNS0_4arch9wavefront6targetE0EEEvT1_,@function
_ZN7rocprim17ROCPRIM_400000_NS6detail17trampoline_kernelINS0_14default_configENS1_25partition_config_selectorILNS1_17partition_subalgoE8ElNS0_10empty_typeEbEEZZNS1_14partition_implILS5_8ELb0ES3_jPlPS6_PKS6_NS0_5tupleIJS9_S6_EEENSD_IJSA_SA_EEENS0_18inequality_wrapperIZN2at6native12_GLOBAL__N_124unique_dim_cuda_templateIhEESt5tupleIJNSH_6TensorESM_SM_EERKSM_lbbbEUlllE0_EEPmJS6_EEE10hipError_tPvRmT3_T4_T5_T6_T7_T9_mT8_P12ihipStream_tbDpT10_ENKUlT_T0_E_clISt17integral_constantIbLb0EES1B_IbLb1EEEEDaS17_S18_EUlS17_E_NS1_11comp_targetILNS1_3genE4ELNS1_11target_archE910ELNS1_3gpuE8ELNS1_3repE0EEENS1_30default_config_static_selectorELNS0_4arch9wavefront6targetE0EEEvT1_: ; @_ZN7rocprim17ROCPRIM_400000_NS6detail17trampoline_kernelINS0_14default_configENS1_25partition_config_selectorILNS1_17partition_subalgoE8ElNS0_10empty_typeEbEEZZNS1_14partition_implILS5_8ELb0ES3_jPlPS6_PKS6_NS0_5tupleIJS9_S6_EEENSD_IJSA_SA_EEENS0_18inequality_wrapperIZN2at6native12_GLOBAL__N_124unique_dim_cuda_templateIhEESt5tupleIJNSH_6TensorESM_SM_EERKSM_lbbbEUlllE0_EEPmJS6_EEE10hipError_tPvRmT3_T4_T5_T6_T7_T9_mT8_P12ihipStream_tbDpT10_ENKUlT_T0_E_clISt17integral_constantIbLb0EES1B_IbLb1EEEEDaS17_S18_EUlS17_E_NS1_11comp_targetILNS1_3genE4ELNS1_11target_archE910ELNS1_3gpuE8ELNS1_3repE0EEENS1_30default_config_static_selectorELNS0_4arch9wavefront6targetE0EEEvT1_
; %bb.0:
	.section	.rodata,"a",@progbits
	.p2align	6, 0x0
	.amdhsa_kernel _ZN7rocprim17ROCPRIM_400000_NS6detail17trampoline_kernelINS0_14default_configENS1_25partition_config_selectorILNS1_17partition_subalgoE8ElNS0_10empty_typeEbEEZZNS1_14partition_implILS5_8ELb0ES3_jPlPS6_PKS6_NS0_5tupleIJS9_S6_EEENSD_IJSA_SA_EEENS0_18inequality_wrapperIZN2at6native12_GLOBAL__N_124unique_dim_cuda_templateIhEESt5tupleIJNSH_6TensorESM_SM_EERKSM_lbbbEUlllE0_EEPmJS6_EEE10hipError_tPvRmT3_T4_T5_T6_T7_T9_mT8_P12ihipStream_tbDpT10_ENKUlT_T0_E_clISt17integral_constantIbLb0EES1B_IbLb1EEEEDaS17_S18_EUlS17_E_NS1_11comp_targetILNS1_3genE4ELNS1_11target_archE910ELNS1_3gpuE8ELNS1_3repE0EEENS1_30default_config_static_selectorELNS0_4arch9wavefront6targetE0EEEvT1_
		.amdhsa_group_segment_fixed_size 0
		.amdhsa_private_segment_fixed_size 0
		.amdhsa_kernarg_size 136
		.amdhsa_user_sgpr_count 15
		.amdhsa_user_sgpr_dispatch_ptr 0
		.amdhsa_user_sgpr_queue_ptr 0
		.amdhsa_user_sgpr_kernarg_segment_ptr 1
		.amdhsa_user_sgpr_dispatch_id 0
		.amdhsa_user_sgpr_private_segment_size 0
		.amdhsa_wavefront_size32 1
		.amdhsa_uses_dynamic_stack 0
		.amdhsa_enable_private_segment 0
		.amdhsa_system_sgpr_workgroup_id_x 1
		.amdhsa_system_sgpr_workgroup_id_y 0
		.amdhsa_system_sgpr_workgroup_id_z 0
		.amdhsa_system_sgpr_workgroup_info 0
		.amdhsa_system_vgpr_workitem_id 0
		.amdhsa_next_free_vgpr 1
		.amdhsa_next_free_sgpr 1
		.amdhsa_reserve_vcc 0
		.amdhsa_float_round_mode_32 0
		.amdhsa_float_round_mode_16_64 0
		.amdhsa_float_denorm_mode_32 3
		.amdhsa_float_denorm_mode_16_64 3
		.amdhsa_dx10_clamp 1
		.amdhsa_ieee_mode 1
		.amdhsa_fp16_overflow 0
		.amdhsa_workgroup_processor_mode 1
		.amdhsa_memory_ordered 1
		.amdhsa_forward_progress 0
		.amdhsa_shared_vgpr_count 0
		.amdhsa_exception_fp_ieee_invalid_op 0
		.amdhsa_exception_fp_denorm_src 0
		.amdhsa_exception_fp_ieee_div_zero 0
		.amdhsa_exception_fp_ieee_overflow 0
		.amdhsa_exception_fp_ieee_underflow 0
		.amdhsa_exception_fp_ieee_inexact 0
		.amdhsa_exception_int_div_zero 0
	.end_amdhsa_kernel
	.section	.text._ZN7rocprim17ROCPRIM_400000_NS6detail17trampoline_kernelINS0_14default_configENS1_25partition_config_selectorILNS1_17partition_subalgoE8ElNS0_10empty_typeEbEEZZNS1_14partition_implILS5_8ELb0ES3_jPlPS6_PKS6_NS0_5tupleIJS9_S6_EEENSD_IJSA_SA_EEENS0_18inequality_wrapperIZN2at6native12_GLOBAL__N_124unique_dim_cuda_templateIhEESt5tupleIJNSH_6TensorESM_SM_EERKSM_lbbbEUlllE0_EEPmJS6_EEE10hipError_tPvRmT3_T4_T5_T6_T7_T9_mT8_P12ihipStream_tbDpT10_ENKUlT_T0_E_clISt17integral_constantIbLb0EES1B_IbLb1EEEEDaS17_S18_EUlS17_E_NS1_11comp_targetILNS1_3genE4ELNS1_11target_archE910ELNS1_3gpuE8ELNS1_3repE0EEENS1_30default_config_static_selectorELNS0_4arch9wavefront6targetE0EEEvT1_,"axG",@progbits,_ZN7rocprim17ROCPRIM_400000_NS6detail17trampoline_kernelINS0_14default_configENS1_25partition_config_selectorILNS1_17partition_subalgoE8ElNS0_10empty_typeEbEEZZNS1_14partition_implILS5_8ELb0ES3_jPlPS6_PKS6_NS0_5tupleIJS9_S6_EEENSD_IJSA_SA_EEENS0_18inequality_wrapperIZN2at6native12_GLOBAL__N_124unique_dim_cuda_templateIhEESt5tupleIJNSH_6TensorESM_SM_EERKSM_lbbbEUlllE0_EEPmJS6_EEE10hipError_tPvRmT3_T4_T5_T6_T7_T9_mT8_P12ihipStream_tbDpT10_ENKUlT_T0_E_clISt17integral_constantIbLb0EES1B_IbLb1EEEEDaS17_S18_EUlS17_E_NS1_11comp_targetILNS1_3genE4ELNS1_11target_archE910ELNS1_3gpuE8ELNS1_3repE0EEENS1_30default_config_static_selectorELNS0_4arch9wavefront6targetE0EEEvT1_,comdat
.Lfunc_end198:
	.size	_ZN7rocprim17ROCPRIM_400000_NS6detail17trampoline_kernelINS0_14default_configENS1_25partition_config_selectorILNS1_17partition_subalgoE8ElNS0_10empty_typeEbEEZZNS1_14partition_implILS5_8ELb0ES3_jPlPS6_PKS6_NS0_5tupleIJS9_S6_EEENSD_IJSA_SA_EEENS0_18inequality_wrapperIZN2at6native12_GLOBAL__N_124unique_dim_cuda_templateIhEESt5tupleIJNSH_6TensorESM_SM_EERKSM_lbbbEUlllE0_EEPmJS6_EEE10hipError_tPvRmT3_T4_T5_T6_T7_T9_mT8_P12ihipStream_tbDpT10_ENKUlT_T0_E_clISt17integral_constantIbLb0EES1B_IbLb1EEEEDaS17_S18_EUlS17_E_NS1_11comp_targetILNS1_3genE4ELNS1_11target_archE910ELNS1_3gpuE8ELNS1_3repE0EEENS1_30default_config_static_selectorELNS0_4arch9wavefront6targetE0EEEvT1_, .Lfunc_end198-_ZN7rocprim17ROCPRIM_400000_NS6detail17trampoline_kernelINS0_14default_configENS1_25partition_config_selectorILNS1_17partition_subalgoE8ElNS0_10empty_typeEbEEZZNS1_14partition_implILS5_8ELb0ES3_jPlPS6_PKS6_NS0_5tupleIJS9_S6_EEENSD_IJSA_SA_EEENS0_18inequality_wrapperIZN2at6native12_GLOBAL__N_124unique_dim_cuda_templateIhEESt5tupleIJNSH_6TensorESM_SM_EERKSM_lbbbEUlllE0_EEPmJS6_EEE10hipError_tPvRmT3_T4_T5_T6_T7_T9_mT8_P12ihipStream_tbDpT10_ENKUlT_T0_E_clISt17integral_constantIbLb0EES1B_IbLb1EEEEDaS17_S18_EUlS17_E_NS1_11comp_targetILNS1_3genE4ELNS1_11target_archE910ELNS1_3gpuE8ELNS1_3repE0EEENS1_30default_config_static_selectorELNS0_4arch9wavefront6targetE0EEEvT1_
                                        ; -- End function
	.section	.AMDGPU.csdata,"",@progbits
; Kernel info:
; codeLenInByte = 0
; NumSgprs: 0
; NumVgprs: 0
; ScratchSize: 0
; MemoryBound: 0
; FloatMode: 240
; IeeeMode: 1
; LDSByteSize: 0 bytes/workgroup (compile time only)
; SGPRBlocks: 0
; VGPRBlocks: 0
; NumSGPRsForWavesPerEU: 1
; NumVGPRsForWavesPerEU: 1
; Occupancy: 16
; WaveLimiterHint : 0
; COMPUTE_PGM_RSRC2:SCRATCH_EN: 0
; COMPUTE_PGM_RSRC2:USER_SGPR: 15
; COMPUTE_PGM_RSRC2:TRAP_HANDLER: 0
; COMPUTE_PGM_RSRC2:TGID_X_EN: 1
; COMPUTE_PGM_RSRC2:TGID_Y_EN: 0
; COMPUTE_PGM_RSRC2:TGID_Z_EN: 0
; COMPUTE_PGM_RSRC2:TIDIG_COMP_CNT: 0
	.section	.text._ZN7rocprim17ROCPRIM_400000_NS6detail17trampoline_kernelINS0_14default_configENS1_25partition_config_selectorILNS1_17partition_subalgoE8ElNS0_10empty_typeEbEEZZNS1_14partition_implILS5_8ELb0ES3_jPlPS6_PKS6_NS0_5tupleIJS9_S6_EEENSD_IJSA_SA_EEENS0_18inequality_wrapperIZN2at6native12_GLOBAL__N_124unique_dim_cuda_templateIhEESt5tupleIJNSH_6TensorESM_SM_EERKSM_lbbbEUlllE0_EEPmJS6_EEE10hipError_tPvRmT3_T4_T5_T6_T7_T9_mT8_P12ihipStream_tbDpT10_ENKUlT_T0_E_clISt17integral_constantIbLb0EES1B_IbLb1EEEEDaS17_S18_EUlS17_E_NS1_11comp_targetILNS1_3genE3ELNS1_11target_archE908ELNS1_3gpuE7ELNS1_3repE0EEENS1_30default_config_static_selectorELNS0_4arch9wavefront6targetE0EEEvT1_,"axG",@progbits,_ZN7rocprim17ROCPRIM_400000_NS6detail17trampoline_kernelINS0_14default_configENS1_25partition_config_selectorILNS1_17partition_subalgoE8ElNS0_10empty_typeEbEEZZNS1_14partition_implILS5_8ELb0ES3_jPlPS6_PKS6_NS0_5tupleIJS9_S6_EEENSD_IJSA_SA_EEENS0_18inequality_wrapperIZN2at6native12_GLOBAL__N_124unique_dim_cuda_templateIhEESt5tupleIJNSH_6TensorESM_SM_EERKSM_lbbbEUlllE0_EEPmJS6_EEE10hipError_tPvRmT3_T4_T5_T6_T7_T9_mT8_P12ihipStream_tbDpT10_ENKUlT_T0_E_clISt17integral_constantIbLb0EES1B_IbLb1EEEEDaS17_S18_EUlS17_E_NS1_11comp_targetILNS1_3genE3ELNS1_11target_archE908ELNS1_3gpuE7ELNS1_3repE0EEENS1_30default_config_static_selectorELNS0_4arch9wavefront6targetE0EEEvT1_,comdat
	.globl	_ZN7rocprim17ROCPRIM_400000_NS6detail17trampoline_kernelINS0_14default_configENS1_25partition_config_selectorILNS1_17partition_subalgoE8ElNS0_10empty_typeEbEEZZNS1_14partition_implILS5_8ELb0ES3_jPlPS6_PKS6_NS0_5tupleIJS9_S6_EEENSD_IJSA_SA_EEENS0_18inequality_wrapperIZN2at6native12_GLOBAL__N_124unique_dim_cuda_templateIhEESt5tupleIJNSH_6TensorESM_SM_EERKSM_lbbbEUlllE0_EEPmJS6_EEE10hipError_tPvRmT3_T4_T5_T6_T7_T9_mT8_P12ihipStream_tbDpT10_ENKUlT_T0_E_clISt17integral_constantIbLb0EES1B_IbLb1EEEEDaS17_S18_EUlS17_E_NS1_11comp_targetILNS1_3genE3ELNS1_11target_archE908ELNS1_3gpuE7ELNS1_3repE0EEENS1_30default_config_static_selectorELNS0_4arch9wavefront6targetE0EEEvT1_ ; -- Begin function _ZN7rocprim17ROCPRIM_400000_NS6detail17trampoline_kernelINS0_14default_configENS1_25partition_config_selectorILNS1_17partition_subalgoE8ElNS0_10empty_typeEbEEZZNS1_14partition_implILS5_8ELb0ES3_jPlPS6_PKS6_NS0_5tupleIJS9_S6_EEENSD_IJSA_SA_EEENS0_18inequality_wrapperIZN2at6native12_GLOBAL__N_124unique_dim_cuda_templateIhEESt5tupleIJNSH_6TensorESM_SM_EERKSM_lbbbEUlllE0_EEPmJS6_EEE10hipError_tPvRmT3_T4_T5_T6_T7_T9_mT8_P12ihipStream_tbDpT10_ENKUlT_T0_E_clISt17integral_constantIbLb0EES1B_IbLb1EEEEDaS17_S18_EUlS17_E_NS1_11comp_targetILNS1_3genE3ELNS1_11target_archE908ELNS1_3gpuE7ELNS1_3repE0EEENS1_30default_config_static_selectorELNS0_4arch9wavefront6targetE0EEEvT1_
	.p2align	8
	.type	_ZN7rocprim17ROCPRIM_400000_NS6detail17trampoline_kernelINS0_14default_configENS1_25partition_config_selectorILNS1_17partition_subalgoE8ElNS0_10empty_typeEbEEZZNS1_14partition_implILS5_8ELb0ES3_jPlPS6_PKS6_NS0_5tupleIJS9_S6_EEENSD_IJSA_SA_EEENS0_18inequality_wrapperIZN2at6native12_GLOBAL__N_124unique_dim_cuda_templateIhEESt5tupleIJNSH_6TensorESM_SM_EERKSM_lbbbEUlllE0_EEPmJS6_EEE10hipError_tPvRmT3_T4_T5_T6_T7_T9_mT8_P12ihipStream_tbDpT10_ENKUlT_T0_E_clISt17integral_constantIbLb0EES1B_IbLb1EEEEDaS17_S18_EUlS17_E_NS1_11comp_targetILNS1_3genE3ELNS1_11target_archE908ELNS1_3gpuE7ELNS1_3repE0EEENS1_30default_config_static_selectorELNS0_4arch9wavefront6targetE0EEEvT1_,@function
_ZN7rocprim17ROCPRIM_400000_NS6detail17trampoline_kernelINS0_14default_configENS1_25partition_config_selectorILNS1_17partition_subalgoE8ElNS0_10empty_typeEbEEZZNS1_14partition_implILS5_8ELb0ES3_jPlPS6_PKS6_NS0_5tupleIJS9_S6_EEENSD_IJSA_SA_EEENS0_18inequality_wrapperIZN2at6native12_GLOBAL__N_124unique_dim_cuda_templateIhEESt5tupleIJNSH_6TensorESM_SM_EERKSM_lbbbEUlllE0_EEPmJS6_EEE10hipError_tPvRmT3_T4_T5_T6_T7_T9_mT8_P12ihipStream_tbDpT10_ENKUlT_T0_E_clISt17integral_constantIbLb0EES1B_IbLb1EEEEDaS17_S18_EUlS17_E_NS1_11comp_targetILNS1_3genE3ELNS1_11target_archE908ELNS1_3gpuE7ELNS1_3repE0EEENS1_30default_config_static_selectorELNS0_4arch9wavefront6targetE0EEEvT1_: ; @_ZN7rocprim17ROCPRIM_400000_NS6detail17trampoline_kernelINS0_14default_configENS1_25partition_config_selectorILNS1_17partition_subalgoE8ElNS0_10empty_typeEbEEZZNS1_14partition_implILS5_8ELb0ES3_jPlPS6_PKS6_NS0_5tupleIJS9_S6_EEENSD_IJSA_SA_EEENS0_18inequality_wrapperIZN2at6native12_GLOBAL__N_124unique_dim_cuda_templateIhEESt5tupleIJNSH_6TensorESM_SM_EERKSM_lbbbEUlllE0_EEPmJS6_EEE10hipError_tPvRmT3_T4_T5_T6_T7_T9_mT8_P12ihipStream_tbDpT10_ENKUlT_T0_E_clISt17integral_constantIbLb0EES1B_IbLb1EEEEDaS17_S18_EUlS17_E_NS1_11comp_targetILNS1_3genE3ELNS1_11target_archE908ELNS1_3gpuE7ELNS1_3repE0EEENS1_30default_config_static_selectorELNS0_4arch9wavefront6targetE0EEEvT1_
; %bb.0:
	.section	.rodata,"a",@progbits
	.p2align	6, 0x0
	.amdhsa_kernel _ZN7rocprim17ROCPRIM_400000_NS6detail17trampoline_kernelINS0_14default_configENS1_25partition_config_selectorILNS1_17partition_subalgoE8ElNS0_10empty_typeEbEEZZNS1_14partition_implILS5_8ELb0ES3_jPlPS6_PKS6_NS0_5tupleIJS9_S6_EEENSD_IJSA_SA_EEENS0_18inequality_wrapperIZN2at6native12_GLOBAL__N_124unique_dim_cuda_templateIhEESt5tupleIJNSH_6TensorESM_SM_EERKSM_lbbbEUlllE0_EEPmJS6_EEE10hipError_tPvRmT3_T4_T5_T6_T7_T9_mT8_P12ihipStream_tbDpT10_ENKUlT_T0_E_clISt17integral_constantIbLb0EES1B_IbLb1EEEEDaS17_S18_EUlS17_E_NS1_11comp_targetILNS1_3genE3ELNS1_11target_archE908ELNS1_3gpuE7ELNS1_3repE0EEENS1_30default_config_static_selectorELNS0_4arch9wavefront6targetE0EEEvT1_
		.amdhsa_group_segment_fixed_size 0
		.amdhsa_private_segment_fixed_size 0
		.amdhsa_kernarg_size 136
		.amdhsa_user_sgpr_count 15
		.amdhsa_user_sgpr_dispatch_ptr 0
		.amdhsa_user_sgpr_queue_ptr 0
		.amdhsa_user_sgpr_kernarg_segment_ptr 1
		.amdhsa_user_sgpr_dispatch_id 0
		.amdhsa_user_sgpr_private_segment_size 0
		.amdhsa_wavefront_size32 1
		.amdhsa_uses_dynamic_stack 0
		.amdhsa_enable_private_segment 0
		.amdhsa_system_sgpr_workgroup_id_x 1
		.amdhsa_system_sgpr_workgroup_id_y 0
		.amdhsa_system_sgpr_workgroup_id_z 0
		.amdhsa_system_sgpr_workgroup_info 0
		.amdhsa_system_vgpr_workitem_id 0
		.amdhsa_next_free_vgpr 1
		.amdhsa_next_free_sgpr 1
		.amdhsa_reserve_vcc 0
		.amdhsa_float_round_mode_32 0
		.amdhsa_float_round_mode_16_64 0
		.amdhsa_float_denorm_mode_32 3
		.amdhsa_float_denorm_mode_16_64 3
		.amdhsa_dx10_clamp 1
		.amdhsa_ieee_mode 1
		.amdhsa_fp16_overflow 0
		.amdhsa_workgroup_processor_mode 1
		.amdhsa_memory_ordered 1
		.amdhsa_forward_progress 0
		.amdhsa_shared_vgpr_count 0
		.amdhsa_exception_fp_ieee_invalid_op 0
		.amdhsa_exception_fp_denorm_src 0
		.amdhsa_exception_fp_ieee_div_zero 0
		.amdhsa_exception_fp_ieee_overflow 0
		.amdhsa_exception_fp_ieee_underflow 0
		.amdhsa_exception_fp_ieee_inexact 0
		.amdhsa_exception_int_div_zero 0
	.end_amdhsa_kernel
	.section	.text._ZN7rocprim17ROCPRIM_400000_NS6detail17trampoline_kernelINS0_14default_configENS1_25partition_config_selectorILNS1_17partition_subalgoE8ElNS0_10empty_typeEbEEZZNS1_14partition_implILS5_8ELb0ES3_jPlPS6_PKS6_NS0_5tupleIJS9_S6_EEENSD_IJSA_SA_EEENS0_18inequality_wrapperIZN2at6native12_GLOBAL__N_124unique_dim_cuda_templateIhEESt5tupleIJNSH_6TensorESM_SM_EERKSM_lbbbEUlllE0_EEPmJS6_EEE10hipError_tPvRmT3_T4_T5_T6_T7_T9_mT8_P12ihipStream_tbDpT10_ENKUlT_T0_E_clISt17integral_constantIbLb0EES1B_IbLb1EEEEDaS17_S18_EUlS17_E_NS1_11comp_targetILNS1_3genE3ELNS1_11target_archE908ELNS1_3gpuE7ELNS1_3repE0EEENS1_30default_config_static_selectorELNS0_4arch9wavefront6targetE0EEEvT1_,"axG",@progbits,_ZN7rocprim17ROCPRIM_400000_NS6detail17trampoline_kernelINS0_14default_configENS1_25partition_config_selectorILNS1_17partition_subalgoE8ElNS0_10empty_typeEbEEZZNS1_14partition_implILS5_8ELb0ES3_jPlPS6_PKS6_NS0_5tupleIJS9_S6_EEENSD_IJSA_SA_EEENS0_18inequality_wrapperIZN2at6native12_GLOBAL__N_124unique_dim_cuda_templateIhEESt5tupleIJNSH_6TensorESM_SM_EERKSM_lbbbEUlllE0_EEPmJS6_EEE10hipError_tPvRmT3_T4_T5_T6_T7_T9_mT8_P12ihipStream_tbDpT10_ENKUlT_T0_E_clISt17integral_constantIbLb0EES1B_IbLb1EEEEDaS17_S18_EUlS17_E_NS1_11comp_targetILNS1_3genE3ELNS1_11target_archE908ELNS1_3gpuE7ELNS1_3repE0EEENS1_30default_config_static_selectorELNS0_4arch9wavefront6targetE0EEEvT1_,comdat
.Lfunc_end199:
	.size	_ZN7rocprim17ROCPRIM_400000_NS6detail17trampoline_kernelINS0_14default_configENS1_25partition_config_selectorILNS1_17partition_subalgoE8ElNS0_10empty_typeEbEEZZNS1_14partition_implILS5_8ELb0ES3_jPlPS6_PKS6_NS0_5tupleIJS9_S6_EEENSD_IJSA_SA_EEENS0_18inequality_wrapperIZN2at6native12_GLOBAL__N_124unique_dim_cuda_templateIhEESt5tupleIJNSH_6TensorESM_SM_EERKSM_lbbbEUlllE0_EEPmJS6_EEE10hipError_tPvRmT3_T4_T5_T6_T7_T9_mT8_P12ihipStream_tbDpT10_ENKUlT_T0_E_clISt17integral_constantIbLb0EES1B_IbLb1EEEEDaS17_S18_EUlS17_E_NS1_11comp_targetILNS1_3genE3ELNS1_11target_archE908ELNS1_3gpuE7ELNS1_3repE0EEENS1_30default_config_static_selectorELNS0_4arch9wavefront6targetE0EEEvT1_, .Lfunc_end199-_ZN7rocprim17ROCPRIM_400000_NS6detail17trampoline_kernelINS0_14default_configENS1_25partition_config_selectorILNS1_17partition_subalgoE8ElNS0_10empty_typeEbEEZZNS1_14partition_implILS5_8ELb0ES3_jPlPS6_PKS6_NS0_5tupleIJS9_S6_EEENSD_IJSA_SA_EEENS0_18inequality_wrapperIZN2at6native12_GLOBAL__N_124unique_dim_cuda_templateIhEESt5tupleIJNSH_6TensorESM_SM_EERKSM_lbbbEUlllE0_EEPmJS6_EEE10hipError_tPvRmT3_T4_T5_T6_T7_T9_mT8_P12ihipStream_tbDpT10_ENKUlT_T0_E_clISt17integral_constantIbLb0EES1B_IbLb1EEEEDaS17_S18_EUlS17_E_NS1_11comp_targetILNS1_3genE3ELNS1_11target_archE908ELNS1_3gpuE7ELNS1_3repE0EEENS1_30default_config_static_selectorELNS0_4arch9wavefront6targetE0EEEvT1_
                                        ; -- End function
	.section	.AMDGPU.csdata,"",@progbits
; Kernel info:
; codeLenInByte = 0
; NumSgprs: 0
; NumVgprs: 0
; ScratchSize: 0
; MemoryBound: 0
; FloatMode: 240
; IeeeMode: 1
; LDSByteSize: 0 bytes/workgroup (compile time only)
; SGPRBlocks: 0
; VGPRBlocks: 0
; NumSGPRsForWavesPerEU: 1
; NumVGPRsForWavesPerEU: 1
; Occupancy: 16
; WaveLimiterHint : 0
; COMPUTE_PGM_RSRC2:SCRATCH_EN: 0
; COMPUTE_PGM_RSRC2:USER_SGPR: 15
; COMPUTE_PGM_RSRC2:TRAP_HANDLER: 0
; COMPUTE_PGM_RSRC2:TGID_X_EN: 1
; COMPUTE_PGM_RSRC2:TGID_Y_EN: 0
; COMPUTE_PGM_RSRC2:TGID_Z_EN: 0
; COMPUTE_PGM_RSRC2:TIDIG_COMP_CNT: 0
	.section	.text._ZN7rocprim17ROCPRIM_400000_NS6detail17trampoline_kernelINS0_14default_configENS1_25partition_config_selectorILNS1_17partition_subalgoE8ElNS0_10empty_typeEbEEZZNS1_14partition_implILS5_8ELb0ES3_jPlPS6_PKS6_NS0_5tupleIJS9_S6_EEENSD_IJSA_SA_EEENS0_18inequality_wrapperIZN2at6native12_GLOBAL__N_124unique_dim_cuda_templateIhEESt5tupleIJNSH_6TensorESM_SM_EERKSM_lbbbEUlllE0_EEPmJS6_EEE10hipError_tPvRmT3_T4_T5_T6_T7_T9_mT8_P12ihipStream_tbDpT10_ENKUlT_T0_E_clISt17integral_constantIbLb0EES1B_IbLb1EEEEDaS17_S18_EUlS17_E_NS1_11comp_targetILNS1_3genE2ELNS1_11target_archE906ELNS1_3gpuE6ELNS1_3repE0EEENS1_30default_config_static_selectorELNS0_4arch9wavefront6targetE0EEEvT1_,"axG",@progbits,_ZN7rocprim17ROCPRIM_400000_NS6detail17trampoline_kernelINS0_14default_configENS1_25partition_config_selectorILNS1_17partition_subalgoE8ElNS0_10empty_typeEbEEZZNS1_14partition_implILS5_8ELb0ES3_jPlPS6_PKS6_NS0_5tupleIJS9_S6_EEENSD_IJSA_SA_EEENS0_18inequality_wrapperIZN2at6native12_GLOBAL__N_124unique_dim_cuda_templateIhEESt5tupleIJNSH_6TensorESM_SM_EERKSM_lbbbEUlllE0_EEPmJS6_EEE10hipError_tPvRmT3_T4_T5_T6_T7_T9_mT8_P12ihipStream_tbDpT10_ENKUlT_T0_E_clISt17integral_constantIbLb0EES1B_IbLb1EEEEDaS17_S18_EUlS17_E_NS1_11comp_targetILNS1_3genE2ELNS1_11target_archE906ELNS1_3gpuE6ELNS1_3repE0EEENS1_30default_config_static_selectorELNS0_4arch9wavefront6targetE0EEEvT1_,comdat
	.globl	_ZN7rocprim17ROCPRIM_400000_NS6detail17trampoline_kernelINS0_14default_configENS1_25partition_config_selectorILNS1_17partition_subalgoE8ElNS0_10empty_typeEbEEZZNS1_14partition_implILS5_8ELb0ES3_jPlPS6_PKS6_NS0_5tupleIJS9_S6_EEENSD_IJSA_SA_EEENS0_18inequality_wrapperIZN2at6native12_GLOBAL__N_124unique_dim_cuda_templateIhEESt5tupleIJNSH_6TensorESM_SM_EERKSM_lbbbEUlllE0_EEPmJS6_EEE10hipError_tPvRmT3_T4_T5_T6_T7_T9_mT8_P12ihipStream_tbDpT10_ENKUlT_T0_E_clISt17integral_constantIbLb0EES1B_IbLb1EEEEDaS17_S18_EUlS17_E_NS1_11comp_targetILNS1_3genE2ELNS1_11target_archE906ELNS1_3gpuE6ELNS1_3repE0EEENS1_30default_config_static_selectorELNS0_4arch9wavefront6targetE0EEEvT1_ ; -- Begin function _ZN7rocprim17ROCPRIM_400000_NS6detail17trampoline_kernelINS0_14default_configENS1_25partition_config_selectorILNS1_17partition_subalgoE8ElNS0_10empty_typeEbEEZZNS1_14partition_implILS5_8ELb0ES3_jPlPS6_PKS6_NS0_5tupleIJS9_S6_EEENSD_IJSA_SA_EEENS0_18inequality_wrapperIZN2at6native12_GLOBAL__N_124unique_dim_cuda_templateIhEESt5tupleIJNSH_6TensorESM_SM_EERKSM_lbbbEUlllE0_EEPmJS6_EEE10hipError_tPvRmT3_T4_T5_T6_T7_T9_mT8_P12ihipStream_tbDpT10_ENKUlT_T0_E_clISt17integral_constantIbLb0EES1B_IbLb1EEEEDaS17_S18_EUlS17_E_NS1_11comp_targetILNS1_3genE2ELNS1_11target_archE906ELNS1_3gpuE6ELNS1_3repE0EEENS1_30default_config_static_selectorELNS0_4arch9wavefront6targetE0EEEvT1_
	.p2align	8
	.type	_ZN7rocprim17ROCPRIM_400000_NS6detail17trampoline_kernelINS0_14default_configENS1_25partition_config_selectorILNS1_17partition_subalgoE8ElNS0_10empty_typeEbEEZZNS1_14partition_implILS5_8ELb0ES3_jPlPS6_PKS6_NS0_5tupleIJS9_S6_EEENSD_IJSA_SA_EEENS0_18inequality_wrapperIZN2at6native12_GLOBAL__N_124unique_dim_cuda_templateIhEESt5tupleIJNSH_6TensorESM_SM_EERKSM_lbbbEUlllE0_EEPmJS6_EEE10hipError_tPvRmT3_T4_T5_T6_T7_T9_mT8_P12ihipStream_tbDpT10_ENKUlT_T0_E_clISt17integral_constantIbLb0EES1B_IbLb1EEEEDaS17_S18_EUlS17_E_NS1_11comp_targetILNS1_3genE2ELNS1_11target_archE906ELNS1_3gpuE6ELNS1_3repE0EEENS1_30default_config_static_selectorELNS0_4arch9wavefront6targetE0EEEvT1_,@function
_ZN7rocprim17ROCPRIM_400000_NS6detail17trampoline_kernelINS0_14default_configENS1_25partition_config_selectorILNS1_17partition_subalgoE8ElNS0_10empty_typeEbEEZZNS1_14partition_implILS5_8ELb0ES3_jPlPS6_PKS6_NS0_5tupleIJS9_S6_EEENSD_IJSA_SA_EEENS0_18inequality_wrapperIZN2at6native12_GLOBAL__N_124unique_dim_cuda_templateIhEESt5tupleIJNSH_6TensorESM_SM_EERKSM_lbbbEUlllE0_EEPmJS6_EEE10hipError_tPvRmT3_T4_T5_T6_T7_T9_mT8_P12ihipStream_tbDpT10_ENKUlT_T0_E_clISt17integral_constantIbLb0EES1B_IbLb1EEEEDaS17_S18_EUlS17_E_NS1_11comp_targetILNS1_3genE2ELNS1_11target_archE906ELNS1_3gpuE6ELNS1_3repE0EEENS1_30default_config_static_selectorELNS0_4arch9wavefront6targetE0EEEvT1_: ; @_ZN7rocprim17ROCPRIM_400000_NS6detail17trampoline_kernelINS0_14default_configENS1_25partition_config_selectorILNS1_17partition_subalgoE8ElNS0_10empty_typeEbEEZZNS1_14partition_implILS5_8ELb0ES3_jPlPS6_PKS6_NS0_5tupleIJS9_S6_EEENSD_IJSA_SA_EEENS0_18inequality_wrapperIZN2at6native12_GLOBAL__N_124unique_dim_cuda_templateIhEESt5tupleIJNSH_6TensorESM_SM_EERKSM_lbbbEUlllE0_EEPmJS6_EEE10hipError_tPvRmT3_T4_T5_T6_T7_T9_mT8_P12ihipStream_tbDpT10_ENKUlT_T0_E_clISt17integral_constantIbLb0EES1B_IbLb1EEEEDaS17_S18_EUlS17_E_NS1_11comp_targetILNS1_3genE2ELNS1_11target_archE906ELNS1_3gpuE6ELNS1_3repE0EEENS1_30default_config_static_selectorELNS0_4arch9wavefront6targetE0EEEvT1_
; %bb.0:
	.section	.rodata,"a",@progbits
	.p2align	6, 0x0
	.amdhsa_kernel _ZN7rocprim17ROCPRIM_400000_NS6detail17trampoline_kernelINS0_14default_configENS1_25partition_config_selectorILNS1_17partition_subalgoE8ElNS0_10empty_typeEbEEZZNS1_14partition_implILS5_8ELb0ES3_jPlPS6_PKS6_NS0_5tupleIJS9_S6_EEENSD_IJSA_SA_EEENS0_18inequality_wrapperIZN2at6native12_GLOBAL__N_124unique_dim_cuda_templateIhEESt5tupleIJNSH_6TensorESM_SM_EERKSM_lbbbEUlllE0_EEPmJS6_EEE10hipError_tPvRmT3_T4_T5_T6_T7_T9_mT8_P12ihipStream_tbDpT10_ENKUlT_T0_E_clISt17integral_constantIbLb0EES1B_IbLb1EEEEDaS17_S18_EUlS17_E_NS1_11comp_targetILNS1_3genE2ELNS1_11target_archE906ELNS1_3gpuE6ELNS1_3repE0EEENS1_30default_config_static_selectorELNS0_4arch9wavefront6targetE0EEEvT1_
		.amdhsa_group_segment_fixed_size 0
		.amdhsa_private_segment_fixed_size 0
		.amdhsa_kernarg_size 136
		.amdhsa_user_sgpr_count 15
		.amdhsa_user_sgpr_dispatch_ptr 0
		.amdhsa_user_sgpr_queue_ptr 0
		.amdhsa_user_sgpr_kernarg_segment_ptr 1
		.amdhsa_user_sgpr_dispatch_id 0
		.amdhsa_user_sgpr_private_segment_size 0
		.amdhsa_wavefront_size32 1
		.amdhsa_uses_dynamic_stack 0
		.amdhsa_enable_private_segment 0
		.amdhsa_system_sgpr_workgroup_id_x 1
		.amdhsa_system_sgpr_workgroup_id_y 0
		.amdhsa_system_sgpr_workgroup_id_z 0
		.amdhsa_system_sgpr_workgroup_info 0
		.amdhsa_system_vgpr_workitem_id 0
		.amdhsa_next_free_vgpr 1
		.amdhsa_next_free_sgpr 1
		.amdhsa_reserve_vcc 0
		.amdhsa_float_round_mode_32 0
		.amdhsa_float_round_mode_16_64 0
		.amdhsa_float_denorm_mode_32 3
		.amdhsa_float_denorm_mode_16_64 3
		.amdhsa_dx10_clamp 1
		.amdhsa_ieee_mode 1
		.amdhsa_fp16_overflow 0
		.amdhsa_workgroup_processor_mode 1
		.amdhsa_memory_ordered 1
		.amdhsa_forward_progress 0
		.amdhsa_shared_vgpr_count 0
		.amdhsa_exception_fp_ieee_invalid_op 0
		.amdhsa_exception_fp_denorm_src 0
		.amdhsa_exception_fp_ieee_div_zero 0
		.amdhsa_exception_fp_ieee_overflow 0
		.amdhsa_exception_fp_ieee_underflow 0
		.amdhsa_exception_fp_ieee_inexact 0
		.amdhsa_exception_int_div_zero 0
	.end_amdhsa_kernel
	.section	.text._ZN7rocprim17ROCPRIM_400000_NS6detail17trampoline_kernelINS0_14default_configENS1_25partition_config_selectorILNS1_17partition_subalgoE8ElNS0_10empty_typeEbEEZZNS1_14partition_implILS5_8ELb0ES3_jPlPS6_PKS6_NS0_5tupleIJS9_S6_EEENSD_IJSA_SA_EEENS0_18inequality_wrapperIZN2at6native12_GLOBAL__N_124unique_dim_cuda_templateIhEESt5tupleIJNSH_6TensorESM_SM_EERKSM_lbbbEUlllE0_EEPmJS6_EEE10hipError_tPvRmT3_T4_T5_T6_T7_T9_mT8_P12ihipStream_tbDpT10_ENKUlT_T0_E_clISt17integral_constantIbLb0EES1B_IbLb1EEEEDaS17_S18_EUlS17_E_NS1_11comp_targetILNS1_3genE2ELNS1_11target_archE906ELNS1_3gpuE6ELNS1_3repE0EEENS1_30default_config_static_selectorELNS0_4arch9wavefront6targetE0EEEvT1_,"axG",@progbits,_ZN7rocprim17ROCPRIM_400000_NS6detail17trampoline_kernelINS0_14default_configENS1_25partition_config_selectorILNS1_17partition_subalgoE8ElNS0_10empty_typeEbEEZZNS1_14partition_implILS5_8ELb0ES3_jPlPS6_PKS6_NS0_5tupleIJS9_S6_EEENSD_IJSA_SA_EEENS0_18inequality_wrapperIZN2at6native12_GLOBAL__N_124unique_dim_cuda_templateIhEESt5tupleIJNSH_6TensorESM_SM_EERKSM_lbbbEUlllE0_EEPmJS6_EEE10hipError_tPvRmT3_T4_T5_T6_T7_T9_mT8_P12ihipStream_tbDpT10_ENKUlT_T0_E_clISt17integral_constantIbLb0EES1B_IbLb1EEEEDaS17_S18_EUlS17_E_NS1_11comp_targetILNS1_3genE2ELNS1_11target_archE906ELNS1_3gpuE6ELNS1_3repE0EEENS1_30default_config_static_selectorELNS0_4arch9wavefront6targetE0EEEvT1_,comdat
.Lfunc_end200:
	.size	_ZN7rocprim17ROCPRIM_400000_NS6detail17trampoline_kernelINS0_14default_configENS1_25partition_config_selectorILNS1_17partition_subalgoE8ElNS0_10empty_typeEbEEZZNS1_14partition_implILS5_8ELb0ES3_jPlPS6_PKS6_NS0_5tupleIJS9_S6_EEENSD_IJSA_SA_EEENS0_18inequality_wrapperIZN2at6native12_GLOBAL__N_124unique_dim_cuda_templateIhEESt5tupleIJNSH_6TensorESM_SM_EERKSM_lbbbEUlllE0_EEPmJS6_EEE10hipError_tPvRmT3_T4_T5_T6_T7_T9_mT8_P12ihipStream_tbDpT10_ENKUlT_T0_E_clISt17integral_constantIbLb0EES1B_IbLb1EEEEDaS17_S18_EUlS17_E_NS1_11comp_targetILNS1_3genE2ELNS1_11target_archE906ELNS1_3gpuE6ELNS1_3repE0EEENS1_30default_config_static_selectorELNS0_4arch9wavefront6targetE0EEEvT1_, .Lfunc_end200-_ZN7rocprim17ROCPRIM_400000_NS6detail17trampoline_kernelINS0_14default_configENS1_25partition_config_selectorILNS1_17partition_subalgoE8ElNS0_10empty_typeEbEEZZNS1_14partition_implILS5_8ELb0ES3_jPlPS6_PKS6_NS0_5tupleIJS9_S6_EEENSD_IJSA_SA_EEENS0_18inequality_wrapperIZN2at6native12_GLOBAL__N_124unique_dim_cuda_templateIhEESt5tupleIJNSH_6TensorESM_SM_EERKSM_lbbbEUlllE0_EEPmJS6_EEE10hipError_tPvRmT3_T4_T5_T6_T7_T9_mT8_P12ihipStream_tbDpT10_ENKUlT_T0_E_clISt17integral_constantIbLb0EES1B_IbLb1EEEEDaS17_S18_EUlS17_E_NS1_11comp_targetILNS1_3genE2ELNS1_11target_archE906ELNS1_3gpuE6ELNS1_3repE0EEENS1_30default_config_static_selectorELNS0_4arch9wavefront6targetE0EEEvT1_
                                        ; -- End function
	.section	.AMDGPU.csdata,"",@progbits
; Kernel info:
; codeLenInByte = 0
; NumSgprs: 0
; NumVgprs: 0
; ScratchSize: 0
; MemoryBound: 0
; FloatMode: 240
; IeeeMode: 1
; LDSByteSize: 0 bytes/workgroup (compile time only)
; SGPRBlocks: 0
; VGPRBlocks: 0
; NumSGPRsForWavesPerEU: 1
; NumVGPRsForWavesPerEU: 1
; Occupancy: 16
; WaveLimiterHint : 0
; COMPUTE_PGM_RSRC2:SCRATCH_EN: 0
; COMPUTE_PGM_RSRC2:USER_SGPR: 15
; COMPUTE_PGM_RSRC2:TRAP_HANDLER: 0
; COMPUTE_PGM_RSRC2:TGID_X_EN: 1
; COMPUTE_PGM_RSRC2:TGID_Y_EN: 0
; COMPUTE_PGM_RSRC2:TGID_Z_EN: 0
; COMPUTE_PGM_RSRC2:TIDIG_COMP_CNT: 0
	.section	.text._ZN7rocprim17ROCPRIM_400000_NS6detail17trampoline_kernelINS0_14default_configENS1_25partition_config_selectorILNS1_17partition_subalgoE8ElNS0_10empty_typeEbEEZZNS1_14partition_implILS5_8ELb0ES3_jPlPS6_PKS6_NS0_5tupleIJS9_S6_EEENSD_IJSA_SA_EEENS0_18inequality_wrapperIZN2at6native12_GLOBAL__N_124unique_dim_cuda_templateIhEESt5tupleIJNSH_6TensorESM_SM_EERKSM_lbbbEUlllE0_EEPmJS6_EEE10hipError_tPvRmT3_T4_T5_T6_T7_T9_mT8_P12ihipStream_tbDpT10_ENKUlT_T0_E_clISt17integral_constantIbLb0EES1B_IbLb1EEEEDaS17_S18_EUlS17_E_NS1_11comp_targetILNS1_3genE10ELNS1_11target_archE1200ELNS1_3gpuE4ELNS1_3repE0EEENS1_30default_config_static_selectorELNS0_4arch9wavefront6targetE0EEEvT1_,"axG",@progbits,_ZN7rocprim17ROCPRIM_400000_NS6detail17trampoline_kernelINS0_14default_configENS1_25partition_config_selectorILNS1_17partition_subalgoE8ElNS0_10empty_typeEbEEZZNS1_14partition_implILS5_8ELb0ES3_jPlPS6_PKS6_NS0_5tupleIJS9_S6_EEENSD_IJSA_SA_EEENS0_18inequality_wrapperIZN2at6native12_GLOBAL__N_124unique_dim_cuda_templateIhEESt5tupleIJNSH_6TensorESM_SM_EERKSM_lbbbEUlllE0_EEPmJS6_EEE10hipError_tPvRmT3_T4_T5_T6_T7_T9_mT8_P12ihipStream_tbDpT10_ENKUlT_T0_E_clISt17integral_constantIbLb0EES1B_IbLb1EEEEDaS17_S18_EUlS17_E_NS1_11comp_targetILNS1_3genE10ELNS1_11target_archE1200ELNS1_3gpuE4ELNS1_3repE0EEENS1_30default_config_static_selectorELNS0_4arch9wavefront6targetE0EEEvT1_,comdat
	.globl	_ZN7rocprim17ROCPRIM_400000_NS6detail17trampoline_kernelINS0_14default_configENS1_25partition_config_selectorILNS1_17partition_subalgoE8ElNS0_10empty_typeEbEEZZNS1_14partition_implILS5_8ELb0ES3_jPlPS6_PKS6_NS0_5tupleIJS9_S6_EEENSD_IJSA_SA_EEENS0_18inequality_wrapperIZN2at6native12_GLOBAL__N_124unique_dim_cuda_templateIhEESt5tupleIJNSH_6TensorESM_SM_EERKSM_lbbbEUlllE0_EEPmJS6_EEE10hipError_tPvRmT3_T4_T5_T6_T7_T9_mT8_P12ihipStream_tbDpT10_ENKUlT_T0_E_clISt17integral_constantIbLb0EES1B_IbLb1EEEEDaS17_S18_EUlS17_E_NS1_11comp_targetILNS1_3genE10ELNS1_11target_archE1200ELNS1_3gpuE4ELNS1_3repE0EEENS1_30default_config_static_selectorELNS0_4arch9wavefront6targetE0EEEvT1_ ; -- Begin function _ZN7rocprim17ROCPRIM_400000_NS6detail17trampoline_kernelINS0_14default_configENS1_25partition_config_selectorILNS1_17partition_subalgoE8ElNS0_10empty_typeEbEEZZNS1_14partition_implILS5_8ELb0ES3_jPlPS6_PKS6_NS0_5tupleIJS9_S6_EEENSD_IJSA_SA_EEENS0_18inequality_wrapperIZN2at6native12_GLOBAL__N_124unique_dim_cuda_templateIhEESt5tupleIJNSH_6TensorESM_SM_EERKSM_lbbbEUlllE0_EEPmJS6_EEE10hipError_tPvRmT3_T4_T5_T6_T7_T9_mT8_P12ihipStream_tbDpT10_ENKUlT_T0_E_clISt17integral_constantIbLb0EES1B_IbLb1EEEEDaS17_S18_EUlS17_E_NS1_11comp_targetILNS1_3genE10ELNS1_11target_archE1200ELNS1_3gpuE4ELNS1_3repE0EEENS1_30default_config_static_selectorELNS0_4arch9wavefront6targetE0EEEvT1_
	.p2align	8
	.type	_ZN7rocprim17ROCPRIM_400000_NS6detail17trampoline_kernelINS0_14default_configENS1_25partition_config_selectorILNS1_17partition_subalgoE8ElNS0_10empty_typeEbEEZZNS1_14partition_implILS5_8ELb0ES3_jPlPS6_PKS6_NS0_5tupleIJS9_S6_EEENSD_IJSA_SA_EEENS0_18inequality_wrapperIZN2at6native12_GLOBAL__N_124unique_dim_cuda_templateIhEESt5tupleIJNSH_6TensorESM_SM_EERKSM_lbbbEUlllE0_EEPmJS6_EEE10hipError_tPvRmT3_T4_T5_T6_T7_T9_mT8_P12ihipStream_tbDpT10_ENKUlT_T0_E_clISt17integral_constantIbLb0EES1B_IbLb1EEEEDaS17_S18_EUlS17_E_NS1_11comp_targetILNS1_3genE10ELNS1_11target_archE1200ELNS1_3gpuE4ELNS1_3repE0EEENS1_30default_config_static_selectorELNS0_4arch9wavefront6targetE0EEEvT1_,@function
_ZN7rocprim17ROCPRIM_400000_NS6detail17trampoline_kernelINS0_14default_configENS1_25partition_config_selectorILNS1_17partition_subalgoE8ElNS0_10empty_typeEbEEZZNS1_14partition_implILS5_8ELb0ES3_jPlPS6_PKS6_NS0_5tupleIJS9_S6_EEENSD_IJSA_SA_EEENS0_18inequality_wrapperIZN2at6native12_GLOBAL__N_124unique_dim_cuda_templateIhEESt5tupleIJNSH_6TensorESM_SM_EERKSM_lbbbEUlllE0_EEPmJS6_EEE10hipError_tPvRmT3_T4_T5_T6_T7_T9_mT8_P12ihipStream_tbDpT10_ENKUlT_T0_E_clISt17integral_constantIbLb0EES1B_IbLb1EEEEDaS17_S18_EUlS17_E_NS1_11comp_targetILNS1_3genE10ELNS1_11target_archE1200ELNS1_3gpuE4ELNS1_3repE0EEENS1_30default_config_static_selectorELNS0_4arch9wavefront6targetE0EEEvT1_: ; @_ZN7rocprim17ROCPRIM_400000_NS6detail17trampoline_kernelINS0_14default_configENS1_25partition_config_selectorILNS1_17partition_subalgoE8ElNS0_10empty_typeEbEEZZNS1_14partition_implILS5_8ELb0ES3_jPlPS6_PKS6_NS0_5tupleIJS9_S6_EEENSD_IJSA_SA_EEENS0_18inequality_wrapperIZN2at6native12_GLOBAL__N_124unique_dim_cuda_templateIhEESt5tupleIJNSH_6TensorESM_SM_EERKSM_lbbbEUlllE0_EEPmJS6_EEE10hipError_tPvRmT3_T4_T5_T6_T7_T9_mT8_P12ihipStream_tbDpT10_ENKUlT_T0_E_clISt17integral_constantIbLb0EES1B_IbLb1EEEEDaS17_S18_EUlS17_E_NS1_11comp_targetILNS1_3genE10ELNS1_11target_archE1200ELNS1_3gpuE4ELNS1_3repE0EEENS1_30default_config_static_selectorELNS0_4arch9wavefront6targetE0EEEvT1_
; %bb.0:
	.section	.rodata,"a",@progbits
	.p2align	6, 0x0
	.amdhsa_kernel _ZN7rocprim17ROCPRIM_400000_NS6detail17trampoline_kernelINS0_14default_configENS1_25partition_config_selectorILNS1_17partition_subalgoE8ElNS0_10empty_typeEbEEZZNS1_14partition_implILS5_8ELb0ES3_jPlPS6_PKS6_NS0_5tupleIJS9_S6_EEENSD_IJSA_SA_EEENS0_18inequality_wrapperIZN2at6native12_GLOBAL__N_124unique_dim_cuda_templateIhEESt5tupleIJNSH_6TensorESM_SM_EERKSM_lbbbEUlllE0_EEPmJS6_EEE10hipError_tPvRmT3_T4_T5_T6_T7_T9_mT8_P12ihipStream_tbDpT10_ENKUlT_T0_E_clISt17integral_constantIbLb0EES1B_IbLb1EEEEDaS17_S18_EUlS17_E_NS1_11comp_targetILNS1_3genE10ELNS1_11target_archE1200ELNS1_3gpuE4ELNS1_3repE0EEENS1_30default_config_static_selectorELNS0_4arch9wavefront6targetE0EEEvT1_
		.amdhsa_group_segment_fixed_size 0
		.amdhsa_private_segment_fixed_size 0
		.amdhsa_kernarg_size 136
		.amdhsa_user_sgpr_count 15
		.amdhsa_user_sgpr_dispatch_ptr 0
		.amdhsa_user_sgpr_queue_ptr 0
		.amdhsa_user_sgpr_kernarg_segment_ptr 1
		.amdhsa_user_sgpr_dispatch_id 0
		.amdhsa_user_sgpr_private_segment_size 0
		.amdhsa_wavefront_size32 1
		.amdhsa_uses_dynamic_stack 0
		.amdhsa_enable_private_segment 0
		.amdhsa_system_sgpr_workgroup_id_x 1
		.amdhsa_system_sgpr_workgroup_id_y 0
		.amdhsa_system_sgpr_workgroup_id_z 0
		.amdhsa_system_sgpr_workgroup_info 0
		.amdhsa_system_vgpr_workitem_id 0
		.amdhsa_next_free_vgpr 1
		.amdhsa_next_free_sgpr 1
		.amdhsa_reserve_vcc 0
		.amdhsa_float_round_mode_32 0
		.amdhsa_float_round_mode_16_64 0
		.amdhsa_float_denorm_mode_32 3
		.amdhsa_float_denorm_mode_16_64 3
		.amdhsa_dx10_clamp 1
		.amdhsa_ieee_mode 1
		.amdhsa_fp16_overflow 0
		.amdhsa_workgroup_processor_mode 1
		.amdhsa_memory_ordered 1
		.amdhsa_forward_progress 0
		.amdhsa_shared_vgpr_count 0
		.amdhsa_exception_fp_ieee_invalid_op 0
		.amdhsa_exception_fp_denorm_src 0
		.amdhsa_exception_fp_ieee_div_zero 0
		.amdhsa_exception_fp_ieee_overflow 0
		.amdhsa_exception_fp_ieee_underflow 0
		.amdhsa_exception_fp_ieee_inexact 0
		.amdhsa_exception_int_div_zero 0
	.end_amdhsa_kernel
	.section	.text._ZN7rocprim17ROCPRIM_400000_NS6detail17trampoline_kernelINS0_14default_configENS1_25partition_config_selectorILNS1_17partition_subalgoE8ElNS0_10empty_typeEbEEZZNS1_14partition_implILS5_8ELb0ES3_jPlPS6_PKS6_NS0_5tupleIJS9_S6_EEENSD_IJSA_SA_EEENS0_18inequality_wrapperIZN2at6native12_GLOBAL__N_124unique_dim_cuda_templateIhEESt5tupleIJNSH_6TensorESM_SM_EERKSM_lbbbEUlllE0_EEPmJS6_EEE10hipError_tPvRmT3_T4_T5_T6_T7_T9_mT8_P12ihipStream_tbDpT10_ENKUlT_T0_E_clISt17integral_constantIbLb0EES1B_IbLb1EEEEDaS17_S18_EUlS17_E_NS1_11comp_targetILNS1_3genE10ELNS1_11target_archE1200ELNS1_3gpuE4ELNS1_3repE0EEENS1_30default_config_static_selectorELNS0_4arch9wavefront6targetE0EEEvT1_,"axG",@progbits,_ZN7rocprim17ROCPRIM_400000_NS6detail17trampoline_kernelINS0_14default_configENS1_25partition_config_selectorILNS1_17partition_subalgoE8ElNS0_10empty_typeEbEEZZNS1_14partition_implILS5_8ELb0ES3_jPlPS6_PKS6_NS0_5tupleIJS9_S6_EEENSD_IJSA_SA_EEENS0_18inequality_wrapperIZN2at6native12_GLOBAL__N_124unique_dim_cuda_templateIhEESt5tupleIJNSH_6TensorESM_SM_EERKSM_lbbbEUlllE0_EEPmJS6_EEE10hipError_tPvRmT3_T4_T5_T6_T7_T9_mT8_P12ihipStream_tbDpT10_ENKUlT_T0_E_clISt17integral_constantIbLb0EES1B_IbLb1EEEEDaS17_S18_EUlS17_E_NS1_11comp_targetILNS1_3genE10ELNS1_11target_archE1200ELNS1_3gpuE4ELNS1_3repE0EEENS1_30default_config_static_selectorELNS0_4arch9wavefront6targetE0EEEvT1_,comdat
.Lfunc_end201:
	.size	_ZN7rocprim17ROCPRIM_400000_NS6detail17trampoline_kernelINS0_14default_configENS1_25partition_config_selectorILNS1_17partition_subalgoE8ElNS0_10empty_typeEbEEZZNS1_14partition_implILS5_8ELb0ES3_jPlPS6_PKS6_NS0_5tupleIJS9_S6_EEENSD_IJSA_SA_EEENS0_18inequality_wrapperIZN2at6native12_GLOBAL__N_124unique_dim_cuda_templateIhEESt5tupleIJNSH_6TensorESM_SM_EERKSM_lbbbEUlllE0_EEPmJS6_EEE10hipError_tPvRmT3_T4_T5_T6_T7_T9_mT8_P12ihipStream_tbDpT10_ENKUlT_T0_E_clISt17integral_constantIbLb0EES1B_IbLb1EEEEDaS17_S18_EUlS17_E_NS1_11comp_targetILNS1_3genE10ELNS1_11target_archE1200ELNS1_3gpuE4ELNS1_3repE0EEENS1_30default_config_static_selectorELNS0_4arch9wavefront6targetE0EEEvT1_, .Lfunc_end201-_ZN7rocprim17ROCPRIM_400000_NS6detail17trampoline_kernelINS0_14default_configENS1_25partition_config_selectorILNS1_17partition_subalgoE8ElNS0_10empty_typeEbEEZZNS1_14partition_implILS5_8ELb0ES3_jPlPS6_PKS6_NS0_5tupleIJS9_S6_EEENSD_IJSA_SA_EEENS0_18inequality_wrapperIZN2at6native12_GLOBAL__N_124unique_dim_cuda_templateIhEESt5tupleIJNSH_6TensorESM_SM_EERKSM_lbbbEUlllE0_EEPmJS6_EEE10hipError_tPvRmT3_T4_T5_T6_T7_T9_mT8_P12ihipStream_tbDpT10_ENKUlT_T0_E_clISt17integral_constantIbLb0EES1B_IbLb1EEEEDaS17_S18_EUlS17_E_NS1_11comp_targetILNS1_3genE10ELNS1_11target_archE1200ELNS1_3gpuE4ELNS1_3repE0EEENS1_30default_config_static_selectorELNS0_4arch9wavefront6targetE0EEEvT1_
                                        ; -- End function
	.section	.AMDGPU.csdata,"",@progbits
; Kernel info:
; codeLenInByte = 0
; NumSgprs: 0
; NumVgprs: 0
; ScratchSize: 0
; MemoryBound: 0
; FloatMode: 240
; IeeeMode: 1
; LDSByteSize: 0 bytes/workgroup (compile time only)
; SGPRBlocks: 0
; VGPRBlocks: 0
; NumSGPRsForWavesPerEU: 1
; NumVGPRsForWavesPerEU: 1
; Occupancy: 15
; WaveLimiterHint : 0
; COMPUTE_PGM_RSRC2:SCRATCH_EN: 0
; COMPUTE_PGM_RSRC2:USER_SGPR: 15
; COMPUTE_PGM_RSRC2:TRAP_HANDLER: 0
; COMPUTE_PGM_RSRC2:TGID_X_EN: 1
; COMPUTE_PGM_RSRC2:TGID_Y_EN: 0
; COMPUTE_PGM_RSRC2:TGID_Z_EN: 0
; COMPUTE_PGM_RSRC2:TIDIG_COMP_CNT: 0
	.section	.text._ZN7rocprim17ROCPRIM_400000_NS6detail17trampoline_kernelINS0_14default_configENS1_25partition_config_selectorILNS1_17partition_subalgoE8ElNS0_10empty_typeEbEEZZNS1_14partition_implILS5_8ELb0ES3_jPlPS6_PKS6_NS0_5tupleIJS9_S6_EEENSD_IJSA_SA_EEENS0_18inequality_wrapperIZN2at6native12_GLOBAL__N_124unique_dim_cuda_templateIhEESt5tupleIJNSH_6TensorESM_SM_EERKSM_lbbbEUlllE0_EEPmJS6_EEE10hipError_tPvRmT3_T4_T5_T6_T7_T9_mT8_P12ihipStream_tbDpT10_ENKUlT_T0_E_clISt17integral_constantIbLb0EES1B_IbLb1EEEEDaS17_S18_EUlS17_E_NS1_11comp_targetILNS1_3genE9ELNS1_11target_archE1100ELNS1_3gpuE3ELNS1_3repE0EEENS1_30default_config_static_selectorELNS0_4arch9wavefront6targetE0EEEvT1_,"axG",@progbits,_ZN7rocprim17ROCPRIM_400000_NS6detail17trampoline_kernelINS0_14default_configENS1_25partition_config_selectorILNS1_17partition_subalgoE8ElNS0_10empty_typeEbEEZZNS1_14partition_implILS5_8ELb0ES3_jPlPS6_PKS6_NS0_5tupleIJS9_S6_EEENSD_IJSA_SA_EEENS0_18inequality_wrapperIZN2at6native12_GLOBAL__N_124unique_dim_cuda_templateIhEESt5tupleIJNSH_6TensorESM_SM_EERKSM_lbbbEUlllE0_EEPmJS6_EEE10hipError_tPvRmT3_T4_T5_T6_T7_T9_mT8_P12ihipStream_tbDpT10_ENKUlT_T0_E_clISt17integral_constantIbLb0EES1B_IbLb1EEEEDaS17_S18_EUlS17_E_NS1_11comp_targetILNS1_3genE9ELNS1_11target_archE1100ELNS1_3gpuE3ELNS1_3repE0EEENS1_30default_config_static_selectorELNS0_4arch9wavefront6targetE0EEEvT1_,comdat
	.globl	_ZN7rocprim17ROCPRIM_400000_NS6detail17trampoline_kernelINS0_14default_configENS1_25partition_config_selectorILNS1_17partition_subalgoE8ElNS0_10empty_typeEbEEZZNS1_14partition_implILS5_8ELb0ES3_jPlPS6_PKS6_NS0_5tupleIJS9_S6_EEENSD_IJSA_SA_EEENS0_18inequality_wrapperIZN2at6native12_GLOBAL__N_124unique_dim_cuda_templateIhEESt5tupleIJNSH_6TensorESM_SM_EERKSM_lbbbEUlllE0_EEPmJS6_EEE10hipError_tPvRmT3_T4_T5_T6_T7_T9_mT8_P12ihipStream_tbDpT10_ENKUlT_T0_E_clISt17integral_constantIbLb0EES1B_IbLb1EEEEDaS17_S18_EUlS17_E_NS1_11comp_targetILNS1_3genE9ELNS1_11target_archE1100ELNS1_3gpuE3ELNS1_3repE0EEENS1_30default_config_static_selectorELNS0_4arch9wavefront6targetE0EEEvT1_ ; -- Begin function _ZN7rocprim17ROCPRIM_400000_NS6detail17trampoline_kernelINS0_14default_configENS1_25partition_config_selectorILNS1_17partition_subalgoE8ElNS0_10empty_typeEbEEZZNS1_14partition_implILS5_8ELb0ES3_jPlPS6_PKS6_NS0_5tupleIJS9_S6_EEENSD_IJSA_SA_EEENS0_18inequality_wrapperIZN2at6native12_GLOBAL__N_124unique_dim_cuda_templateIhEESt5tupleIJNSH_6TensorESM_SM_EERKSM_lbbbEUlllE0_EEPmJS6_EEE10hipError_tPvRmT3_T4_T5_T6_T7_T9_mT8_P12ihipStream_tbDpT10_ENKUlT_T0_E_clISt17integral_constantIbLb0EES1B_IbLb1EEEEDaS17_S18_EUlS17_E_NS1_11comp_targetILNS1_3genE9ELNS1_11target_archE1100ELNS1_3gpuE3ELNS1_3repE0EEENS1_30default_config_static_selectorELNS0_4arch9wavefront6targetE0EEEvT1_
	.p2align	8
	.type	_ZN7rocprim17ROCPRIM_400000_NS6detail17trampoline_kernelINS0_14default_configENS1_25partition_config_selectorILNS1_17partition_subalgoE8ElNS0_10empty_typeEbEEZZNS1_14partition_implILS5_8ELb0ES3_jPlPS6_PKS6_NS0_5tupleIJS9_S6_EEENSD_IJSA_SA_EEENS0_18inequality_wrapperIZN2at6native12_GLOBAL__N_124unique_dim_cuda_templateIhEESt5tupleIJNSH_6TensorESM_SM_EERKSM_lbbbEUlllE0_EEPmJS6_EEE10hipError_tPvRmT3_T4_T5_T6_T7_T9_mT8_P12ihipStream_tbDpT10_ENKUlT_T0_E_clISt17integral_constantIbLb0EES1B_IbLb1EEEEDaS17_S18_EUlS17_E_NS1_11comp_targetILNS1_3genE9ELNS1_11target_archE1100ELNS1_3gpuE3ELNS1_3repE0EEENS1_30default_config_static_selectorELNS0_4arch9wavefront6targetE0EEEvT1_,@function
_ZN7rocprim17ROCPRIM_400000_NS6detail17trampoline_kernelINS0_14default_configENS1_25partition_config_selectorILNS1_17partition_subalgoE8ElNS0_10empty_typeEbEEZZNS1_14partition_implILS5_8ELb0ES3_jPlPS6_PKS6_NS0_5tupleIJS9_S6_EEENSD_IJSA_SA_EEENS0_18inequality_wrapperIZN2at6native12_GLOBAL__N_124unique_dim_cuda_templateIhEESt5tupleIJNSH_6TensorESM_SM_EERKSM_lbbbEUlllE0_EEPmJS6_EEE10hipError_tPvRmT3_T4_T5_T6_T7_T9_mT8_P12ihipStream_tbDpT10_ENKUlT_T0_E_clISt17integral_constantIbLb0EES1B_IbLb1EEEEDaS17_S18_EUlS17_E_NS1_11comp_targetILNS1_3genE9ELNS1_11target_archE1100ELNS1_3gpuE3ELNS1_3repE0EEENS1_30default_config_static_selectorELNS0_4arch9wavefront6targetE0EEEvT1_: ; @_ZN7rocprim17ROCPRIM_400000_NS6detail17trampoline_kernelINS0_14default_configENS1_25partition_config_selectorILNS1_17partition_subalgoE8ElNS0_10empty_typeEbEEZZNS1_14partition_implILS5_8ELb0ES3_jPlPS6_PKS6_NS0_5tupleIJS9_S6_EEENSD_IJSA_SA_EEENS0_18inequality_wrapperIZN2at6native12_GLOBAL__N_124unique_dim_cuda_templateIhEESt5tupleIJNSH_6TensorESM_SM_EERKSM_lbbbEUlllE0_EEPmJS6_EEE10hipError_tPvRmT3_T4_T5_T6_T7_T9_mT8_P12ihipStream_tbDpT10_ENKUlT_T0_E_clISt17integral_constantIbLb0EES1B_IbLb1EEEEDaS17_S18_EUlS17_E_NS1_11comp_targetILNS1_3genE9ELNS1_11target_archE1100ELNS1_3gpuE3ELNS1_3repE0EEENS1_30default_config_static_selectorELNS0_4arch9wavefront6targetE0EEEvT1_
; %bb.0:
	s_clause 0x2
	s_load_b64 s[20:21], s[0:1], 0x28
	s_load_b256 s[8:15], s[0:1], 0x40
	s_load_b128 s[16:19], s[0:1], 0x60
	v_cmp_ne_u32_e64 s3, 0, v0
	v_cmp_eq_u32_e64 s2, 0, v0
	s_delay_alu instid0(VALU_DEP_1)
	s_and_saveexec_b32 s4, s2
	s_cbranch_execz .LBB202_4
; %bb.1:
	s_mov_b32 s6, exec_lo
	s_mov_b32 s5, exec_lo
	v_mbcnt_lo_u32_b32 v1, s6, 0
                                        ; implicit-def: $vgpr2
	s_delay_alu instid0(VALU_DEP_1)
	v_cmpx_eq_u32_e32 0, v1
	s_cbranch_execz .LBB202_3
; %bb.2:
	s_load_b64 s[22:23], s[0:1], 0x78
	s_bcnt1_i32_b32 s6, s6
	s_delay_alu instid0(SALU_CYCLE_1)
	v_dual_mov_b32 v2, 0 :: v_dual_mov_b32 v3, s6
	s_waitcnt lgkmcnt(0)
	global_atomic_add_u32 v2, v2, v3, s[22:23] glc
.LBB202_3:
	s_or_b32 exec_lo, exec_lo, s5
	s_waitcnt vmcnt(0)
	v_readfirstlane_b32 s5, v2
	s_delay_alu instid0(VALU_DEP_1)
	v_dual_mov_b32 v2, 0 :: v_dual_add_nc_u32 v1, s5, v1
	ds_store_b32 v2, v1
.LBB202_4:
	s_or_b32 exec_lo, exec_lo, s4
	v_dual_mov_b32 v2, 0 :: v_dual_lshlrev_b32 v39, 3, v0
	s_clause 0x1
	s_load_b128 s[4:7], s[0:1], 0x8
	s_load_b32 s0, s[0:1], 0x70
	s_waitcnt lgkmcnt(0)
	s_barrier
	buffer_gl0_inv
	ds_load_b32 v1, v2
	s_waitcnt lgkmcnt(0)
	s_barrier
	buffer_gl0_inv
	global_load_b64 v[3:4], v2, s[10:11]
	v_lshrrev_b32_e32 v19, 2, v0
	v_or_b32_e32 v26, 0x200, v0
	v_or_b32_e32 v25, 0x400, v0
	;; [unrolled: 1-line block ×7, first 2 shown]
	s_lshl_b64 s[10:11], s[6:7], 3
	s_delay_alu instid0(SALU_CYCLE_1)
	s_add_u32 s1, s4, s10
	s_addc_u32 s10, s5, s11
	s_add_i32 s11, s0, -1
	v_readfirstlane_b32 s23, v1
	s_lshl_b32 s4, s11, 12
	v_lshlrev_b32_e32 v1, 12, v1
	s_lshl_b32 s5, s0, 12
	s_add_i32 s0, s6, s4
	s_add_u32 s4, s6, s5
	s_addc_u32 s5, s7, 0
	v_lshlrev_b64 v[1:2], 3, v[1:2]
	v_cmp_ge_u64_e64 s4, s[4:5], s[12:13]
	s_cmp_eq_u32 s23, s11
	s_cselect_b32 s13, -1, 0
	s_delay_alu instid0(VALU_DEP_2) | instskip(NEXT) | instid1(VALU_DEP_2)
	v_add_co_u32 v17, vcc_lo, s1, v1
	s_and_b32 s24, s4, s13
	v_add_co_ci_u32_e32 v18, vcc_lo, s10, v2, vcc_lo
	s_xor_b32 s22, s24, -1
	s_mov_b32 s1, -1
	s_and_b32 vcc_lo, exec_lo, s22
	s_waitcnt vmcnt(0)
	v_readfirstlane_b32 s10, v3
	v_readfirstlane_b32 s11, v4
	s_cbranch_vccz .LBB202_6
; %bb.5:
	v_add_co_u32 v9, vcc_lo, v17, v39
	v_add_co_ci_u32_e32 v10, vcc_lo, 0, v18, vcc_lo
	v_readfirstlane_b32 s4, v17
	s_delay_alu instid0(VALU_DEP_3) | instskip(NEXT) | instid1(VALU_DEP_3)
	v_add_co_u32 v3, vcc_lo, v9, 0x2000
	v_add_co_ci_u32_e32 v4, vcc_lo, 0, v10, vcc_lo
	v_add_co_u32 v5, vcc_lo, v9, 0x4000
	v_add_co_ci_u32_e32 v6, vcc_lo, 0, v10, vcc_lo
	v_add_co_u32 v7, vcc_lo, v9, 0x6000
	v_readfirstlane_b32 s5, v18
	v_add_co_ci_u32_e32 v8, vcc_lo, 0, v10, vcc_lo
	v_add_co_u32 v9, vcc_lo, 0x7000, v9
	v_add_co_ci_u32_e32 v10, vcc_lo, 0, v10, vcc_lo
	s_clause 0x7
	global_load_b64 v[1:2], v39, s[4:5]
	global_load_b64 v[11:12], v[3:4], off offset:-4096
	global_load_b64 v[3:4], v[3:4], off
	global_load_b64 v[13:14], v[5:6], off offset:-4096
	global_load_b64 v[5:6], v[5:6], off
	;; [unrolled: 2-line block ×3, first 2 shown]
	global_load_b64 v[9:10], v[9:10], off
	v_lshrrev_b32_e32 v28, 2, v26
	v_lshrrev_b32_e32 v29, 2, v25
	;; [unrolled: 1-line block ×4, first 2 shown]
	v_and_b32_e32 v27, 0x78, v19
	v_lshrrev_b32_e32 v32, 2, v22
	v_lshrrev_b32_e32 v33, 2, v21
	;; [unrolled: 1-line block ×3, first 2 shown]
	v_and_b32_e32 v28, 0xf8, v28
	v_and_b32_e32 v29, 0x178, v29
	;; [unrolled: 1-line block ×4, first 2 shown]
	v_add_nc_u32_e32 v27, v27, v39
	v_and_b32_e32 v32, 0x2f8, v32
	v_and_b32_e32 v33, 0x378, v33
	;; [unrolled: 1-line block ×3, first 2 shown]
	v_add_nc_u32_e32 v28, v28, v39
	v_add_nc_u32_e32 v29, v29, v39
	;; [unrolled: 1-line block ×4, first 2 shown]
	s_mov_b32 s1, 0
	v_add_nc_u32_e32 v32, v32, v39
	v_add_nc_u32_e32 v33, v33, v39
	;; [unrolled: 1-line block ×3, first 2 shown]
	s_waitcnt vmcnt(7)
	ds_store_b64 v27, v[1:2]
	s_waitcnt vmcnt(6)
	ds_store_b64 v28, v[11:12] offset:4096
	s_waitcnt vmcnt(5)
	ds_store_b64 v29, v[3:4] offset:8192
	;; [unrolled: 2-line block ×7, first 2 shown]
	s_waitcnt lgkmcnt(0)
	s_barrier
.LBB202_6:
	s_and_not1_b32 vcc_lo, exec_lo, s1
	s_sub_i32 s12, s12, s0
	s_cbranch_vccnz .LBB202_17
; %bb.7:
	s_mov_b32 s0, exec_lo
                                        ; implicit-def: $vgpr1_vgpr2_vgpr3_vgpr4_vgpr5_vgpr6_vgpr7_vgpr8_vgpr9_vgpr10_vgpr11_vgpr12_vgpr13_vgpr14_vgpr15_vgpr16
	v_cmpx_gt_u32_e64 s12, v0
	s_cbranch_execnz .LBB202_27
; %bb.8:
	s_or_b32 exec_lo, exec_lo, s0
	s_delay_alu instid0(SALU_CYCLE_1)
	s_mov_b32 s0, exec_lo
	v_cmpx_gt_u32_e64 s12, v26
	s_cbranch_execnz .LBB202_28
.LBB202_9:
	s_or_b32 exec_lo, exec_lo, s0
	s_delay_alu instid0(SALU_CYCLE_1)
	s_mov_b32 s0, exec_lo
	v_cmpx_gt_u32_e64 s12, v25
	s_cbranch_execnz .LBB202_29
.LBB202_10:
	s_or_b32 exec_lo, exec_lo, s0
	s_delay_alu instid0(SALU_CYCLE_1)
	s_mov_b32 s0, exec_lo
	v_cmpx_gt_u32_e64 s12, v24
	s_cbranch_execnz .LBB202_30
.LBB202_11:
	s_or_b32 exec_lo, exec_lo, s0
	s_delay_alu instid0(SALU_CYCLE_1)
	s_mov_b32 s0, exec_lo
	v_cmpx_gt_u32_e64 s12, v23
	s_cbranch_execnz .LBB202_31
.LBB202_12:
	s_or_b32 exec_lo, exec_lo, s0
	s_delay_alu instid0(SALU_CYCLE_1)
	s_mov_b32 s0, exec_lo
	v_cmpx_gt_u32_e64 s12, v22
	s_cbranch_execnz .LBB202_32
.LBB202_13:
	s_or_b32 exec_lo, exec_lo, s0
	s_delay_alu instid0(SALU_CYCLE_1)
	s_mov_b32 s0, exec_lo
	v_cmpx_gt_u32_e64 s12, v21
	s_cbranch_execnz .LBB202_33
.LBB202_14:
	s_or_b32 exec_lo, exec_lo, s0
	s_delay_alu instid0(SALU_CYCLE_1)
	s_mov_b32 s0, exec_lo
	v_cmpx_gt_u32_e64 s12, v20
	s_cbranch_execz .LBB202_16
.LBB202_15:
	v_lshlrev_b32_e32 v15, 3, v20
	v_readfirstlane_b32 s4, v17
	v_readfirstlane_b32 s5, v18
	global_load_b64 v[15:16], v15, s[4:5]
.LBB202_16:
	s_or_b32 exec_lo, exec_lo, s0
	v_lshrrev_b32_e32 v26, 2, v26
	v_lshrrev_b32_e32 v25, 2, v25
	;; [unrolled: 1-line block ×4, first 2 shown]
	v_and_b32_e32 v27, 0x78, v19
	v_lshrrev_b32_e32 v22, 2, v22
	v_lshrrev_b32_e32 v21, 2, v21
	;; [unrolled: 1-line block ×3, first 2 shown]
	v_and_b32_e32 v26, 0xf8, v26
	v_and_b32_e32 v25, 0x1f8, v25
	;; [unrolled: 1-line block ×4, first 2 shown]
	v_add_nc_u32_e32 v27, v27, v39
	v_and_b32_e32 v22, 0x3f8, v22
	v_and_b32_e32 v21, 0x3f8, v21
	;; [unrolled: 1-line block ×3, first 2 shown]
	v_add_nc_u32_e32 v26, v26, v39
	v_add_nc_u32_e32 v25, v25, v39
	;; [unrolled: 1-line block ×7, first 2 shown]
	s_waitcnt vmcnt(0)
	ds_store_b64 v27, v[1:2]
	ds_store_b64 v26, v[3:4] offset:4096
	ds_store_b64 v25, v[5:6] offset:8192
	;; [unrolled: 1-line block ×7, first 2 shown]
	s_waitcnt lgkmcnt(0)
	s_barrier
.LBB202_17:
	v_add_lshl_u32 v1, v19, v39, 3
	buffer_gl0_inv
	s_cmp_lg_u32 s23, 0
	ds_load_2addr_b64 v[13:16], v1 offset1:1
	ds_load_2addr_b64 v[9:12], v1 offset0:2 offset1:3
	ds_load_2addr_b64 v[5:8], v1 offset0:4 offset1:5
	;; [unrolled: 1-line block ×3, first 2 shown]
	s_cselect_b32 s25, -1, 0
	s_cmp_lg_u64 s[6:7], 0
	v_cmp_gt_i64_e64 s7, s[14:15], 0
	s_cselect_b32 s0, -1, 0
	s_mov_b32 s6, 0
	s_or_b32 s0, s0, s25
	s_waitcnt lgkmcnt(0)
	s_and_b32 vcc_lo, exec_lo, s0
	s_barrier
	buffer_gl0_inv
	s_cbranch_vccz .LBB202_26
; %bb.18:
	global_load_b64 v[17:18], v[17:18], off offset:-8
	v_cndmask_b32_e64 v26, 0, 1, s7
	s_and_b32 vcc_lo, exec_lo, s22
	ds_store_b64 v39, v[3:4]
	v_cmp_ne_u32_e64 s0, 1, v26
	s_cbranch_vccz .LBB202_34
; %bb.19:
	v_mul_lo_u32 v21, v2, s14
	v_mul_lo_u32 v22, v1, s15
	v_mad_u64_u32 v[19:20], null, v1, s14, 0
	s_and_b32 vcc_lo, exec_lo, s0
	s_mov_b32 s26, 0
	s_delay_alu instid0(VALU_DEP_1)
	v_add3_u32 v27, v20, v22, v21
	s_cbranch_vccnz .LBB202_37
; %bb.20:
	v_mad_u64_u32 v[20:21], null, v3, s14, s[16:17]
	v_mul_lo_u32 v24, v3, s15
	v_mul_lo_u32 v25, v4, s14
	v_add_co_u32 v22, vcc_lo, s16, v19
	v_add_co_ci_u32_e32 v23, vcc_lo, s17, v27, vcc_lo
	s_mov_b32 s26, -1
	s_mov_b32 s27, exec_lo
	s_delay_alu instid0(VALU_DEP_3)
	v_add3_u32 v21, v25, v21, v24
	s_clause 0x1
	global_load_u8 v24, v[22:23], off
	global_load_u8 v25, v[20:21], off
	s_waitcnt vmcnt(0)
	v_cmpx_eq_u16_e64 v24, v25
	s_cbranch_execz .LBB202_36
; %bb.21:
	s_mov_b64 s[0:1], 1
	s_mov_b32 s26, 0
                                        ; implicit-def: $sgpr28
	s_set_inst_prefetch_distance 0x1
	s_branch .LBB202_24
	.p2align	6
.LBB202_22:                             ;   in Loop: Header=BB202_24 Depth=1
	v_add_co_u32 v24, vcc_lo, v22, s0
	v_add_co_ci_u32_e32 v25, vcc_lo, s1, v23, vcc_lo
	v_add_co_u32 v28, vcc_lo, v20, s0
	v_add_co_ci_u32_e32 v29, vcc_lo, s1, v21, vcc_lo
	s_add_u32 s4, s0, 1
	s_clause 0x1
	global_load_u8 v24, v[24:25], off
	global_load_u8 v25, v[28:29], off
	s_addc_u32 s5, s1, 0
	s_and_not1_b32 s28, s28, exec_lo
	s_waitcnt vmcnt(0)
	v_cmp_ne_u16_e32 vcc_lo, v24, v25
	s_and_b32 s29, vcc_lo, exec_lo
	s_delay_alu instid0(SALU_CYCLE_1)
	s_or_b32 s28, s28, s29
.LBB202_23:                             ;   in Loop: Header=BB202_24 Depth=1
	v_dual_mov_b32 v25, s1 :: v_dual_mov_b32 v24, s0
	s_and_b32 s29, exec_lo, s28
	s_mov_b64 s[0:1], s[4:5]
	s_or_b32 s26, s29, s26
	s_delay_alu instid0(SALU_CYCLE_1)
	s_and_not1_b32 exec_lo, exec_lo, s26
	s_cbranch_execz .LBB202_35
.LBB202_24:                             ; =>This Inner Loop Header: Depth=1
	s_or_b32 s28, s28, exec_lo
	s_cmp_eq_u64 s[14:15], s[0:1]
	s_cbranch_scc0 .LBB202_22
; %bb.25:                               ;   in Loop: Header=BB202_24 Depth=1
	s_mov_b64 s[0:1], s[14:15]
                                        ; implicit-def: $sgpr4_sgpr5
	s_branch .LBB202_23
.LBB202_26:
                                        ; implicit-def: $sgpr0
                                        ; implicit-def: $vgpr20
	s_branch .LBB202_195
.LBB202_27:
	v_readfirstlane_b32 s4, v17
	v_readfirstlane_b32 s5, v18
	global_load_b64 v[1:2], v39, s[4:5]
	s_or_b32 exec_lo, exec_lo, s0
	s_delay_alu instid0(SALU_CYCLE_1)
	s_mov_b32 s0, exec_lo
	v_cmpx_gt_u32_e64 s12, v26
	s_cbranch_execz .LBB202_9
.LBB202_28:
	v_lshlrev_b32_e32 v3, 3, v26
	v_readfirstlane_b32 s4, v17
	v_readfirstlane_b32 s5, v18
	global_load_b64 v[3:4], v3, s[4:5]
	s_or_b32 exec_lo, exec_lo, s0
	s_delay_alu instid0(SALU_CYCLE_1)
	s_mov_b32 s0, exec_lo
	v_cmpx_gt_u32_e64 s12, v25
	s_cbranch_execz .LBB202_10
.LBB202_29:
	v_lshlrev_b32_e32 v5, 3, v25
	v_readfirstlane_b32 s4, v17
	v_readfirstlane_b32 s5, v18
	global_load_b64 v[5:6], v5, s[4:5]
	s_or_b32 exec_lo, exec_lo, s0
	s_delay_alu instid0(SALU_CYCLE_1)
	s_mov_b32 s0, exec_lo
	v_cmpx_gt_u32_e64 s12, v24
	s_cbranch_execz .LBB202_11
.LBB202_30:
	v_lshlrev_b32_e32 v7, 3, v24
	v_readfirstlane_b32 s4, v17
	v_readfirstlane_b32 s5, v18
	global_load_b64 v[7:8], v7, s[4:5]
	s_or_b32 exec_lo, exec_lo, s0
	s_delay_alu instid0(SALU_CYCLE_1)
	s_mov_b32 s0, exec_lo
	v_cmpx_gt_u32_e64 s12, v23
	s_cbranch_execz .LBB202_12
.LBB202_31:
	v_lshlrev_b32_e32 v9, 3, v23
	v_readfirstlane_b32 s4, v17
	v_readfirstlane_b32 s5, v18
	global_load_b64 v[9:10], v9, s[4:5]
	s_or_b32 exec_lo, exec_lo, s0
	s_delay_alu instid0(SALU_CYCLE_1)
	s_mov_b32 s0, exec_lo
	v_cmpx_gt_u32_e64 s12, v22
	s_cbranch_execz .LBB202_13
.LBB202_32:
	v_lshlrev_b32_e32 v11, 3, v22
	v_readfirstlane_b32 s4, v17
	v_readfirstlane_b32 s5, v18
	global_load_b64 v[11:12], v11, s[4:5]
	s_or_b32 exec_lo, exec_lo, s0
	s_delay_alu instid0(SALU_CYCLE_1)
	s_mov_b32 s0, exec_lo
	v_cmpx_gt_u32_e64 s12, v21
	s_cbranch_execz .LBB202_14
.LBB202_33:
	v_lshlrev_b32_e32 v13, 3, v21
	v_readfirstlane_b32 s4, v17
	v_readfirstlane_b32 s5, v18
	global_load_b64 v[13:14], v13, s[4:5]
	s_or_b32 exec_lo, exec_lo, s0
	s_delay_alu instid0(SALU_CYCLE_1)
	s_mov_b32 s0, exec_lo
	v_cmpx_gt_u32_e64 s12, v20
	s_cbranch_execnz .LBB202_15
	s_branch .LBB202_16
.LBB202_34:
                                        ; implicit-def: $sgpr0
                                        ; implicit-def: $vgpr20
	s_cbranch_execnz .LBB202_103
	s_branch .LBB202_194
.LBB202_35:
	s_set_inst_prefetch_distance 0x2
	s_or_b32 exec_lo, exec_lo, s26
	v_cmp_gt_i64_e32 vcc_lo, s[14:15], v[24:25]
	s_or_not1_b32 s26, vcc_lo, exec_lo
.LBB202_36:
	s_or_b32 exec_lo, exec_lo, s27
.LBB202_37:
	v_mul_lo_u32 v20, v8, s14
	v_mul_lo_u32 v23, v7, s15
	v_mad_u64_u32 v[21:22], null, v7, s14, 0
	s_and_not1_b32 vcc_lo, exec_lo, s7
	s_delay_alu instid0(VALU_DEP_1)
	v_add3_u32 v28, v22, v23, v20
	s_cbranch_vccnz .LBB202_46
; %bb.38:
	s_delay_alu instid0(VALU_DEP_2) | instskip(NEXT) | instid1(VALU_DEP_2)
	v_add_co_u32 v22, vcc_lo, s16, v21
	v_add_co_ci_u32_e32 v23, vcc_lo, s17, v28, vcc_lo
	v_add_co_u32 v19, vcc_lo, s16, v19
	v_add_co_ci_u32_e32 v20, vcc_lo, s17, v27, vcc_lo
	s_mov_b32 s6, -1
	s_clause 0x1
	global_load_u8 v24, v[22:23], off
	global_load_u8 v25, v[19:20], off
	s_mov_b32 s27, exec_lo
	s_waitcnt vmcnt(0)
	v_cmpx_eq_u16_e64 v24, v25
	s_cbranch_execz .LBB202_45
; %bb.39:
	s_mov_b64 s[0:1], 1
	s_mov_b32 s6, 0
                                        ; implicit-def: $sgpr28
	s_set_inst_prefetch_distance 0x1
	s_branch .LBB202_42
	.p2align	6
.LBB202_40:                             ;   in Loop: Header=BB202_42 Depth=1
	v_add_co_u32 v24, vcc_lo, v22, s0
	v_add_co_ci_u32_e32 v25, vcc_lo, s1, v23, vcc_lo
	v_add_co_u32 v29, vcc_lo, v19, s0
	v_add_co_ci_u32_e32 v30, vcc_lo, s1, v20, vcc_lo
	s_add_u32 s4, s0, 1
	s_clause 0x1
	global_load_u8 v24, v[24:25], off
	global_load_u8 v25, v[29:30], off
	s_addc_u32 s5, s1, 0
	s_and_not1_b32 s28, s28, exec_lo
	s_waitcnt vmcnt(0)
	v_cmp_ne_u16_e32 vcc_lo, v24, v25
	s_and_b32 s29, vcc_lo, exec_lo
	s_delay_alu instid0(SALU_CYCLE_1)
	s_or_b32 s28, s28, s29
.LBB202_41:                             ;   in Loop: Header=BB202_42 Depth=1
	v_dual_mov_b32 v25, s1 :: v_dual_mov_b32 v24, s0
	s_and_b32 s29, exec_lo, s28
	s_mov_b64 s[0:1], s[4:5]
	s_or_b32 s6, s29, s6
	s_delay_alu instid0(SALU_CYCLE_1)
	s_and_not1_b32 exec_lo, exec_lo, s6
	s_cbranch_execz .LBB202_44
.LBB202_42:                             ; =>This Inner Loop Header: Depth=1
	s_or_b32 s28, s28, exec_lo
	s_cmp_eq_u64 s[14:15], s[0:1]
	s_cbranch_scc0 .LBB202_40
; %bb.43:                               ;   in Loop: Header=BB202_42 Depth=1
	s_mov_b64 s[0:1], s[14:15]
                                        ; implicit-def: $sgpr4_sgpr5
	s_branch .LBB202_41
.LBB202_44:
	s_set_inst_prefetch_distance 0x2
	s_or_b32 exec_lo, exec_lo, s6
	v_cmp_gt_i64_e32 vcc_lo, s[14:15], v[24:25]
	s_or_not1_b32 s6, vcc_lo, exec_lo
.LBB202_45:
	s_or_b32 exec_lo, exec_lo, s27
.LBB202_46:
	v_mul_lo_u32 v22, v6, s14
	v_mul_lo_u32 v23, v5, s15
	v_mad_u64_u32 v[19:20], null, v5, s14, 0
	s_mov_b32 s27, 0
	s_and_not1_b32 vcc_lo, exec_lo, s7
	s_mov_b32 s28, 0
	s_delay_alu instid0(VALU_DEP_1)
	v_add3_u32 v29, v20, v23, v22
	s_cbranch_vccnz .LBB202_55
; %bb.47:
	s_delay_alu instid0(VALU_DEP_2) | instskip(NEXT) | instid1(VALU_DEP_2)
	v_add_co_u32 v22, vcc_lo, s16, v19
	v_add_co_ci_u32_e32 v23, vcc_lo, s17, v29, vcc_lo
	v_add_co_u32 v20, vcc_lo, s16, v21
	v_add_co_ci_u32_e32 v21, vcc_lo, s17, v28, vcc_lo
	s_mov_b32 s28, -1
	s_clause 0x1
	global_load_u8 v24, v[22:23], off
	global_load_u8 v25, v[20:21], off
	s_mov_b32 s29, exec_lo
	s_waitcnt vmcnt(0)
	v_cmpx_eq_u16_e64 v24, v25
	s_cbranch_execz .LBB202_54
; %bb.48:
	s_mov_b64 s[0:1], 1
	s_mov_b32 s28, 0
                                        ; implicit-def: $sgpr30
	s_set_inst_prefetch_distance 0x1
	s_branch .LBB202_51
	.p2align	6
.LBB202_49:                             ;   in Loop: Header=BB202_51 Depth=1
	v_add_co_u32 v24, vcc_lo, v22, s0
	v_add_co_ci_u32_e32 v25, vcc_lo, s1, v23, vcc_lo
	v_add_co_u32 v27, vcc_lo, v20, s0
	v_add_co_ci_u32_e32 v28, vcc_lo, s1, v21, vcc_lo
	s_add_u32 s4, s0, 1
	s_clause 0x1
	global_load_u8 v24, v[24:25], off
	global_load_u8 v25, v[27:28], off
	s_addc_u32 s5, s1, 0
	s_and_not1_b32 s30, s30, exec_lo
	s_waitcnt vmcnt(0)
	v_cmp_ne_u16_e32 vcc_lo, v24, v25
	s_and_b32 s31, vcc_lo, exec_lo
	s_delay_alu instid0(SALU_CYCLE_1)
	s_or_b32 s30, s30, s31
.LBB202_50:                             ;   in Loop: Header=BB202_51 Depth=1
	v_dual_mov_b32 v25, s1 :: v_dual_mov_b32 v24, s0
	s_and_b32 s31, exec_lo, s30
	s_mov_b64 s[0:1], s[4:5]
	s_or_b32 s28, s31, s28
	s_delay_alu instid0(SALU_CYCLE_1)
	s_and_not1_b32 exec_lo, exec_lo, s28
	s_cbranch_execz .LBB202_53
.LBB202_51:                             ; =>This Inner Loop Header: Depth=1
	s_or_b32 s30, s30, exec_lo
	s_cmp_eq_u64 s[14:15], s[0:1]
	s_cbranch_scc0 .LBB202_49
; %bb.52:                               ;   in Loop: Header=BB202_51 Depth=1
	s_mov_b64 s[0:1], s[14:15]
                                        ; implicit-def: $sgpr4_sgpr5
	s_branch .LBB202_50
.LBB202_53:
	s_set_inst_prefetch_distance 0x2
	s_or_b32 exec_lo, exec_lo, s28
	v_cmp_gt_i64_e32 vcc_lo, s[14:15], v[24:25]
	s_or_not1_b32 s28, vcc_lo, exec_lo
.LBB202_54:
	s_or_b32 exec_lo, exec_lo, s29
.LBB202_55:
	v_mul_lo_u32 v20, v12, s14
	v_mul_lo_u32 v23, v11, s15
	v_mad_u64_u32 v[21:22], null, v11, s14, 0
	s_and_not1_b32 vcc_lo, exec_lo, s7
	s_delay_alu instid0(VALU_DEP_1)
	v_add3_u32 v27, v22, v23, v20
	s_cbranch_vccnz .LBB202_64
; %bb.56:
	s_delay_alu instid0(VALU_DEP_2) | instskip(NEXT) | instid1(VALU_DEP_2)
	v_add_co_u32 v22, vcc_lo, s16, v21
	v_add_co_ci_u32_e32 v23, vcc_lo, s17, v27, vcc_lo
	v_add_co_u32 v19, vcc_lo, s16, v19
	v_add_co_ci_u32_e32 v20, vcc_lo, s17, v29, vcc_lo
	s_mov_b32 s27, -1
	s_clause 0x1
	global_load_u8 v24, v[22:23], off
	global_load_u8 v25, v[19:20], off
	s_mov_b32 s29, exec_lo
	s_waitcnt vmcnt(0)
	v_cmpx_eq_u16_e64 v24, v25
	s_cbranch_execz .LBB202_63
; %bb.57:
	s_mov_b64 s[0:1], 1
	s_mov_b32 s27, 0
                                        ; implicit-def: $sgpr30
	s_set_inst_prefetch_distance 0x1
	s_branch .LBB202_60
	.p2align	6
.LBB202_58:                             ;   in Loop: Header=BB202_60 Depth=1
	v_add_co_u32 v24, vcc_lo, v22, s0
	v_add_co_ci_u32_e32 v25, vcc_lo, s1, v23, vcc_lo
	v_add_co_u32 v28, vcc_lo, v19, s0
	v_add_co_ci_u32_e32 v29, vcc_lo, s1, v20, vcc_lo
	s_add_u32 s4, s0, 1
	s_clause 0x1
	global_load_u8 v24, v[24:25], off
	global_load_u8 v25, v[28:29], off
	s_addc_u32 s5, s1, 0
	s_and_not1_b32 s30, s30, exec_lo
	s_waitcnt vmcnt(0)
	v_cmp_ne_u16_e32 vcc_lo, v24, v25
	s_and_b32 s31, vcc_lo, exec_lo
	s_delay_alu instid0(SALU_CYCLE_1)
	s_or_b32 s30, s30, s31
.LBB202_59:                             ;   in Loop: Header=BB202_60 Depth=1
	v_dual_mov_b32 v25, s1 :: v_dual_mov_b32 v24, s0
	s_and_b32 s31, exec_lo, s30
	s_mov_b64 s[0:1], s[4:5]
	s_or_b32 s27, s31, s27
	s_delay_alu instid0(SALU_CYCLE_1)
	s_and_not1_b32 exec_lo, exec_lo, s27
	s_cbranch_execz .LBB202_62
.LBB202_60:                             ; =>This Inner Loop Header: Depth=1
	s_or_b32 s30, s30, exec_lo
	s_cmp_eq_u64 s[14:15], s[0:1]
	s_cbranch_scc0 .LBB202_58
; %bb.61:                               ;   in Loop: Header=BB202_60 Depth=1
	s_mov_b64 s[0:1], s[14:15]
                                        ; implicit-def: $sgpr4_sgpr5
	s_branch .LBB202_59
.LBB202_62:
	s_set_inst_prefetch_distance 0x2
	s_or_b32 exec_lo, exec_lo, s27
	v_cmp_gt_i64_e32 vcc_lo, s[14:15], v[24:25]
	s_or_not1_b32 s27, vcc_lo, exec_lo
.LBB202_63:
	s_or_b32 exec_lo, exec_lo, s29
.LBB202_64:
	v_mul_lo_u32 v22, v10, s14
	v_mul_lo_u32 v23, v9, s15
	v_mad_u64_u32 v[19:20], null, v9, s14, 0
	s_mov_b32 s29, 0
	s_and_not1_b32 vcc_lo, exec_lo, s7
	s_mov_b32 s30, 0
	s_delay_alu instid0(VALU_DEP_1)
	v_add3_u32 v29, v20, v23, v22
	s_cbranch_vccnz .LBB202_73
; %bb.65:
	s_delay_alu instid0(VALU_DEP_2) | instskip(NEXT) | instid1(VALU_DEP_2)
	v_add_co_u32 v22, vcc_lo, s16, v19
	v_add_co_ci_u32_e32 v23, vcc_lo, s17, v29, vcc_lo
	v_add_co_u32 v20, vcc_lo, s16, v21
	v_add_co_ci_u32_e32 v21, vcc_lo, s17, v27, vcc_lo
	s_mov_b32 s30, -1
	s_clause 0x1
	global_load_u8 v24, v[22:23], off
	global_load_u8 v25, v[20:21], off
	s_mov_b32 s31, exec_lo
	s_waitcnt vmcnt(0)
	v_cmpx_eq_u16_e64 v24, v25
	s_cbranch_execz .LBB202_72
; %bb.66:
	s_mov_b64 s[0:1], 1
	s_mov_b32 s30, 0
                                        ; implicit-def: $sgpr33
	s_set_inst_prefetch_distance 0x1
	s_branch .LBB202_69
	.p2align	6
.LBB202_67:                             ;   in Loop: Header=BB202_69 Depth=1
	v_add_co_u32 v24, vcc_lo, v22, s0
	v_add_co_ci_u32_e32 v25, vcc_lo, s1, v23, vcc_lo
	v_add_co_u32 v27, vcc_lo, v20, s0
	v_add_co_ci_u32_e32 v28, vcc_lo, s1, v21, vcc_lo
	s_add_u32 s4, s0, 1
	s_clause 0x1
	global_load_u8 v24, v[24:25], off
	global_load_u8 v25, v[27:28], off
	s_addc_u32 s5, s1, 0
	s_and_not1_b32 s33, s33, exec_lo
	s_waitcnt vmcnt(0)
	v_cmp_ne_u16_e32 vcc_lo, v24, v25
	s_and_b32 s34, vcc_lo, exec_lo
	s_delay_alu instid0(SALU_CYCLE_1)
	s_or_b32 s33, s33, s34
.LBB202_68:                             ;   in Loop: Header=BB202_69 Depth=1
	v_dual_mov_b32 v25, s1 :: v_dual_mov_b32 v24, s0
	s_and_b32 s34, exec_lo, s33
	s_mov_b64 s[0:1], s[4:5]
	s_or_b32 s30, s34, s30
	s_delay_alu instid0(SALU_CYCLE_1)
	s_and_not1_b32 exec_lo, exec_lo, s30
	s_cbranch_execz .LBB202_71
.LBB202_69:                             ; =>This Inner Loop Header: Depth=1
	s_or_b32 s33, s33, exec_lo
	s_cmp_eq_u64 s[14:15], s[0:1]
	s_cbranch_scc0 .LBB202_67
; %bb.70:                               ;   in Loop: Header=BB202_69 Depth=1
	s_mov_b64 s[0:1], s[14:15]
                                        ; implicit-def: $sgpr4_sgpr5
	s_branch .LBB202_68
.LBB202_71:
	s_set_inst_prefetch_distance 0x2
	s_or_b32 exec_lo, exec_lo, s30
	v_cmp_gt_i64_e32 vcc_lo, s[14:15], v[24:25]
	s_or_not1_b32 s30, vcc_lo, exec_lo
.LBB202_72:
	s_or_b32 exec_lo, exec_lo, s31
.LBB202_73:
	v_mul_lo_u32 v20, v16, s14
	v_mul_lo_u32 v23, v15, s15
	v_mad_u64_u32 v[21:22], null, v15, s14, 0
	s_and_not1_b32 vcc_lo, exec_lo, s7
	s_delay_alu instid0(VALU_DEP_1)
	v_add3_u32 v28, v22, v23, v20
	s_cbranch_vccnz .LBB202_82
; %bb.74:
	s_delay_alu instid0(VALU_DEP_2) | instskip(NEXT) | instid1(VALU_DEP_2)
	v_add_co_u32 v22, vcc_lo, s16, v21
	v_add_co_ci_u32_e32 v23, vcc_lo, s17, v28, vcc_lo
	v_add_co_u32 v19, vcc_lo, s16, v19
	v_add_co_ci_u32_e32 v20, vcc_lo, s17, v29, vcc_lo
	s_mov_b32 s29, -1
	s_clause 0x1
	global_load_u8 v24, v[22:23], off
	global_load_u8 v25, v[19:20], off
	s_mov_b32 s31, exec_lo
	s_waitcnt vmcnt(0)
	v_cmpx_eq_u16_e64 v24, v25
	s_cbranch_execz .LBB202_81
; %bb.75:
	s_mov_b64 s[0:1], 1
	s_mov_b32 s29, 0
                                        ; implicit-def: $sgpr33
	s_set_inst_prefetch_distance 0x1
	s_branch .LBB202_78
	.p2align	6
.LBB202_76:                             ;   in Loop: Header=BB202_78 Depth=1
	v_add_co_u32 v24, vcc_lo, v22, s0
	v_add_co_ci_u32_e32 v25, vcc_lo, s1, v23, vcc_lo
	v_add_co_u32 v29, vcc_lo, v19, s0
	v_add_co_ci_u32_e32 v30, vcc_lo, s1, v20, vcc_lo
	s_add_u32 s4, s0, 1
	s_clause 0x1
	global_load_u8 v24, v[24:25], off
	global_load_u8 v25, v[29:30], off
	s_addc_u32 s5, s1, 0
	s_and_not1_b32 s33, s33, exec_lo
	s_waitcnt vmcnt(0)
	v_cmp_ne_u16_e32 vcc_lo, v24, v25
	s_and_b32 s34, vcc_lo, exec_lo
	s_delay_alu instid0(SALU_CYCLE_1)
	s_or_b32 s33, s33, s34
.LBB202_77:                             ;   in Loop: Header=BB202_78 Depth=1
	v_dual_mov_b32 v25, s1 :: v_dual_mov_b32 v24, s0
	s_and_b32 s34, exec_lo, s33
	s_mov_b64 s[0:1], s[4:5]
	s_or_b32 s29, s34, s29
	s_delay_alu instid0(SALU_CYCLE_1)
	s_and_not1_b32 exec_lo, exec_lo, s29
	s_cbranch_execz .LBB202_80
.LBB202_78:                             ; =>This Inner Loop Header: Depth=1
	s_or_b32 s33, s33, exec_lo
	s_cmp_eq_u64 s[14:15], s[0:1]
	s_cbranch_scc0 .LBB202_76
; %bb.79:                               ;   in Loop: Header=BB202_78 Depth=1
	s_mov_b64 s[0:1], s[14:15]
                                        ; implicit-def: $sgpr4_sgpr5
	s_branch .LBB202_77
.LBB202_80:
	s_set_inst_prefetch_distance 0x2
	s_or_b32 exec_lo, exec_lo, s29
	v_cmp_gt_i64_e32 vcc_lo, s[14:15], v[24:25]
	s_or_not1_b32 s29, vcc_lo, exec_lo
.LBB202_81:
	s_or_b32 exec_lo, exec_lo, s31
.LBB202_82:
	v_mul_lo_u32 v22, v14, s14
	v_mul_lo_u32 v23, v13, s15
	v_mad_u64_u32 v[19:20], null, v13, s14, 0
	s_and_not1_b32 vcc_lo, exec_lo, s7
	s_mov_b32 s0, 0
	s_delay_alu instid0(VALU_DEP_1)
	v_add3_u32 v27, v20, v23, v22
	s_cbranch_vccnz .LBB202_91
; %bb.83:
	s_delay_alu instid0(VALU_DEP_2) | instskip(NEXT) | instid1(VALU_DEP_2)
	v_add_co_u32 v22, vcc_lo, s16, v19
	v_add_co_ci_u32_e32 v23, vcc_lo, s17, v27, vcc_lo
	v_add_co_u32 v20, vcc_lo, s16, v21
	v_add_co_ci_u32_e32 v21, vcc_lo, s17, v28, vcc_lo
	s_mov_b32 s0, -1
	s_clause 0x1
	global_load_u8 v24, v[22:23], off
	global_load_u8 v25, v[20:21], off
	s_mov_b32 s31, exec_lo
	s_waitcnt vmcnt(0)
	v_cmpx_eq_u16_e64 v24, v25
	s_cbranch_execz .LBB202_90
; %bb.84:
	s_mov_b64 s[0:1], 1
	s_mov_b32 s33, 0
                                        ; implicit-def: $sgpr34
	s_set_inst_prefetch_distance 0x1
	s_branch .LBB202_87
	.p2align	6
.LBB202_85:                             ;   in Loop: Header=BB202_87 Depth=1
	v_add_co_u32 v24, vcc_lo, v22, s0
	v_add_co_ci_u32_e32 v25, vcc_lo, s1, v23, vcc_lo
	v_add_co_u32 v28, vcc_lo, v20, s0
	v_add_co_ci_u32_e32 v29, vcc_lo, s1, v21, vcc_lo
	s_add_u32 s4, s0, 1
	s_clause 0x1
	global_load_u8 v24, v[24:25], off
	global_load_u8 v25, v[28:29], off
	s_addc_u32 s5, s1, 0
	s_and_not1_b32 s34, s34, exec_lo
	s_waitcnt vmcnt(0)
	v_cmp_ne_u16_e32 vcc_lo, v24, v25
	s_and_b32 s35, vcc_lo, exec_lo
	s_delay_alu instid0(SALU_CYCLE_1)
	s_or_b32 s34, s34, s35
.LBB202_86:                             ;   in Loop: Header=BB202_87 Depth=1
	v_dual_mov_b32 v25, s1 :: v_dual_mov_b32 v24, s0
	s_and_b32 s35, exec_lo, s34
	s_mov_b64 s[0:1], s[4:5]
	s_or_b32 s33, s35, s33
	s_delay_alu instid0(SALU_CYCLE_1)
	s_and_not1_b32 exec_lo, exec_lo, s33
	s_cbranch_execz .LBB202_89
.LBB202_87:                             ; =>This Inner Loop Header: Depth=1
	s_or_b32 s34, s34, exec_lo
	s_cmp_eq_u64 s[14:15], s[0:1]
	s_cbranch_scc0 .LBB202_85
; %bb.88:                               ;   in Loop: Header=BB202_87 Depth=1
	s_mov_b64 s[0:1], s[14:15]
                                        ; implicit-def: $sgpr4_sgpr5
	s_branch .LBB202_86
.LBB202_89:
	s_set_inst_prefetch_distance 0x2
	s_or_b32 exec_lo, exec_lo, s33
	v_cmp_gt_i64_e32 vcc_lo, s[14:15], v[24:25]
	s_or_not1_b32 s0, vcc_lo, exec_lo
.LBB202_90:
	s_or_b32 exec_lo, exec_lo, s31
.LBB202_91:
	s_waitcnt vmcnt(0)
	v_dual_mov_b32 v23, v18 :: v_dual_mov_b32 v22, v17
	s_waitcnt lgkmcnt(0)
	s_barrier
	buffer_gl0_inv
	s_and_saveexec_b32 s1, s3
	s_cbranch_execz .LBB202_93
; %bb.92:
	v_add_nc_u32_e32 v20, -8, v39
	ds_load_b64 v[22:23], v20
.LBB202_93:
	s_or_b32 exec_lo, exec_lo, s1
	v_cndmask_b32_e64 v21, 0, 1, s30
	v_cndmask_b32_e64 v25, 0, 1, s28
	;; [unrolled: 1-line block ×7, first 2 shown]
	v_lshlrev_b16 v21, 8, v21
	v_lshlrev_b16 v25, 8, v25
	;; [unrolled: 1-line block ×4, first 2 shown]
	s_mov_b32 s6, 0
	v_or_b32_e32 v20, v20, v21
	v_or_b32_e32 v21, v24, v25
	v_or_b32_e32 v24, v30, v28
	v_and_b32_e32 v28, 0xffff, v29
	s_and_not1_b32 vcc_lo, exec_lo, s7
	v_lshlrev_b32_e32 v29, 16, v20
	v_and_b32_e32 v30, 0xffff, v21
	v_lshlrev_b32_e32 v31, 16, v24
	s_mov_b32 s0, 0
	s_cbranch_vccnz .LBB202_102
; %bb.94:
	s_waitcnt lgkmcnt(0)
	v_mad_u64_u32 v[20:21], null, v22, s14, s[16:17]
	v_mul_lo_u32 v22, v22, s15
	v_mul_lo_u32 v23, v23, s14
	s_mov_b32 s0, -1
	s_mov_b32 s26, exec_lo
	s_delay_alu instid0(VALU_DEP_1)
	v_add3_u32 v21, v23, v21, v22
	v_add_co_u32 v22, vcc_lo, s16, v19
	v_add_co_ci_u32_e32 v23, vcc_lo, s17, v27, vcc_lo
	s_clause 0x1
	global_load_u8 v19, v[20:21], off
	global_load_u8 v24, v[22:23], off
	s_waitcnt vmcnt(0)
	v_cmpx_eq_u16_e64 v19, v24
	s_cbranch_execz .LBB202_101
; %bb.95:
	s_mov_b64 s[0:1], 1
	s_mov_b32 s27, 0
                                        ; implicit-def: $sgpr28
	s_set_inst_prefetch_distance 0x1
	s_branch .LBB202_98
	.p2align	6
.LBB202_96:                             ;   in Loop: Header=BB202_98 Depth=1
	v_add_co_u32 v24, vcc_lo, v20, s0
	v_add_co_ci_u32_e32 v25, vcc_lo, s1, v21, vcc_lo
	v_add_co_u32 v32, vcc_lo, v22, s0
	v_add_co_ci_u32_e32 v33, vcc_lo, s1, v23, vcc_lo
	s_add_u32 s4, s0, 1
	s_clause 0x1
	global_load_u8 v19, v[24:25], off
	global_load_u8 v24, v[32:33], off
	s_addc_u32 s5, s1, 0
	s_and_not1_b32 s28, s28, exec_lo
	s_waitcnt vmcnt(0)
	v_cmp_ne_u16_e32 vcc_lo, v19, v24
	s_and_b32 s29, vcc_lo, exec_lo
	s_delay_alu instid0(SALU_CYCLE_1)
	s_or_b32 s28, s28, s29
.LBB202_97:                             ;   in Loop: Header=BB202_98 Depth=1
	v_dual_mov_b32 v25, s1 :: v_dual_mov_b32 v24, s0
	s_and_b32 s29, exec_lo, s28
	s_mov_b64 s[0:1], s[4:5]
	s_or_b32 s27, s29, s27
	s_delay_alu instid0(SALU_CYCLE_1)
	s_and_not1_b32 exec_lo, exec_lo, s27
	s_cbranch_execz .LBB202_100
.LBB202_98:                             ; =>This Inner Loop Header: Depth=1
	s_or_b32 s28, s28, exec_lo
	s_cmp_eq_u64 s[14:15], s[0:1]
	s_cbranch_scc0 .LBB202_96
; %bb.99:                               ;   in Loop: Header=BB202_98 Depth=1
	s_mov_b64 s[0:1], s[14:15]
                                        ; implicit-def: $sgpr4_sgpr5
	s_branch .LBB202_97
.LBB202_100:
	s_set_inst_prefetch_distance 0x2
	s_or_b32 exec_lo, exec_lo, s27
	v_cmp_gt_i64_e32 vcc_lo, s[14:15], v[24:25]
	s_or_not1_b32 s0, vcc_lo, exec_lo
.LBB202_101:
	s_or_b32 exec_lo, exec_lo, s26
.LBB202_102:
	v_or_b32_e32 v19, v28, v29
	s_delay_alu instid0(VALU_DEP_2)
	v_or_b32_e32 v20, v30, v31
	s_and_b32 vcc_lo, exec_lo, s6
	s_cbranch_vccz .LBB202_194
.LBB202_103:
	v_or_b32_e32 v19, 7, v39
	s_mov_b32 s6, 0
	s_mov_b32 s26, 0
	s_mov_b32 s27, exec_lo
	s_delay_alu instid0(VALU_DEP_1)
	v_cmpx_gt_u32_e64 s12, v19
	s_cbranch_execz .LBB202_114
; %bb.104:
	s_and_not1_b32 vcc_lo, exec_lo, s7
	s_mov_b32 s0, 0
	s_cbranch_vccnz .LBB202_113
; %bb.105:
	v_mad_u64_u32 v[19:20], null, v1, s14, s[16:17]
	s_waitcnt lgkmcnt(0)
	v_mul_lo_u32 v23, v1, s15
	v_mul_lo_u32 v24, v2, s14
	v_mad_u64_u32 v[21:22], null, v3, s14, s[16:17]
	v_mul_lo_u32 v25, v3, s15
	v_mul_lo_u32 v27, v4, s14
	s_mov_b32 s0, -1
	s_mov_b32 s7, exec_lo
	s_delay_alu instid0(VALU_DEP_4) | instskip(NEXT) | instid1(VALU_DEP_2)
	v_add3_u32 v20, v24, v20, v23
	v_add3_u32 v22, v27, v22, v25
	s_clause 0x1
	global_load_u8 v23, v[19:20], off
	global_load_u8 v24, v[21:22], off
	s_waitcnt vmcnt(0)
	v_cmpx_eq_u16_e64 v23, v24
	s_cbranch_execz .LBB202_112
; %bb.106:
	s_mov_b64 s[0:1], 1
                                        ; implicit-def: $sgpr28
	s_set_inst_prefetch_distance 0x1
	s_branch .LBB202_109
	.p2align	6
.LBB202_107:                            ;   in Loop: Header=BB202_109 Depth=1
	v_add_co_u32 v23, vcc_lo, v19, s0
	v_add_co_ci_u32_e32 v24, vcc_lo, s1, v20, vcc_lo
	v_add_co_u32 v27, vcc_lo, v21, s0
	v_add_co_ci_u32_e32 v28, vcc_lo, s1, v22, vcc_lo
	s_add_u32 s4, s0, 1
	s_clause 0x1
	global_load_u8 v23, v[23:24], off
	global_load_u8 v24, v[27:28], off
	s_addc_u32 s5, s1, 0
	s_and_not1_b32 s28, s28, exec_lo
	s_waitcnt vmcnt(0)
	v_cmp_ne_u16_e32 vcc_lo, v23, v24
	s_and_b32 s29, vcc_lo, exec_lo
	s_delay_alu instid0(SALU_CYCLE_1)
	s_or_b32 s28, s28, s29
.LBB202_108:                            ;   in Loop: Header=BB202_109 Depth=1
	v_dual_mov_b32 v24, s1 :: v_dual_mov_b32 v23, s0
	s_and_b32 s29, exec_lo, s28
	s_mov_b64 s[0:1], s[4:5]
	s_or_b32 s26, s29, s26
	s_delay_alu instid0(SALU_CYCLE_1)
	s_and_not1_b32 exec_lo, exec_lo, s26
	s_cbranch_execz .LBB202_111
.LBB202_109:                            ; =>This Inner Loop Header: Depth=1
	s_or_b32 s28, s28, exec_lo
	s_cmp_eq_u64 s[14:15], s[0:1]
	s_cbranch_scc0 .LBB202_107
; %bb.110:                              ;   in Loop: Header=BB202_109 Depth=1
	s_mov_b64 s[0:1], s[14:15]
                                        ; implicit-def: $sgpr4_sgpr5
	s_branch .LBB202_108
.LBB202_111:
	s_set_inst_prefetch_distance 0x2
	s_or_b32 exec_lo, exec_lo, s26
	v_cmp_gt_i64_e32 vcc_lo, s[14:15], v[23:24]
	s_or_not1_b32 s0, vcc_lo, exec_lo
.LBB202_112:
	s_or_b32 exec_lo, exec_lo, s7
.LBB202_113:
	s_delay_alu instid0(SALU_CYCLE_1)
	s_and_b32 s26, s0, exec_lo
.LBB202_114:
	s_or_b32 exec_lo, exec_lo, s27
	v_or_b32_e32 v19, 6, v39
	s_mov_b32 s7, exec_lo
	s_delay_alu instid0(VALU_DEP_1)
	v_cmpx_gt_u32_e64 s12, v19
	s_cbranch_execz .LBB202_125
; %bb.115:
	v_cmp_ne_u32_e32 vcc_lo, 1, v26
	s_mov_b32 s0, 0
	s_cbranch_vccnz .LBB202_124
; %bb.116:
	v_mad_u64_u32 v[19:20], null, v7, s14, s[16:17]
	s_waitcnt lgkmcnt(0)
	v_mul_lo_u32 v23, v7, s15
	v_mul_lo_u32 v24, v8, s14
	v_mad_u64_u32 v[21:22], null, v1, s14, s[16:17]
	v_mul_lo_u32 v25, v1, s15
	v_mul_lo_u32 v27, v2, s14
	s_mov_b32 s0, -1
	s_mov_b32 s6, exec_lo
	s_delay_alu instid0(VALU_DEP_4) | instskip(NEXT) | instid1(VALU_DEP_2)
	v_add3_u32 v20, v24, v20, v23
	v_add3_u32 v22, v27, v22, v25
	s_clause 0x1
	global_load_u8 v23, v[19:20], off
	global_load_u8 v24, v[21:22], off
	s_waitcnt vmcnt(0)
	v_cmpx_eq_u16_e64 v23, v24
	s_cbranch_execz .LBB202_123
; %bb.117:
	s_mov_b64 s[0:1], 1
	s_mov_b32 s27, 0
                                        ; implicit-def: $sgpr28
	s_set_inst_prefetch_distance 0x1
	s_branch .LBB202_120
	.p2align	6
.LBB202_118:                            ;   in Loop: Header=BB202_120 Depth=1
	v_add_co_u32 v23, vcc_lo, v19, s0
	v_add_co_ci_u32_e32 v24, vcc_lo, s1, v20, vcc_lo
	v_add_co_u32 v27, vcc_lo, v21, s0
	v_add_co_ci_u32_e32 v28, vcc_lo, s1, v22, vcc_lo
	s_add_u32 s4, s0, 1
	s_clause 0x1
	global_load_u8 v23, v[23:24], off
	global_load_u8 v24, v[27:28], off
	s_addc_u32 s5, s1, 0
	s_and_not1_b32 s28, s28, exec_lo
	s_waitcnt vmcnt(0)
	v_cmp_ne_u16_e32 vcc_lo, v23, v24
	s_and_b32 s29, vcc_lo, exec_lo
	s_delay_alu instid0(SALU_CYCLE_1)
	s_or_b32 s28, s28, s29
.LBB202_119:                            ;   in Loop: Header=BB202_120 Depth=1
	v_dual_mov_b32 v24, s1 :: v_dual_mov_b32 v23, s0
	s_and_b32 s29, exec_lo, s28
	s_mov_b64 s[0:1], s[4:5]
	s_or_b32 s27, s29, s27
	s_delay_alu instid0(SALU_CYCLE_1)
	s_and_not1_b32 exec_lo, exec_lo, s27
	s_cbranch_execz .LBB202_122
.LBB202_120:                            ; =>This Inner Loop Header: Depth=1
	s_or_b32 s28, s28, exec_lo
	s_cmp_eq_u64 s[14:15], s[0:1]
	s_cbranch_scc0 .LBB202_118
; %bb.121:                              ;   in Loop: Header=BB202_120 Depth=1
	s_mov_b64 s[0:1], s[14:15]
                                        ; implicit-def: $sgpr4_sgpr5
	s_branch .LBB202_119
.LBB202_122:
	s_set_inst_prefetch_distance 0x2
	s_or_b32 exec_lo, exec_lo, s27
	v_cmp_gt_i64_e32 vcc_lo, s[14:15], v[23:24]
	s_or_not1_b32 s0, vcc_lo, exec_lo
.LBB202_123:
	s_or_b32 exec_lo, exec_lo, s6
.LBB202_124:
	s_delay_alu instid0(SALU_CYCLE_1)
	s_and_b32 s6, s0, exec_lo
.LBB202_125:
	s_or_b32 exec_lo, exec_lo, s7
	v_or_b32_e32 v19, 5, v39
	s_mov_b32 s27, 0
	s_mov_b32 s7, 0
	s_mov_b32 s28, exec_lo
	s_delay_alu instid0(VALU_DEP_1)
	v_cmpx_gt_u32_e64 s12, v19
	s_cbranch_execz .LBB202_136
; %bb.126:
	v_cmp_ne_u32_e32 vcc_lo, 1, v26
	s_mov_b32 s0, 0
	s_cbranch_vccnz .LBB202_135
; %bb.127:
	v_mad_u64_u32 v[19:20], null, v5, s14, s[16:17]
	s_waitcnt lgkmcnt(0)
	v_mul_lo_u32 v23, v5, s15
	v_mul_lo_u32 v24, v6, s14
	v_mad_u64_u32 v[21:22], null, v7, s14, s[16:17]
	v_mul_lo_u32 v25, v7, s15
	v_mul_lo_u32 v27, v8, s14
	s_mov_b32 s0, -1
	s_mov_b32 s7, exec_lo
	s_delay_alu instid0(VALU_DEP_4) | instskip(NEXT) | instid1(VALU_DEP_2)
	v_add3_u32 v20, v24, v20, v23
	v_add3_u32 v22, v27, v22, v25
	s_clause 0x1
	global_load_u8 v23, v[19:20], off
	global_load_u8 v24, v[21:22], off
	s_waitcnt vmcnt(0)
	v_cmpx_eq_u16_e64 v23, v24
	s_cbranch_execz .LBB202_134
; %bb.128:
	s_mov_b64 s[0:1], 1
	s_mov_b32 s29, 0
                                        ; implicit-def: $sgpr30
	s_set_inst_prefetch_distance 0x1
	s_branch .LBB202_131
	.p2align	6
.LBB202_129:                            ;   in Loop: Header=BB202_131 Depth=1
	v_add_co_u32 v23, vcc_lo, v19, s0
	v_add_co_ci_u32_e32 v24, vcc_lo, s1, v20, vcc_lo
	v_add_co_u32 v27, vcc_lo, v21, s0
	v_add_co_ci_u32_e32 v28, vcc_lo, s1, v22, vcc_lo
	s_add_u32 s4, s0, 1
	s_clause 0x1
	global_load_u8 v23, v[23:24], off
	global_load_u8 v24, v[27:28], off
	s_addc_u32 s5, s1, 0
	s_and_not1_b32 s30, s30, exec_lo
	s_waitcnt vmcnt(0)
	v_cmp_ne_u16_e32 vcc_lo, v23, v24
	s_and_b32 s31, vcc_lo, exec_lo
	s_delay_alu instid0(SALU_CYCLE_1)
	s_or_b32 s30, s30, s31
.LBB202_130:                            ;   in Loop: Header=BB202_131 Depth=1
	v_dual_mov_b32 v24, s1 :: v_dual_mov_b32 v23, s0
	s_and_b32 s31, exec_lo, s30
	s_mov_b64 s[0:1], s[4:5]
	s_or_b32 s29, s31, s29
	s_delay_alu instid0(SALU_CYCLE_1)
	s_and_not1_b32 exec_lo, exec_lo, s29
	s_cbranch_execz .LBB202_133
.LBB202_131:                            ; =>This Inner Loop Header: Depth=1
	s_or_b32 s30, s30, exec_lo
	s_cmp_eq_u64 s[14:15], s[0:1]
	s_cbranch_scc0 .LBB202_129
; %bb.132:                              ;   in Loop: Header=BB202_131 Depth=1
	s_mov_b64 s[0:1], s[14:15]
                                        ; implicit-def: $sgpr4_sgpr5
	s_branch .LBB202_130
.LBB202_133:
	s_set_inst_prefetch_distance 0x2
	s_or_b32 exec_lo, exec_lo, s29
	v_cmp_gt_i64_e32 vcc_lo, s[14:15], v[23:24]
	s_or_not1_b32 s0, vcc_lo, exec_lo
.LBB202_134:
	s_or_b32 exec_lo, exec_lo, s7
.LBB202_135:
	s_delay_alu instid0(SALU_CYCLE_1)
	s_and_b32 s7, s0, exec_lo
.LBB202_136:
	s_or_b32 exec_lo, exec_lo, s28
	v_or_b32_e32 v19, 4, v39
	s_mov_b32 s28, exec_lo
	s_delay_alu instid0(VALU_DEP_1)
	v_cmpx_gt_u32_e64 s12, v19
	s_cbranch_execz .LBB202_147
; %bb.137:
	v_cmp_ne_u32_e32 vcc_lo, 1, v26
	s_mov_b32 s0, 0
	s_cbranch_vccnz .LBB202_146
; %bb.138:
	v_mad_u64_u32 v[19:20], null, v11, s14, s[16:17]
	s_waitcnt lgkmcnt(0)
	v_mul_lo_u32 v23, v11, s15
	v_mul_lo_u32 v24, v12, s14
	v_mad_u64_u32 v[21:22], null, v5, s14, s[16:17]
	v_mul_lo_u32 v25, v5, s15
	v_mul_lo_u32 v27, v6, s14
	s_mov_b32 s0, -1
	s_mov_b32 s27, exec_lo
	s_delay_alu instid0(VALU_DEP_4) | instskip(NEXT) | instid1(VALU_DEP_2)
	v_add3_u32 v20, v24, v20, v23
	v_add3_u32 v22, v27, v22, v25
	s_clause 0x1
	global_load_u8 v23, v[19:20], off
	global_load_u8 v24, v[21:22], off
	s_waitcnt vmcnt(0)
	v_cmpx_eq_u16_e64 v23, v24
	s_cbranch_execz .LBB202_145
; %bb.139:
	s_mov_b64 s[0:1], 1
	s_mov_b32 s29, 0
                                        ; implicit-def: $sgpr30
	s_set_inst_prefetch_distance 0x1
	s_branch .LBB202_142
	.p2align	6
.LBB202_140:                            ;   in Loop: Header=BB202_142 Depth=1
	v_add_co_u32 v23, vcc_lo, v19, s0
	v_add_co_ci_u32_e32 v24, vcc_lo, s1, v20, vcc_lo
	v_add_co_u32 v27, vcc_lo, v21, s0
	v_add_co_ci_u32_e32 v28, vcc_lo, s1, v22, vcc_lo
	s_add_u32 s4, s0, 1
	s_clause 0x1
	global_load_u8 v23, v[23:24], off
	global_load_u8 v24, v[27:28], off
	s_addc_u32 s5, s1, 0
	s_and_not1_b32 s30, s30, exec_lo
	s_waitcnt vmcnt(0)
	v_cmp_ne_u16_e32 vcc_lo, v23, v24
	s_and_b32 s31, vcc_lo, exec_lo
	s_delay_alu instid0(SALU_CYCLE_1)
	s_or_b32 s30, s30, s31
.LBB202_141:                            ;   in Loop: Header=BB202_142 Depth=1
	v_dual_mov_b32 v24, s1 :: v_dual_mov_b32 v23, s0
	s_and_b32 s31, exec_lo, s30
	s_mov_b64 s[0:1], s[4:5]
	s_or_b32 s29, s31, s29
	s_delay_alu instid0(SALU_CYCLE_1)
	s_and_not1_b32 exec_lo, exec_lo, s29
	s_cbranch_execz .LBB202_144
.LBB202_142:                            ; =>This Inner Loop Header: Depth=1
	s_or_b32 s30, s30, exec_lo
	s_cmp_eq_u64 s[14:15], s[0:1]
	s_cbranch_scc0 .LBB202_140
; %bb.143:                              ;   in Loop: Header=BB202_142 Depth=1
	s_mov_b64 s[0:1], s[14:15]
                                        ; implicit-def: $sgpr4_sgpr5
	s_branch .LBB202_141
.LBB202_144:
	s_set_inst_prefetch_distance 0x2
	s_or_b32 exec_lo, exec_lo, s29
	v_cmp_gt_i64_e32 vcc_lo, s[14:15], v[23:24]
	s_or_not1_b32 s0, vcc_lo, exec_lo
.LBB202_145:
	s_or_b32 exec_lo, exec_lo, s27
.LBB202_146:
	s_delay_alu instid0(SALU_CYCLE_1)
	s_and_b32 s27, s0, exec_lo
.LBB202_147:
	s_or_b32 exec_lo, exec_lo, s28
	v_or_b32_e32 v19, 3, v39
	s_mov_b32 s29, 0
	s_mov_b32 s28, 0
	s_mov_b32 s30, exec_lo
	s_delay_alu instid0(VALU_DEP_1)
	v_cmpx_gt_u32_e64 s12, v19
	s_cbranch_execz .LBB202_158
; %bb.148:
	v_cmp_ne_u32_e32 vcc_lo, 1, v26
	s_mov_b32 s0, 0
	s_cbranch_vccnz .LBB202_157
; %bb.149:
	v_mad_u64_u32 v[19:20], null, v9, s14, s[16:17]
	s_waitcnt lgkmcnt(0)
	v_mul_lo_u32 v23, v9, s15
	v_mul_lo_u32 v24, v10, s14
	v_mad_u64_u32 v[21:22], null, v11, s14, s[16:17]
	v_mul_lo_u32 v25, v11, s15
	v_mul_lo_u32 v27, v12, s14
	s_mov_b32 s0, -1
	s_mov_b32 s28, exec_lo
	s_delay_alu instid0(VALU_DEP_4) | instskip(NEXT) | instid1(VALU_DEP_2)
	v_add3_u32 v20, v24, v20, v23
	v_add3_u32 v22, v27, v22, v25
	s_clause 0x1
	global_load_u8 v23, v[19:20], off
	global_load_u8 v24, v[21:22], off
	s_waitcnt vmcnt(0)
	v_cmpx_eq_u16_e64 v23, v24
	s_cbranch_execz .LBB202_156
; %bb.150:
	s_mov_b64 s[0:1], 1
	s_mov_b32 s31, 0
                                        ; implicit-def: $sgpr33
	s_set_inst_prefetch_distance 0x1
	s_branch .LBB202_153
	.p2align	6
.LBB202_151:                            ;   in Loop: Header=BB202_153 Depth=1
	v_add_co_u32 v23, vcc_lo, v19, s0
	v_add_co_ci_u32_e32 v24, vcc_lo, s1, v20, vcc_lo
	v_add_co_u32 v27, vcc_lo, v21, s0
	v_add_co_ci_u32_e32 v28, vcc_lo, s1, v22, vcc_lo
	s_add_u32 s4, s0, 1
	s_clause 0x1
	global_load_u8 v23, v[23:24], off
	global_load_u8 v24, v[27:28], off
	s_addc_u32 s5, s1, 0
	s_and_not1_b32 s33, s33, exec_lo
	s_waitcnt vmcnt(0)
	v_cmp_ne_u16_e32 vcc_lo, v23, v24
	s_and_b32 s34, vcc_lo, exec_lo
	s_delay_alu instid0(SALU_CYCLE_1)
	s_or_b32 s33, s33, s34
.LBB202_152:                            ;   in Loop: Header=BB202_153 Depth=1
	v_dual_mov_b32 v24, s1 :: v_dual_mov_b32 v23, s0
	s_and_b32 s34, exec_lo, s33
	s_mov_b64 s[0:1], s[4:5]
	s_or_b32 s31, s34, s31
	s_delay_alu instid0(SALU_CYCLE_1)
	s_and_not1_b32 exec_lo, exec_lo, s31
	s_cbranch_execz .LBB202_155
.LBB202_153:                            ; =>This Inner Loop Header: Depth=1
	s_or_b32 s33, s33, exec_lo
	s_cmp_eq_u64 s[14:15], s[0:1]
	s_cbranch_scc0 .LBB202_151
; %bb.154:                              ;   in Loop: Header=BB202_153 Depth=1
	s_mov_b64 s[0:1], s[14:15]
                                        ; implicit-def: $sgpr4_sgpr5
	s_branch .LBB202_152
.LBB202_155:
	s_set_inst_prefetch_distance 0x2
	s_or_b32 exec_lo, exec_lo, s31
	v_cmp_gt_i64_e32 vcc_lo, s[14:15], v[23:24]
	s_or_not1_b32 s0, vcc_lo, exec_lo
.LBB202_156:
	s_or_b32 exec_lo, exec_lo, s28
.LBB202_157:
	s_delay_alu instid0(SALU_CYCLE_1)
	s_and_b32 s28, s0, exec_lo
.LBB202_158:
	s_or_b32 exec_lo, exec_lo, s30
	v_or_b32_e32 v19, 2, v39
	s_mov_b32 s30, exec_lo
	s_delay_alu instid0(VALU_DEP_1)
	v_cmpx_gt_u32_e64 s12, v19
	s_cbranch_execz .LBB202_169
; %bb.159:
	v_cmp_ne_u32_e32 vcc_lo, 1, v26
	s_mov_b32 s0, 0
	s_cbranch_vccnz .LBB202_168
; %bb.160:
	v_mad_u64_u32 v[19:20], null, v15, s14, s[16:17]
	s_waitcnt lgkmcnt(0)
	v_mul_lo_u32 v23, v15, s15
	v_mul_lo_u32 v24, v16, s14
	v_mad_u64_u32 v[21:22], null, v9, s14, s[16:17]
	v_mul_lo_u32 v25, v9, s15
	v_mul_lo_u32 v27, v10, s14
	s_mov_b32 s0, -1
	s_mov_b32 s29, exec_lo
	s_delay_alu instid0(VALU_DEP_4) | instskip(NEXT) | instid1(VALU_DEP_2)
	v_add3_u32 v20, v24, v20, v23
	v_add3_u32 v22, v27, v22, v25
	s_clause 0x1
	global_load_u8 v23, v[19:20], off
	global_load_u8 v24, v[21:22], off
	s_waitcnt vmcnt(0)
	v_cmpx_eq_u16_e64 v23, v24
	s_cbranch_execz .LBB202_167
; %bb.161:
	s_mov_b64 s[0:1], 1
	s_mov_b32 s31, 0
                                        ; implicit-def: $sgpr33
	s_set_inst_prefetch_distance 0x1
	s_branch .LBB202_164
	.p2align	6
.LBB202_162:                            ;   in Loop: Header=BB202_164 Depth=1
	v_add_co_u32 v23, vcc_lo, v19, s0
	v_add_co_ci_u32_e32 v24, vcc_lo, s1, v20, vcc_lo
	v_add_co_u32 v27, vcc_lo, v21, s0
	v_add_co_ci_u32_e32 v28, vcc_lo, s1, v22, vcc_lo
	s_add_u32 s4, s0, 1
	s_clause 0x1
	global_load_u8 v23, v[23:24], off
	global_load_u8 v24, v[27:28], off
	s_addc_u32 s5, s1, 0
	s_and_not1_b32 s33, s33, exec_lo
	s_waitcnt vmcnt(0)
	v_cmp_ne_u16_e32 vcc_lo, v23, v24
	s_and_b32 s34, vcc_lo, exec_lo
	s_delay_alu instid0(SALU_CYCLE_1)
	s_or_b32 s33, s33, s34
.LBB202_163:                            ;   in Loop: Header=BB202_164 Depth=1
	v_dual_mov_b32 v24, s1 :: v_dual_mov_b32 v23, s0
	s_and_b32 s34, exec_lo, s33
	s_mov_b64 s[0:1], s[4:5]
	s_or_b32 s31, s34, s31
	s_delay_alu instid0(SALU_CYCLE_1)
	s_and_not1_b32 exec_lo, exec_lo, s31
	s_cbranch_execz .LBB202_166
.LBB202_164:                            ; =>This Inner Loop Header: Depth=1
	s_or_b32 s33, s33, exec_lo
	s_cmp_eq_u64 s[14:15], s[0:1]
	s_cbranch_scc0 .LBB202_162
; %bb.165:                              ;   in Loop: Header=BB202_164 Depth=1
	s_mov_b64 s[0:1], s[14:15]
                                        ; implicit-def: $sgpr4_sgpr5
	s_branch .LBB202_163
.LBB202_166:
	s_set_inst_prefetch_distance 0x2
	s_or_b32 exec_lo, exec_lo, s31
	v_cmp_gt_i64_e32 vcc_lo, s[14:15], v[23:24]
	s_or_not1_b32 s0, vcc_lo, exec_lo
.LBB202_167:
	s_or_b32 exec_lo, exec_lo, s29
.LBB202_168:
	s_delay_alu instid0(SALU_CYCLE_1)
	s_and_b32 s29, s0, exec_lo
.LBB202_169:
	s_or_b32 exec_lo, exec_lo, s30
	v_or_b32_e32 v19, 1, v39
	s_mov_b32 s0, 0
	s_mov_b32 s30, exec_lo
	s_delay_alu instid0(VALU_DEP_1)
	v_cmpx_gt_u32_e64 s12, v19
	s_cbranch_execz .LBB202_180
; %bb.170:
	v_cmp_ne_u32_e32 vcc_lo, 1, v26
	s_cbranch_vccnz .LBB202_179
; %bb.171:
	v_mad_u64_u32 v[19:20], null, v13, s14, s[16:17]
	s_waitcnt lgkmcnt(0)
	v_mul_lo_u32 v23, v13, s15
	v_mul_lo_u32 v24, v14, s14
	v_mad_u64_u32 v[21:22], null, v15, s14, s[16:17]
	v_mul_lo_u32 v25, v15, s15
	v_mul_lo_u32 v27, v16, s14
	s_mov_b32 s0, -1
	s_mov_b32 s31, exec_lo
	s_delay_alu instid0(VALU_DEP_4) | instskip(NEXT) | instid1(VALU_DEP_2)
	v_add3_u32 v20, v24, v20, v23
	v_add3_u32 v22, v27, v22, v25
	s_clause 0x1
	global_load_u8 v23, v[19:20], off
	global_load_u8 v24, v[21:22], off
	s_waitcnt vmcnt(0)
	v_cmpx_eq_u16_e64 v23, v24
	s_cbranch_execz .LBB202_178
; %bb.172:
	s_mov_b64 s[0:1], 1
	s_mov_b32 s33, 0
                                        ; implicit-def: $sgpr34
	s_set_inst_prefetch_distance 0x1
	s_branch .LBB202_175
	.p2align	6
.LBB202_173:                            ;   in Loop: Header=BB202_175 Depth=1
	v_add_co_u32 v23, vcc_lo, v19, s0
	v_add_co_ci_u32_e32 v24, vcc_lo, s1, v20, vcc_lo
	v_add_co_u32 v27, vcc_lo, v21, s0
	v_add_co_ci_u32_e32 v28, vcc_lo, s1, v22, vcc_lo
	s_add_u32 s4, s0, 1
	s_clause 0x1
	global_load_u8 v23, v[23:24], off
	global_load_u8 v24, v[27:28], off
	s_addc_u32 s5, s1, 0
	s_and_not1_b32 s34, s34, exec_lo
	s_waitcnt vmcnt(0)
	v_cmp_ne_u16_e32 vcc_lo, v23, v24
	s_and_b32 s35, vcc_lo, exec_lo
	s_delay_alu instid0(SALU_CYCLE_1)
	s_or_b32 s34, s34, s35
.LBB202_174:                            ;   in Loop: Header=BB202_175 Depth=1
	v_dual_mov_b32 v24, s1 :: v_dual_mov_b32 v23, s0
	s_and_b32 s35, exec_lo, s34
	s_mov_b64 s[0:1], s[4:5]
	s_or_b32 s33, s35, s33
	s_delay_alu instid0(SALU_CYCLE_1)
	s_and_not1_b32 exec_lo, exec_lo, s33
	s_cbranch_execz .LBB202_177
.LBB202_175:                            ; =>This Inner Loop Header: Depth=1
	s_or_b32 s34, s34, exec_lo
	s_cmp_eq_u64 s[14:15], s[0:1]
	s_cbranch_scc0 .LBB202_173
; %bb.176:                              ;   in Loop: Header=BB202_175 Depth=1
	s_mov_b64 s[0:1], s[14:15]
                                        ; implicit-def: $sgpr4_sgpr5
	s_branch .LBB202_174
.LBB202_177:
	s_set_inst_prefetch_distance 0x2
	s_or_b32 exec_lo, exec_lo, s33
	v_cmp_gt_i64_e32 vcc_lo, s[14:15], v[23:24]
	s_or_not1_b32 s0, vcc_lo, exec_lo
.LBB202_178:
	s_or_b32 exec_lo, exec_lo, s31
.LBB202_179:
	s_delay_alu instid0(SALU_CYCLE_1)
	s_and_b32 s0, s0, exec_lo
.LBB202_180:
	s_or_b32 exec_lo, exec_lo, s30
	s_waitcnt vmcnt(0) lgkmcnt(0)
	s_barrier
	buffer_gl0_inv
	s_and_saveexec_b32 s1, s3
	s_cbranch_execz .LBB202_182
; %bb.181:
	v_add_nc_u32_e32 v17, -8, v39
	ds_load_b64 v[17:18], v17
.LBB202_182:
	s_or_b32 exec_lo, exec_lo, s1
	v_cndmask_b32_e64 v20, 0, 1, s28
	v_cndmask_b32_e64 v22, 0, 1, s7
	;; [unrolled: 1-line block ×7, first 2 shown]
	v_lshlrev_b16 v20, 8, v20
	v_lshlrev_b16 v22, 8, v22
	;; [unrolled: 1-line block ×3, first 2 shown]
	s_mov_b32 s0, 0
	v_lshlrev_b16 v25, 8, v25
	v_or_b32_e32 v19, v19, v20
	v_or_b32_e32 v20, v21, v22
	;; [unrolled: 1-line block ×3, first 2 shown]
	s_mov_b32 s6, exec_lo
	v_and_b32_e32 v23, 0xffff, v25
	v_lshlrev_b32_e32 v24, 16, v19
	v_and_b32_e32 v25, 0xffff, v20
	v_lshlrev_b32_e32 v27, 16, v21
	v_cmpx_gt_u32_e64 s12, v39
	s_cbranch_execz .LBB202_193
; %bb.183:
	v_cmp_ne_u32_e32 vcc_lo, 1, v26
	s_cbranch_vccnz .LBB202_192
; %bb.184:
	s_waitcnt lgkmcnt(0)
	v_mad_u64_u32 v[19:20], null, v17, s14, s[16:17]
	v_mul_lo_u32 v21, v17, s15
	v_mul_lo_u32 v22, v18, s14
	v_mad_u64_u32 v[17:18], null, v13, s14, s[16:17]
	v_mul_lo_u32 v26, v13, s15
	v_mul_lo_u32 v28, v14, s14
	s_mov_b32 s0, -1
	s_mov_b32 s7, exec_lo
	s_delay_alu instid0(VALU_DEP_4) | instskip(NEXT) | instid1(VALU_DEP_2)
	v_add3_u32 v20, v22, v20, v21
	v_add3_u32 v18, v28, v18, v26
	s_clause 0x1
	global_load_u8 v21, v[19:20], off
	global_load_u8 v22, v[17:18], off
	s_waitcnt vmcnt(0)
	v_cmpx_eq_u16_e64 v21, v22
	s_cbranch_execz .LBB202_191
; %bb.185:
	s_mov_b64 s[0:1], 1
	s_mov_b32 s26, 0
                                        ; implicit-def: $sgpr27
	s_set_inst_prefetch_distance 0x1
	s_branch .LBB202_188
	.p2align	6
.LBB202_186:                            ;   in Loop: Header=BB202_188 Depth=1
	v_add_co_u32 v21, vcc_lo, v19, s0
	v_add_co_ci_u32_e32 v22, vcc_lo, s1, v20, vcc_lo
	v_add_co_u32 v28, vcc_lo, v17, s0
	v_add_co_ci_u32_e32 v29, vcc_lo, s1, v18, vcc_lo
	s_add_u32 s4, s0, 1
	s_clause 0x1
	global_load_u8 v21, v[21:22], off
	global_load_u8 v22, v[28:29], off
	s_addc_u32 s5, s1, 0
	s_and_not1_b32 s27, s27, exec_lo
	s_waitcnt vmcnt(0)
	v_cmp_ne_u16_e32 vcc_lo, v21, v22
	s_and_b32 s28, vcc_lo, exec_lo
	s_delay_alu instid0(SALU_CYCLE_1)
	s_or_b32 s27, s27, s28
.LBB202_187:                            ;   in Loop: Header=BB202_188 Depth=1
	v_dual_mov_b32 v22, s1 :: v_dual_mov_b32 v21, s0
	s_and_b32 s28, exec_lo, s27
	s_mov_b64 s[0:1], s[4:5]
	s_or_b32 s26, s28, s26
	s_delay_alu instid0(SALU_CYCLE_1)
	s_and_not1_b32 exec_lo, exec_lo, s26
	s_cbranch_execz .LBB202_190
.LBB202_188:                            ; =>This Inner Loop Header: Depth=1
	s_or_b32 s27, s27, exec_lo
	s_cmp_eq_u64 s[14:15], s[0:1]
	s_cbranch_scc0 .LBB202_186
; %bb.189:                              ;   in Loop: Header=BB202_188 Depth=1
	s_mov_b64 s[0:1], s[14:15]
                                        ; implicit-def: $sgpr4_sgpr5
	s_branch .LBB202_187
.LBB202_190:
	s_set_inst_prefetch_distance 0x2
	s_or_b32 exec_lo, exec_lo, s26
	v_cmp_gt_i64_e32 vcc_lo, s[14:15], v[21:22]
	s_or_not1_b32 s0, vcc_lo, exec_lo
.LBB202_191:
	s_or_b32 exec_lo, exec_lo, s7
.LBB202_192:
	s_delay_alu instid0(SALU_CYCLE_1)
	s_and_b32 s0, s0, exec_lo
.LBB202_193:
	s_or_b32 exec_lo, exec_lo, s6
	v_or_b32_e32 v19, v23, v24
	v_or_b32_e32 v20, v25, v27
.LBB202_194:
	s_mov_b32 s6, -1
	s_cbranch_execnz .LBB202_363
.LBB202_195:
	v_cmp_gt_i64_e64 s7, s[14:15], 0
	s_and_b32 vcc_lo, exec_lo, s22
	ds_store_b64 v39, v[3:4]
	s_cbranch_vccz .LBB202_203
; %bb.196:
	v_mul_lo_u32 v19, v2, s14
	v_mul_lo_u32 v20, v1, s15
	s_waitcnt vmcnt(0) lgkmcnt(1)
	v_mad_u64_u32 v[17:18], null, v1, s14, 0
	s_mov_b32 s26, 0
	s_and_not1_b32 vcc_lo, exec_lo, s7
	s_mov_b32 s27, 0
	s_delay_alu instid0(VALU_DEP_1)
	v_add3_u32 v24, v18, v20, v19
	s_cbranch_vccnz .LBB202_206
; %bb.197:
	v_mad_u64_u32 v[18:19], null, v3, s14, s[16:17]
	v_mul_lo_u32 v22, v3, s15
	v_mul_lo_u32 v23, v4, s14
	v_add_co_u32 v20, vcc_lo, s16, v17
	v_add_co_ci_u32_e32 v21, vcc_lo, s17, v24, vcc_lo
	s_mov_b32 s27, -1
	s_mov_b32 s28, exec_lo
	s_delay_alu instid0(VALU_DEP_3)
	v_add3_u32 v19, v23, v19, v22
	s_clause 0x1
	global_load_u8 v22, v[20:21], off
	global_load_u8 v23, v[18:19], off
	s_waitcnt vmcnt(0)
	v_cmpx_eq_u16_e64 v22, v23
	s_cbranch_execz .LBB202_205
; %bb.198:
	s_mov_b64 s[0:1], 1
	s_mov_b32 s27, 0
                                        ; implicit-def: $sgpr29
	s_set_inst_prefetch_distance 0x1
	s_branch .LBB202_201
	.p2align	6
.LBB202_199:                            ;   in Loop: Header=BB202_201 Depth=1
	v_add_co_u32 v22, vcc_lo, v20, s0
	v_add_co_ci_u32_e32 v23, vcc_lo, s1, v21, vcc_lo
	v_add_co_u32 v25, vcc_lo, v18, s0
	v_add_co_ci_u32_e32 v26, vcc_lo, s1, v19, vcc_lo
	s_add_u32 s4, s0, 1
	s_clause 0x1
	global_load_u8 v22, v[22:23], off
	global_load_u8 v23, v[25:26], off
	s_addc_u32 s5, s1, 0
	s_and_not1_b32 s29, s29, exec_lo
	s_waitcnt vmcnt(0)
	v_cmp_ne_u16_e32 vcc_lo, v22, v23
	s_and_b32 s30, vcc_lo, exec_lo
	s_delay_alu instid0(SALU_CYCLE_1)
	s_or_b32 s29, s29, s30
.LBB202_200:                            ;   in Loop: Header=BB202_201 Depth=1
	v_dual_mov_b32 v23, s1 :: v_dual_mov_b32 v22, s0
	s_and_b32 s30, exec_lo, s29
	s_mov_b64 s[0:1], s[4:5]
	s_or_b32 s27, s30, s27
	s_delay_alu instid0(SALU_CYCLE_1)
	s_and_not1_b32 exec_lo, exec_lo, s27
	s_cbranch_execz .LBB202_204
.LBB202_201:                            ; =>This Inner Loop Header: Depth=1
	s_or_b32 s29, s29, exec_lo
	s_cmp_eq_u64 s[14:15], s[0:1]
	s_cbranch_scc0 .LBB202_199
; %bb.202:                              ;   in Loop: Header=BB202_201 Depth=1
	s_mov_b64 s[0:1], s[14:15]
                                        ; implicit-def: $sgpr4_sgpr5
	s_branch .LBB202_200
.LBB202_203:
                                        ; implicit-def: $sgpr0
                                        ; implicit-def: $vgpr20
	s_cbranch_execnz .LBB202_272
	s_branch .LBB202_363
.LBB202_204:
	s_set_inst_prefetch_distance 0x2
	s_or_b32 exec_lo, exec_lo, s27
	v_cmp_gt_i64_e32 vcc_lo, s[14:15], v[22:23]
	s_or_not1_b32 s27, vcc_lo, exec_lo
.LBB202_205:
	s_or_b32 exec_lo, exec_lo, s28
.LBB202_206:
	v_mul_lo_u32 v18, v8, s14
	v_mul_lo_u32 v21, v7, s15
	v_mad_u64_u32 v[19:20], null, v7, s14, 0
	s_and_not1_b32 vcc_lo, exec_lo, s7
	s_delay_alu instid0(VALU_DEP_1)
	v_add3_u32 v25, v20, v21, v18
	s_cbranch_vccnz .LBB202_215
; %bb.207:
	s_delay_alu instid0(VALU_DEP_2) | instskip(NEXT) | instid1(VALU_DEP_2)
	v_add_co_u32 v20, vcc_lo, s16, v19
	v_add_co_ci_u32_e32 v21, vcc_lo, s17, v25, vcc_lo
	v_add_co_u32 v17, vcc_lo, s16, v17
	v_add_co_ci_u32_e32 v18, vcc_lo, s17, v24, vcc_lo
	s_mov_b32 s26, -1
	s_clause 0x1
	global_load_u8 v22, v[20:21], off
	global_load_u8 v23, v[17:18], off
	s_mov_b32 s28, exec_lo
	s_waitcnt vmcnt(0)
	v_cmpx_eq_u16_e64 v22, v23
	s_cbranch_execz .LBB202_214
; %bb.208:
	s_mov_b64 s[0:1], 1
	s_mov_b32 s26, 0
                                        ; implicit-def: $sgpr29
	s_set_inst_prefetch_distance 0x1
	s_branch .LBB202_211
	.p2align	6
.LBB202_209:                            ;   in Loop: Header=BB202_211 Depth=1
	v_add_co_u32 v22, vcc_lo, v20, s0
	v_add_co_ci_u32_e32 v23, vcc_lo, s1, v21, vcc_lo
	v_add_co_u32 v26, vcc_lo, v17, s0
	v_add_co_ci_u32_e32 v27, vcc_lo, s1, v18, vcc_lo
	s_add_u32 s4, s0, 1
	s_clause 0x1
	global_load_u8 v22, v[22:23], off
	global_load_u8 v23, v[26:27], off
	s_addc_u32 s5, s1, 0
	s_and_not1_b32 s29, s29, exec_lo
	s_waitcnt vmcnt(0)
	v_cmp_ne_u16_e32 vcc_lo, v22, v23
	s_and_b32 s30, vcc_lo, exec_lo
	s_delay_alu instid0(SALU_CYCLE_1)
	s_or_b32 s29, s29, s30
.LBB202_210:                            ;   in Loop: Header=BB202_211 Depth=1
	v_dual_mov_b32 v23, s1 :: v_dual_mov_b32 v22, s0
	s_and_b32 s30, exec_lo, s29
	s_mov_b64 s[0:1], s[4:5]
	s_or_b32 s26, s30, s26
	s_delay_alu instid0(SALU_CYCLE_1)
	s_and_not1_b32 exec_lo, exec_lo, s26
	s_cbranch_execz .LBB202_213
.LBB202_211:                            ; =>This Inner Loop Header: Depth=1
	s_or_b32 s29, s29, exec_lo
	s_cmp_eq_u64 s[14:15], s[0:1]
	s_cbranch_scc0 .LBB202_209
; %bb.212:                              ;   in Loop: Header=BB202_211 Depth=1
	s_mov_b64 s[0:1], s[14:15]
                                        ; implicit-def: $sgpr4_sgpr5
	s_branch .LBB202_210
.LBB202_213:
	s_set_inst_prefetch_distance 0x2
	s_or_b32 exec_lo, exec_lo, s26
	v_cmp_gt_i64_e32 vcc_lo, s[14:15], v[22:23]
	s_or_not1_b32 s26, vcc_lo, exec_lo
.LBB202_214:
	s_or_b32 exec_lo, exec_lo, s28
.LBB202_215:
	v_mul_lo_u32 v20, v6, s14
	v_mul_lo_u32 v21, v5, s15
	v_mad_u64_u32 v[17:18], null, v5, s14, 0
	s_mov_b32 s28, 0
	s_and_not1_b32 vcc_lo, exec_lo, s7
	s_mov_b32 s29, 0
	s_delay_alu instid0(VALU_DEP_1)
	v_add3_u32 v26, v18, v21, v20
	s_cbranch_vccnz .LBB202_224
; %bb.216:
	s_delay_alu instid0(VALU_DEP_2) | instskip(NEXT) | instid1(VALU_DEP_2)
	v_add_co_u32 v20, vcc_lo, s16, v17
	v_add_co_ci_u32_e32 v21, vcc_lo, s17, v26, vcc_lo
	v_add_co_u32 v18, vcc_lo, s16, v19
	v_add_co_ci_u32_e32 v19, vcc_lo, s17, v25, vcc_lo
	s_mov_b32 s29, -1
	s_clause 0x1
	global_load_u8 v22, v[20:21], off
	global_load_u8 v23, v[18:19], off
	s_mov_b32 s30, exec_lo
	s_waitcnt vmcnt(0)
	v_cmpx_eq_u16_e64 v22, v23
	s_cbranch_execz .LBB202_223
; %bb.217:
	s_mov_b64 s[0:1], 1
	s_mov_b32 s29, 0
                                        ; implicit-def: $sgpr31
	s_set_inst_prefetch_distance 0x1
	s_branch .LBB202_220
	.p2align	6
.LBB202_218:                            ;   in Loop: Header=BB202_220 Depth=1
	v_add_co_u32 v22, vcc_lo, v20, s0
	v_add_co_ci_u32_e32 v23, vcc_lo, s1, v21, vcc_lo
	v_add_co_u32 v24, vcc_lo, v18, s0
	v_add_co_ci_u32_e32 v25, vcc_lo, s1, v19, vcc_lo
	s_add_u32 s4, s0, 1
	s_clause 0x1
	global_load_u8 v22, v[22:23], off
	global_load_u8 v23, v[24:25], off
	s_addc_u32 s5, s1, 0
	s_and_not1_b32 s31, s31, exec_lo
	s_waitcnt vmcnt(0)
	v_cmp_ne_u16_e32 vcc_lo, v22, v23
	s_and_b32 s33, vcc_lo, exec_lo
	s_delay_alu instid0(SALU_CYCLE_1)
	s_or_b32 s31, s31, s33
.LBB202_219:                            ;   in Loop: Header=BB202_220 Depth=1
	v_dual_mov_b32 v23, s1 :: v_dual_mov_b32 v22, s0
	s_and_b32 s33, exec_lo, s31
	s_mov_b64 s[0:1], s[4:5]
	s_or_b32 s29, s33, s29
	s_delay_alu instid0(SALU_CYCLE_1)
	s_and_not1_b32 exec_lo, exec_lo, s29
	s_cbranch_execz .LBB202_222
.LBB202_220:                            ; =>This Inner Loop Header: Depth=1
	s_or_b32 s31, s31, exec_lo
	s_cmp_eq_u64 s[14:15], s[0:1]
	s_cbranch_scc0 .LBB202_218
; %bb.221:                              ;   in Loop: Header=BB202_220 Depth=1
	s_mov_b64 s[0:1], s[14:15]
                                        ; implicit-def: $sgpr4_sgpr5
	s_branch .LBB202_219
.LBB202_222:
	s_set_inst_prefetch_distance 0x2
	s_or_b32 exec_lo, exec_lo, s29
	v_cmp_gt_i64_e32 vcc_lo, s[14:15], v[22:23]
	s_or_not1_b32 s29, vcc_lo, exec_lo
.LBB202_223:
	s_or_b32 exec_lo, exec_lo, s30
.LBB202_224:
	v_mul_lo_u32 v18, v12, s14
	v_mul_lo_u32 v21, v11, s15
	v_mad_u64_u32 v[19:20], null, v11, s14, 0
	s_and_not1_b32 vcc_lo, exec_lo, s7
	s_delay_alu instid0(VALU_DEP_1)
	v_add3_u32 v24, v20, v21, v18
	s_cbranch_vccnz .LBB202_233
; %bb.225:
	s_delay_alu instid0(VALU_DEP_2) | instskip(NEXT) | instid1(VALU_DEP_2)
	v_add_co_u32 v20, vcc_lo, s16, v19
	v_add_co_ci_u32_e32 v21, vcc_lo, s17, v24, vcc_lo
	v_add_co_u32 v17, vcc_lo, s16, v17
	v_add_co_ci_u32_e32 v18, vcc_lo, s17, v26, vcc_lo
	s_mov_b32 s28, -1
	s_clause 0x1
	global_load_u8 v22, v[20:21], off
	global_load_u8 v23, v[17:18], off
	s_mov_b32 s30, exec_lo
	s_waitcnt vmcnt(0)
	v_cmpx_eq_u16_e64 v22, v23
	s_cbranch_execz .LBB202_232
; %bb.226:
	s_mov_b64 s[0:1], 1
	s_mov_b32 s28, 0
                                        ; implicit-def: $sgpr31
	s_set_inst_prefetch_distance 0x1
	s_branch .LBB202_229
	.p2align	6
.LBB202_227:                            ;   in Loop: Header=BB202_229 Depth=1
	v_add_co_u32 v22, vcc_lo, v20, s0
	v_add_co_ci_u32_e32 v23, vcc_lo, s1, v21, vcc_lo
	v_add_co_u32 v25, vcc_lo, v17, s0
	v_add_co_ci_u32_e32 v26, vcc_lo, s1, v18, vcc_lo
	s_add_u32 s4, s0, 1
	s_clause 0x1
	global_load_u8 v22, v[22:23], off
	global_load_u8 v23, v[25:26], off
	s_addc_u32 s5, s1, 0
	s_and_not1_b32 s31, s31, exec_lo
	s_waitcnt vmcnt(0)
	v_cmp_ne_u16_e32 vcc_lo, v22, v23
	s_and_b32 s33, vcc_lo, exec_lo
	s_delay_alu instid0(SALU_CYCLE_1)
	s_or_b32 s31, s31, s33
.LBB202_228:                            ;   in Loop: Header=BB202_229 Depth=1
	v_dual_mov_b32 v23, s1 :: v_dual_mov_b32 v22, s0
	s_and_b32 s33, exec_lo, s31
	s_mov_b64 s[0:1], s[4:5]
	s_or_b32 s28, s33, s28
	s_delay_alu instid0(SALU_CYCLE_1)
	s_and_not1_b32 exec_lo, exec_lo, s28
	s_cbranch_execz .LBB202_231
.LBB202_229:                            ; =>This Inner Loop Header: Depth=1
	s_or_b32 s31, s31, exec_lo
	s_cmp_eq_u64 s[14:15], s[0:1]
	s_cbranch_scc0 .LBB202_227
; %bb.230:                              ;   in Loop: Header=BB202_229 Depth=1
	s_mov_b64 s[0:1], s[14:15]
                                        ; implicit-def: $sgpr4_sgpr5
	s_branch .LBB202_228
.LBB202_231:
	s_set_inst_prefetch_distance 0x2
	s_or_b32 exec_lo, exec_lo, s28
	v_cmp_gt_i64_e32 vcc_lo, s[14:15], v[22:23]
	s_or_not1_b32 s28, vcc_lo, exec_lo
.LBB202_232:
	s_or_b32 exec_lo, exec_lo, s30
.LBB202_233:
	v_mul_lo_u32 v20, v10, s14
	v_mul_lo_u32 v21, v9, s15
	v_mad_u64_u32 v[17:18], null, v9, s14, 0
	s_mov_b32 s30, 0
	s_and_not1_b32 vcc_lo, exec_lo, s7
	s_mov_b32 s31, 0
	s_delay_alu instid0(VALU_DEP_1)
	v_add3_u32 v26, v18, v21, v20
	s_cbranch_vccnz .LBB202_242
; %bb.234:
	s_delay_alu instid0(VALU_DEP_2) | instskip(NEXT) | instid1(VALU_DEP_2)
	v_add_co_u32 v20, vcc_lo, s16, v17
	v_add_co_ci_u32_e32 v21, vcc_lo, s17, v26, vcc_lo
	v_add_co_u32 v18, vcc_lo, s16, v19
	v_add_co_ci_u32_e32 v19, vcc_lo, s17, v24, vcc_lo
	s_mov_b32 s31, -1
	s_clause 0x1
	global_load_u8 v22, v[20:21], off
	global_load_u8 v23, v[18:19], off
	s_mov_b32 s33, exec_lo
	s_waitcnt vmcnt(0)
	v_cmpx_eq_u16_e64 v22, v23
	s_cbranch_execz .LBB202_241
; %bb.235:
	s_mov_b64 s[0:1], 1
	s_mov_b32 s31, 0
                                        ; implicit-def: $sgpr34
	s_set_inst_prefetch_distance 0x1
	s_branch .LBB202_238
	.p2align	6
.LBB202_236:                            ;   in Loop: Header=BB202_238 Depth=1
	v_add_co_u32 v22, vcc_lo, v20, s0
	v_add_co_ci_u32_e32 v23, vcc_lo, s1, v21, vcc_lo
	v_add_co_u32 v24, vcc_lo, v18, s0
	v_add_co_ci_u32_e32 v25, vcc_lo, s1, v19, vcc_lo
	s_add_u32 s4, s0, 1
	s_clause 0x1
	global_load_u8 v22, v[22:23], off
	global_load_u8 v23, v[24:25], off
	s_addc_u32 s5, s1, 0
	s_and_not1_b32 s34, s34, exec_lo
	s_waitcnt vmcnt(0)
	v_cmp_ne_u16_e32 vcc_lo, v22, v23
	s_and_b32 s35, vcc_lo, exec_lo
	s_delay_alu instid0(SALU_CYCLE_1)
	s_or_b32 s34, s34, s35
.LBB202_237:                            ;   in Loop: Header=BB202_238 Depth=1
	v_dual_mov_b32 v23, s1 :: v_dual_mov_b32 v22, s0
	s_and_b32 s35, exec_lo, s34
	s_mov_b64 s[0:1], s[4:5]
	s_or_b32 s31, s35, s31
	s_delay_alu instid0(SALU_CYCLE_1)
	s_and_not1_b32 exec_lo, exec_lo, s31
	s_cbranch_execz .LBB202_240
.LBB202_238:                            ; =>This Inner Loop Header: Depth=1
	s_or_b32 s34, s34, exec_lo
	s_cmp_eq_u64 s[14:15], s[0:1]
	s_cbranch_scc0 .LBB202_236
; %bb.239:                              ;   in Loop: Header=BB202_238 Depth=1
	s_mov_b64 s[0:1], s[14:15]
                                        ; implicit-def: $sgpr4_sgpr5
	s_branch .LBB202_237
.LBB202_240:
	s_set_inst_prefetch_distance 0x2
	s_or_b32 exec_lo, exec_lo, s31
	v_cmp_gt_i64_e32 vcc_lo, s[14:15], v[22:23]
	s_or_not1_b32 s31, vcc_lo, exec_lo
.LBB202_241:
	s_or_b32 exec_lo, exec_lo, s33
.LBB202_242:
	v_mul_lo_u32 v18, v16, s14
	v_mul_lo_u32 v21, v15, s15
	v_mad_u64_u32 v[19:20], null, v15, s14, 0
	s_and_not1_b32 vcc_lo, exec_lo, s7
	s_delay_alu instid0(VALU_DEP_1)
	v_add3_u32 v25, v20, v21, v18
	s_cbranch_vccnz .LBB202_251
; %bb.243:
	s_delay_alu instid0(VALU_DEP_2) | instskip(NEXT) | instid1(VALU_DEP_2)
	v_add_co_u32 v20, vcc_lo, s16, v19
	v_add_co_ci_u32_e32 v21, vcc_lo, s17, v25, vcc_lo
	v_add_co_u32 v17, vcc_lo, s16, v17
	v_add_co_ci_u32_e32 v18, vcc_lo, s17, v26, vcc_lo
	s_mov_b32 s30, -1
	s_clause 0x1
	global_load_u8 v22, v[20:21], off
	global_load_u8 v23, v[17:18], off
	s_mov_b32 s33, exec_lo
	s_waitcnt vmcnt(0)
	v_cmpx_eq_u16_e64 v22, v23
	s_cbranch_execz .LBB202_250
; %bb.244:
	s_mov_b64 s[0:1], 1
	s_mov_b32 s30, 0
                                        ; implicit-def: $sgpr34
	s_set_inst_prefetch_distance 0x1
	s_branch .LBB202_247
	.p2align	6
.LBB202_245:                            ;   in Loop: Header=BB202_247 Depth=1
	v_add_co_u32 v22, vcc_lo, v20, s0
	v_add_co_ci_u32_e32 v23, vcc_lo, s1, v21, vcc_lo
	v_add_co_u32 v26, vcc_lo, v17, s0
	v_add_co_ci_u32_e32 v27, vcc_lo, s1, v18, vcc_lo
	s_add_u32 s4, s0, 1
	s_clause 0x1
	global_load_u8 v22, v[22:23], off
	global_load_u8 v23, v[26:27], off
	s_addc_u32 s5, s1, 0
	s_and_not1_b32 s34, s34, exec_lo
	s_waitcnt vmcnt(0)
	v_cmp_ne_u16_e32 vcc_lo, v22, v23
	s_and_b32 s35, vcc_lo, exec_lo
	s_delay_alu instid0(SALU_CYCLE_1)
	s_or_b32 s34, s34, s35
.LBB202_246:                            ;   in Loop: Header=BB202_247 Depth=1
	v_dual_mov_b32 v23, s1 :: v_dual_mov_b32 v22, s0
	s_and_b32 s35, exec_lo, s34
	s_mov_b64 s[0:1], s[4:5]
	s_or_b32 s30, s35, s30
	s_delay_alu instid0(SALU_CYCLE_1)
	s_and_not1_b32 exec_lo, exec_lo, s30
	s_cbranch_execz .LBB202_249
.LBB202_247:                            ; =>This Inner Loop Header: Depth=1
	s_or_b32 s34, s34, exec_lo
	s_cmp_eq_u64 s[14:15], s[0:1]
	s_cbranch_scc0 .LBB202_245
; %bb.248:                              ;   in Loop: Header=BB202_247 Depth=1
	s_mov_b64 s[0:1], s[14:15]
                                        ; implicit-def: $sgpr4_sgpr5
	s_branch .LBB202_246
.LBB202_249:
	s_set_inst_prefetch_distance 0x2
	s_or_b32 exec_lo, exec_lo, s30
	v_cmp_gt_i64_e32 vcc_lo, s[14:15], v[22:23]
	s_or_not1_b32 s30, vcc_lo, exec_lo
.LBB202_250:
	s_or_b32 exec_lo, exec_lo, s33
.LBB202_251:
	v_mul_lo_u32 v20, v14, s14
	v_mul_lo_u32 v21, v13, s15
	v_mad_u64_u32 v[17:18], null, v13, s14, 0
	s_and_not1_b32 vcc_lo, exec_lo, s7
	s_mov_b32 s0, 0
	s_delay_alu instid0(VALU_DEP_1)
	v_add3_u32 v24, v18, v21, v20
	s_cbranch_vccnz .LBB202_260
; %bb.252:
	s_delay_alu instid0(VALU_DEP_2) | instskip(NEXT) | instid1(VALU_DEP_2)
	v_add_co_u32 v20, vcc_lo, s16, v17
	v_add_co_ci_u32_e32 v21, vcc_lo, s17, v24, vcc_lo
	v_add_co_u32 v18, vcc_lo, s16, v19
	v_add_co_ci_u32_e32 v19, vcc_lo, s17, v25, vcc_lo
	s_mov_b32 s0, -1
	s_clause 0x1
	global_load_u8 v22, v[20:21], off
	global_load_u8 v23, v[18:19], off
	s_mov_b32 s33, exec_lo
	s_waitcnt vmcnt(0)
	v_cmpx_eq_u16_e64 v22, v23
	s_cbranch_execz .LBB202_259
; %bb.253:
	s_mov_b64 s[0:1], 1
	s_mov_b32 s34, 0
                                        ; implicit-def: $sgpr35
	s_set_inst_prefetch_distance 0x1
	s_branch .LBB202_256
	.p2align	6
.LBB202_254:                            ;   in Loop: Header=BB202_256 Depth=1
	v_add_co_u32 v22, vcc_lo, v20, s0
	v_add_co_ci_u32_e32 v23, vcc_lo, s1, v21, vcc_lo
	v_add_co_u32 v25, vcc_lo, v18, s0
	v_add_co_ci_u32_e32 v26, vcc_lo, s1, v19, vcc_lo
	s_add_u32 s4, s0, 1
	s_clause 0x1
	global_load_u8 v22, v[22:23], off
	global_load_u8 v23, v[25:26], off
	s_addc_u32 s5, s1, 0
	s_and_not1_b32 s35, s35, exec_lo
	s_waitcnt vmcnt(0)
	v_cmp_ne_u16_e32 vcc_lo, v22, v23
	s_and_b32 s36, vcc_lo, exec_lo
	s_delay_alu instid0(SALU_CYCLE_1)
	s_or_b32 s35, s35, s36
.LBB202_255:                            ;   in Loop: Header=BB202_256 Depth=1
	v_dual_mov_b32 v23, s1 :: v_dual_mov_b32 v22, s0
	s_and_b32 s36, exec_lo, s35
	s_mov_b64 s[0:1], s[4:5]
	s_or_b32 s34, s36, s34
	s_delay_alu instid0(SALU_CYCLE_1)
	s_and_not1_b32 exec_lo, exec_lo, s34
	s_cbranch_execz .LBB202_258
.LBB202_256:                            ; =>This Inner Loop Header: Depth=1
	s_or_b32 s35, s35, exec_lo
	s_cmp_eq_u64 s[14:15], s[0:1]
	s_cbranch_scc0 .LBB202_254
; %bb.257:                              ;   in Loop: Header=BB202_256 Depth=1
	s_mov_b64 s[0:1], s[14:15]
                                        ; implicit-def: $sgpr4_sgpr5
	s_branch .LBB202_255
.LBB202_258:
	s_set_inst_prefetch_distance 0x2
	s_or_b32 exec_lo, exec_lo, s34
	v_cmp_gt_i64_e32 vcc_lo, s[14:15], v[22:23]
	s_or_not1_b32 s0, vcc_lo, exec_lo
.LBB202_259:
	s_or_b32 exec_lo, exec_lo, s33
.LBB202_260:
	v_cndmask_b32_e64 v19, 0, 1, s31
	v_cndmask_b32_e64 v20, 0, 1, s29
	;; [unrolled: 1-line block ×7, first 2 shown]
	v_lshlrev_b16 v20, 8, v20
	v_lshlrev_b16 v21, 8, v21
	;; [unrolled: 1-line block ×4, first 2 shown]
	s_waitcnt lgkmcnt(0)
	v_or_b32_e32 v20, v23, v20
	v_or_b32_e32 v21, v25, v21
	;; [unrolled: 1-line block ×4, first 2 shown]
	s_barrier
	v_and_b32_e32 v19, 0xffff, v20
	v_lshlrev_b32_e32 v20, 16, v21
	v_and_b32_e32 v21, 0xffff, v22
	v_lshlrev_b32_e32 v18, 16, v18
	buffer_gl0_inv
                                        ; implicit-def: $sgpr0
	v_or_b32_e32 v20, v19, v20
	v_or_b32_e32 v19, v21, v18
	s_and_saveexec_b32 s1, s3
	s_delay_alu instid0(SALU_CYCLE_1)
	s_xor_b32 s26, exec_lo, s1
	s_cbranch_execz .LBB202_271
; %bb.261:
	s_and_not1_b32 vcc_lo, exec_lo, s7
	s_mov_b32 s0, 0
	s_cbranch_vccnz .LBB202_270
; %bb.262:
	v_add_nc_u32_e32 v18, -8, v39
	v_add_co_u32 v17, vcc_lo, s16, v17
	s_mov_b32 s0, -1
	s_mov_b32 s27, exec_lo
	ds_load_b64 v[25:26], v18
	s_waitcnt lgkmcnt(0)
	v_mul_lo_u32 v18, v25, s15
	v_mul_lo_u32 v23, v26, s14
	v_mad_u64_u32 v[21:22], null, v25, s14, s[16:17]
	s_delay_alu instid0(VALU_DEP_1)
	v_add3_u32 v22, v23, v22, v18
	v_add_co_ci_u32_e32 v18, vcc_lo, s17, v24, vcc_lo
	s_clause 0x1
	global_load_u8 v23, v[21:22], off
	global_load_u8 v24, v[17:18], off
	s_waitcnt vmcnt(0)
	v_cmpx_eq_u16_e64 v23, v24
	s_cbranch_execz .LBB202_269
; %bb.263:
	s_mov_b64 s[0:1], 1
	s_mov_b32 s28, 0
                                        ; implicit-def: $sgpr29
	s_set_inst_prefetch_distance 0x1
	s_branch .LBB202_266
	.p2align	6
.LBB202_264:                            ;   in Loop: Header=BB202_266 Depth=1
	v_add_co_u32 v23, vcc_lo, v21, s0
	v_add_co_ci_u32_e32 v24, vcc_lo, s1, v22, vcc_lo
	v_add_co_u32 v25, vcc_lo, v17, s0
	v_add_co_ci_u32_e32 v26, vcc_lo, s1, v18, vcc_lo
	s_add_u32 s4, s0, 1
	s_clause 0x1
	global_load_u8 v23, v[23:24], off
	global_load_u8 v24, v[25:26], off
	s_addc_u32 s5, s1, 0
	s_and_not1_b32 s29, s29, exec_lo
	s_waitcnt vmcnt(0)
	v_cmp_ne_u16_e32 vcc_lo, v23, v24
	s_and_b32 s30, vcc_lo, exec_lo
	s_delay_alu instid0(SALU_CYCLE_1)
	s_or_b32 s29, s29, s30
.LBB202_265:                            ;   in Loop: Header=BB202_266 Depth=1
	v_dual_mov_b32 v24, s1 :: v_dual_mov_b32 v23, s0
	s_and_b32 s30, exec_lo, s29
	s_mov_b64 s[0:1], s[4:5]
	s_or_b32 s28, s30, s28
	s_delay_alu instid0(SALU_CYCLE_1)
	s_and_not1_b32 exec_lo, exec_lo, s28
	s_cbranch_execz .LBB202_268
.LBB202_266:                            ; =>This Inner Loop Header: Depth=1
	s_or_b32 s29, s29, exec_lo
	s_cmp_eq_u64 s[14:15], s[0:1]
	s_cbranch_scc0 .LBB202_264
; %bb.267:                              ;   in Loop: Header=BB202_266 Depth=1
	s_mov_b64 s[0:1], s[14:15]
                                        ; implicit-def: $sgpr4_sgpr5
	s_branch .LBB202_265
.LBB202_268:
	s_set_inst_prefetch_distance 0x2
	s_or_b32 exec_lo, exec_lo, s28
	v_cmp_gt_i64_e32 vcc_lo, s[14:15], v[23:24]
	s_or_not1_b32 s0, vcc_lo, exec_lo
.LBB202_269:
	s_or_b32 exec_lo, exec_lo, s27
.LBB202_270:
	s_delay_alu instid0(SALU_CYCLE_1)
	s_and_b32 s0, s0, exec_lo
	s_or_b32 s6, s6, exec_lo
.LBB202_271:
	s_or_b32 exec_lo, exec_lo, s26
	s_branch .LBB202_363
.LBB202_272:
	s_waitcnt vmcnt(0) lgkmcnt(1)
	v_or_b32_e32 v17, 7, v39
	s_mov_b32 s26, 0
	s_mov_b32 s27, 0
	s_mov_b32 s28, exec_lo
	s_delay_alu instid0(VALU_DEP_1)
	v_cmpx_gt_u32_e64 s12, v17
	s_cbranch_execz .LBB202_283
; %bb.273:
	s_and_not1_b32 vcc_lo, exec_lo, s7
	s_mov_b32 s0, 0
	s_cbranch_vccnz .LBB202_282
; %bb.274:
	v_mad_u64_u32 v[17:18], null, v1, s14, s[16:17]
	v_mul_lo_u32 v21, v1, s15
	v_mul_lo_u32 v22, v2, s14
	v_mad_u64_u32 v[19:20], null, v3, s14, s[16:17]
	v_mul_lo_u32 v23, v3, s15
	v_mul_lo_u32 v24, v4, s14
	s_mov_b32 s0, -1
	s_mov_b32 s27, exec_lo
	s_delay_alu instid0(VALU_DEP_4) | instskip(NEXT) | instid1(VALU_DEP_2)
	v_add3_u32 v18, v22, v18, v21
	v_add3_u32 v20, v24, v20, v23
	s_clause 0x1
	global_load_u8 v21, v[17:18], off
	global_load_u8 v22, v[19:20], off
	s_waitcnt vmcnt(0)
	v_cmpx_eq_u16_e64 v21, v22
	s_cbranch_execz .LBB202_281
; %bb.275:
	s_mov_b64 s[0:1], 1
	s_mov_b32 s29, 0
                                        ; implicit-def: $sgpr30
	s_set_inst_prefetch_distance 0x1
	s_branch .LBB202_278
	.p2align	6
.LBB202_276:                            ;   in Loop: Header=BB202_278 Depth=1
	v_add_co_u32 v21, vcc_lo, v17, s0
	v_add_co_ci_u32_e32 v22, vcc_lo, s1, v18, vcc_lo
	v_add_co_u32 v23, vcc_lo, v19, s0
	v_add_co_ci_u32_e32 v24, vcc_lo, s1, v20, vcc_lo
	s_add_u32 s4, s0, 1
	s_clause 0x1
	global_load_u8 v21, v[21:22], off
	global_load_u8 v22, v[23:24], off
	s_addc_u32 s5, s1, 0
	s_and_not1_b32 s30, s30, exec_lo
	s_waitcnt vmcnt(0)
	v_cmp_ne_u16_e32 vcc_lo, v21, v22
	s_and_b32 s31, vcc_lo, exec_lo
	s_delay_alu instid0(SALU_CYCLE_1)
	s_or_b32 s30, s30, s31
.LBB202_277:                            ;   in Loop: Header=BB202_278 Depth=1
	v_dual_mov_b32 v22, s1 :: v_dual_mov_b32 v21, s0
	s_and_b32 s31, exec_lo, s30
	s_mov_b64 s[0:1], s[4:5]
	s_or_b32 s29, s31, s29
	s_delay_alu instid0(SALU_CYCLE_1)
	s_and_not1_b32 exec_lo, exec_lo, s29
	s_cbranch_execz .LBB202_280
.LBB202_278:                            ; =>This Inner Loop Header: Depth=1
	s_or_b32 s30, s30, exec_lo
	s_cmp_eq_u64 s[14:15], s[0:1]
	s_cbranch_scc0 .LBB202_276
; %bb.279:                              ;   in Loop: Header=BB202_278 Depth=1
	s_mov_b64 s[0:1], s[14:15]
                                        ; implicit-def: $sgpr4_sgpr5
	s_branch .LBB202_277
.LBB202_280:
	s_set_inst_prefetch_distance 0x2
	s_or_b32 exec_lo, exec_lo, s29
	v_cmp_gt_i64_e32 vcc_lo, s[14:15], v[21:22]
	s_or_not1_b32 s0, vcc_lo, exec_lo
.LBB202_281:
	s_or_b32 exec_lo, exec_lo, s27
.LBB202_282:
	s_delay_alu instid0(SALU_CYCLE_1)
	s_and_b32 s27, s0, exec_lo
.LBB202_283:
	s_or_b32 exec_lo, exec_lo, s28
	v_or_b32_e32 v17, 6, v39
	s_mov_b32 s28, exec_lo
	s_delay_alu instid0(VALU_DEP_1)
	v_cmpx_gt_u32_e64 s12, v17
	s_cbranch_execz .LBB202_294
; %bb.284:
	s_and_not1_b32 vcc_lo, exec_lo, s7
	s_mov_b32 s0, 0
	s_cbranch_vccnz .LBB202_293
; %bb.285:
	v_mad_u64_u32 v[17:18], null, v7, s14, s[16:17]
	v_mul_lo_u32 v21, v7, s15
	v_mul_lo_u32 v22, v8, s14
	v_mad_u64_u32 v[19:20], null, v1, s14, s[16:17]
	v_mul_lo_u32 v23, v1, s15
	v_mul_lo_u32 v24, v2, s14
	s_mov_b32 s0, -1
	s_mov_b32 s26, exec_lo
	s_delay_alu instid0(VALU_DEP_4) | instskip(NEXT) | instid1(VALU_DEP_2)
	v_add3_u32 v18, v22, v18, v21
	v_add3_u32 v20, v24, v20, v23
	s_clause 0x1
	global_load_u8 v21, v[17:18], off
	global_load_u8 v22, v[19:20], off
	s_waitcnt vmcnt(0)
	v_cmpx_eq_u16_e64 v21, v22
	s_cbranch_execz .LBB202_292
; %bb.286:
	s_mov_b64 s[0:1], 1
	s_mov_b32 s29, 0
                                        ; implicit-def: $sgpr30
	s_set_inst_prefetch_distance 0x1
	s_branch .LBB202_289
	.p2align	6
.LBB202_287:                            ;   in Loop: Header=BB202_289 Depth=1
	v_add_co_u32 v21, vcc_lo, v17, s0
	v_add_co_ci_u32_e32 v22, vcc_lo, s1, v18, vcc_lo
	v_add_co_u32 v23, vcc_lo, v19, s0
	v_add_co_ci_u32_e32 v24, vcc_lo, s1, v20, vcc_lo
	s_add_u32 s4, s0, 1
	s_clause 0x1
	global_load_u8 v21, v[21:22], off
	global_load_u8 v22, v[23:24], off
	s_addc_u32 s5, s1, 0
	s_and_not1_b32 s30, s30, exec_lo
	s_waitcnt vmcnt(0)
	v_cmp_ne_u16_e32 vcc_lo, v21, v22
	s_and_b32 s31, vcc_lo, exec_lo
	s_delay_alu instid0(SALU_CYCLE_1)
	s_or_b32 s30, s30, s31
.LBB202_288:                            ;   in Loop: Header=BB202_289 Depth=1
	v_dual_mov_b32 v22, s1 :: v_dual_mov_b32 v21, s0
	s_and_b32 s31, exec_lo, s30
	s_mov_b64 s[0:1], s[4:5]
	s_or_b32 s29, s31, s29
	s_delay_alu instid0(SALU_CYCLE_1)
	s_and_not1_b32 exec_lo, exec_lo, s29
	s_cbranch_execz .LBB202_291
.LBB202_289:                            ; =>This Inner Loop Header: Depth=1
	s_or_b32 s30, s30, exec_lo
	s_cmp_eq_u64 s[14:15], s[0:1]
	s_cbranch_scc0 .LBB202_287
; %bb.290:                              ;   in Loop: Header=BB202_289 Depth=1
	s_mov_b64 s[0:1], s[14:15]
                                        ; implicit-def: $sgpr4_sgpr5
	s_branch .LBB202_288
.LBB202_291:
	s_set_inst_prefetch_distance 0x2
	s_or_b32 exec_lo, exec_lo, s29
	v_cmp_gt_i64_e32 vcc_lo, s[14:15], v[21:22]
	s_or_not1_b32 s0, vcc_lo, exec_lo
.LBB202_292:
	s_or_b32 exec_lo, exec_lo, s26
.LBB202_293:
	s_delay_alu instid0(SALU_CYCLE_1)
	s_and_b32 s26, s0, exec_lo
.LBB202_294:
	s_or_b32 exec_lo, exec_lo, s28
	v_or_b32_e32 v17, 5, v39
	s_mov_b32 s28, 0
	s_mov_b32 s29, 0
	s_mov_b32 s30, exec_lo
	s_delay_alu instid0(VALU_DEP_1)
	v_cmpx_gt_u32_e64 s12, v17
	s_cbranch_execz .LBB202_305
; %bb.295:
	s_and_not1_b32 vcc_lo, exec_lo, s7
	s_mov_b32 s0, 0
	s_cbranch_vccnz .LBB202_304
; %bb.296:
	v_mad_u64_u32 v[17:18], null, v5, s14, s[16:17]
	v_mul_lo_u32 v21, v5, s15
	v_mul_lo_u32 v22, v6, s14
	v_mad_u64_u32 v[19:20], null, v7, s14, s[16:17]
	v_mul_lo_u32 v23, v7, s15
	v_mul_lo_u32 v24, v8, s14
	s_mov_b32 s0, -1
	s_mov_b32 s29, exec_lo
	s_delay_alu instid0(VALU_DEP_4) | instskip(NEXT) | instid1(VALU_DEP_2)
	v_add3_u32 v18, v22, v18, v21
	v_add3_u32 v20, v24, v20, v23
	s_clause 0x1
	global_load_u8 v21, v[17:18], off
	global_load_u8 v22, v[19:20], off
	s_waitcnt vmcnt(0)
	v_cmpx_eq_u16_e64 v21, v22
	s_cbranch_execz .LBB202_303
; %bb.297:
	s_mov_b64 s[0:1], 1
	s_mov_b32 s31, 0
                                        ; implicit-def: $sgpr33
	s_set_inst_prefetch_distance 0x1
	s_branch .LBB202_300
	.p2align	6
.LBB202_298:                            ;   in Loop: Header=BB202_300 Depth=1
	v_add_co_u32 v21, vcc_lo, v17, s0
	v_add_co_ci_u32_e32 v22, vcc_lo, s1, v18, vcc_lo
	v_add_co_u32 v23, vcc_lo, v19, s0
	v_add_co_ci_u32_e32 v24, vcc_lo, s1, v20, vcc_lo
	s_add_u32 s4, s0, 1
	s_clause 0x1
	global_load_u8 v21, v[21:22], off
	global_load_u8 v22, v[23:24], off
	s_addc_u32 s5, s1, 0
	s_and_not1_b32 s33, s33, exec_lo
	s_waitcnt vmcnt(0)
	v_cmp_ne_u16_e32 vcc_lo, v21, v22
	s_and_b32 s34, vcc_lo, exec_lo
	s_delay_alu instid0(SALU_CYCLE_1)
	s_or_b32 s33, s33, s34
.LBB202_299:                            ;   in Loop: Header=BB202_300 Depth=1
	v_dual_mov_b32 v22, s1 :: v_dual_mov_b32 v21, s0
	s_and_b32 s34, exec_lo, s33
	s_mov_b64 s[0:1], s[4:5]
	s_or_b32 s31, s34, s31
	s_delay_alu instid0(SALU_CYCLE_1)
	s_and_not1_b32 exec_lo, exec_lo, s31
	s_cbranch_execz .LBB202_302
.LBB202_300:                            ; =>This Inner Loop Header: Depth=1
	s_or_b32 s33, s33, exec_lo
	s_cmp_eq_u64 s[14:15], s[0:1]
	s_cbranch_scc0 .LBB202_298
; %bb.301:                              ;   in Loop: Header=BB202_300 Depth=1
	s_mov_b64 s[0:1], s[14:15]
                                        ; implicit-def: $sgpr4_sgpr5
	s_branch .LBB202_299
.LBB202_302:
	s_set_inst_prefetch_distance 0x2
	s_or_b32 exec_lo, exec_lo, s31
	v_cmp_gt_i64_e32 vcc_lo, s[14:15], v[21:22]
	s_or_not1_b32 s0, vcc_lo, exec_lo
.LBB202_303:
	s_or_b32 exec_lo, exec_lo, s29
.LBB202_304:
	s_delay_alu instid0(SALU_CYCLE_1)
	s_and_b32 s29, s0, exec_lo
.LBB202_305:
	s_or_b32 exec_lo, exec_lo, s30
	v_or_b32_e32 v17, 4, v39
	s_mov_b32 s30, exec_lo
	s_delay_alu instid0(VALU_DEP_1)
	v_cmpx_gt_u32_e64 s12, v17
	s_cbranch_execz .LBB202_316
; %bb.306:
	s_and_not1_b32 vcc_lo, exec_lo, s7
	s_mov_b32 s0, 0
	s_cbranch_vccnz .LBB202_315
; %bb.307:
	v_mad_u64_u32 v[17:18], null, v11, s14, s[16:17]
	v_mul_lo_u32 v21, v11, s15
	v_mul_lo_u32 v22, v12, s14
	v_mad_u64_u32 v[19:20], null, v5, s14, s[16:17]
	v_mul_lo_u32 v23, v5, s15
	v_mul_lo_u32 v24, v6, s14
	s_mov_b32 s0, -1
	s_mov_b32 s28, exec_lo
	s_delay_alu instid0(VALU_DEP_4) | instskip(NEXT) | instid1(VALU_DEP_2)
	v_add3_u32 v18, v22, v18, v21
	v_add3_u32 v20, v24, v20, v23
	s_clause 0x1
	global_load_u8 v21, v[17:18], off
	global_load_u8 v22, v[19:20], off
	s_waitcnt vmcnt(0)
	v_cmpx_eq_u16_e64 v21, v22
	s_cbranch_execz .LBB202_314
; %bb.308:
	s_mov_b64 s[0:1], 1
	s_mov_b32 s31, 0
                                        ; implicit-def: $sgpr33
	s_set_inst_prefetch_distance 0x1
	s_branch .LBB202_311
	.p2align	6
.LBB202_309:                            ;   in Loop: Header=BB202_311 Depth=1
	v_add_co_u32 v21, vcc_lo, v17, s0
	v_add_co_ci_u32_e32 v22, vcc_lo, s1, v18, vcc_lo
	v_add_co_u32 v23, vcc_lo, v19, s0
	v_add_co_ci_u32_e32 v24, vcc_lo, s1, v20, vcc_lo
	s_add_u32 s4, s0, 1
	s_clause 0x1
	global_load_u8 v21, v[21:22], off
	global_load_u8 v22, v[23:24], off
	s_addc_u32 s5, s1, 0
	s_and_not1_b32 s33, s33, exec_lo
	s_waitcnt vmcnt(0)
	v_cmp_ne_u16_e32 vcc_lo, v21, v22
	s_and_b32 s34, vcc_lo, exec_lo
	s_delay_alu instid0(SALU_CYCLE_1)
	s_or_b32 s33, s33, s34
.LBB202_310:                            ;   in Loop: Header=BB202_311 Depth=1
	v_dual_mov_b32 v22, s1 :: v_dual_mov_b32 v21, s0
	s_and_b32 s34, exec_lo, s33
	s_mov_b64 s[0:1], s[4:5]
	s_or_b32 s31, s34, s31
	s_delay_alu instid0(SALU_CYCLE_1)
	s_and_not1_b32 exec_lo, exec_lo, s31
	s_cbranch_execz .LBB202_313
.LBB202_311:                            ; =>This Inner Loop Header: Depth=1
	s_or_b32 s33, s33, exec_lo
	s_cmp_eq_u64 s[14:15], s[0:1]
	s_cbranch_scc0 .LBB202_309
; %bb.312:                              ;   in Loop: Header=BB202_311 Depth=1
	s_mov_b64 s[0:1], s[14:15]
                                        ; implicit-def: $sgpr4_sgpr5
	s_branch .LBB202_310
.LBB202_313:
	s_set_inst_prefetch_distance 0x2
	s_or_b32 exec_lo, exec_lo, s31
	v_cmp_gt_i64_e32 vcc_lo, s[14:15], v[21:22]
	s_or_not1_b32 s0, vcc_lo, exec_lo
.LBB202_314:
	s_or_b32 exec_lo, exec_lo, s28
.LBB202_315:
	s_delay_alu instid0(SALU_CYCLE_1)
	s_and_b32 s28, s0, exec_lo
.LBB202_316:
	s_or_b32 exec_lo, exec_lo, s30
	v_or_b32_e32 v17, 3, v39
	s_mov_b32 s31, 0
	s_mov_b32 s30, 0
	s_mov_b32 s33, exec_lo
	s_delay_alu instid0(VALU_DEP_1)
	v_cmpx_gt_u32_e64 s12, v17
	s_cbranch_execz .LBB202_327
; %bb.317:
	s_and_not1_b32 vcc_lo, exec_lo, s7
	s_mov_b32 s0, 0
	s_cbranch_vccnz .LBB202_326
; %bb.318:
	v_mad_u64_u32 v[17:18], null, v9, s14, s[16:17]
	v_mul_lo_u32 v21, v9, s15
	v_mul_lo_u32 v22, v10, s14
	v_mad_u64_u32 v[19:20], null, v11, s14, s[16:17]
	v_mul_lo_u32 v23, v11, s15
	v_mul_lo_u32 v24, v12, s14
	s_mov_b32 s0, -1
	s_mov_b32 s30, exec_lo
	s_delay_alu instid0(VALU_DEP_4) | instskip(NEXT) | instid1(VALU_DEP_2)
	v_add3_u32 v18, v22, v18, v21
	v_add3_u32 v20, v24, v20, v23
	s_clause 0x1
	global_load_u8 v21, v[17:18], off
	global_load_u8 v22, v[19:20], off
	s_waitcnt vmcnt(0)
	v_cmpx_eq_u16_e64 v21, v22
	s_cbranch_execz .LBB202_325
; %bb.319:
	s_mov_b64 s[0:1], 1
	s_mov_b32 s34, 0
                                        ; implicit-def: $sgpr35
	s_set_inst_prefetch_distance 0x1
	s_branch .LBB202_322
	.p2align	6
.LBB202_320:                            ;   in Loop: Header=BB202_322 Depth=1
	v_add_co_u32 v21, vcc_lo, v17, s0
	v_add_co_ci_u32_e32 v22, vcc_lo, s1, v18, vcc_lo
	v_add_co_u32 v23, vcc_lo, v19, s0
	v_add_co_ci_u32_e32 v24, vcc_lo, s1, v20, vcc_lo
	s_add_u32 s4, s0, 1
	s_clause 0x1
	global_load_u8 v21, v[21:22], off
	global_load_u8 v22, v[23:24], off
	s_addc_u32 s5, s1, 0
	s_and_not1_b32 s35, s35, exec_lo
	s_waitcnt vmcnt(0)
	v_cmp_ne_u16_e32 vcc_lo, v21, v22
	s_and_b32 s36, vcc_lo, exec_lo
	s_delay_alu instid0(SALU_CYCLE_1)
	s_or_b32 s35, s35, s36
.LBB202_321:                            ;   in Loop: Header=BB202_322 Depth=1
	v_dual_mov_b32 v22, s1 :: v_dual_mov_b32 v21, s0
	s_and_b32 s36, exec_lo, s35
	s_mov_b64 s[0:1], s[4:5]
	s_or_b32 s34, s36, s34
	s_delay_alu instid0(SALU_CYCLE_1)
	s_and_not1_b32 exec_lo, exec_lo, s34
	s_cbranch_execz .LBB202_324
.LBB202_322:                            ; =>This Inner Loop Header: Depth=1
	s_or_b32 s35, s35, exec_lo
	s_cmp_eq_u64 s[14:15], s[0:1]
	s_cbranch_scc0 .LBB202_320
; %bb.323:                              ;   in Loop: Header=BB202_322 Depth=1
	s_mov_b64 s[0:1], s[14:15]
                                        ; implicit-def: $sgpr4_sgpr5
	s_branch .LBB202_321
.LBB202_324:
	s_set_inst_prefetch_distance 0x2
	s_or_b32 exec_lo, exec_lo, s34
	v_cmp_gt_i64_e32 vcc_lo, s[14:15], v[21:22]
	s_or_not1_b32 s0, vcc_lo, exec_lo
.LBB202_325:
	s_or_b32 exec_lo, exec_lo, s30
.LBB202_326:
	s_delay_alu instid0(SALU_CYCLE_1)
	s_and_b32 s30, s0, exec_lo
.LBB202_327:
	s_or_b32 exec_lo, exec_lo, s33
	v_or_b32_e32 v17, 2, v39
	s_mov_b32 s33, exec_lo
	s_delay_alu instid0(VALU_DEP_1)
	v_cmpx_gt_u32_e64 s12, v17
	s_cbranch_execz .LBB202_338
; %bb.328:
	s_and_not1_b32 vcc_lo, exec_lo, s7
	s_mov_b32 s0, 0
	s_cbranch_vccnz .LBB202_337
; %bb.329:
	v_mad_u64_u32 v[17:18], null, v15, s14, s[16:17]
	v_mul_lo_u32 v21, v15, s15
	v_mul_lo_u32 v22, v16, s14
	v_mad_u64_u32 v[19:20], null, v9, s14, s[16:17]
	v_mul_lo_u32 v23, v9, s15
	v_mul_lo_u32 v24, v10, s14
	s_mov_b32 s0, -1
	s_mov_b32 s31, exec_lo
	s_delay_alu instid0(VALU_DEP_4) | instskip(NEXT) | instid1(VALU_DEP_2)
	v_add3_u32 v18, v22, v18, v21
	v_add3_u32 v20, v24, v20, v23
	s_clause 0x1
	global_load_u8 v21, v[17:18], off
	global_load_u8 v22, v[19:20], off
	s_waitcnt vmcnt(0)
	v_cmpx_eq_u16_e64 v21, v22
	s_cbranch_execz .LBB202_336
; %bb.330:
	s_mov_b64 s[0:1], 1
	s_mov_b32 s34, 0
                                        ; implicit-def: $sgpr35
	s_set_inst_prefetch_distance 0x1
	s_branch .LBB202_333
	.p2align	6
.LBB202_331:                            ;   in Loop: Header=BB202_333 Depth=1
	v_add_co_u32 v21, vcc_lo, v17, s0
	v_add_co_ci_u32_e32 v22, vcc_lo, s1, v18, vcc_lo
	v_add_co_u32 v23, vcc_lo, v19, s0
	v_add_co_ci_u32_e32 v24, vcc_lo, s1, v20, vcc_lo
	s_add_u32 s4, s0, 1
	s_clause 0x1
	global_load_u8 v21, v[21:22], off
	global_load_u8 v22, v[23:24], off
	s_addc_u32 s5, s1, 0
	s_and_not1_b32 s35, s35, exec_lo
	s_waitcnt vmcnt(0)
	v_cmp_ne_u16_e32 vcc_lo, v21, v22
	s_and_b32 s36, vcc_lo, exec_lo
	s_delay_alu instid0(SALU_CYCLE_1)
	s_or_b32 s35, s35, s36
.LBB202_332:                            ;   in Loop: Header=BB202_333 Depth=1
	v_dual_mov_b32 v22, s1 :: v_dual_mov_b32 v21, s0
	s_and_b32 s36, exec_lo, s35
	s_mov_b64 s[0:1], s[4:5]
	s_or_b32 s34, s36, s34
	s_delay_alu instid0(SALU_CYCLE_1)
	s_and_not1_b32 exec_lo, exec_lo, s34
	s_cbranch_execz .LBB202_335
.LBB202_333:                            ; =>This Inner Loop Header: Depth=1
	s_or_b32 s35, s35, exec_lo
	s_cmp_eq_u64 s[14:15], s[0:1]
	s_cbranch_scc0 .LBB202_331
; %bb.334:                              ;   in Loop: Header=BB202_333 Depth=1
	s_mov_b64 s[0:1], s[14:15]
                                        ; implicit-def: $sgpr4_sgpr5
	s_branch .LBB202_332
.LBB202_335:
	s_set_inst_prefetch_distance 0x2
	s_or_b32 exec_lo, exec_lo, s34
	v_cmp_gt_i64_e32 vcc_lo, s[14:15], v[21:22]
	s_or_not1_b32 s0, vcc_lo, exec_lo
.LBB202_336:
	s_or_b32 exec_lo, exec_lo, s31
.LBB202_337:
	s_delay_alu instid0(SALU_CYCLE_1)
	s_and_b32 s31, s0, exec_lo
.LBB202_338:
	s_or_b32 exec_lo, exec_lo, s33
	v_or_b32_e32 v17, 1, v39
	s_mov_b32 s0, 0
	s_mov_b32 s33, exec_lo
	s_delay_alu instid0(VALU_DEP_1)
	v_cmpx_gt_u32_e64 s12, v17
	s_cbranch_execz .LBB202_349
; %bb.339:
	s_and_not1_b32 vcc_lo, exec_lo, s7
	s_cbranch_vccnz .LBB202_348
; %bb.340:
	v_mad_u64_u32 v[17:18], null, v13, s14, s[16:17]
	v_mul_lo_u32 v21, v13, s15
	v_mul_lo_u32 v22, v14, s14
	v_mad_u64_u32 v[19:20], null, v15, s14, s[16:17]
	v_mul_lo_u32 v23, v15, s15
	v_mul_lo_u32 v24, v16, s14
	s_mov_b32 s0, -1
	s_mov_b32 s34, exec_lo
	s_delay_alu instid0(VALU_DEP_4) | instskip(NEXT) | instid1(VALU_DEP_2)
	v_add3_u32 v18, v22, v18, v21
	v_add3_u32 v20, v24, v20, v23
	s_clause 0x1
	global_load_u8 v21, v[17:18], off
	global_load_u8 v22, v[19:20], off
	s_waitcnt vmcnt(0)
	v_cmpx_eq_u16_e64 v21, v22
	s_cbranch_execz .LBB202_347
; %bb.341:
	s_mov_b64 s[0:1], 1
	s_mov_b32 s35, 0
                                        ; implicit-def: $sgpr36
	s_set_inst_prefetch_distance 0x1
	s_branch .LBB202_344
	.p2align	6
.LBB202_342:                            ;   in Loop: Header=BB202_344 Depth=1
	v_add_co_u32 v21, vcc_lo, v17, s0
	v_add_co_ci_u32_e32 v22, vcc_lo, s1, v18, vcc_lo
	v_add_co_u32 v23, vcc_lo, v19, s0
	v_add_co_ci_u32_e32 v24, vcc_lo, s1, v20, vcc_lo
	s_add_u32 s4, s0, 1
	s_clause 0x1
	global_load_u8 v21, v[21:22], off
	global_load_u8 v22, v[23:24], off
	s_addc_u32 s5, s1, 0
	s_and_not1_b32 s36, s36, exec_lo
	s_waitcnt vmcnt(0)
	v_cmp_ne_u16_e32 vcc_lo, v21, v22
	s_and_b32 s37, vcc_lo, exec_lo
	s_delay_alu instid0(SALU_CYCLE_1)
	s_or_b32 s36, s36, s37
.LBB202_343:                            ;   in Loop: Header=BB202_344 Depth=1
	v_dual_mov_b32 v22, s1 :: v_dual_mov_b32 v21, s0
	s_and_b32 s37, exec_lo, s36
	s_mov_b64 s[0:1], s[4:5]
	s_or_b32 s35, s37, s35
	s_delay_alu instid0(SALU_CYCLE_1)
	s_and_not1_b32 exec_lo, exec_lo, s35
	s_cbranch_execz .LBB202_346
.LBB202_344:                            ; =>This Inner Loop Header: Depth=1
	s_or_b32 s36, s36, exec_lo
	s_cmp_eq_u64 s[14:15], s[0:1]
	s_cbranch_scc0 .LBB202_342
; %bb.345:                              ;   in Loop: Header=BB202_344 Depth=1
	s_mov_b64 s[0:1], s[14:15]
                                        ; implicit-def: $sgpr4_sgpr5
	s_branch .LBB202_343
.LBB202_346:
	s_set_inst_prefetch_distance 0x2
	s_or_b32 exec_lo, exec_lo, s35
	v_cmp_gt_i64_e32 vcc_lo, s[14:15], v[21:22]
	s_or_not1_b32 s0, vcc_lo, exec_lo
.LBB202_347:
	s_or_b32 exec_lo, exec_lo, s34
.LBB202_348:
	s_delay_alu instid0(SALU_CYCLE_1)
	s_and_b32 s0, s0, exec_lo
.LBB202_349:
	s_or_b32 exec_lo, exec_lo, s33
	v_cndmask_b32_e64 v18, 0, 1, s30
	v_cndmask_b32_e64 v19, 0, 1, s29
	;; [unrolled: 1-line block ×7, first 2 shown]
	v_lshlrev_b16 v19, 8, v19
	v_lshlrev_b16 v20, 8, v20
	;; [unrolled: 1-line block ×4, first 2 shown]
	s_waitcnt lgkmcnt(0)
	v_or_b32_e32 v19, v22, v19
	v_or_b32_e32 v20, v23, v20
	;; [unrolled: 1-line block ×4, first 2 shown]
	s_barrier
	v_and_b32_e32 v18, 0xffff, v19
	v_lshlrev_b32_e32 v19, 16, v20
	v_and_b32_e32 v21, 0xffff, v21
	v_lshlrev_b32_e32 v17, 16, v17
	buffer_gl0_inv
                                        ; implicit-def: $sgpr0
	v_or_b32_e32 v20, v18, v19
	v_or_b32_e32 v19, v21, v17
	s_and_saveexec_b32 s26, s3
	s_cbranch_execz .LBB202_362
; %bb.350:
	s_mov_b32 s0, 0
	s_mov_b32 s3, exec_lo
	v_cmpx_gt_u32_e64 s12, v39
	s_cbranch_execz .LBB202_361
; %bb.351:
	s_and_not1_b32 vcc_lo, exec_lo, s7
	s_cbranch_vccnz .LBB202_360
; %bb.352:
	v_add_nc_u32_e32 v17, -8, v39
	v_mul_lo_u32 v25, v13, s15
	s_mov_b32 s0, -1
	s_mov_b32 s7, exec_lo
	ds_load_b64 v[23:24], v17
	v_mad_u64_u32 v[17:18], null, v13, s14, s[16:17]
	s_waitcnt lgkmcnt(0)
	v_mul_lo_u32 v26, v23, s15
	v_mul_lo_u32 v24, v24, s14
	v_mad_u64_u32 v[21:22], null, v23, s14, s[16:17]
	v_mul_lo_u32 v23, v14, s14
	s_delay_alu instid0(VALU_DEP_2) | instskip(NEXT) | instid1(VALU_DEP_2)
	v_add3_u32 v22, v24, v22, v26
	v_add3_u32 v18, v23, v18, v25
	s_clause 0x1
	global_load_u8 v23, v[21:22], off
	global_load_u8 v24, v[17:18], off
	s_waitcnt vmcnt(0)
	v_cmpx_eq_u16_e64 v23, v24
	s_cbranch_execz .LBB202_359
; %bb.353:
	s_mov_b64 s[0:1], 1
	s_mov_b32 s16, 0
                                        ; implicit-def: $sgpr17
	s_set_inst_prefetch_distance 0x1
	s_branch .LBB202_356
	.p2align	6
.LBB202_354:                            ;   in Loop: Header=BB202_356 Depth=1
	v_add_co_u32 v23, vcc_lo, v21, s0
	v_add_co_ci_u32_e32 v24, vcc_lo, s1, v22, vcc_lo
	v_add_co_u32 v25, vcc_lo, v17, s0
	v_add_co_ci_u32_e32 v26, vcc_lo, s1, v18, vcc_lo
	s_add_u32 s4, s0, 1
	s_clause 0x1
	global_load_u8 v23, v[23:24], off
	global_load_u8 v24, v[25:26], off
	s_addc_u32 s5, s1, 0
	s_and_not1_b32 s17, s17, exec_lo
	s_waitcnt vmcnt(0)
	v_cmp_ne_u16_e32 vcc_lo, v23, v24
	s_and_b32 s27, vcc_lo, exec_lo
	s_delay_alu instid0(SALU_CYCLE_1)
	s_or_b32 s17, s17, s27
.LBB202_355:                            ;   in Loop: Header=BB202_356 Depth=1
	v_dual_mov_b32 v24, s1 :: v_dual_mov_b32 v23, s0
	s_and_b32 s27, exec_lo, s17
	s_mov_b64 s[0:1], s[4:5]
	s_or_b32 s16, s27, s16
	s_delay_alu instid0(SALU_CYCLE_1)
	s_and_not1_b32 exec_lo, exec_lo, s16
	s_cbranch_execz .LBB202_358
.LBB202_356:                            ; =>This Inner Loop Header: Depth=1
	s_or_b32 s17, s17, exec_lo
	s_cmp_eq_u64 s[14:15], s[0:1]
	s_cbranch_scc0 .LBB202_354
; %bb.357:                              ;   in Loop: Header=BB202_356 Depth=1
	s_mov_b64 s[0:1], s[14:15]
                                        ; implicit-def: $sgpr4_sgpr5
	s_branch .LBB202_355
.LBB202_358:
	s_set_inst_prefetch_distance 0x2
	s_or_b32 exec_lo, exec_lo, s16
	v_cmp_gt_i64_e32 vcc_lo, s[14:15], v[23:24]
	s_or_not1_b32 s0, vcc_lo, exec_lo
.LBB202_359:
	s_or_b32 exec_lo, exec_lo, s7
.LBB202_360:
	s_delay_alu instid0(SALU_CYCLE_1)
	s_and_b32 s0, s0, exec_lo
.LBB202_361:
	s_or_b32 exec_lo, exec_lo, s3
	s_delay_alu instid0(SALU_CYCLE_1)
	s_and_b32 s0, s0, exec_lo
	s_or_b32 s6, s6, exec_lo
.LBB202_362:
	s_or_b32 exec_lo, exec_lo, s26
.LBB202_363:
	s_and_saveexec_b32 s1, s6
	s_cbranch_execz .LBB202_365
; %bb.364:
	s_waitcnt vmcnt(0) lgkmcnt(0)
	v_and_b32_e32 v17, 0xffffff00, v19
	v_cndmask_b32_e64 v18, 0, 1, s0
	s_delay_alu instid0(VALU_DEP_1) | instskip(NEXT) | instid1(VALU_DEP_1)
	v_or_b32_e32 v17, v18, v17
	v_and_b32_e32 v17, 0xffff, v17
	s_delay_alu instid0(VALU_DEP_1)
	v_and_or_b32 v19, 0xffff0000, v19, v17
.LBB202_365:
	s_or_b32 exec_lo, exec_lo, s1
	s_delay_alu instid0(SALU_CYCLE_1)
	s_and_not1_b32 vcc_lo, exec_lo, s24
	s_cbranch_vccnz .LBB202_367
; %bb.366:
	v_cmp_gt_u32_e32 vcc_lo, s12, v39
	s_waitcnt vmcnt(0) lgkmcnt(0)
	v_or_b32_e32 v18, 1, v39
	v_and_b32_e32 v21, 0xffffff00, v20
	v_or_b32_e32 v22, 2, v39
	v_cndmask_b32_e32 v17, 0, v19, vcc_lo
	s_delay_alu instid0(VALU_DEP_4) | instskip(SKIP_1) | instid1(VALU_DEP_4)
	v_cmp_gt_u32_e32 vcc_lo, s12, v18
	v_or_b32_e32 v18, 4, v39
	v_cmp_gt_u32_e64 s0, s12, v22
	v_or_b32_e32 v22, 3, v39
	v_and_b32_e32 v17, 0xff, v17
	s_delay_alu instid0(VALU_DEP_2) | instskip(NEXT) | instid1(VALU_DEP_2)
	v_cmp_gt_u32_e64 s1, s12, v22
	v_cndmask_b32_e32 v17, v17, v19, vcc_lo
	v_cmp_gt_u32_e32 vcc_lo, s12, v18
	v_cndmask_b32_e32 v18, v21, v20, vcc_lo
	v_or_b32_e32 v21, 5, v39
	s_delay_alu instid0(VALU_DEP_2) | instskip(SKIP_1) | instid1(VALU_DEP_1)
	v_and_b32_e32 v18, 0xffff00ff, v18
	v_and_b32_e32 v17, 0xffff, v17
	v_cndmask_b32_e64 v17, v17, v19, s0
	s_delay_alu instid0(VALU_DEP_4) | instskip(SKIP_1) | instid1(VALU_DEP_3)
	v_cmp_gt_u32_e64 s0, s12, v21
	v_or_b32_e32 v21, 6, v39
	v_and_b32_e32 v17, 0xffffff, v17
	s_delay_alu instid0(VALU_DEP_3) | instskip(NEXT) | instid1(VALU_DEP_2)
	v_cndmask_b32_e64 v18, v18, v20, s0
	v_cndmask_b32_e64 v17, v17, v19, s1
	s_delay_alu instid0(VALU_DEP_1) | instskip(SKIP_2) | instid1(VALU_DEP_3)
	v_dual_cndmask_b32 v17, v17, v19 :: v_dual_and_b32 v18, 0xff00ffff, v18
	v_cmp_gt_u32_e32 vcc_lo, s12, v21
	v_or_b32_e32 v21, 7, v39
	v_cndmask_b32_e64 v17, v17, v19, s0
	s_delay_alu instid0(VALU_DEP_1) | instskip(NEXT) | instid1(VALU_DEP_1)
	v_dual_cndmask_b32 v18, v18, v20 :: v_dual_cndmask_b32 v17, v17, v19
	v_and_b32_e32 v18, 0xffffff, v18
	s_delay_alu instid0(VALU_DEP_4) | instskip(NEXT) | instid1(VALU_DEP_2)
	v_cmp_gt_u32_e32 vcc_lo, s12, v21
	v_dual_cndmask_b32 v20, v18, v20 :: v_dual_cndmask_b32 v19, v17, v19
.LBB202_367:
	s_delay_alu instid0(VALU_DEP_1) | instskip(SKIP_1) | instid1(VALU_DEP_2)
	v_and_b32_e32 v28, 0xff, v19
	s_waitcnt vmcnt(0) lgkmcnt(0)
	v_alignbit_b32 v17, v20, v19, 24
	v_bfe_u32 v30, v19, 8, 8
	v_bfe_u32 v32, v19, 16, 8
	v_and_b32_e32 v36, 0xff, v20
	v_bfe_u32 v38, v20, 8, 8
	v_and_b32_e32 v34, 0xff, v17
	v_add_nc_u32_e32 v17, v30, v28
	v_mbcnt_lo_u32_b32 v42, -1, 0
	v_bfe_u32 v41, v20, 16, 8
	v_lshrrev_b32_e32 v40, 24, v20
	v_lshrrev_b32_e32 v43, 5, v0
	v_add3_u32 v17, v17, v32, v34
	v_and_b32_e32 v18, 15, v42
	v_and_b32_e32 v21, 16, v42
	s_and_b32 vcc_lo, exec_lo, s25
	s_mov_b32 s7, -1
	v_add3_u32 v17, v17, v36, v38
	v_cmp_eq_u32_e64 s3, 0, v18
	v_cmp_lt_u32_e64 s0, 1, v18
	v_cmp_lt_u32_e64 s4, 3, v18
	;; [unrolled: 1-line block ×3, first 2 shown]
	v_add3_u32 v44, v17, v41, v40
	v_or_b32_e32 v17, 31, v0
	v_cmp_eq_u32_e64 s6, 0, v21
	s_barrier
	buffer_gl0_inv
	v_cmp_eq_u32_e64 s5, v17, v0
	s_cbranch_vccz .LBB202_393
; %bb.368:
	v_mov_b32_dpp v17, v44 row_shr:1 row_mask:0xf bank_mask:0xf
	s_delay_alu instid0(VALU_DEP_1) | instskip(NEXT) | instid1(VALU_DEP_1)
	v_cndmask_b32_e64 v17, v17, 0, s3
	v_add_nc_u32_e32 v17, v17, v44
	s_delay_alu instid0(VALU_DEP_1) | instskip(NEXT) | instid1(VALU_DEP_1)
	v_mov_b32_dpp v18, v17 row_shr:2 row_mask:0xf bank_mask:0xf
	v_cndmask_b32_e64 v18, 0, v18, s0
	s_delay_alu instid0(VALU_DEP_1) | instskip(NEXT) | instid1(VALU_DEP_1)
	v_add_nc_u32_e32 v17, v17, v18
	v_mov_b32_dpp v18, v17 row_shr:4 row_mask:0xf bank_mask:0xf
	s_delay_alu instid0(VALU_DEP_1) | instskip(NEXT) | instid1(VALU_DEP_1)
	v_cndmask_b32_e64 v18, 0, v18, s4
	v_add_nc_u32_e32 v17, v17, v18
	s_delay_alu instid0(VALU_DEP_1) | instskip(NEXT) | instid1(VALU_DEP_1)
	v_mov_b32_dpp v18, v17 row_shr:8 row_mask:0xf bank_mask:0xf
	v_cndmask_b32_e64 v18, 0, v18, s1
	s_delay_alu instid0(VALU_DEP_1) | instskip(SKIP_3) | instid1(VALU_DEP_1)
	v_add_nc_u32_e32 v17, v17, v18
	ds_swizzle_b32 v18, v17 offset:swizzle(BROADCAST,32,15)
	s_waitcnt lgkmcnt(0)
	v_cndmask_b32_e64 v18, v18, 0, s6
	v_add_nc_u32_e32 v17, v17, v18
	s_and_saveexec_b32 s7, s5
	s_cbranch_execz .LBB202_370
; %bb.369:
	v_lshlrev_b32_e32 v18, 2, v43
	ds_store_b32 v18, v17
.LBB202_370:
	s_or_b32 exec_lo, exec_lo, s7
	s_delay_alu instid0(SALU_CYCLE_1)
	s_mov_b32 s7, exec_lo
	s_waitcnt lgkmcnt(0)
	s_barrier
	buffer_gl0_inv
	v_cmpx_gt_u32_e32 16, v0
	s_cbranch_execz .LBB202_372
; %bb.371:
	v_lshlrev_b32_e32 v18, 2, v0
	ds_load_b32 v21, v18
	s_waitcnt lgkmcnt(0)
	v_mov_b32_dpp v22, v21 row_shr:1 row_mask:0xf bank_mask:0xf
	s_delay_alu instid0(VALU_DEP_1) | instskip(NEXT) | instid1(VALU_DEP_1)
	v_cndmask_b32_e64 v22, v22, 0, s3
	v_add_nc_u32_e32 v21, v22, v21
	s_delay_alu instid0(VALU_DEP_1) | instskip(NEXT) | instid1(VALU_DEP_1)
	v_mov_b32_dpp v22, v21 row_shr:2 row_mask:0xf bank_mask:0xf
	v_cndmask_b32_e64 v22, 0, v22, s0
	s_delay_alu instid0(VALU_DEP_1) | instskip(NEXT) | instid1(VALU_DEP_1)
	v_add_nc_u32_e32 v21, v21, v22
	v_mov_b32_dpp v22, v21 row_shr:4 row_mask:0xf bank_mask:0xf
	s_delay_alu instid0(VALU_DEP_1) | instskip(NEXT) | instid1(VALU_DEP_1)
	v_cndmask_b32_e64 v22, 0, v22, s4
	v_add_nc_u32_e32 v21, v21, v22
	s_delay_alu instid0(VALU_DEP_1) | instskip(NEXT) | instid1(VALU_DEP_1)
	v_mov_b32_dpp v22, v21 row_shr:8 row_mask:0xf bank_mask:0xf
	v_cndmask_b32_e64 v22, 0, v22, s1
	s_delay_alu instid0(VALU_DEP_1)
	v_add_nc_u32_e32 v21, v21, v22
	ds_store_b32 v18, v21
.LBB202_372:
	s_or_b32 exec_lo, exec_lo, s7
	v_cmp_gt_u32_e32 vcc_lo, 32, v0
	s_mov_b32 s12, exec_lo
	s_waitcnt lgkmcnt(0)
	s_barrier
	buffer_gl0_inv
                                        ; implicit-def: $vgpr27
	v_cmpx_lt_u32_e32 31, v0
	s_cbranch_execz .LBB202_374
; %bb.373:
	v_lshl_add_u32 v18, v43, 2, -4
	ds_load_b32 v27, v18
	s_waitcnt lgkmcnt(0)
	v_add_nc_u32_e32 v17, v27, v17
.LBB202_374:
	s_or_b32 exec_lo, exec_lo, s12
	v_add_nc_u32_e32 v18, -1, v42
	s_delay_alu instid0(VALU_DEP_1) | instskip(NEXT) | instid1(VALU_DEP_1)
	v_cmp_gt_i32_e64 s7, 0, v18
	v_cndmask_b32_e64 v18, v18, v42, s7
	v_cmp_eq_u32_e64 s7, 0, v42
	s_delay_alu instid0(VALU_DEP_2)
	v_lshlrev_b32_e32 v18, 2, v18
	ds_bpermute_b32 v29, v18, v17
	s_and_saveexec_b32 s12, vcc_lo
	s_cbranch_execz .LBB202_392
; %bb.375:
	v_mov_b32_e32 v23, 0
	ds_load_b32 v17, v23 offset:60
	s_and_saveexec_b32 s14, s7
	s_cbranch_execz .LBB202_377
; %bb.376:
	s_add_i32 s16, s23, 32
	s_mov_b32 s17, 0
	v_mov_b32_e32 v18, 1
	s_lshl_b64 s[16:17], s[16:17], 3
	s_delay_alu instid0(SALU_CYCLE_1)
	s_add_u32 s16, s18, s16
	s_addc_u32 s17, s19, s17
	s_waitcnt lgkmcnt(0)
	global_store_b64 v23, v[17:18], s[16:17]
.LBB202_377:
	s_or_b32 exec_lo, exec_lo, s14
	v_xad_u32 v21, v42, -1, s23
	s_mov_b32 s15, 0
	s_mov_b32 s14, exec_lo
	s_delay_alu instid0(VALU_DEP_1) | instskip(NEXT) | instid1(VALU_DEP_1)
	v_add_nc_u32_e32 v22, 32, v21
	v_lshlrev_b64 v[22:23], 3, v[22:23]
	s_delay_alu instid0(VALU_DEP_1) | instskip(NEXT) | instid1(VALU_DEP_2)
	v_add_co_u32 v25, vcc_lo, s18, v22
	v_add_co_ci_u32_e32 v26, vcc_lo, s19, v23, vcc_lo
	global_load_b64 v[23:24], v[25:26], off glc
	s_waitcnt vmcnt(0)
	v_and_b32_e32 v18, 0xff, v24
	s_delay_alu instid0(VALU_DEP_1)
	v_cmpx_eq_u16_e32 0, v18
	s_cbranch_execz .LBB202_380
.LBB202_378:                            ; =>This Inner Loop Header: Depth=1
	global_load_b64 v[23:24], v[25:26], off glc
	s_waitcnt vmcnt(0)
	v_and_b32_e32 v18, 0xff, v24
	s_delay_alu instid0(VALU_DEP_1) | instskip(SKIP_1) | instid1(SALU_CYCLE_1)
	v_cmp_ne_u16_e32 vcc_lo, 0, v18
	s_or_b32 s15, vcc_lo, s15
	s_and_not1_b32 exec_lo, exec_lo, s15
	s_cbranch_execnz .LBB202_378
; %bb.379:
	s_or_b32 exec_lo, exec_lo, s15
.LBB202_380:
	s_delay_alu instid0(SALU_CYCLE_1)
	s_or_b32 exec_lo, exec_lo, s14
	v_cmp_ne_u32_e32 vcc_lo, 31, v42
	v_and_b32_e32 v22, 0xff, v24
	v_lshlrev_b32_e64 v31, v42, -1
	v_add_nc_u32_e32 v35, 2, v42
	v_add_nc_u32_e32 v45, 4, v42
	v_add_co_ci_u32_e32 v18, vcc_lo, 0, v42, vcc_lo
	v_cmp_eq_u16_e32 vcc_lo, 2, v22
	v_add_nc_u32_e32 v48, 8, v42
	v_add_nc_u32_e32 v50, 16, v42
	v_and_or_b32 v22, vcc_lo, v31, 0x80000000
	v_cmp_gt_u32_e32 vcc_lo, 30, v42
	s_delay_alu instid0(VALU_DEP_2) | instskip(SKIP_1) | instid1(VALU_DEP_2)
	v_ctz_i32_b32_e32 v22, v22
	v_cndmask_b32_e64 v26, 0, 1, vcc_lo
	v_cmp_lt_u32_e32 vcc_lo, v42, v22
	v_lshlrev_b32_e32 v18, 2, v18
	s_delay_alu instid0(VALU_DEP_3)
	v_lshlrev_b32_e32 v26, 1, v26
	ds_bpermute_b32 v25, v18, v23
	v_add_lshl_u32 v33, v26, v42, 2
	s_waitcnt lgkmcnt(0)
	v_cndmask_b32_e32 v25, 0, v25, vcc_lo
	v_cmp_gt_u32_e32 vcc_lo, 28, v42
	s_delay_alu instid0(VALU_DEP_2) | instskip(SKIP_4) | instid1(VALU_DEP_1)
	v_add_nc_u32_e32 v23, v25, v23
	v_cndmask_b32_e64 v26, 0, 1, vcc_lo
	v_cmp_le_u32_e32 vcc_lo, v35, v22
	ds_bpermute_b32 v25, v33, v23
	v_lshlrev_b32_e32 v26, 2, v26
	v_add_lshl_u32 v37, v26, v42, 2
	s_waitcnt lgkmcnt(0)
	v_cndmask_b32_e32 v25, 0, v25, vcc_lo
	v_cmp_gt_u32_e32 vcc_lo, 24, v42
	s_delay_alu instid0(VALU_DEP_2) | instskip(SKIP_4) | instid1(VALU_DEP_1)
	v_add_nc_u32_e32 v23, v23, v25
	v_cndmask_b32_e64 v26, 0, 1, vcc_lo
	v_cmp_le_u32_e32 vcc_lo, v45, v22
	ds_bpermute_b32 v25, v37, v23
	v_lshlrev_b32_e32 v26, 3, v26
	;; [unrolled: 10-line block ×3, first 2 shown]
	v_add_lshl_u32 v49, v26, v42, 2
	s_waitcnt lgkmcnt(0)
	v_cndmask_b32_e32 v25, 0, v25, vcc_lo
	v_cmp_le_u32_e32 vcc_lo, v50, v22
	s_delay_alu instid0(VALU_DEP_2) | instskip(SKIP_3) | instid1(VALU_DEP_1)
	v_add_nc_u32_e32 v23, v23, v25
	ds_bpermute_b32 v25, v49, v23
	s_waitcnt lgkmcnt(0)
	v_cndmask_b32_e32 v22, 0, v25, vcc_lo
	v_dual_mov_b32 v22, 0 :: v_dual_add_nc_u32 v23, v23, v22
	s_branch .LBB202_382
.LBB202_381:                            ;   in Loop: Header=BB202_382 Depth=1
	s_or_b32 exec_lo, exec_lo, s14
	ds_bpermute_b32 v26, v18, v23
	v_and_b32_e32 v25, 0xff, v24
	v_subrev_nc_u32_e32 v21, 32, v21
	s_delay_alu instid0(VALU_DEP_2) | instskip(SKIP_1) | instid1(VALU_DEP_1)
	v_cmp_eq_u16_e32 vcc_lo, 2, v25
	v_and_or_b32 v25, vcc_lo, v31, 0x80000000
	v_ctz_i32_b32_e32 v25, v25
	s_delay_alu instid0(VALU_DEP_1) | instskip(SKIP_3) | instid1(VALU_DEP_2)
	v_cmp_lt_u32_e32 vcc_lo, v42, v25
	s_waitcnt lgkmcnt(0)
	v_cndmask_b32_e32 v26, 0, v26, vcc_lo
	v_cmp_le_u32_e32 vcc_lo, v35, v25
	v_add_nc_u32_e32 v23, v26, v23
	ds_bpermute_b32 v26, v33, v23
	s_waitcnt lgkmcnt(0)
	v_cndmask_b32_e32 v26, 0, v26, vcc_lo
	v_cmp_le_u32_e32 vcc_lo, v45, v25
	s_delay_alu instid0(VALU_DEP_2) | instskip(SKIP_4) | instid1(VALU_DEP_2)
	v_add_nc_u32_e32 v23, v23, v26
	ds_bpermute_b32 v26, v37, v23
	s_waitcnt lgkmcnt(0)
	v_cndmask_b32_e32 v26, 0, v26, vcc_lo
	v_cmp_le_u32_e32 vcc_lo, v48, v25
	v_add_nc_u32_e32 v23, v23, v26
	ds_bpermute_b32 v26, v47, v23
	s_waitcnt lgkmcnt(0)
	v_cndmask_b32_e32 v26, 0, v26, vcc_lo
	v_cmp_le_u32_e32 vcc_lo, v50, v25
	s_delay_alu instid0(VALU_DEP_2) | instskip(SKIP_3) | instid1(VALU_DEP_1)
	v_add_nc_u32_e32 v23, v23, v26
	ds_bpermute_b32 v26, v49, v23
	s_waitcnt lgkmcnt(0)
	v_cndmask_b32_e32 v25, 0, v26, vcc_lo
	v_add3_u32 v23, v25, v46, v23
.LBB202_382:                            ; =>This Loop Header: Depth=1
                                        ;     Child Loop BB202_385 Depth 2
	v_and_b32_e32 v24, 0xff, v24
	s_delay_alu instid0(VALU_DEP_2) | instskip(NEXT) | instid1(VALU_DEP_2)
	v_mov_b32_e32 v46, v23
	v_cmp_ne_u16_e32 vcc_lo, 2, v24
	v_cndmask_b32_e64 v24, 0, 1, vcc_lo
	;;#ASMSTART
	;;#ASMEND
	s_delay_alu instid0(VALU_DEP_1)
	v_cmp_ne_u32_e32 vcc_lo, 0, v24
	s_cmp_lg_u32 vcc_lo, exec_lo
	s_cbranch_scc1 .LBB202_387
; %bb.383:                              ;   in Loop: Header=BB202_382 Depth=1
	v_lshlrev_b64 v[23:24], 3, v[21:22]
	s_mov_b32 s14, exec_lo
	s_delay_alu instid0(VALU_DEP_1) | instskip(NEXT) | instid1(VALU_DEP_2)
	v_add_co_u32 v25, vcc_lo, s18, v23
	v_add_co_ci_u32_e32 v26, vcc_lo, s19, v24, vcc_lo
	global_load_b64 v[23:24], v[25:26], off glc
	s_waitcnt vmcnt(0)
	v_and_b32_e32 v51, 0xff, v24
	s_delay_alu instid0(VALU_DEP_1)
	v_cmpx_eq_u16_e32 0, v51
	s_cbranch_execz .LBB202_381
; %bb.384:                              ;   in Loop: Header=BB202_382 Depth=1
	s_mov_b32 s15, 0
.LBB202_385:                            ;   Parent Loop BB202_382 Depth=1
                                        ; =>  This Inner Loop Header: Depth=2
	global_load_b64 v[23:24], v[25:26], off glc
	s_waitcnt vmcnt(0)
	v_and_b32_e32 v51, 0xff, v24
	s_delay_alu instid0(VALU_DEP_1) | instskip(SKIP_1) | instid1(SALU_CYCLE_1)
	v_cmp_ne_u16_e32 vcc_lo, 0, v51
	s_or_b32 s15, vcc_lo, s15
	s_and_not1_b32 exec_lo, exec_lo, s15
	s_cbranch_execnz .LBB202_385
; %bb.386:                              ;   in Loop: Header=BB202_382 Depth=1
	s_or_b32 exec_lo, exec_lo, s15
	s_branch .LBB202_381
.LBB202_387:                            ;   in Loop: Header=BB202_382 Depth=1
                                        ; implicit-def: $vgpr23
                                        ; implicit-def: $vgpr24
	s_cbranch_execz .LBB202_382
; %bb.388:
	s_and_saveexec_b32 s14, s7
	s_cbranch_execz .LBB202_390
; %bb.389:
	s_add_i32 s16, s23, 32
	s_mov_b32 s17, 0
	v_dual_mov_b32 v22, 2 :: v_dual_add_nc_u32 v21, v46, v17
	s_lshl_b64 s[16:17], s[16:17], 3
	v_mov_b32_e32 v18, 0
	v_add_nc_u32_e64 v23, 0x8400, 0
	s_add_u32 s16, s18, s16
	s_addc_u32 s17, s19, s17
	global_store_b64 v18, v[21:22], s[16:17]
	ds_store_2addr_b32 v23, v17, v46 offset1:2
.LBB202_390:
	s_or_b32 exec_lo, exec_lo, s14
	s_delay_alu instid0(SALU_CYCLE_1)
	s_and_b32 exec_lo, exec_lo, s2
	s_cbranch_execz .LBB202_392
; %bb.391:
	v_mov_b32_e32 v17, 0
	ds_store_b32 v17, v46 offset:60
.LBB202_392:
	s_or_b32 exec_lo, exec_lo, s12
	v_mov_b32_e32 v17, 0
	s_waitcnt lgkmcnt(0)
	s_waitcnt_vscnt null, 0x0
	s_barrier
	buffer_gl0_inv
	v_cndmask_b32_e64 v18, v29, v27, s7
	ds_load_b32 v17, v17 offset:60
	s_waitcnt lgkmcnt(0)
	s_barrier
	buffer_gl0_inv
	v_cndmask_b32_e64 v18, v18, 0, s2
	s_delay_alu instid0(VALU_DEP_1) | instskip(SKIP_1) | instid1(VALU_DEP_2)
	v_add_nc_u32_e32 v37, v17, v18
	v_add_nc_u32_e64 v17, 0x8400, 0
	v_add_nc_u32_e32 v35, v37, v28
	ds_load_2addr_b32 v[17:18], v17 offset1:2
	v_add_nc_u32_e32 v33, v35, v30
	s_delay_alu instid0(VALU_DEP_1) | instskip(NEXT) | instid1(VALU_DEP_1)
	v_add_nc_u32_e32 v31, v33, v32
	v_add_nc_u32_e32 v29, v31, v34
	s_delay_alu instid0(VALU_DEP_1) | instskip(NEXT) | instid1(VALU_DEP_1)
	v_add_nc_u32_e32 v27, v29, v36
	v_add_nc_u32_e32 v25, v27, v38
	s_delay_alu instid0(VALU_DEP_1)
	v_add_nc_u32_e32 v23, v25, v41
	v_lshrrev_b64 v[21:22], 24, v[19:20]
	s_branch .LBB202_403
.LBB202_393:
                                        ; implicit-def: $vgpr23
                                        ; implicit-def: $vgpr25
                                        ; implicit-def: $vgpr27
                                        ; implicit-def: $vgpr29
                                        ; implicit-def: $vgpr31
                                        ; implicit-def: $vgpr33
                                        ; implicit-def: $vgpr35
                                        ; implicit-def: $vgpr37
                                        ; implicit-def: $vgpr18
	v_lshrrev_b64 v[21:22], 24, v[19:20]
	s_and_b32 vcc_lo, exec_lo, s7
	s_cbranch_vccz .LBB202_403
; %bb.394:
	s_waitcnt lgkmcnt(0)
	v_mov_b32_dpp v17, v44 row_shr:1 row_mask:0xf bank_mask:0xf
	s_delay_alu instid0(VALU_DEP_1) | instskip(NEXT) | instid1(VALU_DEP_1)
	v_cndmask_b32_e64 v17, v17, 0, s3
	v_add_nc_u32_e32 v17, v17, v44
	s_delay_alu instid0(VALU_DEP_1) | instskip(NEXT) | instid1(VALU_DEP_1)
	v_mov_b32_dpp v18, v17 row_shr:2 row_mask:0xf bank_mask:0xf
	v_cndmask_b32_e64 v18, 0, v18, s0
	s_delay_alu instid0(VALU_DEP_1) | instskip(NEXT) | instid1(VALU_DEP_1)
	v_add_nc_u32_e32 v17, v17, v18
	v_mov_b32_dpp v18, v17 row_shr:4 row_mask:0xf bank_mask:0xf
	s_delay_alu instid0(VALU_DEP_1) | instskip(NEXT) | instid1(VALU_DEP_1)
	v_cndmask_b32_e64 v18, 0, v18, s4
	v_add_nc_u32_e32 v17, v17, v18
	s_delay_alu instid0(VALU_DEP_1) | instskip(NEXT) | instid1(VALU_DEP_1)
	v_mov_b32_dpp v18, v17 row_shr:8 row_mask:0xf bank_mask:0xf
	v_cndmask_b32_e64 v18, 0, v18, s1
	s_delay_alu instid0(VALU_DEP_1) | instskip(SKIP_3) | instid1(VALU_DEP_1)
	v_add_nc_u32_e32 v17, v17, v18
	ds_swizzle_b32 v18, v17 offset:swizzle(BROADCAST,32,15)
	s_waitcnt lgkmcnt(0)
	v_cndmask_b32_e64 v18, v18, 0, s6
	v_add_nc_u32_e32 v17, v17, v18
	s_and_saveexec_b32 s6, s5
	s_cbranch_execz .LBB202_396
; %bb.395:
	v_lshlrev_b32_e32 v18, 2, v43
	ds_store_b32 v18, v17
.LBB202_396:
	s_or_b32 exec_lo, exec_lo, s6
	s_delay_alu instid0(SALU_CYCLE_1)
	s_mov_b32 s5, exec_lo
	s_waitcnt lgkmcnt(0)
	s_barrier
	buffer_gl0_inv
	v_cmpx_gt_u32_e32 16, v0
	s_cbranch_execz .LBB202_398
; %bb.397:
	v_lshlrev_b32_e32 v18, 2, v0
	ds_load_b32 v22, v18
	s_waitcnt lgkmcnt(0)
	v_mov_b32_dpp v23, v22 row_shr:1 row_mask:0xf bank_mask:0xf
	s_delay_alu instid0(VALU_DEP_1) | instskip(NEXT) | instid1(VALU_DEP_1)
	v_cndmask_b32_e64 v23, v23, 0, s3
	v_add_nc_u32_e32 v22, v23, v22
	s_delay_alu instid0(VALU_DEP_1) | instskip(NEXT) | instid1(VALU_DEP_1)
	v_mov_b32_dpp v23, v22 row_shr:2 row_mask:0xf bank_mask:0xf
	v_cndmask_b32_e64 v23, 0, v23, s0
	s_delay_alu instid0(VALU_DEP_1) | instskip(NEXT) | instid1(VALU_DEP_1)
	v_add_nc_u32_e32 v22, v22, v23
	v_mov_b32_dpp v23, v22 row_shr:4 row_mask:0xf bank_mask:0xf
	s_delay_alu instid0(VALU_DEP_1) | instskip(NEXT) | instid1(VALU_DEP_1)
	v_cndmask_b32_e64 v23, 0, v23, s4
	v_add_nc_u32_e32 v22, v22, v23
	s_delay_alu instid0(VALU_DEP_1) | instskip(NEXT) | instid1(VALU_DEP_1)
	v_mov_b32_dpp v23, v22 row_shr:8 row_mask:0xf bank_mask:0xf
	v_cndmask_b32_e64 v23, 0, v23, s1
	s_delay_alu instid0(VALU_DEP_1)
	v_add_nc_u32_e32 v22, v22, v23
	ds_store_b32 v18, v22
.LBB202_398:
	s_or_b32 exec_lo, exec_lo, s5
	v_mov_b32_e32 v18, 0
	v_mov_b32_e32 v22, 0
	s_mov_b32 s0, exec_lo
	s_waitcnt lgkmcnt(0)
	s_barrier
	buffer_gl0_inv
	v_cmpx_lt_u32_e32 31, v0
	s_cbranch_execz .LBB202_400
; %bb.399:
	v_lshl_add_u32 v22, v43, 2, -4
	ds_load_b32 v22, v22
.LBB202_400:
	s_or_b32 exec_lo, exec_lo, s0
	v_add_nc_u32_e32 v23, -1, v42
	s_waitcnt lgkmcnt(0)
	v_add_nc_u32_e32 v17, v22, v17
	s_delay_alu instid0(VALU_DEP_2) | instskip(SKIP_1) | instid1(VALU_DEP_1)
	v_cmp_gt_i32_e32 vcc_lo, 0, v23
	v_cndmask_b32_e32 v23, v23, v42, vcc_lo
	v_lshlrev_b32_e32 v23, 2, v23
	ds_bpermute_b32 v23, v23, v17
	ds_load_b32 v17, v18 offset:60
	s_and_saveexec_b32 s0, s2
	s_cbranch_execz .LBB202_402
; %bb.401:
	v_mov_b32_e32 v24, 0
	v_mov_b32_e32 v18, 2
	s_waitcnt lgkmcnt(0)
	global_store_b64 v24, v[17:18], s[18:19] offset:256
.LBB202_402:
	s_or_b32 exec_lo, exec_lo, s0
	v_cmp_eq_u32_e32 vcc_lo, 0, v42
	s_waitcnt lgkmcnt(0)
	s_waitcnt_vscnt null, 0x0
	s_barrier
	buffer_gl0_inv
	v_cndmask_b32_e32 v18, v23, v22, vcc_lo
	s_delay_alu instid0(VALU_DEP_1) | instskip(NEXT) | instid1(VALU_DEP_1)
	v_cndmask_b32_e64 v37, v18, 0, s2
	v_dual_mov_b32 v18, 0 :: v_dual_add_nc_u32 v35, v37, v28
	s_delay_alu instid0(VALU_DEP_1) | instskip(NEXT) | instid1(VALU_DEP_1)
	v_add_nc_u32_e32 v33, v35, v30
	v_add_nc_u32_e32 v31, v33, v32
	s_delay_alu instid0(VALU_DEP_1) | instskip(NEXT) | instid1(VALU_DEP_1)
	v_add_nc_u32_e32 v29, v31, v34
	v_add_nc_u32_e32 v27, v29, v36
	;; [unrolled: 3-line block ×3, first 2 shown]
.LBB202_403:
	s_waitcnt lgkmcnt(0)
	v_cmp_gt_u32_e32 vcc_lo, 0x201, v17
	v_lshrrev_b32_e32 v43, 8, v19
	v_lshrrev_b32_e32 v42, 16, v19
	;; [unrolled: 1-line block ×4, first 2 shown]
	s_mov_b32 s0, -1
	s_cbranch_vccnz .LBB202_407
; %bb.404:
	s_and_b32 vcc_lo, exec_lo, s0
	s_cbranch_vccnz .LBB202_432
.LBB202_405:
	s_and_b32 s0, s2, s13
	s_delay_alu instid0(SALU_CYCLE_1)
	s_and_saveexec_b32 s1, s0
	s_cbranch_execnz .LBB202_452
.LBB202_406:
	s_nop 0
	s_sendmsg sendmsg(MSG_DEALLOC_VGPRS)
	s_endpgm
.LBB202_407:
	v_add_nc_u32_e32 v24, v18, v17
	s_delay_alu instid0(VALU_DEP_1) | instskip(SKIP_1) | instid1(SALU_CYCLE_1)
	v_cmp_lt_u32_e32 vcc_lo, v37, v24
	s_or_b32 s1, s22, vcc_lo
	s_and_saveexec_b32 s0, s1
	s_cbranch_execz .LBB202_410
; %bb.408:
	v_and_b32_e32 v26, 1, v19
	s_delay_alu instid0(VALU_DEP_1)
	v_cmp_eq_u32_e32 vcc_lo, 1, v26
	s_and_b32 exec_lo, exec_lo, vcc_lo
	s_cbranch_execz .LBB202_410
; %bb.409:
	v_mov_b32_e32 v38, 0
	s_lshl_b64 s[4:5], s[10:11], 3
	s_delay_alu instid0(SALU_CYCLE_1) | instskip(SKIP_1) | instid1(VALU_DEP_1)
	s_add_u32 s1, s20, s4
	s_addc_u32 s3, s21, s5
	v_lshlrev_b64 v[44:45], 3, v[37:38]
	s_delay_alu instid0(VALU_DEP_1) | instskip(NEXT) | instid1(VALU_DEP_2)
	v_add_co_u32 v44, vcc_lo, s1, v44
	v_add_co_ci_u32_e32 v45, vcc_lo, s3, v45, vcc_lo
	global_store_b64 v[44:45], v[13:14], off
.LBB202_410:
	s_or_b32 exec_lo, exec_lo, s0
	v_cmp_lt_u32_e32 vcc_lo, v35, v24
	s_or_b32 s1, s22, vcc_lo
	s_delay_alu instid0(SALU_CYCLE_1)
	s_and_saveexec_b32 s0, s1
	s_cbranch_execz .LBB202_413
; %bb.411:
	v_and_b32_e32 v26, 1, v43
	s_delay_alu instid0(VALU_DEP_1)
	v_cmp_eq_u32_e32 vcc_lo, 1, v26
	s_and_b32 exec_lo, exec_lo, vcc_lo
	s_cbranch_execz .LBB202_413
; %bb.412:
	v_mov_b32_e32 v36, 0
	s_lshl_b64 s[4:5], s[10:11], 3
	s_delay_alu instid0(SALU_CYCLE_1) | instskip(SKIP_1) | instid1(VALU_DEP_1)
	s_add_u32 s1, s20, s4
	s_addc_u32 s3, s21, s5
	v_lshlrev_b64 v[44:45], 3, v[35:36]
	s_delay_alu instid0(VALU_DEP_1) | instskip(NEXT) | instid1(VALU_DEP_2)
	v_add_co_u32 v44, vcc_lo, s1, v44
	v_add_co_ci_u32_e32 v45, vcc_lo, s3, v45, vcc_lo
	global_store_b64 v[44:45], v[15:16], off
.LBB202_413:
	s_or_b32 exec_lo, exec_lo, s0
	v_cmp_lt_u32_e32 vcc_lo, v33, v24
	s_or_b32 s1, s22, vcc_lo
	s_delay_alu instid0(SALU_CYCLE_1)
	s_and_saveexec_b32 s0, s1
	s_cbranch_execz .LBB202_416
; %bb.414:
	v_and_b32_e32 v26, 1, v42
	s_delay_alu instid0(VALU_DEP_1)
	v_cmp_eq_u32_e32 vcc_lo, 1, v26
	s_and_b32 exec_lo, exec_lo, vcc_lo
	s_cbranch_execz .LBB202_416
; %bb.415:
	v_mov_b32_e32 v34, 0
	s_lshl_b64 s[4:5], s[10:11], 3
	s_delay_alu instid0(SALU_CYCLE_1) | instskip(SKIP_1) | instid1(VALU_DEP_1)
	s_add_u32 s1, s20, s4
	s_addc_u32 s3, s21, s5
	v_lshlrev_b64 v[44:45], 3, v[33:34]
	s_delay_alu instid0(VALU_DEP_1) | instskip(NEXT) | instid1(VALU_DEP_2)
	v_add_co_u32 v44, vcc_lo, s1, v44
	v_add_co_ci_u32_e32 v45, vcc_lo, s3, v45, vcc_lo
	global_store_b64 v[44:45], v[9:10], off
.LBB202_416:
	s_or_b32 exec_lo, exec_lo, s0
	v_cmp_lt_u32_e32 vcc_lo, v31, v24
	s_or_b32 s1, s22, vcc_lo
	s_delay_alu instid0(SALU_CYCLE_1)
	s_and_saveexec_b32 s0, s1
	s_cbranch_execz .LBB202_419
; %bb.417:
	v_and_b32_e32 v26, 1, v21
	s_delay_alu instid0(VALU_DEP_1)
	v_cmp_eq_u32_e32 vcc_lo, 1, v26
	s_and_b32 exec_lo, exec_lo, vcc_lo
	s_cbranch_execz .LBB202_419
; %bb.418:
	v_mov_b32_e32 v32, 0
	s_lshl_b64 s[4:5], s[10:11], 3
	s_delay_alu instid0(SALU_CYCLE_1) | instskip(SKIP_1) | instid1(VALU_DEP_1)
	s_add_u32 s1, s20, s4
	s_addc_u32 s3, s21, s5
	v_lshlrev_b64 v[44:45], 3, v[31:32]
	s_delay_alu instid0(VALU_DEP_1) | instskip(NEXT) | instid1(VALU_DEP_2)
	v_add_co_u32 v44, vcc_lo, s1, v44
	v_add_co_ci_u32_e32 v45, vcc_lo, s3, v45, vcc_lo
	global_store_b64 v[44:45], v[11:12], off
.LBB202_419:
	s_or_b32 exec_lo, exec_lo, s0
	v_cmp_lt_u32_e32 vcc_lo, v29, v24
	s_or_b32 s1, s22, vcc_lo
	s_delay_alu instid0(SALU_CYCLE_1)
	s_and_saveexec_b32 s0, s1
	s_cbranch_execz .LBB202_422
; %bb.420:
	v_and_b32_e32 v26, 1, v20
	s_delay_alu instid0(VALU_DEP_1)
	v_cmp_eq_u32_e32 vcc_lo, 1, v26
	s_and_b32 exec_lo, exec_lo, vcc_lo
	s_cbranch_execz .LBB202_422
; %bb.421:
	v_mov_b32_e32 v30, 0
	s_lshl_b64 s[4:5], s[10:11], 3
	s_delay_alu instid0(SALU_CYCLE_1) | instskip(SKIP_1) | instid1(VALU_DEP_1)
	s_add_u32 s1, s20, s4
	s_addc_u32 s3, s21, s5
	v_lshlrev_b64 v[44:45], 3, v[29:30]
	s_delay_alu instid0(VALU_DEP_1) | instskip(NEXT) | instid1(VALU_DEP_2)
	v_add_co_u32 v44, vcc_lo, s1, v44
	v_add_co_ci_u32_e32 v45, vcc_lo, s3, v45, vcc_lo
	global_store_b64 v[44:45], v[5:6], off
.LBB202_422:
	s_or_b32 exec_lo, exec_lo, s0
	v_cmp_lt_u32_e32 vcc_lo, v27, v24
	s_or_b32 s1, s22, vcc_lo
	s_delay_alu instid0(SALU_CYCLE_1)
	s_and_saveexec_b32 s0, s1
	s_cbranch_execz .LBB202_425
; %bb.423:
	v_and_b32_e32 v26, 1, v41
	s_delay_alu instid0(VALU_DEP_1)
	v_cmp_eq_u32_e32 vcc_lo, 1, v26
	s_and_b32 exec_lo, exec_lo, vcc_lo
	s_cbranch_execz .LBB202_425
; %bb.424:
	v_mov_b32_e32 v28, 0
	s_lshl_b64 s[4:5], s[10:11], 3
	s_delay_alu instid0(SALU_CYCLE_1) | instskip(SKIP_1) | instid1(VALU_DEP_1)
	s_add_u32 s1, s20, s4
	s_addc_u32 s3, s21, s5
	v_lshlrev_b64 v[44:45], 3, v[27:28]
	s_delay_alu instid0(VALU_DEP_1) | instskip(NEXT) | instid1(VALU_DEP_2)
	v_add_co_u32 v44, vcc_lo, s1, v44
	v_add_co_ci_u32_e32 v45, vcc_lo, s3, v45, vcc_lo
	global_store_b64 v[44:45], v[7:8], off
.LBB202_425:
	s_or_b32 exec_lo, exec_lo, s0
	v_cmp_lt_u32_e32 vcc_lo, v25, v24
	s_or_b32 s1, s22, vcc_lo
	s_delay_alu instid0(SALU_CYCLE_1)
	s_and_saveexec_b32 s0, s1
	s_cbranch_execz .LBB202_428
; %bb.426:
	v_and_b32_e32 v26, 1, v22
	s_delay_alu instid0(VALU_DEP_1)
	v_cmp_eq_u32_e32 vcc_lo, 1, v26
	s_and_b32 exec_lo, exec_lo, vcc_lo
	s_cbranch_execz .LBB202_428
; %bb.427:
	v_mov_b32_e32 v26, 0
	s_lshl_b64 s[4:5], s[10:11], 3
	s_delay_alu instid0(SALU_CYCLE_1) | instskip(SKIP_1) | instid1(VALU_DEP_1)
	s_add_u32 s1, s20, s4
	s_addc_u32 s3, s21, s5
	v_lshlrev_b64 v[44:45], 3, v[25:26]
	s_delay_alu instid0(VALU_DEP_1) | instskip(NEXT) | instid1(VALU_DEP_2)
	v_add_co_u32 v44, vcc_lo, s1, v44
	v_add_co_ci_u32_e32 v45, vcc_lo, s3, v45, vcc_lo
	global_store_b64 v[44:45], v[1:2], off
.LBB202_428:
	s_or_b32 exec_lo, exec_lo, s0
	v_cmp_lt_u32_e32 vcc_lo, v23, v24
	s_or_b32 s1, s22, vcc_lo
	s_delay_alu instid0(SALU_CYCLE_1)
	s_and_saveexec_b32 s0, s1
	s_cbranch_execz .LBB202_431
; %bb.429:
	v_and_b32_e32 v24, 1, v40
	s_delay_alu instid0(VALU_DEP_1)
	v_cmp_eq_u32_e32 vcc_lo, 1, v24
	s_and_b32 exec_lo, exec_lo, vcc_lo
	s_cbranch_execz .LBB202_431
; %bb.430:
	v_mov_b32_e32 v24, 0
	s_lshl_b64 s[4:5], s[10:11], 3
	s_delay_alu instid0(SALU_CYCLE_1) | instskip(SKIP_1) | instid1(VALU_DEP_1)
	s_add_u32 s1, s20, s4
	s_addc_u32 s3, s21, s5
	v_lshlrev_b64 v[44:45], 3, v[23:24]
	s_delay_alu instid0(VALU_DEP_1) | instskip(NEXT) | instid1(VALU_DEP_2)
	v_add_co_u32 v44, vcc_lo, s1, v44
	v_add_co_ci_u32_e32 v45, vcc_lo, s3, v45, vcc_lo
	global_store_b64 v[44:45], v[3:4], off
.LBB202_431:
	s_or_b32 exec_lo, exec_lo, s0
	s_branch .LBB202_405
.LBB202_432:
	v_and_b32_e32 v19, 1, v19
	s_mov_b32 s0, exec_lo
	s_delay_alu instid0(VALU_DEP_1)
	v_cmpx_eq_u32_e32 1, v19
	s_cbranch_execz .LBB202_434
; %bb.433:
	v_sub_nc_u32_e32 v19, v37, v18
	s_delay_alu instid0(VALU_DEP_1)
	v_lshlrev_b32_e32 v19, 3, v19
	ds_store_b64 v19, v[13:14]
.LBB202_434:
	s_or_b32 exec_lo, exec_lo, s0
	v_and_b32_e32 v13, 1, v43
	s_mov_b32 s0, exec_lo
	s_delay_alu instid0(VALU_DEP_1)
	v_cmpx_eq_u32_e32 1, v13
	s_cbranch_execz .LBB202_436
; %bb.435:
	v_sub_nc_u32_e32 v13, v35, v18
	s_delay_alu instid0(VALU_DEP_1)
	v_lshlrev_b32_e32 v13, 3, v13
	ds_store_b64 v13, v[15:16]
.LBB202_436:
	s_or_b32 exec_lo, exec_lo, s0
	;; [unrolled: 12-line block ×8, first 2 shown]
	s_delay_alu instid0(SALU_CYCLE_1)
	s_mov_b32 s1, exec_lo
	s_waitcnt lgkmcnt(0)
	s_waitcnt_vscnt null, 0x0
	s_barrier
	buffer_gl0_inv
	v_cmpx_lt_u32_e64 v0, v17
	s_cbranch_execz .LBB202_451
; %bb.449:
	v_dual_mov_b32 v2, 0 :: v_dual_mov_b32 v1, v18
	s_lshl_b64 s[4:5], s[10:11], 3
	s_mov_b32 s3, 0
	s_delay_alu instid0(VALU_DEP_1) | instskip(NEXT) | instid1(VALU_DEP_1)
	v_lshlrev_b64 v[1:2], 3, v[1:2]
	v_add_co_u32 v1, vcc_lo, s4, v1
	s_delay_alu instid0(VALU_DEP_2) | instskip(NEXT) | instid1(VALU_DEP_2)
	v_add_co_ci_u32_e32 v2, vcc_lo, s5, v2, vcc_lo
	v_add_co_u32 v1, vcc_lo, s20, v1
	s_delay_alu instid0(VALU_DEP_2) | instskip(NEXT) | instid1(VALU_DEP_2)
	v_add_co_ci_u32_e32 v2, vcc_lo, s21, v2, vcc_lo
	v_add_co_u32 v1, vcc_lo, v1, v39
	s_delay_alu instid0(VALU_DEP_2)
	v_add_co_ci_u32_e32 v2, vcc_lo, 0, v2, vcc_lo
	.p2align	6
.LBB202_450:                            ; =>This Inner Loop Header: Depth=1
	ds_load_b64 v[3:4], v39
	v_add_nc_u32_e32 v0, 0x200, v0
	v_add_nc_u32_e32 v39, 0x1000, v39
	s_delay_alu instid0(VALU_DEP_2) | instskip(SKIP_4) | instid1(VALU_DEP_1)
	v_cmp_ge_u32_e32 vcc_lo, v0, v17
	s_or_b32 s3, vcc_lo, s3
	s_waitcnt lgkmcnt(0)
	global_store_b64 v[1:2], v[3:4], off
	v_add_co_u32 v1, s0, 0x1000, v1
	v_add_co_ci_u32_e64 v2, s0, 0, v2, s0
	s_and_not1_b32 exec_lo, exec_lo, s3
	s_cbranch_execnz .LBB202_450
.LBB202_451:
	s_or_b32 exec_lo, exec_lo, s1
	s_and_b32 s0, s2, s13
	s_delay_alu instid0(SALU_CYCLE_1)
	s_and_saveexec_b32 s1, s0
	s_cbranch_execz .LBB202_406
.LBB202_452:
	v_add_co_u32 v0, s0, s10, v17
	s_delay_alu instid0(VALU_DEP_1) | instskip(SKIP_1) | instid1(VALU_DEP_3)
	v_add_co_ci_u32_e64 v1, null, s11, 0, s0
	v_mov_b32_e32 v2, 0
	v_add_co_u32 v0, vcc_lo, v0, v18
	s_delay_alu instid0(VALU_DEP_3)
	v_add_co_ci_u32_e32 v1, vcc_lo, 0, v1, vcc_lo
	global_store_b64 v2, v[0:1], s[8:9]
	s_nop 0
	s_sendmsg sendmsg(MSG_DEALLOC_VGPRS)
	s_endpgm
	.section	.rodata,"a",@progbits
	.p2align	6, 0x0
	.amdhsa_kernel _ZN7rocprim17ROCPRIM_400000_NS6detail17trampoline_kernelINS0_14default_configENS1_25partition_config_selectorILNS1_17partition_subalgoE8ElNS0_10empty_typeEbEEZZNS1_14partition_implILS5_8ELb0ES3_jPlPS6_PKS6_NS0_5tupleIJS9_S6_EEENSD_IJSA_SA_EEENS0_18inequality_wrapperIZN2at6native12_GLOBAL__N_124unique_dim_cuda_templateIhEESt5tupleIJNSH_6TensorESM_SM_EERKSM_lbbbEUlllE0_EEPmJS6_EEE10hipError_tPvRmT3_T4_T5_T6_T7_T9_mT8_P12ihipStream_tbDpT10_ENKUlT_T0_E_clISt17integral_constantIbLb0EES1B_IbLb1EEEEDaS17_S18_EUlS17_E_NS1_11comp_targetILNS1_3genE9ELNS1_11target_archE1100ELNS1_3gpuE3ELNS1_3repE0EEENS1_30default_config_static_selectorELNS0_4arch9wavefront6targetE0EEEvT1_
		.amdhsa_group_segment_fixed_size 33804
		.amdhsa_private_segment_fixed_size 0
		.amdhsa_kernarg_size 136
		.amdhsa_user_sgpr_count 15
		.amdhsa_user_sgpr_dispatch_ptr 0
		.amdhsa_user_sgpr_queue_ptr 0
		.amdhsa_user_sgpr_kernarg_segment_ptr 1
		.amdhsa_user_sgpr_dispatch_id 0
		.amdhsa_user_sgpr_private_segment_size 0
		.amdhsa_wavefront_size32 1
		.amdhsa_uses_dynamic_stack 0
		.amdhsa_enable_private_segment 0
		.amdhsa_system_sgpr_workgroup_id_x 1
		.amdhsa_system_sgpr_workgroup_id_y 0
		.amdhsa_system_sgpr_workgroup_id_z 0
		.amdhsa_system_sgpr_workgroup_info 0
		.amdhsa_system_vgpr_workitem_id 0
		.amdhsa_next_free_vgpr 52
		.amdhsa_next_free_sgpr 38
		.amdhsa_reserve_vcc 1
		.amdhsa_float_round_mode_32 0
		.amdhsa_float_round_mode_16_64 0
		.amdhsa_float_denorm_mode_32 3
		.amdhsa_float_denorm_mode_16_64 3
		.amdhsa_dx10_clamp 1
		.amdhsa_ieee_mode 1
		.amdhsa_fp16_overflow 0
		.amdhsa_workgroup_processor_mode 1
		.amdhsa_memory_ordered 1
		.amdhsa_forward_progress 0
		.amdhsa_shared_vgpr_count 0
		.amdhsa_exception_fp_ieee_invalid_op 0
		.amdhsa_exception_fp_denorm_src 0
		.amdhsa_exception_fp_ieee_div_zero 0
		.amdhsa_exception_fp_ieee_overflow 0
		.amdhsa_exception_fp_ieee_underflow 0
		.amdhsa_exception_fp_ieee_inexact 0
		.amdhsa_exception_int_div_zero 0
	.end_amdhsa_kernel
	.section	.text._ZN7rocprim17ROCPRIM_400000_NS6detail17trampoline_kernelINS0_14default_configENS1_25partition_config_selectorILNS1_17partition_subalgoE8ElNS0_10empty_typeEbEEZZNS1_14partition_implILS5_8ELb0ES3_jPlPS6_PKS6_NS0_5tupleIJS9_S6_EEENSD_IJSA_SA_EEENS0_18inequality_wrapperIZN2at6native12_GLOBAL__N_124unique_dim_cuda_templateIhEESt5tupleIJNSH_6TensorESM_SM_EERKSM_lbbbEUlllE0_EEPmJS6_EEE10hipError_tPvRmT3_T4_T5_T6_T7_T9_mT8_P12ihipStream_tbDpT10_ENKUlT_T0_E_clISt17integral_constantIbLb0EES1B_IbLb1EEEEDaS17_S18_EUlS17_E_NS1_11comp_targetILNS1_3genE9ELNS1_11target_archE1100ELNS1_3gpuE3ELNS1_3repE0EEENS1_30default_config_static_selectorELNS0_4arch9wavefront6targetE0EEEvT1_,"axG",@progbits,_ZN7rocprim17ROCPRIM_400000_NS6detail17trampoline_kernelINS0_14default_configENS1_25partition_config_selectorILNS1_17partition_subalgoE8ElNS0_10empty_typeEbEEZZNS1_14partition_implILS5_8ELb0ES3_jPlPS6_PKS6_NS0_5tupleIJS9_S6_EEENSD_IJSA_SA_EEENS0_18inequality_wrapperIZN2at6native12_GLOBAL__N_124unique_dim_cuda_templateIhEESt5tupleIJNSH_6TensorESM_SM_EERKSM_lbbbEUlllE0_EEPmJS6_EEE10hipError_tPvRmT3_T4_T5_T6_T7_T9_mT8_P12ihipStream_tbDpT10_ENKUlT_T0_E_clISt17integral_constantIbLb0EES1B_IbLb1EEEEDaS17_S18_EUlS17_E_NS1_11comp_targetILNS1_3genE9ELNS1_11target_archE1100ELNS1_3gpuE3ELNS1_3repE0EEENS1_30default_config_static_selectorELNS0_4arch9wavefront6targetE0EEEvT1_,comdat
.Lfunc_end202:
	.size	_ZN7rocprim17ROCPRIM_400000_NS6detail17trampoline_kernelINS0_14default_configENS1_25partition_config_selectorILNS1_17partition_subalgoE8ElNS0_10empty_typeEbEEZZNS1_14partition_implILS5_8ELb0ES3_jPlPS6_PKS6_NS0_5tupleIJS9_S6_EEENSD_IJSA_SA_EEENS0_18inequality_wrapperIZN2at6native12_GLOBAL__N_124unique_dim_cuda_templateIhEESt5tupleIJNSH_6TensorESM_SM_EERKSM_lbbbEUlllE0_EEPmJS6_EEE10hipError_tPvRmT3_T4_T5_T6_T7_T9_mT8_P12ihipStream_tbDpT10_ENKUlT_T0_E_clISt17integral_constantIbLb0EES1B_IbLb1EEEEDaS17_S18_EUlS17_E_NS1_11comp_targetILNS1_3genE9ELNS1_11target_archE1100ELNS1_3gpuE3ELNS1_3repE0EEENS1_30default_config_static_selectorELNS0_4arch9wavefront6targetE0EEEvT1_, .Lfunc_end202-_ZN7rocprim17ROCPRIM_400000_NS6detail17trampoline_kernelINS0_14default_configENS1_25partition_config_selectorILNS1_17partition_subalgoE8ElNS0_10empty_typeEbEEZZNS1_14partition_implILS5_8ELb0ES3_jPlPS6_PKS6_NS0_5tupleIJS9_S6_EEENSD_IJSA_SA_EEENS0_18inequality_wrapperIZN2at6native12_GLOBAL__N_124unique_dim_cuda_templateIhEESt5tupleIJNSH_6TensorESM_SM_EERKSM_lbbbEUlllE0_EEPmJS6_EEE10hipError_tPvRmT3_T4_T5_T6_T7_T9_mT8_P12ihipStream_tbDpT10_ENKUlT_T0_E_clISt17integral_constantIbLb0EES1B_IbLb1EEEEDaS17_S18_EUlS17_E_NS1_11comp_targetILNS1_3genE9ELNS1_11target_archE1100ELNS1_3gpuE3ELNS1_3repE0EEENS1_30default_config_static_selectorELNS0_4arch9wavefront6targetE0EEEvT1_
                                        ; -- End function
	.section	.AMDGPU.csdata,"",@progbits
; Kernel info:
; codeLenInByte = 16344
; NumSgprs: 40
; NumVgprs: 52
; ScratchSize: 0
; MemoryBound: 0
; FloatMode: 240
; IeeeMode: 1
; LDSByteSize: 33804 bytes/workgroup (compile time only)
; SGPRBlocks: 4
; VGPRBlocks: 6
; NumSGPRsForWavesPerEU: 40
; NumVGPRsForWavesPerEU: 52
; Occupancy: 12
; WaveLimiterHint : 1
; COMPUTE_PGM_RSRC2:SCRATCH_EN: 0
; COMPUTE_PGM_RSRC2:USER_SGPR: 15
; COMPUTE_PGM_RSRC2:TRAP_HANDLER: 0
; COMPUTE_PGM_RSRC2:TGID_X_EN: 1
; COMPUTE_PGM_RSRC2:TGID_Y_EN: 0
; COMPUTE_PGM_RSRC2:TGID_Z_EN: 0
; COMPUTE_PGM_RSRC2:TIDIG_COMP_CNT: 0
	.section	.text._ZN7rocprim17ROCPRIM_400000_NS6detail17trampoline_kernelINS0_14default_configENS1_25partition_config_selectorILNS1_17partition_subalgoE8ElNS0_10empty_typeEbEEZZNS1_14partition_implILS5_8ELb0ES3_jPlPS6_PKS6_NS0_5tupleIJS9_S6_EEENSD_IJSA_SA_EEENS0_18inequality_wrapperIZN2at6native12_GLOBAL__N_124unique_dim_cuda_templateIhEESt5tupleIJNSH_6TensorESM_SM_EERKSM_lbbbEUlllE0_EEPmJS6_EEE10hipError_tPvRmT3_T4_T5_T6_T7_T9_mT8_P12ihipStream_tbDpT10_ENKUlT_T0_E_clISt17integral_constantIbLb0EES1B_IbLb1EEEEDaS17_S18_EUlS17_E_NS1_11comp_targetILNS1_3genE8ELNS1_11target_archE1030ELNS1_3gpuE2ELNS1_3repE0EEENS1_30default_config_static_selectorELNS0_4arch9wavefront6targetE0EEEvT1_,"axG",@progbits,_ZN7rocprim17ROCPRIM_400000_NS6detail17trampoline_kernelINS0_14default_configENS1_25partition_config_selectorILNS1_17partition_subalgoE8ElNS0_10empty_typeEbEEZZNS1_14partition_implILS5_8ELb0ES3_jPlPS6_PKS6_NS0_5tupleIJS9_S6_EEENSD_IJSA_SA_EEENS0_18inequality_wrapperIZN2at6native12_GLOBAL__N_124unique_dim_cuda_templateIhEESt5tupleIJNSH_6TensorESM_SM_EERKSM_lbbbEUlllE0_EEPmJS6_EEE10hipError_tPvRmT3_T4_T5_T6_T7_T9_mT8_P12ihipStream_tbDpT10_ENKUlT_T0_E_clISt17integral_constantIbLb0EES1B_IbLb1EEEEDaS17_S18_EUlS17_E_NS1_11comp_targetILNS1_3genE8ELNS1_11target_archE1030ELNS1_3gpuE2ELNS1_3repE0EEENS1_30default_config_static_selectorELNS0_4arch9wavefront6targetE0EEEvT1_,comdat
	.globl	_ZN7rocprim17ROCPRIM_400000_NS6detail17trampoline_kernelINS0_14default_configENS1_25partition_config_selectorILNS1_17partition_subalgoE8ElNS0_10empty_typeEbEEZZNS1_14partition_implILS5_8ELb0ES3_jPlPS6_PKS6_NS0_5tupleIJS9_S6_EEENSD_IJSA_SA_EEENS0_18inequality_wrapperIZN2at6native12_GLOBAL__N_124unique_dim_cuda_templateIhEESt5tupleIJNSH_6TensorESM_SM_EERKSM_lbbbEUlllE0_EEPmJS6_EEE10hipError_tPvRmT3_T4_T5_T6_T7_T9_mT8_P12ihipStream_tbDpT10_ENKUlT_T0_E_clISt17integral_constantIbLb0EES1B_IbLb1EEEEDaS17_S18_EUlS17_E_NS1_11comp_targetILNS1_3genE8ELNS1_11target_archE1030ELNS1_3gpuE2ELNS1_3repE0EEENS1_30default_config_static_selectorELNS0_4arch9wavefront6targetE0EEEvT1_ ; -- Begin function _ZN7rocprim17ROCPRIM_400000_NS6detail17trampoline_kernelINS0_14default_configENS1_25partition_config_selectorILNS1_17partition_subalgoE8ElNS0_10empty_typeEbEEZZNS1_14partition_implILS5_8ELb0ES3_jPlPS6_PKS6_NS0_5tupleIJS9_S6_EEENSD_IJSA_SA_EEENS0_18inequality_wrapperIZN2at6native12_GLOBAL__N_124unique_dim_cuda_templateIhEESt5tupleIJNSH_6TensorESM_SM_EERKSM_lbbbEUlllE0_EEPmJS6_EEE10hipError_tPvRmT3_T4_T5_T6_T7_T9_mT8_P12ihipStream_tbDpT10_ENKUlT_T0_E_clISt17integral_constantIbLb0EES1B_IbLb1EEEEDaS17_S18_EUlS17_E_NS1_11comp_targetILNS1_3genE8ELNS1_11target_archE1030ELNS1_3gpuE2ELNS1_3repE0EEENS1_30default_config_static_selectorELNS0_4arch9wavefront6targetE0EEEvT1_
	.p2align	8
	.type	_ZN7rocprim17ROCPRIM_400000_NS6detail17trampoline_kernelINS0_14default_configENS1_25partition_config_selectorILNS1_17partition_subalgoE8ElNS0_10empty_typeEbEEZZNS1_14partition_implILS5_8ELb0ES3_jPlPS6_PKS6_NS0_5tupleIJS9_S6_EEENSD_IJSA_SA_EEENS0_18inequality_wrapperIZN2at6native12_GLOBAL__N_124unique_dim_cuda_templateIhEESt5tupleIJNSH_6TensorESM_SM_EERKSM_lbbbEUlllE0_EEPmJS6_EEE10hipError_tPvRmT3_T4_T5_T6_T7_T9_mT8_P12ihipStream_tbDpT10_ENKUlT_T0_E_clISt17integral_constantIbLb0EES1B_IbLb1EEEEDaS17_S18_EUlS17_E_NS1_11comp_targetILNS1_3genE8ELNS1_11target_archE1030ELNS1_3gpuE2ELNS1_3repE0EEENS1_30default_config_static_selectorELNS0_4arch9wavefront6targetE0EEEvT1_,@function
_ZN7rocprim17ROCPRIM_400000_NS6detail17trampoline_kernelINS0_14default_configENS1_25partition_config_selectorILNS1_17partition_subalgoE8ElNS0_10empty_typeEbEEZZNS1_14partition_implILS5_8ELb0ES3_jPlPS6_PKS6_NS0_5tupleIJS9_S6_EEENSD_IJSA_SA_EEENS0_18inequality_wrapperIZN2at6native12_GLOBAL__N_124unique_dim_cuda_templateIhEESt5tupleIJNSH_6TensorESM_SM_EERKSM_lbbbEUlllE0_EEPmJS6_EEE10hipError_tPvRmT3_T4_T5_T6_T7_T9_mT8_P12ihipStream_tbDpT10_ENKUlT_T0_E_clISt17integral_constantIbLb0EES1B_IbLb1EEEEDaS17_S18_EUlS17_E_NS1_11comp_targetILNS1_3genE8ELNS1_11target_archE1030ELNS1_3gpuE2ELNS1_3repE0EEENS1_30default_config_static_selectorELNS0_4arch9wavefront6targetE0EEEvT1_: ; @_ZN7rocprim17ROCPRIM_400000_NS6detail17trampoline_kernelINS0_14default_configENS1_25partition_config_selectorILNS1_17partition_subalgoE8ElNS0_10empty_typeEbEEZZNS1_14partition_implILS5_8ELb0ES3_jPlPS6_PKS6_NS0_5tupleIJS9_S6_EEENSD_IJSA_SA_EEENS0_18inequality_wrapperIZN2at6native12_GLOBAL__N_124unique_dim_cuda_templateIhEESt5tupleIJNSH_6TensorESM_SM_EERKSM_lbbbEUlllE0_EEPmJS6_EEE10hipError_tPvRmT3_T4_T5_T6_T7_T9_mT8_P12ihipStream_tbDpT10_ENKUlT_T0_E_clISt17integral_constantIbLb0EES1B_IbLb1EEEEDaS17_S18_EUlS17_E_NS1_11comp_targetILNS1_3genE8ELNS1_11target_archE1030ELNS1_3gpuE2ELNS1_3repE0EEENS1_30default_config_static_selectorELNS0_4arch9wavefront6targetE0EEEvT1_
; %bb.0:
	.section	.rodata,"a",@progbits
	.p2align	6, 0x0
	.amdhsa_kernel _ZN7rocprim17ROCPRIM_400000_NS6detail17trampoline_kernelINS0_14default_configENS1_25partition_config_selectorILNS1_17partition_subalgoE8ElNS0_10empty_typeEbEEZZNS1_14partition_implILS5_8ELb0ES3_jPlPS6_PKS6_NS0_5tupleIJS9_S6_EEENSD_IJSA_SA_EEENS0_18inequality_wrapperIZN2at6native12_GLOBAL__N_124unique_dim_cuda_templateIhEESt5tupleIJNSH_6TensorESM_SM_EERKSM_lbbbEUlllE0_EEPmJS6_EEE10hipError_tPvRmT3_T4_T5_T6_T7_T9_mT8_P12ihipStream_tbDpT10_ENKUlT_T0_E_clISt17integral_constantIbLb0EES1B_IbLb1EEEEDaS17_S18_EUlS17_E_NS1_11comp_targetILNS1_3genE8ELNS1_11target_archE1030ELNS1_3gpuE2ELNS1_3repE0EEENS1_30default_config_static_selectorELNS0_4arch9wavefront6targetE0EEEvT1_
		.amdhsa_group_segment_fixed_size 0
		.amdhsa_private_segment_fixed_size 0
		.amdhsa_kernarg_size 136
		.amdhsa_user_sgpr_count 15
		.amdhsa_user_sgpr_dispatch_ptr 0
		.amdhsa_user_sgpr_queue_ptr 0
		.amdhsa_user_sgpr_kernarg_segment_ptr 1
		.amdhsa_user_sgpr_dispatch_id 0
		.amdhsa_user_sgpr_private_segment_size 0
		.amdhsa_wavefront_size32 1
		.amdhsa_uses_dynamic_stack 0
		.amdhsa_enable_private_segment 0
		.amdhsa_system_sgpr_workgroup_id_x 1
		.amdhsa_system_sgpr_workgroup_id_y 0
		.amdhsa_system_sgpr_workgroup_id_z 0
		.amdhsa_system_sgpr_workgroup_info 0
		.amdhsa_system_vgpr_workitem_id 0
		.amdhsa_next_free_vgpr 1
		.amdhsa_next_free_sgpr 1
		.amdhsa_reserve_vcc 0
		.amdhsa_float_round_mode_32 0
		.amdhsa_float_round_mode_16_64 0
		.amdhsa_float_denorm_mode_32 3
		.amdhsa_float_denorm_mode_16_64 3
		.amdhsa_dx10_clamp 1
		.amdhsa_ieee_mode 1
		.amdhsa_fp16_overflow 0
		.amdhsa_workgroup_processor_mode 1
		.amdhsa_memory_ordered 1
		.amdhsa_forward_progress 0
		.amdhsa_shared_vgpr_count 0
		.amdhsa_exception_fp_ieee_invalid_op 0
		.amdhsa_exception_fp_denorm_src 0
		.amdhsa_exception_fp_ieee_div_zero 0
		.amdhsa_exception_fp_ieee_overflow 0
		.amdhsa_exception_fp_ieee_underflow 0
		.amdhsa_exception_fp_ieee_inexact 0
		.amdhsa_exception_int_div_zero 0
	.end_amdhsa_kernel
	.section	.text._ZN7rocprim17ROCPRIM_400000_NS6detail17trampoline_kernelINS0_14default_configENS1_25partition_config_selectorILNS1_17partition_subalgoE8ElNS0_10empty_typeEbEEZZNS1_14partition_implILS5_8ELb0ES3_jPlPS6_PKS6_NS0_5tupleIJS9_S6_EEENSD_IJSA_SA_EEENS0_18inequality_wrapperIZN2at6native12_GLOBAL__N_124unique_dim_cuda_templateIhEESt5tupleIJNSH_6TensorESM_SM_EERKSM_lbbbEUlllE0_EEPmJS6_EEE10hipError_tPvRmT3_T4_T5_T6_T7_T9_mT8_P12ihipStream_tbDpT10_ENKUlT_T0_E_clISt17integral_constantIbLb0EES1B_IbLb1EEEEDaS17_S18_EUlS17_E_NS1_11comp_targetILNS1_3genE8ELNS1_11target_archE1030ELNS1_3gpuE2ELNS1_3repE0EEENS1_30default_config_static_selectorELNS0_4arch9wavefront6targetE0EEEvT1_,"axG",@progbits,_ZN7rocprim17ROCPRIM_400000_NS6detail17trampoline_kernelINS0_14default_configENS1_25partition_config_selectorILNS1_17partition_subalgoE8ElNS0_10empty_typeEbEEZZNS1_14partition_implILS5_8ELb0ES3_jPlPS6_PKS6_NS0_5tupleIJS9_S6_EEENSD_IJSA_SA_EEENS0_18inequality_wrapperIZN2at6native12_GLOBAL__N_124unique_dim_cuda_templateIhEESt5tupleIJNSH_6TensorESM_SM_EERKSM_lbbbEUlllE0_EEPmJS6_EEE10hipError_tPvRmT3_T4_T5_T6_T7_T9_mT8_P12ihipStream_tbDpT10_ENKUlT_T0_E_clISt17integral_constantIbLb0EES1B_IbLb1EEEEDaS17_S18_EUlS17_E_NS1_11comp_targetILNS1_3genE8ELNS1_11target_archE1030ELNS1_3gpuE2ELNS1_3repE0EEENS1_30default_config_static_selectorELNS0_4arch9wavefront6targetE0EEEvT1_,comdat
.Lfunc_end203:
	.size	_ZN7rocprim17ROCPRIM_400000_NS6detail17trampoline_kernelINS0_14default_configENS1_25partition_config_selectorILNS1_17partition_subalgoE8ElNS0_10empty_typeEbEEZZNS1_14partition_implILS5_8ELb0ES3_jPlPS6_PKS6_NS0_5tupleIJS9_S6_EEENSD_IJSA_SA_EEENS0_18inequality_wrapperIZN2at6native12_GLOBAL__N_124unique_dim_cuda_templateIhEESt5tupleIJNSH_6TensorESM_SM_EERKSM_lbbbEUlllE0_EEPmJS6_EEE10hipError_tPvRmT3_T4_T5_T6_T7_T9_mT8_P12ihipStream_tbDpT10_ENKUlT_T0_E_clISt17integral_constantIbLb0EES1B_IbLb1EEEEDaS17_S18_EUlS17_E_NS1_11comp_targetILNS1_3genE8ELNS1_11target_archE1030ELNS1_3gpuE2ELNS1_3repE0EEENS1_30default_config_static_selectorELNS0_4arch9wavefront6targetE0EEEvT1_, .Lfunc_end203-_ZN7rocprim17ROCPRIM_400000_NS6detail17trampoline_kernelINS0_14default_configENS1_25partition_config_selectorILNS1_17partition_subalgoE8ElNS0_10empty_typeEbEEZZNS1_14partition_implILS5_8ELb0ES3_jPlPS6_PKS6_NS0_5tupleIJS9_S6_EEENSD_IJSA_SA_EEENS0_18inequality_wrapperIZN2at6native12_GLOBAL__N_124unique_dim_cuda_templateIhEESt5tupleIJNSH_6TensorESM_SM_EERKSM_lbbbEUlllE0_EEPmJS6_EEE10hipError_tPvRmT3_T4_T5_T6_T7_T9_mT8_P12ihipStream_tbDpT10_ENKUlT_T0_E_clISt17integral_constantIbLb0EES1B_IbLb1EEEEDaS17_S18_EUlS17_E_NS1_11comp_targetILNS1_3genE8ELNS1_11target_archE1030ELNS1_3gpuE2ELNS1_3repE0EEENS1_30default_config_static_selectorELNS0_4arch9wavefront6targetE0EEEvT1_
                                        ; -- End function
	.section	.AMDGPU.csdata,"",@progbits
; Kernel info:
; codeLenInByte = 0
; NumSgprs: 0
; NumVgprs: 0
; ScratchSize: 0
; MemoryBound: 0
; FloatMode: 240
; IeeeMode: 1
; LDSByteSize: 0 bytes/workgroup (compile time only)
; SGPRBlocks: 0
; VGPRBlocks: 0
; NumSGPRsForWavesPerEU: 1
; NumVGPRsForWavesPerEU: 1
; Occupancy: 16
; WaveLimiterHint : 0
; COMPUTE_PGM_RSRC2:SCRATCH_EN: 0
; COMPUTE_PGM_RSRC2:USER_SGPR: 15
; COMPUTE_PGM_RSRC2:TRAP_HANDLER: 0
; COMPUTE_PGM_RSRC2:TGID_X_EN: 1
; COMPUTE_PGM_RSRC2:TGID_Y_EN: 0
; COMPUTE_PGM_RSRC2:TGID_Z_EN: 0
; COMPUTE_PGM_RSRC2:TIDIG_COMP_CNT: 0
	.section	.text._ZN7rocprim17ROCPRIM_400000_NS6detail17trampoline_kernelINS0_14default_configENS1_25partition_config_selectorILNS1_17partition_subalgoE9EllbEEZZNS1_14partition_implILS5_9ELb0ES3_jPlS8_PNS0_10empty_typeENS0_5tupleIJS8_S9_EEENSB_IJS8_SA_EEENS0_18inequality_wrapperIZN2at6native12_GLOBAL__N_124unique_dim_cuda_templateIhEESt5tupleIJNSF_6TensorESK_SK_EERKSK_lbbbEUlllE0_EEPmJS9_EEE10hipError_tPvRmT3_T4_T5_T6_T7_T9_mT8_P12ihipStream_tbDpT10_ENKUlT_T0_E_clISt17integral_constantIbLb0EES1A_EEDaS15_S16_EUlS15_E_NS1_11comp_targetILNS1_3genE0ELNS1_11target_archE4294967295ELNS1_3gpuE0ELNS1_3repE0EEENS1_30default_config_static_selectorELNS0_4arch9wavefront6targetE0EEEvT1_,"axG",@progbits,_ZN7rocprim17ROCPRIM_400000_NS6detail17trampoline_kernelINS0_14default_configENS1_25partition_config_selectorILNS1_17partition_subalgoE9EllbEEZZNS1_14partition_implILS5_9ELb0ES3_jPlS8_PNS0_10empty_typeENS0_5tupleIJS8_S9_EEENSB_IJS8_SA_EEENS0_18inequality_wrapperIZN2at6native12_GLOBAL__N_124unique_dim_cuda_templateIhEESt5tupleIJNSF_6TensorESK_SK_EERKSK_lbbbEUlllE0_EEPmJS9_EEE10hipError_tPvRmT3_T4_T5_T6_T7_T9_mT8_P12ihipStream_tbDpT10_ENKUlT_T0_E_clISt17integral_constantIbLb0EES1A_EEDaS15_S16_EUlS15_E_NS1_11comp_targetILNS1_3genE0ELNS1_11target_archE4294967295ELNS1_3gpuE0ELNS1_3repE0EEENS1_30default_config_static_selectorELNS0_4arch9wavefront6targetE0EEEvT1_,comdat
	.globl	_ZN7rocprim17ROCPRIM_400000_NS6detail17trampoline_kernelINS0_14default_configENS1_25partition_config_selectorILNS1_17partition_subalgoE9EllbEEZZNS1_14partition_implILS5_9ELb0ES3_jPlS8_PNS0_10empty_typeENS0_5tupleIJS8_S9_EEENSB_IJS8_SA_EEENS0_18inequality_wrapperIZN2at6native12_GLOBAL__N_124unique_dim_cuda_templateIhEESt5tupleIJNSF_6TensorESK_SK_EERKSK_lbbbEUlllE0_EEPmJS9_EEE10hipError_tPvRmT3_T4_T5_T6_T7_T9_mT8_P12ihipStream_tbDpT10_ENKUlT_T0_E_clISt17integral_constantIbLb0EES1A_EEDaS15_S16_EUlS15_E_NS1_11comp_targetILNS1_3genE0ELNS1_11target_archE4294967295ELNS1_3gpuE0ELNS1_3repE0EEENS1_30default_config_static_selectorELNS0_4arch9wavefront6targetE0EEEvT1_ ; -- Begin function _ZN7rocprim17ROCPRIM_400000_NS6detail17trampoline_kernelINS0_14default_configENS1_25partition_config_selectorILNS1_17partition_subalgoE9EllbEEZZNS1_14partition_implILS5_9ELb0ES3_jPlS8_PNS0_10empty_typeENS0_5tupleIJS8_S9_EEENSB_IJS8_SA_EEENS0_18inequality_wrapperIZN2at6native12_GLOBAL__N_124unique_dim_cuda_templateIhEESt5tupleIJNSF_6TensorESK_SK_EERKSK_lbbbEUlllE0_EEPmJS9_EEE10hipError_tPvRmT3_T4_T5_T6_T7_T9_mT8_P12ihipStream_tbDpT10_ENKUlT_T0_E_clISt17integral_constantIbLb0EES1A_EEDaS15_S16_EUlS15_E_NS1_11comp_targetILNS1_3genE0ELNS1_11target_archE4294967295ELNS1_3gpuE0ELNS1_3repE0EEENS1_30default_config_static_selectorELNS0_4arch9wavefront6targetE0EEEvT1_
	.p2align	8
	.type	_ZN7rocprim17ROCPRIM_400000_NS6detail17trampoline_kernelINS0_14default_configENS1_25partition_config_selectorILNS1_17partition_subalgoE9EllbEEZZNS1_14partition_implILS5_9ELb0ES3_jPlS8_PNS0_10empty_typeENS0_5tupleIJS8_S9_EEENSB_IJS8_SA_EEENS0_18inequality_wrapperIZN2at6native12_GLOBAL__N_124unique_dim_cuda_templateIhEESt5tupleIJNSF_6TensorESK_SK_EERKSK_lbbbEUlllE0_EEPmJS9_EEE10hipError_tPvRmT3_T4_T5_T6_T7_T9_mT8_P12ihipStream_tbDpT10_ENKUlT_T0_E_clISt17integral_constantIbLb0EES1A_EEDaS15_S16_EUlS15_E_NS1_11comp_targetILNS1_3genE0ELNS1_11target_archE4294967295ELNS1_3gpuE0ELNS1_3repE0EEENS1_30default_config_static_selectorELNS0_4arch9wavefront6targetE0EEEvT1_,@function
_ZN7rocprim17ROCPRIM_400000_NS6detail17trampoline_kernelINS0_14default_configENS1_25partition_config_selectorILNS1_17partition_subalgoE9EllbEEZZNS1_14partition_implILS5_9ELb0ES3_jPlS8_PNS0_10empty_typeENS0_5tupleIJS8_S9_EEENSB_IJS8_SA_EEENS0_18inequality_wrapperIZN2at6native12_GLOBAL__N_124unique_dim_cuda_templateIhEESt5tupleIJNSF_6TensorESK_SK_EERKSK_lbbbEUlllE0_EEPmJS9_EEE10hipError_tPvRmT3_T4_T5_T6_T7_T9_mT8_P12ihipStream_tbDpT10_ENKUlT_T0_E_clISt17integral_constantIbLb0EES1A_EEDaS15_S16_EUlS15_E_NS1_11comp_targetILNS1_3genE0ELNS1_11target_archE4294967295ELNS1_3gpuE0ELNS1_3repE0EEENS1_30default_config_static_selectorELNS0_4arch9wavefront6targetE0EEEvT1_: ; @_ZN7rocprim17ROCPRIM_400000_NS6detail17trampoline_kernelINS0_14default_configENS1_25partition_config_selectorILNS1_17partition_subalgoE9EllbEEZZNS1_14partition_implILS5_9ELb0ES3_jPlS8_PNS0_10empty_typeENS0_5tupleIJS8_S9_EEENSB_IJS8_SA_EEENS0_18inequality_wrapperIZN2at6native12_GLOBAL__N_124unique_dim_cuda_templateIhEESt5tupleIJNSF_6TensorESK_SK_EERKSK_lbbbEUlllE0_EEPmJS9_EEE10hipError_tPvRmT3_T4_T5_T6_T7_T9_mT8_P12ihipStream_tbDpT10_ENKUlT_T0_E_clISt17integral_constantIbLb0EES1A_EEDaS15_S16_EUlS15_E_NS1_11comp_targetILNS1_3genE0ELNS1_11target_archE4294967295ELNS1_3gpuE0ELNS1_3repE0EEENS1_30default_config_static_selectorELNS0_4arch9wavefront6targetE0EEEvT1_
; %bb.0:
	.section	.rodata,"a",@progbits
	.p2align	6, 0x0
	.amdhsa_kernel _ZN7rocprim17ROCPRIM_400000_NS6detail17trampoline_kernelINS0_14default_configENS1_25partition_config_selectorILNS1_17partition_subalgoE9EllbEEZZNS1_14partition_implILS5_9ELb0ES3_jPlS8_PNS0_10empty_typeENS0_5tupleIJS8_S9_EEENSB_IJS8_SA_EEENS0_18inequality_wrapperIZN2at6native12_GLOBAL__N_124unique_dim_cuda_templateIhEESt5tupleIJNSF_6TensorESK_SK_EERKSK_lbbbEUlllE0_EEPmJS9_EEE10hipError_tPvRmT3_T4_T5_T6_T7_T9_mT8_P12ihipStream_tbDpT10_ENKUlT_T0_E_clISt17integral_constantIbLb0EES1A_EEDaS15_S16_EUlS15_E_NS1_11comp_targetILNS1_3genE0ELNS1_11target_archE4294967295ELNS1_3gpuE0ELNS1_3repE0EEENS1_30default_config_static_selectorELNS0_4arch9wavefront6targetE0EEEvT1_
		.amdhsa_group_segment_fixed_size 0
		.amdhsa_private_segment_fixed_size 0
		.amdhsa_kernarg_size 120
		.amdhsa_user_sgpr_count 15
		.amdhsa_user_sgpr_dispatch_ptr 0
		.amdhsa_user_sgpr_queue_ptr 0
		.amdhsa_user_sgpr_kernarg_segment_ptr 1
		.amdhsa_user_sgpr_dispatch_id 0
		.amdhsa_user_sgpr_private_segment_size 0
		.amdhsa_wavefront_size32 1
		.amdhsa_uses_dynamic_stack 0
		.amdhsa_enable_private_segment 0
		.amdhsa_system_sgpr_workgroup_id_x 1
		.amdhsa_system_sgpr_workgroup_id_y 0
		.amdhsa_system_sgpr_workgroup_id_z 0
		.amdhsa_system_sgpr_workgroup_info 0
		.amdhsa_system_vgpr_workitem_id 0
		.amdhsa_next_free_vgpr 1
		.amdhsa_next_free_sgpr 1
		.amdhsa_reserve_vcc 0
		.amdhsa_float_round_mode_32 0
		.amdhsa_float_round_mode_16_64 0
		.amdhsa_float_denorm_mode_32 3
		.amdhsa_float_denorm_mode_16_64 3
		.amdhsa_dx10_clamp 1
		.amdhsa_ieee_mode 1
		.amdhsa_fp16_overflow 0
		.amdhsa_workgroup_processor_mode 1
		.amdhsa_memory_ordered 1
		.amdhsa_forward_progress 0
		.amdhsa_shared_vgpr_count 0
		.amdhsa_exception_fp_ieee_invalid_op 0
		.amdhsa_exception_fp_denorm_src 0
		.amdhsa_exception_fp_ieee_div_zero 0
		.amdhsa_exception_fp_ieee_overflow 0
		.amdhsa_exception_fp_ieee_underflow 0
		.amdhsa_exception_fp_ieee_inexact 0
		.amdhsa_exception_int_div_zero 0
	.end_amdhsa_kernel
	.section	.text._ZN7rocprim17ROCPRIM_400000_NS6detail17trampoline_kernelINS0_14default_configENS1_25partition_config_selectorILNS1_17partition_subalgoE9EllbEEZZNS1_14partition_implILS5_9ELb0ES3_jPlS8_PNS0_10empty_typeENS0_5tupleIJS8_S9_EEENSB_IJS8_SA_EEENS0_18inequality_wrapperIZN2at6native12_GLOBAL__N_124unique_dim_cuda_templateIhEESt5tupleIJNSF_6TensorESK_SK_EERKSK_lbbbEUlllE0_EEPmJS9_EEE10hipError_tPvRmT3_T4_T5_T6_T7_T9_mT8_P12ihipStream_tbDpT10_ENKUlT_T0_E_clISt17integral_constantIbLb0EES1A_EEDaS15_S16_EUlS15_E_NS1_11comp_targetILNS1_3genE0ELNS1_11target_archE4294967295ELNS1_3gpuE0ELNS1_3repE0EEENS1_30default_config_static_selectorELNS0_4arch9wavefront6targetE0EEEvT1_,"axG",@progbits,_ZN7rocprim17ROCPRIM_400000_NS6detail17trampoline_kernelINS0_14default_configENS1_25partition_config_selectorILNS1_17partition_subalgoE9EllbEEZZNS1_14partition_implILS5_9ELb0ES3_jPlS8_PNS0_10empty_typeENS0_5tupleIJS8_S9_EEENSB_IJS8_SA_EEENS0_18inequality_wrapperIZN2at6native12_GLOBAL__N_124unique_dim_cuda_templateIhEESt5tupleIJNSF_6TensorESK_SK_EERKSK_lbbbEUlllE0_EEPmJS9_EEE10hipError_tPvRmT3_T4_T5_T6_T7_T9_mT8_P12ihipStream_tbDpT10_ENKUlT_T0_E_clISt17integral_constantIbLb0EES1A_EEDaS15_S16_EUlS15_E_NS1_11comp_targetILNS1_3genE0ELNS1_11target_archE4294967295ELNS1_3gpuE0ELNS1_3repE0EEENS1_30default_config_static_selectorELNS0_4arch9wavefront6targetE0EEEvT1_,comdat
.Lfunc_end204:
	.size	_ZN7rocprim17ROCPRIM_400000_NS6detail17trampoline_kernelINS0_14default_configENS1_25partition_config_selectorILNS1_17partition_subalgoE9EllbEEZZNS1_14partition_implILS5_9ELb0ES3_jPlS8_PNS0_10empty_typeENS0_5tupleIJS8_S9_EEENSB_IJS8_SA_EEENS0_18inequality_wrapperIZN2at6native12_GLOBAL__N_124unique_dim_cuda_templateIhEESt5tupleIJNSF_6TensorESK_SK_EERKSK_lbbbEUlllE0_EEPmJS9_EEE10hipError_tPvRmT3_T4_T5_T6_T7_T9_mT8_P12ihipStream_tbDpT10_ENKUlT_T0_E_clISt17integral_constantIbLb0EES1A_EEDaS15_S16_EUlS15_E_NS1_11comp_targetILNS1_3genE0ELNS1_11target_archE4294967295ELNS1_3gpuE0ELNS1_3repE0EEENS1_30default_config_static_selectorELNS0_4arch9wavefront6targetE0EEEvT1_, .Lfunc_end204-_ZN7rocprim17ROCPRIM_400000_NS6detail17trampoline_kernelINS0_14default_configENS1_25partition_config_selectorILNS1_17partition_subalgoE9EllbEEZZNS1_14partition_implILS5_9ELb0ES3_jPlS8_PNS0_10empty_typeENS0_5tupleIJS8_S9_EEENSB_IJS8_SA_EEENS0_18inequality_wrapperIZN2at6native12_GLOBAL__N_124unique_dim_cuda_templateIhEESt5tupleIJNSF_6TensorESK_SK_EERKSK_lbbbEUlllE0_EEPmJS9_EEE10hipError_tPvRmT3_T4_T5_T6_T7_T9_mT8_P12ihipStream_tbDpT10_ENKUlT_T0_E_clISt17integral_constantIbLb0EES1A_EEDaS15_S16_EUlS15_E_NS1_11comp_targetILNS1_3genE0ELNS1_11target_archE4294967295ELNS1_3gpuE0ELNS1_3repE0EEENS1_30default_config_static_selectorELNS0_4arch9wavefront6targetE0EEEvT1_
                                        ; -- End function
	.section	.AMDGPU.csdata,"",@progbits
; Kernel info:
; codeLenInByte = 0
; NumSgprs: 0
; NumVgprs: 0
; ScratchSize: 0
; MemoryBound: 0
; FloatMode: 240
; IeeeMode: 1
; LDSByteSize: 0 bytes/workgroup (compile time only)
; SGPRBlocks: 0
; VGPRBlocks: 0
; NumSGPRsForWavesPerEU: 1
; NumVGPRsForWavesPerEU: 1
; Occupancy: 16
; WaveLimiterHint : 0
; COMPUTE_PGM_RSRC2:SCRATCH_EN: 0
; COMPUTE_PGM_RSRC2:USER_SGPR: 15
; COMPUTE_PGM_RSRC2:TRAP_HANDLER: 0
; COMPUTE_PGM_RSRC2:TGID_X_EN: 1
; COMPUTE_PGM_RSRC2:TGID_Y_EN: 0
; COMPUTE_PGM_RSRC2:TGID_Z_EN: 0
; COMPUTE_PGM_RSRC2:TIDIG_COMP_CNT: 0
	.section	.text._ZN7rocprim17ROCPRIM_400000_NS6detail17trampoline_kernelINS0_14default_configENS1_25partition_config_selectorILNS1_17partition_subalgoE9EllbEEZZNS1_14partition_implILS5_9ELb0ES3_jPlS8_PNS0_10empty_typeENS0_5tupleIJS8_S9_EEENSB_IJS8_SA_EEENS0_18inequality_wrapperIZN2at6native12_GLOBAL__N_124unique_dim_cuda_templateIhEESt5tupleIJNSF_6TensorESK_SK_EERKSK_lbbbEUlllE0_EEPmJS9_EEE10hipError_tPvRmT3_T4_T5_T6_T7_T9_mT8_P12ihipStream_tbDpT10_ENKUlT_T0_E_clISt17integral_constantIbLb0EES1A_EEDaS15_S16_EUlS15_E_NS1_11comp_targetILNS1_3genE5ELNS1_11target_archE942ELNS1_3gpuE9ELNS1_3repE0EEENS1_30default_config_static_selectorELNS0_4arch9wavefront6targetE0EEEvT1_,"axG",@progbits,_ZN7rocprim17ROCPRIM_400000_NS6detail17trampoline_kernelINS0_14default_configENS1_25partition_config_selectorILNS1_17partition_subalgoE9EllbEEZZNS1_14partition_implILS5_9ELb0ES3_jPlS8_PNS0_10empty_typeENS0_5tupleIJS8_S9_EEENSB_IJS8_SA_EEENS0_18inequality_wrapperIZN2at6native12_GLOBAL__N_124unique_dim_cuda_templateIhEESt5tupleIJNSF_6TensorESK_SK_EERKSK_lbbbEUlllE0_EEPmJS9_EEE10hipError_tPvRmT3_T4_T5_T6_T7_T9_mT8_P12ihipStream_tbDpT10_ENKUlT_T0_E_clISt17integral_constantIbLb0EES1A_EEDaS15_S16_EUlS15_E_NS1_11comp_targetILNS1_3genE5ELNS1_11target_archE942ELNS1_3gpuE9ELNS1_3repE0EEENS1_30default_config_static_selectorELNS0_4arch9wavefront6targetE0EEEvT1_,comdat
	.globl	_ZN7rocprim17ROCPRIM_400000_NS6detail17trampoline_kernelINS0_14default_configENS1_25partition_config_selectorILNS1_17partition_subalgoE9EllbEEZZNS1_14partition_implILS5_9ELb0ES3_jPlS8_PNS0_10empty_typeENS0_5tupleIJS8_S9_EEENSB_IJS8_SA_EEENS0_18inequality_wrapperIZN2at6native12_GLOBAL__N_124unique_dim_cuda_templateIhEESt5tupleIJNSF_6TensorESK_SK_EERKSK_lbbbEUlllE0_EEPmJS9_EEE10hipError_tPvRmT3_T4_T5_T6_T7_T9_mT8_P12ihipStream_tbDpT10_ENKUlT_T0_E_clISt17integral_constantIbLb0EES1A_EEDaS15_S16_EUlS15_E_NS1_11comp_targetILNS1_3genE5ELNS1_11target_archE942ELNS1_3gpuE9ELNS1_3repE0EEENS1_30default_config_static_selectorELNS0_4arch9wavefront6targetE0EEEvT1_ ; -- Begin function _ZN7rocprim17ROCPRIM_400000_NS6detail17trampoline_kernelINS0_14default_configENS1_25partition_config_selectorILNS1_17partition_subalgoE9EllbEEZZNS1_14partition_implILS5_9ELb0ES3_jPlS8_PNS0_10empty_typeENS0_5tupleIJS8_S9_EEENSB_IJS8_SA_EEENS0_18inequality_wrapperIZN2at6native12_GLOBAL__N_124unique_dim_cuda_templateIhEESt5tupleIJNSF_6TensorESK_SK_EERKSK_lbbbEUlllE0_EEPmJS9_EEE10hipError_tPvRmT3_T4_T5_T6_T7_T9_mT8_P12ihipStream_tbDpT10_ENKUlT_T0_E_clISt17integral_constantIbLb0EES1A_EEDaS15_S16_EUlS15_E_NS1_11comp_targetILNS1_3genE5ELNS1_11target_archE942ELNS1_3gpuE9ELNS1_3repE0EEENS1_30default_config_static_selectorELNS0_4arch9wavefront6targetE0EEEvT1_
	.p2align	8
	.type	_ZN7rocprim17ROCPRIM_400000_NS6detail17trampoline_kernelINS0_14default_configENS1_25partition_config_selectorILNS1_17partition_subalgoE9EllbEEZZNS1_14partition_implILS5_9ELb0ES3_jPlS8_PNS0_10empty_typeENS0_5tupleIJS8_S9_EEENSB_IJS8_SA_EEENS0_18inequality_wrapperIZN2at6native12_GLOBAL__N_124unique_dim_cuda_templateIhEESt5tupleIJNSF_6TensorESK_SK_EERKSK_lbbbEUlllE0_EEPmJS9_EEE10hipError_tPvRmT3_T4_T5_T6_T7_T9_mT8_P12ihipStream_tbDpT10_ENKUlT_T0_E_clISt17integral_constantIbLb0EES1A_EEDaS15_S16_EUlS15_E_NS1_11comp_targetILNS1_3genE5ELNS1_11target_archE942ELNS1_3gpuE9ELNS1_3repE0EEENS1_30default_config_static_selectorELNS0_4arch9wavefront6targetE0EEEvT1_,@function
_ZN7rocprim17ROCPRIM_400000_NS6detail17trampoline_kernelINS0_14default_configENS1_25partition_config_selectorILNS1_17partition_subalgoE9EllbEEZZNS1_14partition_implILS5_9ELb0ES3_jPlS8_PNS0_10empty_typeENS0_5tupleIJS8_S9_EEENSB_IJS8_SA_EEENS0_18inequality_wrapperIZN2at6native12_GLOBAL__N_124unique_dim_cuda_templateIhEESt5tupleIJNSF_6TensorESK_SK_EERKSK_lbbbEUlllE0_EEPmJS9_EEE10hipError_tPvRmT3_T4_T5_T6_T7_T9_mT8_P12ihipStream_tbDpT10_ENKUlT_T0_E_clISt17integral_constantIbLb0EES1A_EEDaS15_S16_EUlS15_E_NS1_11comp_targetILNS1_3genE5ELNS1_11target_archE942ELNS1_3gpuE9ELNS1_3repE0EEENS1_30default_config_static_selectorELNS0_4arch9wavefront6targetE0EEEvT1_: ; @_ZN7rocprim17ROCPRIM_400000_NS6detail17trampoline_kernelINS0_14default_configENS1_25partition_config_selectorILNS1_17partition_subalgoE9EllbEEZZNS1_14partition_implILS5_9ELb0ES3_jPlS8_PNS0_10empty_typeENS0_5tupleIJS8_S9_EEENSB_IJS8_SA_EEENS0_18inequality_wrapperIZN2at6native12_GLOBAL__N_124unique_dim_cuda_templateIhEESt5tupleIJNSF_6TensorESK_SK_EERKSK_lbbbEUlllE0_EEPmJS9_EEE10hipError_tPvRmT3_T4_T5_T6_T7_T9_mT8_P12ihipStream_tbDpT10_ENKUlT_T0_E_clISt17integral_constantIbLb0EES1A_EEDaS15_S16_EUlS15_E_NS1_11comp_targetILNS1_3genE5ELNS1_11target_archE942ELNS1_3gpuE9ELNS1_3repE0EEENS1_30default_config_static_selectorELNS0_4arch9wavefront6targetE0EEEvT1_
; %bb.0:
	.section	.rodata,"a",@progbits
	.p2align	6, 0x0
	.amdhsa_kernel _ZN7rocprim17ROCPRIM_400000_NS6detail17trampoline_kernelINS0_14default_configENS1_25partition_config_selectorILNS1_17partition_subalgoE9EllbEEZZNS1_14partition_implILS5_9ELb0ES3_jPlS8_PNS0_10empty_typeENS0_5tupleIJS8_S9_EEENSB_IJS8_SA_EEENS0_18inequality_wrapperIZN2at6native12_GLOBAL__N_124unique_dim_cuda_templateIhEESt5tupleIJNSF_6TensorESK_SK_EERKSK_lbbbEUlllE0_EEPmJS9_EEE10hipError_tPvRmT3_T4_T5_T6_T7_T9_mT8_P12ihipStream_tbDpT10_ENKUlT_T0_E_clISt17integral_constantIbLb0EES1A_EEDaS15_S16_EUlS15_E_NS1_11comp_targetILNS1_3genE5ELNS1_11target_archE942ELNS1_3gpuE9ELNS1_3repE0EEENS1_30default_config_static_selectorELNS0_4arch9wavefront6targetE0EEEvT1_
		.amdhsa_group_segment_fixed_size 0
		.amdhsa_private_segment_fixed_size 0
		.amdhsa_kernarg_size 120
		.amdhsa_user_sgpr_count 15
		.amdhsa_user_sgpr_dispatch_ptr 0
		.amdhsa_user_sgpr_queue_ptr 0
		.amdhsa_user_sgpr_kernarg_segment_ptr 1
		.amdhsa_user_sgpr_dispatch_id 0
		.amdhsa_user_sgpr_private_segment_size 0
		.amdhsa_wavefront_size32 1
		.amdhsa_uses_dynamic_stack 0
		.amdhsa_enable_private_segment 0
		.amdhsa_system_sgpr_workgroup_id_x 1
		.amdhsa_system_sgpr_workgroup_id_y 0
		.amdhsa_system_sgpr_workgroup_id_z 0
		.amdhsa_system_sgpr_workgroup_info 0
		.amdhsa_system_vgpr_workitem_id 0
		.amdhsa_next_free_vgpr 1
		.amdhsa_next_free_sgpr 1
		.amdhsa_reserve_vcc 0
		.amdhsa_float_round_mode_32 0
		.amdhsa_float_round_mode_16_64 0
		.amdhsa_float_denorm_mode_32 3
		.amdhsa_float_denorm_mode_16_64 3
		.amdhsa_dx10_clamp 1
		.amdhsa_ieee_mode 1
		.amdhsa_fp16_overflow 0
		.amdhsa_workgroup_processor_mode 1
		.amdhsa_memory_ordered 1
		.amdhsa_forward_progress 0
		.amdhsa_shared_vgpr_count 0
		.amdhsa_exception_fp_ieee_invalid_op 0
		.amdhsa_exception_fp_denorm_src 0
		.amdhsa_exception_fp_ieee_div_zero 0
		.amdhsa_exception_fp_ieee_overflow 0
		.amdhsa_exception_fp_ieee_underflow 0
		.amdhsa_exception_fp_ieee_inexact 0
		.amdhsa_exception_int_div_zero 0
	.end_amdhsa_kernel
	.section	.text._ZN7rocprim17ROCPRIM_400000_NS6detail17trampoline_kernelINS0_14default_configENS1_25partition_config_selectorILNS1_17partition_subalgoE9EllbEEZZNS1_14partition_implILS5_9ELb0ES3_jPlS8_PNS0_10empty_typeENS0_5tupleIJS8_S9_EEENSB_IJS8_SA_EEENS0_18inequality_wrapperIZN2at6native12_GLOBAL__N_124unique_dim_cuda_templateIhEESt5tupleIJNSF_6TensorESK_SK_EERKSK_lbbbEUlllE0_EEPmJS9_EEE10hipError_tPvRmT3_T4_T5_T6_T7_T9_mT8_P12ihipStream_tbDpT10_ENKUlT_T0_E_clISt17integral_constantIbLb0EES1A_EEDaS15_S16_EUlS15_E_NS1_11comp_targetILNS1_3genE5ELNS1_11target_archE942ELNS1_3gpuE9ELNS1_3repE0EEENS1_30default_config_static_selectorELNS0_4arch9wavefront6targetE0EEEvT1_,"axG",@progbits,_ZN7rocprim17ROCPRIM_400000_NS6detail17trampoline_kernelINS0_14default_configENS1_25partition_config_selectorILNS1_17partition_subalgoE9EllbEEZZNS1_14partition_implILS5_9ELb0ES3_jPlS8_PNS0_10empty_typeENS0_5tupleIJS8_S9_EEENSB_IJS8_SA_EEENS0_18inequality_wrapperIZN2at6native12_GLOBAL__N_124unique_dim_cuda_templateIhEESt5tupleIJNSF_6TensorESK_SK_EERKSK_lbbbEUlllE0_EEPmJS9_EEE10hipError_tPvRmT3_T4_T5_T6_T7_T9_mT8_P12ihipStream_tbDpT10_ENKUlT_T0_E_clISt17integral_constantIbLb0EES1A_EEDaS15_S16_EUlS15_E_NS1_11comp_targetILNS1_3genE5ELNS1_11target_archE942ELNS1_3gpuE9ELNS1_3repE0EEENS1_30default_config_static_selectorELNS0_4arch9wavefront6targetE0EEEvT1_,comdat
.Lfunc_end205:
	.size	_ZN7rocprim17ROCPRIM_400000_NS6detail17trampoline_kernelINS0_14default_configENS1_25partition_config_selectorILNS1_17partition_subalgoE9EllbEEZZNS1_14partition_implILS5_9ELb0ES3_jPlS8_PNS0_10empty_typeENS0_5tupleIJS8_S9_EEENSB_IJS8_SA_EEENS0_18inequality_wrapperIZN2at6native12_GLOBAL__N_124unique_dim_cuda_templateIhEESt5tupleIJNSF_6TensorESK_SK_EERKSK_lbbbEUlllE0_EEPmJS9_EEE10hipError_tPvRmT3_T4_T5_T6_T7_T9_mT8_P12ihipStream_tbDpT10_ENKUlT_T0_E_clISt17integral_constantIbLb0EES1A_EEDaS15_S16_EUlS15_E_NS1_11comp_targetILNS1_3genE5ELNS1_11target_archE942ELNS1_3gpuE9ELNS1_3repE0EEENS1_30default_config_static_selectorELNS0_4arch9wavefront6targetE0EEEvT1_, .Lfunc_end205-_ZN7rocprim17ROCPRIM_400000_NS6detail17trampoline_kernelINS0_14default_configENS1_25partition_config_selectorILNS1_17partition_subalgoE9EllbEEZZNS1_14partition_implILS5_9ELb0ES3_jPlS8_PNS0_10empty_typeENS0_5tupleIJS8_S9_EEENSB_IJS8_SA_EEENS0_18inequality_wrapperIZN2at6native12_GLOBAL__N_124unique_dim_cuda_templateIhEESt5tupleIJNSF_6TensorESK_SK_EERKSK_lbbbEUlllE0_EEPmJS9_EEE10hipError_tPvRmT3_T4_T5_T6_T7_T9_mT8_P12ihipStream_tbDpT10_ENKUlT_T0_E_clISt17integral_constantIbLb0EES1A_EEDaS15_S16_EUlS15_E_NS1_11comp_targetILNS1_3genE5ELNS1_11target_archE942ELNS1_3gpuE9ELNS1_3repE0EEENS1_30default_config_static_selectorELNS0_4arch9wavefront6targetE0EEEvT1_
                                        ; -- End function
	.section	.AMDGPU.csdata,"",@progbits
; Kernel info:
; codeLenInByte = 0
; NumSgprs: 0
; NumVgprs: 0
; ScratchSize: 0
; MemoryBound: 0
; FloatMode: 240
; IeeeMode: 1
; LDSByteSize: 0 bytes/workgroup (compile time only)
; SGPRBlocks: 0
; VGPRBlocks: 0
; NumSGPRsForWavesPerEU: 1
; NumVGPRsForWavesPerEU: 1
; Occupancy: 16
; WaveLimiterHint : 0
; COMPUTE_PGM_RSRC2:SCRATCH_EN: 0
; COMPUTE_PGM_RSRC2:USER_SGPR: 15
; COMPUTE_PGM_RSRC2:TRAP_HANDLER: 0
; COMPUTE_PGM_RSRC2:TGID_X_EN: 1
; COMPUTE_PGM_RSRC2:TGID_Y_EN: 0
; COMPUTE_PGM_RSRC2:TGID_Z_EN: 0
; COMPUTE_PGM_RSRC2:TIDIG_COMP_CNT: 0
	.section	.text._ZN7rocprim17ROCPRIM_400000_NS6detail17trampoline_kernelINS0_14default_configENS1_25partition_config_selectorILNS1_17partition_subalgoE9EllbEEZZNS1_14partition_implILS5_9ELb0ES3_jPlS8_PNS0_10empty_typeENS0_5tupleIJS8_S9_EEENSB_IJS8_SA_EEENS0_18inequality_wrapperIZN2at6native12_GLOBAL__N_124unique_dim_cuda_templateIhEESt5tupleIJNSF_6TensorESK_SK_EERKSK_lbbbEUlllE0_EEPmJS9_EEE10hipError_tPvRmT3_T4_T5_T6_T7_T9_mT8_P12ihipStream_tbDpT10_ENKUlT_T0_E_clISt17integral_constantIbLb0EES1A_EEDaS15_S16_EUlS15_E_NS1_11comp_targetILNS1_3genE4ELNS1_11target_archE910ELNS1_3gpuE8ELNS1_3repE0EEENS1_30default_config_static_selectorELNS0_4arch9wavefront6targetE0EEEvT1_,"axG",@progbits,_ZN7rocprim17ROCPRIM_400000_NS6detail17trampoline_kernelINS0_14default_configENS1_25partition_config_selectorILNS1_17partition_subalgoE9EllbEEZZNS1_14partition_implILS5_9ELb0ES3_jPlS8_PNS0_10empty_typeENS0_5tupleIJS8_S9_EEENSB_IJS8_SA_EEENS0_18inequality_wrapperIZN2at6native12_GLOBAL__N_124unique_dim_cuda_templateIhEESt5tupleIJNSF_6TensorESK_SK_EERKSK_lbbbEUlllE0_EEPmJS9_EEE10hipError_tPvRmT3_T4_T5_T6_T7_T9_mT8_P12ihipStream_tbDpT10_ENKUlT_T0_E_clISt17integral_constantIbLb0EES1A_EEDaS15_S16_EUlS15_E_NS1_11comp_targetILNS1_3genE4ELNS1_11target_archE910ELNS1_3gpuE8ELNS1_3repE0EEENS1_30default_config_static_selectorELNS0_4arch9wavefront6targetE0EEEvT1_,comdat
	.globl	_ZN7rocprim17ROCPRIM_400000_NS6detail17trampoline_kernelINS0_14default_configENS1_25partition_config_selectorILNS1_17partition_subalgoE9EllbEEZZNS1_14partition_implILS5_9ELb0ES3_jPlS8_PNS0_10empty_typeENS0_5tupleIJS8_S9_EEENSB_IJS8_SA_EEENS0_18inequality_wrapperIZN2at6native12_GLOBAL__N_124unique_dim_cuda_templateIhEESt5tupleIJNSF_6TensorESK_SK_EERKSK_lbbbEUlllE0_EEPmJS9_EEE10hipError_tPvRmT3_T4_T5_T6_T7_T9_mT8_P12ihipStream_tbDpT10_ENKUlT_T0_E_clISt17integral_constantIbLb0EES1A_EEDaS15_S16_EUlS15_E_NS1_11comp_targetILNS1_3genE4ELNS1_11target_archE910ELNS1_3gpuE8ELNS1_3repE0EEENS1_30default_config_static_selectorELNS0_4arch9wavefront6targetE0EEEvT1_ ; -- Begin function _ZN7rocprim17ROCPRIM_400000_NS6detail17trampoline_kernelINS0_14default_configENS1_25partition_config_selectorILNS1_17partition_subalgoE9EllbEEZZNS1_14partition_implILS5_9ELb0ES3_jPlS8_PNS0_10empty_typeENS0_5tupleIJS8_S9_EEENSB_IJS8_SA_EEENS0_18inequality_wrapperIZN2at6native12_GLOBAL__N_124unique_dim_cuda_templateIhEESt5tupleIJNSF_6TensorESK_SK_EERKSK_lbbbEUlllE0_EEPmJS9_EEE10hipError_tPvRmT3_T4_T5_T6_T7_T9_mT8_P12ihipStream_tbDpT10_ENKUlT_T0_E_clISt17integral_constantIbLb0EES1A_EEDaS15_S16_EUlS15_E_NS1_11comp_targetILNS1_3genE4ELNS1_11target_archE910ELNS1_3gpuE8ELNS1_3repE0EEENS1_30default_config_static_selectorELNS0_4arch9wavefront6targetE0EEEvT1_
	.p2align	8
	.type	_ZN7rocprim17ROCPRIM_400000_NS6detail17trampoline_kernelINS0_14default_configENS1_25partition_config_selectorILNS1_17partition_subalgoE9EllbEEZZNS1_14partition_implILS5_9ELb0ES3_jPlS8_PNS0_10empty_typeENS0_5tupleIJS8_S9_EEENSB_IJS8_SA_EEENS0_18inequality_wrapperIZN2at6native12_GLOBAL__N_124unique_dim_cuda_templateIhEESt5tupleIJNSF_6TensorESK_SK_EERKSK_lbbbEUlllE0_EEPmJS9_EEE10hipError_tPvRmT3_T4_T5_T6_T7_T9_mT8_P12ihipStream_tbDpT10_ENKUlT_T0_E_clISt17integral_constantIbLb0EES1A_EEDaS15_S16_EUlS15_E_NS1_11comp_targetILNS1_3genE4ELNS1_11target_archE910ELNS1_3gpuE8ELNS1_3repE0EEENS1_30default_config_static_selectorELNS0_4arch9wavefront6targetE0EEEvT1_,@function
_ZN7rocprim17ROCPRIM_400000_NS6detail17trampoline_kernelINS0_14default_configENS1_25partition_config_selectorILNS1_17partition_subalgoE9EllbEEZZNS1_14partition_implILS5_9ELb0ES3_jPlS8_PNS0_10empty_typeENS0_5tupleIJS8_S9_EEENSB_IJS8_SA_EEENS0_18inequality_wrapperIZN2at6native12_GLOBAL__N_124unique_dim_cuda_templateIhEESt5tupleIJNSF_6TensorESK_SK_EERKSK_lbbbEUlllE0_EEPmJS9_EEE10hipError_tPvRmT3_T4_T5_T6_T7_T9_mT8_P12ihipStream_tbDpT10_ENKUlT_T0_E_clISt17integral_constantIbLb0EES1A_EEDaS15_S16_EUlS15_E_NS1_11comp_targetILNS1_3genE4ELNS1_11target_archE910ELNS1_3gpuE8ELNS1_3repE0EEENS1_30default_config_static_selectorELNS0_4arch9wavefront6targetE0EEEvT1_: ; @_ZN7rocprim17ROCPRIM_400000_NS6detail17trampoline_kernelINS0_14default_configENS1_25partition_config_selectorILNS1_17partition_subalgoE9EllbEEZZNS1_14partition_implILS5_9ELb0ES3_jPlS8_PNS0_10empty_typeENS0_5tupleIJS8_S9_EEENSB_IJS8_SA_EEENS0_18inequality_wrapperIZN2at6native12_GLOBAL__N_124unique_dim_cuda_templateIhEESt5tupleIJNSF_6TensorESK_SK_EERKSK_lbbbEUlllE0_EEPmJS9_EEE10hipError_tPvRmT3_T4_T5_T6_T7_T9_mT8_P12ihipStream_tbDpT10_ENKUlT_T0_E_clISt17integral_constantIbLb0EES1A_EEDaS15_S16_EUlS15_E_NS1_11comp_targetILNS1_3genE4ELNS1_11target_archE910ELNS1_3gpuE8ELNS1_3repE0EEENS1_30default_config_static_selectorELNS0_4arch9wavefront6targetE0EEEvT1_
; %bb.0:
	.section	.rodata,"a",@progbits
	.p2align	6, 0x0
	.amdhsa_kernel _ZN7rocprim17ROCPRIM_400000_NS6detail17trampoline_kernelINS0_14default_configENS1_25partition_config_selectorILNS1_17partition_subalgoE9EllbEEZZNS1_14partition_implILS5_9ELb0ES3_jPlS8_PNS0_10empty_typeENS0_5tupleIJS8_S9_EEENSB_IJS8_SA_EEENS0_18inequality_wrapperIZN2at6native12_GLOBAL__N_124unique_dim_cuda_templateIhEESt5tupleIJNSF_6TensorESK_SK_EERKSK_lbbbEUlllE0_EEPmJS9_EEE10hipError_tPvRmT3_T4_T5_T6_T7_T9_mT8_P12ihipStream_tbDpT10_ENKUlT_T0_E_clISt17integral_constantIbLb0EES1A_EEDaS15_S16_EUlS15_E_NS1_11comp_targetILNS1_3genE4ELNS1_11target_archE910ELNS1_3gpuE8ELNS1_3repE0EEENS1_30default_config_static_selectorELNS0_4arch9wavefront6targetE0EEEvT1_
		.amdhsa_group_segment_fixed_size 0
		.amdhsa_private_segment_fixed_size 0
		.amdhsa_kernarg_size 120
		.amdhsa_user_sgpr_count 15
		.amdhsa_user_sgpr_dispatch_ptr 0
		.amdhsa_user_sgpr_queue_ptr 0
		.amdhsa_user_sgpr_kernarg_segment_ptr 1
		.amdhsa_user_sgpr_dispatch_id 0
		.amdhsa_user_sgpr_private_segment_size 0
		.amdhsa_wavefront_size32 1
		.amdhsa_uses_dynamic_stack 0
		.amdhsa_enable_private_segment 0
		.amdhsa_system_sgpr_workgroup_id_x 1
		.amdhsa_system_sgpr_workgroup_id_y 0
		.amdhsa_system_sgpr_workgroup_id_z 0
		.amdhsa_system_sgpr_workgroup_info 0
		.amdhsa_system_vgpr_workitem_id 0
		.amdhsa_next_free_vgpr 1
		.amdhsa_next_free_sgpr 1
		.amdhsa_reserve_vcc 0
		.amdhsa_float_round_mode_32 0
		.amdhsa_float_round_mode_16_64 0
		.amdhsa_float_denorm_mode_32 3
		.amdhsa_float_denorm_mode_16_64 3
		.amdhsa_dx10_clamp 1
		.amdhsa_ieee_mode 1
		.amdhsa_fp16_overflow 0
		.amdhsa_workgroup_processor_mode 1
		.amdhsa_memory_ordered 1
		.amdhsa_forward_progress 0
		.amdhsa_shared_vgpr_count 0
		.amdhsa_exception_fp_ieee_invalid_op 0
		.amdhsa_exception_fp_denorm_src 0
		.amdhsa_exception_fp_ieee_div_zero 0
		.amdhsa_exception_fp_ieee_overflow 0
		.amdhsa_exception_fp_ieee_underflow 0
		.amdhsa_exception_fp_ieee_inexact 0
		.amdhsa_exception_int_div_zero 0
	.end_amdhsa_kernel
	.section	.text._ZN7rocprim17ROCPRIM_400000_NS6detail17trampoline_kernelINS0_14default_configENS1_25partition_config_selectorILNS1_17partition_subalgoE9EllbEEZZNS1_14partition_implILS5_9ELb0ES3_jPlS8_PNS0_10empty_typeENS0_5tupleIJS8_S9_EEENSB_IJS8_SA_EEENS0_18inequality_wrapperIZN2at6native12_GLOBAL__N_124unique_dim_cuda_templateIhEESt5tupleIJNSF_6TensorESK_SK_EERKSK_lbbbEUlllE0_EEPmJS9_EEE10hipError_tPvRmT3_T4_T5_T6_T7_T9_mT8_P12ihipStream_tbDpT10_ENKUlT_T0_E_clISt17integral_constantIbLb0EES1A_EEDaS15_S16_EUlS15_E_NS1_11comp_targetILNS1_3genE4ELNS1_11target_archE910ELNS1_3gpuE8ELNS1_3repE0EEENS1_30default_config_static_selectorELNS0_4arch9wavefront6targetE0EEEvT1_,"axG",@progbits,_ZN7rocprim17ROCPRIM_400000_NS6detail17trampoline_kernelINS0_14default_configENS1_25partition_config_selectorILNS1_17partition_subalgoE9EllbEEZZNS1_14partition_implILS5_9ELb0ES3_jPlS8_PNS0_10empty_typeENS0_5tupleIJS8_S9_EEENSB_IJS8_SA_EEENS0_18inequality_wrapperIZN2at6native12_GLOBAL__N_124unique_dim_cuda_templateIhEESt5tupleIJNSF_6TensorESK_SK_EERKSK_lbbbEUlllE0_EEPmJS9_EEE10hipError_tPvRmT3_T4_T5_T6_T7_T9_mT8_P12ihipStream_tbDpT10_ENKUlT_T0_E_clISt17integral_constantIbLb0EES1A_EEDaS15_S16_EUlS15_E_NS1_11comp_targetILNS1_3genE4ELNS1_11target_archE910ELNS1_3gpuE8ELNS1_3repE0EEENS1_30default_config_static_selectorELNS0_4arch9wavefront6targetE0EEEvT1_,comdat
.Lfunc_end206:
	.size	_ZN7rocprim17ROCPRIM_400000_NS6detail17trampoline_kernelINS0_14default_configENS1_25partition_config_selectorILNS1_17partition_subalgoE9EllbEEZZNS1_14partition_implILS5_9ELb0ES3_jPlS8_PNS0_10empty_typeENS0_5tupleIJS8_S9_EEENSB_IJS8_SA_EEENS0_18inequality_wrapperIZN2at6native12_GLOBAL__N_124unique_dim_cuda_templateIhEESt5tupleIJNSF_6TensorESK_SK_EERKSK_lbbbEUlllE0_EEPmJS9_EEE10hipError_tPvRmT3_T4_T5_T6_T7_T9_mT8_P12ihipStream_tbDpT10_ENKUlT_T0_E_clISt17integral_constantIbLb0EES1A_EEDaS15_S16_EUlS15_E_NS1_11comp_targetILNS1_3genE4ELNS1_11target_archE910ELNS1_3gpuE8ELNS1_3repE0EEENS1_30default_config_static_selectorELNS0_4arch9wavefront6targetE0EEEvT1_, .Lfunc_end206-_ZN7rocprim17ROCPRIM_400000_NS6detail17trampoline_kernelINS0_14default_configENS1_25partition_config_selectorILNS1_17partition_subalgoE9EllbEEZZNS1_14partition_implILS5_9ELb0ES3_jPlS8_PNS0_10empty_typeENS0_5tupleIJS8_S9_EEENSB_IJS8_SA_EEENS0_18inequality_wrapperIZN2at6native12_GLOBAL__N_124unique_dim_cuda_templateIhEESt5tupleIJNSF_6TensorESK_SK_EERKSK_lbbbEUlllE0_EEPmJS9_EEE10hipError_tPvRmT3_T4_T5_T6_T7_T9_mT8_P12ihipStream_tbDpT10_ENKUlT_T0_E_clISt17integral_constantIbLb0EES1A_EEDaS15_S16_EUlS15_E_NS1_11comp_targetILNS1_3genE4ELNS1_11target_archE910ELNS1_3gpuE8ELNS1_3repE0EEENS1_30default_config_static_selectorELNS0_4arch9wavefront6targetE0EEEvT1_
                                        ; -- End function
	.section	.AMDGPU.csdata,"",@progbits
; Kernel info:
; codeLenInByte = 0
; NumSgprs: 0
; NumVgprs: 0
; ScratchSize: 0
; MemoryBound: 0
; FloatMode: 240
; IeeeMode: 1
; LDSByteSize: 0 bytes/workgroup (compile time only)
; SGPRBlocks: 0
; VGPRBlocks: 0
; NumSGPRsForWavesPerEU: 1
; NumVGPRsForWavesPerEU: 1
; Occupancy: 16
; WaveLimiterHint : 0
; COMPUTE_PGM_RSRC2:SCRATCH_EN: 0
; COMPUTE_PGM_RSRC2:USER_SGPR: 15
; COMPUTE_PGM_RSRC2:TRAP_HANDLER: 0
; COMPUTE_PGM_RSRC2:TGID_X_EN: 1
; COMPUTE_PGM_RSRC2:TGID_Y_EN: 0
; COMPUTE_PGM_RSRC2:TGID_Z_EN: 0
; COMPUTE_PGM_RSRC2:TIDIG_COMP_CNT: 0
	.section	.text._ZN7rocprim17ROCPRIM_400000_NS6detail17trampoline_kernelINS0_14default_configENS1_25partition_config_selectorILNS1_17partition_subalgoE9EllbEEZZNS1_14partition_implILS5_9ELb0ES3_jPlS8_PNS0_10empty_typeENS0_5tupleIJS8_S9_EEENSB_IJS8_SA_EEENS0_18inequality_wrapperIZN2at6native12_GLOBAL__N_124unique_dim_cuda_templateIhEESt5tupleIJNSF_6TensorESK_SK_EERKSK_lbbbEUlllE0_EEPmJS9_EEE10hipError_tPvRmT3_T4_T5_T6_T7_T9_mT8_P12ihipStream_tbDpT10_ENKUlT_T0_E_clISt17integral_constantIbLb0EES1A_EEDaS15_S16_EUlS15_E_NS1_11comp_targetILNS1_3genE3ELNS1_11target_archE908ELNS1_3gpuE7ELNS1_3repE0EEENS1_30default_config_static_selectorELNS0_4arch9wavefront6targetE0EEEvT1_,"axG",@progbits,_ZN7rocprim17ROCPRIM_400000_NS6detail17trampoline_kernelINS0_14default_configENS1_25partition_config_selectorILNS1_17partition_subalgoE9EllbEEZZNS1_14partition_implILS5_9ELb0ES3_jPlS8_PNS0_10empty_typeENS0_5tupleIJS8_S9_EEENSB_IJS8_SA_EEENS0_18inequality_wrapperIZN2at6native12_GLOBAL__N_124unique_dim_cuda_templateIhEESt5tupleIJNSF_6TensorESK_SK_EERKSK_lbbbEUlllE0_EEPmJS9_EEE10hipError_tPvRmT3_T4_T5_T6_T7_T9_mT8_P12ihipStream_tbDpT10_ENKUlT_T0_E_clISt17integral_constantIbLb0EES1A_EEDaS15_S16_EUlS15_E_NS1_11comp_targetILNS1_3genE3ELNS1_11target_archE908ELNS1_3gpuE7ELNS1_3repE0EEENS1_30default_config_static_selectorELNS0_4arch9wavefront6targetE0EEEvT1_,comdat
	.globl	_ZN7rocprim17ROCPRIM_400000_NS6detail17trampoline_kernelINS0_14default_configENS1_25partition_config_selectorILNS1_17partition_subalgoE9EllbEEZZNS1_14partition_implILS5_9ELb0ES3_jPlS8_PNS0_10empty_typeENS0_5tupleIJS8_S9_EEENSB_IJS8_SA_EEENS0_18inequality_wrapperIZN2at6native12_GLOBAL__N_124unique_dim_cuda_templateIhEESt5tupleIJNSF_6TensorESK_SK_EERKSK_lbbbEUlllE0_EEPmJS9_EEE10hipError_tPvRmT3_T4_T5_T6_T7_T9_mT8_P12ihipStream_tbDpT10_ENKUlT_T0_E_clISt17integral_constantIbLb0EES1A_EEDaS15_S16_EUlS15_E_NS1_11comp_targetILNS1_3genE3ELNS1_11target_archE908ELNS1_3gpuE7ELNS1_3repE0EEENS1_30default_config_static_selectorELNS0_4arch9wavefront6targetE0EEEvT1_ ; -- Begin function _ZN7rocprim17ROCPRIM_400000_NS6detail17trampoline_kernelINS0_14default_configENS1_25partition_config_selectorILNS1_17partition_subalgoE9EllbEEZZNS1_14partition_implILS5_9ELb0ES3_jPlS8_PNS0_10empty_typeENS0_5tupleIJS8_S9_EEENSB_IJS8_SA_EEENS0_18inequality_wrapperIZN2at6native12_GLOBAL__N_124unique_dim_cuda_templateIhEESt5tupleIJNSF_6TensorESK_SK_EERKSK_lbbbEUlllE0_EEPmJS9_EEE10hipError_tPvRmT3_T4_T5_T6_T7_T9_mT8_P12ihipStream_tbDpT10_ENKUlT_T0_E_clISt17integral_constantIbLb0EES1A_EEDaS15_S16_EUlS15_E_NS1_11comp_targetILNS1_3genE3ELNS1_11target_archE908ELNS1_3gpuE7ELNS1_3repE0EEENS1_30default_config_static_selectorELNS0_4arch9wavefront6targetE0EEEvT1_
	.p2align	8
	.type	_ZN7rocprim17ROCPRIM_400000_NS6detail17trampoline_kernelINS0_14default_configENS1_25partition_config_selectorILNS1_17partition_subalgoE9EllbEEZZNS1_14partition_implILS5_9ELb0ES3_jPlS8_PNS0_10empty_typeENS0_5tupleIJS8_S9_EEENSB_IJS8_SA_EEENS0_18inequality_wrapperIZN2at6native12_GLOBAL__N_124unique_dim_cuda_templateIhEESt5tupleIJNSF_6TensorESK_SK_EERKSK_lbbbEUlllE0_EEPmJS9_EEE10hipError_tPvRmT3_T4_T5_T6_T7_T9_mT8_P12ihipStream_tbDpT10_ENKUlT_T0_E_clISt17integral_constantIbLb0EES1A_EEDaS15_S16_EUlS15_E_NS1_11comp_targetILNS1_3genE3ELNS1_11target_archE908ELNS1_3gpuE7ELNS1_3repE0EEENS1_30default_config_static_selectorELNS0_4arch9wavefront6targetE0EEEvT1_,@function
_ZN7rocprim17ROCPRIM_400000_NS6detail17trampoline_kernelINS0_14default_configENS1_25partition_config_selectorILNS1_17partition_subalgoE9EllbEEZZNS1_14partition_implILS5_9ELb0ES3_jPlS8_PNS0_10empty_typeENS0_5tupleIJS8_S9_EEENSB_IJS8_SA_EEENS0_18inequality_wrapperIZN2at6native12_GLOBAL__N_124unique_dim_cuda_templateIhEESt5tupleIJNSF_6TensorESK_SK_EERKSK_lbbbEUlllE0_EEPmJS9_EEE10hipError_tPvRmT3_T4_T5_T6_T7_T9_mT8_P12ihipStream_tbDpT10_ENKUlT_T0_E_clISt17integral_constantIbLb0EES1A_EEDaS15_S16_EUlS15_E_NS1_11comp_targetILNS1_3genE3ELNS1_11target_archE908ELNS1_3gpuE7ELNS1_3repE0EEENS1_30default_config_static_selectorELNS0_4arch9wavefront6targetE0EEEvT1_: ; @_ZN7rocprim17ROCPRIM_400000_NS6detail17trampoline_kernelINS0_14default_configENS1_25partition_config_selectorILNS1_17partition_subalgoE9EllbEEZZNS1_14partition_implILS5_9ELb0ES3_jPlS8_PNS0_10empty_typeENS0_5tupleIJS8_S9_EEENSB_IJS8_SA_EEENS0_18inequality_wrapperIZN2at6native12_GLOBAL__N_124unique_dim_cuda_templateIhEESt5tupleIJNSF_6TensorESK_SK_EERKSK_lbbbEUlllE0_EEPmJS9_EEE10hipError_tPvRmT3_T4_T5_T6_T7_T9_mT8_P12ihipStream_tbDpT10_ENKUlT_T0_E_clISt17integral_constantIbLb0EES1A_EEDaS15_S16_EUlS15_E_NS1_11comp_targetILNS1_3genE3ELNS1_11target_archE908ELNS1_3gpuE7ELNS1_3repE0EEENS1_30default_config_static_selectorELNS0_4arch9wavefront6targetE0EEEvT1_
; %bb.0:
	.section	.rodata,"a",@progbits
	.p2align	6, 0x0
	.amdhsa_kernel _ZN7rocprim17ROCPRIM_400000_NS6detail17trampoline_kernelINS0_14default_configENS1_25partition_config_selectorILNS1_17partition_subalgoE9EllbEEZZNS1_14partition_implILS5_9ELb0ES3_jPlS8_PNS0_10empty_typeENS0_5tupleIJS8_S9_EEENSB_IJS8_SA_EEENS0_18inequality_wrapperIZN2at6native12_GLOBAL__N_124unique_dim_cuda_templateIhEESt5tupleIJNSF_6TensorESK_SK_EERKSK_lbbbEUlllE0_EEPmJS9_EEE10hipError_tPvRmT3_T4_T5_T6_T7_T9_mT8_P12ihipStream_tbDpT10_ENKUlT_T0_E_clISt17integral_constantIbLb0EES1A_EEDaS15_S16_EUlS15_E_NS1_11comp_targetILNS1_3genE3ELNS1_11target_archE908ELNS1_3gpuE7ELNS1_3repE0EEENS1_30default_config_static_selectorELNS0_4arch9wavefront6targetE0EEEvT1_
		.amdhsa_group_segment_fixed_size 0
		.amdhsa_private_segment_fixed_size 0
		.amdhsa_kernarg_size 120
		.amdhsa_user_sgpr_count 15
		.amdhsa_user_sgpr_dispatch_ptr 0
		.amdhsa_user_sgpr_queue_ptr 0
		.amdhsa_user_sgpr_kernarg_segment_ptr 1
		.amdhsa_user_sgpr_dispatch_id 0
		.amdhsa_user_sgpr_private_segment_size 0
		.amdhsa_wavefront_size32 1
		.amdhsa_uses_dynamic_stack 0
		.amdhsa_enable_private_segment 0
		.amdhsa_system_sgpr_workgroup_id_x 1
		.amdhsa_system_sgpr_workgroup_id_y 0
		.amdhsa_system_sgpr_workgroup_id_z 0
		.amdhsa_system_sgpr_workgroup_info 0
		.amdhsa_system_vgpr_workitem_id 0
		.amdhsa_next_free_vgpr 1
		.amdhsa_next_free_sgpr 1
		.amdhsa_reserve_vcc 0
		.amdhsa_float_round_mode_32 0
		.amdhsa_float_round_mode_16_64 0
		.amdhsa_float_denorm_mode_32 3
		.amdhsa_float_denorm_mode_16_64 3
		.amdhsa_dx10_clamp 1
		.amdhsa_ieee_mode 1
		.amdhsa_fp16_overflow 0
		.amdhsa_workgroup_processor_mode 1
		.amdhsa_memory_ordered 1
		.amdhsa_forward_progress 0
		.amdhsa_shared_vgpr_count 0
		.amdhsa_exception_fp_ieee_invalid_op 0
		.amdhsa_exception_fp_denorm_src 0
		.amdhsa_exception_fp_ieee_div_zero 0
		.amdhsa_exception_fp_ieee_overflow 0
		.amdhsa_exception_fp_ieee_underflow 0
		.amdhsa_exception_fp_ieee_inexact 0
		.amdhsa_exception_int_div_zero 0
	.end_amdhsa_kernel
	.section	.text._ZN7rocprim17ROCPRIM_400000_NS6detail17trampoline_kernelINS0_14default_configENS1_25partition_config_selectorILNS1_17partition_subalgoE9EllbEEZZNS1_14partition_implILS5_9ELb0ES3_jPlS8_PNS0_10empty_typeENS0_5tupleIJS8_S9_EEENSB_IJS8_SA_EEENS0_18inequality_wrapperIZN2at6native12_GLOBAL__N_124unique_dim_cuda_templateIhEESt5tupleIJNSF_6TensorESK_SK_EERKSK_lbbbEUlllE0_EEPmJS9_EEE10hipError_tPvRmT3_T4_T5_T6_T7_T9_mT8_P12ihipStream_tbDpT10_ENKUlT_T0_E_clISt17integral_constantIbLb0EES1A_EEDaS15_S16_EUlS15_E_NS1_11comp_targetILNS1_3genE3ELNS1_11target_archE908ELNS1_3gpuE7ELNS1_3repE0EEENS1_30default_config_static_selectorELNS0_4arch9wavefront6targetE0EEEvT1_,"axG",@progbits,_ZN7rocprim17ROCPRIM_400000_NS6detail17trampoline_kernelINS0_14default_configENS1_25partition_config_selectorILNS1_17partition_subalgoE9EllbEEZZNS1_14partition_implILS5_9ELb0ES3_jPlS8_PNS0_10empty_typeENS0_5tupleIJS8_S9_EEENSB_IJS8_SA_EEENS0_18inequality_wrapperIZN2at6native12_GLOBAL__N_124unique_dim_cuda_templateIhEESt5tupleIJNSF_6TensorESK_SK_EERKSK_lbbbEUlllE0_EEPmJS9_EEE10hipError_tPvRmT3_T4_T5_T6_T7_T9_mT8_P12ihipStream_tbDpT10_ENKUlT_T0_E_clISt17integral_constantIbLb0EES1A_EEDaS15_S16_EUlS15_E_NS1_11comp_targetILNS1_3genE3ELNS1_11target_archE908ELNS1_3gpuE7ELNS1_3repE0EEENS1_30default_config_static_selectorELNS0_4arch9wavefront6targetE0EEEvT1_,comdat
.Lfunc_end207:
	.size	_ZN7rocprim17ROCPRIM_400000_NS6detail17trampoline_kernelINS0_14default_configENS1_25partition_config_selectorILNS1_17partition_subalgoE9EllbEEZZNS1_14partition_implILS5_9ELb0ES3_jPlS8_PNS0_10empty_typeENS0_5tupleIJS8_S9_EEENSB_IJS8_SA_EEENS0_18inequality_wrapperIZN2at6native12_GLOBAL__N_124unique_dim_cuda_templateIhEESt5tupleIJNSF_6TensorESK_SK_EERKSK_lbbbEUlllE0_EEPmJS9_EEE10hipError_tPvRmT3_T4_T5_T6_T7_T9_mT8_P12ihipStream_tbDpT10_ENKUlT_T0_E_clISt17integral_constantIbLb0EES1A_EEDaS15_S16_EUlS15_E_NS1_11comp_targetILNS1_3genE3ELNS1_11target_archE908ELNS1_3gpuE7ELNS1_3repE0EEENS1_30default_config_static_selectorELNS0_4arch9wavefront6targetE0EEEvT1_, .Lfunc_end207-_ZN7rocprim17ROCPRIM_400000_NS6detail17trampoline_kernelINS0_14default_configENS1_25partition_config_selectorILNS1_17partition_subalgoE9EllbEEZZNS1_14partition_implILS5_9ELb0ES3_jPlS8_PNS0_10empty_typeENS0_5tupleIJS8_S9_EEENSB_IJS8_SA_EEENS0_18inequality_wrapperIZN2at6native12_GLOBAL__N_124unique_dim_cuda_templateIhEESt5tupleIJNSF_6TensorESK_SK_EERKSK_lbbbEUlllE0_EEPmJS9_EEE10hipError_tPvRmT3_T4_T5_T6_T7_T9_mT8_P12ihipStream_tbDpT10_ENKUlT_T0_E_clISt17integral_constantIbLb0EES1A_EEDaS15_S16_EUlS15_E_NS1_11comp_targetILNS1_3genE3ELNS1_11target_archE908ELNS1_3gpuE7ELNS1_3repE0EEENS1_30default_config_static_selectorELNS0_4arch9wavefront6targetE0EEEvT1_
                                        ; -- End function
	.section	.AMDGPU.csdata,"",@progbits
; Kernel info:
; codeLenInByte = 0
; NumSgprs: 0
; NumVgprs: 0
; ScratchSize: 0
; MemoryBound: 0
; FloatMode: 240
; IeeeMode: 1
; LDSByteSize: 0 bytes/workgroup (compile time only)
; SGPRBlocks: 0
; VGPRBlocks: 0
; NumSGPRsForWavesPerEU: 1
; NumVGPRsForWavesPerEU: 1
; Occupancy: 16
; WaveLimiterHint : 0
; COMPUTE_PGM_RSRC2:SCRATCH_EN: 0
; COMPUTE_PGM_RSRC2:USER_SGPR: 15
; COMPUTE_PGM_RSRC2:TRAP_HANDLER: 0
; COMPUTE_PGM_RSRC2:TGID_X_EN: 1
; COMPUTE_PGM_RSRC2:TGID_Y_EN: 0
; COMPUTE_PGM_RSRC2:TGID_Z_EN: 0
; COMPUTE_PGM_RSRC2:TIDIG_COMP_CNT: 0
	.section	.text._ZN7rocprim17ROCPRIM_400000_NS6detail17trampoline_kernelINS0_14default_configENS1_25partition_config_selectorILNS1_17partition_subalgoE9EllbEEZZNS1_14partition_implILS5_9ELb0ES3_jPlS8_PNS0_10empty_typeENS0_5tupleIJS8_S9_EEENSB_IJS8_SA_EEENS0_18inequality_wrapperIZN2at6native12_GLOBAL__N_124unique_dim_cuda_templateIhEESt5tupleIJNSF_6TensorESK_SK_EERKSK_lbbbEUlllE0_EEPmJS9_EEE10hipError_tPvRmT3_T4_T5_T6_T7_T9_mT8_P12ihipStream_tbDpT10_ENKUlT_T0_E_clISt17integral_constantIbLb0EES1A_EEDaS15_S16_EUlS15_E_NS1_11comp_targetILNS1_3genE2ELNS1_11target_archE906ELNS1_3gpuE6ELNS1_3repE0EEENS1_30default_config_static_selectorELNS0_4arch9wavefront6targetE0EEEvT1_,"axG",@progbits,_ZN7rocprim17ROCPRIM_400000_NS6detail17trampoline_kernelINS0_14default_configENS1_25partition_config_selectorILNS1_17partition_subalgoE9EllbEEZZNS1_14partition_implILS5_9ELb0ES3_jPlS8_PNS0_10empty_typeENS0_5tupleIJS8_S9_EEENSB_IJS8_SA_EEENS0_18inequality_wrapperIZN2at6native12_GLOBAL__N_124unique_dim_cuda_templateIhEESt5tupleIJNSF_6TensorESK_SK_EERKSK_lbbbEUlllE0_EEPmJS9_EEE10hipError_tPvRmT3_T4_T5_T6_T7_T9_mT8_P12ihipStream_tbDpT10_ENKUlT_T0_E_clISt17integral_constantIbLb0EES1A_EEDaS15_S16_EUlS15_E_NS1_11comp_targetILNS1_3genE2ELNS1_11target_archE906ELNS1_3gpuE6ELNS1_3repE0EEENS1_30default_config_static_selectorELNS0_4arch9wavefront6targetE0EEEvT1_,comdat
	.globl	_ZN7rocprim17ROCPRIM_400000_NS6detail17trampoline_kernelINS0_14default_configENS1_25partition_config_selectorILNS1_17partition_subalgoE9EllbEEZZNS1_14partition_implILS5_9ELb0ES3_jPlS8_PNS0_10empty_typeENS0_5tupleIJS8_S9_EEENSB_IJS8_SA_EEENS0_18inequality_wrapperIZN2at6native12_GLOBAL__N_124unique_dim_cuda_templateIhEESt5tupleIJNSF_6TensorESK_SK_EERKSK_lbbbEUlllE0_EEPmJS9_EEE10hipError_tPvRmT3_T4_T5_T6_T7_T9_mT8_P12ihipStream_tbDpT10_ENKUlT_T0_E_clISt17integral_constantIbLb0EES1A_EEDaS15_S16_EUlS15_E_NS1_11comp_targetILNS1_3genE2ELNS1_11target_archE906ELNS1_3gpuE6ELNS1_3repE0EEENS1_30default_config_static_selectorELNS0_4arch9wavefront6targetE0EEEvT1_ ; -- Begin function _ZN7rocprim17ROCPRIM_400000_NS6detail17trampoline_kernelINS0_14default_configENS1_25partition_config_selectorILNS1_17partition_subalgoE9EllbEEZZNS1_14partition_implILS5_9ELb0ES3_jPlS8_PNS0_10empty_typeENS0_5tupleIJS8_S9_EEENSB_IJS8_SA_EEENS0_18inequality_wrapperIZN2at6native12_GLOBAL__N_124unique_dim_cuda_templateIhEESt5tupleIJNSF_6TensorESK_SK_EERKSK_lbbbEUlllE0_EEPmJS9_EEE10hipError_tPvRmT3_T4_T5_T6_T7_T9_mT8_P12ihipStream_tbDpT10_ENKUlT_T0_E_clISt17integral_constantIbLb0EES1A_EEDaS15_S16_EUlS15_E_NS1_11comp_targetILNS1_3genE2ELNS1_11target_archE906ELNS1_3gpuE6ELNS1_3repE0EEENS1_30default_config_static_selectorELNS0_4arch9wavefront6targetE0EEEvT1_
	.p2align	8
	.type	_ZN7rocprim17ROCPRIM_400000_NS6detail17trampoline_kernelINS0_14default_configENS1_25partition_config_selectorILNS1_17partition_subalgoE9EllbEEZZNS1_14partition_implILS5_9ELb0ES3_jPlS8_PNS0_10empty_typeENS0_5tupleIJS8_S9_EEENSB_IJS8_SA_EEENS0_18inequality_wrapperIZN2at6native12_GLOBAL__N_124unique_dim_cuda_templateIhEESt5tupleIJNSF_6TensorESK_SK_EERKSK_lbbbEUlllE0_EEPmJS9_EEE10hipError_tPvRmT3_T4_T5_T6_T7_T9_mT8_P12ihipStream_tbDpT10_ENKUlT_T0_E_clISt17integral_constantIbLb0EES1A_EEDaS15_S16_EUlS15_E_NS1_11comp_targetILNS1_3genE2ELNS1_11target_archE906ELNS1_3gpuE6ELNS1_3repE0EEENS1_30default_config_static_selectorELNS0_4arch9wavefront6targetE0EEEvT1_,@function
_ZN7rocprim17ROCPRIM_400000_NS6detail17trampoline_kernelINS0_14default_configENS1_25partition_config_selectorILNS1_17partition_subalgoE9EllbEEZZNS1_14partition_implILS5_9ELb0ES3_jPlS8_PNS0_10empty_typeENS0_5tupleIJS8_S9_EEENSB_IJS8_SA_EEENS0_18inequality_wrapperIZN2at6native12_GLOBAL__N_124unique_dim_cuda_templateIhEESt5tupleIJNSF_6TensorESK_SK_EERKSK_lbbbEUlllE0_EEPmJS9_EEE10hipError_tPvRmT3_T4_T5_T6_T7_T9_mT8_P12ihipStream_tbDpT10_ENKUlT_T0_E_clISt17integral_constantIbLb0EES1A_EEDaS15_S16_EUlS15_E_NS1_11comp_targetILNS1_3genE2ELNS1_11target_archE906ELNS1_3gpuE6ELNS1_3repE0EEENS1_30default_config_static_selectorELNS0_4arch9wavefront6targetE0EEEvT1_: ; @_ZN7rocprim17ROCPRIM_400000_NS6detail17trampoline_kernelINS0_14default_configENS1_25partition_config_selectorILNS1_17partition_subalgoE9EllbEEZZNS1_14partition_implILS5_9ELb0ES3_jPlS8_PNS0_10empty_typeENS0_5tupleIJS8_S9_EEENSB_IJS8_SA_EEENS0_18inequality_wrapperIZN2at6native12_GLOBAL__N_124unique_dim_cuda_templateIhEESt5tupleIJNSF_6TensorESK_SK_EERKSK_lbbbEUlllE0_EEPmJS9_EEE10hipError_tPvRmT3_T4_T5_T6_T7_T9_mT8_P12ihipStream_tbDpT10_ENKUlT_T0_E_clISt17integral_constantIbLb0EES1A_EEDaS15_S16_EUlS15_E_NS1_11comp_targetILNS1_3genE2ELNS1_11target_archE906ELNS1_3gpuE6ELNS1_3repE0EEENS1_30default_config_static_selectorELNS0_4arch9wavefront6targetE0EEEvT1_
; %bb.0:
	.section	.rodata,"a",@progbits
	.p2align	6, 0x0
	.amdhsa_kernel _ZN7rocprim17ROCPRIM_400000_NS6detail17trampoline_kernelINS0_14default_configENS1_25partition_config_selectorILNS1_17partition_subalgoE9EllbEEZZNS1_14partition_implILS5_9ELb0ES3_jPlS8_PNS0_10empty_typeENS0_5tupleIJS8_S9_EEENSB_IJS8_SA_EEENS0_18inequality_wrapperIZN2at6native12_GLOBAL__N_124unique_dim_cuda_templateIhEESt5tupleIJNSF_6TensorESK_SK_EERKSK_lbbbEUlllE0_EEPmJS9_EEE10hipError_tPvRmT3_T4_T5_T6_T7_T9_mT8_P12ihipStream_tbDpT10_ENKUlT_T0_E_clISt17integral_constantIbLb0EES1A_EEDaS15_S16_EUlS15_E_NS1_11comp_targetILNS1_3genE2ELNS1_11target_archE906ELNS1_3gpuE6ELNS1_3repE0EEENS1_30default_config_static_selectorELNS0_4arch9wavefront6targetE0EEEvT1_
		.amdhsa_group_segment_fixed_size 0
		.amdhsa_private_segment_fixed_size 0
		.amdhsa_kernarg_size 120
		.amdhsa_user_sgpr_count 15
		.amdhsa_user_sgpr_dispatch_ptr 0
		.amdhsa_user_sgpr_queue_ptr 0
		.amdhsa_user_sgpr_kernarg_segment_ptr 1
		.amdhsa_user_sgpr_dispatch_id 0
		.amdhsa_user_sgpr_private_segment_size 0
		.amdhsa_wavefront_size32 1
		.amdhsa_uses_dynamic_stack 0
		.amdhsa_enable_private_segment 0
		.amdhsa_system_sgpr_workgroup_id_x 1
		.amdhsa_system_sgpr_workgroup_id_y 0
		.amdhsa_system_sgpr_workgroup_id_z 0
		.amdhsa_system_sgpr_workgroup_info 0
		.amdhsa_system_vgpr_workitem_id 0
		.amdhsa_next_free_vgpr 1
		.amdhsa_next_free_sgpr 1
		.amdhsa_reserve_vcc 0
		.amdhsa_float_round_mode_32 0
		.amdhsa_float_round_mode_16_64 0
		.amdhsa_float_denorm_mode_32 3
		.amdhsa_float_denorm_mode_16_64 3
		.amdhsa_dx10_clamp 1
		.amdhsa_ieee_mode 1
		.amdhsa_fp16_overflow 0
		.amdhsa_workgroup_processor_mode 1
		.amdhsa_memory_ordered 1
		.amdhsa_forward_progress 0
		.amdhsa_shared_vgpr_count 0
		.amdhsa_exception_fp_ieee_invalid_op 0
		.amdhsa_exception_fp_denorm_src 0
		.amdhsa_exception_fp_ieee_div_zero 0
		.amdhsa_exception_fp_ieee_overflow 0
		.amdhsa_exception_fp_ieee_underflow 0
		.amdhsa_exception_fp_ieee_inexact 0
		.amdhsa_exception_int_div_zero 0
	.end_amdhsa_kernel
	.section	.text._ZN7rocprim17ROCPRIM_400000_NS6detail17trampoline_kernelINS0_14default_configENS1_25partition_config_selectorILNS1_17partition_subalgoE9EllbEEZZNS1_14partition_implILS5_9ELb0ES3_jPlS8_PNS0_10empty_typeENS0_5tupleIJS8_S9_EEENSB_IJS8_SA_EEENS0_18inequality_wrapperIZN2at6native12_GLOBAL__N_124unique_dim_cuda_templateIhEESt5tupleIJNSF_6TensorESK_SK_EERKSK_lbbbEUlllE0_EEPmJS9_EEE10hipError_tPvRmT3_T4_T5_T6_T7_T9_mT8_P12ihipStream_tbDpT10_ENKUlT_T0_E_clISt17integral_constantIbLb0EES1A_EEDaS15_S16_EUlS15_E_NS1_11comp_targetILNS1_3genE2ELNS1_11target_archE906ELNS1_3gpuE6ELNS1_3repE0EEENS1_30default_config_static_selectorELNS0_4arch9wavefront6targetE0EEEvT1_,"axG",@progbits,_ZN7rocprim17ROCPRIM_400000_NS6detail17trampoline_kernelINS0_14default_configENS1_25partition_config_selectorILNS1_17partition_subalgoE9EllbEEZZNS1_14partition_implILS5_9ELb0ES3_jPlS8_PNS0_10empty_typeENS0_5tupleIJS8_S9_EEENSB_IJS8_SA_EEENS0_18inequality_wrapperIZN2at6native12_GLOBAL__N_124unique_dim_cuda_templateIhEESt5tupleIJNSF_6TensorESK_SK_EERKSK_lbbbEUlllE0_EEPmJS9_EEE10hipError_tPvRmT3_T4_T5_T6_T7_T9_mT8_P12ihipStream_tbDpT10_ENKUlT_T0_E_clISt17integral_constantIbLb0EES1A_EEDaS15_S16_EUlS15_E_NS1_11comp_targetILNS1_3genE2ELNS1_11target_archE906ELNS1_3gpuE6ELNS1_3repE0EEENS1_30default_config_static_selectorELNS0_4arch9wavefront6targetE0EEEvT1_,comdat
.Lfunc_end208:
	.size	_ZN7rocprim17ROCPRIM_400000_NS6detail17trampoline_kernelINS0_14default_configENS1_25partition_config_selectorILNS1_17partition_subalgoE9EllbEEZZNS1_14partition_implILS5_9ELb0ES3_jPlS8_PNS0_10empty_typeENS0_5tupleIJS8_S9_EEENSB_IJS8_SA_EEENS0_18inequality_wrapperIZN2at6native12_GLOBAL__N_124unique_dim_cuda_templateIhEESt5tupleIJNSF_6TensorESK_SK_EERKSK_lbbbEUlllE0_EEPmJS9_EEE10hipError_tPvRmT3_T4_T5_T6_T7_T9_mT8_P12ihipStream_tbDpT10_ENKUlT_T0_E_clISt17integral_constantIbLb0EES1A_EEDaS15_S16_EUlS15_E_NS1_11comp_targetILNS1_3genE2ELNS1_11target_archE906ELNS1_3gpuE6ELNS1_3repE0EEENS1_30default_config_static_selectorELNS0_4arch9wavefront6targetE0EEEvT1_, .Lfunc_end208-_ZN7rocprim17ROCPRIM_400000_NS6detail17trampoline_kernelINS0_14default_configENS1_25partition_config_selectorILNS1_17partition_subalgoE9EllbEEZZNS1_14partition_implILS5_9ELb0ES3_jPlS8_PNS0_10empty_typeENS0_5tupleIJS8_S9_EEENSB_IJS8_SA_EEENS0_18inequality_wrapperIZN2at6native12_GLOBAL__N_124unique_dim_cuda_templateIhEESt5tupleIJNSF_6TensorESK_SK_EERKSK_lbbbEUlllE0_EEPmJS9_EEE10hipError_tPvRmT3_T4_T5_T6_T7_T9_mT8_P12ihipStream_tbDpT10_ENKUlT_T0_E_clISt17integral_constantIbLb0EES1A_EEDaS15_S16_EUlS15_E_NS1_11comp_targetILNS1_3genE2ELNS1_11target_archE906ELNS1_3gpuE6ELNS1_3repE0EEENS1_30default_config_static_selectorELNS0_4arch9wavefront6targetE0EEEvT1_
                                        ; -- End function
	.section	.AMDGPU.csdata,"",@progbits
; Kernel info:
; codeLenInByte = 0
; NumSgprs: 0
; NumVgprs: 0
; ScratchSize: 0
; MemoryBound: 0
; FloatMode: 240
; IeeeMode: 1
; LDSByteSize: 0 bytes/workgroup (compile time only)
; SGPRBlocks: 0
; VGPRBlocks: 0
; NumSGPRsForWavesPerEU: 1
; NumVGPRsForWavesPerEU: 1
; Occupancy: 15
; WaveLimiterHint : 0
; COMPUTE_PGM_RSRC2:SCRATCH_EN: 0
; COMPUTE_PGM_RSRC2:USER_SGPR: 15
; COMPUTE_PGM_RSRC2:TRAP_HANDLER: 0
; COMPUTE_PGM_RSRC2:TGID_X_EN: 1
; COMPUTE_PGM_RSRC2:TGID_Y_EN: 0
; COMPUTE_PGM_RSRC2:TGID_Z_EN: 0
; COMPUTE_PGM_RSRC2:TIDIG_COMP_CNT: 0
	.section	.text._ZN7rocprim17ROCPRIM_400000_NS6detail17trampoline_kernelINS0_14default_configENS1_25partition_config_selectorILNS1_17partition_subalgoE9EllbEEZZNS1_14partition_implILS5_9ELb0ES3_jPlS8_PNS0_10empty_typeENS0_5tupleIJS8_S9_EEENSB_IJS8_SA_EEENS0_18inequality_wrapperIZN2at6native12_GLOBAL__N_124unique_dim_cuda_templateIhEESt5tupleIJNSF_6TensorESK_SK_EERKSK_lbbbEUlllE0_EEPmJS9_EEE10hipError_tPvRmT3_T4_T5_T6_T7_T9_mT8_P12ihipStream_tbDpT10_ENKUlT_T0_E_clISt17integral_constantIbLb0EES1A_EEDaS15_S16_EUlS15_E_NS1_11comp_targetILNS1_3genE10ELNS1_11target_archE1200ELNS1_3gpuE4ELNS1_3repE0EEENS1_30default_config_static_selectorELNS0_4arch9wavefront6targetE0EEEvT1_,"axG",@progbits,_ZN7rocprim17ROCPRIM_400000_NS6detail17trampoline_kernelINS0_14default_configENS1_25partition_config_selectorILNS1_17partition_subalgoE9EllbEEZZNS1_14partition_implILS5_9ELb0ES3_jPlS8_PNS0_10empty_typeENS0_5tupleIJS8_S9_EEENSB_IJS8_SA_EEENS0_18inequality_wrapperIZN2at6native12_GLOBAL__N_124unique_dim_cuda_templateIhEESt5tupleIJNSF_6TensorESK_SK_EERKSK_lbbbEUlllE0_EEPmJS9_EEE10hipError_tPvRmT3_T4_T5_T6_T7_T9_mT8_P12ihipStream_tbDpT10_ENKUlT_T0_E_clISt17integral_constantIbLb0EES1A_EEDaS15_S16_EUlS15_E_NS1_11comp_targetILNS1_3genE10ELNS1_11target_archE1200ELNS1_3gpuE4ELNS1_3repE0EEENS1_30default_config_static_selectorELNS0_4arch9wavefront6targetE0EEEvT1_,comdat
	.globl	_ZN7rocprim17ROCPRIM_400000_NS6detail17trampoline_kernelINS0_14default_configENS1_25partition_config_selectorILNS1_17partition_subalgoE9EllbEEZZNS1_14partition_implILS5_9ELb0ES3_jPlS8_PNS0_10empty_typeENS0_5tupleIJS8_S9_EEENSB_IJS8_SA_EEENS0_18inequality_wrapperIZN2at6native12_GLOBAL__N_124unique_dim_cuda_templateIhEESt5tupleIJNSF_6TensorESK_SK_EERKSK_lbbbEUlllE0_EEPmJS9_EEE10hipError_tPvRmT3_T4_T5_T6_T7_T9_mT8_P12ihipStream_tbDpT10_ENKUlT_T0_E_clISt17integral_constantIbLb0EES1A_EEDaS15_S16_EUlS15_E_NS1_11comp_targetILNS1_3genE10ELNS1_11target_archE1200ELNS1_3gpuE4ELNS1_3repE0EEENS1_30default_config_static_selectorELNS0_4arch9wavefront6targetE0EEEvT1_ ; -- Begin function _ZN7rocprim17ROCPRIM_400000_NS6detail17trampoline_kernelINS0_14default_configENS1_25partition_config_selectorILNS1_17partition_subalgoE9EllbEEZZNS1_14partition_implILS5_9ELb0ES3_jPlS8_PNS0_10empty_typeENS0_5tupleIJS8_S9_EEENSB_IJS8_SA_EEENS0_18inequality_wrapperIZN2at6native12_GLOBAL__N_124unique_dim_cuda_templateIhEESt5tupleIJNSF_6TensorESK_SK_EERKSK_lbbbEUlllE0_EEPmJS9_EEE10hipError_tPvRmT3_T4_T5_T6_T7_T9_mT8_P12ihipStream_tbDpT10_ENKUlT_T0_E_clISt17integral_constantIbLb0EES1A_EEDaS15_S16_EUlS15_E_NS1_11comp_targetILNS1_3genE10ELNS1_11target_archE1200ELNS1_3gpuE4ELNS1_3repE0EEENS1_30default_config_static_selectorELNS0_4arch9wavefront6targetE0EEEvT1_
	.p2align	8
	.type	_ZN7rocprim17ROCPRIM_400000_NS6detail17trampoline_kernelINS0_14default_configENS1_25partition_config_selectorILNS1_17partition_subalgoE9EllbEEZZNS1_14partition_implILS5_9ELb0ES3_jPlS8_PNS0_10empty_typeENS0_5tupleIJS8_S9_EEENSB_IJS8_SA_EEENS0_18inequality_wrapperIZN2at6native12_GLOBAL__N_124unique_dim_cuda_templateIhEESt5tupleIJNSF_6TensorESK_SK_EERKSK_lbbbEUlllE0_EEPmJS9_EEE10hipError_tPvRmT3_T4_T5_T6_T7_T9_mT8_P12ihipStream_tbDpT10_ENKUlT_T0_E_clISt17integral_constantIbLb0EES1A_EEDaS15_S16_EUlS15_E_NS1_11comp_targetILNS1_3genE10ELNS1_11target_archE1200ELNS1_3gpuE4ELNS1_3repE0EEENS1_30default_config_static_selectorELNS0_4arch9wavefront6targetE0EEEvT1_,@function
_ZN7rocprim17ROCPRIM_400000_NS6detail17trampoline_kernelINS0_14default_configENS1_25partition_config_selectorILNS1_17partition_subalgoE9EllbEEZZNS1_14partition_implILS5_9ELb0ES3_jPlS8_PNS0_10empty_typeENS0_5tupleIJS8_S9_EEENSB_IJS8_SA_EEENS0_18inequality_wrapperIZN2at6native12_GLOBAL__N_124unique_dim_cuda_templateIhEESt5tupleIJNSF_6TensorESK_SK_EERKSK_lbbbEUlllE0_EEPmJS9_EEE10hipError_tPvRmT3_T4_T5_T6_T7_T9_mT8_P12ihipStream_tbDpT10_ENKUlT_T0_E_clISt17integral_constantIbLb0EES1A_EEDaS15_S16_EUlS15_E_NS1_11comp_targetILNS1_3genE10ELNS1_11target_archE1200ELNS1_3gpuE4ELNS1_3repE0EEENS1_30default_config_static_selectorELNS0_4arch9wavefront6targetE0EEEvT1_: ; @_ZN7rocprim17ROCPRIM_400000_NS6detail17trampoline_kernelINS0_14default_configENS1_25partition_config_selectorILNS1_17partition_subalgoE9EllbEEZZNS1_14partition_implILS5_9ELb0ES3_jPlS8_PNS0_10empty_typeENS0_5tupleIJS8_S9_EEENSB_IJS8_SA_EEENS0_18inequality_wrapperIZN2at6native12_GLOBAL__N_124unique_dim_cuda_templateIhEESt5tupleIJNSF_6TensorESK_SK_EERKSK_lbbbEUlllE0_EEPmJS9_EEE10hipError_tPvRmT3_T4_T5_T6_T7_T9_mT8_P12ihipStream_tbDpT10_ENKUlT_T0_E_clISt17integral_constantIbLb0EES1A_EEDaS15_S16_EUlS15_E_NS1_11comp_targetILNS1_3genE10ELNS1_11target_archE1200ELNS1_3gpuE4ELNS1_3repE0EEENS1_30default_config_static_selectorELNS0_4arch9wavefront6targetE0EEEvT1_
; %bb.0:
	.section	.rodata,"a",@progbits
	.p2align	6, 0x0
	.amdhsa_kernel _ZN7rocprim17ROCPRIM_400000_NS6detail17trampoline_kernelINS0_14default_configENS1_25partition_config_selectorILNS1_17partition_subalgoE9EllbEEZZNS1_14partition_implILS5_9ELb0ES3_jPlS8_PNS0_10empty_typeENS0_5tupleIJS8_S9_EEENSB_IJS8_SA_EEENS0_18inequality_wrapperIZN2at6native12_GLOBAL__N_124unique_dim_cuda_templateIhEESt5tupleIJNSF_6TensorESK_SK_EERKSK_lbbbEUlllE0_EEPmJS9_EEE10hipError_tPvRmT3_T4_T5_T6_T7_T9_mT8_P12ihipStream_tbDpT10_ENKUlT_T0_E_clISt17integral_constantIbLb0EES1A_EEDaS15_S16_EUlS15_E_NS1_11comp_targetILNS1_3genE10ELNS1_11target_archE1200ELNS1_3gpuE4ELNS1_3repE0EEENS1_30default_config_static_selectorELNS0_4arch9wavefront6targetE0EEEvT1_
		.amdhsa_group_segment_fixed_size 0
		.amdhsa_private_segment_fixed_size 0
		.amdhsa_kernarg_size 120
		.amdhsa_user_sgpr_count 15
		.amdhsa_user_sgpr_dispatch_ptr 0
		.amdhsa_user_sgpr_queue_ptr 0
		.amdhsa_user_sgpr_kernarg_segment_ptr 1
		.amdhsa_user_sgpr_dispatch_id 0
		.amdhsa_user_sgpr_private_segment_size 0
		.amdhsa_wavefront_size32 1
		.amdhsa_uses_dynamic_stack 0
		.amdhsa_enable_private_segment 0
		.amdhsa_system_sgpr_workgroup_id_x 1
		.amdhsa_system_sgpr_workgroup_id_y 0
		.amdhsa_system_sgpr_workgroup_id_z 0
		.amdhsa_system_sgpr_workgroup_info 0
		.amdhsa_system_vgpr_workitem_id 0
		.amdhsa_next_free_vgpr 1
		.amdhsa_next_free_sgpr 1
		.amdhsa_reserve_vcc 0
		.amdhsa_float_round_mode_32 0
		.amdhsa_float_round_mode_16_64 0
		.amdhsa_float_denorm_mode_32 3
		.amdhsa_float_denorm_mode_16_64 3
		.amdhsa_dx10_clamp 1
		.amdhsa_ieee_mode 1
		.amdhsa_fp16_overflow 0
		.amdhsa_workgroup_processor_mode 1
		.amdhsa_memory_ordered 1
		.amdhsa_forward_progress 0
		.amdhsa_shared_vgpr_count 0
		.amdhsa_exception_fp_ieee_invalid_op 0
		.amdhsa_exception_fp_denorm_src 0
		.amdhsa_exception_fp_ieee_div_zero 0
		.amdhsa_exception_fp_ieee_overflow 0
		.amdhsa_exception_fp_ieee_underflow 0
		.amdhsa_exception_fp_ieee_inexact 0
		.amdhsa_exception_int_div_zero 0
	.end_amdhsa_kernel
	.section	.text._ZN7rocprim17ROCPRIM_400000_NS6detail17trampoline_kernelINS0_14default_configENS1_25partition_config_selectorILNS1_17partition_subalgoE9EllbEEZZNS1_14partition_implILS5_9ELb0ES3_jPlS8_PNS0_10empty_typeENS0_5tupleIJS8_S9_EEENSB_IJS8_SA_EEENS0_18inequality_wrapperIZN2at6native12_GLOBAL__N_124unique_dim_cuda_templateIhEESt5tupleIJNSF_6TensorESK_SK_EERKSK_lbbbEUlllE0_EEPmJS9_EEE10hipError_tPvRmT3_T4_T5_T6_T7_T9_mT8_P12ihipStream_tbDpT10_ENKUlT_T0_E_clISt17integral_constantIbLb0EES1A_EEDaS15_S16_EUlS15_E_NS1_11comp_targetILNS1_3genE10ELNS1_11target_archE1200ELNS1_3gpuE4ELNS1_3repE0EEENS1_30default_config_static_selectorELNS0_4arch9wavefront6targetE0EEEvT1_,"axG",@progbits,_ZN7rocprim17ROCPRIM_400000_NS6detail17trampoline_kernelINS0_14default_configENS1_25partition_config_selectorILNS1_17partition_subalgoE9EllbEEZZNS1_14partition_implILS5_9ELb0ES3_jPlS8_PNS0_10empty_typeENS0_5tupleIJS8_S9_EEENSB_IJS8_SA_EEENS0_18inequality_wrapperIZN2at6native12_GLOBAL__N_124unique_dim_cuda_templateIhEESt5tupleIJNSF_6TensorESK_SK_EERKSK_lbbbEUlllE0_EEPmJS9_EEE10hipError_tPvRmT3_T4_T5_T6_T7_T9_mT8_P12ihipStream_tbDpT10_ENKUlT_T0_E_clISt17integral_constantIbLb0EES1A_EEDaS15_S16_EUlS15_E_NS1_11comp_targetILNS1_3genE10ELNS1_11target_archE1200ELNS1_3gpuE4ELNS1_3repE0EEENS1_30default_config_static_selectorELNS0_4arch9wavefront6targetE0EEEvT1_,comdat
.Lfunc_end209:
	.size	_ZN7rocprim17ROCPRIM_400000_NS6detail17trampoline_kernelINS0_14default_configENS1_25partition_config_selectorILNS1_17partition_subalgoE9EllbEEZZNS1_14partition_implILS5_9ELb0ES3_jPlS8_PNS0_10empty_typeENS0_5tupleIJS8_S9_EEENSB_IJS8_SA_EEENS0_18inequality_wrapperIZN2at6native12_GLOBAL__N_124unique_dim_cuda_templateIhEESt5tupleIJNSF_6TensorESK_SK_EERKSK_lbbbEUlllE0_EEPmJS9_EEE10hipError_tPvRmT3_T4_T5_T6_T7_T9_mT8_P12ihipStream_tbDpT10_ENKUlT_T0_E_clISt17integral_constantIbLb0EES1A_EEDaS15_S16_EUlS15_E_NS1_11comp_targetILNS1_3genE10ELNS1_11target_archE1200ELNS1_3gpuE4ELNS1_3repE0EEENS1_30default_config_static_selectorELNS0_4arch9wavefront6targetE0EEEvT1_, .Lfunc_end209-_ZN7rocprim17ROCPRIM_400000_NS6detail17trampoline_kernelINS0_14default_configENS1_25partition_config_selectorILNS1_17partition_subalgoE9EllbEEZZNS1_14partition_implILS5_9ELb0ES3_jPlS8_PNS0_10empty_typeENS0_5tupleIJS8_S9_EEENSB_IJS8_SA_EEENS0_18inequality_wrapperIZN2at6native12_GLOBAL__N_124unique_dim_cuda_templateIhEESt5tupleIJNSF_6TensorESK_SK_EERKSK_lbbbEUlllE0_EEPmJS9_EEE10hipError_tPvRmT3_T4_T5_T6_T7_T9_mT8_P12ihipStream_tbDpT10_ENKUlT_T0_E_clISt17integral_constantIbLb0EES1A_EEDaS15_S16_EUlS15_E_NS1_11comp_targetILNS1_3genE10ELNS1_11target_archE1200ELNS1_3gpuE4ELNS1_3repE0EEENS1_30default_config_static_selectorELNS0_4arch9wavefront6targetE0EEEvT1_
                                        ; -- End function
	.section	.AMDGPU.csdata,"",@progbits
; Kernel info:
; codeLenInByte = 0
; NumSgprs: 0
; NumVgprs: 0
; ScratchSize: 0
; MemoryBound: 0
; FloatMode: 240
; IeeeMode: 1
; LDSByteSize: 0 bytes/workgroup (compile time only)
; SGPRBlocks: 0
; VGPRBlocks: 0
; NumSGPRsForWavesPerEU: 1
; NumVGPRsForWavesPerEU: 1
; Occupancy: 15
; WaveLimiterHint : 0
; COMPUTE_PGM_RSRC2:SCRATCH_EN: 0
; COMPUTE_PGM_RSRC2:USER_SGPR: 15
; COMPUTE_PGM_RSRC2:TRAP_HANDLER: 0
; COMPUTE_PGM_RSRC2:TGID_X_EN: 1
; COMPUTE_PGM_RSRC2:TGID_Y_EN: 0
; COMPUTE_PGM_RSRC2:TGID_Z_EN: 0
; COMPUTE_PGM_RSRC2:TIDIG_COMP_CNT: 0
	.section	.text._ZN7rocprim17ROCPRIM_400000_NS6detail17trampoline_kernelINS0_14default_configENS1_25partition_config_selectorILNS1_17partition_subalgoE9EllbEEZZNS1_14partition_implILS5_9ELb0ES3_jPlS8_PNS0_10empty_typeENS0_5tupleIJS8_S9_EEENSB_IJS8_SA_EEENS0_18inequality_wrapperIZN2at6native12_GLOBAL__N_124unique_dim_cuda_templateIhEESt5tupleIJNSF_6TensorESK_SK_EERKSK_lbbbEUlllE0_EEPmJS9_EEE10hipError_tPvRmT3_T4_T5_T6_T7_T9_mT8_P12ihipStream_tbDpT10_ENKUlT_T0_E_clISt17integral_constantIbLb0EES1A_EEDaS15_S16_EUlS15_E_NS1_11comp_targetILNS1_3genE9ELNS1_11target_archE1100ELNS1_3gpuE3ELNS1_3repE0EEENS1_30default_config_static_selectorELNS0_4arch9wavefront6targetE0EEEvT1_,"axG",@progbits,_ZN7rocprim17ROCPRIM_400000_NS6detail17trampoline_kernelINS0_14default_configENS1_25partition_config_selectorILNS1_17partition_subalgoE9EllbEEZZNS1_14partition_implILS5_9ELb0ES3_jPlS8_PNS0_10empty_typeENS0_5tupleIJS8_S9_EEENSB_IJS8_SA_EEENS0_18inequality_wrapperIZN2at6native12_GLOBAL__N_124unique_dim_cuda_templateIhEESt5tupleIJNSF_6TensorESK_SK_EERKSK_lbbbEUlllE0_EEPmJS9_EEE10hipError_tPvRmT3_T4_T5_T6_T7_T9_mT8_P12ihipStream_tbDpT10_ENKUlT_T0_E_clISt17integral_constantIbLb0EES1A_EEDaS15_S16_EUlS15_E_NS1_11comp_targetILNS1_3genE9ELNS1_11target_archE1100ELNS1_3gpuE3ELNS1_3repE0EEENS1_30default_config_static_selectorELNS0_4arch9wavefront6targetE0EEEvT1_,comdat
	.globl	_ZN7rocprim17ROCPRIM_400000_NS6detail17trampoline_kernelINS0_14default_configENS1_25partition_config_selectorILNS1_17partition_subalgoE9EllbEEZZNS1_14partition_implILS5_9ELb0ES3_jPlS8_PNS0_10empty_typeENS0_5tupleIJS8_S9_EEENSB_IJS8_SA_EEENS0_18inequality_wrapperIZN2at6native12_GLOBAL__N_124unique_dim_cuda_templateIhEESt5tupleIJNSF_6TensorESK_SK_EERKSK_lbbbEUlllE0_EEPmJS9_EEE10hipError_tPvRmT3_T4_T5_T6_T7_T9_mT8_P12ihipStream_tbDpT10_ENKUlT_T0_E_clISt17integral_constantIbLb0EES1A_EEDaS15_S16_EUlS15_E_NS1_11comp_targetILNS1_3genE9ELNS1_11target_archE1100ELNS1_3gpuE3ELNS1_3repE0EEENS1_30default_config_static_selectorELNS0_4arch9wavefront6targetE0EEEvT1_ ; -- Begin function _ZN7rocprim17ROCPRIM_400000_NS6detail17trampoline_kernelINS0_14default_configENS1_25partition_config_selectorILNS1_17partition_subalgoE9EllbEEZZNS1_14partition_implILS5_9ELb0ES3_jPlS8_PNS0_10empty_typeENS0_5tupleIJS8_S9_EEENSB_IJS8_SA_EEENS0_18inequality_wrapperIZN2at6native12_GLOBAL__N_124unique_dim_cuda_templateIhEESt5tupleIJNSF_6TensorESK_SK_EERKSK_lbbbEUlllE0_EEPmJS9_EEE10hipError_tPvRmT3_T4_T5_T6_T7_T9_mT8_P12ihipStream_tbDpT10_ENKUlT_T0_E_clISt17integral_constantIbLb0EES1A_EEDaS15_S16_EUlS15_E_NS1_11comp_targetILNS1_3genE9ELNS1_11target_archE1100ELNS1_3gpuE3ELNS1_3repE0EEENS1_30default_config_static_selectorELNS0_4arch9wavefront6targetE0EEEvT1_
	.p2align	8
	.type	_ZN7rocprim17ROCPRIM_400000_NS6detail17trampoline_kernelINS0_14default_configENS1_25partition_config_selectorILNS1_17partition_subalgoE9EllbEEZZNS1_14partition_implILS5_9ELb0ES3_jPlS8_PNS0_10empty_typeENS0_5tupleIJS8_S9_EEENSB_IJS8_SA_EEENS0_18inequality_wrapperIZN2at6native12_GLOBAL__N_124unique_dim_cuda_templateIhEESt5tupleIJNSF_6TensorESK_SK_EERKSK_lbbbEUlllE0_EEPmJS9_EEE10hipError_tPvRmT3_T4_T5_T6_T7_T9_mT8_P12ihipStream_tbDpT10_ENKUlT_T0_E_clISt17integral_constantIbLb0EES1A_EEDaS15_S16_EUlS15_E_NS1_11comp_targetILNS1_3genE9ELNS1_11target_archE1100ELNS1_3gpuE3ELNS1_3repE0EEENS1_30default_config_static_selectorELNS0_4arch9wavefront6targetE0EEEvT1_,@function
_ZN7rocprim17ROCPRIM_400000_NS6detail17trampoline_kernelINS0_14default_configENS1_25partition_config_selectorILNS1_17partition_subalgoE9EllbEEZZNS1_14partition_implILS5_9ELb0ES3_jPlS8_PNS0_10empty_typeENS0_5tupleIJS8_S9_EEENSB_IJS8_SA_EEENS0_18inequality_wrapperIZN2at6native12_GLOBAL__N_124unique_dim_cuda_templateIhEESt5tupleIJNSF_6TensorESK_SK_EERKSK_lbbbEUlllE0_EEPmJS9_EEE10hipError_tPvRmT3_T4_T5_T6_T7_T9_mT8_P12ihipStream_tbDpT10_ENKUlT_T0_E_clISt17integral_constantIbLb0EES1A_EEDaS15_S16_EUlS15_E_NS1_11comp_targetILNS1_3genE9ELNS1_11target_archE1100ELNS1_3gpuE3ELNS1_3repE0EEENS1_30default_config_static_selectorELNS0_4arch9wavefront6targetE0EEEvT1_: ; @_ZN7rocprim17ROCPRIM_400000_NS6detail17trampoline_kernelINS0_14default_configENS1_25partition_config_selectorILNS1_17partition_subalgoE9EllbEEZZNS1_14partition_implILS5_9ELb0ES3_jPlS8_PNS0_10empty_typeENS0_5tupleIJS8_S9_EEENSB_IJS8_SA_EEENS0_18inequality_wrapperIZN2at6native12_GLOBAL__N_124unique_dim_cuda_templateIhEESt5tupleIJNSF_6TensorESK_SK_EERKSK_lbbbEUlllE0_EEPmJS9_EEE10hipError_tPvRmT3_T4_T5_T6_T7_T9_mT8_P12ihipStream_tbDpT10_ENKUlT_T0_E_clISt17integral_constantIbLb0EES1A_EEDaS15_S16_EUlS15_E_NS1_11comp_targetILNS1_3genE9ELNS1_11target_archE1100ELNS1_3gpuE3ELNS1_3repE0EEENS1_30default_config_static_selectorELNS0_4arch9wavefront6targetE0EEEvT1_
; %bb.0:
	s_clause 0x3
	s_load_b128 s[4:7], s[0:1], 0x8
	s_load_b32 s8, s[0:1], 0x70
	s_load_b256 s[16:23], s[0:1], 0x40
	s_load_b64 s[24:25], s[0:1], 0x18
	s_mov_b32 s3, 0
	v_lshlrev_b32_e32 v55, 3, v0
	v_lshrrev_b32_e32 v33, 2, v0
	v_or_b32_e32 v38, 0x200, v0
	v_or_b32_e32 v36, 0x400, v0
	;; [unrolled: 1-line block ×7, first 2 shown]
	s_waitcnt lgkmcnt(0)
	s_lshl_b64 s[26:27], s[6:7], 3
	s_delay_alu instid0(SALU_CYCLE_1)
	s_add_u32 s9, s4, s26
	s_addc_u32 s10, s5, s27
	s_add_i32 s11, s8, -1
	s_load_b64 s[12:13], s[18:19], 0x0
	s_lshl_b32 s4, s11, 12
	s_lshl_b32 s5, s8, 12
	s_add_i32 s4, s6, s4
	s_lshl_b32 s2, s15, 12
	s_sub_i32 s28, s20, s4
	s_add_u32 s4, s6, s5
	s_addc_u32 s5, s7, 0
	s_cmp_eq_u32 s15, s11
	v_cmp_ge_u64_e64 s4, s[4:5], s[20:21]
	s_cselect_b32 s14, -1, 0
	s_lshl_b64 s[18:19], s[2:3], 3
	s_mov_b32 s3, -1
	s_delay_alu instid0(VALU_DEP_1) | instskip(NEXT) | instid1(SALU_CYCLE_1)
	s_and_b32 s21, s14, s4
	s_xor_b32 s20, s21, -1
	s_add_u32 s4, s9, s18
	s_addc_u32 s5, s10, s19
	s_and_b32 vcc_lo, exec_lo, s20
	s_cbranch_vccz .LBB210_2
; %bb.1:
	v_add_co_u32 v9, s2, s4, v55
	s_delay_alu instid0(VALU_DEP_1)
	v_add_co_ci_u32_e64 v10, null, s5, 0, s2
	global_load_b64 v[1:2], v55, s[4:5]
	v_add_co_u32 v3, vcc_lo, v9, 0x2000
	v_add_co_ci_u32_e32 v4, vcc_lo, 0, v10, vcc_lo
	v_add_co_u32 v5, vcc_lo, v9, 0x4000
	v_add_co_ci_u32_e32 v6, vcc_lo, 0, v10, vcc_lo
	;; [unrolled: 2-line block ×4, first 2 shown]
	s_clause 0x6
	global_load_b64 v[11:12], v[3:4], off offset:-4096
	global_load_b64 v[3:4], v[3:4], off
	global_load_b64 v[13:14], v[5:6], off offset:-4096
	global_load_b64 v[5:6], v[5:6], off
	;; [unrolled: 2-line block ×3, first 2 shown]
	global_load_b64 v[9:10], v[9:10], off
	v_lshrrev_b32_e32 v18, 2, v38
	v_lshrrev_b32_e32 v19, 2, v36
	;; [unrolled: 1-line block ×4, first 2 shown]
	v_and_b32_e32 v17, 0x78, v33
	v_lshrrev_b32_e32 v22, 2, v37
	v_lshrrev_b32_e32 v23, 2, v34
	;; [unrolled: 1-line block ×3, first 2 shown]
	v_and_b32_e32 v18, 0xf8, v18
	v_and_b32_e32 v19, 0x178, v19
	;; [unrolled: 1-line block ×4, first 2 shown]
	v_add_nc_u32_e32 v17, v17, v55
	v_and_b32_e32 v22, 0x2f8, v22
	v_and_b32_e32 v23, 0x378, v23
	;; [unrolled: 1-line block ×3, first 2 shown]
	v_add_nc_u32_e32 v18, v18, v55
	v_add_nc_u32_e32 v19, v19, v55
	;; [unrolled: 1-line block ×4, first 2 shown]
	s_mov_b32 s3, 0
	v_add_nc_u32_e32 v22, v22, v55
	v_add_nc_u32_e32 v23, v23, v55
	v_add_nc_u32_e32 v24, v24, v55
	s_waitcnt vmcnt(7)
	ds_store_b64 v17, v[1:2]
	s_waitcnt vmcnt(6)
	ds_store_b64 v18, v[11:12] offset:4096
	s_waitcnt vmcnt(5)
	ds_store_b64 v19, v[3:4] offset:8192
	;; [unrolled: 2-line block ×7, first 2 shown]
	s_waitcnt lgkmcnt(0)
	s_barrier
.LBB210_2:
	s_load_b128 s[8:11], s[0:1], 0x60
	v_cmp_gt_u32_e64 s2, s28, v0
	s_and_not1_b32 vcc_lo, exec_lo, s3
	s_cbranch_vccnz .LBB210_20
; %bb.3:
                                        ; implicit-def: $vgpr1_vgpr2_vgpr3_vgpr4_vgpr5_vgpr6_vgpr7_vgpr8_vgpr9_vgpr10_vgpr11_vgpr12_vgpr13_vgpr14_vgpr15_vgpr16
	s_delay_alu instid0(VALU_DEP_1)
	s_and_saveexec_b32 s3, s2
	s_cbranch_execz .LBB210_11
; %bb.4:
	global_load_b64 v[1:2], v55, s[4:5]
	s_or_b32 exec_lo, exec_lo, s3
	s_delay_alu instid0(SALU_CYCLE_1)
	s_mov_b32 s2, exec_lo
	v_cmpx_gt_u32_e64 s28, v38
	s_cbranch_execnz .LBB210_12
.LBB210_5:
	s_or_b32 exec_lo, exec_lo, s2
	s_delay_alu instid0(SALU_CYCLE_1)
	s_mov_b32 s2, exec_lo
	v_cmpx_gt_u32_e64 s28, v36
	s_cbranch_execz .LBB210_13
.LBB210_6:
	v_lshlrev_b32_e32 v5, 3, v36
	global_load_b64 v[5:6], v5, s[4:5]
	s_or_b32 exec_lo, exec_lo, s2
	s_delay_alu instid0(SALU_CYCLE_1)
	s_mov_b32 s2, exec_lo
	v_cmpx_gt_u32_e64 s28, v40
	s_cbranch_execnz .LBB210_14
.LBB210_7:
	s_or_b32 exec_lo, exec_lo, s2
	s_delay_alu instid0(SALU_CYCLE_1)
	s_mov_b32 s2, exec_lo
	v_cmpx_gt_u32_e64 s28, v39
	s_cbranch_execz .LBB210_15
.LBB210_8:
	v_lshlrev_b32_e32 v9, 3, v39
	global_load_b64 v[9:10], v9, s[4:5]
	s_or_b32 exec_lo, exec_lo, s2
	s_delay_alu instid0(SALU_CYCLE_1)
	s_mov_b32 s2, exec_lo
	v_cmpx_gt_u32_e64 s28, v37
	s_cbranch_execnz .LBB210_16
.LBB210_9:
	s_or_b32 exec_lo, exec_lo, s2
	s_delay_alu instid0(SALU_CYCLE_1)
	s_mov_b32 s2, exec_lo
	v_cmpx_gt_u32_e64 s28, v34
	s_cbranch_execz .LBB210_17
.LBB210_10:
	v_lshlrev_b32_e32 v13, 3, v34
	global_load_b64 v[13:14], v13, s[4:5]
	s_or_b32 exec_lo, exec_lo, s2
	s_delay_alu instid0(SALU_CYCLE_1)
	s_mov_b32 s2, exec_lo
	v_cmpx_gt_u32_e64 s28, v35
	s_cbranch_execnz .LBB210_18
	s_branch .LBB210_19
.LBB210_11:
	s_or_b32 exec_lo, exec_lo, s3
	s_delay_alu instid0(SALU_CYCLE_1)
	s_mov_b32 s2, exec_lo
	v_cmpx_gt_u32_e64 s28, v38
	s_cbranch_execz .LBB210_5
.LBB210_12:
	v_lshlrev_b32_e32 v3, 3, v38
	global_load_b64 v[3:4], v3, s[4:5]
	s_or_b32 exec_lo, exec_lo, s2
	s_delay_alu instid0(SALU_CYCLE_1)
	s_mov_b32 s2, exec_lo
	v_cmpx_gt_u32_e64 s28, v36
	s_cbranch_execnz .LBB210_6
.LBB210_13:
	s_or_b32 exec_lo, exec_lo, s2
	s_delay_alu instid0(SALU_CYCLE_1)
	s_mov_b32 s2, exec_lo
	v_cmpx_gt_u32_e64 s28, v40
	s_cbranch_execz .LBB210_7
.LBB210_14:
	v_lshlrev_b32_e32 v7, 3, v40
	global_load_b64 v[7:8], v7, s[4:5]
	s_or_b32 exec_lo, exec_lo, s2
	s_delay_alu instid0(SALU_CYCLE_1)
	s_mov_b32 s2, exec_lo
	v_cmpx_gt_u32_e64 s28, v39
	s_cbranch_execnz .LBB210_8
.LBB210_15:
	s_or_b32 exec_lo, exec_lo, s2
	s_delay_alu instid0(SALU_CYCLE_1)
	s_mov_b32 s2, exec_lo
	v_cmpx_gt_u32_e64 s28, v37
	s_cbranch_execz .LBB210_9
.LBB210_16:
	v_lshlrev_b32_e32 v11, 3, v37
	global_load_b64 v[11:12], v11, s[4:5]
	s_or_b32 exec_lo, exec_lo, s2
	s_delay_alu instid0(SALU_CYCLE_1)
	s_mov_b32 s2, exec_lo
	v_cmpx_gt_u32_e64 s28, v34
	s_cbranch_execnz .LBB210_10
.LBB210_17:
	s_or_b32 exec_lo, exec_lo, s2
	s_delay_alu instid0(SALU_CYCLE_1)
	s_mov_b32 s2, exec_lo
	v_cmpx_gt_u32_e64 s28, v35
	s_cbranch_execz .LBB210_19
.LBB210_18:
	v_lshlrev_b32_e32 v15, 3, v35
	global_load_b64 v[15:16], v15, s[4:5]
.LBB210_19:
	s_or_b32 exec_lo, exec_lo, s2
	v_lshrrev_b32_e32 v17, 2, v38
	v_lshrrev_b32_e32 v18, 2, v36
	;; [unrolled: 1-line block ×4, first 2 shown]
	v_and_b32_e32 v19, 0x78, v33
	v_lshrrev_b32_e32 v22, 2, v37
	v_lshrrev_b32_e32 v23, 2, v34
	;; [unrolled: 1-line block ×3, first 2 shown]
	v_and_b32_e32 v17, 0xf8, v17
	v_and_b32_e32 v18, 0x1f8, v18
	;; [unrolled: 1-line block ×4, first 2 shown]
	v_add_nc_u32_e32 v19, v19, v55
	v_and_b32_e32 v22, 0x3f8, v22
	v_and_b32_e32 v23, 0x3f8, v23
	;; [unrolled: 1-line block ×3, first 2 shown]
	v_add_nc_u32_e32 v17, v17, v55
	v_add_nc_u32_e32 v18, v18, v55
	;; [unrolled: 1-line block ×7, first 2 shown]
	s_waitcnt vmcnt(0)
	ds_store_b64 v19, v[1:2]
	ds_store_b64 v17, v[3:4] offset:4096
	ds_store_b64 v18, v[5:6] offset:8192
	;; [unrolled: 1-line block ×7, first 2 shown]
	s_waitcnt lgkmcnt(0)
	s_barrier
.LBB210_20:
	v_add_lshl_u32 v41, v33, v55, 3
	s_waitcnt lgkmcnt(0)
	buffer_gl0_inv
	s_add_u32 s2, s24, s26
	s_addc_u32 s3, s25, s27
	s_add_u32 s2, s2, s18
	ds_load_2addr_b64 v[29:32], v41 offset1:1
	ds_load_2addr_b64 v[25:28], v41 offset0:2 offset1:3
	ds_load_2addr_b64 v[21:24], v41 offset0:4 offset1:5
	;; [unrolled: 1-line block ×3, first 2 shown]
	s_addc_u32 s3, s3, s19
	s_and_b32 vcc_lo, exec_lo, s20
	s_mov_b32 s18, -1
	s_waitcnt lgkmcnt(0)
	s_barrier
	buffer_gl0_inv
	s_cbranch_vccz .LBB210_22
; %bb.21:
	v_add_co_u32 v9, s18, s2, v55
	s_delay_alu instid0(VALU_DEP_1)
	v_add_co_ci_u32_e64 v10, null, s3, 0, s18
	global_load_b64 v[1:2], v55, s[2:3]
	v_add_co_u32 v3, vcc_lo, v9, 0x2000
	v_add_co_ci_u32_e32 v4, vcc_lo, 0, v10, vcc_lo
	v_add_co_u32 v5, vcc_lo, v9, 0x4000
	v_add_co_ci_u32_e32 v6, vcc_lo, 0, v10, vcc_lo
	;; [unrolled: 2-line block ×4, first 2 shown]
	s_clause 0x6
	global_load_b64 v[11:12], v[3:4], off offset:-4096
	global_load_b64 v[3:4], v[3:4], off
	global_load_b64 v[13:14], v[5:6], off offset:-4096
	global_load_b64 v[5:6], v[5:6], off
	;; [unrolled: 2-line block ×3, first 2 shown]
	global_load_b64 v[9:10], v[9:10], off
	v_lshrrev_b32_e32 v43, 2, v38
	v_lshrrev_b32_e32 v44, 2, v36
	;; [unrolled: 1-line block ×4, first 2 shown]
	v_and_b32_e32 v42, 0x78, v33
	v_lshrrev_b32_e32 v47, 2, v37
	v_lshrrev_b32_e32 v48, 2, v34
	;; [unrolled: 1-line block ×3, first 2 shown]
	v_and_b32_e32 v43, 0xf8, v43
	v_and_b32_e32 v44, 0x178, v44
	;; [unrolled: 1-line block ×4, first 2 shown]
	v_add_nc_u32_e32 v42, v42, v55
	v_and_b32_e32 v47, 0x2f8, v47
	v_and_b32_e32 v48, 0x378, v48
	;; [unrolled: 1-line block ×3, first 2 shown]
	v_add_nc_u32_e32 v43, v43, v55
	v_add_nc_u32_e32 v44, v44, v55
	;; [unrolled: 1-line block ×4, first 2 shown]
	s_mov_b32 s18, 0
	v_add_nc_u32_e32 v47, v47, v55
	v_add_nc_u32_e32 v48, v48, v55
	;; [unrolled: 1-line block ×3, first 2 shown]
	s_waitcnt vmcnt(7)
	ds_store_b64 v42, v[1:2]
	s_waitcnt vmcnt(6)
	ds_store_b64 v43, v[11:12] offset:4096
	s_waitcnt vmcnt(5)
	ds_store_b64 v44, v[3:4] offset:8192
	;; [unrolled: 2-line block ×7, first 2 shown]
	s_waitcnt lgkmcnt(0)
	s_barrier
.LBB210_22:
	s_and_not1_b32 vcc_lo, exec_lo, s18
	s_cbranch_vccnz .LBB210_40
; %bb.23:
	s_mov_b32 s18, exec_lo
                                        ; implicit-def: $vgpr1_vgpr2
	v_cmpx_gt_u32_e64 s28, v0
	s_cbranch_execz .LBB210_25
; %bb.24:
	global_load_b64 v[1:2], v55, s[2:3]
.LBB210_25:
	s_or_b32 exec_lo, exec_lo, s18
	s_delay_alu instid0(SALU_CYCLE_1)
	s_mov_b32 s18, exec_lo
                                        ; implicit-def: $vgpr3_vgpr4
	v_cmpx_gt_u32_e64 s28, v38
	s_cbranch_execz .LBB210_27
; %bb.26:
	v_lshlrev_b32_e32 v3, 3, v38
	global_load_b64 v[3:4], v3, s[2:3]
.LBB210_27:
	s_or_b32 exec_lo, exec_lo, s18
	s_delay_alu instid0(SALU_CYCLE_1)
	s_mov_b32 s18, exec_lo
                                        ; implicit-def: $vgpr5_vgpr6
	v_cmpx_gt_u32_e64 s28, v36
	s_cbranch_execz .LBB210_29
; %bb.28:
	v_lshlrev_b32_e32 v5, 3, v36
	global_load_b64 v[5:6], v5, s[2:3]
.LBB210_29:
	s_or_b32 exec_lo, exec_lo, s18
	s_delay_alu instid0(SALU_CYCLE_1)
	s_mov_b32 s18, exec_lo
                                        ; implicit-def: $vgpr7_vgpr8
	v_cmpx_gt_u32_e64 s28, v40
	s_cbranch_execz .LBB210_31
; %bb.30:
	v_lshlrev_b32_e32 v7, 3, v40
	global_load_b64 v[7:8], v7, s[2:3]
.LBB210_31:
	s_or_b32 exec_lo, exec_lo, s18
	s_delay_alu instid0(SALU_CYCLE_1)
	s_mov_b32 s18, exec_lo
                                        ; implicit-def: $vgpr9_vgpr10
	v_cmpx_gt_u32_e64 s28, v39
	s_cbranch_execz .LBB210_33
; %bb.32:
	v_lshlrev_b32_e32 v9, 3, v39
	global_load_b64 v[9:10], v9, s[2:3]
.LBB210_33:
	s_or_b32 exec_lo, exec_lo, s18
	s_delay_alu instid0(SALU_CYCLE_1)
	s_mov_b32 s18, exec_lo
                                        ; implicit-def: $vgpr11_vgpr12
	v_cmpx_gt_u32_e64 s28, v37
	s_cbranch_execz .LBB210_35
; %bb.34:
	v_lshlrev_b32_e32 v11, 3, v37
	global_load_b64 v[11:12], v11, s[2:3]
.LBB210_35:
	s_or_b32 exec_lo, exec_lo, s18
	s_delay_alu instid0(SALU_CYCLE_1)
	s_mov_b32 s18, exec_lo
                                        ; implicit-def: $vgpr13_vgpr14
	v_cmpx_gt_u32_e64 s28, v34
	s_cbranch_execz .LBB210_37
; %bb.36:
	v_lshlrev_b32_e32 v13, 3, v34
	global_load_b64 v[13:14], v13, s[2:3]
.LBB210_37:
	s_or_b32 exec_lo, exec_lo, s18
	s_delay_alu instid0(SALU_CYCLE_1)
	s_mov_b32 s18, exec_lo
                                        ; implicit-def: $vgpr15_vgpr16
	v_cmpx_gt_u32_e64 s28, v35
	s_cbranch_execz .LBB210_39
; %bb.38:
	v_lshlrev_b32_e32 v15, 3, v35
	global_load_b64 v[15:16], v15, s[2:3]
.LBB210_39:
	s_or_b32 exec_lo, exec_lo, s18
	v_lshrrev_b32_e32 v38, 2, v38
	v_lshrrev_b32_e32 v36, 2, v36
	;; [unrolled: 1-line block ×4, first 2 shown]
	v_and_b32_e32 v33, 0x78, v33
	v_lshrrev_b32_e32 v37, 2, v37
	v_lshrrev_b32_e32 v34, 2, v34
	;; [unrolled: 1-line block ×3, first 2 shown]
	v_and_b32_e32 v38, 0xf8, v38
	v_and_b32_e32 v36, 0x1f8, v36
	;; [unrolled: 1-line block ×4, first 2 shown]
	v_add_nc_u32_e32 v33, v33, v55
	v_and_b32_e32 v37, 0x3f8, v37
	v_and_b32_e32 v34, 0x3f8, v34
	;; [unrolled: 1-line block ×3, first 2 shown]
	v_add_nc_u32_e32 v38, v38, v55
	v_add_nc_u32_e32 v36, v36, v55
	;; [unrolled: 1-line block ×7, first 2 shown]
	s_waitcnt vmcnt(0)
	ds_store_b64 v33, v[1:2]
	ds_store_b64 v38, v[3:4] offset:4096
	ds_store_b64 v36, v[5:6] offset:8192
	;; [unrolled: 1-line block ×7, first 2 shown]
	s_waitcnt lgkmcnt(0)
	s_barrier
.LBB210_40:
	buffer_gl0_inv
	ds_load_2addr_b64 v[13:16], v41 offset1:1
	ds_load_2addr_b64 v[9:12], v41 offset0:2 offset1:3
	ds_load_2addr_b64 v[5:8], v41 offset0:4 offset1:5
	;; [unrolled: 1-line block ×3, first 2 shown]
	s_cmp_lg_u32 s15, 0
	v_cmp_gt_i64_e64 s19, s[22:23], 0
	s_cselect_b32 s18, -1, 0
	s_cmp_lg_u64 s[6:7], 0
	s_mov_b32 s6, 0
	s_cselect_b32 s2, -1, 0
	s_waitcnt lgkmcnt(0)
	s_or_b32 s2, s18, s2
	s_barrier
	s_and_b32 vcc_lo, exec_lo, s2
	buffer_gl0_inv
	s_cbranch_vccz .LBB210_49
; %bb.41:
	s_add_u32 s2, s4, -8
	s_addc_u32 s3, s5, -1
	v_cndmask_b32_e64 v40, 0, 1, s19
	s_load_b64 s[4:5], s[2:3], 0x0
	s_and_b32 vcc_lo, exec_lo, s20
	ds_store_b64 v55, v[19:20]
	v_cmp_ne_u32_e64 s2, 1, v40
	s_cbranch_vccz .LBB210_50
; %bb.42:
	v_mul_lo_u32 v35, v18, s22
	v_mul_lo_u32 v36, v17, s23
	v_mad_u64_u32 v[33:34], null, v17, s22, 0
	s_mov_b32 s24, 0
	s_and_b32 vcc_lo, exec_lo, s2
	s_mov_b32 s25, 0
	s_delay_alu instid0(VALU_DEP_1)
	v_add3_u32 v41, v34, v36, v35
	s_cbranch_vccnz .LBB210_53
; %bb.43:
	v_mad_u64_u32 v[34:35], null, v19, s22, s[8:9]
	v_mul_lo_u32 v38, v19, s23
	v_mul_lo_u32 v39, v20, s22
	v_add_co_u32 v36, vcc_lo, s8, v33
	v_add_co_ci_u32_e32 v37, vcc_lo, s9, v41, vcc_lo
	s_mov_b32 s25, -1
	s_mov_b32 s26, exec_lo
	s_delay_alu instid0(VALU_DEP_3)
	v_add3_u32 v35, v39, v35, v38
	s_clause 0x1
	global_load_u8 v38, v[36:37], off
	global_load_u8 v39, v[34:35], off
	s_waitcnt vmcnt(0)
	v_cmpx_eq_u16_e64 v38, v39
	s_cbranch_execz .LBB210_52
; %bb.44:
	s_mov_b64 s[2:3], 1
	s_mov_b32 s25, 0
                                        ; implicit-def: $sgpr27
	s_set_inst_prefetch_distance 0x1
	s_branch .LBB210_47
	.p2align	6
.LBB210_45:                             ;   in Loop: Header=BB210_47 Depth=1
	v_add_co_u32 v38, vcc_lo, v36, s2
	v_add_co_ci_u32_e32 v39, vcc_lo, s3, v37, vcc_lo
	v_add_co_u32 v42, vcc_lo, v34, s2
	v_add_co_ci_u32_e32 v43, vcc_lo, s3, v35, vcc_lo
	s_add_u32 s6, s2, 1
	s_clause 0x1
	global_load_u8 v38, v[38:39], off
	global_load_u8 v39, v[42:43], off
	s_addc_u32 s7, s3, 0
	s_and_not1_b32 s27, s27, exec_lo
	s_waitcnt vmcnt(0)
	v_cmp_ne_u16_e32 vcc_lo, v38, v39
	s_and_b32 s29, vcc_lo, exec_lo
	s_delay_alu instid0(SALU_CYCLE_1)
	s_or_b32 s27, s27, s29
.LBB210_46:                             ;   in Loop: Header=BB210_47 Depth=1
	v_dual_mov_b32 v39, s3 :: v_dual_mov_b32 v38, s2
	s_and_b32 s29, exec_lo, s27
	s_mov_b64 s[2:3], s[6:7]
	s_or_b32 s25, s29, s25
	s_delay_alu instid0(SALU_CYCLE_1)
	s_and_not1_b32 exec_lo, exec_lo, s25
	s_cbranch_execz .LBB210_51
.LBB210_47:                             ; =>This Inner Loop Header: Depth=1
	s_or_b32 s27, s27, exec_lo
	s_cmp_eq_u64 s[22:23], s[2:3]
	s_cbranch_scc0 .LBB210_45
; %bb.48:                               ;   in Loop: Header=BB210_47 Depth=1
	s_mov_b64 s[2:3], s[22:23]
                                        ; implicit-def: $sgpr6_sgpr7
	s_branch .LBB210_46
.LBB210_49:
                                        ; implicit-def: $sgpr2
                                        ; implicit-def: $vgpr34
	s_branch .LBB210_211
.LBB210_50:
                                        ; implicit-def: $sgpr2
                                        ; implicit-def: $vgpr34
	s_cbranch_execnz .LBB210_119
	s_branch .LBB210_210
.LBB210_51:
	s_set_inst_prefetch_distance 0x2
	s_or_b32 exec_lo, exec_lo, s25
	v_cmp_gt_i64_e32 vcc_lo, s[22:23], v[38:39]
	s_or_not1_b32 s25, vcc_lo, exec_lo
.LBB210_52:
	s_or_b32 exec_lo, exec_lo, s26
.LBB210_53:
	v_mul_lo_u32 v34, v24, s22
	v_mul_lo_u32 v37, v23, s23
	v_mad_u64_u32 v[35:36], null, v23, s22, 0
	s_and_not1_b32 vcc_lo, exec_lo, s19
	s_delay_alu instid0(VALU_DEP_1)
	v_add3_u32 v42, v36, v37, v34
	s_cbranch_vccnz .LBB210_62
; %bb.54:
	s_delay_alu instid0(VALU_DEP_2) | instskip(NEXT) | instid1(VALU_DEP_2)
	v_add_co_u32 v36, vcc_lo, s8, v35
	v_add_co_ci_u32_e32 v37, vcc_lo, s9, v42, vcc_lo
	v_add_co_u32 v33, vcc_lo, s8, v33
	v_add_co_ci_u32_e32 v34, vcc_lo, s9, v41, vcc_lo
	s_mov_b32 s24, -1
	s_clause 0x1
	global_load_u8 v38, v[36:37], off
	global_load_u8 v39, v[33:34], off
	s_mov_b32 s26, exec_lo
	s_waitcnt vmcnt(0)
	v_cmpx_eq_u16_e64 v38, v39
	s_cbranch_execz .LBB210_61
; %bb.55:
	s_mov_b64 s[2:3], 1
	s_mov_b32 s24, 0
                                        ; implicit-def: $sgpr27
	s_set_inst_prefetch_distance 0x1
	s_branch .LBB210_58
	.p2align	6
.LBB210_56:                             ;   in Loop: Header=BB210_58 Depth=1
	v_add_co_u32 v38, vcc_lo, v36, s2
	v_add_co_ci_u32_e32 v39, vcc_lo, s3, v37, vcc_lo
	v_add_co_u32 v43, vcc_lo, v33, s2
	v_add_co_ci_u32_e32 v44, vcc_lo, s3, v34, vcc_lo
	s_add_u32 s6, s2, 1
	s_clause 0x1
	global_load_u8 v38, v[38:39], off
	global_load_u8 v39, v[43:44], off
	s_addc_u32 s7, s3, 0
	s_and_not1_b32 s27, s27, exec_lo
	s_waitcnt vmcnt(0)
	v_cmp_ne_u16_e32 vcc_lo, v38, v39
	s_and_b32 s29, vcc_lo, exec_lo
	s_delay_alu instid0(SALU_CYCLE_1)
	s_or_b32 s27, s27, s29
.LBB210_57:                             ;   in Loop: Header=BB210_58 Depth=1
	v_dual_mov_b32 v39, s3 :: v_dual_mov_b32 v38, s2
	s_and_b32 s29, exec_lo, s27
	s_mov_b64 s[2:3], s[6:7]
	s_or_b32 s24, s29, s24
	s_delay_alu instid0(SALU_CYCLE_1)
	s_and_not1_b32 exec_lo, exec_lo, s24
	s_cbranch_execz .LBB210_60
.LBB210_58:                             ; =>This Inner Loop Header: Depth=1
	s_or_b32 s27, s27, exec_lo
	s_cmp_eq_u64 s[22:23], s[2:3]
	s_cbranch_scc0 .LBB210_56
; %bb.59:                               ;   in Loop: Header=BB210_58 Depth=1
	s_mov_b64 s[2:3], s[22:23]
                                        ; implicit-def: $sgpr6_sgpr7
	s_branch .LBB210_57
.LBB210_60:
	s_set_inst_prefetch_distance 0x2
	s_or_b32 exec_lo, exec_lo, s24
	v_cmp_gt_i64_e32 vcc_lo, s[22:23], v[38:39]
	s_or_not1_b32 s24, vcc_lo, exec_lo
.LBB210_61:
	s_or_b32 exec_lo, exec_lo, s26
.LBB210_62:
	v_mul_lo_u32 v36, v22, s22
	v_mul_lo_u32 v37, v21, s23
	v_mad_u64_u32 v[33:34], null, v21, s22, 0
	s_mov_b32 s26, 0
	s_and_not1_b32 vcc_lo, exec_lo, s19
	s_mov_b32 s27, 0
	s_delay_alu instid0(VALU_DEP_1)
	v_add3_u32 v43, v34, v37, v36
	s_cbranch_vccnz .LBB210_71
; %bb.63:
	s_delay_alu instid0(VALU_DEP_2) | instskip(NEXT) | instid1(VALU_DEP_2)
	v_add_co_u32 v36, vcc_lo, s8, v33
	v_add_co_ci_u32_e32 v37, vcc_lo, s9, v43, vcc_lo
	v_add_co_u32 v34, vcc_lo, s8, v35
	v_add_co_ci_u32_e32 v35, vcc_lo, s9, v42, vcc_lo
	s_mov_b32 s27, -1
	s_clause 0x1
	global_load_u8 v38, v[36:37], off
	global_load_u8 v39, v[34:35], off
	s_mov_b32 s29, exec_lo
	s_waitcnt vmcnt(0)
	v_cmpx_eq_u16_e64 v38, v39
	s_cbranch_execz .LBB210_70
; %bb.64:
	s_mov_b64 s[2:3], 1
	s_mov_b32 s27, 0
                                        ; implicit-def: $sgpr30
	s_set_inst_prefetch_distance 0x1
	s_branch .LBB210_67
	.p2align	6
.LBB210_65:                             ;   in Loop: Header=BB210_67 Depth=1
	v_add_co_u32 v38, vcc_lo, v36, s2
	v_add_co_ci_u32_e32 v39, vcc_lo, s3, v37, vcc_lo
	v_add_co_u32 v41, vcc_lo, v34, s2
	v_add_co_ci_u32_e32 v42, vcc_lo, s3, v35, vcc_lo
	s_add_u32 s6, s2, 1
	s_clause 0x1
	global_load_u8 v38, v[38:39], off
	global_load_u8 v39, v[41:42], off
	s_addc_u32 s7, s3, 0
	s_and_not1_b32 s30, s30, exec_lo
	s_waitcnt vmcnt(0)
	v_cmp_ne_u16_e32 vcc_lo, v38, v39
	s_and_b32 s31, vcc_lo, exec_lo
	s_delay_alu instid0(SALU_CYCLE_1)
	s_or_b32 s30, s30, s31
.LBB210_66:                             ;   in Loop: Header=BB210_67 Depth=1
	v_dual_mov_b32 v39, s3 :: v_dual_mov_b32 v38, s2
	s_and_b32 s31, exec_lo, s30
	s_mov_b64 s[2:3], s[6:7]
	s_or_b32 s27, s31, s27
	s_delay_alu instid0(SALU_CYCLE_1)
	s_and_not1_b32 exec_lo, exec_lo, s27
	s_cbranch_execz .LBB210_69
.LBB210_67:                             ; =>This Inner Loop Header: Depth=1
	s_or_b32 s30, s30, exec_lo
	s_cmp_eq_u64 s[22:23], s[2:3]
	s_cbranch_scc0 .LBB210_65
; %bb.68:                               ;   in Loop: Header=BB210_67 Depth=1
	s_mov_b64 s[2:3], s[22:23]
                                        ; implicit-def: $sgpr6_sgpr7
	s_branch .LBB210_66
.LBB210_69:
	s_set_inst_prefetch_distance 0x2
	s_or_b32 exec_lo, exec_lo, s27
	v_cmp_gt_i64_e32 vcc_lo, s[22:23], v[38:39]
	s_or_not1_b32 s27, vcc_lo, exec_lo
.LBB210_70:
	s_or_b32 exec_lo, exec_lo, s29
.LBB210_71:
	v_mul_lo_u32 v34, v28, s22
	v_mul_lo_u32 v37, v27, s23
	v_mad_u64_u32 v[35:36], null, v27, s22, 0
	s_and_not1_b32 vcc_lo, exec_lo, s19
	s_delay_alu instid0(VALU_DEP_1)
	v_add3_u32 v41, v36, v37, v34
	s_cbranch_vccnz .LBB210_80
; %bb.72:
	s_delay_alu instid0(VALU_DEP_2) | instskip(NEXT) | instid1(VALU_DEP_2)
	v_add_co_u32 v36, vcc_lo, s8, v35
	v_add_co_ci_u32_e32 v37, vcc_lo, s9, v41, vcc_lo
	v_add_co_u32 v33, vcc_lo, s8, v33
	v_add_co_ci_u32_e32 v34, vcc_lo, s9, v43, vcc_lo
	s_mov_b32 s26, -1
	s_clause 0x1
	global_load_u8 v38, v[36:37], off
	global_load_u8 v39, v[33:34], off
	s_mov_b32 s29, exec_lo
	s_waitcnt vmcnt(0)
	v_cmpx_eq_u16_e64 v38, v39
	s_cbranch_execz .LBB210_79
; %bb.73:
	s_mov_b64 s[2:3], 1
	s_mov_b32 s26, 0
                                        ; implicit-def: $sgpr30
	s_set_inst_prefetch_distance 0x1
	s_branch .LBB210_76
	.p2align	6
.LBB210_74:                             ;   in Loop: Header=BB210_76 Depth=1
	v_add_co_u32 v38, vcc_lo, v36, s2
	v_add_co_ci_u32_e32 v39, vcc_lo, s3, v37, vcc_lo
	v_add_co_u32 v42, vcc_lo, v33, s2
	v_add_co_ci_u32_e32 v43, vcc_lo, s3, v34, vcc_lo
	s_add_u32 s6, s2, 1
	s_clause 0x1
	global_load_u8 v38, v[38:39], off
	global_load_u8 v39, v[42:43], off
	s_addc_u32 s7, s3, 0
	s_and_not1_b32 s30, s30, exec_lo
	s_waitcnt vmcnt(0)
	v_cmp_ne_u16_e32 vcc_lo, v38, v39
	s_and_b32 s31, vcc_lo, exec_lo
	s_delay_alu instid0(SALU_CYCLE_1)
	s_or_b32 s30, s30, s31
.LBB210_75:                             ;   in Loop: Header=BB210_76 Depth=1
	v_dual_mov_b32 v39, s3 :: v_dual_mov_b32 v38, s2
	s_and_b32 s31, exec_lo, s30
	s_mov_b64 s[2:3], s[6:7]
	s_or_b32 s26, s31, s26
	s_delay_alu instid0(SALU_CYCLE_1)
	s_and_not1_b32 exec_lo, exec_lo, s26
	s_cbranch_execz .LBB210_78
.LBB210_76:                             ; =>This Inner Loop Header: Depth=1
	s_or_b32 s30, s30, exec_lo
	s_cmp_eq_u64 s[22:23], s[2:3]
	s_cbranch_scc0 .LBB210_74
; %bb.77:                               ;   in Loop: Header=BB210_76 Depth=1
	s_mov_b64 s[2:3], s[22:23]
                                        ; implicit-def: $sgpr6_sgpr7
	s_branch .LBB210_75
.LBB210_78:
	s_set_inst_prefetch_distance 0x2
	s_or_b32 exec_lo, exec_lo, s26
	v_cmp_gt_i64_e32 vcc_lo, s[22:23], v[38:39]
	s_or_not1_b32 s26, vcc_lo, exec_lo
.LBB210_79:
	s_or_b32 exec_lo, exec_lo, s29
.LBB210_80:
	v_mul_lo_u32 v36, v26, s22
	v_mul_lo_u32 v37, v25, s23
	v_mad_u64_u32 v[33:34], null, v25, s22, 0
	s_mov_b32 s29, 0
	s_and_not1_b32 vcc_lo, exec_lo, s19
	s_mov_b32 s30, 0
	s_delay_alu instid0(VALU_DEP_1)
	v_add3_u32 v43, v34, v37, v36
	s_cbranch_vccnz .LBB210_89
; %bb.81:
	s_delay_alu instid0(VALU_DEP_2) | instskip(NEXT) | instid1(VALU_DEP_2)
	v_add_co_u32 v36, vcc_lo, s8, v33
	v_add_co_ci_u32_e32 v37, vcc_lo, s9, v43, vcc_lo
	v_add_co_u32 v34, vcc_lo, s8, v35
	v_add_co_ci_u32_e32 v35, vcc_lo, s9, v41, vcc_lo
	s_mov_b32 s30, -1
	s_clause 0x1
	global_load_u8 v38, v[36:37], off
	global_load_u8 v39, v[34:35], off
	s_mov_b32 s31, exec_lo
	s_waitcnt vmcnt(0)
	v_cmpx_eq_u16_e64 v38, v39
	s_cbranch_execz .LBB210_88
; %bb.82:
	s_mov_b64 s[2:3], 1
	s_mov_b32 s30, 0
                                        ; implicit-def: $sgpr33
	s_set_inst_prefetch_distance 0x1
	s_branch .LBB210_85
	.p2align	6
.LBB210_83:                             ;   in Loop: Header=BB210_85 Depth=1
	v_add_co_u32 v38, vcc_lo, v36, s2
	v_add_co_ci_u32_e32 v39, vcc_lo, s3, v37, vcc_lo
	v_add_co_u32 v41, vcc_lo, v34, s2
	v_add_co_ci_u32_e32 v42, vcc_lo, s3, v35, vcc_lo
	s_add_u32 s6, s2, 1
	s_clause 0x1
	global_load_u8 v38, v[38:39], off
	global_load_u8 v39, v[41:42], off
	s_addc_u32 s7, s3, 0
	s_and_not1_b32 s33, s33, exec_lo
	s_waitcnt vmcnt(0)
	v_cmp_ne_u16_e32 vcc_lo, v38, v39
	s_and_b32 s34, vcc_lo, exec_lo
	s_delay_alu instid0(SALU_CYCLE_1)
	s_or_b32 s33, s33, s34
.LBB210_84:                             ;   in Loop: Header=BB210_85 Depth=1
	v_dual_mov_b32 v39, s3 :: v_dual_mov_b32 v38, s2
	s_and_b32 s34, exec_lo, s33
	s_mov_b64 s[2:3], s[6:7]
	s_or_b32 s30, s34, s30
	s_delay_alu instid0(SALU_CYCLE_1)
	s_and_not1_b32 exec_lo, exec_lo, s30
	s_cbranch_execz .LBB210_87
.LBB210_85:                             ; =>This Inner Loop Header: Depth=1
	s_or_b32 s33, s33, exec_lo
	s_cmp_eq_u64 s[22:23], s[2:3]
	s_cbranch_scc0 .LBB210_83
; %bb.86:                               ;   in Loop: Header=BB210_85 Depth=1
	s_mov_b64 s[2:3], s[22:23]
                                        ; implicit-def: $sgpr6_sgpr7
	s_branch .LBB210_84
.LBB210_87:
	s_set_inst_prefetch_distance 0x2
	s_or_b32 exec_lo, exec_lo, s30
	v_cmp_gt_i64_e32 vcc_lo, s[22:23], v[38:39]
	s_or_not1_b32 s30, vcc_lo, exec_lo
.LBB210_88:
	s_or_b32 exec_lo, exec_lo, s31
.LBB210_89:
	v_mul_lo_u32 v34, v32, s22
	v_mul_lo_u32 v37, v31, s23
	v_mad_u64_u32 v[35:36], null, v31, s22, 0
	s_and_not1_b32 vcc_lo, exec_lo, s19
	s_delay_alu instid0(VALU_DEP_1)
	v_add3_u32 v42, v36, v37, v34
	s_cbranch_vccnz .LBB210_98
; %bb.90:
	s_delay_alu instid0(VALU_DEP_2) | instskip(NEXT) | instid1(VALU_DEP_2)
	v_add_co_u32 v36, vcc_lo, s8, v35
	v_add_co_ci_u32_e32 v37, vcc_lo, s9, v42, vcc_lo
	v_add_co_u32 v33, vcc_lo, s8, v33
	v_add_co_ci_u32_e32 v34, vcc_lo, s9, v43, vcc_lo
	s_mov_b32 s29, -1
	s_clause 0x1
	global_load_u8 v38, v[36:37], off
	global_load_u8 v39, v[33:34], off
	s_mov_b32 s31, exec_lo
	s_waitcnt vmcnt(0)
	v_cmpx_eq_u16_e64 v38, v39
	s_cbranch_execz .LBB210_97
; %bb.91:
	s_mov_b64 s[2:3], 1
	s_mov_b32 s29, 0
                                        ; implicit-def: $sgpr33
	s_set_inst_prefetch_distance 0x1
	s_branch .LBB210_94
	.p2align	6
.LBB210_92:                             ;   in Loop: Header=BB210_94 Depth=1
	v_add_co_u32 v38, vcc_lo, v36, s2
	v_add_co_ci_u32_e32 v39, vcc_lo, s3, v37, vcc_lo
	v_add_co_u32 v43, vcc_lo, v33, s2
	v_add_co_ci_u32_e32 v44, vcc_lo, s3, v34, vcc_lo
	s_add_u32 s6, s2, 1
	s_clause 0x1
	global_load_u8 v38, v[38:39], off
	global_load_u8 v39, v[43:44], off
	s_addc_u32 s7, s3, 0
	s_and_not1_b32 s33, s33, exec_lo
	s_waitcnt vmcnt(0)
	v_cmp_ne_u16_e32 vcc_lo, v38, v39
	s_and_b32 s34, vcc_lo, exec_lo
	s_delay_alu instid0(SALU_CYCLE_1)
	s_or_b32 s33, s33, s34
.LBB210_93:                             ;   in Loop: Header=BB210_94 Depth=1
	v_dual_mov_b32 v39, s3 :: v_dual_mov_b32 v38, s2
	s_and_b32 s34, exec_lo, s33
	s_mov_b64 s[2:3], s[6:7]
	s_or_b32 s29, s34, s29
	s_delay_alu instid0(SALU_CYCLE_1)
	s_and_not1_b32 exec_lo, exec_lo, s29
	s_cbranch_execz .LBB210_96
.LBB210_94:                             ; =>This Inner Loop Header: Depth=1
	s_or_b32 s33, s33, exec_lo
	s_cmp_eq_u64 s[22:23], s[2:3]
	s_cbranch_scc0 .LBB210_92
; %bb.95:                               ;   in Loop: Header=BB210_94 Depth=1
	s_mov_b64 s[2:3], s[22:23]
                                        ; implicit-def: $sgpr6_sgpr7
	s_branch .LBB210_93
.LBB210_96:
	s_set_inst_prefetch_distance 0x2
	s_or_b32 exec_lo, exec_lo, s29
	v_cmp_gt_i64_e32 vcc_lo, s[22:23], v[38:39]
	s_or_not1_b32 s29, vcc_lo, exec_lo
.LBB210_97:
	s_or_b32 exec_lo, exec_lo, s31
.LBB210_98:
	v_mul_lo_u32 v36, v30, s22
	v_mul_lo_u32 v37, v29, s23
	v_mad_u64_u32 v[33:34], null, v29, s22, 0
	s_and_not1_b32 vcc_lo, exec_lo, s19
	s_mov_b32 s2, 0
	s_delay_alu instid0(VALU_DEP_1)
	v_add3_u32 v41, v34, v37, v36
	s_cbranch_vccnz .LBB210_107
; %bb.99:
	s_delay_alu instid0(VALU_DEP_2) | instskip(NEXT) | instid1(VALU_DEP_2)
	v_add_co_u32 v36, vcc_lo, s8, v33
	v_add_co_ci_u32_e32 v37, vcc_lo, s9, v41, vcc_lo
	v_add_co_u32 v34, vcc_lo, s8, v35
	v_add_co_ci_u32_e32 v35, vcc_lo, s9, v42, vcc_lo
	s_mov_b32 s2, -1
	s_clause 0x1
	global_load_u8 v38, v[36:37], off
	global_load_u8 v39, v[34:35], off
	s_mov_b32 s31, exec_lo
	s_waitcnt vmcnt(0)
	v_cmpx_eq_u16_e64 v38, v39
	s_cbranch_execz .LBB210_106
; %bb.100:
	s_mov_b64 s[2:3], 1
	s_mov_b32 s33, 0
                                        ; implicit-def: $sgpr34
	s_set_inst_prefetch_distance 0x1
	s_branch .LBB210_103
	.p2align	6
.LBB210_101:                            ;   in Loop: Header=BB210_103 Depth=1
	v_add_co_u32 v38, vcc_lo, v36, s2
	v_add_co_ci_u32_e32 v39, vcc_lo, s3, v37, vcc_lo
	v_add_co_u32 v42, vcc_lo, v34, s2
	v_add_co_ci_u32_e32 v43, vcc_lo, s3, v35, vcc_lo
	s_add_u32 s6, s2, 1
	s_clause 0x1
	global_load_u8 v38, v[38:39], off
	global_load_u8 v39, v[42:43], off
	s_addc_u32 s7, s3, 0
	s_and_not1_b32 s34, s34, exec_lo
	s_waitcnt vmcnt(0)
	v_cmp_ne_u16_e32 vcc_lo, v38, v39
	s_and_b32 s35, vcc_lo, exec_lo
	s_delay_alu instid0(SALU_CYCLE_1)
	s_or_b32 s34, s34, s35
.LBB210_102:                            ;   in Loop: Header=BB210_103 Depth=1
	v_dual_mov_b32 v39, s3 :: v_dual_mov_b32 v38, s2
	s_and_b32 s35, exec_lo, s34
	s_mov_b64 s[2:3], s[6:7]
	s_or_b32 s33, s35, s33
	s_delay_alu instid0(SALU_CYCLE_1)
	s_and_not1_b32 exec_lo, exec_lo, s33
	s_cbranch_execz .LBB210_105
.LBB210_103:                            ; =>This Inner Loop Header: Depth=1
	s_or_b32 s34, s34, exec_lo
	s_cmp_eq_u64 s[22:23], s[2:3]
	s_cbranch_scc0 .LBB210_101
; %bb.104:                              ;   in Loop: Header=BB210_103 Depth=1
	s_mov_b64 s[2:3], s[22:23]
                                        ; implicit-def: $sgpr6_sgpr7
	s_branch .LBB210_102
.LBB210_105:
	s_set_inst_prefetch_distance 0x2
	s_or_b32 exec_lo, exec_lo, s33
	v_cmp_gt_i64_e32 vcc_lo, s[22:23], v[38:39]
	s_or_not1_b32 s2, vcc_lo, exec_lo
.LBB210_106:
	s_or_b32 exec_lo, exec_lo, s31
.LBB210_107:
	s_waitcnt lgkmcnt(0)
	v_dual_mov_b32 v37, s5 :: v_dual_mov_b32 v36, s4
	s_mov_b32 s3, exec_lo
	s_barrier
	buffer_gl0_inv
	v_cmpx_ne_u32_e32 0, v0
	s_cbranch_execz .LBB210_109
; %bb.108:
	v_add_nc_u32_e32 v34, -8, v55
	ds_load_b64 v[36:37], v34
.LBB210_109:
	s_or_b32 exec_lo, exec_lo, s3
	v_cndmask_b32_e64 v35, 0, 1, s30
	v_cndmask_b32_e64 v39, 0, 1, s27
	;; [unrolled: 1-line block ×7, first 2 shown]
	v_lshlrev_b16 v35, 8, v35
	v_lshlrev_b16 v39, 8, v39
	v_lshlrev_b16 v42, 8, v42
	v_lshlrev_b16 v43, 8, v43
	s_mov_b32 s24, 0
	v_or_b32_e32 v34, v34, v35
	v_or_b32_e32 v35, v38, v39
	;; [unrolled: 1-line block ×3, first 2 shown]
	v_and_b32_e32 v42, 0xffff, v43
	s_and_not1_b32 vcc_lo, exec_lo, s19
	v_lshlrev_b32_e32 v43, 16, v34
	v_and_b32_e32 v44, 0xffff, v35
	v_lshlrev_b32_e32 v45, 16, v38
	s_mov_b32 s2, 0
	s_cbranch_vccnz .LBB210_118
; %bb.110:
	s_waitcnt lgkmcnt(0)
	v_mad_u64_u32 v[34:35], null, v36, s22, s[8:9]
	v_mul_lo_u32 v36, v36, s23
	v_mul_lo_u32 v37, v37, s22
	s_mov_b32 s2, -1
	s_mov_b32 s25, exec_lo
	s_delay_alu instid0(VALU_DEP_1)
	v_add3_u32 v35, v37, v35, v36
	v_add_co_u32 v36, vcc_lo, s8, v33
	v_add_co_ci_u32_e32 v37, vcc_lo, s9, v41, vcc_lo
	s_clause 0x1
	global_load_u8 v33, v[34:35], off
	global_load_u8 v38, v[36:37], off
	s_waitcnt vmcnt(0)
	v_cmpx_eq_u16_e64 v33, v38
	s_cbranch_execz .LBB210_117
; %bb.111:
	s_mov_b64 s[2:3], 1
	s_mov_b32 s26, 0
                                        ; implicit-def: $sgpr27
	s_set_inst_prefetch_distance 0x1
	s_branch .LBB210_114
	.p2align	6
.LBB210_112:                            ;   in Loop: Header=BB210_114 Depth=1
	v_add_co_u32 v38, vcc_lo, v34, s2
	v_add_co_ci_u32_e32 v39, vcc_lo, s3, v35, vcc_lo
	v_add_co_u32 v46, vcc_lo, v36, s2
	v_add_co_ci_u32_e32 v47, vcc_lo, s3, v37, vcc_lo
	s_add_u32 s6, s2, 1
	s_clause 0x1
	global_load_u8 v33, v[38:39], off
	global_load_u8 v38, v[46:47], off
	s_addc_u32 s7, s3, 0
	s_and_not1_b32 s27, s27, exec_lo
	s_waitcnt vmcnt(0)
	v_cmp_ne_u16_e32 vcc_lo, v33, v38
	s_and_b32 s29, vcc_lo, exec_lo
	s_delay_alu instid0(SALU_CYCLE_1)
	s_or_b32 s27, s27, s29
.LBB210_113:                            ;   in Loop: Header=BB210_114 Depth=1
	v_dual_mov_b32 v39, s3 :: v_dual_mov_b32 v38, s2
	s_and_b32 s29, exec_lo, s27
	s_mov_b64 s[2:3], s[6:7]
	s_or_b32 s26, s29, s26
	s_delay_alu instid0(SALU_CYCLE_1)
	s_and_not1_b32 exec_lo, exec_lo, s26
	s_cbranch_execz .LBB210_116
.LBB210_114:                            ; =>This Inner Loop Header: Depth=1
	s_or_b32 s27, s27, exec_lo
	s_cmp_eq_u64 s[22:23], s[2:3]
	s_cbranch_scc0 .LBB210_112
; %bb.115:                              ;   in Loop: Header=BB210_114 Depth=1
	s_mov_b64 s[2:3], s[22:23]
                                        ; implicit-def: $sgpr6_sgpr7
	s_branch .LBB210_113
.LBB210_116:
	s_set_inst_prefetch_distance 0x2
	s_or_b32 exec_lo, exec_lo, s26
	v_cmp_gt_i64_e32 vcc_lo, s[22:23], v[38:39]
	s_or_not1_b32 s2, vcc_lo, exec_lo
.LBB210_117:
	s_or_b32 exec_lo, exec_lo, s25
.LBB210_118:
	v_or_b32_e32 v33, v42, v43
	s_delay_alu instid0(VALU_DEP_2)
	v_or_b32_e32 v34, v44, v45
	s_and_b32 vcc_lo, exec_lo, s24
	s_cbranch_vccz .LBB210_210
.LBB210_119:
	v_or_b32_e32 v33, 7, v55
	s_mov_b32 s24, 0
	s_mov_b32 s25, 0
	s_mov_b32 s26, exec_lo
	s_delay_alu instid0(VALU_DEP_1)
	v_cmpx_gt_u32_e64 s28, v33
	s_cbranch_execz .LBB210_130
; %bb.120:
	s_and_not1_b32 vcc_lo, exec_lo, s19
	s_mov_b32 s2, 0
	s_cbranch_vccnz .LBB210_129
; %bb.121:
	v_mad_u64_u32 v[33:34], null, v17, s22, s[8:9]
	s_waitcnt lgkmcnt(0)
	v_mul_lo_u32 v37, v17, s23
	v_mul_lo_u32 v38, v18, s22
	v_mad_u64_u32 v[35:36], null, v19, s22, s[8:9]
	v_mul_lo_u32 v39, v19, s23
	v_mul_lo_u32 v41, v20, s22
	s_mov_b32 s2, -1
	s_mov_b32 s19, exec_lo
	s_delay_alu instid0(VALU_DEP_4) | instskip(NEXT) | instid1(VALU_DEP_2)
	v_add3_u32 v34, v38, v34, v37
	v_add3_u32 v36, v41, v36, v39
	s_clause 0x1
	global_load_u8 v37, v[33:34], off
	global_load_u8 v38, v[35:36], off
	s_waitcnt vmcnt(0)
	v_cmpx_eq_u16_e64 v37, v38
	s_cbranch_execz .LBB210_128
; %bb.122:
	s_mov_b64 s[2:3], 1
                                        ; implicit-def: $sgpr27
	s_set_inst_prefetch_distance 0x1
	s_branch .LBB210_125
	.p2align	6
.LBB210_123:                            ;   in Loop: Header=BB210_125 Depth=1
	v_add_co_u32 v37, vcc_lo, v33, s2
	v_add_co_ci_u32_e32 v38, vcc_lo, s3, v34, vcc_lo
	v_add_co_u32 v41, vcc_lo, v35, s2
	v_add_co_ci_u32_e32 v42, vcc_lo, s3, v36, vcc_lo
	s_add_u32 s6, s2, 1
	s_clause 0x1
	global_load_u8 v37, v[37:38], off
	global_load_u8 v38, v[41:42], off
	s_addc_u32 s7, s3, 0
	s_and_not1_b32 s27, s27, exec_lo
	s_waitcnt vmcnt(0)
	v_cmp_ne_u16_e32 vcc_lo, v37, v38
	s_and_b32 s29, vcc_lo, exec_lo
	s_delay_alu instid0(SALU_CYCLE_1)
	s_or_b32 s27, s27, s29
.LBB210_124:                            ;   in Loop: Header=BB210_125 Depth=1
	v_dual_mov_b32 v38, s3 :: v_dual_mov_b32 v37, s2
	s_and_b32 s29, exec_lo, s27
	s_mov_b64 s[2:3], s[6:7]
	s_or_b32 s25, s29, s25
	s_delay_alu instid0(SALU_CYCLE_1)
	s_and_not1_b32 exec_lo, exec_lo, s25
	s_cbranch_execz .LBB210_127
.LBB210_125:                            ; =>This Inner Loop Header: Depth=1
	s_or_b32 s27, s27, exec_lo
	s_cmp_eq_u64 s[22:23], s[2:3]
	s_cbranch_scc0 .LBB210_123
; %bb.126:                              ;   in Loop: Header=BB210_125 Depth=1
	s_mov_b64 s[2:3], s[22:23]
                                        ; implicit-def: $sgpr6_sgpr7
	s_branch .LBB210_124
.LBB210_127:
	s_set_inst_prefetch_distance 0x2
	s_or_b32 exec_lo, exec_lo, s25
	v_cmp_gt_i64_e32 vcc_lo, s[22:23], v[37:38]
	s_or_not1_b32 s2, vcc_lo, exec_lo
.LBB210_128:
	s_or_b32 exec_lo, exec_lo, s19
.LBB210_129:
	s_delay_alu instid0(SALU_CYCLE_1)
	s_and_b32 s25, s2, exec_lo
.LBB210_130:
	s_or_b32 exec_lo, exec_lo, s26
	v_or_b32_e32 v33, 6, v55
	s_mov_b32 s19, exec_lo
	s_delay_alu instid0(VALU_DEP_1)
	v_cmpx_gt_u32_e64 s28, v33
	s_cbranch_execz .LBB210_141
; %bb.131:
	v_cmp_ne_u32_e32 vcc_lo, 1, v40
	s_mov_b32 s2, 0
	s_cbranch_vccnz .LBB210_140
; %bb.132:
	v_mad_u64_u32 v[33:34], null, v23, s22, s[8:9]
	s_waitcnt lgkmcnt(0)
	v_mul_lo_u32 v37, v23, s23
	v_mul_lo_u32 v38, v24, s22
	v_mad_u64_u32 v[35:36], null, v17, s22, s[8:9]
	v_mul_lo_u32 v39, v17, s23
	v_mul_lo_u32 v41, v18, s22
	s_mov_b32 s2, -1
	s_mov_b32 s24, exec_lo
	s_delay_alu instid0(VALU_DEP_4) | instskip(NEXT) | instid1(VALU_DEP_2)
	v_add3_u32 v34, v38, v34, v37
	v_add3_u32 v36, v41, v36, v39
	s_clause 0x1
	global_load_u8 v37, v[33:34], off
	global_load_u8 v38, v[35:36], off
	s_waitcnt vmcnt(0)
	v_cmpx_eq_u16_e64 v37, v38
	s_cbranch_execz .LBB210_139
; %bb.133:
	s_mov_b64 s[2:3], 1
	s_mov_b32 s26, 0
                                        ; implicit-def: $sgpr27
	s_set_inst_prefetch_distance 0x1
	s_branch .LBB210_136
	.p2align	6
.LBB210_134:                            ;   in Loop: Header=BB210_136 Depth=1
	v_add_co_u32 v37, vcc_lo, v33, s2
	v_add_co_ci_u32_e32 v38, vcc_lo, s3, v34, vcc_lo
	v_add_co_u32 v41, vcc_lo, v35, s2
	v_add_co_ci_u32_e32 v42, vcc_lo, s3, v36, vcc_lo
	s_add_u32 s6, s2, 1
	s_clause 0x1
	global_load_u8 v37, v[37:38], off
	global_load_u8 v38, v[41:42], off
	s_addc_u32 s7, s3, 0
	s_and_not1_b32 s27, s27, exec_lo
	s_waitcnt vmcnt(0)
	v_cmp_ne_u16_e32 vcc_lo, v37, v38
	s_and_b32 s29, vcc_lo, exec_lo
	s_delay_alu instid0(SALU_CYCLE_1)
	s_or_b32 s27, s27, s29
.LBB210_135:                            ;   in Loop: Header=BB210_136 Depth=1
	v_dual_mov_b32 v38, s3 :: v_dual_mov_b32 v37, s2
	s_and_b32 s29, exec_lo, s27
	s_mov_b64 s[2:3], s[6:7]
	s_or_b32 s26, s29, s26
	s_delay_alu instid0(SALU_CYCLE_1)
	s_and_not1_b32 exec_lo, exec_lo, s26
	s_cbranch_execz .LBB210_138
.LBB210_136:                            ; =>This Inner Loop Header: Depth=1
	s_or_b32 s27, s27, exec_lo
	s_cmp_eq_u64 s[22:23], s[2:3]
	s_cbranch_scc0 .LBB210_134
; %bb.137:                              ;   in Loop: Header=BB210_136 Depth=1
	s_mov_b64 s[2:3], s[22:23]
                                        ; implicit-def: $sgpr6_sgpr7
	s_branch .LBB210_135
.LBB210_138:
	s_set_inst_prefetch_distance 0x2
	s_or_b32 exec_lo, exec_lo, s26
	v_cmp_gt_i64_e32 vcc_lo, s[22:23], v[37:38]
	s_or_not1_b32 s2, vcc_lo, exec_lo
.LBB210_139:
	s_or_b32 exec_lo, exec_lo, s24
.LBB210_140:
	s_delay_alu instid0(SALU_CYCLE_1)
	s_and_b32 s24, s2, exec_lo
.LBB210_141:
	s_or_b32 exec_lo, exec_lo, s19
	v_or_b32_e32 v33, 5, v55
	s_mov_b32 s26, 0
	s_mov_b32 s19, 0
	s_mov_b32 s27, exec_lo
	s_delay_alu instid0(VALU_DEP_1)
	v_cmpx_gt_u32_e64 s28, v33
	s_cbranch_execz .LBB210_152
; %bb.142:
	v_cmp_ne_u32_e32 vcc_lo, 1, v40
	s_mov_b32 s2, 0
	s_cbranch_vccnz .LBB210_151
; %bb.143:
	v_mad_u64_u32 v[33:34], null, v21, s22, s[8:9]
	s_waitcnt lgkmcnt(0)
	v_mul_lo_u32 v37, v21, s23
	v_mul_lo_u32 v38, v22, s22
	v_mad_u64_u32 v[35:36], null, v23, s22, s[8:9]
	v_mul_lo_u32 v39, v23, s23
	v_mul_lo_u32 v41, v24, s22
	s_mov_b32 s2, -1
	s_mov_b32 s19, exec_lo
	s_delay_alu instid0(VALU_DEP_4) | instskip(NEXT) | instid1(VALU_DEP_2)
	v_add3_u32 v34, v38, v34, v37
	v_add3_u32 v36, v41, v36, v39
	s_clause 0x1
	global_load_u8 v37, v[33:34], off
	global_load_u8 v38, v[35:36], off
	s_waitcnt vmcnt(0)
	v_cmpx_eq_u16_e64 v37, v38
	s_cbranch_execz .LBB210_150
; %bb.144:
	s_mov_b64 s[2:3], 1
	s_mov_b32 s29, 0
                                        ; implicit-def: $sgpr30
	s_set_inst_prefetch_distance 0x1
	s_branch .LBB210_147
	.p2align	6
.LBB210_145:                            ;   in Loop: Header=BB210_147 Depth=1
	v_add_co_u32 v37, vcc_lo, v33, s2
	v_add_co_ci_u32_e32 v38, vcc_lo, s3, v34, vcc_lo
	v_add_co_u32 v41, vcc_lo, v35, s2
	v_add_co_ci_u32_e32 v42, vcc_lo, s3, v36, vcc_lo
	s_add_u32 s6, s2, 1
	s_clause 0x1
	global_load_u8 v37, v[37:38], off
	global_load_u8 v38, v[41:42], off
	s_addc_u32 s7, s3, 0
	s_and_not1_b32 s30, s30, exec_lo
	s_waitcnt vmcnt(0)
	v_cmp_ne_u16_e32 vcc_lo, v37, v38
	s_and_b32 s31, vcc_lo, exec_lo
	s_delay_alu instid0(SALU_CYCLE_1)
	s_or_b32 s30, s30, s31
.LBB210_146:                            ;   in Loop: Header=BB210_147 Depth=1
	v_dual_mov_b32 v38, s3 :: v_dual_mov_b32 v37, s2
	s_and_b32 s31, exec_lo, s30
	s_mov_b64 s[2:3], s[6:7]
	s_or_b32 s29, s31, s29
	s_delay_alu instid0(SALU_CYCLE_1)
	s_and_not1_b32 exec_lo, exec_lo, s29
	s_cbranch_execz .LBB210_149
.LBB210_147:                            ; =>This Inner Loop Header: Depth=1
	s_or_b32 s30, s30, exec_lo
	s_cmp_eq_u64 s[22:23], s[2:3]
	s_cbranch_scc0 .LBB210_145
; %bb.148:                              ;   in Loop: Header=BB210_147 Depth=1
	s_mov_b64 s[2:3], s[22:23]
                                        ; implicit-def: $sgpr6_sgpr7
	s_branch .LBB210_146
.LBB210_149:
	s_set_inst_prefetch_distance 0x2
	s_or_b32 exec_lo, exec_lo, s29
	v_cmp_gt_i64_e32 vcc_lo, s[22:23], v[37:38]
	s_or_not1_b32 s2, vcc_lo, exec_lo
.LBB210_150:
	s_or_b32 exec_lo, exec_lo, s19
.LBB210_151:
	s_delay_alu instid0(SALU_CYCLE_1)
	s_and_b32 s19, s2, exec_lo
.LBB210_152:
	s_or_b32 exec_lo, exec_lo, s27
	v_or_b32_e32 v33, 4, v55
	s_mov_b32 s27, exec_lo
	s_delay_alu instid0(VALU_DEP_1)
	v_cmpx_gt_u32_e64 s28, v33
	s_cbranch_execz .LBB210_163
; %bb.153:
	v_cmp_ne_u32_e32 vcc_lo, 1, v40
	s_mov_b32 s2, 0
	s_cbranch_vccnz .LBB210_162
; %bb.154:
	v_mad_u64_u32 v[33:34], null, v27, s22, s[8:9]
	s_waitcnt lgkmcnt(0)
	v_mul_lo_u32 v37, v27, s23
	v_mul_lo_u32 v38, v28, s22
	v_mad_u64_u32 v[35:36], null, v21, s22, s[8:9]
	v_mul_lo_u32 v39, v21, s23
	v_mul_lo_u32 v41, v22, s22
	s_mov_b32 s2, -1
	s_mov_b32 s26, exec_lo
	s_delay_alu instid0(VALU_DEP_4) | instskip(NEXT) | instid1(VALU_DEP_2)
	v_add3_u32 v34, v38, v34, v37
	v_add3_u32 v36, v41, v36, v39
	s_clause 0x1
	global_load_u8 v37, v[33:34], off
	global_load_u8 v38, v[35:36], off
	s_waitcnt vmcnt(0)
	v_cmpx_eq_u16_e64 v37, v38
	s_cbranch_execz .LBB210_161
; %bb.155:
	s_mov_b64 s[2:3], 1
	s_mov_b32 s29, 0
                                        ; implicit-def: $sgpr30
	s_set_inst_prefetch_distance 0x1
	s_branch .LBB210_158
	.p2align	6
.LBB210_156:                            ;   in Loop: Header=BB210_158 Depth=1
	v_add_co_u32 v37, vcc_lo, v33, s2
	v_add_co_ci_u32_e32 v38, vcc_lo, s3, v34, vcc_lo
	v_add_co_u32 v41, vcc_lo, v35, s2
	v_add_co_ci_u32_e32 v42, vcc_lo, s3, v36, vcc_lo
	s_add_u32 s6, s2, 1
	s_clause 0x1
	global_load_u8 v37, v[37:38], off
	global_load_u8 v38, v[41:42], off
	s_addc_u32 s7, s3, 0
	s_and_not1_b32 s30, s30, exec_lo
	s_waitcnt vmcnt(0)
	v_cmp_ne_u16_e32 vcc_lo, v37, v38
	s_and_b32 s31, vcc_lo, exec_lo
	s_delay_alu instid0(SALU_CYCLE_1)
	s_or_b32 s30, s30, s31
.LBB210_157:                            ;   in Loop: Header=BB210_158 Depth=1
	v_dual_mov_b32 v38, s3 :: v_dual_mov_b32 v37, s2
	s_and_b32 s31, exec_lo, s30
	s_mov_b64 s[2:3], s[6:7]
	s_or_b32 s29, s31, s29
	s_delay_alu instid0(SALU_CYCLE_1)
	s_and_not1_b32 exec_lo, exec_lo, s29
	s_cbranch_execz .LBB210_160
.LBB210_158:                            ; =>This Inner Loop Header: Depth=1
	s_or_b32 s30, s30, exec_lo
	s_cmp_eq_u64 s[22:23], s[2:3]
	s_cbranch_scc0 .LBB210_156
; %bb.159:                              ;   in Loop: Header=BB210_158 Depth=1
	s_mov_b64 s[2:3], s[22:23]
                                        ; implicit-def: $sgpr6_sgpr7
	s_branch .LBB210_157
.LBB210_160:
	s_set_inst_prefetch_distance 0x2
	s_or_b32 exec_lo, exec_lo, s29
	v_cmp_gt_i64_e32 vcc_lo, s[22:23], v[37:38]
	s_or_not1_b32 s2, vcc_lo, exec_lo
.LBB210_161:
	s_or_b32 exec_lo, exec_lo, s26
.LBB210_162:
	s_delay_alu instid0(SALU_CYCLE_1)
	s_and_b32 s26, s2, exec_lo
.LBB210_163:
	s_or_b32 exec_lo, exec_lo, s27
	v_or_b32_e32 v33, 3, v55
	s_mov_b32 s29, 0
	s_mov_b32 s27, 0
	s_mov_b32 s30, exec_lo
	s_delay_alu instid0(VALU_DEP_1)
	v_cmpx_gt_u32_e64 s28, v33
	s_cbranch_execz .LBB210_174
; %bb.164:
	v_cmp_ne_u32_e32 vcc_lo, 1, v40
	s_mov_b32 s2, 0
	s_cbranch_vccnz .LBB210_173
; %bb.165:
	v_mad_u64_u32 v[33:34], null, v25, s22, s[8:9]
	s_waitcnt lgkmcnt(0)
	v_mul_lo_u32 v37, v25, s23
	v_mul_lo_u32 v38, v26, s22
	v_mad_u64_u32 v[35:36], null, v27, s22, s[8:9]
	v_mul_lo_u32 v39, v27, s23
	v_mul_lo_u32 v41, v28, s22
	s_mov_b32 s2, -1
	s_mov_b32 s27, exec_lo
	s_delay_alu instid0(VALU_DEP_4) | instskip(NEXT) | instid1(VALU_DEP_2)
	v_add3_u32 v34, v38, v34, v37
	v_add3_u32 v36, v41, v36, v39
	s_clause 0x1
	global_load_u8 v37, v[33:34], off
	global_load_u8 v38, v[35:36], off
	s_waitcnt vmcnt(0)
	v_cmpx_eq_u16_e64 v37, v38
	s_cbranch_execz .LBB210_172
; %bb.166:
	s_mov_b64 s[2:3], 1
	s_mov_b32 s31, 0
                                        ; implicit-def: $sgpr33
	s_set_inst_prefetch_distance 0x1
	s_branch .LBB210_169
	.p2align	6
.LBB210_167:                            ;   in Loop: Header=BB210_169 Depth=1
	v_add_co_u32 v37, vcc_lo, v33, s2
	v_add_co_ci_u32_e32 v38, vcc_lo, s3, v34, vcc_lo
	v_add_co_u32 v41, vcc_lo, v35, s2
	v_add_co_ci_u32_e32 v42, vcc_lo, s3, v36, vcc_lo
	s_add_u32 s6, s2, 1
	s_clause 0x1
	global_load_u8 v37, v[37:38], off
	global_load_u8 v38, v[41:42], off
	s_addc_u32 s7, s3, 0
	s_and_not1_b32 s33, s33, exec_lo
	s_waitcnt vmcnt(0)
	v_cmp_ne_u16_e32 vcc_lo, v37, v38
	s_and_b32 s34, vcc_lo, exec_lo
	s_delay_alu instid0(SALU_CYCLE_1)
	s_or_b32 s33, s33, s34
.LBB210_168:                            ;   in Loop: Header=BB210_169 Depth=1
	v_dual_mov_b32 v38, s3 :: v_dual_mov_b32 v37, s2
	s_and_b32 s34, exec_lo, s33
	s_mov_b64 s[2:3], s[6:7]
	s_or_b32 s31, s34, s31
	s_delay_alu instid0(SALU_CYCLE_1)
	s_and_not1_b32 exec_lo, exec_lo, s31
	s_cbranch_execz .LBB210_171
.LBB210_169:                            ; =>This Inner Loop Header: Depth=1
	s_or_b32 s33, s33, exec_lo
	s_cmp_eq_u64 s[22:23], s[2:3]
	s_cbranch_scc0 .LBB210_167
; %bb.170:                              ;   in Loop: Header=BB210_169 Depth=1
	s_mov_b64 s[2:3], s[22:23]
                                        ; implicit-def: $sgpr6_sgpr7
	s_branch .LBB210_168
.LBB210_171:
	s_set_inst_prefetch_distance 0x2
	s_or_b32 exec_lo, exec_lo, s31
	v_cmp_gt_i64_e32 vcc_lo, s[22:23], v[37:38]
	s_or_not1_b32 s2, vcc_lo, exec_lo
.LBB210_172:
	s_or_b32 exec_lo, exec_lo, s27
.LBB210_173:
	s_delay_alu instid0(SALU_CYCLE_1)
	s_and_b32 s27, s2, exec_lo
.LBB210_174:
	s_or_b32 exec_lo, exec_lo, s30
	v_or_b32_e32 v33, 2, v55
	s_mov_b32 s30, exec_lo
	s_delay_alu instid0(VALU_DEP_1)
	v_cmpx_gt_u32_e64 s28, v33
	s_cbranch_execz .LBB210_185
; %bb.175:
	v_cmp_ne_u32_e32 vcc_lo, 1, v40
	s_mov_b32 s2, 0
	s_cbranch_vccnz .LBB210_184
; %bb.176:
	v_mad_u64_u32 v[33:34], null, v31, s22, s[8:9]
	s_waitcnt lgkmcnt(0)
	v_mul_lo_u32 v37, v31, s23
	v_mul_lo_u32 v38, v32, s22
	v_mad_u64_u32 v[35:36], null, v25, s22, s[8:9]
	v_mul_lo_u32 v39, v25, s23
	v_mul_lo_u32 v41, v26, s22
	s_mov_b32 s2, -1
	s_mov_b32 s29, exec_lo
	s_delay_alu instid0(VALU_DEP_4) | instskip(NEXT) | instid1(VALU_DEP_2)
	v_add3_u32 v34, v38, v34, v37
	v_add3_u32 v36, v41, v36, v39
	s_clause 0x1
	global_load_u8 v37, v[33:34], off
	global_load_u8 v38, v[35:36], off
	s_waitcnt vmcnt(0)
	v_cmpx_eq_u16_e64 v37, v38
	s_cbranch_execz .LBB210_183
; %bb.177:
	s_mov_b64 s[2:3], 1
	s_mov_b32 s31, 0
                                        ; implicit-def: $sgpr33
	s_set_inst_prefetch_distance 0x1
	s_branch .LBB210_180
	.p2align	6
.LBB210_178:                            ;   in Loop: Header=BB210_180 Depth=1
	v_add_co_u32 v37, vcc_lo, v33, s2
	v_add_co_ci_u32_e32 v38, vcc_lo, s3, v34, vcc_lo
	v_add_co_u32 v41, vcc_lo, v35, s2
	v_add_co_ci_u32_e32 v42, vcc_lo, s3, v36, vcc_lo
	s_add_u32 s6, s2, 1
	s_clause 0x1
	global_load_u8 v37, v[37:38], off
	global_load_u8 v38, v[41:42], off
	s_addc_u32 s7, s3, 0
	s_and_not1_b32 s33, s33, exec_lo
	s_waitcnt vmcnt(0)
	v_cmp_ne_u16_e32 vcc_lo, v37, v38
	s_and_b32 s34, vcc_lo, exec_lo
	s_delay_alu instid0(SALU_CYCLE_1)
	s_or_b32 s33, s33, s34
.LBB210_179:                            ;   in Loop: Header=BB210_180 Depth=1
	v_dual_mov_b32 v38, s3 :: v_dual_mov_b32 v37, s2
	s_and_b32 s34, exec_lo, s33
	s_mov_b64 s[2:3], s[6:7]
	s_or_b32 s31, s34, s31
	s_delay_alu instid0(SALU_CYCLE_1)
	s_and_not1_b32 exec_lo, exec_lo, s31
	s_cbranch_execz .LBB210_182
.LBB210_180:                            ; =>This Inner Loop Header: Depth=1
	s_or_b32 s33, s33, exec_lo
	s_cmp_eq_u64 s[22:23], s[2:3]
	s_cbranch_scc0 .LBB210_178
; %bb.181:                              ;   in Loop: Header=BB210_180 Depth=1
	s_mov_b64 s[2:3], s[22:23]
                                        ; implicit-def: $sgpr6_sgpr7
	s_branch .LBB210_179
.LBB210_182:
	s_set_inst_prefetch_distance 0x2
	s_or_b32 exec_lo, exec_lo, s31
	v_cmp_gt_i64_e32 vcc_lo, s[22:23], v[37:38]
	s_or_not1_b32 s2, vcc_lo, exec_lo
.LBB210_183:
	s_or_b32 exec_lo, exec_lo, s29
.LBB210_184:
	s_delay_alu instid0(SALU_CYCLE_1)
	s_and_b32 s29, s2, exec_lo
.LBB210_185:
	s_or_b32 exec_lo, exec_lo, s30
	v_or_b32_e32 v33, 1, v55
	s_mov_b32 s2, 0
	s_mov_b32 s30, exec_lo
	s_delay_alu instid0(VALU_DEP_1)
	v_cmpx_gt_u32_e64 s28, v33
	s_cbranch_execz .LBB210_196
; %bb.186:
	v_cmp_ne_u32_e32 vcc_lo, 1, v40
	s_cbranch_vccnz .LBB210_195
; %bb.187:
	v_mad_u64_u32 v[33:34], null, v29, s22, s[8:9]
	s_waitcnt lgkmcnt(0)
	v_mul_lo_u32 v37, v29, s23
	v_mul_lo_u32 v38, v30, s22
	v_mad_u64_u32 v[35:36], null, v31, s22, s[8:9]
	v_mul_lo_u32 v39, v31, s23
	v_mul_lo_u32 v41, v32, s22
	s_mov_b32 s2, -1
	s_mov_b32 s31, exec_lo
	s_delay_alu instid0(VALU_DEP_4) | instskip(NEXT) | instid1(VALU_DEP_2)
	v_add3_u32 v34, v38, v34, v37
	v_add3_u32 v36, v41, v36, v39
	s_clause 0x1
	global_load_u8 v37, v[33:34], off
	global_load_u8 v38, v[35:36], off
	s_waitcnt vmcnt(0)
	v_cmpx_eq_u16_e64 v37, v38
	s_cbranch_execz .LBB210_194
; %bb.188:
	s_mov_b64 s[2:3], 1
	s_mov_b32 s33, 0
                                        ; implicit-def: $sgpr34
	s_set_inst_prefetch_distance 0x1
	s_branch .LBB210_191
	.p2align	6
.LBB210_189:                            ;   in Loop: Header=BB210_191 Depth=1
	v_add_co_u32 v37, vcc_lo, v33, s2
	v_add_co_ci_u32_e32 v38, vcc_lo, s3, v34, vcc_lo
	v_add_co_u32 v41, vcc_lo, v35, s2
	v_add_co_ci_u32_e32 v42, vcc_lo, s3, v36, vcc_lo
	s_add_u32 s6, s2, 1
	s_clause 0x1
	global_load_u8 v37, v[37:38], off
	global_load_u8 v38, v[41:42], off
	s_addc_u32 s7, s3, 0
	s_and_not1_b32 s34, s34, exec_lo
	s_waitcnt vmcnt(0)
	v_cmp_ne_u16_e32 vcc_lo, v37, v38
	s_and_b32 s35, vcc_lo, exec_lo
	s_delay_alu instid0(SALU_CYCLE_1)
	s_or_b32 s34, s34, s35
.LBB210_190:                            ;   in Loop: Header=BB210_191 Depth=1
	v_dual_mov_b32 v38, s3 :: v_dual_mov_b32 v37, s2
	s_and_b32 s35, exec_lo, s34
	s_mov_b64 s[2:3], s[6:7]
	s_or_b32 s33, s35, s33
	s_delay_alu instid0(SALU_CYCLE_1)
	s_and_not1_b32 exec_lo, exec_lo, s33
	s_cbranch_execz .LBB210_193
.LBB210_191:                            ; =>This Inner Loop Header: Depth=1
	s_or_b32 s34, s34, exec_lo
	s_cmp_eq_u64 s[22:23], s[2:3]
	s_cbranch_scc0 .LBB210_189
; %bb.192:                              ;   in Loop: Header=BB210_191 Depth=1
	s_mov_b64 s[2:3], s[22:23]
                                        ; implicit-def: $sgpr6_sgpr7
	s_branch .LBB210_190
.LBB210_193:
	s_set_inst_prefetch_distance 0x2
	s_or_b32 exec_lo, exec_lo, s33
	v_cmp_gt_i64_e32 vcc_lo, s[22:23], v[37:38]
	s_or_not1_b32 s2, vcc_lo, exec_lo
.LBB210_194:
	s_or_b32 exec_lo, exec_lo, s31
.LBB210_195:
	s_delay_alu instid0(SALU_CYCLE_1)
	s_and_b32 s2, s2, exec_lo
.LBB210_196:
	s_or_b32 exec_lo, exec_lo, s30
	s_waitcnt lgkmcnt(0)
	v_dual_mov_b32 v36, s5 :: v_dual_mov_b32 v35, s4
	s_mov_b32 s3, exec_lo
	s_barrier
	buffer_gl0_inv
	v_cmpx_ne_u32_e32 0, v0
	s_cbranch_execz .LBB210_198
; %bb.197:
	v_add_nc_u32_e32 v33, -8, v55
	ds_load_b64 v[35:36], v33
.LBB210_198:
	s_or_b32 exec_lo, exec_lo, s3
	v_cndmask_b32_e64 v34, 0, 1, s27
	v_cndmask_b32_e64 v38, 0, 1, s19
	;; [unrolled: 1-line block ×7, first 2 shown]
	v_lshlrev_b16 v34, 8, v34
	v_lshlrev_b16 v38, 8, v38
	;; [unrolled: 1-line block ×3, first 2 shown]
	s_mov_b32 s2, 0
	v_lshlrev_b16 v42, 8, v42
	v_or_b32_e32 v33, v33, v34
	v_or_b32_e32 v34, v37, v38
	;; [unrolled: 1-line block ×3, first 2 shown]
	s_mov_b32 s6, exec_lo
	v_and_b32_e32 v39, 0xffff, v42
	v_lshlrev_b32_e32 v41, 16, v33
	v_and_b32_e32 v42, 0xffff, v34
	v_lshlrev_b32_e32 v43, 16, v37
	v_cmpx_gt_u32_e64 s28, v55
	s_cbranch_execz .LBB210_209
; %bb.199:
	v_cmp_ne_u32_e32 vcc_lo, 1, v40
	s_cbranch_vccnz .LBB210_208
; %bb.200:
	s_waitcnt lgkmcnt(0)
	v_mad_u64_u32 v[33:34], null, v35, s22, s[8:9]
	v_mul_lo_u32 v37, v35, s23
	v_mul_lo_u32 v38, v36, s22
	v_mad_u64_u32 v[35:36], null, v29, s22, s[8:9]
	v_mul_lo_u32 v40, v29, s23
	v_mul_lo_u32 v44, v30, s22
	s_mov_b32 s2, -1
	s_mov_b32 s7, exec_lo
	s_delay_alu instid0(VALU_DEP_4) | instskip(NEXT) | instid1(VALU_DEP_2)
	v_add3_u32 v34, v38, v34, v37
	v_add3_u32 v36, v44, v36, v40
	s_clause 0x1
	global_load_u8 v37, v[33:34], off
	global_load_u8 v38, v[35:36], off
	s_waitcnt vmcnt(0)
	v_cmpx_eq_u16_e64 v37, v38
	s_cbranch_execz .LBB210_207
; %bb.201:
	s_mov_b64 s[2:3], 1
	s_mov_b32 s19, 0
                                        ; implicit-def: $sgpr24
	s_set_inst_prefetch_distance 0x1
	s_branch .LBB210_204
	.p2align	6
.LBB210_202:                            ;   in Loop: Header=BB210_204 Depth=1
	v_add_co_u32 v37, vcc_lo, v33, s2
	v_add_co_ci_u32_e32 v38, vcc_lo, s3, v34, vcc_lo
	v_add_co_u32 v44, vcc_lo, v35, s2
	v_add_co_ci_u32_e32 v45, vcc_lo, s3, v36, vcc_lo
	s_add_u32 s4, s2, 1
	s_clause 0x1
	global_load_u8 v37, v[37:38], off
	global_load_u8 v38, v[44:45], off
	s_addc_u32 s5, s3, 0
	s_and_not1_b32 s24, s24, exec_lo
	s_waitcnt vmcnt(0)
	v_cmp_ne_u16_e32 vcc_lo, v37, v38
	s_and_b32 s25, vcc_lo, exec_lo
	s_delay_alu instid0(SALU_CYCLE_1)
	s_or_b32 s24, s24, s25
.LBB210_203:                            ;   in Loop: Header=BB210_204 Depth=1
	v_dual_mov_b32 v38, s3 :: v_dual_mov_b32 v37, s2
	s_and_b32 s25, exec_lo, s24
	s_mov_b64 s[2:3], s[4:5]
	s_or_b32 s19, s25, s19
	s_delay_alu instid0(SALU_CYCLE_1)
	s_and_not1_b32 exec_lo, exec_lo, s19
	s_cbranch_execz .LBB210_206
.LBB210_204:                            ; =>This Inner Loop Header: Depth=1
	s_or_b32 s24, s24, exec_lo
	s_cmp_eq_u64 s[22:23], s[2:3]
	s_cbranch_scc0 .LBB210_202
; %bb.205:                              ;   in Loop: Header=BB210_204 Depth=1
	s_mov_b64 s[2:3], s[22:23]
                                        ; implicit-def: $sgpr4_sgpr5
	s_branch .LBB210_203
.LBB210_206:
	s_set_inst_prefetch_distance 0x2
	s_or_b32 exec_lo, exec_lo, s19
	v_cmp_gt_i64_e32 vcc_lo, s[22:23], v[37:38]
	s_or_not1_b32 s2, vcc_lo, exec_lo
.LBB210_207:
	s_or_b32 exec_lo, exec_lo, s7
.LBB210_208:
	s_delay_alu instid0(SALU_CYCLE_1)
	s_and_b32 s2, s2, exec_lo
.LBB210_209:
	s_or_b32 exec_lo, exec_lo, s6
	v_or_b32_e32 v33, v39, v41
	v_or_b32_e32 v34, v42, v43
.LBB210_210:
	s_mov_b32 s6, -1
	s_cbranch_execnz .LBB210_379
.LBB210_211:
	v_cmp_gt_i64_e64 s7, s[22:23], 0
	s_and_b32 vcc_lo, exec_lo, s20
	ds_store_b64 v55, v[19:20]
	s_cbranch_vccz .LBB210_219
; %bb.212:
	s_waitcnt lgkmcnt(0)
	v_mul_lo_u32 v35, v18, s22
	v_mul_lo_u32 v36, v17, s23
	v_mad_u64_u32 v[33:34], null, v17, s22, 0
	s_mov_b32 s19, 0
	s_and_not1_b32 vcc_lo, exec_lo, s7
	s_mov_b32 s24, 0
	s_delay_alu instid0(VALU_DEP_1)
	v_add3_u32 v40, v34, v36, v35
	s_cbranch_vccnz .LBB210_222
; %bb.213:
	v_mad_u64_u32 v[34:35], null, v19, s22, s[8:9]
	v_mul_lo_u32 v38, v19, s23
	v_mul_lo_u32 v39, v20, s22
	v_add_co_u32 v36, vcc_lo, s8, v33
	v_add_co_ci_u32_e32 v37, vcc_lo, s9, v40, vcc_lo
	s_mov_b32 s24, -1
	s_mov_b32 s25, exec_lo
	s_delay_alu instid0(VALU_DEP_3)
	v_add3_u32 v35, v39, v35, v38
	s_clause 0x1
	global_load_u8 v38, v[36:37], off
	global_load_u8 v39, v[34:35], off
	s_waitcnt vmcnt(0)
	v_cmpx_eq_u16_e64 v38, v39
	s_cbranch_execz .LBB210_221
; %bb.214:
	s_mov_b64 s[2:3], 1
	s_mov_b32 s24, 0
                                        ; implicit-def: $sgpr26
	s_set_inst_prefetch_distance 0x1
	s_branch .LBB210_217
	.p2align	6
.LBB210_215:                            ;   in Loop: Header=BB210_217 Depth=1
	v_add_co_u32 v38, vcc_lo, v36, s2
	v_add_co_ci_u32_e32 v39, vcc_lo, s3, v37, vcc_lo
	v_add_co_u32 v41, vcc_lo, v34, s2
	v_add_co_ci_u32_e32 v42, vcc_lo, s3, v35, vcc_lo
	s_add_u32 s4, s2, 1
	s_clause 0x1
	global_load_u8 v38, v[38:39], off
	global_load_u8 v39, v[41:42], off
	s_addc_u32 s5, s3, 0
	s_and_not1_b32 s26, s26, exec_lo
	s_waitcnt vmcnt(0)
	v_cmp_ne_u16_e32 vcc_lo, v38, v39
	s_and_b32 s27, vcc_lo, exec_lo
	s_delay_alu instid0(SALU_CYCLE_1)
	s_or_b32 s26, s26, s27
.LBB210_216:                            ;   in Loop: Header=BB210_217 Depth=1
	v_dual_mov_b32 v39, s3 :: v_dual_mov_b32 v38, s2
	s_and_b32 s27, exec_lo, s26
	s_mov_b64 s[2:3], s[4:5]
	s_or_b32 s24, s27, s24
	s_delay_alu instid0(SALU_CYCLE_1)
	s_and_not1_b32 exec_lo, exec_lo, s24
	s_cbranch_execz .LBB210_220
.LBB210_217:                            ; =>This Inner Loop Header: Depth=1
	s_or_b32 s26, s26, exec_lo
	s_cmp_eq_u64 s[22:23], s[2:3]
	s_cbranch_scc0 .LBB210_215
; %bb.218:                              ;   in Loop: Header=BB210_217 Depth=1
	s_mov_b64 s[2:3], s[22:23]
                                        ; implicit-def: $sgpr4_sgpr5
	s_branch .LBB210_216
.LBB210_219:
                                        ; implicit-def: $sgpr2
                                        ; implicit-def: $vgpr34
	s_cbranch_execnz .LBB210_288
	s_branch .LBB210_379
.LBB210_220:
	s_set_inst_prefetch_distance 0x2
	s_or_b32 exec_lo, exec_lo, s24
	v_cmp_gt_i64_e32 vcc_lo, s[22:23], v[38:39]
	s_or_not1_b32 s24, vcc_lo, exec_lo
.LBB210_221:
	s_or_b32 exec_lo, exec_lo, s25
.LBB210_222:
	v_mul_lo_u32 v36, v24, s22
	v_mul_lo_u32 v37, v23, s23
	v_mad_u64_u32 v[34:35], null, v23, s22, 0
	s_and_not1_b32 vcc_lo, exec_lo, s7
	s_delay_alu instid0(VALU_DEP_1)
	v_add3_u32 v41, v35, v37, v36
	s_cbranch_vccnz .LBB210_231
; %bb.223:
	s_delay_alu instid0(VALU_DEP_2) | instskip(NEXT) | instid1(VALU_DEP_2)
	v_add_co_u32 v35, vcc_lo, s8, v34
	v_add_co_ci_u32_e32 v36, vcc_lo, s9, v41, vcc_lo
	v_add_co_u32 v37, vcc_lo, s8, v33
	v_add_co_ci_u32_e32 v38, vcc_lo, s9, v40, vcc_lo
	s_mov_b32 s19, -1
	s_clause 0x1
	global_load_u8 v33, v[35:36], off
	global_load_u8 v39, v[37:38], off
	s_mov_b32 s25, exec_lo
	s_waitcnt vmcnt(0)
	v_cmpx_eq_u16_e64 v33, v39
	s_cbranch_execz .LBB210_230
; %bb.224:
	s_mov_b64 s[2:3], 1
	s_mov_b32 s19, 0
                                        ; implicit-def: $sgpr26
	s_set_inst_prefetch_distance 0x1
	s_branch .LBB210_227
	.p2align	6
.LBB210_225:                            ;   in Loop: Header=BB210_227 Depth=1
	v_add_co_u32 v39, vcc_lo, v35, s2
	v_add_co_ci_u32_e32 v40, vcc_lo, s3, v36, vcc_lo
	v_add_co_u32 v42, vcc_lo, v37, s2
	v_add_co_ci_u32_e32 v43, vcc_lo, s3, v38, vcc_lo
	s_add_u32 s4, s2, 1
	s_clause 0x1
	global_load_u8 v33, v[39:40], off
	global_load_u8 v39, v[42:43], off
	s_addc_u32 s5, s3, 0
	s_and_not1_b32 s26, s26, exec_lo
	s_waitcnt vmcnt(0)
	v_cmp_ne_u16_e32 vcc_lo, v33, v39
	s_and_b32 s27, vcc_lo, exec_lo
	s_delay_alu instid0(SALU_CYCLE_1)
	s_or_b32 s26, s26, s27
.LBB210_226:                            ;   in Loop: Header=BB210_227 Depth=1
	v_dual_mov_b32 v40, s3 :: v_dual_mov_b32 v39, s2
	s_and_b32 s27, exec_lo, s26
	s_mov_b64 s[2:3], s[4:5]
	s_or_b32 s19, s27, s19
	s_delay_alu instid0(SALU_CYCLE_1)
	s_and_not1_b32 exec_lo, exec_lo, s19
	s_cbranch_execz .LBB210_229
.LBB210_227:                            ; =>This Inner Loop Header: Depth=1
	s_or_b32 s26, s26, exec_lo
	s_cmp_eq_u64 s[22:23], s[2:3]
	s_cbranch_scc0 .LBB210_225
; %bb.228:                              ;   in Loop: Header=BB210_227 Depth=1
	s_mov_b64 s[2:3], s[22:23]
                                        ; implicit-def: $sgpr4_sgpr5
	s_branch .LBB210_226
.LBB210_229:
	s_set_inst_prefetch_distance 0x2
	s_or_b32 exec_lo, exec_lo, s19
	v_cmp_gt_i64_e32 vcc_lo, s[22:23], v[39:40]
	s_or_not1_b32 s19, vcc_lo, exec_lo
.LBB210_230:
	s_or_b32 exec_lo, exec_lo, s25
.LBB210_231:
	v_mul_lo_u32 v33, v22, s22
	v_mul_lo_u32 v37, v21, s23
	v_mad_u64_u32 v[35:36], null, v21, s22, 0
	s_mov_b32 s25, 0
	s_and_not1_b32 vcc_lo, exec_lo, s7
	s_mov_b32 s26, 0
	s_delay_alu instid0(VALU_DEP_1)
	v_add3_u32 v42, v36, v37, v33
	s_cbranch_vccnz .LBB210_240
; %bb.232:
	s_delay_alu instid0(VALU_DEP_2) | instskip(NEXT) | instid1(VALU_DEP_2)
	v_add_co_u32 v36, vcc_lo, s8, v35
	v_add_co_ci_u32_e32 v37, vcc_lo, s9, v42, vcc_lo
	v_add_co_u32 v33, vcc_lo, s8, v34
	v_add_co_ci_u32_e32 v34, vcc_lo, s9, v41, vcc_lo
	s_mov_b32 s26, -1
	s_clause 0x1
	global_load_u8 v38, v[36:37], off
	global_load_u8 v39, v[33:34], off
	s_mov_b32 s27, exec_lo
	s_waitcnt vmcnt(0)
	v_cmpx_eq_u16_e64 v38, v39
	s_cbranch_execz .LBB210_239
; %bb.233:
	s_mov_b64 s[2:3], 1
	s_mov_b32 s26, 0
                                        ; implicit-def: $sgpr29
	s_set_inst_prefetch_distance 0x1
	s_branch .LBB210_236
	.p2align	6
.LBB210_234:                            ;   in Loop: Header=BB210_236 Depth=1
	v_add_co_u32 v38, vcc_lo, v36, s2
	v_add_co_ci_u32_e32 v39, vcc_lo, s3, v37, vcc_lo
	v_add_co_u32 v40, vcc_lo, v33, s2
	v_add_co_ci_u32_e32 v41, vcc_lo, s3, v34, vcc_lo
	s_add_u32 s4, s2, 1
	s_clause 0x1
	global_load_u8 v38, v[38:39], off
	global_load_u8 v39, v[40:41], off
	s_addc_u32 s5, s3, 0
	s_and_not1_b32 s29, s29, exec_lo
	s_waitcnt vmcnt(0)
	v_cmp_ne_u16_e32 vcc_lo, v38, v39
	s_and_b32 s30, vcc_lo, exec_lo
	s_delay_alu instid0(SALU_CYCLE_1)
	s_or_b32 s29, s29, s30
.LBB210_235:                            ;   in Loop: Header=BB210_236 Depth=1
	v_dual_mov_b32 v39, s3 :: v_dual_mov_b32 v38, s2
	s_and_b32 s30, exec_lo, s29
	s_mov_b64 s[2:3], s[4:5]
	s_or_b32 s26, s30, s26
	s_delay_alu instid0(SALU_CYCLE_1)
	s_and_not1_b32 exec_lo, exec_lo, s26
	s_cbranch_execz .LBB210_238
.LBB210_236:                            ; =>This Inner Loop Header: Depth=1
	s_or_b32 s29, s29, exec_lo
	s_cmp_eq_u64 s[22:23], s[2:3]
	s_cbranch_scc0 .LBB210_234
; %bb.237:                              ;   in Loop: Header=BB210_236 Depth=1
	s_mov_b64 s[2:3], s[22:23]
                                        ; implicit-def: $sgpr4_sgpr5
	s_branch .LBB210_235
.LBB210_238:
	s_set_inst_prefetch_distance 0x2
	s_or_b32 exec_lo, exec_lo, s26
	v_cmp_gt_i64_e32 vcc_lo, s[22:23], v[38:39]
	s_or_not1_b32 s26, vcc_lo, exec_lo
.LBB210_239:
	s_or_b32 exec_lo, exec_lo, s27
.LBB210_240:
	v_mul_lo_u32 v36, v28, s22
	v_mul_lo_u32 v37, v27, s23
	v_mad_u64_u32 v[33:34], null, v27, s22, 0
	s_and_not1_b32 vcc_lo, exec_lo, s7
	s_delay_alu instid0(VALU_DEP_1)
	v_add3_u32 v40, v34, v37, v36
	s_cbranch_vccnz .LBB210_249
; %bb.241:
	s_delay_alu instid0(VALU_DEP_2) | instskip(NEXT) | instid1(VALU_DEP_2)
	v_add_co_u32 v36, vcc_lo, s8, v33
	v_add_co_ci_u32_e32 v37, vcc_lo, s9, v40, vcc_lo
	v_add_co_u32 v34, vcc_lo, s8, v35
	v_add_co_ci_u32_e32 v35, vcc_lo, s9, v42, vcc_lo
	s_mov_b32 s25, -1
	s_clause 0x1
	global_load_u8 v38, v[36:37], off
	global_load_u8 v39, v[34:35], off
	s_mov_b32 s27, exec_lo
	s_waitcnt vmcnt(0)
	v_cmpx_eq_u16_e64 v38, v39
	s_cbranch_execz .LBB210_248
; %bb.242:
	s_mov_b64 s[2:3], 1
	s_mov_b32 s25, 0
                                        ; implicit-def: $sgpr29
	s_set_inst_prefetch_distance 0x1
	s_branch .LBB210_245
	.p2align	6
.LBB210_243:                            ;   in Loop: Header=BB210_245 Depth=1
	v_add_co_u32 v38, vcc_lo, v36, s2
	v_add_co_ci_u32_e32 v39, vcc_lo, s3, v37, vcc_lo
	v_add_co_u32 v41, vcc_lo, v34, s2
	v_add_co_ci_u32_e32 v42, vcc_lo, s3, v35, vcc_lo
	s_add_u32 s4, s2, 1
	s_clause 0x1
	global_load_u8 v38, v[38:39], off
	global_load_u8 v39, v[41:42], off
	s_addc_u32 s5, s3, 0
	s_and_not1_b32 s29, s29, exec_lo
	s_waitcnt vmcnt(0)
	v_cmp_ne_u16_e32 vcc_lo, v38, v39
	s_and_b32 s30, vcc_lo, exec_lo
	s_delay_alu instid0(SALU_CYCLE_1)
	s_or_b32 s29, s29, s30
.LBB210_244:                            ;   in Loop: Header=BB210_245 Depth=1
	v_dual_mov_b32 v39, s3 :: v_dual_mov_b32 v38, s2
	s_and_b32 s30, exec_lo, s29
	s_mov_b64 s[2:3], s[4:5]
	s_or_b32 s25, s30, s25
	s_delay_alu instid0(SALU_CYCLE_1)
	s_and_not1_b32 exec_lo, exec_lo, s25
	s_cbranch_execz .LBB210_247
.LBB210_245:                            ; =>This Inner Loop Header: Depth=1
	s_or_b32 s29, s29, exec_lo
	s_cmp_eq_u64 s[22:23], s[2:3]
	s_cbranch_scc0 .LBB210_243
; %bb.246:                              ;   in Loop: Header=BB210_245 Depth=1
	s_mov_b64 s[2:3], s[22:23]
                                        ; implicit-def: $sgpr4_sgpr5
	s_branch .LBB210_244
.LBB210_247:
	s_set_inst_prefetch_distance 0x2
	s_or_b32 exec_lo, exec_lo, s25
	v_cmp_gt_i64_e32 vcc_lo, s[22:23], v[38:39]
	s_or_not1_b32 s25, vcc_lo, exec_lo
.LBB210_248:
	s_or_b32 exec_lo, exec_lo, s27
.LBB210_249:
	v_mul_lo_u32 v34, v26, s22
	v_mul_lo_u32 v37, v25, s23
	v_mad_u64_u32 v[35:36], null, v25, s22, 0
	s_mov_b32 s27, 0
	s_and_not1_b32 vcc_lo, exec_lo, s7
	s_mov_b32 s29, 0
	s_delay_alu instid0(VALU_DEP_1)
	v_add3_u32 v42, v36, v37, v34
	s_cbranch_vccnz .LBB210_258
; %bb.250:
	s_delay_alu instid0(VALU_DEP_2) | instskip(NEXT) | instid1(VALU_DEP_2)
	v_add_co_u32 v36, vcc_lo, s8, v35
	v_add_co_ci_u32_e32 v37, vcc_lo, s9, v42, vcc_lo
	v_add_co_u32 v33, vcc_lo, s8, v33
	v_add_co_ci_u32_e32 v34, vcc_lo, s9, v40, vcc_lo
	s_mov_b32 s29, -1
	s_clause 0x1
	global_load_u8 v38, v[36:37], off
	global_load_u8 v39, v[33:34], off
	s_mov_b32 s30, exec_lo
	s_waitcnt vmcnt(0)
	v_cmpx_eq_u16_e64 v38, v39
	s_cbranch_execz .LBB210_257
; %bb.251:
	s_mov_b64 s[2:3], 1
	s_mov_b32 s29, 0
                                        ; implicit-def: $sgpr31
	s_set_inst_prefetch_distance 0x1
	s_branch .LBB210_254
	.p2align	6
.LBB210_252:                            ;   in Loop: Header=BB210_254 Depth=1
	v_add_co_u32 v38, vcc_lo, v36, s2
	v_add_co_ci_u32_e32 v39, vcc_lo, s3, v37, vcc_lo
	v_add_co_u32 v40, vcc_lo, v33, s2
	v_add_co_ci_u32_e32 v41, vcc_lo, s3, v34, vcc_lo
	s_add_u32 s4, s2, 1
	s_clause 0x1
	global_load_u8 v38, v[38:39], off
	global_load_u8 v39, v[40:41], off
	s_addc_u32 s5, s3, 0
	s_and_not1_b32 s31, s31, exec_lo
	s_waitcnt vmcnt(0)
	v_cmp_ne_u16_e32 vcc_lo, v38, v39
	s_and_b32 s33, vcc_lo, exec_lo
	s_delay_alu instid0(SALU_CYCLE_1)
	s_or_b32 s31, s31, s33
.LBB210_253:                            ;   in Loop: Header=BB210_254 Depth=1
	v_dual_mov_b32 v39, s3 :: v_dual_mov_b32 v38, s2
	s_and_b32 s33, exec_lo, s31
	s_mov_b64 s[2:3], s[4:5]
	s_or_b32 s29, s33, s29
	s_delay_alu instid0(SALU_CYCLE_1)
	s_and_not1_b32 exec_lo, exec_lo, s29
	s_cbranch_execz .LBB210_256
.LBB210_254:                            ; =>This Inner Loop Header: Depth=1
	s_or_b32 s31, s31, exec_lo
	s_cmp_eq_u64 s[22:23], s[2:3]
	s_cbranch_scc0 .LBB210_252
; %bb.255:                              ;   in Loop: Header=BB210_254 Depth=1
	s_mov_b64 s[2:3], s[22:23]
                                        ; implicit-def: $sgpr4_sgpr5
	s_branch .LBB210_253
.LBB210_256:
	s_set_inst_prefetch_distance 0x2
	s_or_b32 exec_lo, exec_lo, s29
	v_cmp_gt_i64_e32 vcc_lo, s[22:23], v[38:39]
	s_or_not1_b32 s29, vcc_lo, exec_lo
.LBB210_257:
	s_or_b32 exec_lo, exec_lo, s30
.LBB210_258:
	v_mul_lo_u32 v36, v32, s22
	v_mul_lo_u32 v37, v31, s23
	v_mad_u64_u32 v[33:34], null, v31, s22, 0
	s_and_not1_b32 vcc_lo, exec_lo, s7
	s_delay_alu instid0(VALU_DEP_1)
	v_add3_u32 v41, v34, v37, v36
	s_cbranch_vccnz .LBB210_267
; %bb.259:
	s_delay_alu instid0(VALU_DEP_2) | instskip(NEXT) | instid1(VALU_DEP_2)
	v_add_co_u32 v36, vcc_lo, s8, v33
	v_add_co_ci_u32_e32 v37, vcc_lo, s9, v41, vcc_lo
	v_add_co_u32 v34, vcc_lo, s8, v35
	v_add_co_ci_u32_e32 v35, vcc_lo, s9, v42, vcc_lo
	s_mov_b32 s27, -1
	s_clause 0x1
	global_load_u8 v38, v[36:37], off
	global_load_u8 v39, v[34:35], off
	s_mov_b32 s30, exec_lo
	s_waitcnt vmcnt(0)
	v_cmpx_eq_u16_e64 v38, v39
	s_cbranch_execz .LBB210_266
; %bb.260:
	s_mov_b64 s[2:3], 1
	s_mov_b32 s27, 0
                                        ; implicit-def: $sgpr31
	s_set_inst_prefetch_distance 0x1
	s_branch .LBB210_263
	.p2align	6
.LBB210_261:                            ;   in Loop: Header=BB210_263 Depth=1
	v_add_co_u32 v38, vcc_lo, v36, s2
	v_add_co_ci_u32_e32 v39, vcc_lo, s3, v37, vcc_lo
	v_add_co_u32 v42, vcc_lo, v34, s2
	v_add_co_ci_u32_e32 v43, vcc_lo, s3, v35, vcc_lo
	s_add_u32 s4, s2, 1
	s_clause 0x1
	global_load_u8 v38, v[38:39], off
	global_load_u8 v39, v[42:43], off
	s_addc_u32 s5, s3, 0
	s_and_not1_b32 s31, s31, exec_lo
	s_waitcnt vmcnt(0)
	v_cmp_ne_u16_e32 vcc_lo, v38, v39
	s_and_b32 s33, vcc_lo, exec_lo
	s_delay_alu instid0(SALU_CYCLE_1)
	s_or_b32 s31, s31, s33
.LBB210_262:                            ;   in Loop: Header=BB210_263 Depth=1
	v_dual_mov_b32 v39, s3 :: v_dual_mov_b32 v38, s2
	s_and_b32 s33, exec_lo, s31
	s_mov_b64 s[2:3], s[4:5]
	s_or_b32 s27, s33, s27
	s_delay_alu instid0(SALU_CYCLE_1)
	s_and_not1_b32 exec_lo, exec_lo, s27
	s_cbranch_execz .LBB210_265
.LBB210_263:                            ; =>This Inner Loop Header: Depth=1
	s_or_b32 s31, s31, exec_lo
	s_cmp_eq_u64 s[22:23], s[2:3]
	s_cbranch_scc0 .LBB210_261
; %bb.264:                              ;   in Loop: Header=BB210_263 Depth=1
	s_mov_b64 s[2:3], s[22:23]
                                        ; implicit-def: $sgpr4_sgpr5
	s_branch .LBB210_262
.LBB210_265:
	s_set_inst_prefetch_distance 0x2
	s_or_b32 exec_lo, exec_lo, s27
	v_cmp_gt_i64_e32 vcc_lo, s[22:23], v[38:39]
	s_or_not1_b32 s27, vcc_lo, exec_lo
.LBB210_266:
	s_or_b32 exec_lo, exec_lo, s30
.LBB210_267:
	v_mul_lo_u32 v34, v30, s22
	v_mul_lo_u32 v37, v29, s23
	v_mad_u64_u32 v[35:36], null, v29, s22, 0
	s_and_not1_b32 vcc_lo, exec_lo, s7
	s_mov_b32 s2, 0
	s_delay_alu instid0(VALU_DEP_1)
	v_add3_u32 v40, v36, v37, v34
	s_cbranch_vccnz .LBB210_276
; %bb.268:
	s_delay_alu instid0(VALU_DEP_2) | instskip(NEXT) | instid1(VALU_DEP_2)
	v_add_co_u32 v36, vcc_lo, s8, v35
	v_add_co_ci_u32_e32 v37, vcc_lo, s9, v40, vcc_lo
	v_add_co_u32 v33, vcc_lo, s8, v33
	v_add_co_ci_u32_e32 v34, vcc_lo, s9, v41, vcc_lo
	s_mov_b32 s2, -1
	s_clause 0x1
	global_load_u8 v38, v[36:37], off
	global_load_u8 v39, v[33:34], off
	s_mov_b32 s30, exec_lo
	s_waitcnt vmcnt(0)
	v_cmpx_eq_u16_e64 v38, v39
	s_cbranch_execz .LBB210_275
; %bb.269:
	s_mov_b64 s[2:3], 1
	s_mov_b32 s31, 0
                                        ; implicit-def: $sgpr33
	s_set_inst_prefetch_distance 0x1
	s_branch .LBB210_272
	.p2align	6
.LBB210_270:                            ;   in Loop: Header=BB210_272 Depth=1
	v_add_co_u32 v38, vcc_lo, v36, s2
	v_add_co_ci_u32_e32 v39, vcc_lo, s3, v37, vcc_lo
	v_add_co_u32 v41, vcc_lo, v33, s2
	v_add_co_ci_u32_e32 v42, vcc_lo, s3, v34, vcc_lo
	s_add_u32 s4, s2, 1
	s_clause 0x1
	global_load_u8 v38, v[38:39], off
	global_load_u8 v39, v[41:42], off
	s_addc_u32 s5, s3, 0
	s_and_not1_b32 s33, s33, exec_lo
	s_waitcnt vmcnt(0)
	v_cmp_ne_u16_e32 vcc_lo, v38, v39
	s_and_b32 s34, vcc_lo, exec_lo
	s_delay_alu instid0(SALU_CYCLE_1)
	s_or_b32 s33, s33, s34
.LBB210_271:                            ;   in Loop: Header=BB210_272 Depth=1
	v_dual_mov_b32 v39, s3 :: v_dual_mov_b32 v38, s2
	s_and_b32 s34, exec_lo, s33
	s_mov_b64 s[2:3], s[4:5]
	s_or_b32 s31, s34, s31
	s_delay_alu instid0(SALU_CYCLE_1)
	s_and_not1_b32 exec_lo, exec_lo, s31
	s_cbranch_execz .LBB210_274
.LBB210_272:                            ; =>This Inner Loop Header: Depth=1
	s_or_b32 s33, s33, exec_lo
	s_cmp_eq_u64 s[22:23], s[2:3]
	s_cbranch_scc0 .LBB210_270
; %bb.273:                              ;   in Loop: Header=BB210_272 Depth=1
	s_mov_b64 s[2:3], s[22:23]
                                        ; implicit-def: $sgpr4_sgpr5
	s_branch .LBB210_271
.LBB210_274:
	s_set_inst_prefetch_distance 0x2
	s_or_b32 exec_lo, exec_lo, s31
	v_cmp_gt_i64_e32 vcc_lo, s[22:23], v[38:39]
	s_or_not1_b32 s2, vcc_lo, exec_lo
.LBB210_275:
	s_or_b32 exec_lo, exec_lo, s30
.LBB210_276:
	v_cndmask_b32_e64 v34, 0, 1, s29
	v_cndmask_b32_e64 v36, 0, 1, s26
	v_cndmask_b32_e64 v37, 0, 1, s24
	v_cndmask_b32_e64 v38, 0, 1, s2
	v_cndmask_b32_e64 v33, 0, 1, s27
	v_cndmask_b32_e64 v39, 0, 1, s25
	v_cndmask_b32_e64 v41, 0, 1, s19
	v_lshlrev_b16 v36, 8, v36
	v_lshlrev_b16 v37, 8, v37
	;; [unrolled: 1-line block ×4, first 2 shown]
	s_delay_alu instid0(VALU_DEP_4) | instskip(NEXT) | instid1(VALU_DEP_4)
	v_or_b32_e32 v36, v39, v36
	v_or_b32_e32 v37, v41, v37
	s_delay_alu instid0(VALU_DEP_4) | instskip(NEXT) | instid1(VALU_DEP_4)
	v_or_b32_e32 v38, 1, v38
	v_or_b32_e32 v33, v33, v34
	s_barrier
	v_and_b32_e32 v34, 0xffff, v36
	v_lshlrev_b32_e32 v36, 16, v37
	v_and_b32_e32 v37, 0xffff, v38
	v_lshlrev_b32_e32 v33, 16, v33
	buffer_gl0_inv
                                        ; implicit-def: $sgpr2
	s_mov_b32 s3, exec_lo
	v_or_b32_e32 v34, v34, v36
	v_or_b32_e32 v33, v37, v33
	v_cmpx_ne_u32_e32 0, v0
	s_xor_b32 s19, exec_lo, s3
	s_cbranch_execz .LBB210_287
; %bb.277:
	s_and_not1_b32 vcc_lo, exec_lo, s7
	s_mov_b32 s2, 0
	s_cbranch_vccnz .LBB210_286
; %bb.278:
	v_add_nc_u32_e32 v36, -8, v55
	s_mov_b32 s2, -1
	s_mov_b32 s24, exec_lo
	ds_load_b64 v[38:39], v36
	s_waitcnt lgkmcnt(0)
	v_mul_lo_u32 v41, v38, s23
	v_mul_lo_u32 v39, v39, s22
	v_mad_u64_u32 v[36:37], null, v38, s22, s[8:9]
	v_add_co_u32 v38, vcc_lo, s8, v35
	s_delay_alu instid0(VALU_DEP_2)
	v_add3_u32 v37, v39, v37, v41
	v_add_co_ci_u32_e32 v39, vcc_lo, s9, v40, vcc_lo
	s_clause 0x1
	global_load_u8 v35, v[36:37], off
	global_load_u8 v40, v[38:39], off
	s_waitcnt vmcnt(0)
	v_cmpx_eq_u16_e64 v35, v40
	s_cbranch_execz .LBB210_285
; %bb.279:
	s_mov_b64 s[2:3], 1
	s_mov_b32 s25, 0
                                        ; implicit-def: $sgpr26
	s_set_inst_prefetch_distance 0x1
	s_branch .LBB210_282
	.p2align	6
.LBB210_280:                            ;   in Loop: Header=BB210_282 Depth=1
	v_add_co_u32 v40, vcc_lo, v36, s2
	v_add_co_ci_u32_e32 v41, vcc_lo, s3, v37, vcc_lo
	v_add_co_u32 v42, vcc_lo, v38, s2
	v_add_co_ci_u32_e32 v43, vcc_lo, s3, v39, vcc_lo
	s_add_u32 s4, s2, 1
	s_clause 0x1
	global_load_u8 v35, v[40:41], off
	global_load_u8 v40, v[42:43], off
	s_addc_u32 s5, s3, 0
	s_and_not1_b32 s26, s26, exec_lo
	s_waitcnt vmcnt(0)
	v_cmp_ne_u16_e32 vcc_lo, v35, v40
	s_and_b32 s27, vcc_lo, exec_lo
	s_delay_alu instid0(SALU_CYCLE_1)
	s_or_b32 s26, s26, s27
.LBB210_281:                            ;   in Loop: Header=BB210_282 Depth=1
	v_dual_mov_b32 v41, s3 :: v_dual_mov_b32 v40, s2
	s_and_b32 s27, exec_lo, s26
	s_mov_b64 s[2:3], s[4:5]
	s_or_b32 s25, s27, s25
	s_delay_alu instid0(SALU_CYCLE_1)
	s_and_not1_b32 exec_lo, exec_lo, s25
	s_cbranch_execz .LBB210_284
.LBB210_282:                            ; =>This Inner Loop Header: Depth=1
	s_or_b32 s26, s26, exec_lo
	s_cmp_eq_u64 s[22:23], s[2:3]
	s_cbranch_scc0 .LBB210_280
; %bb.283:                              ;   in Loop: Header=BB210_282 Depth=1
	s_mov_b64 s[2:3], s[22:23]
                                        ; implicit-def: $sgpr4_sgpr5
	s_branch .LBB210_281
.LBB210_284:
	s_set_inst_prefetch_distance 0x2
	s_or_b32 exec_lo, exec_lo, s25
	v_cmp_gt_i64_e32 vcc_lo, s[22:23], v[40:41]
	s_or_not1_b32 s2, vcc_lo, exec_lo
.LBB210_285:
	s_or_b32 exec_lo, exec_lo, s24
.LBB210_286:
	s_delay_alu instid0(SALU_CYCLE_1)
	s_and_b32 s2, s2, exec_lo
	s_or_b32 s6, s6, exec_lo
.LBB210_287:
	s_or_b32 exec_lo, exec_lo, s19
	s_branch .LBB210_379
.LBB210_288:
	v_or_b32_e32 v33, 7, v55
	s_mov_b32 s19, 0
	s_mov_b32 s24, 0
	s_mov_b32 s25, exec_lo
	s_delay_alu instid0(VALU_DEP_1)
	v_cmpx_gt_u32_e64 s28, v33
	s_cbranch_execz .LBB210_299
; %bb.289:
	s_and_not1_b32 vcc_lo, exec_lo, s7
	s_mov_b32 s2, 0
	s_cbranch_vccnz .LBB210_298
; %bb.290:
	v_mad_u64_u32 v[33:34], null, v17, s22, s[8:9]
	s_waitcnt lgkmcnt(0)
	v_mul_lo_u32 v37, v17, s23
	v_mul_lo_u32 v38, v18, s22
	v_mad_u64_u32 v[35:36], null, v19, s22, s[8:9]
	v_mul_lo_u32 v39, v19, s23
	v_mul_lo_u32 v40, v20, s22
	s_mov_b32 s2, -1
	s_mov_b32 s24, exec_lo
	s_delay_alu instid0(VALU_DEP_4) | instskip(NEXT) | instid1(VALU_DEP_2)
	v_add3_u32 v34, v38, v34, v37
	v_add3_u32 v36, v40, v36, v39
	s_clause 0x1
	global_load_u8 v37, v[33:34], off
	global_load_u8 v38, v[35:36], off
	s_waitcnt vmcnt(0)
	v_cmpx_eq_u16_e64 v37, v38
	s_cbranch_execz .LBB210_297
; %bb.291:
	s_mov_b64 s[2:3], 1
	s_mov_b32 s26, 0
                                        ; implicit-def: $sgpr27
	s_set_inst_prefetch_distance 0x1
	s_branch .LBB210_294
	.p2align	6
.LBB210_292:                            ;   in Loop: Header=BB210_294 Depth=1
	v_add_co_u32 v37, vcc_lo, v33, s2
	v_add_co_ci_u32_e32 v38, vcc_lo, s3, v34, vcc_lo
	v_add_co_u32 v39, vcc_lo, v35, s2
	v_add_co_ci_u32_e32 v40, vcc_lo, s3, v36, vcc_lo
	s_add_u32 s4, s2, 1
	s_clause 0x1
	global_load_u8 v37, v[37:38], off
	global_load_u8 v38, v[39:40], off
	s_addc_u32 s5, s3, 0
	s_and_not1_b32 s27, s27, exec_lo
	s_waitcnt vmcnt(0)
	v_cmp_ne_u16_e32 vcc_lo, v37, v38
	s_and_b32 s29, vcc_lo, exec_lo
	s_delay_alu instid0(SALU_CYCLE_1)
	s_or_b32 s27, s27, s29
.LBB210_293:                            ;   in Loop: Header=BB210_294 Depth=1
	v_dual_mov_b32 v38, s3 :: v_dual_mov_b32 v37, s2
	s_and_b32 s29, exec_lo, s27
	s_mov_b64 s[2:3], s[4:5]
	s_or_b32 s26, s29, s26
	s_delay_alu instid0(SALU_CYCLE_1)
	s_and_not1_b32 exec_lo, exec_lo, s26
	s_cbranch_execz .LBB210_296
.LBB210_294:                            ; =>This Inner Loop Header: Depth=1
	s_or_b32 s27, s27, exec_lo
	s_cmp_eq_u64 s[22:23], s[2:3]
	s_cbranch_scc0 .LBB210_292
; %bb.295:                              ;   in Loop: Header=BB210_294 Depth=1
	s_mov_b64 s[2:3], s[22:23]
                                        ; implicit-def: $sgpr4_sgpr5
	s_branch .LBB210_293
.LBB210_296:
	s_set_inst_prefetch_distance 0x2
	s_or_b32 exec_lo, exec_lo, s26
	v_cmp_gt_i64_e32 vcc_lo, s[22:23], v[37:38]
	s_or_not1_b32 s2, vcc_lo, exec_lo
.LBB210_297:
	s_or_b32 exec_lo, exec_lo, s24
.LBB210_298:
	s_delay_alu instid0(SALU_CYCLE_1)
	s_and_b32 s24, s2, exec_lo
.LBB210_299:
	s_or_b32 exec_lo, exec_lo, s25
	v_or_b32_e32 v33, 6, v55
	s_mov_b32 s25, exec_lo
	s_delay_alu instid0(VALU_DEP_1)
	v_cmpx_gt_u32_e64 s28, v33
	s_cbranch_execz .LBB210_310
; %bb.300:
	s_and_not1_b32 vcc_lo, exec_lo, s7
	s_mov_b32 s2, 0
	s_cbranch_vccnz .LBB210_309
; %bb.301:
	v_mad_u64_u32 v[33:34], null, v23, s22, s[8:9]
	s_waitcnt lgkmcnt(0)
	v_mul_lo_u32 v37, v23, s23
	v_mul_lo_u32 v38, v24, s22
	v_mad_u64_u32 v[35:36], null, v17, s22, s[8:9]
	v_mul_lo_u32 v39, v17, s23
	v_mul_lo_u32 v40, v18, s22
	s_mov_b32 s2, -1
	s_mov_b32 s19, exec_lo
	s_delay_alu instid0(VALU_DEP_4) | instskip(NEXT) | instid1(VALU_DEP_2)
	v_add3_u32 v34, v38, v34, v37
	v_add3_u32 v36, v40, v36, v39
	s_clause 0x1
	global_load_u8 v37, v[33:34], off
	global_load_u8 v38, v[35:36], off
	s_waitcnt vmcnt(0)
	v_cmpx_eq_u16_e64 v37, v38
	s_cbranch_execz .LBB210_308
; %bb.302:
	s_mov_b64 s[2:3], 1
	s_mov_b32 s26, 0
                                        ; implicit-def: $sgpr27
	s_set_inst_prefetch_distance 0x1
	s_branch .LBB210_305
	.p2align	6
.LBB210_303:                            ;   in Loop: Header=BB210_305 Depth=1
	v_add_co_u32 v37, vcc_lo, v33, s2
	v_add_co_ci_u32_e32 v38, vcc_lo, s3, v34, vcc_lo
	v_add_co_u32 v39, vcc_lo, v35, s2
	v_add_co_ci_u32_e32 v40, vcc_lo, s3, v36, vcc_lo
	s_add_u32 s4, s2, 1
	s_clause 0x1
	global_load_u8 v37, v[37:38], off
	global_load_u8 v38, v[39:40], off
	s_addc_u32 s5, s3, 0
	s_and_not1_b32 s27, s27, exec_lo
	s_waitcnt vmcnt(0)
	v_cmp_ne_u16_e32 vcc_lo, v37, v38
	s_and_b32 s29, vcc_lo, exec_lo
	s_delay_alu instid0(SALU_CYCLE_1)
	s_or_b32 s27, s27, s29
.LBB210_304:                            ;   in Loop: Header=BB210_305 Depth=1
	v_dual_mov_b32 v38, s3 :: v_dual_mov_b32 v37, s2
	s_and_b32 s29, exec_lo, s27
	s_mov_b64 s[2:3], s[4:5]
	s_or_b32 s26, s29, s26
	s_delay_alu instid0(SALU_CYCLE_1)
	s_and_not1_b32 exec_lo, exec_lo, s26
	s_cbranch_execz .LBB210_307
.LBB210_305:                            ; =>This Inner Loop Header: Depth=1
	s_or_b32 s27, s27, exec_lo
	s_cmp_eq_u64 s[22:23], s[2:3]
	s_cbranch_scc0 .LBB210_303
; %bb.306:                              ;   in Loop: Header=BB210_305 Depth=1
	s_mov_b64 s[2:3], s[22:23]
                                        ; implicit-def: $sgpr4_sgpr5
	s_branch .LBB210_304
.LBB210_307:
	s_set_inst_prefetch_distance 0x2
	s_or_b32 exec_lo, exec_lo, s26
	v_cmp_gt_i64_e32 vcc_lo, s[22:23], v[37:38]
	s_or_not1_b32 s2, vcc_lo, exec_lo
.LBB210_308:
	s_or_b32 exec_lo, exec_lo, s19
.LBB210_309:
	s_delay_alu instid0(SALU_CYCLE_1)
	s_and_b32 s19, s2, exec_lo
.LBB210_310:
	s_or_b32 exec_lo, exec_lo, s25
	v_or_b32_e32 v33, 5, v55
	s_mov_b32 s25, 0
	s_mov_b32 s26, 0
	s_mov_b32 s27, exec_lo
	s_delay_alu instid0(VALU_DEP_1)
	v_cmpx_gt_u32_e64 s28, v33
	s_cbranch_execz .LBB210_321
; %bb.311:
	s_and_not1_b32 vcc_lo, exec_lo, s7
	s_mov_b32 s2, 0
	s_cbranch_vccnz .LBB210_320
; %bb.312:
	v_mad_u64_u32 v[33:34], null, v21, s22, s[8:9]
	s_waitcnt lgkmcnt(0)
	v_mul_lo_u32 v37, v21, s23
	v_mul_lo_u32 v38, v22, s22
	v_mad_u64_u32 v[35:36], null, v23, s22, s[8:9]
	v_mul_lo_u32 v39, v23, s23
	v_mul_lo_u32 v40, v24, s22
	s_mov_b32 s2, -1
	s_mov_b32 s26, exec_lo
	s_delay_alu instid0(VALU_DEP_4) | instskip(NEXT) | instid1(VALU_DEP_2)
	v_add3_u32 v34, v38, v34, v37
	v_add3_u32 v36, v40, v36, v39
	s_clause 0x1
	global_load_u8 v37, v[33:34], off
	global_load_u8 v38, v[35:36], off
	s_waitcnt vmcnt(0)
	v_cmpx_eq_u16_e64 v37, v38
	s_cbranch_execz .LBB210_319
; %bb.313:
	s_mov_b64 s[2:3], 1
	s_mov_b32 s29, 0
                                        ; implicit-def: $sgpr30
	s_set_inst_prefetch_distance 0x1
	s_branch .LBB210_316
	.p2align	6
.LBB210_314:                            ;   in Loop: Header=BB210_316 Depth=1
	v_add_co_u32 v37, vcc_lo, v33, s2
	v_add_co_ci_u32_e32 v38, vcc_lo, s3, v34, vcc_lo
	v_add_co_u32 v39, vcc_lo, v35, s2
	v_add_co_ci_u32_e32 v40, vcc_lo, s3, v36, vcc_lo
	s_add_u32 s4, s2, 1
	s_clause 0x1
	global_load_u8 v37, v[37:38], off
	global_load_u8 v38, v[39:40], off
	s_addc_u32 s5, s3, 0
	s_and_not1_b32 s30, s30, exec_lo
	s_waitcnt vmcnt(0)
	v_cmp_ne_u16_e32 vcc_lo, v37, v38
	s_and_b32 s31, vcc_lo, exec_lo
	s_delay_alu instid0(SALU_CYCLE_1)
	s_or_b32 s30, s30, s31
.LBB210_315:                            ;   in Loop: Header=BB210_316 Depth=1
	v_dual_mov_b32 v38, s3 :: v_dual_mov_b32 v37, s2
	s_and_b32 s31, exec_lo, s30
	s_mov_b64 s[2:3], s[4:5]
	s_or_b32 s29, s31, s29
	s_delay_alu instid0(SALU_CYCLE_1)
	s_and_not1_b32 exec_lo, exec_lo, s29
	s_cbranch_execz .LBB210_318
.LBB210_316:                            ; =>This Inner Loop Header: Depth=1
	s_or_b32 s30, s30, exec_lo
	s_cmp_eq_u64 s[22:23], s[2:3]
	s_cbranch_scc0 .LBB210_314
; %bb.317:                              ;   in Loop: Header=BB210_316 Depth=1
	s_mov_b64 s[2:3], s[22:23]
                                        ; implicit-def: $sgpr4_sgpr5
	s_branch .LBB210_315
.LBB210_318:
	s_set_inst_prefetch_distance 0x2
	s_or_b32 exec_lo, exec_lo, s29
	v_cmp_gt_i64_e32 vcc_lo, s[22:23], v[37:38]
	s_or_not1_b32 s2, vcc_lo, exec_lo
.LBB210_319:
	s_or_b32 exec_lo, exec_lo, s26
.LBB210_320:
	s_delay_alu instid0(SALU_CYCLE_1)
	s_and_b32 s26, s2, exec_lo
.LBB210_321:
	s_or_b32 exec_lo, exec_lo, s27
	v_or_b32_e32 v33, 4, v55
	s_mov_b32 s27, exec_lo
	s_delay_alu instid0(VALU_DEP_1)
	v_cmpx_gt_u32_e64 s28, v33
	s_cbranch_execz .LBB210_332
; %bb.322:
	s_and_not1_b32 vcc_lo, exec_lo, s7
	s_mov_b32 s2, 0
	s_cbranch_vccnz .LBB210_331
; %bb.323:
	v_mad_u64_u32 v[33:34], null, v27, s22, s[8:9]
	s_waitcnt lgkmcnt(0)
	v_mul_lo_u32 v37, v27, s23
	v_mul_lo_u32 v38, v28, s22
	v_mad_u64_u32 v[35:36], null, v21, s22, s[8:9]
	v_mul_lo_u32 v39, v21, s23
	v_mul_lo_u32 v40, v22, s22
	s_mov_b32 s2, -1
	s_mov_b32 s25, exec_lo
	s_delay_alu instid0(VALU_DEP_4) | instskip(NEXT) | instid1(VALU_DEP_2)
	v_add3_u32 v34, v38, v34, v37
	v_add3_u32 v36, v40, v36, v39
	s_clause 0x1
	global_load_u8 v37, v[33:34], off
	global_load_u8 v38, v[35:36], off
	s_waitcnt vmcnt(0)
	v_cmpx_eq_u16_e64 v37, v38
	s_cbranch_execz .LBB210_330
; %bb.324:
	s_mov_b64 s[2:3], 1
	s_mov_b32 s29, 0
                                        ; implicit-def: $sgpr30
	s_set_inst_prefetch_distance 0x1
	s_branch .LBB210_327
	.p2align	6
.LBB210_325:                            ;   in Loop: Header=BB210_327 Depth=1
	v_add_co_u32 v37, vcc_lo, v33, s2
	v_add_co_ci_u32_e32 v38, vcc_lo, s3, v34, vcc_lo
	v_add_co_u32 v39, vcc_lo, v35, s2
	v_add_co_ci_u32_e32 v40, vcc_lo, s3, v36, vcc_lo
	s_add_u32 s4, s2, 1
	s_clause 0x1
	global_load_u8 v37, v[37:38], off
	global_load_u8 v38, v[39:40], off
	s_addc_u32 s5, s3, 0
	s_and_not1_b32 s30, s30, exec_lo
	s_waitcnt vmcnt(0)
	v_cmp_ne_u16_e32 vcc_lo, v37, v38
	s_and_b32 s31, vcc_lo, exec_lo
	s_delay_alu instid0(SALU_CYCLE_1)
	s_or_b32 s30, s30, s31
.LBB210_326:                            ;   in Loop: Header=BB210_327 Depth=1
	v_dual_mov_b32 v38, s3 :: v_dual_mov_b32 v37, s2
	s_and_b32 s31, exec_lo, s30
	s_mov_b64 s[2:3], s[4:5]
	s_or_b32 s29, s31, s29
	s_delay_alu instid0(SALU_CYCLE_1)
	s_and_not1_b32 exec_lo, exec_lo, s29
	s_cbranch_execz .LBB210_329
.LBB210_327:                            ; =>This Inner Loop Header: Depth=1
	s_or_b32 s30, s30, exec_lo
	s_cmp_eq_u64 s[22:23], s[2:3]
	s_cbranch_scc0 .LBB210_325
; %bb.328:                              ;   in Loop: Header=BB210_327 Depth=1
	s_mov_b64 s[2:3], s[22:23]
                                        ; implicit-def: $sgpr4_sgpr5
	s_branch .LBB210_326
.LBB210_329:
	s_set_inst_prefetch_distance 0x2
	s_or_b32 exec_lo, exec_lo, s29
	v_cmp_gt_i64_e32 vcc_lo, s[22:23], v[37:38]
	s_or_not1_b32 s2, vcc_lo, exec_lo
.LBB210_330:
	s_or_b32 exec_lo, exec_lo, s25
.LBB210_331:
	s_delay_alu instid0(SALU_CYCLE_1)
	s_and_b32 s25, s2, exec_lo
.LBB210_332:
	s_or_b32 exec_lo, exec_lo, s27
	v_or_b32_e32 v33, 3, v55
	s_mov_b32 s29, 0
	s_mov_b32 s27, 0
	s_mov_b32 s30, exec_lo
	s_delay_alu instid0(VALU_DEP_1)
	v_cmpx_gt_u32_e64 s28, v33
	s_cbranch_execz .LBB210_343
; %bb.333:
	s_and_not1_b32 vcc_lo, exec_lo, s7
	s_mov_b32 s2, 0
	s_cbranch_vccnz .LBB210_342
; %bb.334:
	v_mad_u64_u32 v[33:34], null, v25, s22, s[8:9]
	s_waitcnt lgkmcnt(0)
	v_mul_lo_u32 v37, v25, s23
	v_mul_lo_u32 v38, v26, s22
	v_mad_u64_u32 v[35:36], null, v27, s22, s[8:9]
	v_mul_lo_u32 v39, v27, s23
	v_mul_lo_u32 v40, v28, s22
	s_mov_b32 s2, -1
	s_mov_b32 s27, exec_lo
	s_delay_alu instid0(VALU_DEP_4) | instskip(NEXT) | instid1(VALU_DEP_2)
	v_add3_u32 v34, v38, v34, v37
	v_add3_u32 v36, v40, v36, v39
	s_clause 0x1
	global_load_u8 v37, v[33:34], off
	global_load_u8 v38, v[35:36], off
	s_waitcnt vmcnt(0)
	v_cmpx_eq_u16_e64 v37, v38
	s_cbranch_execz .LBB210_341
; %bb.335:
	s_mov_b64 s[2:3], 1
	s_mov_b32 s31, 0
                                        ; implicit-def: $sgpr33
	s_set_inst_prefetch_distance 0x1
	s_branch .LBB210_338
	.p2align	6
.LBB210_336:                            ;   in Loop: Header=BB210_338 Depth=1
	v_add_co_u32 v37, vcc_lo, v33, s2
	v_add_co_ci_u32_e32 v38, vcc_lo, s3, v34, vcc_lo
	v_add_co_u32 v39, vcc_lo, v35, s2
	v_add_co_ci_u32_e32 v40, vcc_lo, s3, v36, vcc_lo
	s_add_u32 s4, s2, 1
	s_clause 0x1
	global_load_u8 v37, v[37:38], off
	global_load_u8 v38, v[39:40], off
	s_addc_u32 s5, s3, 0
	s_and_not1_b32 s33, s33, exec_lo
	s_waitcnt vmcnt(0)
	v_cmp_ne_u16_e32 vcc_lo, v37, v38
	s_and_b32 s34, vcc_lo, exec_lo
	s_delay_alu instid0(SALU_CYCLE_1)
	s_or_b32 s33, s33, s34
.LBB210_337:                            ;   in Loop: Header=BB210_338 Depth=1
	v_dual_mov_b32 v38, s3 :: v_dual_mov_b32 v37, s2
	s_and_b32 s34, exec_lo, s33
	s_mov_b64 s[2:3], s[4:5]
	s_or_b32 s31, s34, s31
	s_delay_alu instid0(SALU_CYCLE_1)
	s_and_not1_b32 exec_lo, exec_lo, s31
	s_cbranch_execz .LBB210_340
.LBB210_338:                            ; =>This Inner Loop Header: Depth=1
	s_or_b32 s33, s33, exec_lo
	s_cmp_eq_u64 s[22:23], s[2:3]
	s_cbranch_scc0 .LBB210_336
; %bb.339:                              ;   in Loop: Header=BB210_338 Depth=1
	s_mov_b64 s[2:3], s[22:23]
                                        ; implicit-def: $sgpr4_sgpr5
	s_branch .LBB210_337
.LBB210_340:
	s_set_inst_prefetch_distance 0x2
	s_or_b32 exec_lo, exec_lo, s31
	v_cmp_gt_i64_e32 vcc_lo, s[22:23], v[37:38]
	s_or_not1_b32 s2, vcc_lo, exec_lo
.LBB210_341:
	s_or_b32 exec_lo, exec_lo, s27
.LBB210_342:
	s_delay_alu instid0(SALU_CYCLE_1)
	s_and_b32 s27, s2, exec_lo
.LBB210_343:
	s_or_b32 exec_lo, exec_lo, s30
	v_or_b32_e32 v33, 2, v55
	s_mov_b32 s30, exec_lo
	s_delay_alu instid0(VALU_DEP_1)
	v_cmpx_gt_u32_e64 s28, v33
	s_cbranch_execz .LBB210_354
; %bb.344:
	s_and_not1_b32 vcc_lo, exec_lo, s7
	s_mov_b32 s2, 0
	s_cbranch_vccnz .LBB210_353
; %bb.345:
	v_mad_u64_u32 v[33:34], null, v31, s22, s[8:9]
	s_waitcnt lgkmcnt(0)
	v_mul_lo_u32 v37, v31, s23
	v_mul_lo_u32 v38, v32, s22
	v_mad_u64_u32 v[35:36], null, v25, s22, s[8:9]
	v_mul_lo_u32 v39, v25, s23
	v_mul_lo_u32 v40, v26, s22
	s_mov_b32 s2, -1
	s_mov_b32 s29, exec_lo
	s_delay_alu instid0(VALU_DEP_4) | instskip(NEXT) | instid1(VALU_DEP_2)
	v_add3_u32 v34, v38, v34, v37
	v_add3_u32 v36, v40, v36, v39
	s_clause 0x1
	global_load_u8 v37, v[33:34], off
	global_load_u8 v38, v[35:36], off
	s_waitcnt vmcnt(0)
	v_cmpx_eq_u16_e64 v37, v38
	s_cbranch_execz .LBB210_352
; %bb.346:
	s_mov_b64 s[2:3], 1
	s_mov_b32 s31, 0
                                        ; implicit-def: $sgpr33
	s_set_inst_prefetch_distance 0x1
	s_branch .LBB210_349
	.p2align	6
.LBB210_347:                            ;   in Loop: Header=BB210_349 Depth=1
	v_add_co_u32 v37, vcc_lo, v33, s2
	v_add_co_ci_u32_e32 v38, vcc_lo, s3, v34, vcc_lo
	v_add_co_u32 v39, vcc_lo, v35, s2
	v_add_co_ci_u32_e32 v40, vcc_lo, s3, v36, vcc_lo
	s_add_u32 s4, s2, 1
	s_clause 0x1
	global_load_u8 v37, v[37:38], off
	global_load_u8 v38, v[39:40], off
	s_addc_u32 s5, s3, 0
	s_and_not1_b32 s33, s33, exec_lo
	s_waitcnt vmcnt(0)
	v_cmp_ne_u16_e32 vcc_lo, v37, v38
	s_and_b32 s34, vcc_lo, exec_lo
	s_delay_alu instid0(SALU_CYCLE_1)
	s_or_b32 s33, s33, s34
.LBB210_348:                            ;   in Loop: Header=BB210_349 Depth=1
	v_dual_mov_b32 v38, s3 :: v_dual_mov_b32 v37, s2
	s_and_b32 s34, exec_lo, s33
	s_mov_b64 s[2:3], s[4:5]
	s_or_b32 s31, s34, s31
	s_delay_alu instid0(SALU_CYCLE_1)
	s_and_not1_b32 exec_lo, exec_lo, s31
	s_cbranch_execz .LBB210_351
.LBB210_349:                            ; =>This Inner Loop Header: Depth=1
	s_or_b32 s33, s33, exec_lo
	s_cmp_eq_u64 s[22:23], s[2:3]
	s_cbranch_scc0 .LBB210_347
; %bb.350:                              ;   in Loop: Header=BB210_349 Depth=1
	s_mov_b64 s[2:3], s[22:23]
                                        ; implicit-def: $sgpr4_sgpr5
	s_branch .LBB210_348
.LBB210_351:
	s_set_inst_prefetch_distance 0x2
	s_or_b32 exec_lo, exec_lo, s31
	v_cmp_gt_i64_e32 vcc_lo, s[22:23], v[37:38]
	s_or_not1_b32 s2, vcc_lo, exec_lo
.LBB210_352:
	s_or_b32 exec_lo, exec_lo, s29
.LBB210_353:
	s_delay_alu instid0(SALU_CYCLE_1)
	s_and_b32 s29, s2, exec_lo
.LBB210_354:
	s_or_b32 exec_lo, exec_lo, s30
	v_or_b32_e32 v33, 1, v55
	s_mov_b32 s2, 0
	s_mov_b32 s30, exec_lo
	s_delay_alu instid0(VALU_DEP_1)
	v_cmpx_gt_u32_e64 s28, v33
	s_cbranch_execz .LBB210_365
; %bb.355:
	s_and_not1_b32 vcc_lo, exec_lo, s7
	s_cbranch_vccnz .LBB210_364
; %bb.356:
	v_mad_u64_u32 v[33:34], null, v29, s22, s[8:9]
	s_waitcnt lgkmcnt(0)
	v_mul_lo_u32 v37, v29, s23
	v_mul_lo_u32 v38, v30, s22
	v_mad_u64_u32 v[35:36], null, v31, s22, s[8:9]
	v_mul_lo_u32 v39, v31, s23
	v_mul_lo_u32 v40, v32, s22
	s_mov_b32 s2, -1
	s_mov_b32 s31, exec_lo
	s_delay_alu instid0(VALU_DEP_4) | instskip(NEXT) | instid1(VALU_DEP_2)
	v_add3_u32 v34, v38, v34, v37
	v_add3_u32 v36, v40, v36, v39
	s_clause 0x1
	global_load_u8 v37, v[33:34], off
	global_load_u8 v38, v[35:36], off
	s_waitcnt vmcnt(0)
	v_cmpx_eq_u16_e64 v37, v38
	s_cbranch_execz .LBB210_363
; %bb.357:
	s_mov_b64 s[2:3], 1
	s_mov_b32 s33, 0
                                        ; implicit-def: $sgpr34
	s_set_inst_prefetch_distance 0x1
	s_branch .LBB210_360
	.p2align	6
.LBB210_358:                            ;   in Loop: Header=BB210_360 Depth=1
	v_add_co_u32 v37, vcc_lo, v33, s2
	v_add_co_ci_u32_e32 v38, vcc_lo, s3, v34, vcc_lo
	v_add_co_u32 v39, vcc_lo, v35, s2
	v_add_co_ci_u32_e32 v40, vcc_lo, s3, v36, vcc_lo
	s_add_u32 s4, s2, 1
	s_clause 0x1
	global_load_u8 v37, v[37:38], off
	global_load_u8 v38, v[39:40], off
	s_addc_u32 s5, s3, 0
	s_and_not1_b32 s34, s34, exec_lo
	s_waitcnt vmcnt(0)
	v_cmp_ne_u16_e32 vcc_lo, v37, v38
	s_and_b32 s35, vcc_lo, exec_lo
	s_delay_alu instid0(SALU_CYCLE_1)
	s_or_b32 s34, s34, s35
.LBB210_359:                            ;   in Loop: Header=BB210_360 Depth=1
	v_dual_mov_b32 v38, s3 :: v_dual_mov_b32 v37, s2
	s_and_b32 s35, exec_lo, s34
	s_mov_b64 s[2:3], s[4:5]
	s_or_b32 s33, s35, s33
	s_delay_alu instid0(SALU_CYCLE_1)
	s_and_not1_b32 exec_lo, exec_lo, s33
	s_cbranch_execz .LBB210_362
.LBB210_360:                            ; =>This Inner Loop Header: Depth=1
	s_or_b32 s34, s34, exec_lo
	s_cmp_eq_u64 s[22:23], s[2:3]
	s_cbranch_scc0 .LBB210_358
; %bb.361:                              ;   in Loop: Header=BB210_360 Depth=1
	s_mov_b64 s[2:3], s[22:23]
                                        ; implicit-def: $sgpr4_sgpr5
	s_branch .LBB210_359
.LBB210_362:
	s_set_inst_prefetch_distance 0x2
	s_or_b32 exec_lo, exec_lo, s33
	v_cmp_gt_i64_e32 vcc_lo, s[22:23], v[37:38]
	s_or_not1_b32 s2, vcc_lo, exec_lo
.LBB210_363:
	s_or_b32 exec_lo, exec_lo, s31
.LBB210_364:
	s_delay_alu instid0(SALU_CYCLE_1)
	s_and_b32 s2, s2, exec_lo
.LBB210_365:
	s_or_b32 exec_lo, exec_lo, s30
	v_cndmask_b32_e64 v34, 0, 1, s27
	s_waitcnt lgkmcnt(0)
	v_cndmask_b32_e64 v35, 0, 1, s26
	v_cndmask_b32_e64 v36, 0, 1, s24
	;; [unrolled: 1-line block ×6, first 2 shown]
	v_lshlrev_b16 v35, 8, v35
	v_lshlrev_b16 v36, 8, v36
	;; [unrolled: 1-line block ×4, first 2 shown]
	s_mov_b32 s19, exec_lo
	v_or_b32_e32 v35, v38, v35
	v_or_b32_e32 v36, v39, v36
	;; [unrolled: 1-line block ×4, first 2 shown]
	s_delay_alu instid0(VALU_DEP_4) | instskip(NEXT) | instid1(VALU_DEP_4)
	v_and_b32_e32 v34, 0xffff, v35
	v_lshlrev_b32_e32 v35, 16, v36
	s_delay_alu instid0(VALU_DEP_4) | instskip(NEXT) | instid1(VALU_DEP_4)
	v_and_b32_e32 v36, 0xffff, v37
	v_lshlrev_b32_e32 v33, 16, v33
	s_barrier
	buffer_gl0_inv
	v_or_b32_e32 v34, v34, v35
                                        ; implicit-def: $sgpr2
	v_or_b32_e32 v33, v36, v33
	v_cmpx_ne_u32_e32 0, v0
	s_cbranch_execz .LBB210_378
; %bb.366:
	s_mov_b32 s2, 0
	s_mov_b32 s24, exec_lo
	v_cmpx_gt_u32_e64 s28, v55
	s_cbranch_execz .LBB210_377
; %bb.367:
	s_and_not1_b32 vcc_lo, exec_lo, s7
	s_cbranch_vccnz .LBB210_376
; %bb.368:
	v_add_nc_u32_e32 v35, -8, v55
	v_mul_lo_u32 v41, v29, s23
	s_mov_b32 s2, -1
	s_mov_b32 s7, exec_lo
	ds_load_b64 v[39:40], v35
	v_mad_u64_u32 v[35:36], null, v29, s22, s[8:9]
	s_waitcnt lgkmcnt(0)
	v_mul_lo_u32 v42, v39, s23
	v_mul_lo_u32 v40, v40, s22
	v_mad_u64_u32 v[37:38], null, v39, s22, s[8:9]
	v_mul_lo_u32 v39, v30, s22
	s_delay_alu instid0(VALU_DEP_2) | instskip(NEXT) | instid1(VALU_DEP_2)
	v_add3_u32 v38, v40, v38, v42
	v_add3_u32 v36, v39, v36, v41
	s_clause 0x1
	global_load_u8 v39, v[37:38], off
	global_load_u8 v40, v[35:36], off
	s_waitcnt vmcnt(0)
	v_cmpx_eq_u16_e64 v39, v40
	s_cbranch_execz .LBB210_375
; %bb.369:
	s_mov_b64 s[2:3], 1
	s_mov_b32 s8, 0
                                        ; implicit-def: $sgpr9
	s_set_inst_prefetch_distance 0x1
	s_branch .LBB210_372
	.p2align	6
.LBB210_370:                            ;   in Loop: Header=BB210_372 Depth=1
	v_add_co_u32 v39, vcc_lo, v37, s2
	v_add_co_ci_u32_e32 v40, vcc_lo, s3, v38, vcc_lo
	v_add_co_u32 v41, vcc_lo, v35, s2
	v_add_co_ci_u32_e32 v42, vcc_lo, s3, v36, vcc_lo
	s_add_u32 s4, s2, 1
	s_clause 0x1
	global_load_u8 v39, v[39:40], off
	global_load_u8 v40, v[41:42], off
	s_addc_u32 s5, s3, 0
	s_and_not1_b32 s9, s9, exec_lo
	s_waitcnt vmcnt(0)
	v_cmp_ne_u16_e32 vcc_lo, v39, v40
	s_and_b32 s25, vcc_lo, exec_lo
	s_delay_alu instid0(SALU_CYCLE_1)
	s_or_b32 s9, s9, s25
.LBB210_371:                            ;   in Loop: Header=BB210_372 Depth=1
	v_dual_mov_b32 v40, s3 :: v_dual_mov_b32 v39, s2
	s_and_b32 s25, exec_lo, s9
	s_mov_b64 s[2:3], s[4:5]
	s_or_b32 s8, s25, s8
	s_delay_alu instid0(SALU_CYCLE_1)
	s_and_not1_b32 exec_lo, exec_lo, s8
	s_cbranch_execz .LBB210_374
.LBB210_372:                            ; =>This Inner Loop Header: Depth=1
	s_or_b32 s9, s9, exec_lo
	s_cmp_eq_u64 s[22:23], s[2:3]
	s_cbranch_scc0 .LBB210_370
; %bb.373:                              ;   in Loop: Header=BB210_372 Depth=1
	s_mov_b64 s[2:3], s[22:23]
                                        ; implicit-def: $sgpr4_sgpr5
	s_branch .LBB210_371
.LBB210_374:
	s_set_inst_prefetch_distance 0x2
	s_or_b32 exec_lo, exec_lo, s8
	v_cmp_gt_i64_e32 vcc_lo, s[22:23], v[39:40]
	s_or_not1_b32 s2, vcc_lo, exec_lo
.LBB210_375:
	s_or_b32 exec_lo, exec_lo, s7
.LBB210_376:
	s_delay_alu instid0(SALU_CYCLE_1)
	s_and_b32 s2, s2, exec_lo
.LBB210_377:
	s_or_b32 exec_lo, exec_lo, s24
	s_delay_alu instid0(SALU_CYCLE_1)
	s_and_b32 s2, s2, exec_lo
	s_or_b32 s6, s6, exec_lo
.LBB210_378:
	s_or_b32 exec_lo, exec_lo, s19
.LBB210_379:
	s_and_saveexec_b32 s3, s6
	s_cbranch_execz .LBB210_381
; %bb.380:
	s_waitcnt lgkmcnt(0)
	v_and_b32_e32 v35, 0xffffff00, v33
	v_cndmask_b32_e64 v36, 0, 1, s2
	s_delay_alu instid0(VALU_DEP_1) | instskip(NEXT) | instid1(VALU_DEP_1)
	v_or_b32_e32 v35, v36, v35
	v_and_b32_e32 v35, 0xffff, v35
	s_delay_alu instid0(VALU_DEP_1)
	v_and_or_b32 v33, 0xffff0000, v33, v35
.LBB210_381:
	s_or_b32 exec_lo, exec_lo, s3
	s_delay_alu instid0(SALU_CYCLE_1)
	s_and_not1_b32 vcc_lo, exec_lo, s21
	s_cbranch_vccnz .LBB210_383
; %bb.382:
	v_cmp_gt_u32_e32 vcc_lo, s28, v55
	s_waitcnt lgkmcnt(0)
	v_or_b32_e32 v36, 1, v55
	v_and_b32_e32 v37, 0xffffff00, v34
	v_or_b32_e32 v38, 2, v55
	v_cndmask_b32_e32 v35, 0, v33, vcc_lo
	s_delay_alu instid0(VALU_DEP_4) | instskip(SKIP_1) | instid1(VALU_DEP_4)
	v_cmp_gt_u32_e32 vcc_lo, s28, v36
	v_or_b32_e32 v36, 4, v55
	v_cmp_gt_u32_e64 s2, s28, v38
	v_or_b32_e32 v38, 3, v55
	v_and_b32_e32 v35, 0xff, v35
	s_delay_alu instid0(VALU_DEP_2) | instskip(NEXT) | instid1(VALU_DEP_2)
	v_cmp_gt_u32_e64 s3, s28, v38
	v_cndmask_b32_e32 v35, v35, v33, vcc_lo
	v_cmp_gt_u32_e32 vcc_lo, s28, v36
	v_cndmask_b32_e32 v36, v37, v34, vcc_lo
	v_or_b32_e32 v37, 5, v55
	s_delay_alu instid0(VALU_DEP_2) | instskip(SKIP_1) | instid1(VALU_DEP_1)
	v_and_b32_e32 v36, 0xffff00ff, v36
	v_and_b32_e32 v35, 0xffff, v35
	v_cndmask_b32_e64 v35, v35, v33, s2
	s_delay_alu instid0(VALU_DEP_4) | instskip(SKIP_1) | instid1(VALU_DEP_3)
	v_cmp_gt_u32_e64 s2, s28, v37
	v_or_b32_e32 v37, 6, v55
	v_and_b32_e32 v35, 0xffffff, v35
	s_delay_alu instid0(VALU_DEP_3) | instskip(NEXT) | instid1(VALU_DEP_2)
	v_cndmask_b32_e64 v36, v36, v34, s2
	v_cndmask_b32_e64 v35, v35, v33, s3
	s_delay_alu instid0(VALU_DEP_1) | instskip(SKIP_2) | instid1(VALU_DEP_3)
	v_dual_cndmask_b32 v35, v35, v33 :: v_dual_and_b32 v36, 0xff00ffff, v36
	v_cmp_gt_u32_e32 vcc_lo, s28, v37
	v_or_b32_e32 v37, 7, v55
	v_cndmask_b32_e64 v35, v35, v33, s2
	s_delay_alu instid0(VALU_DEP_1) | instskip(NEXT) | instid1(VALU_DEP_1)
	v_dual_cndmask_b32 v36, v36, v34 :: v_dual_cndmask_b32 v35, v35, v33
	v_and_b32_e32 v36, 0xffffff, v36
	s_delay_alu instid0(VALU_DEP_4) | instskip(NEXT) | instid1(VALU_DEP_2)
	v_cmp_gt_u32_e32 vcc_lo, s28, v37
	v_dual_cndmask_b32 v34, v36, v34 :: v_dual_cndmask_b32 v33, v35, v33
.LBB210_383:
	s_delay_alu instid0(VALU_DEP_1) | instskip(SKIP_1) | instid1(VALU_DEP_2)
	v_and_b32_e32 v42, 0xff, v33
	s_waitcnt lgkmcnt(0)
	v_alignbit_b32 v35, v34, v33, 24
	v_bfe_u32 v44, v33, 8, 8
	v_bfe_u32 v46, v33, 16, 8
	v_and_b32_e32 v50, 0xff, v34
	v_bfe_u32 v52, v34, 8, 8
	v_and_b32_e32 v48, 0xff, v35
	v_add_nc_u32_e32 v35, v44, v42
	v_mbcnt_lo_u32_b32 v57, -1, 0
	v_bfe_u32 v54, v34, 16, 8
	v_lshrrev_b32_e32 v56, 24, v34
	v_lshrrev_b32_e32 v58, 5, v0
	v_add3_u32 v35, v35, v46, v48
	v_and_b32_e32 v36, 15, v57
	v_and_b32_e32 v37, 16, v57
	s_and_b32 vcc_lo, exec_lo, s18
	s_mov_b32 s9, -1
	v_add3_u32 v35, v35, v50, v52
	v_cmp_eq_u32_e64 s4, 0, v36
	v_cmp_lt_u32_e64 s2, 1, v36
	v_cmp_lt_u32_e64 s5, 3, v36
	;; [unrolled: 1-line block ×3, first 2 shown]
	v_add3_u32 v59, v35, v54, v56
	v_or_b32_e32 v35, 31, v0
	v_cmp_eq_u32_e64 s7, 0, v37
	s_barrier
	buffer_gl0_inv
	v_cmp_eq_u32_e64 s6, v35, v0
	s_cbranch_vccz .LBB210_409
; %bb.384:
	v_mov_b32_dpp v35, v59 row_shr:1 row_mask:0xf bank_mask:0xf
	s_delay_alu instid0(VALU_DEP_1) | instskip(NEXT) | instid1(VALU_DEP_1)
	v_cndmask_b32_e64 v35, v35, 0, s4
	v_add_nc_u32_e32 v35, v35, v59
	s_delay_alu instid0(VALU_DEP_1) | instskip(NEXT) | instid1(VALU_DEP_1)
	v_mov_b32_dpp v36, v35 row_shr:2 row_mask:0xf bank_mask:0xf
	v_cndmask_b32_e64 v36, 0, v36, s2
	s_delay_alu instid0(VALU_DEP_1) | instskip(NEXT) | instid1(VALU_DEP_1)
	v_add_nc_u32_e32 v35, v35, v36
	v_mov_b32_dpp v36, v35 row_shr:4 row_mask:0xf bank_mask:0xf
	s_delay_alu instid0(VALU_DEP_1) | instskip(NEXT) | instid1(VALU_DEP_1)
	v_cndmask_b32_e64 v36, 0, v36, s5
	v_add_nc_u32_e32 v35, v35, v36
	s_delay_alu instid0(VALU_DEP_1) | instskip(NEXT) | instid1(VALU_DEP_1)
	v_mov_b32_dpp v36, v35 row_shr:8 row_mask:0xf bank_mask:0xf
	v_cndmask_b32_e64 v36, 0, v36, s3
	s_delay_alu instid0(VALU_DEP_1) | instskip(SKIP_3) | instid1(VALU_DEP_1)
	v_add_nc_u32_e32 v35, v35, v36
	ds_swizzle_b32 v36, v35 offset:swizzle(BROADCAST,32,15)
	s_waitcnt lgkmcnt(0)
	v_cndmask_b32_e64 v36, v36, 0, s7
	v_add_nc_u32_e32 v35, v35, v36
	s_and_saveexec_b32 s8, s6
	s_cbranch_execz .LBB210_386
; %bb.385:
	v_lshlrev_b32_e32 v36, 2, v58
	ds_store_b32 v36, v35
.LBB210_386:
	s_or_b32 exec_lo, exec_lo, s8
	s_delay_alu instid0(SALU_CYCLE_1)
	s_mov_b32 s8, exec_lo
	s_waitcnt lgkmcnt(0)
	s_barrier
	buffer_gl0_inv
	v_cmpx_gt_u32_e32 16, v0
	s_cbranch_execz .LBB210_388
; %bb.387:
	v_lshlrev_b32_e32 v36, 2, v0
	ds_load_b32 v37, v36
	s_waitcnt lgkmcnt(0)
	v_mov_b32_dpp v38, v37 row_shr:1 row_mask:0xf bank_mask:0xf
	s_delay_alu instid0(VALU_DEP_1) | instskip(NEXT) | instid1(VALU_DEP_1)
	v_cndmask_b32_e64 v38, v38, 0, s4
	v_add_nc_u32_e32 v37, v38, v37
	s_delay_alu instid0(VALU_DEP_1) | instskip(NEXT) | instid1(VALU_DEP_1)
	v_mov_b32_dpp v38, v37 row_shr:2 row_mask:0xf bank_mask:0xf
	v_cndmask_b32_e64 v38, 0, v38, s2
	s_delay_alu instid0(VALU_DEP_1) | instskip(NEXT) | instid1(VALU_DEP_1)
	v_add_nc_u32_e32 v37, v37, v38
	v_mov_b32_dpp v38, v37 row_shr:4 row_mask:0xf bank_mask:0xf
	s_delay_alu instid0(VALU_DEP_1) | instskip(NEXT) | instid1(VALU_DEP_1)
	v_cndmask_b32_e64 v38, 0, v38, s5
	v_add_nc_u32_e32 v37, v37, v38
	s_delay_alu instid0(VALU_DEP_1) | instskip(NEXT) | instid1(VALU_DEP_1)
	v_mov_b32_dpp v38, v37 row_shr:8 row_mask:0xf bank_mask:0xf
	v_cndmask_b32_e64 v38, 0, v38, s3
	s_delay_alu instid0(VALU_DEP_1)
	v_add_nc_u32_e32 v37, v37, v38
	ds_store_b32 v36, v37
.LBB210_388:
	s_or_b32 exec_lo, exec_lo, s8
	v_cmp_gt_u32_e32 vcc_lo, 32, v0
	s_mov_b32 s9, exec_lo
	s_waitcnt lgkmcnt(0)
	s_barrier
	buffer_gl0_inv
                                        ; implicit-def: $vgpr43
	v_cmpx_lt_u32_e32 31, v0
	s_cbranch_execz .LBB210_390
; %bb.389:
	v_lshl_add_u32 v36, v58, 2, -4
	ds_load_b32 v43, v36
	s_waitcnt lgkmcnt(0)
	v_add_nc_u32_e32 v35, v43, v35
.LBB210_390:
	s_or_b32 exec_lo, exec_lo, s9
	v_add_nc_u32_e32 v36, -1, v57
	s_delay_alu instid0(VALU_DEP_1) | instskip(NEXT) | instid1(VALU_DEP_1)
	v_cmp_gt_i32_e64 s8, 0, v36
	v_cndmask_b32_e64 v36, v36, v57, s8
	v_cmp_eq_u32_e64 s8, 0, v57
	s_delay_alu instid0(VALU_DEP_2)
	v_lshlrev_b32_e32 v36, 2, v36
	ds_bpermute_b32 v45, v36, v35
	s_and_saveexec_b32 s9, vcc_lo
	s_cbranch_execz .LBB210_408
; %bb.391:
	v_mov_b32_e32 v38, 0
	ds_load_b32 v35, v38 offset:60
	s_and_saveexec_b32 s18, s8
	s_cbranch_execz .LBB210_393
; %bb.392:
	s_add_i32 s22, s15, 32
	s_mov_b32 s23, 0
	v_mov_b32_e32 v36, 1
	s_lshl_b64 s[22:23], s[22:23], 3
	s_delay_alu instid0(SALU_CYCLE_1)
	s_add_u32 s22, s10, s22
	s_addc_u32 s23, s11, s23
	s_waitcnt lgkmcnt(0)
	global_store_b64 v38, v[35:36], s[22:23]
.LBB210_393:
	s_or_b32 exec_lo, exec_lo, s18
	v_xad_u32 v36, v57, -1, s15
	s_mov_b32 s19, 0
	s_mov_b32 s18, exec_lo
	s_delay_alu instid0(VALU_DEP_1) | instskip(NEXT) | instid1(VALU_DEP_1)
	v_add_nc_u32_e32 v37, 32, v36
	v_lshlrev_b64 v[37:38], 3, v[37:38]
	s_delay_alu instid0(VALU_DEP_1) | instskip(NEXT) | instid1(VALU_DEP_2)
	v_add_co_u32 v40, vcc_lo, s10, v37
	v_add_co_ci_u32_e32 v41, vcc_lo, s11, v38, vcc_lo
	global_load_b64 v[38:39], v[40:41], off glc
	s_waitcnt vmcnt(0)
	v_and_b32_e32 v37, 0xff, v39
	s_delay_alu instid0(VALU_DEP_1)
	v_cmpx_eq_u16_e32 0, v37
	s_cbranch_execz .LBB210_396
.LBB210_394:                            ; =>This Inner Loop Header: Depth=1
	global_load_b64 v[38:39], v[40:41], off glc
	s_waitcnt vmcnt(0)
	v_and_b32_e32 v37, 0xff, v39
	s_delay_alu instid0(VALU_DEP_1) | instskip(SKIP_1) | instid1(SALU_CYCLE_1)
	v_cmp_ne_u16_e32 vcc_lo, 0, v37
	s_or_b32 s19, vcc_lo, s19
	s_and_not1_b32 exec_lo, exec_lo, s19
	s_cbranch_execnz .LBB210_394
; %bb.395:
	s_or_b32 exec_lo, exec_lo, s19
.LBB210_396:
	s_delay_alu instid0(SALU_CYCLE_1)
	s_or_b32 exec_lo, exec_lo, s18
	v_cmp_ne_u32_e32 vcc_lo, 31, v57
	v_lshlrev_b32_e64 v49, v57, -1
	v_add_nc_u32_e32 v53, 2, v57
	v_add_nc_u32_e32 v62, 4, v57
	;; [unrolled: 1-line block ×3, first 2 shown]
	v_add_co_ci_u32_e32 v37, vcc_lo, 0, v57, vcc_lo
	v_add_nc_u32_e32 v66, 16, v57
	s_delay_alu instid0(VALU_DEP_2)
	v_lshlrev_b32_e32 v47, 2, v37
	v_and_b32_e32 v37, 0xff, v39
	ds_bpermute_b32 v40, v47, v38
	v_cmp_eq_u16_e32 vcc_lo, 2, v37
	v_and_or_b32 v37, vcc_lo, v49, 0x80000000
	v_cmp_gt_u32_e32 vcc_lo, 30, v57
	s_delay_alu instid0(VALU_DEP_2) | instskip(SKIP_1) | instid1(VALU_DEP_2)
	v_ctz_i32_b32_e32 v37, v37
	v_cndmask_b32_e64 v41, 0, 1, vcc_lo
	v_cmp_lt_u32_e32 vcc_lo, v57, v37
	s_waitcnt lgkmcnt(0)
	s_delay_alu instid0(VALU_DEP_2) | instskip(NEXT) | instid1(VALU_DEP_1)
	v_dual_cndmask_b32 v40, 0, v40 :: v_dual_lshlrev_b32 v41, 1, v41
	v_add_lshl_u32 v51, v41, v57, 2
	v_cmp_gt_u32_e32 vcc_lo, 28, v57
	s_delay_alu instid0(VALU_DEP_3) | instskip(SKIP_4) | instid1(VALU_DEP_1)
	v_add_nc_u32_e32 v38, v40, v38
	v_cndmask_b32_e64 v41, 0, 1, vcc_lo
	v_cmp_le_u32_e32 vcc_lo, v53, v37
	ds_bpermute_b32 v40, v51, v38
	v_lshlrev_b32_e32 v41, 2, v41
	v_add_lshl_u32 v60, v41, v57, 2
	s_waitcnt lgkmcnt(0)
	v_cndmask_b32_e32 v40, 0, v40, vcc_lo
	v_cmp_gt_u32_e32 vcc_lo, 24, v57
	s_delay_alu instid0(VALU_DEP_2) | instskip(SKIP_4) | instid1(VALU_DEP_1)
	v_add_nc_u32_e32 v38, v38, v40
	v_cndmask_b32_e64 v41, 0, 1, vcc_lo
	v_cmp_le_u32_e32 vcc_lo, v62, v37
	ds_bpermute_b32 v40, v60, v38
	v_lshlrev_b32_e32 v41, 3, v41
	v_add_lshl_u32 v63, v41, v57, 2
	s_waitcnt lgkmcnt(0)
	v_cndmask_b32_e32 v40, 0, v40, vcc_lo
	v_cmp_gt_u32_e32 vcc_lo, 16, v57
	s_delay_alu instid0(VALU_DEP_2) | instskip(SKIP_4) | instid1(VALU_DEP_1)
	v_add_nc_u32_e32 v38, v38, v40
	v_cndmask_b32_e64 v41, 0, 1, vcc_lo
	v_cmp_le_u32_e32 vcc_lo, v64, v37
	ds_bpermute_b32 v40, v63, v38
	v_lshlrev_b32_e32 v41, 4, v41
	v_add_lshl_u32 v65, v41, v57, 2
	s_waitcnt lgkmcnt(0)
	v_cndmask_b32_e32 v40, 0, v40, vcc_lo
	v_cmp_le_u32_e32 vcc_lo, v66, v37
	s_delay_alu instid0(VALU_DEP_2) | instskip(SKIP_3) | instid1(VALU_DEP_1)
	v_add_nc_u32_e32 v38, v38, v40
	ds_bpermute_b32 v40, v65, v38
	s_waitcnt lgkmcnt(0)
	v_cndmask_b32_e32 v37, 0, v40, vcc_lo
	v_dual_mov_b32 v37, 0 :: v_dual_add_nc_u32 v38, v38, v37
	s_branch .LBB210_398
.LBB210_397:                            ;   in Loop: Header=BB210_398 Depth=1
	s_or_b32 exec_lo, exec_lo, s18
	ds_bpermute_b32 v41, v47, v38
	v_and_b32_e32 v40, 0xff, v39
	v_subrev_nc_u32_e32 v36, 32, v36
	s_delay_alu instid0(VALU_DEP_2) | instskip(SKIP_1) | instid1(VALU_DEP_1)
	v_cmp_eq_u16_e32 vcc_lo, 2, v40
	v_and_or_b32 v40, vcc_lo, v49, 0x80000000
	v_ctz_i32_b32_e32 v40, v40
	s_delay_alu instid0(VALU_DEP_1) | instskip(SKIP_3) | instid1(VALU_DEP_2)
	v_cmp_lt_u32_e32 vcc_lo, v57, v40
	s_waitcnt lgkmcnt(0)
	v_cndmask_b32_e32 v41, 0, v41, vcc_lo
	v_cmp_le_u32_e32 vcc_lo, v53, v40
	v_add_nc_u32_e32 v38, v41, v38
	ds_bpermute_b32 v41, v51, v38
	s_waitcnt lgkmcnt(0)
	v_cndmask_b32_e32 v41, 0, v41, vcc_lo
	v_cmp_le_u32_e32 vcc_lo, v62, v40
	s_delay_alu instid0(VALU_DEP_2) | instskip(SKIP_4) | instid1(VALU_DEP_2)
	v_add_nc_u32_e32 v38, v38, v41
	ds_bpermute_b32 v41, v60, v38
	s_waitcnt lgkmcnt(0)
	v_cndmask_b32_e32 v41, 0, v41, vcc_lo
	v_cmp_le_u32_e32 vcc_lo, v64, v40
	v_add_nc_u32_e32 v38, v38, v41
	ds_bpermute_b32 v41, v63, v38
	s_waitcnt lgkmcnt(0)
	v_cndmask_b32_e32 v41, 0, v41, vcc_lo
	v_cmp_le_u32_e32 vcc_lo, v66, v40
	s_delay_alu instid0(VALU_DEP_2) | instskip(SKIP_3) | instid1(VALU_DEP_1)
	v_add_nc_u32_e32 v38, v38, v41
	ds_bpermute_b32 v41, v65, v38
	s_waitcnt lgkmcnt(0)
	v_cndmask_b32_e32 v40, 0, v41, vcc_lo
	v_add3_u32 v38, v40, v61, v38
.LBB210_398:                            ; =>This Loop Header: Depth=1
                                        ;     Child Loop BB210_401 Depth 2
	v_and_b32_e32 v39, 0xff, v39
	s_delay_alu instid0(VALU_DEP_2) | instskip(NEXT) | instid1(VALU_DEP_2)
	v_mov_b32_e32 v61, v38
	v_cmp_ne_u16_e32 vcc_lo, 2, v39
	v_cndmask_b32_e64 v39, 0, 1, vcc_lo
	;;#ASMSTART
	;;#ASMEND
	s_delay_alu instid0(VALU_DEP_1)
	v_cmp_ne_u32_e32 vcc_lo, 0, v39
	s_cmp_lg_u32 vcc_lo, exec_lo
	s_cbranch_scc1 .LBB210_403
; %bb.399:                              ;   in Loop: Header=BB210_398 Depth=1
	v_lshlrev_b64 v[38:39], 3, v[36:37]
	s_mov_b32 s18, exec_lo
	s_delay_alu instid0(VALU_DEP_1) | instskip(NEXT) | instid1(VALU_DEP_2)
	v_add_co_u32 v40, vcc_lo, s10, v38
	v_add_co_ci_u32_e32 v41, vcc_lo, s11, v39, vcc_lo
	global_load_b64 v[38:39], v[40:41], off glc
	s_waitcnt vmcnt(0)
	v_and_b32_e32 v67, 0xff, v39
	s_delay_alu instid0(VALU_DEP_1)
	v_cmpx_eq_u16_e32 0, v67
	s_cbranch_execz .LBB210_397
; %bb.400:                              ;   in Loop: Header=BB210_398 Depth=1
	s_mov_b32 s19, 0
.LBB210_401:                            ;   Parent Loop BB210_398 Depth=1
                                        ; =>  This Inner Loop Header: Depth=2
	global_load_b64 v[38:39], v[40:41], off glc
	s_waitcnt vmcnt(0)
	v_and_b32_e32 v67, 0xff, v39
	s_delay_alu instid0(VALU_DEP_1) | instskip(SKIP_1) | instid1(SALU_CYCLE_1)
	v_cmp_ne_u16_e32 vcc_lo, 0, v67
	s_or_b32 s19, vcc_lo, s19
	s_and_not1_b32 exec_lo, exec_lo, s19
	s_cbranch_execnz .LBB210_401
; %bb.402:                              ;   in Loop: Header=BB210_398 Depth=1
	s_or_b32 exec_lo, exec_lo, s19
	s_branch .LBB210_397
.LBB210_403:                            ;   in Loop: Header=BB210_398 Depth=1
                                        ; implicit-def: $vgpr38
                                        ; implicit-def: $vgpr39
	s_cbranch_execz .LBB210_398
; %bb.404:
	s_and_saveexec_b32 s18, s8
	s_cbranch_execz .LBB210_406
; %bb.405:
	s_add_i32 s22, s15, 32
	s_mov_b32 s23, 0
	v_dual_mov_b32 v37, 2 :: v_dual_add_nc_u32 v36, v61, v35
	s_lshl_b64 s[22:23], s[22:23], 3
	v_mov_b32_e32 v38, 0
	v_add_nc_u32_e64 v39, 0x8400, 0
	s_add_u32 s22, s10, s22
	s_addc_u32 s23, s11, s23
	global_store_b64 v38, v[36:37], s[22:23]
	ds_store_2addr_b32 v39, v35, v61 offset1:2
.LBB210_406:
	s_or_b32 exec_lo, exec_lo, s18
	v_cmp_eq_u32_e32 vcc_lo, 0, v0
	s_and_b32 exec_lo, exec_lo, vcc_lo
	s_cbranch_execz .LBB210_408
; %bb.407:
	v_mov_b32_e32 v35, 0
	ds_store_b32 v35, v61 offset:60
.LBB210_408:
	s_or_b32 exec_lo, exec_lo, s9
	s_waitcnt lgkmcnt(0)
	v_cndmask_b32_e64 v36, v45, v43, s8
	v_cmp_ne_u32_e32 vcc_lo, 0, v0
	v_mov_b32_e32 v35, 0
	s_waitcnt_vscnt null, 0x0
	s_barrier
	buffer_gl0_inv
	v_cndmask_b32_e32 v36, 0, v36, vcc_lo
	ds_load_b32 v35, v35 offset:60
	s_waitcnt lgkmcnt(0)
	s_barrier
	buffer_gl0_inv
	v_add_nc_u32_e32 v53, v35, v36
	v_add_nc_u32_e64 v35, 0x8400, 0
	s_delay_alu instid0(VALU_DEP_2) | instskip(SKIP_2) | instid1(VALU_DEP_1)
	v_add_nc_u32_e32 v51, v53, v42
	ds_load_2addr_b32 v[35:36], v35 offset1:2
	v_add_nc_u32_e32 v49, v51, v44
	v_add_nc_u32_e32 v47, v49, v46
	s_delay_alu instid0(VALU_DEP_1) | instskip(NEXT) | instid1(VALU_DEP_1)
	v_add_nc_u32_e32 v45, v47, v48
	v_add_nc_u32_e32 v43, v45, v50
	s_waitcnt lgkmcnt(0)
	v_readfirstlane_b32 s8, v36
	s_delay_alu instid0(VALU_DEP_2) | instskip(NEXT) | instid1(VALU_DEP_1)
	v_add_nc_u32_e32 v41, v43, v52
	v_add_nc_u32_e32 v39, v41, v54
	v_lshrrev_b64 v[37:38], 24, v[33:34]
	s_branch .LBB210_419
.LBB210_409:
                                        ; implicit-def: $vgpr39
                                        ; implicit-def: $vgpr41
                                        ; implicit-def: $vgpr43
                                        ; implicit-def: $vgpr45
                                        ; implicit-def: $vgpr47
                                        ; implicit-def: $vgpr49
                                        ; implicit-def: $vgpr51
                                        ; implicit-def: $vgpr53
                                        ; implicit-def: $sgpr8
                                        ; implicit-def: $vgpr35
	v_lshrrev_b64 v[37:38], 24, v[33:34]
	s_and_b32 vcc_lo, exec_lo, s9
	s_cbranch_vccz .LBB210_419
; %bb.410:
	v_mov_b32_dpp v35, v59 row_shr:1 row_mask:0xf bank_mask:0xf
	s_delay_alu instid0(VALU_DEP_1) | instskip(NEXT) | instid1(VALU_DEP_1)
	v_cndmask_b32_e64 v35, v35, 0, s4
	v_add_nc_u32_e32 v35, v35, v59
	s_delay_alu instid0(VALU_DEP_1) | instskip(NEXT) | instid1(VALU_DEP_1)
	v_mov_b32_dpp v36, v35 row_shr:2 row_mask:0xf bank_mask:0xf
	v_cndmask_b32_e64 v36, 0, v36, s2
	s_delay_alu instid0(VALU_DEP_1) | instskip(NEXT) | instid1(VALU_DEP_1)
	v_add_nc_u32_e32 v35, v35, v36
	v_mov_b32_dpp v36, v35 row_shr:4 row_mask:0xf bank_mask:0xf
	s_delay_alu instid0(VALU_DEP_1) | instskip(NEXT) | instid1(VALU_DEP_1)
	v_cndmask_b32_e64 v36, 0, v36, s5
	v_add_nc_u32_e32 v35, v35, v36
	s_delay_alu instid0(VALU_DEP_1) | instskip(NEXT) | instid1(VALU_DEP_1)
	v_mov_b32_dpp v36, v35 row_shr:8 row_mask:0xf bank_mask:0xf
	v_cndmask_b32_e64 v36, 0, v36, s3
	s_delay_alu instid0(VALU_DEP_1) | instskip(SKIP_3) | instid1(VALU_DEP_1)
	v_add_nc_u32_e32 v35, v35, v36
	ds_swizzle_b32 v36, v35 offset:swizzle(BROADCAST,32,15)
	s_waitcnt lgkmcnt(0)
	v_cndmask_b32_e64 v36, v36, 0, s7
	v_add_nc_u32_e32 v35, v35, v36
	s_and_saveexec_b32 s7, s6
	s_cbranch_execz .LBB210_412
; %bb.411:
	v_lshlrev_b32_e32 v36, 2, v58
	ds_store_b32 v36, v35
.LBB210_412:
	s_or_b32 exec_lo, exec_lo, s7
	s_delay_alu instid0(SALU_CYCLE_1)
	s_mov_b32 s6, exec_lo
	s_waitcnt lgkmcnt(0)
	s_barrier
	buffer_gl0_inv
	v_cmpx_gt_u32_e32 16, v0
	s_cbranch_execz .LBB210_414
; %bb.413:
	v_lshlrev_b32_e32 v36, 2, v0
	ds_load_b32 v38, v36
	s_waitcnt lgkmcnt(0)
	v_mov_b32_dpp v39, v38 row_shr:1 row_mask:0xf bank_mask:0xf
	s_delay_alu instid0(VALU_DEP_1) | instskip(NEXT) | instid1(VALU_DEP_1)
	v_cndmask_b32_e64 v39, v39, 0, s4
	v_add_nc_u32_e32 v38, v39, v38
	s_delay_alu instid0(VALU_DEP_1) | instskip(NEXT) | instid1(VALU_DEP_1)
	v_mov_b32_dpp v39, v38 row_shr:2 row_mask:0xf bank_mask:0xf
	v_cndmask_b32_e64 v39, 0, v39, s2
	s_delay_alu instid0(VALU_DEP_1) | instskip(NEXT) | instid1(VALU_DEP_1)
	v_add_nc_u32_e32 v38, v38, v39
	v_mov_b32_dpp v39, v38 row_shr:4 row_mask:0xf bank_mask:0xf
	s_delay_alu instid0(VALU_DEP_1) | instskip(NEXT) | instid1(VALU_DEP_1)
	v_cndmask_b32_e64 v39, 0, v39, s5
	v_add_nc_u32_e32 v38, v38, v39
	s_delay_alu instid0(VALU_DEP_1) | instskip(NEXT) | instid1(VALU_DEP_1)
	v_mov_b32_dpp v39, v38 row_shr:8 row_mask:0xf bank_mask:0xf
	v_cndmask_b32_e64 v39, 0, v39, s3
	s_delay_alu instid0(VALU_DEP_1)
	v_add_nc_u32_e32 v38, v38, v39
	ds_store_b32 v36, v38
.LBB210_414:
	s_or_b32 exec_lo, exec_lo, s6
	v_mov_b32_e32 v36, 0
	v_mov_b32_e32 v38, 0
	s_mov_b32 s2, exec_lo
	s_waitcnt lgkmcnt(0)
	s_barrier
	buffer_gl0_inv
	v_cmpx_lt_u32_e32 31, v0
	s_cbranch_execz .LBB210_416
; %bb.415:
	v_lshl_add_u32 v38, v58, 2, -4
	ds_load_b32 v38, v38
.LBB210_416:
	s_or_b32 exec_lo, exec_lo, s2
	v_add_nc_u32_e32 v39, -1, v57
	s_waitcnt lgkmcnt(0)
	v_add_nc_u32_e32 v35, v38, v35
	s_mov_b32 s8, 0
	s_delay_alu instid0(VALU_DEP_2) | instskip(SKIP_2) | instid1(VALU_DEP_2)
	v_cmp_gt_i32_e32 vcc_lo, 0, v39
	v_cndmask_b32_e32 v39, v39, v57, vcc_lo
	v_cmp_eq_u32_e32 vcc_lo, 0, v0
	v_lshlrev_b32_e32 v39, 2, v39
	ds_bpermute_b32 v39, v39, v35
	ds_load_b32 v35, v36 offset:60
	s_and_saveexec_b32 s2, vcc_lo
	s_cbranch_execz .LBB210_418
; %bb.417:
	v_mov_b32_e32 v40, 0
	v_mov_b32_e32 v36, 2
	s_waitcnt lgkmcnt(0)
	global_store_b64 v40, v[35:36], s[10:11] offset:256
.LBB210_418:
	s_or_b32 exec_lo, exec_lo, s2
	v_cmp_eq_u32_e64 s2, 0, v57
	s_waitcnt lgkmcnt(0)
	s_waitcnt_vscnt null, 0x0
	s_barrier
	buffer_gl0_inv
	v_cndmask_b32_e64 v36, v39, v38, s2
	s_delay_alu instid0(VALU_DEP_1) | instskip(NEXT) | instid1(VALU_DEP_1)
	v_cndmask_b32_e64 v53, v36, 0, vcc_lo
	v_add_nc_u32_e32 v51, v53, v42
	s_delay_alu instid0(VALU_DEP_1) | instskip(NEXT) | instid1(VALU_DEP_1)
	v_add_nc_u32_e32 v49, v51, v44
	v_add_nc_u32_e32 v47, v49, v46
	s_delay_alu instid0(VALU_DEP_1) | instskip(NEXT) | instid1(VALU_DEP_1)
	v_add_nc_u32_e32 v45, v47, v48
	;; [unrolled: 3-line block ×3, first 2 shown]
	v_add_nc_u32_e32 v39, v41, v54
.LBB210_419:
	s_load_b128 s[4:7], s[0:1], 0x28
	v_add_nc_u32_e32 v59, s8, v35
	v_cmp_gt_u32_e64 s0, 0x201, v35
	v_lshrrev_b32_e32 v58, 8, v33
	v_lshrrev_b32_e32 v57, 16, v33
	;; [unrolled: 1-line block ×4, first 2 shown]
	v_cmp_lt_u32_e64 s1, v53, v59
	s_and_b32 vcc_lo, exec_lo, s0
	s_mov_b32 s2, -1
	s_cbranch_vccz .LBB210_445
; %bb.420:
	s_delay_alu instid0(VALU_DEP_1) | instskip(NEXT) | instid1(SALU_CYCLE_1)
	s_or_b32 s2, s20, s1
	s_and_saveexec_b32 s1, s2
	s_cbranch_execz .LBB210_423
; %bb.421:
	v_and_b32_e32 v40, 1, v33
	s_delay_alu instid0(VALU_DEP_1)
	v_cmp_eq_u32_e32 vcc_lo, 1, v40
	s_and_b32 exec_lo, exec_lo, vcc_lo
	s_cbranch_execz .LBB210_423
; %bb.422:
	v_mov_b32_e32 v54, 0
	s_lshl_b64 s[2:3], s[12:13], 3
	s_waitcnt lgkmcnt(0)
	s_add_u32 s2, s4, s2
	s_addc_u32 s3, s5, s3
	v_lshlrev_b64 v[60:61], 3, v[53:54]
	s_delay_alu instid0(VALU_DEP_1) | instskip(NEXT) | instid1(VALU_DEP_2)
	v_add_co_u32 v60, vcc_lo, s2, v60
	v_add_co_ci_u32_e32 v61, vcc_lo, s3, v61, vcc_lo
	global_store_b64 v[60:61], v[29:30], off
.LBB210_423:
	s_or_b32 exec_lo, exec_lo, s1
	v_cmp_lt_u32_e32 vcc_lo, v51, v59
	s_or_b32 s2, s20, vcc_lo
	s_delay_alu instid0(SALU_CYCLE_1)
	s_and_saveexec_b32 s1, s2
	s_cbranch_execz .LBB210_426
; %bb.424:
	v_and_b32_e32 v40, 1, v58
	s_delay_alu instid0(VALU_DEP_1)
	v_cmp_eq_u32_e32 vcc_lo, 1, v40
	s_and_b32 exec_lo, exec_lo, vcc_lo
	s_cbranch_execz .LBB210_426
; %bb.425:
	v_mov_b32_e32 v52, 0
	s_lshl_b64 s[2:3], s[12:13], 3
	s_waitcnt lgkmcnt(0)
	s_add_u32 s2, s4, s2
	s_addc_u32 s3, s5, s3
	v_lshlrev_b64 v[60:61], 3, v[51:52]
	s_delay_alu instid0(VALU_DEP_1) | instskip(NEXT) | instid1(VALU_DEP_2)
	v_add_co_u32 v60, vcc_lo, s2, v60
	v_add_co_ci_u32_e32 v61, vcc_lo, s3, v61, vcc_lo
	global_store_b64 v[60:61], v[31:32], off
.LBB210_426:
	s_or_b32 exec_lo, exec_lo, s1
	v_cmp_lt_u32_e32 vcc_lo, v49, v59
	s_or_b32 s2, s20, vcc_lo
	s_delay_alu instid0(SALU_CYCLE_1)
	;; [unrolled: 24-line block ×7, first 2 shown]
	s_and_saveexec_b32 s1, s2
	s_cbranch_execz .LBB210_444
; %bb.442:
	v_and_b32_e32 v40, 1, v56
	s_delay_alu instid0(VALU_DEP_1)
	v_cmp_eq_u32_e32 vcc_lo, 1, v40
	s_and_b32 exec_lo, exec_lo, vcc_lo
	s_cbranch_execz .LBB210_444
; %bb.443:
	v_mov_b32_e32 v40, 0
	s_lshl_b64 s[2:3], s[12:13], 3
	s_waitcnt lgkmcnt(0)
	s_add_u32 s2, s4, s2
	s_addc_u32 s3, s5, s3
	v_lshlrev_b64 v[60:61], 3, v[39:40]
	s_delay_alu instid0(VALU_DEP_1) | instskip(NEXT) | instid1(VALU_DEP_2)
	v_add_co_u32 v60, vcc_lo, s2, v60
	v_add_co_ci_u32_e32 v61, vcc_lo, s3, v61, vcc_lo
	global_store_b64 v[60:61], v[19:20], off
.LBB210_444:
	s_or_b32 exec_lo, exec_lo, s1
	s_mov_b32 s2, 0
.LBB210_445:
	v_and_b32_e32 v33, 1, v33
	s_and_b32 vcc_lo, exec_lo, s2
	s_delay_alu instid0(VALU_DEP_1)
	v_cmp_eq_u32_e64 s1, 1, v33
	s_cbranch_vccz .LBB210_466
; %bb.446:
	s_delay_alu instid0(VALU_DEP_1)
	s_and_saveexec_b32 s2, s1
	s_cbranch_execz .LBB210_448
; %bb.447:
	v_subrev_nc_u32_e32 v40, s8, v53
	s_delay_alu instid0(VALU_DEP_1)
	v_lshlrev_b32_e32 v40, 3, v40
	ds_store_b64 v40, v[29:30]
.LBB210_448:
	s_or_b32 exec_lo, exec_lo, s2
	v_and_b32_e32 v29, 1, v58
	s_mov_b32 s1, exec_lo
	s_delay_alu instid0(VALU_DEP_1)
	v_cmpx_eq_u32_e32 1, v29
	s_cbranch_execz .LBB210_450
; %bb.449:
	v_subrev_nc_u32_e32 v29, s8, v51
	s_delay_alu instid0(VALU_DEP_1)
	v_lshlrev_b32_e32 v29, 3, v29
	ds_store_b64 v29, v[31:32]
.LBB210_450:
	s_or_b32 exec_lo, exec_lo, s1
	v_and_b32_e32 v29, 1, v57
	s_mov_b32 s1, exec_lo
	s_delay_alu instid0(VALU_DEP_1)
	v_cmpx_eq_u32_e32 1, v29
	;; [unrolled: 12-line block ×7, first 2 shown]
	s_cbranch_execz .LBB210_462
; %bb.461:
	v_subrev_nc_u32_e32 v17, s8, v39
	s_delay_alu instid0(VALU_DEP_1)
	v_lshlrev_b32_e32 v17, 3, v17
	ds_store_b64 v17, v[19:20]
.LBB210_462:
	s_or_b32 exec_lo, exec_lo, s1
	s_delay_alu instid0(SALU_CYCLE_1)
	s_mov_b32 s2, exec_lo
	s_waitcnt lgkmcnt(0)
	s_waitcnt_vscnt null, 0x0
	s_barrier
	buffer_gl0_inv
	v_cmpx_lt_u32_e64 v0, v35
	s_cbranch_execz .LBB210_465
; %bb.463:
	s_mov_b32 s9, 0
	s_lshl_b64 s[10:11], s[12:13], 3
	s_lshl_b64 s[18:19], s[8:9], 3
	v_dual_mov_b32 v19, v55 :: v_dual_mov_b32 v20, v0
	s_add_u32 s1, s10, s18
	s_addc_u32 s3, s11, s19
	s_add_u32 s1, s4, s1
	s_addc_u32 s3, s5, s3
	v_add_co_u32 v17, s1, s1, v55
	s_delay_alu instid0(VALU_DEP_1)
	v_add_co_ci_u32_e64 v18, null, s3, 0, s1
	.p2align	6
.LBB210_464:                            ; =>This Inner Loop Header: Depth=1
	ds_load_b64 v[21:22], v19
	v_add_nc_u32_e32 v20, 0x200, v20
	v_add_nc_u32_e32 v19, 0x1000, v19
	s_delay_alu instid0(VALU_DEP_2) | instskip(SKIP_4) | instid1(VALU_DEP_1)
	v_cmp_ge_u32_e32 vcc_lo, v20, v35
	s_or_b32 s9, vcc_lo, s9
	s_waitcnt lgkmcnt(0)
	global_store_b64 v[17:18], v[21:22], off
	v_add_co_u32 v17, s1, 0x1000, v17
	v_add_co_ci_u32_e64 v18, s1, 0, v18, s1
	s_and_not1_b32 exec_lo, exec_lo, s9
	s_cbranch_execnz .LBB210_464
.LBB210_465:
	s_or_b32 exec_lo, exec_lo, s2
.LBB210_466:
	s_delay_alu instid0(SALU_CYCLE_1)
	s_and_b32 vcc_lo, exec_lo, s0
	s_mov_b32 s0, -1
	s_waitcnt lgkmcnt(0)
	s_waitcnt_vscnt null, 0x0
	s_barrier
	buffer_gl0_inv
	s_cbranch_vccz .LBB210_494
; %bb.467:
	v_cmp_lt_u32_e32 vcc_lo, v53, v59
	s_or_b32 s1, s20, vcc_lo
	s_delay_alu instid0(SALU_CYCLE_1)
	s_and_saveexec_b32 s0, s1
	s_cbranch_execz .LBB210_470
; %bb.468:
	v_cmp_eq_u32_e32 vcc_lo, 1, v33
	s_and_b32 exec_lo, exec_lo, vcc_lo
	s_cbranch_execz .LBB210_470
; %bb.469:
	v_mov_b32_e32 v54, 0
	s_lshl_b64 s[2:3], s[12:13], 3
	s_delay_alu instid0(SALU_CYCLE_1) | instskip(SKIP_1) | instid1(VALU_DEP_1)
	s_add_u32 s1, s6, s2
	s_addc_u32 s2, s7, s3
	v_lshlrev_b64 v[17:18], 3, v[53:54]
	s_delay_alu instid0(VALU_DEP_1) | instskip(NEXT) | instid1(VALU_DEP_2)
	v_add_co_u32 v17, vcc_lo, s1, v17
	v_add_co_ci_u32_e32 v18, vcc_lo, s2, v18, vcc_lo
	global_store_b64 v[17:18], v[13:14], off
.LBB210_470:
	s_or_b32 exec_lo, exec_lo, s0
	v_cmp_lt_u32_e32 vcc_lo, v51, v59
	s_or_b32 s1, s20, vcc_lo
	s_delay_alu instid0(SALU_CYCLE_1)
	s_and_saveexec_b32 s0, s1
	s_cbranch_execz .LBB210_473
; %bb.471:
	v_and_b32_e32 v17, 1, v58
	s_delay_alu instid0(VALU_DEP_1)
	v_cmp_eq_u32_e32 vcc_lo, 1, v17
	s_and_b32 exec_lo, exec_lo, vcc_lo
	s_cbranch_execz .LBB210_473
; %bb.472:
	v_mov_b32_e32 v52, 0
	s_lshl_b64 s[2:3], s[12:13], 3
	s_delay_alu instid0(SALU_CYCLE_1) | instskip(SKIP_1) | instid1(VALU_DEP_1)
	s_add_u32 s1, s6, s2
	s_addc_u32 s2, s7, s3
	v_lshlrev_b64 v[17:18], 3, v[51:52]
	s_delay_alu instid0(VALU_DEP_1) | instskip(NEXT) | instid1(VALU_DEP_2)
	v_add_co_u32 v17, vcc_lo, s1, v17
	v_add_co_ci_u32_e32 v18, vcc_lo, s2, v18, vcc_lo
	global_store_b64 v[17:18], v[15:16], off
.LBB210_473:
	s_or_b32 exec_lo, exec_lo, s0
	v_cmp_lt_u32_e32 vcc_lo, v49, v59
	s_or_b32 s1, s20, vcc_lo
	s_delay_alu instid0(SALU_CYCLE_1)
	s_and_saveexec_b32 s0, s1
	s_cbranch_execz .LBB210_476
; %bb.474:
	v_and_b32_e32 v17, 1, v57
	s_delay_alu instid0(VALU_DEP_1)
	v_cmp_eq_u32_e32 vcc_lo, 1, v17
	s_and_b32 exec_lo, exec_lo, vcc_lo
	s_cbranch_execz .LBB210_476
; %bb.475:
	v_mov_b32_e32 v50, 0
	s_lshl_b64 s[2:3], s[12:13], 3
	s_delay_alu instid0(SALU_CYCLE_1) | instskip(SKIP_1) | instid1(VALU_DEP_1)
	s_add_u32 s1, s6, s2
	s_addc_u32 s2, s7, s3
	v_lshlrev_b64 v[17:18], 3, v[49:50]
	s_delay_alu instid0(VALU_DEP_1) | instskip(NEXT) | instid1(VALU_DEP_2)
	v_add_co_u32 v17, vcc_lo, s1, v17
	v_add_co_ci_u32_e32 v18, vcc_lo, s2, v18, vcc_lo
	global_store_b64 v[17:18], v[9:10], off
.LBB210_476:
	;; [unrolled: 24-line block ×7, first 2 shown]
	s_or_b32 exec_lo, exec_lo, s0
.LBB210_492:
	v_cmp_eq_u32_e32 vcc_lo, 0, v0
	s_and_b32 s0, vcc_lo, s14
	s_delay_alu instid0(SALU_CYCLE_1)
	s_and_saveexec_b32 s1, s0
	s_cbranch_execz .LBB210_515
.LBB210_493:
	v_add_co_u32 v0, s0, s12, v35
	s_delay_alu instid0(VALU_DEP_1) | instskip(SKIP_1) | instid1(VALU_DEP_3)
	v_add_co_ci_u32_e64 v1, null, s13, 0, s0
	v_mov_b32_e32 v2, 0
	v_add_co_u32 v0, vcc_lo, v0, s8
	s_delay_alu instid0(VALU_DEP_3)
	v_add_co_ci_u32_e32 v1, vcc_lo, 0, v1, vcc_lo
	global_store_b64 v2, v[0:1], s[16:17]
	s_nop 0
	s_sendmsg sendmsg(MSG_DEALLOC_VGPRS)
	s_endpgm
.LBB210_494:
	s_and_b32 vcc_lo, exec_lo, s0
	s_cbranch_vccz .LBB210_492
; %bb.495:
	s_mov_b32 s0, exec_lo
	v_cmpx_eq_u32_e32 1, v33
	s_cbranch_execz .LBB210_497
; %bb.496:
	v_subrev_nc_u32_e32 v17, s8, v53
	s_delay_alu instid0(VALU_DEP_1)
	v_lshlrev_b32_e32 v17, 3, v17
	ds_store_b64 v17, v[13:14]
.LBB210_497:
	s_or_b32 exec_lo, exec_lo, s0
	v_and_b32_e32 v13, 1, v58
	s_mov_b32 s0, exec_lo
	s_delay_alu instid0(VALU_DEP_1)
	v_cmpx_eq_u32_e32 1, v13
	s_cbranch_execz .LBB210_499
; %bb.498:
	v_subrev_nc_u32_e32 v13, s8, v51
	s_delay_alu instid0(VALU_DEP_1)
	v_lshlrev_b32_e32 v13, 3, v13
	ds_store_b64 v13, v[15:16]
.LBB210_499:
	s_or_b32 exec_lo, exec_lo, s0
	v_and_b32_e32 v13, 1, v57
	s_mov_b32 s0, exec_lo
	s_delay_alu instid0(VALU_DEP_1)
	;; [unrolled: 12-line block ×7, first 2 shown]
	v_cmpx_eq_u32_e32 1, v1
	s_cbranch_execz .LBB210_511
; %bb.510:
	v_subrev_nc_u32_e32 v1, s8, v39
	s_delay_alu instid0(VALU_DEP_1)
	v_lshlrev_b32_e32 v1, 3, v1
	ds_store_b64 v1, v[3:4]
.LBB210_511:
	s_or_b32 exec_lo, exec_lo, s0
	s_delay_alu instid0(SALU_CYCLE_1)
	s_mov_b32 s1, exec_lo
	s_waitcnt lgkmcnt(0)
	s_waitcnt_vscnt null, 0x0
	s_barrier
	buffer_gl0_inv
	v_cmpx_lt_u32_e64 v0, v35
	s_cbranch_execz .LBB210_514
; %bb.512:
	s_mov_b32 s9, 0
	s_lshl_b64 s[2:3], s[12:13], 3
	s_lshl_b64 s[4:5], s[8:9], 3
	v_mov_b32_e32 v3, v0
	s_add_u32 s0, s2, s4
	s_addc_u32 s2, s3, s5
	s_add_u32 s0, s6, s0
	s_addc_u32 s2, s7, s2
	v_add_co_u32 v1, s0, s0, v55
	s_delay_alu instid0(VALU_DEP_1)
	v_add_co_ci_u32_e64 v2, null, s2, 0, s0
	.p2align	6
.LBB210_513:                            ; =>This Inner Loop Header: Depth=1
	ds_load_b64 v[4:5], v55
	v_add_nc_u32_e32 v3, 0x200, v3
	v_add_nc_u32_e32 v55, 0x1000, v55
	s_delay_alu instid0(VALU_DEP_2) | instskip(SKIP_4) | instid1(VALU_DEP_1)
	v_cmp_ge_u32_e32 vcc_lo, v3, v35
	s_or_b32 s9, vcc_lo, s9
	s_waitcnt lgkmcnt(0)
	global_store_b64 v[1:2], v[4:5], off
	v_add_co_u32 v1, s0, 0x1000, v1
	v_add_co_ci_u32_e64 v2, s0, 0, v2, s0
	s_and_not1_b32 exec_lo, exec_lo, s9
	s_cbranch_execnz .LBB210_513
.LBB210_514:
	s_or_b32 exec_lo, exec_lo, s1
	v_cmp_eq_u32_e32 vcc_lo, 0, v0
	s_and_b32 s0, vcc_lo, s14
	s_delay_alu instid0(SALU_CYCLE_1)
	s_and_saveexec_b32 s1, s0
	s_cbranch_execnz .LBB210_493
.LBB210_515:
	s_nop 0
	s_sendmsg sendmsg(MSG_DEALLOC_VGPRS)
	s_endpgm
	.section	.rodata,"a",@progbits
	.p2align	6, 0x0
	.amdhsa_kernel _ZN7rocprim17ROCPRIM_400000_NS6detail17trampoline_kernelINS0_14default_configENS1_25partition_config_selectorILNS1_17partition_subalgoE9EllbEEZZNS1_14partition_implILS5_9ELb0ES3_jPlS8_PNS0_10empty_typeENS0_5tupleIJS8_S9_EEENSB_IJS8_SA_EEENS0_18inequality_wrapperIZN2at6native12_GLOBAL__N_124unique_dim_cuda_templateIhEESt5tupleIJNSF_6TensorESK_SK_EERKSK_lbbbEUlllE0_EEPmJS9_EEE10hipError_tPvRmT3_T4_T5_T6_T7_T9_mT8_P12ihipStream_tbDpT10_ENKUlT_T0_E_clISt17integral_constantIbLb0EES1A_EEDaS15_S16_EUlS15_E_NS1_11comp_targetILNS1_3genE9ELNS1_11target_archE1100ELNS1_3gpuE3ELNS1_3repE0EEENS1_30default_config_static_selectorELNS0_4arch9wavefront6targetE0EEEvT1_
		.amdhsa_group_segment_fixed_size 33804
		.amdhsa_private_segment_fixed_size 0
		.amdhsa_kernarg_size 120
		.amdhsa_user_sgpr_count 15
		.amdhsa_user_sgpr_dispatch_ptr 0
		.amdhsa_user_sgpr_queue_ptr 0
		.amdhsa_user_sgpr_kernarg_segment_ptr 1
		.amdhsa_user_sgpr_dispatch_id 0
		.amdhsa_user_sgpr_private_segment_size 0
		.amdhsa_wavefront_size32 1
		.amdhsa_uses_dynamic_stack 0
		.amdhsa_enable_private_segment 0
		.amdhsa_system_sgpr_workgroup_id_x 1
		.amdhsa_system_sgpr_workgroup_id_y 0
		.amdhsa_system_sgpr_workgroup_id_z 0
		.amdhsa_system_sgpr_workgroup_info 0
		.amdhsa_system_vgpr_workitem_id 0
		.amdhsa_next_free_vgpr 68
		.amdhsa_next_free_sgpr 36
		.amdhsa_reserve_vcc 1
		.amdhsa_float_round_mode_32 0
		.amdhsa_float_round_mode_16_64 0
		.amdhsa_float_denorm_mode_32 3
		.amdhsa_float_denorm_mode_16_64 3
		.amdhsa_dx10_clamp 1
		.amdhsa_ieee_mode 1
		.amdhsa_fp16_overflow 0
		.amdhsa_workgroup_processor_mode 1
		.amdhsa_memory_ordered 1
		.amdhsa_forward_progress 0
		.amdhsa_shared_vgpr_count 0
		.amdhsa_exception_fp_ieee_invalid_op 0
		.amdhsa_exception_fp_denorm_src 0
		.amdhsa_exception_fp_ieee_div_zero 0
		.amdhsa_exception_fp_ieee_overflow 0
		.amdhsa_exception_fp_ieee_underflow 0
		.amdhsa_exception_fp_ieee_inexact 0
		.amdhsa_exception_int_div_zero 0
	.end_amdhsa_kernel
	.section	.text._ZN7rocprim17ROCPRIM_400000_NS6detail17trampoline_kernelINS0_14default_configENS1_25partition_config_selectorILNS1_17partition_subalgoE9EllbEEZZNS1_14partition_implILS5_9ELb0ES3_jPlS8_PNS0_10empty_typeENS0_5tupleIJS8_S9_EEENSB_IJS8_SA_EEENS0_18inequality_wrapperIZN2at6native12_GLOBAL__N_124unique_dim_cuda_templateIhEESt5tupleIJNSF_6TensorESK_SK_EERKSK_lbbbEUlllE0_EEPmJS9_EEE10hipError_tPvRmT3_T4_T5_T6_T7_T9_mT8_P12ihipStream_tbDpT10_ENKUlT_T0_E_clISt17integral_constantIbLb0EES1A_EEDaS15_S16_EUlS15_E_NS1_11comp_targetILNS1_3genE9ELNS1_11target_archE1100ELNS1_3gpuE3ELNS1_3repE0EEENS1_30default_config_static_selectorELNS0_4arch9wavefront6targetE0EEEvT1_,"axG",@progbits,_ZN7rocprim17ROCPRIM_400000_NS6detail17trampoline_kernelINS0_14default_configENS1_25partition_config_selectorILNS1_17partition_subalgoE9EllbEEZZNS1_14partition_implILS5_9ELb0ES3_jPlS8_PNS0_10empty_typeENS0_5tupleIJS8_S9_EEENSB_IJS8_SA_EEENS0_18inequality_wrapperIZN2at6native12_GLOBAL__N_124unique_dim_cuda_templateIhEESt5tupleIJNSF_6TensorESK_SK_EERKSK_lbbbEUlllE0_EEPmJS9_EEE10hipError_tPvRmT3_T4_T5_T6_T7_T9_mT8_P12ihipStream_tbDpT10_ENKUlT_T0_E_clISt17integral_constantIbLb0EES1A_EEDaS15_S16_EUlS15_E_NS1_11comp_targetILNS1_3genE9ELNS1_11target_archE1100ELNS1_3gpuE3ELNS1_3repE0EEENS1_30default_config_static_selectorELNS0_4arch9wavefront6targetE0EEEvT1_,comdat
.Lfunc_end210:
	.size	_ZN7rocprim17ROCPRIM_400000_NS6detail17trampoline_kernelINS0_14default_configENS1_25partition_config_selectorILNS1_17partition_subalgoE9EllbEEZZNS1_14partition_implILS5_9ELb0ES3_jPlS8_PNS0_10empty_typeENS0_5tupleIJS8_S9_EEENSB_IJS8_SA_EEENS0_18inequality_wrapperIZN2at6native12_GLOBAL__N_124unique_dim_cuda_templateIhEESt5tupleIJNSF_6TensorESK_SK_EERKSK_lbbbEUlllE0_EEPmJS9_EEE10hipError_tPvRmT3_T4_T5_T6_T7_T9_mT8_P12ihipStream_tbDpT10_ENKUlT_T0_E_clISt17integral_constantIbLb0EES1A_EEDaS15_S16_EUlS15_E_NS1_11comp_targetILNS1_3genE9ELNS1_11target_archE1100ELNS1_3gpuE3ELNS1_3repE0EEENS1_30default_config_static_selectorELNS0_4arch9wavefront6targetE0EEEvT1_, .Lfunc_end210-_ZN7rocprim17ROCPRIM_400000_NS6detail17trampoline_kernelINS0_14default_configENS1_25partition_config_selectorILNS1_17partition_subalgoE9EllbEEZZNS1_14partition_implILS5_9ELb0ES3_jPlS8_PNS0_10empty_typeENS0_5tupleIJS8_S9_EEENSB_IJS8_SA_EEENS0_18inequality_wrapperIZN2at6native12_GLOBAL__N_124unique_dim_cuda_templateIhEESt5tupleIJNSF_6TensorESK_SK_EERKSK_lbbbEUlllE0_EEPmJS9_EEE10hipError_tPvRmT3_T4_T5_T6_T7_T9_mT8_P12ihipStream_tbDpT10_ENKUlT_T0_E_clISt17integral_constantIbLb0EES1A_EEDaS15_S16_EUlS15_E_NS1_11comp_targetILNS1_3genE9ELNS1_11target_archE1100ELNS1_3gpuE3ELNS1_3repE0EEENS1_30default_config_static_selectorELNS0_4arch9wavefront6targetE0EEEvT1_
                                        ; -- End function
	.section	.AMDGPU.csdata,"",@progbits
; Kernel info:
; codeLenInByte = 18460
; NumSgprs: 38
; NumVgprs: 68
; ScratchSize: 0
; MemoryBound: 0
; FloatMode: 240
; IeeeMode: 1
; LDSByteSize: 33804 bytes/workgroup (compile time only)
; SGPRBlocks: 4
; VGPRBlocks: 8
; NumSGPRsForWavesPerEU: 38
; NumVGPRsForWavesPerEU: 68
; Occupancy: 12
; WaveLimiterHint : 1
; COMPUTE_PGM_RSRC2:SCRATCH_EN: 0
; COMPUTE_PGM_RSRC2:USER_SGPR: 15
; COMPUTE_PGM_RSRC2:TRAP_HANDLER: 0
; COMPUTE_PGM_RSRC2:TGID_X_EN: 1
; COMPUTE_PGM_RSRC2:TGID_Y_EN: 0
; COMPUTE_PGM_RSRC2:TGID_Z_EN: 0
; COMPUTE_PGM_RSRC2:TIDIG_COMP_CNT: 0
	.section	.text._ZN7rocprim17ROCPRIM_400000_NS6detail17trampoline_kernelINS0_14default_configENS1_25partition_config_selectorILNS1_17partition_subalgoE9EllbEEZZNS1_14partition_implILS5_9ELb0ES3_jPlS8_PNS0_10empty_typeENS0_5tupleIJS8_S9_EEENSB_IJS8_SA_EEENS0_18inequality_wrapperIZN2at6native12_GLOBAL__N_124unique_dim_cuda_templateIhEESt5tupleIJNSF_6TensorESK_SK_EERKSK_lbbbEUlllE0_EEPmJS9_EEE10hipError_tPvRmT3_T4_T5_T6_T7_T9_mT8_P12ihipStream_tbDpT10_ENKUlT_T0_E_clISt17integral_constantIbLb0EES1A_EEDaS15_S16_EUlS15_E_NS1_11comp_targetILNS1_3genE8ELNS1_11target_archE1030ELNS1_3gpuE2ELNS1_3repE0EEENS1_30default_config_static_selectorELNS0_4arch9wavefront6targetE0EEEvT1_,"axG",@progbits,_ZN7rocprim17ROCPRIM_400000_NS6detail17trampoline_kernelINS0_14default_configENS1_25partition_config_selectorILNS1_17partition_subalgoE9EllbEEZZNS1_14partition_implILS5_9ELb0ES3_jPlS8_PNS0_10empty_typeENS0_5tupleIJS8_S9_EEENSB_IJS8_SA_EEENS0_18inequality_wrapperIZN2at6native12_GLOBAL__N_124unique_dim_cuda_templateIhEESt5tupleIJNSF_6TensorESK_SK_EERKSK_lbbbEUlllE0_EEPmJS9_EEE10hipError_tPvRmT3_T4_T5_T6_T7_T9_mT8_P12ihipStream_tbDpT10_ENKUlT_T0_E_clISt17integral_constantIbLb0EES1A_EEDaS15_S16_EUlS15_E_NS1_11comp_targetILNS1_3genE8ELNS1_11target_archE1030ELNS1_3gpuE2ELNS1_3repE0EEENS1_30default_config_static_selectorELNS0_4arch9wavefront6targetE0EEEvT1_,comdat
	.globl	_ZN7rocprim17ROCPRIM_400000_NS6detail17trampoline_kernelINS0_14default_configENS1_25partition_config_selectorILNS1_17partition_subalgoE9EllbEEZZNS1_14partition_implILS5_9ELb0ES3_jPlS8_PNS0_10empty_typeENS0_5tupleIJS8_S9_EEENSB_IJS8_SA_EEENS0_18inequality_wrapperIZN2at6native12_GLOBAL__N_124unique_dim_cuda_templateIhEESt5tupleIJNSF_6TensorESK_SK_EERKSK_lbbbEUlllE0_EEPmJS9_EEE10hipError_tPvRmT3_T4_T5_T6_T7_T9_mT8_P12ihipStream_tbDpT10_ENKUlT_T0_E_clISt17integral_constantIbLb0EES1A_EEDaS15_S16_EUlS15_E_NS1_11comp_targetILNS1_3genE8ELNS1_11target_archE1030ELNS1_3gpuE2ELNS1_3repE0EEENS1_30default_config_static_selectorELNS0_4arch9wavefront6targetE0EEEvT1_ ; -- Begin function _ZN7rocprim17ROCPRIM_400000_NS6detail17trampoline_kernelINS0_14default_configENS1_25partition_config_selectorILNS1_17partition_subalgoE9EllbEEZZNS1_14partition_implILS5_9ELb0ES3_jPlS8_PNS0_10empty_typeENS0_5tupleIJS8_S9_EEENSB_IJS8_SA_EEENS0_18inequality_wrapperIZN2at6native12_GLOBAL__N_124unique_dim_cuda_templateIhEESt5tupleIJNSF_6TensorESK_SK_EERKSK_lbbbEUlllE0_EEPmJS9_EEE10hipError_tPvRmT3_T4_T5_T6_T7_T9_mT8_P12ihipStream_tbDpT10_ENKUlT_T0_E_clISt17integral_constantIbLb0EES1A_EEDaS15_S16_EUlS15_E_NS1_11comp_targetILNS1_3genE8ELNS1_11target_archE1030ELNS1_3gpuE2ELNS1_3repE0EEENS1_30default_config_static_selectorELNS0_4arch9wavefront6targetE0EEEvT1_
	.p2align	8
	.type	_ZN7rocprim17ROCPRIM_400000_NS6detail17trampoline_kernelINS0_14default_configENS1_25partition_config_selectorILNS1_17partition_subalgoE9EllbEEZZNS1_14partition_implILS5_9ELb0ES3_jPlS8_PNS0_10empty_typeENS0_5tupleIJS8_S9_EEENSB_IJS8_SA_EEENS0_18inequality_wrapperIZN2at6native12_GLOBAL__N_124unique_dim_cuda_templateIhEESt5tupleIJNSF_6TensorESK_SK_EERKSK_lbbbEUlllE0_EEPmJS9_EEE10hipError_tPvRmT3_T4_T5_T6_T7_T9_mT8_P12ihipStream_tbDpT10_ENKUlT_T0_E_clISt17integral_constantIbLb0EES1A_EEDaS15_S16_EUlS15_E_NS1_11comp_targetILNS1_3genE8ELNS1_11target_archE1030ELNS1_3gpuE2ELNS1_3repE0EEENS1_30default_config_static_selectorELNS0_4arch9wavefront6targetE0EEEvT1_,@function
_ZN7rocprim17ROCPRIM_400000_NS6detail17trampoline_kernelINS0_14default_configENS1_25partition_config_selectorILNS1_17partition_subalgoE9EllbEEZZNS1_14partition_implILS5_9ELb0ES3_jPlS8_PNS0_10empty_typeENS0_5tupleIJS8_S9_EEENSB_IJS8_SA_EEENS0_18inequality_wrapperIZN2at6native12_GLOBAL__N_124unique_dim_cuda_templateIhEESt5tupleIJNSF_6TensorESK_SK_EERKSK_lbbbEUlllE0_EEPmJS9_EEE10hipError_tPvRmT3_T4_T5_T6_T7_T9_mT8_P12ihipStream_tbDpT10_ENKUlT_T0_E_clISt17integral_constantIbLb0EES1A_EEDaS15_S16_EUlS15_E_NS1_11comp_targetILNS1_3genE8ELNS1_11target_archE1030ELNS1_3gpuE2ELNS1_3repE0EEENS1_30default_config_static_selectorELNS0_4arch9wavefront6targetE0EEEvT1_: ; @_ZN7rocprim17ROCPRIM_400000_NS6detail17trampoline_kernelINS0_14default_configENS1_25partition_config_selectorILNS1_17partition_subalgoE9EllbEEZZNS1_14partition_implILS5_9ELb0ES3_jPlS8_PNS0_10empty_typeENS0_5tupleIJS8_S9_EEENSB_IJS8_SA_EEENS0_18inequality_wrapperIZN2at6native12_GLOBAL__N_124unique_dim_cuda_templateIhEESt5tupleIJNSF_6TensorESK_SK_EERKSK_lbbbEUlllE0_EEPmJS9_EEE10hipError_tPvRmT3_T4_T5_T6_T7_T9_mT8_P12ihipStream_tbDpT10_ENKUlT_T0_E_clISt17integral_constantIbLb0EES1A_EEDaS15_S16_EUlS15_E_NS1_11comp_targetILNS1_3genE8ELNS1_11target_archE1030ELNS1_3gpuE2ELNS1_3repE0EEENS1_30default_config_static_selectorELNS0_4arch9wavefront6targetE0EEEvT1_
; %bb.0:
	.section	.rodata,"a",@progbits
	.p2align	6, 0x0
	.amdhsa_kernel _ZN7rocprim17ROCPRIM_400000_NS6detail17trampoline_kernelINS0_14default_configENS1_25partition_config_selectorILNS1_17partition_subalgoE9EllbEEZZNS1_14partition_implILS5_9ELb0ES3_jPlS8_PNS0_10empty_typeENS0_5tupleIJS8_S9_EEENSB_IJS8_SA_EEENS0_18inequality_wrapperIZN2at6native12_GLOBAL__N_124unique_dim_cuda_templateIhEESt5tupleIJNSF_6TensorESK_SK_EERKSK_lbbbEUlllE0_EEPmJS9_EEE10hipError_tPvRmT3_T4_T5_T6_T7_T9_mT8_P12ihipStream_tbDpT10_ENKUlT_T0_E_clISt17integral_constantIbLb0EES1A_EEDaS15_S16_EUlS15_E_NS1_11comp_targetILNS1_3genE8ELNS1_11target_archE1030ELNS1_3gpuE2ELNS1_3repE0EEENS1_30default_config_static_selectorELNS0_4arch9wavefront6targetE0EEEvT1_
		.amdhsa_group_segment_fixed_size 0
		.amdhsa_private_segment_fixed_size 0
		.amdhsa_kernarg_size 120
		.amdhsa_user_sgpr_count 15
		.amdhsa_user_sgpr_dispatch_ptr 0
		.amdhsa_user_sgpr_queue_ptr 0
		.amdhsa_user_sgpr_kernarg_segment_ptr 1
		.amdhsa_user_sgpr_dispatch_id 0
		.amdhsa_user_sgpr_private_segment_size 0
		.amdhsa_wavefront_size32 1
		.amdhsa_uses_dynamic_stack 0
		.amdhsa_enable_private_segment 0
		.amdhsa_system_sgpr_workgroup_id_x 1
		.amdhsa_system_sgpr_workgroup_id_y 0
		.amdhsa_system_sgpr_workgroup_id_z 0
		.amdhsa_system_sgpr_workgroup_info 0
		.amdhsa_system_vgpr_workitem_id 0
		.amdhsa_next_free_vgpr 1
		.amdhsa_next_free_sgpr 1
		.amdhsa_reserve_vcc 0
		.amdhsa_float_round_mode_32 0
		.amdhsa_float_round_mode_16_64 0
		.amdhsa_float_denorm_mode_32 3
		.amdhsa_float_denorm_mode_16_64 3
		.amdhsa_dx10_clamp 1
		.amdhsa_ieee_mode 1
		.amdhsa_fp16_overflow 0
		.amdhsa_workgroup_processor_mode 1
		.amdhsa_memory_ordered 1
		.amdhsa_forward_progress 0
		.amdhsa_shared_vgpr_count 0
		.amdhsa_exception_fp_ieee_invalid_op 0
		.amdhsa_exception_fp_denorm_src 0
		.amdhsa_exception_fp_ieee_div_zero 0
		.amdhsa_exception_fp_ieee_overflow 0
		.amdhsa_exception_fp_ieee_underflow 0
		.amdhsa_exception_fp_ieee_inexact 0
		.amdhsa_exception_int_div_zero 0
	.end_amdhsa_kernel
	.section	.text._ZN7rocprim17ROCPRIM_400000_NS6detail17trampoline_kernelINS0_14default_configENS1_25partition_config_selectorILNS1_17partition_subalgoE9EllbEEZZNS1_14partition_implILS5_9ELb0ES3_jPlS8_PNS0_10empty_typeENS0_5tupleIJS8_S9_EEENSB_IJS8_SA_EEENS0_18inequality_wrapperIZN2at6native12_GLOBAL__N_124unique_dim_cuda_templateIhEESt5tupleIJNSF_6TensorESK_SK_EERKSK_lbbbEUlllE0_EEPmJS9_EEE10hipError_tPvRmT3_T4_T5_T6_T7_T9_mT8_P12ihipStream_tbDpT10_ENKUlT_T0_E_clISt17integral_constantIbLb0EES1A_EEDaS15_S16_EUlS15_E_NS1_11comp_targetILNS1_3genE8ELNS1_11target_archE1030ELNS1_3gpuE2ELNS1_3repE0EEENS1_30default_config_static_selectorELNS0_4arch9wavefront6targetE0EEEvT1_,"axG",@progbits,_ZN7rocprim17ROCPRIM_400000_NS6detail17trampoline_kernelINS0_14default_configENS1_25partition_config_selectorILNS1_17partition_subalgoE9EllbEEZZNS1_14partition_implILS5_9ELb0ES3_jPlS8_PNS0_10empty_typeENS0_5tupleIJS8_S9_EEENSB_IJS8_SA_EEENS0_18inequality_wrapperIZN2at6native12_GLOBAL__N_124unique_dim_cuda_templateIhEESt5tupleIJNSF_6TensorESK_SK_EERKSK_lbbbEUlllE0_EEPmJS9_EEE10hipError_tPvRmT3_T4_T5_T6_T7_T9_mT8_P12ihipStream_tbDpT10_ENKUlT_T0_E_clISt17integral_constantIbLb0EES1A_EEDaS15_S16_EUlS15_E_NS1_11comp_targetILNS1_3genE8ELNS1_11target_archE1030ELNS1_3gpuE2ELNS1_3repE0EEENS1_30default_config_static_selectorELNS0_4arch9wavefront6targetE0EEEvT1_,comdat
.Lfunc_end211:
	.size	_ZN7rocprim17ROCPRIM_400000_NS6detail17trampoline_kernelINS0_14default_configENS1_25partition_config_selectorILNS1_17partition_subalgoE9EllbEEZZNS1_14partition_implILS5_9ELb0ES3_jPlS8_PNS0_10empty_typeENS0_5tupleIJS8_S9_EEENSB_IJS8_SA_EEENS0_18inequality_wrapperIZN2at6native12_GLOBAL__N_124unique_dim_cuda_templateIhEESt5tupleIJNSF_6TensorESK_SK_EERKSK_lbbbEUlllE0_EEPmJS9_EEE10hipError_tPvRmT3_T4_T5_T6_T7_T9_mT8_P12ihipStream_tbDpT10_ENKUlT_T0_E_clISt17integral_constantIbLb0EES1A_EEDaS15_S16_EUlS15_E_NS1_11comp_targetILNS1_3genE8ELNS1_11target_archE1030ELNS1_3gpuE2ELNS1_3repE0EEENS1_30default_config_static_selectorELNS0_4arch9wavefront6targetE0EEEvT1_, .Lfunc_end211-_ZN7rocprim17ROCPRIM_400000_NS6detail17trampoline_kernelINS0_14default_configENS1_25partition_config_selectorILNS1_17partition_subalgoE9EllbEEZZNS1_14partition_implILS5_9ELb0ES3_jPlS8_PNS0_10empty_typeENS0_5tupleIJS8_S9_EEENSB_IJS8_SA_EEENS0_18inequality_wrapperIZN2at6native12_GLOBAL__N_124unique_dim_cuda_templateIhEESt5tupleIJNSF_6TensorESK_SK_EERKSK_lbbbEUlllE0_EEPmJS9_EEE10hipError_tPvRmT3_T4_T5_T6_T7_T9_mT8_P12ihipStream_tbDpT10_ENKUlT_T0_E_clISt17integral_constantIbLb0EES1A_EEDaS15_S16_EUlS15_E_NS1_11comp_targetILNS1_3genE8ELNS1_11target_archE1030ELNS1_3gpuE2ELNS1_3repE0EEENS1_30default_config_static_selectorELNS0_4arch9wavefront6targetE0EEEvT1_
                                        ; -- End function
	.section	.AMDGPU.csdata,"",@progbits
; Kernel info:
; codeLenInByte = 0
; NumSgprs: 0
; NumVgprs: 0
; ScratchSize: 0
; MemoryBound: 0
; FloatMode: 240
; IeeeMode: 1
; LDSByteSize: 0 bytes/workgroup (compile time only)
; SGPRBlocks: 0
; VGPRBlocks: 0
; NumSGPRsForWavesPerEU: 1
; NumVGPRsForWavesPerEU: 1
; Occupancy: 16
; WaveLimiterHint : 0
; COMPUTE_PGM_RSRC2:SCRATCH_EN: 0
; COMPUTE_PGM_RSRC2:USER_SGPR: 15
; COMPUTE_PGM_RSRC2:TRAP_HANDLER: 0
; COMPUTE_PGM_RSRC2:TGID_X_EN: 1
; COMPUTE_PGM_RSRC2:TGID_Y_EN: 0
; COMPUTE_PGM_RSRC2:TGID_Z_EN: 0
; COMPUTE_PGM_RSRC2:TIDIG_COMP_CNT: 0
	.section	.text._ZN7rocprim17ROCPRIM_400000_NS6detail17trampoline_kernelINS0_14default_configENS1_25partition_config_selectorILNS1_17partition_subalgoE9EllbEEZZNS1_14partition_implILS5_9ELb0ES3_jPlS8_PNS0_10empty_typeENS0_5tupleIJS8_S9_EEENSB_IJS8_SA_EEENS0_18inequality_wrapperIZN2at6native12_GLOBAL__N_124unique_dim_cuda_templateIhEESt5tupleIJNSF_6TensorESK_SK_EERKSK_lbbbEUlllE0_EEPmJS9_EEE10hipError_tPvRmT3_T4_T5_T6_T7_T9_mT8_P12ihipStream_tbDpT10_ENKUlT_T0_E_clISt17integral_constantIbLb1EES1A_EEDaS15_S16_EUlS15_E_NS1_11comp_targetILNS1_3genE0ELNS1_11target_archE4294967295ELNS1_3gpuE0ELNS1_3repE0EEENS1_30default_config_static_selectorELNS0_4arch9wavefront6targetE0EEEvT1_,"axG",@progbits,_ZN7rocprim17ROCPRIM_400000_NS6detail17trampoline_kernelINS0_14default_configENS1_25partition_config_selectorILNS1_17partition_subalgoE9EllbEEZZNS1_14partition_implILS5_9ELb0ES3_jPlS8_PNS0_10empty_typeENS0_5tupleIJS8_S9_EEENSB_IJS8_SA_EEENS0_18inequality_wrapperIZN2at6native12_GLOBAL__N_124unique_dim_cuda_templateIhEESt5tupleIJNSF_6TensorESK_SK_EERKSK_lbbbEUlllE0_EEPmJS9_EEE10hipError_tPvRmT3_T4_T5_T6_T7_T9_mT8_P12ihipStream_tbDpT10_ENKUlT_T0_E_clISt17integral_constantIbLb1EES1A_EEDaS15_S16_EUlS15_E_NS1_11comp_targetILNS1_3genE0ELNS1_11target_archE4294967295ELNS1_3gpuE0ELNS1_3repE0EEENS1_30default_config_static_selectorELNS0_4arch9wavefront6targetE0EEEvT1_,comdat
	.globl	_ZN7rocprim17ROCPRIM_400000_NS6detail17trampoline_kernelINS0_14default_configENS1_25partition_config_selectorILNS1_17partition_subalgoE9EllbEEZZNS1_14partition_implILS5_9ELb0ES3_jPlS8_PNS0_10empty_typeENS0_5tupleIJS8_S9_EEENSB_IJS8_SA_EEENS0_18inequality_wrapperIZN2at6native12_GLOBAL__N_124unique_dim_cuda_templateIhEESt5tupleIJNSF_6TensorESK_SK_EERKSK_lbbbEUlllE0_EEPmJS9_EEE10hipError_tPvRmT3_T4_T5_T6_T7_T9_mT8_P12ihipStream_tbDpT10_ENKUlT_T0_E_clISt17integral_constantIbLb1EES1A_EEDaS15_S16_EUlS15_E_NS1_11comp_targetILNS1_3genE0ELNS1_11target_archE4294967295ELNS1_3gpuE0ELNS1_3repE0EEENS1_30default_config_static_selectorELNS0_4arch9wavefront6targetE0EEEvT1_ ; -- Begin function _ZN7rocprim17ROCPRIM_400000_NS6detail17trampoline_kernelINS0_14default_configENS1_25partition_config_selectorILNS1_17partition_subalgoE9EllbEEZZNS1_14partition_implILS5_9ELb0ES3_jPlS8_PNS0_10empty_typeENS0_5tupleIJS8_S9_EEENSB_IJS8_SA_EEENS0_18inequality_wrapperIZN2at6native12_GLOBAL__N_124unique_dim_cuda_templateIhEESt5tupleIJNSF_6TensorESK_SK_EERKSK_lbbbEUlllE0_EEPmJS9_EEE10hipError_tPvRmT3_T4_T5_T6_T7_T9_mT8_P12ihipStream_tbDpT10_ENKUlT_T0_E_clISt17integral_constantIbLb1EES1A_EEDaS15_S16_EUlS15_E_NS1_11comp_targetILNS1_3genE0ELNS1_11target_archE4294967295ELNS1_3gpuE0ELNS1_3repE0EEENS1_30default_config_static_selectorELNS0_4arch9wavefront6targetE0EEEvT1_
	.p2align	8
	.type	_ZN7rocprim17ROCPRIM_400000_NS6detail17trampoline_kernelINS0_14default_configENS1_25partition_config_selectorILNS1_17partition_subalgoE9EllbEEZZNS1_14partition_implILS5_9ELb0ES3_jPlS8_PNS0_10empty_typeENS0_5tupleIJS8_S9_EEENSB_IJS8_SA_EEENS0_18inequality_wrapperIZN2at6native12_GLOBAL__N_124unique_dim_cuda_templateIhEESt5tupleIJNSF_6TensorESK_SK_EERKSK_lbbbEUlllE0_EEPmJS9_EEE10hipError_tPvRmT3_T4_T5_T6_T7_T9_mT8_P12ihipStream_tbDpT10_ENKUlT_T0_E_clISt17integral_constantIbLb1EES1A_EEDaS15_S16_EUlS15_E_NS1_11comp_targetILNS1_3genE0ELNS1_11target_archE4294967295ELNS1_3gpuE0ELNS1_3repE0EEENS1_30default_config_static_selectorELNS0_4arch9wavefront6targetE0EEEvT1_,@function
_ZN7rocprim17ROCPRIM_400000_NS6detail17trampoline_kernelINS0_14default_configENS1_25partition_config_selectorILNS1_17partition_subalgoE9EllbEEZZNS1_14partition_implILS5_9ELb0ES3_jPlS8_PNS0_10empty_typeENS0_5tupleIJS8_S9_EEENSB_IJS8_SA_EEENS0_18inequality_wrapperIZN2at6native12_GLOBAL__N_124unique_dim_cuda_templateIhEESt5tupleIJNSF_6TensorESK_SK_EERKSK_lbbbEUlllE0_EEPmJS9_EEE10hipError_tPvRmT3_T4_T5_T6_T7_T9_mT8_P12ihipStream_tbDpT10_ENKUlT_T0_E_clISt17integral_constantIbLb1EES1A_EEDaS15_S16_EUlS15_E_NS1_11comp_targetILNS1_3genE0ELNS1_11target_archE4294967295ELNS1_3gpuE0ELNS1_3repE0EEENS1_30default_config_static_selectorELNS0_4arch9wavefront6targetE0EEEvT1_: ; @_ZN7rocprim17ROCPRIM_400000_NS6detail17trampoline_kernelINS0_14default_configENS1_25partition_config_selectorILNS1_17partition_subalgoE9EllbEEZZNS1_14partition_implILS5_9ELb0ES3_jPlS8_PNS0_10empty_typeENS0_5tupleIJS8_S9_EEENSB_IJS8_SA_EEENS0_18inequality_wrapperIZN2at6native12_GLOBAL__N_124unique_dim_cuda_templateIhEESt5tupleIJNSF_6TensorESK_SK_EERKSK_lbbbEUlllE0_EEPmJS9_EEE10hipError_tPvRmT3_T4_T5_T6_T7_T9_mT8_P12ihipStream_tbDpT10_ENKUlT_T0_E_clISt17integral_constantIbLb1EES1A_EEDaS15_S16_EUlS15_E_NS1_11comp_targetILNS1_3genE0ELNS1_11target_archE4294967295ELNS1_3gpuE0ELNS1_3repE0EEENS1_30default_config_static_selectorELNS0_4arch9wavefront6targetE0EEEvT1_
; %bb.0:
	.section	.rodata,"a",@progbits
	.p2align	6, 0x0
	.amdhsa_kernel _ZN7rocprim17ROCPRIM_400000_NS6detail17trampoline_kernelINS0_14default_configENS1_25partition_config_selectorILNS1_17partition_subalgoE9EllbEEZZNS1_14partition_implILS5_9ELb0ES3_jPlS8_PNS0_10empty_typeENS0_5tupleIJS8_S9_EEENSB_IJS8_SA_EEENS0_18inequality_wrapperIZN2at6native12_GLOBAL__N_124unique_dim_cuda_templateIhEESt5tupleIJNSF_6TensorESK_SK_EERKSK_lbbbEUlllE0_EEPmJS9_EEE10hipError_tPvRmT3_T4_T5_T6_T7_T9_mT8_P12ihipStream_tbDpT10_ENKUlT_T0_E_clISt17integral_constantIbLb1EES1A_EEDaS15_S16_EUlS15_E_NS1_11comp_targetILNS1_3genE0ELNS1_11target_archE4294967295ELNS1_3gpuE0ELNS1_3repE0EEENS1_30default_config_static_selectorELNS0_4arch9wavefront6targetE0EEEvT1_
		.amdhsa_group_segment_fixed_size 0
		.amdhsa_private_segment_fixed_size 0
		.amdhsa_kernarg_size 136
		.amdhsa_user_sgpr_count 15
		.amdhsa_user_sgpr_dispatch_ptr 0
		.amdhsa_user_sgpr_queue_ptr 0
		.amdhsa_user_sgpr_kernarg_segment_ptr 1
		.amdhsa_user_sgpr_dispatch_id 0
		.amdhsa_user_sgpr_private_segment_size 0
		.amdhsa_wavefront_size32 1
		.amdhsa_uses_dynamic_stack 0
		.amdhsa_enable_private_segment 0
		.amdhsa_system_sgpr_workgroup_id_x 1
		.amdhsa_system_sgpr_workgroup_id_y 0
		.amdhsa_system_sgpr_workgroup_id_z 0
		.amdhsa_system_sgpr_workgroup_info 0
		.amdhsa_system_vgpr_workitem_id 0
		.amdhsa_next_free_vgpr 1
		.amdhsa_next_free_sgpr 1
		.amdhsa_reserve_vcc 0
		.amdhsa_float_round_mode_32 0
		.amdhsa_float_round_mode_16_64 0
		.amdhsa_float_denorm_mode_32 3
		.amdhsa_float_denorm_mode_16_64 3
		.amdhsa_dx10_clamp 1
		.amdhsa_ieee_mode 1
		.amdhsa_fp16_overflow 0
		.amdhsa_workgroup_processor_mode 1
		.amdhsa_memory_ordered 1
		.amdhsa_forward_progress 0
		.amdhsa_shared_vgpr_count 0
		.amdhsa_exception_fp_ieee_invalid_op 0
		.amdhsa_exception_fp_denorm_src 0
		.amdhsa_exception_fp_ieee_div_zero 0
		.amdhsa_exception_fp_ieee_overflow 0
		.amdhsa_exception_fp_ieee_underflow 0
		.amdhsa_exception_fp_ieee_inexact 0
		.amdhsa_exception_int_div_zero 0
	.end_amdhsa_kernel
	.section	.text._ZN7rocprim17ROCPRIM_400000_NS6detail17trampoline_kernelINS0_14default_configENS1_25partition_config_selectorILNS1_17partition_subalgoE9EllbEEZZNS1_14partition_implILS5_9ELb0ES3_jPlS8_PNS0_10empty_typeENS0_5tupleIJS8_S9_EEENSB_IJS8_SA_EEENS0_18inequality_wrapperIZN2at6native12_GLOBAL__N_124unique_dim_cuda_templateIhEESt5tupleIJNSF_6TensorESK_SK_EERKSK_lbbbEUlllE0_EEPmJS9_EEE10hipError_tPvRmT3_T4_T5_T6_T7_T9_mT8_P12ihipStream_tbDpT10_ENKUlT_T0_E_clISt17integral_constantIbLb1EES1A_EEDaS15_S16_EUlS15_E_NS1_11comp_targetILNS1_3genE0ELNS1_11target_archE4294967295ELNS1_3gpuE0ELNS1_3repE0EEENS1_30default_config_static_selectorELNS0_4arch9wavefront6targetE0EEEvT1_,"axG",@progbits,_ZN7rocprim17ROCPRIM_400000_NS6detail17trampoline_kernelINS0_14default_configENS1_25partition_config_selectorILNS1_17partition_subalgoE9EllbEEZZNS1_14partition_implILS5_9ELb0ES3_jPlS8_PNS0_10empty_typeENS0_5tupleIJS8_S9_EEENSB_IJS8_SA_EEENS0_18inequality_wrapperIZN2at6native12_GLOBAL__N_124unique_dim_cuda_templateIhEESt5tupleIJNSF_6TensorESK_SK_EERKSK_lbbbEUlllE0_EEPmJS9_EEE10hipError_tPvRmT3_T4_T5_T6_T7_T9_mT8_P12ihipStream_tbDpT10_ENKUlT_T0_E_clISt17integral_constantIbLb1EES1A_EEDaS15_S16_EUlS15_E_NS1_11comp_targetILNS1_3genE0ELNS1_11target_archE4294967295ELNS1_3gpuE0ELNS1_3repE0EEENS1_30default_config_static_selectorELNS0_4arch9wavefront6targetE0EEEvT1_,comdat
.Lfunc_end212:
	.size	_ZN7rocprim17ROCPRIM_400000_NS6detail17trampoline_kernelINS0_14default_configENS1_25partition_config_selectorILNS1_17partition_subalgoE9EllbEEZZNS1_14partition_implILS5_9ELb0ES3_jPlS8_PNS0_10empty_typeENS0_5tupleIJS8_S9_EEENSB_IJS8_SA_EEENS0_18inequality_wrapperIZN2at6native12_GLOBAL__N_124unique_dim_cuda_templateIhEESt5tupleIJNSF_6TensorESK_SK_EERKSK_lbbbEUlllE0_EEPmJS9_EEE10hipError_tPvRmT3_T4_T5_T6_T7_T9_mT8_P12ihipStream_tbDpT10_ENKUlT_T0_E_clISt17integral_constantIbLb1EES1A_EEDaS15_S16_EUlS15_E_NS1_11comp_targetILNS1_3genE0ELNS1_11target_archE4294967295ELNS1_3gpuE0ELNS1_3repE0EEENS1_30default_config_static_selectorELNS0_4arch9wavefront6targetE0EEEvT1_, .Lfunc_end212-_ZN7rocprim17ROCPRIM_400000_NS6detail17trampoline_kernelINS0_14default_configENS1_25partition_config_selectorILNS1_17partition_subalgoE9EllbEEZZNS1_14partition_implILS5_9ELb0ES3_jPlS8_PNS0_10empty_typeENS0_5tupleIJS8_S9_EEENSB_IJS8_SA_EEENS0_18inequality_wrapperIZN2at6native12_GLOBAL__N_124unique_dim_cuda_templateIhEESt5tupleIJNSF_6TensorESK_SK_EERKSK_lbbbEUlllE0_EEPmJS9_EEE10hipError_tPvRmT3_T4_T5_T6_T7_T9_mT8_P12ihipStream_tbDpT10_ENKUlT_T0_E_clISt17integral_constantIbLb1EES1A_EEDaS15_S16_EUlS15_E_NS1_11comp_targetILNS1_3genE0ELNS1_11target_archE4294967295ELNS1_3gpuE0ELNS1_3repE0EEENS1_30default_config_static_selectorELNS0_4arch9wavefront6targetE0EEEvT1_
                                        ; -- End function
	.section	.AMDGPU.csdata,"",@progbits
; Kernel info:
; codeLenInByte = 0
; NumSgprs: 0
; NumVgprs: 0
; ScratchSize: 0
; MemoryBound: 0
; FloatMode: 240
; IeeeMode: 1
; LDSByteSize: 0 bytes/workgroup (compile time only)
; SGPRBlocks: 0
; VGPRBlocks: 0
; NumSGPRsForWavesPerEU: 1
; NumVGPRsForWavesPerEU: 1
; Occupancy: 16
; WaveLimiterHint : 0
; COMPUTE_PGM_RSRC2:SCRATCH_EN: 0
; COMPUTE_PGM_RSRC2:USER_SGPR: 15
; COMPUTE_PGM_RSRC2:TRAP_HANDLER: 0
; COMPUTE_PGM_RSRC2:TGID_X_EN: 1
; COMPUTE_PGM_RSRC2:TGID_Y_EN: 0
; COMPUTE_PGM_RSRC2:TGID_Z_EN: 0
; COMPUTE_PGM_RSRC2:TIDIG_COMP_CNT: 0
	.section	.text._ZN7rocprim17ROCPRIM_400000_NS6detail17trampoline_kernelINS0_14default_configENS1_25partition_config_selectorILNS1_17partition_subalgoE9EllbEEZZNS1_14partition_implILS5_9ELb0ES3_jPlS8_PNS0_10empty_typeENS0_5tupleIJS8_S9_EEENSB_IJS8_SA_EEENS0_18inequality_wrapperIZN2at6native12_GLOBAL__N_124unique_dim_cuda_templateIhEESt5tupleIJNSF_6TensorESK_SK_EERKSK_lbbbEUlllE0_EEPmJS9_EEE10hipError_tPvRmT3_T4_T5_T6_T7_T9_mT8_P12ihipStream_tbDpT10_ENKUlT_T0_E_clISt17integral_constantIbLb1EES1A_EEDaS15_S16_EUlS15_E_NS1_11comp_targetILNS1_3genE5ELNS1_11target_archE942ELNS1_3gpuE9ELNS1_3repE0EEENS1_30default_config_static_selectorELNS0_4arch9wavefront6targetE0EEEvT1_,"axG",@progbits,_ZN7rocprim17ROCPRIM_400000_NS6detail17trampoline_kernelINS0_14default_configENS1_25partition_config_selectorILNS1_17partition_subalgoE9EllbEEZZNS1_14partition_implILS5_9ELb0ES3_jPlS8_PNS0_10empty_typeENS0_5tupleIJS8_S9_EEENSB_IJS8_SA_EEENS0_18inequality_wrapperIZN2at6native12_GLOBAL__N_124unique_dim_cuda_templateIhEESt5tupleIJNSF_6TensorESK_SK_EERKSK_lbbbEUlllE0_EEPmJS9_EEE10hipError_tPvRmT3_T4_T5_T6_T7_T9_mT8_P12ihipStream_tbDpT10_ENKUlT_T0_E_clISt17integral_constantIbLb1EES1A_EEDaS15_S16_EUlS15_E_NS1_11comp_targetILNS1_3genE5ELNS1_11target_archE942ELNS1_3gpuE9ELNS1_3repE0EEENS1_30default_config_static_selectorELNS0_4arch9wavefront6targetE0EEEvT1_,comdat
	.globl	_ZN7rocprim17ROCPRIM_400000_NS6detail17trampoline_kernelINS0_14default_configENS1_25partition_config_selectorILNS1_17partition_subalgoE9EllbEEZZNS1_14partition_implILS5_9ELb0ES3_jPlS8_PNS0_10empty_typeENS0_5tupleIJS8_S9_EEENSB_IJS8_SA_EEENS0_18inequality_wrapperIZN2at6native12_GLOBAL__N_124unique_dim_cuda_templateIhEESt5tupleIJNSF_6TensorESK_SK_EERKSK_lbbbEUlllE0_EEPmJS9_EEE10hipError_tPvRmT3_T4_T5_T6_T7_T9_mT8_P12ihipStream_tbDpT10_ENKUlT_T0_E_clISt17integral_constantIbLb1EES1A_EEDaS15_S16_EUlS15_E_NS1_11comp_targetILNS1_3genE5ELNS1_11target_archE942ELNS1_3gpuE9ELNS1_3repE0EEENS1_30default_config_static_selectorELNS0_4arch9wavefront6targetE0EEEvT1_ ; -- Begin function _ZN7rocprim17ROCPRIM_400000_NS6detail17trampoline_kernelINS0_14default_configENS1_25partition_config_selectorILNS1_17partition_subalgoE9EllbEEZZNS1_14partition_implILS5_9ELb0ES3_jPlS8_PNS0_10empty_typeENS0_5tupleIJS8_S9_EEENSB_IJS8_SA_EEENS0_18inequality_wrapperIZN2at6native12_GLOBAL__N_124unique_dim_cuda_templateIhEESt5tupleIJNSF_6TensorESK_SK_EERKSK_lbbbEUlllE0_EEPmJS9_EEE10hipError_tPvRmT3_T4_T5_T6_T7_T9_mT8_P12ihipStream_tbDpT10_ENKUlT_T0_E_clISt17integral_constantIbLb1EES1A_EEDaS15_S16_EUlS15_E_NS1_11comp_targetILNS1_3genE5ELNS1_11target_archE942ELNS1_3gpuE9ELNS1_3repE0EEENS1_30default_config_static_selectorELNS0_4arch9wavefront6targetE0EEEvT1_
	.p2align	8
	.type	_ZN7rocprim17ROCPRIM_400000_NS6detail17trampoline_kernelINS0_14default_configENS1_25partition_config_selectorILNS1_17partition_subalgoE9EllbEEZZNS1_14partition_implILS5_9ELb0ES3_jPlS8_PNS0_10empty_typeENS0_5tupleIJS8_S9_EEENSB_IJS8_SA_EEENS0_18inequality_wrapperIZN2at6native12_GLOBAL__N_124unique_dim_cuda_templateIhEESt5tupleIJNSF_6TensorESK_SK_EERKSK_lbbbEUlllE0_EEPmJS9_EEE10hipError_tPvRmT3_T4_T5_T6_T7_T9_mT8_P12ihipStream_tbDpT10_ENKUlT_T0_E_clISt17integral_constantIbLb1EES1A_EEDaS15_S16_EUlS15_E_NS1_11comp_targetILNS1_3genE5ELNS1_11target_archE942ELNS1_3gpuE9ELNS1_3repE0EEENS1_30default_config_static_selectorELNS0_4arch9wavefront6targetE0EEEvT1_,@function
_ZN7rocprim17ROCPRIM_400000_NS6detail17trampoline_kernelINS0_14default_configENS1_25partition_config_selectorILNS1_17partition_subalgoE9EllbEEZZNS1_14partition_implILS5_9ELb0ES3_jPlS8_PNS0_10empty_typeENS0_5tupleIJS8_S9_EEENSB_IJS8_SA_EEENS0_18inequality_wrapperIZN2at6native12_GLOBAL__N_124unique_dim_cuda_templateIhEESt5tupleIJNSF_6TensorESK_SK_EERKSK_lbbbEUlllE0_EEPmJS9_EEE10hipError_tPvRmT3_T4_T5_T6_T7_T9_mT8_P12ihipStream_tbDpT10_ENKUlT_T0_E_clISt17integral_constantIbLb1EES1A_EEDaS15_S16_EUlS15_E_NS1_11comp_targetILNS1_3genE5ELNS1_11target_archE942ELNS1_3gpuE9ELNS1_3repE0EEENS1_30default_config_static_selectorELNS0_4arch9wavefront6targetE0EEEvT1_: ; @_ZN7rocprim17ROCPRIM_400000_NS6detail17trampoline_kernelINS0_14default_configENS1_25partition_config_selectorILNS1_17partition_subalgoE9EllbEEZZNS1_14partition_implILS5_9ELb0ES3_jPlS8_PNS0_10empty_typeENS0_5tupleIJS8_S9_EEENSB_IJS8_SA_EEENS0_18inequality_wrapperIZN2at6native12_GLOBAL__N_124unique_dim_cuda_templateIhEESt5tupleIJNSF_6TensorESK_SK_EERKSK_lbbbEUlllE0_EEPmJS9_EEE10hipError_tPvRmT3_T4_T5_T6_T7_T9_mT8_P12ihipStream_tbDpT10_ENKUlT_T0_E_clISt17integral_constantIbLb1EES1A_EEDaS15_S16_EUlS15_E_NS1_11comp_targetILNS1_3genE5ELNS1_11target_archE942ELNS1_3gpuE9ELNS1_3repE0EEENS1_30default_config_static_selectorELNS0_4arch9wavefront6targetE0EEEvT1_
; %bb.0:
	.section	.rodata,"a",@progbits
	.p2align	6, 0x0
	.amdhsa_kernel _ZN7rocprim17ROCPRIM_400000_NS6detail17trampoline_kernelINS0_14default_configENS1_25partition_config_selectorILNS1_17partition_subalgoE9EllbEEZZNS1_14partition_implILS5_9ELb0ES3_jPlS8_PNS0_10empty_typeENS0_5tupleIJS8_S9_EEENSB_IJS8_SA_EEENS0_18inequality_wrapperIZN2at6native12_GLOBAL__N_124unique_dim_cuda_templateIhEESt5tupleIJNSF_6TensorESK_SK_EERKSK_lbbbEUlllE0_EEPmJS9_EEE10hipError_tPvRmT3_T4_T5_T6_T7_T9_mT8_P12ihipStream_tbDpT10_ENKUlT_T0_E_clISt17integral_constantIbLb1EES1A_EEDaS15_S16_EUlS15_E_NS1_11comp_targetILNS1_3genE5ELNS1_11target_archE942ELNS1_3gpuE9ELNS1_3repE0EEENS1_30default_config_static_selectorELNS0_4arch9wavefront6targetE0EEEvT1_
		.amdhsa_group_segment_fixed_size 0
		.amdhsa_private_segment_fixed_size 0
		.amdhsa_kernarg_size 136
		.amdhsa_user_sgpr_count 15
		.amdhsa_user_sgpr_dispatch_ptr 0
		.amdhsa_user_sgpr_queue_ptr 0
		.amdhsa_user_sgpr_kernarg_segment_ptr 1
		.amdhsa_user_sgpr_dispatch_id 0
		.amdhsa_user_sgpr_private_segment_size 0
		.amdhsa_wavefront_size32 1
		.amdhsa_uses_dynamic_stack 0
		.amdhsa_enable_private_segment 0
		.amdhsa_system_sgpr_workgroup_id_x 1
		.amdhsa_system_sgpr_workgroup_id_y 0
		.amdhsa_system_sgpr_workgroup_id_z 0
		.amdhsa_system_sgpr_workgroup_info 0
		.amdhsa_system_vgpr_workitem_id 0
		.amdhsa_next_free_vgpr 1
		.amdhsa_next_free_sgpr 1
		.amdhsa_reserve_vcc 0
		.amdhsa_float_round_mode_32 0
		.amdhsa_float_round_mode_16_64 0
		.amdhsa_float_denorm_mode_32 3
		.amdhsa_float_denorm_mode_16_64 3
		.amdhsa_dx10_clamp 1
		.amdhsa_ieee_mode 1
		.amdhsa_fp16_overflow 0
		.amdhsa_workgroup_processor_mode 1
		.amdhsa_memory_ordered 1
		.amdhsa_forward_progress 0
		.amdhsa_shared_vgpr_count 0
		.amdhsa_exception_fp_ieee_invalid_op 0
		.amdhsa_exception_fp_denorm_src 0
		.amdhsa_exception_fp_ieee_div_zero 0
		.amdhsa_exception_fp_ieee_overflow 0
		.amdhsa_exception_fp_ieee_underflow 0
		.amdhsa_exception_fp_ieee_inexact 0
		.amdhsa_exception_int_div_zero 0
	.end_amdhsa_kernel
	.section	.text._ZN7rocprim17ROCPRIM_400000_NS6detail17trampoline_kernelINS0_14default_configENS1_25partition_config_selectorILNS1_17partition_subalgoE9EllbEEZZNS1_14partition_implILS5_9ELb0ES3_jPlS8_PNS0_10empty_typeENS0_5tupleIJS8_S9_EEENSB_IJS8_SA_EEENS0_18inequality_wrapperIZN2at6native12_GLOBAL__N_124unique_dim_cuda_templateIhEESt5tupleIJNSF_6TensorESK_SK_EERKSK_lbbbEUlllE0_EEPmJS9_EEE10hipError_tPvRmT3_T4_T5_T6_T7_T9_mT8_P12ihipStream_tbDpT10_ENKUlT_T0_E_clISt17integral_constantIbLb1EES1A_EEDaS15_S16_EUlS15_E_NS1_11comp_targetILNS1_3genE5ELNS1_11target_archE942ELNS1_3gpuE9ELNS1_3repE0EEENS1_30default_config_static_selectorELNS0_4arch9wavefront6targetE0EEEvT1_,"axG",@progbits,_ZN7rocprim17ROCPRIM_400000_NS6detail17trampoline_kernelINS0_14default_configENS1_25partition_config_selectorILNS1_17partition_subalgoE9EllbEEZZNS1_14partition_implILS5_9ELb0ES3_jPlS8_PNS0_10empty_typeENS0_5tupleIJS8_S9_EEENSB_IJS8_SA_EEENS0_18inequality_wrapperIZN2at6native12_GLOBAL__N_124unique_dim_cuda_templateIhEESt5tupleIJNSF_6TensorESK_SK_EERKSK_lbbbEUlllE0_EEPmJS9_EEE10hipError_tPvRmT3_T4_T5_T6_T7_T9_mT8_P12ihipStream_tbDpT10_ENKUlT_T0_E_clISt17integral_constantIbLb1EES1A_EEDaS15_S16_EUlS15_E_NS1_11comp_targetILNS1_3genE5ELNS1_11target_archE942ELNS1_3gpuE9ELNS1_3repE0EEENS1_30default_config_static_selectorELNS0_4arch9wavefront6targetE0EEEvT1_,comdat
.Lfunc_end213:
	.size	_ZN7rocprim17ROCPRIM_400000_NS6detail17trampoline_kernelINS0_14default_configENS1_25partition_config_selectorILNS1_17partition_subalgoE9EllbEEZZNS1_14partition_implILS5_9ELb0ES3_jPlS8_PNS0_10empty_typeENS0_5tupleIJS8_S9_EEENSB_IJS8_SA_EEENS0_18inequality_wrapperIZN2at6native12_GLOBAL__N_124unique_dim_cuda_templateIhEESt5tupleIJNSF_6TensorESK_SK_EERKSK_lbbbEUlllE0_EEPmJS9_EEE10hipError_tPvRmT3_T4_T5_T6_T7_T9_mT8_P12ihipStream_tbDpT10_ENKUlT_T0_E_clISt17integral_constantIbLb1EES1A_EEDaS15_S16_EUlS15_E_NS1_11comp_targetILNS1_3genE5ELNS1_11target_archE942ELNS1_3gpuE9ELNS1_3repE0EEENS1_30default_config_static_selectorELNS0_4arch9wavefront6targetE0EEEvT1_, .Lfunc_end213-_ZN7rocprim17ROCPRIM_400000_NS6detail17trampoline_kernelINS0_14default_configENS1_25partition_config_selectorILNS1_17partition_subalgoE9EllbEEZZNS1_14partition_implILS5_9ELb0ES3_jPlS8_PNS0_10empty_typeENS0_5tupleIJS8_S9_EEENSB_IJS8_SA_EEENS0_18inequality_wrapperIZN2at6native12_GLOBAL__N_124unique_dim_cuda_templateIhEESt5tupleIJNSF_6TensorESK_SK_EERKSK_lbbbEUlllE0_EEPmJS9_EEE10hipError_tPvRmT3_T4_T5_T6_T7_T9_mT8_P12ihipStream_tbDpT10_ENKUlT_T0_E_clISt17integral_constantIbLb1EES1A_EEDaS15_S16_EUlS15_E_NS1_11comp_targetILNS1_3genE5ELNS1_11target_archE942ELNS1_3gpuE9ELNS1_3repE0EEENS1_30default_config_static_selectorELNS0_4arch9wavefront6targetE0EEEvT1_
                                        ; -- End function
	.section	.AMDGPU.csdata,"",@progbits
; Kernel info:
; codeLenInByte = 0
; NumSgprs: 0
; NumVgprs: 0
; ScratchSize: 0
; MemoryBound: 0
; FloatMode: 240
; IeeeMode: 1
; LDSByteSize: 0 bytes/workgroup (compile time only)
; SGPRBlocks: 0
; VGPRBlocks: 0
; NumSGPRsForWavesPerEU: 1
; NumVGPRsForWavesPerEU: 1
; Occupancy: 16
; WaveLimiterHint : 0
; COMPUTE_PGM_RSRC2:SCRATCH_EN: 0
; COMPUTE_PGM_RSRC2:USER_SGPR: 15
; COMPUTE_PGM_RSRC2:TRAP_HANDLER: 0
; COMPUTE_PGM_RSRC2:TGID_X_EN: 1
; COMPUTE_PGM_RSRC2:TGID_Y_EN: 0
; COMPUTE_PGM_RSRC2:TGID_Z_EN: 0
; COMPUTE_PGM_RSRC2:TIDIG_COMP_CNT: 0
	.section	.text._ZN7rocprim17ROCPRIM_400000_NS6detail17trampoline_kernelINS0_14default_configENS1_25partition_config_selectorILNS1_17partition_subalgoE9EllbEEZZNS1_14partition_implILS5_9ELb0ES3_jPlS8_PNS0_10empty_typeENS0_5tupleIJS8_S9_EEENSB_IJS8_SA_EEENS0_18inequality_wrapperIZN2at6native12_GLOBAL__N_124unique_dim_cuda_templateIhEESt5tupleIJNSF_6TensorESK_SK_EERKSK_lbbbEUlllE0_EEPmJS9_EEE10hipError_tPvRmT3_T4_T5_T6_T7_T9_mT8_P12ihipStream_tbDpT10_ENKUlT_T0_E_clISt17integral_constantIbLb1EES1A_EEDaS15_S16_EUlS15_E_NS1_11comp_targetILNS1_3genE4ELNS1_11target_archE910ELNS1_3gpuE8ELNS1_3repE0EEENS1_30default_config_static_selectorELNS0_4arch9wavefront6targetE0EEEvT1_,"axG",@progbits,_ZN7rocprim17ROCPRIM_400000_NS6detail17trampoline_kernelINS0_14default_configENS1_25partition_config_selectorILNS1_17partition_subalgoE9EllbEEZZNS1_14partition_implILS5_9ELb0ES3_jPlS8_PNS0_10empty_typeENS0_5tupleIJS8_S9_EEENSB_IJS8_SA_EEENS0_18inequality_wrapperIZN2at6native12_GLOBAL__N_124unique_dim_cuda_templateIhEESt5tupleIJNSF_6TensorESK_SK_EERKSK_lbbbEUlllE0_EEPmJS9_EEE10hipError_tPvRmT3_T4_T5_T6_T7_T9_mT8_P12ihipStream_tbDpT10_ENKUlT_T0_E_clISt17integral_constantIbLb1EES1A_EEDaS15_S16_EUlS15_E_NS1_11comp_targetILNS1_3genE4ELNS1_11target_archE910ELNS1_3gpuE8ELNS1_3repE0EEENS1_30default_config_static_selectorELNS0_4arch9wavefront6targetE0EEEvT1_,comdat
	.globl	_ZN7rocprim17ROCPRIM_400000_NS6detail17trampoline_kernelINS0_14default_configENS1_25partition_config_selectorILNS1_17partition_subalgoE9EllbEEZZNS1_14partition_implILS5_9ELb0ES3_jPlS8_PNS0_10empty_typeENS0_5tupleIJS8_S9_EEENSB_IJS8_SA_EEENS0_18inequality_wrapperIZN2at6native12_GLOBAL__N_124unique_dim_cuda_templateIhEESt5tupleIJNSF_6TensorESK_SK_EERKSK_lbbbEUlllE0_EEPmJS9_EEE10hipError_tPvRmT3_T4_T5_T6_T7_T9_mT8_P12ihipStream_tbDpT10_ENKUlT_T0_E_clISt17integral_constantIbLb1EES1A_EEDaS15_S16_EUlS15_E_NS1_11comp_targetILNS1_3genE4ELNS1_11target_archE910ELNS1_3gpuE8ELNS1_3repE0EEENS1_30default_config_static_selectorELNS0_4arch9wavefront6targetE0EEEvT1_ ; -- Begin function _ZN7rocprim17ROCPRIM_400000_NS6detail17trampoline_kernelINS0_14default_configENS1_25partition_config_selectorILNS1_17partition_subalgoE9EllbEEZZNS1_14partition_implILS5_9ELb0ES3_jPlS8_PNS0_10empty_typeENS0_5tupleIJS8_S9_EEENSB_IJS8_SA_EEENS0_18inequality_wrapperIZN2at6native12_GLOBAL__N_124unique_dim_cuda_templateIhEESt5tupleIJNSF_6TensorESK_SK_EERKSK_lbbbEUlllE0_EEPmJS9_EEE10hipError_tPvRmT3_T4_T5_T6_T7_T9_mT8_P12ihipStream_tbDpT10_ENKUlT_T0_E_clISt17integral_constantIbLb1EES1A_EEDaS15_S16_EUlS15_E_NS1_11comp_targetILNS1_3genE4ELNS1_11target_archE910ELNS1_3gpuE8ELNS1_3repE0EEENS1_30default_config_static_selectorELNS0_4arch9wavefront6targetE0EEEvT1_
	.p2align	8
	.type	_ZN7rocprim17ROCPRIM_400000_NS6detail17trampoline_kernelINS0_14default_configENS1_25partition_config_selectorILNS1_17partition_subalgoE9EllbEEZZNS1_14partition_implILS5_9ELb0ES3_jPlS8_PNS0_10empty_typeENS0_5tupleIJS8_S9_EEENSB_IJS8_SA_EEENS0_18inequality_wrapperIZN2at6native12_GLOBAL__N_124unique_dim_cuda_templateIhEESt5tupleIJNSF_6TensorESK_SK_EERKSK_lbbbEUlllE0_EEPmJS9_EEE10hipError_tPvRmT3_T4_T5_T6_T7_T9_mT8_P12ihipStream_tbDpT10_ENKUlT_T0_E_clISt17integral_constantIbLb1EES1A_EEDaS15_S16_EUlS15_E_NS1_11comp_targetILNS1_3genE4ELNS1_11target_archE910ELNS1_3gpuE8ELNS1_3repE0EEENS1_30default_config_static_selectorELNS0_4arch9wavefront6targetE0EEEvT1_,@function
_ZN7rocprim17ROCPRIM_400000_NS6detail17trampoline_kernelINS0_14default_configENS1_25partition_config_selectorILNS1_17partition_subalgoE9EllbEEZZNS1_14partition_implILS5_9ELb0ES3_jPlS8_PNS0_10empty_typeENS0_5tupleIJS8_S9_EEENSB_IJS8_SA_EEENS0_18inequality_wrapperIZN2at6native12_GLOBAL__N_124unique_dim_cuda_templateIhEESt5tupleIJNSF_6TensorESK_SK_EERKSK_lbbbEUlllE0_EEPmJS9_EEE10hipError_tPvRmT3_T4_T5_T6_T7_T9_mT8_P12ihipStream_tbDpT10_ENKUlT_T0_E_clISt17integral_constantIbLb1EES1A_EEDaS15_S16_EUlS15_E_NS1_11comp_targetILNS1_3genE4ELNS1_11target_archE910ELNS1_3gpuE8ELNS1_3repE0EEENS1_30default_config_static_selectorELNS0_4arch9wavefront6targetE0EEEvT1_: ; @_ZN7rocprim17ROCPRIM_400000_NS6detail17trampoline_kernelINS0_14default_configENS1_25partition_config_selectorILNS1_17partition_subalgoE9EllbEEZZNS1_14partition_implILS5_9ELb0ES3_jPlS8_PNS0_10empty_typeENS0_5tupleIJS8_S9_EEENSB_IJS8_SA_EEENS0_18inequality_wrapperIZN2at6native12_GLOBAL__N_124unique_dim_cuda_templateIhEESt5tupleIJNSF_6TensorESK_SK_EERKSK_lbbbEUlllE0_EEPmJS9_EEE10hipError_tPvRmT3_T4_T5_T6_T7_T9_mT8_P12ihipStream_tbDpT10_ENKUlT_T0_E_clISt17integral_constantIbLb1EES1A_EEDaS15_S16_EUlS15_E_NS1_11comp_targetILNS1_3genE4ELNS1_11target_archE910ELNS1_3gpuE8ELNS1_3repE0EEENS1_30default_config_static_selectorELNS0_4arch9wavefront6targetE0EEEvT1_
; %bb.0:
	.section	.rodata,"a",@progbits
	.p2align	6, 0x0
	.amdhsa_kernel _ZN7rocprim17ROCPRIM_400000_NS6detail17trampoline_kernelINS0_14default_configENS1_25partition_config_selectorILNS1_17partition_subalgoE9EllbEEZZNS1_14partition_implILS5_9ELb0ES3_jPlS8_PNS0_10empty_typeENS0_5tupleIJS8_S9_EEENSB_IJS8_SA_EEENS0_18inequality_wrapperIZN2at6native12_GLOBAL__N_124unique_dim_cuda_templateIhEESt5tupleIJNSF_6TensorESK_SK_EERKSK_lbbbEUlllE0_EEPmJS9_EEE10hipError_tPvRmT3_T4_T5_T6_T7_T9_mT8_P12ihipStream_tbDpT10_ENKUlT_T0_E_clISt17integral_constantIbLb1EES1A_EEDaS15_S16_EUlS15_E_NS1_11comp_targetILNS1_3genE4ELNS1_11target_archE910ELNS1_3gpuE8ELNS1_3repE0EEENS1_30default_config_static_selectorELNS0_4arch9wavefront6targetE0EEEvT1_
		.amdhsa_group_segment_fixed_size 0
		.amdhsa_private_segment_fixed_size 0
		.amdhsa_kernarg_size 136
		.amdhsa_user_sgpr_count 15
		.amdhsa_user_sgpr_dispatch_ptr 0
		.amdhsa_user_sgpr_queue_ptr 0
		.amdhsa_user_sgpr_kernarg_segment_ptr 1
		.amdhsa_user_sgpr_dispatch_id 0
		.amdhsa_user_sgpr_private_segment_size 0
		.amdhsa_wavefront_size32 1
		.amdhsa_uses_dynamic_stack 0
		.amdhsa_enable_private_segment 0
		.amdhsa_system_sgpr_workgroup_id_x 1
		.amdhsa_system_sgpr_workgroup_id_y 0
		.amdhsa_system_sgpr_workgroup_id_z 0
		.amdhsa_system_sgpr_workgroup_info 0
		.amdhsa_system_vgpr_workitem_id 0
		.amdhsa_next_free_vgpr 1
		.amdhsa_next_free_sgpr 1
		.amdhsa_reserve_vcc 0
		.amdhsa_float_round_mode_32 0
		.amdhsa_float_round_mode_16_64 0
		.amdhsa_float_denorm_mode_32 3
		.amdhsa_float_denorm_mode_16_64 3
		.amdhsa_dx10_clamp 1
		.amdhsa_ieee_mode 1
		.amdhsa_fp16_overflow 0
		.amdhsa_workgroup_processor_mode 1
		.amdhsa_memory_ordered 1
		.amdhsa_forward_progress 0
		.amdhsa_shared_vgpr_count 0
		.amdhsa_exception_fp_ieee_invalid_op 0
		.amdhsa_exception_fp_denorm_src 0
		.amdhsa_exception_fp_ieee_div_zero 0
		.amdhsa_exception_fp_ieee_overflow 0
		.amdhsa_exception_fp_ieee_underflow 0
		.amdhsa_exception_fp_ieee_inexact 0
		.amdhsa_exception_int_div_zero 0
	.end_amdhsa_kernel
	.section	.text._ZN7rocprim17ROCPRIM_400000_NS6detail17trampoline_kernelINS0_14default_configENS1_25partition_config_selectorILNS1_17partition_subalgoE9EllbEEZZNS1_14partition_implILS5_9ELb0ES3_jPlS8_PNS0_10empty_typeENS0_5tupleIJS8_S9_EEENSB_IJS8_SA_EEENS0_18inequality_wrapperIZN2at6native12_GLOBAL__N_124unique_dim_cuda_templateIhEESt5tupleIJNSF_6TensorESK_SK_EERKSK_lbbbEUlllE0_EEPmJS9_EEE10hipError_tPvRmT3_T4_T5_T6_T7_T9_mT8_P12ihipStream_tbDpT10_ENKUlT_T0_E_clISt17integral_constantIbLb1EES1A_EEDaS15_S16_EUlS15_E_NS1_11comp_targetILNS1_3genE4ELNS1_11target_archE910ELNS1_3gpuE8ELNS1_3repE0EEENS1_30default_config_static_selectorELNS0_4arch9wavefront6targetE0EEEvT1_,"axG",@progbits,_ZN7rocprim17ROCPRIM_400000_NS6detail17trampoline_kernelINS0_14default_configENS1_25partition_config_selectorILNS1_17partition_subalgoE9EllbEEZZNS1_14partition_implILS5_9ELb0ES3_jPlS8_PNS0_10empty_typeENS0_5tupleIJS8_S9_EEENSB_IJS8_SA_EEENS0_18inequality_wrapperIZN2at6native12_GLOBAL__N_124unique_dim_cuda_templateIhEESt5tupleIJNSF_6TensorESK_SK_EERKSK_lbbbEUlllE0_EEPmJS9_EEE10hipError_tPvRmT3_T4_T5_T6_T7_T9_mT8_P12ihipStream_tbDpT10_ENKUlT_T0_E_clISt17integral_constantIbLb1EES1A_EEDaS15_S16_EUlS15_E_NS1_11comp_targetILNS1_3genE4ELNS1_11target_archE910ELNS1_3gpuE8ELNS1_3repE0EEENS1_30default_config_static_selectorELNS0_4arch9wavefront6targetE0EEEvT1_,comdat
.Lfunc_end214:
	.size	_ZN7rocprim17ROCPRIM_400000_NS6detail17trampoline_kernelINS0_14default_configENS1_25partition_config_selectorILNS1_17partition_subalgoE9EllbEEZZNS1_14partition_implILS5_9ELb0ES3_jPlS8_PNS0_10empty_typeENS0_5tupleIJS8_S9_EEENSB_IJS8_SA_EEENS0_18inequality_wrapperIZN2at6native12_GLOBAL__N_124unique_dim_cuda_templateIhEESt5tupleIJNSF_6TensorESK_SK_EERKSK_lbbbEUlllE0_EEPmJS9_EEE10hipError_tPvRmT3_T4_T5_T6_T7_T9_mT8_P12ihipStream_tbDpT10_ENKUlT_T0_E_clISt17integral_constantIbLb1EES1A_EEDaS15_S16_EUlS15_E_NS1_11comp_targetILNS1_3genE4ELNS1_11target_archE910ELNS1_3gpuE8ELNS1_3repE0EEENS1_30default_config_static_selectorELNS0_4arch9wavefront6targetE0EEEvT1_, .Lfunc_end214-_ZN7rocprim17ROCPRIM_400000_NS6detail17trampoline_kernelINS0_14default_configENS1_25partition_config_selectorILNS1_17partition_subalgoE9EllbEEZZNS1_14partition_implILS5_9ELb0ES3_jPlS8_PNS0_10empty_typeENS0_5tupleIJS8_S9_EEENSB_IJS8_SA_EEENS0_18inequality_wrapperIZN2at6native12_GLOBAL__N_124unique_dim_cuda_templateIhEESt5tupleIJNSF_6TensorESK_SK_EERKSK_lbbbEUlllE0_EEPmJS9_EEE10hipError_tPvRmT3_T4_T5_T6_T7_T9_mT8_P12ihipStream_tbDpT10_ENKUlT_T0_E_clISt17integral_constantIbLb1EES1A_EEDaS15_S16_EUlS15_E_NS1_11comp_targetILNS1_3genE4ELNS1_11target_archE910ELNS1_3gpuE8ELNS1_3repE0EEENS1_30default_config_static_selectorELNS0_4arch9wavefront6targetE0EEEvT1_
                                        ; -- End function
	.section	.AMDGPU.csdata,"",@progbits
; Kernel info:
; codeLenInByte = 0
; NumSgprs: 0
; NumVgprs: 0
; ScratchSize: 0
; MemoryBound: 0
; FloatMode: 240
; IeeeMode: 1
; LDSByteSize: 0 bytes/workgroup (compile time only)
; SGPRBlocks: 0
; VGPRBlocks: 0
; NumSGPRsForWavesPerEU: 1
; NumVGPRsForWavesPerEU: 1
; Occupancy: 16
; WaveLimiterHint : 0
; COMPUTE_PGM_RSRC2:SCRATCH_EN: 0
; COMPUTE_PGM_RSRC2:USER_SGPR: 15
; COMPUTE_PGM_RSRC2:TRAP_HANDLER: 0
; COMPUTE_PGM_RSRC2:TGID_X_EN: 1
; COMPUTE_PGM_RSRC2:TGID_Y_EN: 0
; COMPUTE_PGM_RSRC2:TGID_Z_EN: 0
; COMPUTE_PGM_RSRC2:TIDIG_COMP_CNT: 0
	.section	.text._ZN7rocprim17ROCPRIM_400000_NS6detail17trampoline_kernelINS0_14default_configENS1_25partition_config_selectorILNS1_17partition_subalgoE9EllbEEZZNS1_14partition_implILS5_9ELb0ES3_jPlS8_PNS0_10empty_typeENS0_5tupleIJS8_S9_EEENSB_IJS8_SA_EEENS0_18inequality_wrapperIZN2at6native12_GLOBAL__N_124unique_dim_cuda_templateIhEESt5tupleIJNSF_6TensorESK_SK_EERKSK_lbbbEUlllE0_EEPmJS9_EEE10hipError_tPvRmT3_T4_T5_T6_T7_T9_mT8_P12ihipStream_tbDpT10_ENKUlT_T0_E_clISt17integral_constantIbLb1EES1A_EEDaS15_S16_EUlS15_E_NS1_11comp_targetILNS1_3genE3ELNS1_11target_archE908ELNS1_3gpuE7ELNS1_3repE0EEENS1_30default_config_static_selectorELNS0_4arch9wavefront6targetE0EEEvT1_,"axG",@progbits,_ZN7rocprim17ROCPRIM_400000_NS6detail17trampoline_kernelINS0_14default_configENS1_25partition_config_selectorILNS1_17partition_subalgoE9EllbEEZZNS1_14partition_implILS5_9ELb0ES3_jPlS8_PNS0_10empty_typeENS0_5tupleIJS8_S9_EEENSB_IJS8_SA_EEENS0_18inequality_wrapperIZN2at6native12_GLOBAL__N_124unique_dim_cuda_templateIhEESt5tupleIJNSF_6TensorESK_SK_EERKSK_lbbbEUlllE0_EEPmJS9_EEE10hipError_tPvRmT3_T4_T5_T6_T7_T9_mT8_P12ihipStream_tbDpT10_ENKUlT_T0_E_clISt17integral_constantIbLb1EES1A_EEDaS15_S16_EUlS15_E_NS1_11comp_targetILNS1_3genE3ELNS1_11target_archE908ELNS1_3gpuE7ELNS1_3repE0EEENS1_30default_config_static_selectorELNS0_4arch9wavefront6targetE0EEEvT1_,comdat
	.globl	_ZN7rocprim17ROCPRIM_400000_NS6detail17trampoline_kernelINS0_14default_configENS1_25partition_config_selectorILNS1_17partition_subalgoE9EllbEEZZNS1_14partition_implILS5_9ELb0ES3_jPlS8_PNS0_10empty_typeENS0_5tupleIJS8_S9_EEENSB_IJS8_SA_EEENS0_18inequality_wrapperIZN2at6native12_GLOBAL__N_124unique_dim_cuda_templateIhEESt5tupleIJNSF_6TensorESK_SK_EERKSK_lbbbEUlllE0_EEPmJS9_EEE10hipError_tPvRmT3_T4_T5_T6_T7_T9_mT8_P12ihipStream_tbDpT10_ENKUlT_T0_E_clISt17integral_constantIbLb1EES1A_EEDaS15_S16_EUlS15_E_NS1_11comp_targetILNS1_3genE3ELNS1_11target_archE908ELNS1_3gpuE7ELNS1_3repE0EEENS1_30default_config_static_selectorELNS0_4arch9wavefront6targetE0EEEvT1_ ; -- Begin function _ZN7rocprim17ROCPRIM_400000_NS6detail17trampoline_kernelINS0_14default_configENS1_25partition_config_selectorILNS1_17partition_subalgoE9EllbEEZZNS1_14partition_implILS5_9ELb0ES3_jPlS8_PNS0_10empty_typeENS0_5tupleIJS8_S9_EEENSB_IJS8_SA_EEENS0_18inequality_wrapperIZN2at6native12_GLOBAL__N_124unique_dim_cuda_templateIhEESt5tupleIJNSF_6TensorESK_SK_EERKSK_lbbbEUlllE0_EEPmJS9_EEE10hipError_tPvRmT3_T4_T5_T6_T7_T9_mT8_P12ihipStream_tbDpT10_ENKUlT_T0_E_clISt17integral_constantIbLb1EES1A_EEDaS15_S16_EUlS15_E_NS1_11comp_targetILNS1_3genE3ELNS1_11target_archE908ELNS1_3gpuE7ELNS1_3repE0EEENS1_30default_config_static_selectorELNS0_4arch9wavefront6targetE0EEEvT1_
	.p2align	8
	.type	_ZN7rocprim17ROCPRIM_400000_NS6detail17trampoline_kernelINS0_14default_configENS1_25partition_config_selectorILNS1_17partition_subalgoE9EllbEEZZNS1_14partition_implILS5_9ELb0ES3_jPlS8_PNS0_10empty_typeENS0_5tupleIJS8_S9_EEENSB_IJS8_SA_EEENS0_18inequality_wrapperIZN2at6native12_GLOBAL__N_124unique_dim_cuda_templateIhEESt5tupleIJNSF_6TensorESK_SK_EERKSK_lbbbEUlllE0_EEPmJS9_EEE10hipError_tPvRmT3_T4_T5_T6_T7_T9_mT8_P12ihipStream_tbDpT10_ENKUlT_T0_E_clISt17integral_constantIbLb1EES1A_EEDaS15_S16_EUlS15_E_NS1_11comp_targetILNS1_3genE3ELNS1_11target_archE908ELNS1_3gpuE7ELNS1_3repE0EEENS1_30default_config_static_selectorELNS0_4arch9wavefront6targetE0EEEvT1_,@function
_ZN7rocprim17ROCPRIM_400000_NS6detail17trampoline_kernelINS0_14default_configENS1_25partition_config_selectorILNS1_17partition_subalgoE9EllbEEZZNS1_14partition_implILS5_9ELb0ES3_jPlS8_PNS0_10empty_typeENS0_5tupleIJS8_S9_EEENSB_IJS8_SA_EEENS0_18inequality_wrapperIZN2at6native12_GLOBAL__N_124unique_dim_cuda_templateIhEESt5tupleIJNSF_6TensorESK_SK_EERKSK_lbbbEUlllE0_EEPmJS9_EEE10hipError_tPvRmT3_T4_T5_T6_T7_T9_mT8_P12ihipStream_tbDpT10_ENKUlT_T0_E_clISt17integral_constantIbLb1EES1A_EEDaS15_S16_EUlS15_E_NS1_11comp_targetILNS1_3genE3ELNS1_11target_archE908ELNS1_3gpuE7ELNS1_3repE0EEENS1_30default_config_static_selectorELNS0_4arch9wavefront6targetE0EEEvT1_: ; @_ZN7rocprim17ROCPRIM_400000_NS6detail17trampoline_kernelINS0_14default_configENS1_25partition_config_selectorILNS1_17partition_subalgoE9EllbEEZZNS1_14partition_implILS5_9ELb0ES3_jPlS8_PNS0_10empty_typeENS0_5tupleIJS8_S9_EEENSB_IJS8_SA_EEENS0_18inequality_wrapperIZN2at6native12_GLOBAL__N_124unique_dim_cuda_templateIhEESt5tupleIJNSF_6TensorESK_SK_EERKSK_lbbbEUlllE0_EEPmJS9_EEE10hipError_tPvRmT3_T4_T5_T6_T7_T9_mT8_P12ihipStream_tbDpT10_ENKUlT_T0_E_clISt17integral_constantIbLb1EES1A_EEDaS15_S16_EUlS15_E_NS1_11comp_targetILNS1_3genE3ELNS1_11target_archE908ELNS1_3gpuE7ELNS1_3repE0EEENS1_30default_config_static_selectorELNS0_4arch9wavefront6targetE0EEEvT1_
; %bb.0:
	.section	.rodata,"a",@progbits
	.p2align	6, 0x0
	.amdhsa_kernel _ZN7rocprim17ROCPRIM_400000_NS6detail17trampoline_kernelINS0_14default_configENS1_25partition_config_selectorILNS1_17partition_subalgoE9EllbEEZZNS1_14partition_implILS5_9ELb0ES3_jPlS8_PNS0_10empty_typeENS0_5tupleIJS8_S9_EEENSB_IJS8_SA_EEENS0_18inequality_wrapperIZN2at6native12_GLOBAL__N_124unique_dim_cuda_templateIhEESt5tupleIJNSF_6TensorESK_SK_EERKSK_lbbbEUlllE0_EEPmJS9_EEE10hipError_tPvRmT3_T4_T5_T6_T7_T9_mT8_P12ihipStream_tbDpT10_ENKUlT_T0_E_clISt17integral_constantIbLb1EES1A_EEDaS15_S16_EUlS15_E_NS1_11comp_targetILNS1_3genE3ELNS1_11target_archE908ELNS1_3gpuE7ELNS1_3repE0EEENS1_30default_config_static_selectorELNS0_4arch9wavefront6targetE0EEEvT1_
		.amdhsa_group_segment_fixed_size 0
		.amdhsa_private_segment_fixed_size 0
		.amdhsa_kernarg_size 136
		.amdhsa_user_sgpr_count 15
		.amdhsa_user_sgpr_dispatch_ptr 0
		.amdhsa_user_sgpr_queue_ptr 0
		.amdhsa_user_sgpr_kernarg_segment_ptr 1
		.amdhsa_user_sgpr_dispatch_id 0
		.amdhsa_user_sgpr_private_segment_size 0
		.amdhsa_wavefront_size32 1
		.amdhsa_uses_dynamic_stack 0
		.amdhsa_enable_private_segment 0
		.amdhsa_system_sgpr_workgroup_id_x 1
		.amdhsa_system_sgpr_workgroup_id_y 0
		.amdhsa_system_sgpr_workgroup_id_z 0
		.amdhsa_system_sgpr_workgroup_info 0
		.amdhsa_system_vgpr_workitem_id 0
		.amdhsa_next_free_vgpr 1
		.amdhsa_next_free_sgpr 1
		.amdhsa_reserve_vcc 0
		.amdhsa_float_round_mode_32 0
		.amdhsa_float_round_mode_16_64 0
		.amdhsa_float_denorm_mode_32 3
		.amdhsa_float_denorm_mode_16_64 3
		.amdhsa_dx10_clamp 1
		.amdhsa_ieee_mode 1
		.amdhsa_fp16_overflow 0
		.amdhsa_workgroup_processor_mode 1
		.amdhsa_memory_ordered 1
		.amdhsa_forward_progress 0
		.amdhsa_shared_vgpr_count 0
		.amdhsa_exception_fp_ieee_invalid_op 0
		.amdhsa_exception_fp_denorm_src 0
		.amdhsa_exception_fp_ieee_div_zero 0
		.amdhsa_exception_fp_ieee_overflow 0
		.amdhsa_exception_fp_ieee_underflow 0
		.amdhsa_exception_fp_ieee_inexact 0
		.amdhsa_exception_int_div_zero 0
	.end_amdhsa_kernel
	.section	.text._ZN7rocprim17ROCPRIM_400000_NS6detail17trampoline_kernelINS0_14default_configENS1_25partition_config_selectorILNS1_17partition_subalgoE9EllbEEZZNS1_14partition_implILS5_9ELb0ES3_jPlS8_PNS0_10empty_typeENS0_5tupleIJS8_S9_EEENSB_IJS8_SA_EEENS0_18inequality_wrapperIZN2at6native12_GLOBAL__N_124unique_dim_cuda_templateIhEESt5tupleIJNSF_6TensorESK_SK_EERKSK_lbbbEUlllE0_EEPmJS9_EEE10hipError_tPvRmT3_T4_T5_T6_T7_T9_mT8_P12ihipStream_tbDpT10_ENKUlT_T0_E_clISt17integral_constantIbLb1EES1A_EEDaS15_S16_EUlS15_E_NS1_11comp_targetILNS1_3genE3ELNS1_11target_archE908ELNS1_3gpuE7ELNS1_3repE0EEENS1_30default_config_static_selectorELNS0_4arch9wavefront6targetE0EEEvT1_,"axG",@progbits,_ZN7rocprim17ROCPRIM_400000_NS6detail17trampoline_kernelINS0_14default_configENS1_25partition_config_selectorILNS1_17partition_subalgoE9EllbEEZZNS1_14partition_implILS5_9ELb0ES3_jPlS8_PNS0_10empty_typeENS0_5tupleIJS8_S9_EEENSB_IJS8_SA_EEENS0_18inequality_wrapperIZN2at6native12_GLOBAL__N_124unique_dim_cuda_templateIhEESt5tupleIJNSF_6TensorESK_SK_EERKSK_lbbbEUlllE0_EEPmJS9_EEE10hipError_tPvRmT3_T4_T5_T6_T7_T9_mT8_P12ihipStream_tbDpT10_ENKUlT_T0_E_clISt17integral_constantIbLb1EES1A_EEDaS15_S16_EUlS15_E_NS1_11comp_targetILNS1_3genE3ELNS1_11target_archE908ELNS1_3gpuE7ELNS1_3repE0EEENS1_30default_config_static_selectorELNS0_4arch9wavefront6targetE0EEEvT1_,comdat
.Lfunc_end215:
	.size	_ZN7rocprim17ROCPRIM_400000_NS6detail17trampoline_kernelINS0_14default_configENS1_25partition_config_selectorILNS1_17partition_subalgoE9EllbEEZZNS1_14partition_implILS5_9ELb0ES3_jPlS8_PNS0_10empty_typeENS0_5tupleIJS8_S9_EEENSB_IJS8_SA_EEENS0_18inequality_wrapperIZN2at6native12_GLOBAL__N_124unique_dim_cuda_templateIhEESt5tupleIJNSF_6TensorESK_SK_EERKSK_lbbbEUlllE0_EEPmJS9_EEE10hipError_tPvRmT3_T4_T5_T6_T7_T9_mT8_P12ihipStream_tbDpT10_ENKUlT_T0_E_clISt17integral_constantIbLb1EES1A_EEDaS15_S16_EUlS15_E_NS1_11comp_targetILNS1_3genE3ELNS1_11target_archE908ELNS1_3gpuE7ELNS1_3repE0EEENS1_30default_config_static_selectorELNS0_4arch9wavefront6targetE0EEEvT1_, .Lfunc_end215-_ZN7rocprim17ROCPRIM_400000_NS6detail17trampoline_kernelINS0_14default_configENS1_25partition_config_selectorILNS1_17partition_subalgoE9EllbEEZZNS1_14partition_implILS5_9ELb0ES3_jPlS8_PNS0_10empty_typeENS0_5tupleIJS8_S9_EEENSB_IJS8_SA_EEENS0_18inequality_wrapperIZN2at6native12_GLOBAL__N_124unique_dim_cuda_templateIhEESt5tupleIJNSF_6TensorESK_SK_EERKSK_lbbbEUlllE0_EEPmJS9_EEE10hipError_tPvRmT3_T4_T5_T6_T7_T9_mT8_P12ihipStream_tbDpT10_ENKUlT_T0_E_clISt17integral_constantIbLb1EES1A_EEDaS15_S16_EUlS15_E_NS1_11comp_targetILNS1_3genE3ELNS1_11target_archE908ELNS1_3gpuE7ELNS1_3repE0EEENS1_30default_config_static_selectorELNS0_4arch9wavefront6targetE0EEEvT1_
                                        ; -- End function
	.section	.AMDGPU.csdata,"",@progbits
; Kernel info:
; codeLenInByte = 0
; NumSgprs: 0
; NumVgprs: 0
; ScratchSize: 0
; MemoryBound: 0
; FloatMode: 240
; IeeeMode: 1
; LDSByteSize: 0 bytes/workgroup (compile time only)
; SGPRBlocks: 0
; VGPRBlocks: 0
; NumSGPRsForWavesPerEU: 1
; NumVGPRsForWavesPerEU: 1
; Occupancy: 16
; WaveLimiterHint : 0
; COMPUTE_PGM_RSRC2:SCRATCH_EN: 0
; COMPUTE_PGM_RSRC2:USER_SGPR: 15
; COMPUTE_PGM_RSRC2:TRAP_HANDLER: 0
; COMPUTE_PGM_RSRC2:TGID_X_EN: 1
; COMPUTE_PGM_RSRC2:TGID_Y_EN: 0
; COMPUTE_PGM_RSRC2:TGID_Z_EN: 0
; COMPUTE_PGM_RSRC2:TIDIG_COMP_CNT: 0
	.section	.text._ZN7rocprim17ROCPRIM_400000_NS6detail17trampoline_kernelINS0_14default_configENS1_25partition_config_selectorILNS1_17partition_subalgoE9EllbEEZZNS1_14partition_implILS5_9ELb0ES3_jPlS8_PNS0_10empty_typeENS0_5tupleIJS8_S9_EEENSB_IJS8_SA_EEENS0_18inequality_wrapperIZN2at6native12_GLOBAL__N_124unique_dim_cuda_templateIhEESt5tupleIJNSF_6TensorESK_SK_EERKSK_lbbbEUlllE0_EEPmJS9_EEE10hipError_tPvRmT3_T4_T5_T6_T7_T9_mT8_P12ihipStream_tbDpT10_ENKUlT_T0_E_clISt17integral_constantIbLb1EES1A_EEDaS15_S16_EUlS15_E_NS1_11comp_targetILNS1_3genE2ELNS1_11target_archE906ELNS1_3gpuE6ELNS1_3repE0EEENS1_30default_config_static_selectorELNS0_4arch9wavefront6targetE0EEEvT1_,"axG",@progbits,_ZN7rocprim17ROCPRIM_400000_NS6detail17trampoline_kernelINS0_14default_configENS1_25partition_config_selectorILNS1_17partition_subalgoE9EllbEEZZNS1_14partition_implILS5_9ELb0ES3_jPlS8_PNS0_10empty_typeENS0_5tupleIJS8_S9_EEENSB_IJS8_SA_EEENS0_18inequality_wrapperIZN2at6native12_GLOBAL__N_124unique_dim_cuda_templateIhEESt5tupleIJNSF_6TensorESK_SK_EERKSK_lbbbEUlllE0_EEPmJS9_EEE10hipError_tPvRmT3_T4_T5_T6_T7_T9_mT8_P12ihipStream_tbDpT10_ENKUlT_T0_E_clISt17integral_constantIbLb1EES1A_EEDaS15_S16_EUlS15_E_NS1_11comp_targetILNS1_3genE2ELNS1_11target_archE906ELNS1_3gpuE6ELNS1_3repE0EEENS1_30default_config_static_selectorELNS0_4arch9wavefront6targetE0EEEvT1_,comdat
	.globl	_ZN7rocprim17ROCPRIM_400000_NS6detail17trampoline_kernelINS0_14default_configENS1_25partition_config_selectorILNS1_17partition_subalgoE9EllbEEZZNS1_14partition_implILS5_9ELb0ES3_jPlS8_PNS0_10empty_typeENS0_5tupleIJS8_S9_EEENSB_IJS8_SA_EEENS0_18inequality_wrapperIZN2at6native12_GLOBAL__N_124unique_dim_cuda_templateIhEESt5tupleIJNSF_6TensorESK_SK_EERKSK_lbbbEUlllE0_EEPmJS9_EEE10hipError_tPvRmT3_T4_T5_T6_T7_T9_mT8_P12ihipStream_tbDpT10_ENKUlT_T0_E_clISt17integral_constantIbLb1EES1A_EEDaS15_S16_EUlS15_E_NS1_11comp_targetILNS1_3genE2ELNS1_11target_archE906ELNS1_3gpuE6ELNS1_3repE0EEENS1_30default_config_static_selectorELNS0_4arch9wavefront6targetE0EEEvT1_ ; -- Begin function _ZN7rocprim17ROCPRIM_400000_NS6detail17trampoline_kernelINS0_14default_configENS1_25partition_config_selectorILNS1_17partition_subalgoE9EllbEEZZNS1_14partition_implILS5_9ELb0ES3_jPlS8_PNS0_10empty_typeENS0_5tupleIJS8_S9_EEENSB_IJS8_SA_EEENS0_18inequality_wrapperIZN2at6native12_GLOBAL__N_124unique_dim_cuda_templateIhEESt5tupleIJNSF_6TensorESK_SK_EERKSK_lbbbEUlllE0_EEPmJS9_EEE10hipError_tPvRmT3_T4_T5_T6_T7_T9_mT8_P12ihipStream_tbDpT10_ENKUlT_T0_E_clISt17integral_constantIbLb1EES1A_EEDaS15_S16_EUlS15_E_NS1_11comp_targetILNS1_3genE2ELNS1_11target_archE906ELNS1_3gpuE6ELNS1_3repE0EEENS1_30default_config_static_selectorELNS0_4arch9wavefront6targetE0EEEvT1_
	.p2align	8
	.type	_ZN7rocprim17ROCPRIM_400000_NS6detail17trampoline_kernelINS0_14default_configENS1_25partition_config_selectorILNS1_17partition_subalgoE9EllbEEZZNS1_14partition_implILS5_9ELb0ES3_jPlS8_PNS0_10empty_typeENS0_5tupleIJS8_S9_EEENSB_IJS8_SA_EEENS0_18inequality_wrapperIZN2at6native12_GLOBAL__N_124unique_dim_cuda_templateIhEESt5tupleIJNSF_6TensorESK_SK_EERKSK_lbbbEUlllE0_EEPmJS9_EEE10hipError_tPvRmT3_T4_T5_T6_T7_T9_mT8_P12ihipStream_tbDpT10_ENKUlT_T0_E_clISt17integral_constantIbLb1EES1A_EEDaS15_S16_EUlS15_E_NS1_11comp_targetILNS1_3genE2ELNS1_11target_archE906ELNS1_3gpuE6ELNS1_3repE0EEENS1_30default_config_static_selectorELNS0_4arch9wavefront6targetE0EEEvT1_,@function
_ZN7rocprim17ROCPRIM_400000_NS6detail17trampoline_kernelINS0_14default_configENS1_25partition_config_selectorILNS1_17partition_subalgoE9EllbEEZZNS1_14partition_implILS5_9ELb0ES3_jPlS8_PNS0_10empty_typeENS0_5tupleIJS8_S9_EEENSB_IJS8_SA_EEENS0_18inequality_wrapperIZN2at6native12_GLOBAL__N_124unique_dim_cuda_templateIhEESt5tupleIJNSF_6TensorESK_SK_EERKSK_lbbbEUlllE0_EEPmJS9_EEE10hipError_tPvRmT3_T4_T5_T6_T7_T9_mT8_P12ihipStream_tbDpT10_ENKUlT_T0_E_clISt17integral_constantIbLb1EES1A_EEDaS15_S16_EUlS15_E_NS1_11comp_targetILNS1_3genE2ELNS1_11target_archE906ELNS1_3gpuE6ELNS1_3repE0EEENS1_30default_config_static_selectorELNS0_4arch9wavefront6targetE0EEEvT1_: ; @_ZN7rocprim17ROCPRIM_400000_NS6detail17trampoline_kernelINS0_14default_configENS1_25partition_config_selectorILNS1_17partition_subalgoE9EllbEEZZNS1_14partition_implILS5_9ELb0ES3_jPlS8_PNS0_10empty_typeENS0_5tupleIJS8_S9_EEENSB_IJS8_SA_EEENS0_18inequality_wrapperIZN2at6native12_GLOBAL__N_124unique_dim_cuda_templateIhEESt5tupleIJNSF_6TensorESK_SK_EERKSK_lbbbEUlllE0_EEPmJS9_EEE10hipError_tPvRmT3_T4_T5_T6_T7_T9_mT8_P12ihipStream_tbDpT10_ENKUlT_T0_E_clISt17integral_constantIbLb1EES1A_EEDaS15_S16_EUlS15_E_NS1_11comp_targetILNS1_3genE2ELNS1_11target_archE906ELNS1_3gpuE6ELNS1_3repE0EEENS1_30default_config_static_selectorELNS0_4arch9wavefront6targetE0EEEvT1_
; %bb.0:
	.section	.rodata,"a",@progbits
	.p2align	6, 0x0
	.amdhsa_kernel _ZN7rocprim17ROCPRIM_400000_NS6detail17trampoline_kernelINS0_14default_configENS1_25partition_config_selectorILNS1_17partition_subalgoE9EllbEEZZNS1_14partition_implILS5_9ELb0ES3_jPlS8_PNS0_10empty_typeENS0_5tupleIJS8_S9_EEENSB_IJS8_SA_EEENS0_18inequality_wrapperIZN2at6native12_GLOBAL__N_124unique_dim_cuda_templateIhEESt5tupleIJNSF_6TensorESK_SK_EERKSK_lbbbEUlllE0_EEPmJS9_EEE10hipError_tPvRmT3_T4_T5_T6_T7_T9_mT8_P12ihipStream_tbDpT10_ENKUlT_T0_E_clISt17integral_constantIbLb1EES1A_EEDaS15_S16_EUlS15_E_NS1_11comp_targetILNS1_3genE2ELNS1_11target_archE906ELNS1_3gpuE6ELNS1_3repE0EEENS1_30default_config_static_selectorELNS0_4arch9wavefront6targetE0EEEvT1_
		.amdhsa_group_segment_fixed_size 0
		.amdhsa_private_segment_fixed_size 0
		.amdhsa_kernarg_size 136
		.amdhsa_user_sgpr_count 15
		.amdhsa_user_sgpr_dispatch_ptr 0
		.amdhsa_user_sgpr_queue_ptr 0
		.amdhsa_user_sgpr_kernarg_segment_ptr 1
		.amdhsa_user_sgpr_dispatch_id 0
		.amdhsa_user_sgpr_private_segment_size 0
		.amdhsa_wavefront_size32 1
		.amdhsa_uses_dynamic_stack 0
		.amdhsa_enable_private_segment 0
		.amdhsa_system_sgpr_workgroup_id_x 1
		.amdhsa_system_sgpr_workgroup_id_y 0
		.amdhsa_system_sgpr_workgroup_id_z 0
		.amdhsa_system_sgpr_workgroup_info 0
		.amdhsa_system_vgpr_workitem_id 0
		.amdhsa_next_free_vgpr 1
		.amdhsa_next_free_sgpr 1
		.amdhsa_reserve_vcc 0
		.amdhsa_float_round_mode_32 0
		.amdhsa_float_round_mode_16_64 0
		.amdhsa_float_denorm_mode_32 3
		.amdhsa_float_denorm_mode_16_64 3
		.amdhsa_dx10_clamp 1
		.amdhsa_ieee_mode 1
		.amdhsa_fp16_overflow 0
		.amdhsa_workgroup_processor_mode 1
		.amdhsa_memory_ordered 1
		.amdhsa_forward_progress 0
		.amdhsa_shared_vgpr_count 0
		.amdhsa_exception_fp_ieee_invalid_op 0
		.amdhsa_exception_fp_denorm_src 0
		.amdhsa_exception_fp_ieee_div_zero 0
		.amdhsa_exception_fp_ieee_overflow 0
		.amdhsa_exception_fp_ieee_underflow 0
		.amdhsa_exception_fp_ieee_inexact 0
		.amdhsa_exception_int_div_zero 0
	.end_amdhsa_kernel
	.section	.text._ZN7rocprim17ROCPRIM_400000_NS6detail17trampoline_kernelINS0_14default_configENS1_25partition_config_selectorILNS1_17partition_subalgoE9EllbEEZZNS1_14partition_implILS5_9ELb0ES3_jPlS8_PNS0_10empty_typeENS0_5tupleIJS8_S9_EEENSB_IJS8_SA_EEENS0_18inequality_wrapperIZN2at6native12_GLOBAL__N_124unique_dim_cuda_templateIhEESt5tupleIJNSF_6TensorESK_SK_EERKSK_lbbbEUlllE0_EEPmJS9_EEE10hipError_tPvRmT3_T4_T5_T6_T7_T9_mT8_P12ihipStream_tbDpT10_ENKUlT_T0_E_clISt17integral_constantIbLb1EES1A_EEDaS15_S16_EUlS15_E_NS1_11comp_targetILNS1_3genE2ELNS1_11target_archE906ELNS1_3gpuE6ELNS1_3repE0EEENS1_30default_config_static_selectorELNS0_4arch9wavefront6targetE0EEEvT1_,"axG",@progbits,_ZN7rocprim17ROCPRIM_400000_NS6detail17trampoline_kernelINS0_14default_configENS1_25partition_config_selectorILNS1_17partition_subalgoE9EllbEEZZNS1_14partition_implILS5_9ELb0ES3_jPlS8_PNS0_10empty_typeENS0_5tupleIJS8_S9_EEENSB_IJS8_SA_EEENS0_18inequality_wrapperIZN2at6native12_GLOBAL__N_124unique_dim_cuda_templateIhEESt5tupleIJNSF_6TensorESK_SK_EERKSK_lbbbEUlllE0_EEPmJS9_EEE10hipError_tPvRmT3_T4_T5_T6_T7_T9_mT8_P12ihipStream_tbDpT10_ENKUlT_T0_E_clISt17integral_constantIbLb1EES1A_EEDaS15_S16_EUlS15_E_NS1_11comp_targetILNS1_3genE2ELNS1_11target_archE906ELNS1_3gpuE6ELNS1_3repE0EEENS1_30default_config_static_selectorELNS0_4arch9wavefront6targetE0EEEvT1_,comdat
.Lfunc_end216:
	.size	_ZN7rocprim17ROCPRIM_400000_NS6detail17trampoline_kernelINS0_14default_configENS1_25partition_config_selectorILNS1_17partition_subalgoE9EllbEEZZNS1_14partition_implILS5_9ELb0ES3_jPlS8_PNS0_10empty_typeENS0_5tupleIJS8_S9_EEENSB_IJS8_SA_EEENS0_18inequality_wrapperIZN2at6native12_GLOBAL__N_124unique_dim_cuda_templateIhEESt5tupleIJNSF_6TensorESK_SK_EERKSK_lbbbEUlllE0_EEPmJS9_EEE10hipError_tPvRmT3_T4_T5_T6_T7_T9_mT8_P12ihipStream_tbDpT10_ENKUlT_T0_E_clISt17integral_constantIbLb1EES1A_EEDaS15_S16_EUlS15_E_NS1_11comp_targetILNS1_3genE2ELNS1_11target_archE906ELNS1_3gpuE6ELNS1_3repE0EEENS1_30default_config_static_selectorELNS0_4arch9wavefront6targetE0EEEvT1_, .Lfunc_end216-_ZN7rocprim17ROCPRIM_400000_NS6detail17trampoline_kernelINS0_14default_configENS1_25partition_config_selectorILNS1_17partition_subalgoE9EllbEEZZNS1_14partition_implILS5_9ELb0ES3_jPlS8_PNS0_10empty_typeENS0_5tupleIJS8_S9_EEENSB_IJS8_SA_EEENS0_18inequality_wrapperIZN2at6native12_GLOBAL__N_124unique_dim_cuda_templateIhEESt5tupleIJNSF_6TensorESK_SK_EERKSK_lbbbEUlllE0_EEPmJS9_EEE10hipError_tPvRmT3_T4_T5_T6_T7_T9_mT8_P12ihipStream_tbDpT10_ENKUlT_T0_E_clISt17integral_constantIbLb1EES1A_EEDaS15_S16_EUlS15_E_NS1_11comp_targetILNS1_3genE2ELNS1_11target_archE906ELNS1_3gpuE6ELNS1_3repE0EEENS1_30default_config_static_selectorELNS0_4arch9wavefront6targetE0EEEvT1_
                                        ; -- End function
	.section	.AMDGPU.csdata,"",@progbits
; Kernel info:
; codeLenInByte = 0
; NumSgprs: 0
; NumVgprs: 0
; ScratchSize: 0
; MemoryBound: 0
; FloatMode: 240
; IeeeMode: 1
; LDSByteSize: 0 bytes/workgroup (compile time only)
; SGPRBlocks: 0
; VGPRBlocks: 0
; NumSGPRsForWavesPerEU: 1
; NumVGPRsForWavesPerEU: 1
; Occupancy: 15
; WaveLimiterHint : 0
; COMPUTE_PGM_RSRC2:SCRATCH_EN: 0
; COMPUTE_PGM_RSRC2:USER_SGPR: 15
; COMPUTE_PGM_RSRC2:TRAP_HANDLER: 0
; COMPUTE_PGM_RSRC2:TGID_X_EN: 1
; COMPUTE_PGM_RSRC2:TGID_Y_EN: 0
; COMPUTE_PGM_RSRC2:TGID_Z_EN: 0
; COMPUTE_PGM_RSRC2:TIDIG_COMP_CNT: 0
	.section	.text._ZN7rocprim17ROCPRIM_400000_NS6detail17trampoline_kernelINS0_14default_configENS1_25partition_config_selectorILNS1_17partition_subalgoE9EllbEEZZNS1_14partition_implILS5_9ELb0ES3_jPlS8_PNS0_10empty_typeENS0_5tupleIJS8_S9_EEENSB_IJS8_SA_EEENS0_18inequality_wrapperIZN2at6native12_GLOBAL__N_124unique_dim_cuda_templateIhEESt5tupleIJNSF_6TensorESK_SK_EERKSK_lbbbEUlllE0_EEPmJS9_EEE10hipError_tPvRmT3_T4_T5_T6_T7_T9_mT8_P12ihipStream_tbDpT10_ENKUlT_T0_E_clISt17integral_constantIbLb1EES1A_EEDaS15_S16_EUlS15_E_NS1_11comp_targetILNS1_3genE10ELNS1_11target_archE1200ELNS1_3gpuE4ELNS1_3repE0EEENS1_30default_config_static_selectorELNS0_4arch9wavefront6targetE0EEEvT1_,"axG",@progbits,_ZN7rocprim17ROCPRIM_400000_NS6detail17trampoline_kernelINS0_14default_configENS1_25partition_config_selectorILNS1_17partition_subalgoE9EllbEEZZNS1_14partition_implILS5_9ELb0ES3_jPlS8_PNS0_10empty_typeENS0_5tupleIJS8_S9_EEENSB_IJS8_SA_EEENS0_18inequality_wrapperIZN2at6native12_GLOBAL__N_124unique_dim_cuda_templateIhEESt5tupleIJNSF_6TensorESK_SK_EERKSK_lbbbEUlllE0_EEPmJS9_EEE10hipError_tPvRmT3_T4_T5_T6_T7_T9_mT8_P12ihipStream_tbDpT10_ENKUlT_T0_E_clISt17integral_constantIbLb1EES1A_EEDaS15_S16_EUlS15_E_NS1_11comp_targetILNS1_3genE10ELNS1_11target_archE1200ELNS1_3gpuE4ELNS1_3repE0EEENS1_30default_config_static_selectorELNS0_4arch9wavefront6targetE0EEEvT1_,comdat
	.globl	_ZN7rocprim17ROCPRIM_400000_NS6detail17trampoline_kernelINS0_14default_configENS1_25partition_config_selectorILNS1_17partition_subalgoE9EllbEEZZNS1_14partition_implILS5_9ELb0ES3_jPlS8_PNS0_10empty_typeENS0_5tupleIJS8_S9_EEENSB_IJS8_SA_EEENS0_18inequality_wrapperIZN2at6native12_GLOBAL__N_124unique_dim_cuda_templateIhEESt5tupleIJNSF_6TensorESK_SK_EERKSK_lbbbEUlllE0_EEPmJS9_EEE10hipError_tPvRmT3_T4_T5_T6_T7_T9_mT8_P12ihipStream_tbDpT10_ENKUlT_T0_E_clISt17integral_constantIbLb1EES1A_EEDaS15_S16_EUlS15_E_NS1_11comp_targetILNS1_3genE10ELNS1_11target_archE1200ELNS1_3gpuE4ELNS1_3repE0EEENS1_30default_config_static_selectorELNS0_4arch9wavefront6targetE0EEEvT1_ ; -- Begin function _ZN7rocprim17ROCPRIM_400000_NS6detail17trampoline_kernelINS0_14default_configENS1_25partition_config_selectorILNS1_17partition_subalgoE9EllbEEZZNS1_14partition_implILS5_9ELb0ES3_jPlS8_PNS0_10empty_typeENS0_5tupleIJS8_S9_EEENSB_IJS8_SA_EEENS0_18inequality_wrapperIZN2at6native12_GLOBAL__N_124unique_dim_cuda_templateIhEESt5tupleIJNSF_6TensorESK_SK_EERKSK_lbbbEUlllE0_EEPmJS9_EEE10hipError_tPvRmT3_T4_T5_T6_T7_T9_mT8_P12ihipStream_tbDpT10_ENKUlT_T0_E_clISt17integral_constantIbLb1EES1A_EEDaS15_S16_EUlS15_E_NS1_11comp_targetILNS1_3genE10ELNS1_11target_archE1200ELNS1_3gpuE4ELNS1_3repE0EEENS1_30default_config_static_selectorELNS0_4arch9wavefront6targetE0EEEvT1_
	.p2align	8
	.type	_ZN7rocprim17ROCPRIM_400000_NS6detail17trampoline_kernelINS0_14default_configENS1_25partition_config_selectorILNS1_17partition_subalgoE9EllbEEZZNS1_14partition_implILS5_9ELb0ES3_jPlS8_PNS0_10empty_typeENS0_5tupleIJS8_S9_EEENSB_IJS8_SA_EEENS0_18inequality_wrapperIZN2at6native12_GLOBAL__N_124unique_dim_cuda_templateIhEESt5tupleIJNSF_6TensorESK_SK_EERKSK_lbbbEUlllE0_EEPmJS9_EEE10hipError_tPvRmT3_T4_T5_T6_T7_T9_mT8_P12ihipStream_tbDpT10_ENKUlT_T0_E_clISt17integral_constantIbLb1EES1A_EEDaS15_S16_EUlS15_E_NS1_11comp_targetILNS1_3genE10ELNS1_11target_archE1200ELNS1_3gpuE4ELNS1_3repE0EEENS1_30default_config_static_selectorELNS0_4arch9wavefront6targetE0EEEvT1_,@function
_ZN7rocprim17ROCPRIM_400000_NS6detail17trampoline_kernelINS0_14default_configENS1_25partition_config_selectorILNS1_17partition_subalgoE9EllbEEZZNS1_14partition_implILS5_9ELb0ES3_jPlS8_PNS0_10empty_typeENS0_5tupleIJS8_S9_EEENSB_IJS8_SA_EEENS0_18inequality_wrapperIZN2at6native12_GLOBAL__N_124unique_dim_cuda_templateIhEESt5tupleIJNSF_6TensorESK_SK_EERKSK_lbbbEUlllE0_EEPmJS9_EEE10hipError_tPvRmT3_T4_T5_T6_T7_T9_mT8_P12ihipStream_tbDpT10_ENKUlT_T0_E_clISt17integral_constantIbLb1EES1A_EEDaS15_S16_EUlS15_E_NS1_11comp_targetILNS1_3genE10ELNS1_11target_archE1200ELNS1_3gpuE4ELNS1_3repE0EEENS1_30default_config_static_selectorELNS0_4arch9wavefront6targetE0EEEvT1_: ; @_ZN7rocprim17ROCPRIM_400000_NS6detail17trampoline_kernelINS0_14default_configENS1_25partition_config_selectorILNS1_17partition_subalgoE9EllbEEZZNS1_14partition_implILS5_9ELb0ES3_jPlS8_PNS0_10empty_typeENS0_5tupleIJS8_S9_EEENSB_IJS8_SA_EEENS0_18inequality_wrapperIZN2at6native12_GLOBAL__N_124unique_dim_cuda_templateIhEESt5tupleIJNSF_6TensorESK_SK_EERKSK_lbbbEUlllE0_EEPmJS9_EEE10hipError_tPvRmT3_T4_T5_T6_T7_T9_mT8_P12ihipStream_tbDpT10_ENKUlT_T0_E_clISt17integral_constantIbLb1EES1A_EEDaS15_S16_EUlS15_E_NS1_11comp_targetILNS1_3genE10ELNS1_11target_archE1200ELNS1_3gpuE4ELNS1_3repE0EEENS1_30default_config_static_selectorELNS0_4arch9wavefront6targetE0EEEvT1_
; %bb.0:
	.section	.rodata,"a",@progbits
	.p2align	6, 0x0
	.amdhsa_kernel _ZN7rocprim17ROCPRIM_400000_NS6detail17trampoline_kernelINS0_14default_configENS1_25partition_config_selectorILNS1_17partition_subalgoE9EllbEEZZNS1_14partition_implILS5_9ELb0ES3_jPlS8_PNS0_10empty_typeENS0_5tupleIJS8_S9_EEENSB_IJS8_SA_EEENS0_18inequality_wrapperIZN2at6native12_GLOBAL__N_124unique_dim_cuda_templateIhEESt5tupleIJNSF_6TensorESK_SK_EERKSK_lbbbEUlllE0_EEPmJS9_EEE10hipError_tPvRmT3_T4_T5_T6_T7_T9_mT8_P12ihipStream_tbDpT10_ENKUlT_T0_E_clISt17integral_constantIbLb1EES1A_EEDaS15_S16_EUlS15_E_NS1_11comp_targetILNS1_3genE10ELNS1_11target_archE1200ELNS1_3gpuE4ELNS1_3repE0EEENS1_30default_config_static_selectorELNS0_4arch9wavefront6targetE0EEEvT1_
		.amdhsa_group_segment_fixed_size 0
		.amdhsa_private_segment_fixed_size 0
		.amdhsa_kernarg_size 136
		.amdhsa_user_sgpr_count 15
		.amdhsa_user_sgpr_dispatch_ptr 0
		.amdhsa_user_sgpr_queue_ptr 0
		.amdhsa_user_sgpr_kernarg_segment_ptr 1
		.amdhsa_user_sgpr_dispatch_id 0
		.amdhsa_user_sgpr_private_segment_size 0
		.amdhsa_wavefront_size32 1
		.amdhsa_uses_dynamic_stack 0
		.amdhsa_enable_private_segment 0
		.amdhsa_system_sgpr_workgroup_id_x 1
		.amdhsa_system_sgpr_workgroup_id_y 0
		.amdhsa_system_sgpr_workgroup_id_z 0
		.amdhsa_system_sgpr_workgroup_info 0
		.amdhsa_system_vgpr_workitem_id 0
		.amdhsa_next_free_vgpr 1
		.amdhsa_next_free_sgpr 1
		.amdhsa_reserve_vcc 0
		.amdhsa_float_round_mode_32 0
		.amdhsa_float_round_mode_16_64 0
		.amdhsa_float_denorm_mode_32 3
		.amdhsa_float_denorm_mode_16_64 3
		.amdhsa_dx10_clamp 1
		.amdhsa_ieee_mode 1
		.amdhsa_fp16_overflow 0
		.amdhsa_workgroup_processor_mode 1
		.amdhsa_memory_ordered 1
		.amdhsa_forward_progress 0
		.amdhsa_shared_vgpr_count 0
		.amdhsa_exception_fp_ieee_invalid_op 0
		.amdhsa_exception_fp_denorm_src 0
		.amdhsa_exception_fp_ieee_div_zero 0
		.amdhsa_exception_fp_ieee_overflow 0
		.amdhsa_exception_fp_ieee_underflow 0
		.amdhsa_exception_fp_ieee_inexact 0
		.amdhsa_exception_int_div_zero 0
	.end_amdhsa_kernel
	.section	.text._ZN7rocprim17ROCPRIM_400000_NS6detail17trampoline_kernelINS0_14default_configENS1_25partition_config_selectorILNS1_17partition_subalgoE9EllbEEZZNS1_14partition_implILS5_9ELb0ES3_jPlS8_PNS0_10empty_typeENS0_5tupleIJS8_S9_EEENSB_IJS8_SA_EEENS0_18inequality_wrapperIZN2at6native12_GLOBAL__N_124unique_dim_cuda_templateIhEESt5tupleIJNSF_6TensorESK_SK_EERKSK_lbbbEUlllE0_EEPmJS9_EEE10hipError_tPvRmT3_T4_T5_T6_T7_T9_mT8_P12ihipStream_tbDpT10_ENKUlT_T0_E_clISt17integral_constantIbLb1EES1A_EEDaS15_S16_EUlS15_E_NS1_11comp_targetILNS1_3genE10ELNS1_11target_archE1200ELNS1_3gpuE4ELNS1_3repE0EEENS1_30default_config_static_selectorELNS0_4arch9wavefront6targetE0EEEvT1_,"axG",@progbits,_ZN7rocprim17ROCPRIM_400000_NS6detail17trampoline_kernelINS0_14default_configENS1_25partition_config_selectorILNS1_17partition_subalgoE9EllbEEZZNS1_14partition_implILS5_9ELb0ES3_jPlS8_PNS0_10empty_typeENS0_5tupleIJS8_S9_EEENSB_IJS8_SA_EEENS0_18inequality_wrapperIZN2at6native12_GLOBAL__N_124unique_dim_cuda_templateIhEESt5tupleIJNSF_6TensorESK_SK_EERKSK_lbbbEUlllE0_EEPmJS9_EEE10hipError_tPvRmT3_T4_T5_T6_T7_T9_mT8_P12ihipStream_tbDpT10_ENKUlT_T0_E_clISt17integral_constantIbLb1EES1A_EEDaS15_S16_EUlS15_E_NS1_11comp_targetILNS1_3genE10ELNS1_11target_archE1200ELNS1_3gpuE4ELNS1_3repE0EEENS1_30default_config_static_selectorELNS0_4arch9wavefront6targetE0EEEvT1_,comdat
.Lfunc_end217:
	.size	_ZN7rocprim17ROCPRIM_400000_NS6detail17trampoline_kernelINS0_14default_configENS1_25partition_config_selectorILNS1_17partition_subalgoE9EllbEEZZNS1_14partition_implILS5_9ELb0ES3_jPlS8_PNS0_10empty_typeENS0_5tupleIJS8_S9_EEENSB_IJS8_SA_EEENS0_18inequality_wrapperIZN2at6native12_GLOBAL__N_124unique_dim_cuda_templateIhEESt5tupleIJNSF_6TensorESK_SK_EERKSK_lbbbEUlllE0_EEPmJS9_EEE10hipError_tPvRmT3_T4_T5_T6_T7_T9_mT8_P12ihipStream_tbDpT10_ENKUlT_T0_E_clISt17integral_constantIbLb1EES1A_EEDaS15_S16_EUlS15_E_NS1_11comp_targetILNS1_3genE10ELNS1_11target_archE1200ELNS1_3gpuE4ELNS1_3repE0EEENS1_30default_config_static_selectorELNS0_4arch9wavefront6targetE0EEEvT1_, .Lfunc_end217-_ZN7rocprim17ROCPRIM_400000_NS6detail17trampoline_kernelINS0_14default_configENS1_25partition_config_selectorILNS1_17partition_subalgoE9EllbEEZZNS1_14partition_implILS5_9ELb0ES3_jPlS8_PNS0_10empty_typeENS0_5tupleIJS8_S9_EEENSB_IJS8_SA_EEENS0_18inequality_wrapperIZN2at6native12_GLOBAL__N_124unique_dim_cuda_templateIhEESt5tupleIJNSF_6TensorESK_SK_EERKSK_lbbbEUlllE0_EEPmJS9_EEE10hipError_tPvRmT3_T4_T5_T6_T7_T9_mT8_P12ihipStream_tbDpT10_ENKUlT_T0_E_clISt17integral_constantIbLb1EES1A_EEDaS15_S16_EUlS15_E_NS1_11comp_targetILNS1_3genE10ELNS1_11target_archE1200ELNS1_3gpuE4ELNS1_3repE0EEENS1_30default_config_static_selectorELNS0_4arch9wavefront6targetE0EEEvT1_
                                        ; -- End function
	.section	.AMDGPU.csdata,"",@progbits
; Kernel info:
; codeLenInByte = 0
; NumSgprs: 0
; NumVgprs: 0
; ScratchSize: 0
; MemoryBound: 0
; FloatMode: 240
; IeeeMode: 1
; LDSByteSize: 0 bytes/workgroup (compile time only)
; SGPRBlocks: 0
; VGPRBlocks: 0
; NumSGPRsForWavesPerEU: 1
; NumVGPRsForWavesPerEU: 1
; Occupancy: 15
; WaveLimiterHint : 0
; COMPUTE_PGM_RSRC2:SCRATCH_EN: 0
; COMPUTE_PGM_RSRC2:USER_SGPR: 15
; COMPUTE_PGM_RSRC2:TRAP_HANDLER: 0
; COMPUTE_PGM_RSRC2:TGID_X_EN: 1
; COMPUTE_PGM_RSRC2:TGID_Y_EN: 0
; COMPUTE_PGM_RSRC2:TGID_Z_EN: 0
; COMPUTE_PGM_RSRC2:TIDIG_COMP_CNT: 0
	.section	.text._ZN7rocprim17ROCPRIM_400000_NS6detail17trampoline_kernelINS0_14default_configENS1_25partition_config_selectorILNS1_17partition_subalgoE9EllbEEZZNS1_14partition_implILS5_9ELb0ES3_jPlS8_PNS0_10empty_typeENS0_5tupleIJS8_S9_EEENSB_IJS8_SA_EEENS0_18inequality_wrapperIZN2at6native12_GLOBAL__N_124unique_dim_cuda_templateIhEESt5tupleIJNSF_6TensorESK_SK_EERKSK_lbbbEUlllE0_EEPmJS9_EEE10hipError_tPvRmT3_T4_T5_T6_T7_T9_mT8_P12ihipStream_tbDpT10_ENKUlT_T0_E_clISt17integral_constantIbLb1EES1A_EEDaS15_S16_EUlS15_E_NS1_11comp_targetILNS1_3genE9ELNS1_11target_archE1100ELNS1_3gpuE3ELNS1_3repE0EEENS1_30default_config_static_selectorELNS0_4arch9wavefront6targetE0EEEvT1_,"axG",@progbits,_ZN7rocprim17ROCPRIM_400000_NS6detail17trampoline_kernelINS0_14default_configENS1_25partition_config_selectorILNS1_17partition_subalgoE9EllbEEZZNS1_14partition_implILS5_9ELb0ES3_jPlS8_PNS0_10empty_typeENS0_5tupleIJS8_S9_EEENSB_IJS8_SA_EEENS0_18inequality_wrapperIZN2at6native12_GLOBAL__N_124unique_dim_cuda_templateIhEESt5tupleIJNSF_6TensorESK_SK_EERKSK_lbbbEUlllE0_EEPmJS9_EEE10hipError_tPvRmT3_T4_T5_T6_T7_T9_mT8_P12ihipStream_tbDpT10_ENKUlT_T0_E_clISt17integral_constantIbLb1EES1A_EEDaS15_S16_EUlS15_E_NS1_11comp_targetILNS1_3genE9ELNS1_11target_archE1100ELNS1_3gpuE3ELNS1_3repE0EEENS1_30default_config_static_selectorELNS0_4arch9wavefront6targetE0EEEvT1_,comdat
	.globl	_ZN7rocprim17ROCPRIM_400000_NS6detail17trampoline_kernelINS0_14default_configENS1_25partition_config_selectorILNS1_17partition_subalgoE9EllbEEZZNS1_14partition_implILS5_9ELb0ES3_jPlS8_PNS0_10empty_typeENS0_5tupleIJS8_S9_EEENSB_IJS8_SA_EEENS0_18inequality_wrapperIZN2at6native12_GLOBAL__N_124unique_dim_cuda_templateIhEESt5tupleIJNSF_6TensorESK_SK_EERKSK_lbbbEUlllE0_EEPmJS9_EEE10hipError_tPvRmT3_T4_T5_T6_T7_T9_mT8_P12ihipStream_tbDpT10_ENKUlT_T0_E_clISt17integral_constantIbLb1EES1A_EEDaS15_S16_EUlS15_E_NS1_11comp_targetILNS1_3genE9ELNS1_11target_archE1100ELNS1_3gpuE3ELNS1_3repE0EEENS1_30default_config_static_selectorELNS0_4arch9wavefront6targetE0EEEvT1_ ; -- Begin function _ZN7rocprim17ROCPRIM_400000_NS6detail17trampoline_kernelINS0_14default_configENS1_25partition_config_selectorILNS1_17partition_subalgoE9EllbEEZZNS1_14partition_implILS5_9ELb0ES3_jPlS8_PNS0_10empty_typeENS0_5tupleIJS8_S9_EEENSB_IJS8_SA_EEENS0_18inequality_wrapperIZN2at6native12_GLOBAL__N_124unique_dim_cuda_templateIhEESt5tupleIJNSF_6TensorESK_SK_EERKSK_lbbbEUlllE0_EEPmJS9_EEE10hipError_tPvRmT3_T4_T5_T6_T7_T9_mT8_P12ihipStream_tbDpT10_ENKUlT_T0_E_clISt17integral_constantIbLb1EES1A_EEDaS15_S16_EUlS15_E_NS1_11comp_targetILNS1_3genE9ELNS1_11target_archE1100ELNS1_3gpuE3ELNS1_3repE0EEENS1_30default_config_static_selectorELNS0_4arch9wavefront6targetE0EEEvT1_
	.p2align	8
	.type	_ZN7rocprim17ROCPRIM_400000_NS6detail17trampoline_kernelINS0_14default_configENS1_25partition_config_selectorILNS1_17partition_subalgoE9EllbEEZZNS1_14partition_implILS5_9ELb0ES3_jPlS8_PNS0_10empty_typeENS0_5tupleIJS8_S9_EEENSB_IJS8_SA_EEENS0_18inequality_wrapperIZN2at6native12_GLOBAL__N_124unique_dim_cuda_templateIhEESt5tupleIJNSF_6TensorESK_SK_EERKSK_lbbbEUlllE0_EEPmJS9_EEE10hipError_tPvRmT3_T4_T5_T6_T7_T9_mT8_P12ihipStream_tbDpT10_ENKUlT_T0_E_clISt17integral_constantIbLb1EES1A_EEDaS15_S16_EUlS15_E_NS1_11comp_targetILNS1_3genE9ELNS1_11target_archE1100ELNS1_3gpuE3ELNS1_3repE0EEENS1_30default_config_static_selectorELNS0_4arch9wavefront6targetE0EEEvT1_,@function
_ZN7rocprim17ROCPRIM_400000_NS6detail17trampoline_kernelINS0_14default_configENS1_25partition_config_selectorILNS1_17partition_subalgoE9EllbEEZZNS1_14partition_implILS5_9ELb0ES3_jPlS8_PNS0_10empty_typeENS0_5tupleIJS8_S9_EEENSB_IJS8_SA_EEENS0_18inequality_wrapperIZN2at6native12_GLOBAL__N_124unique_dim_cuda_templateIhEESt5tupleIJNSF_6TensorESK_SK_EERKSK_lbbbEUlllE0_EEPmJS9_EEE10hipError_tPvRmT3_T4_T5_T6_T7_T9_mT8_P12ihipStream_tbDpT10_ENKUlT_T0_E_clISt17integral_constantIbLb1EES1A_EEDaS15_S16_EUlS15_E_NS1_11comp_targetILNS1_3genE9ELNS1_11target_archE1100ELNS1_3gpuE3ELNS1_3repE0EEENS1_30default_config_static_selectorELNS0_4arch9wavefront6targetE0EEEvT1_: ; @_ZN7rocprim17ROCPRIM_400000_NS6detail17trampoline_kernelINS0_14default_configENS1_25partition_config_selectorILNS1_17partition_subalgoE9EllbEEZZNS1_14partition_implILS5_9ELb0ES3_jPlS8_PNS0_10empty_typeENS0_5tupleIJS8_S9_EEENSB_IJS8_SA_EEENS0_18inequality_wrapperIZN2at6native12_GLOBAL__N_124unique_dim_cuda_templateIhEESt5tupleIJNSF_6TensorESK_SK_EERKSK_lbbbEUlllE0_EEPmJS9_EEE10hipError_tPvRmT3_T4_T5_T6_T7_T9_mT8_P12ihipStream_tbDpT10_ENKUlT_T0_E_clISt17integral_constantIbLb1EES1A_EEDaS15_S16_EUlS15_E_NS1_11comp_targetILNS1_3genE9ELNS1_11target_archE1100ELNS1_3gpuE3ELNS1_3repE0EEENS1_30default_config_static_selectorELNS0_4arch9wavefront6targetE0EEEvT1_
; %bb.0:
	s_clause 0x3
	s_load_b128 s[4:7], s[0:1], 0x8
	s_load_b64 s[24:25], s[0:1], 0x18
	s_load_b256 s[8:15], s[0:1], 0x40
	s_load_b128 s[20:23], s[0:1], 0x60
	v_cmp_ne_u32_e64 s3, 0, v0
	v_cmp_eq_u32_e64 s2, 0, v0
	s_delay_alu instid0(VALU_DEP_1)
	s_and_saveexec_b32 s16, s2
	s_cbranch_execz .LBB218_4
; %bb.1:
	s_mov_b32 s18, exec_lo
	s_mov_b32 s17, exec_lo
	v_mbcnt_lo_u32_b32 v1, s18, 0
                                        ; implicit-def: $vgpr2
	s_delay_alu instid0(VALU_DEP_1)
	v_cmpx_eq_u32_e32 0, v1
	s_cbranch_execz .LBB218_3
; %bb.2:
	s_load_b64 s[26:27], s[0:1], 0x78
	s_bcnt1_i32_b32 s18, s18
	s_delay_alu instid0(SALU_CYCLE_1)
	v_dual_mov_b32 v2, 0 :: v_dual_mov_b32 v3, s18
	s_waitcnt lgkmcnt(0)
	global_atomic_add_u32 v2, v2, v3, s[26:27] glc
.LBB218_3:
	s_or_b32 exec_lo, exec_lo, s17
	s_waitcnt vmcnt(0)
	v_readfirstlane_b32 s17, v2
	s_delay_alu instid0(VALU_DEP_1)
	v_dual_mov_b32 v2, 0 :: v_dual_add_nc_u32 v1, s17, v1
	ds_store_b32 v2, v1
.LBB218_4:
	s_or_b32 exec_lo, exec_lo, s16
	v_mov_b32_e32 v1, 0
	s_clause 0x1
	s_load_b128 s[16:19], s[0:1], 0x28
	s_load_b32 s0, s[0:1], 0x70
	s_waitcnt lgkmcnt(0)
	s_barrier
	buffer_gl0_inv
	ds_load_b32 v3, v1
	s_waitcnt lgkmcnt(0)
	s_barrier
	buffer_gl0_inv
	global_load_b64 v[1:2], v1, s[10:11]
	s_lshl_b64 s[26:27], s[6:7], 3
	s_mov_b32 s1, 0
	s_add_u32 s10, s4, s26
	s_addc_u32 s11, s5, s27
	v_lshlrev_b32_e32 v55, 3, v0
	v_lshrrev_b32_e32 v34, 2, v0
	v_or_b32_e32 v39, 0x200, v0
	v_or_b32_e32 v38, 0x400, v0
	;; [unrolled: 1-line block ×5, first 2 shown]
	s_add_i32 s28, s0, -1
	s_lshl_b32 s5, s0, 12
	s_lshl_b32 s4, s28, 12
	v_or_b32_e32 v33, 0xc00, v0
	v_readfirstlane_b32 s30, v3
	s_add_i32 s4, s6, s4
	v_or_b32_e32 v36, 0xe00, v0
	s_sub_i32 s31, s12, s4
	s_delay_alu instid0(VALU_DEP_2)
	s_lshl_b32 s0, s30, 12
	s_add_u32 s4, s6, s5
	s_addc_u32 s5, s7, 0
	s_cmp_eq_u32 s30, s28
	v_cmp_ge_u64_e64 s4, s[4:5], s[12:13]
	s_cselect_b32 s28, -1, 0
	s_lshl_b64 s[12:13], s[0:1], 3
	s_mov_b32 s1, -1
	s_delay_alu instid0(VALU_DEP_1) | instskip(NEXT) | instid1(SALU_CYCLE_1)
	s_and_b32 s33, s4, s28
	s_xor_b32 s29, s33, -1
	s_add_u32 s4, s10, s12
	s_addc_u32 s5, s11, s13
	s_and_b32 vcc_lo, exec_lo, s29
	s_waitcnt vmcnt(0)
	v_readfirstlane_b32 s10, v1
	v_readfirstlane_b32 s11, v2
	s_cbranch_vccz .LBB218_6
; %bb.5:
	v_add_co_u32 v9, s0, s4, v55
	s_delay_alu instid0(VALU_DEP_1)
	v_add_co_ci_u32_e64 v10, null, s5, 0, s0
	global_load_b64 v[1:2], v55, s[4:5]
	v_add_co_u32 v3, vcc_lo, v9, 0x2000
	v_add_co_ci_u32_e32 v4, vcc_lo, 0, v10, vcc_lo
	v_add_co_u32 v5, vcc_lo, v9, 0x4000
	v_add_co_ci_u32_e32 v6, vcc_lo, 0, v10, vcc_lo
	;; [unrolled: 2-line block ×4, first 2 shown]
	s_clause 0x6
	global_load_b64 v[11:12], v[3:4], off offset:-4096
	global_load_b64 v[3:4], v[3:4], off
	global_load_b64 v[13:14], v[5:6], off offset:-4096
	global_load_b64 v[5:6], v[5:6], off
	;; [unrolled: 2-line block ×3, first 2 shown]
	global_load_b64 v[9:10], v[9:10], off
	v_lshrrev_b32_e32 v18, 2, v39
	v_lshrrev_b32_e32 v19, 2, v38
	;; [unrolled: 1-line block ×4, first 2 shown]
	v_and_b32_e32 v17, 0x78, v34
	v_lshrrev_b32_e32 v22, 2, v35
	v_lshrrev_b32_e32 v23, 2, v33
	;; [unrolled: 1-line block ×3, first 2 shown]
	v_and_b32_e32 v18, 0xf8, v18
	v_and_b32_e32 v19, 0x178, v19
	;; [unrolled: 1-line block ×4, first 2 shown]
	v_add_nc_u32_e32 v17, v17, v55
	v_and_b32_e32 v22, 0x2f8, v22
	v_and_b32_e32 v23, 0x378, v23
	;; [unrolled: 1-line block ×3, first 2 shown]
	v_add_nc_u32_e32 v18, v18, v55
	v_add_nc_u32_e32 v19, v19, v55
	v_add_nc_u32_e32 v20, v20, v55
	v_add_nc_u32_e32 v21, v21, v55
	s_mov_b32 s1, 0
	v_add_nc_u32_e32 v22, v22, v55
	v_add_nc_u32_e32 v23, v23, v55
	;; [unrolled: 1-line block ×3, first 2 shown]
	s_waitcnt vmcnt(7)
	ds_store_b64 v17, v[1:2]
	s_waitcnt vmcnt(6)
	ds_store_b64 v18, v[11:12] offset:4096
	s_waitcnt vmcnt(5)
	ds_store_b64 v19, v[3:4] offset:8192
	;; [unrolled: 2-line block ×7, first 2 shown]
	s_waitcnt lgkmcnt(0)
	s_barrier
.LBB218_6:
	v_cmp_gt_u32_e64 s0, s31, v0
	s_and_not1_b32 vcc_lo, exec_lo, s1
	s_cbranch_vccnz .LBB218_24
; %bb.7:
                                        ; implicit-def: $vgpr1_vgpr2_vgpr3_vgpr4_vgpr5_vgpr6_vgpr7_vgpr8_vgpr9_vgpr10_vgpr11_vgpr12_vgpr13_vgpr14_vgpr15_vgpr16
	s_delay_alu instid0(VALU_DEP_1)
	s_and_saveexec_b32 s1, s0
	s_cbranch_execz .LBB218_15
; %bb.8:
	global_load_b64 v[1:2], v55, s[4:5]
	s_or_b32 exec_lo, exec_lo, s1
	s_delay_alu instid0(SALU_CYCLE_1)
	s_mov_b32 s0, exec_lo
	v_cmpx_gt_u32_e64 s31, v39
	s_cbranch_execnz .LBB218_16
.LBB218_9:
	s_or_b32 exec_lo, exec_lo, s0
	s_delay_alu instid0(SALU_CYCLE_1)
	s_mov_b32 s0, exec_lo
	v_cmpx_gt_u32_e64 s31, v38
	s_cbranch_execz .LBB218_17
.LBB218_10:
	v_lshlrev_b32_e32 v5, 3, v38
	global_load_b64 v[5:6], v5, s[4:5]
	s_or_b32 exec_lo, exec_lo, s0
	s_delay_alu instid0(SALU_CYCLE_1)
	s_mov_b32 s0, exec_lo
	v_cmpx_gt_u32_e64 s31, v40
	s_cbranch_execnz .LBB218_18
.LBB218_11:
	s_or_b32 exec_lo, exec_lo, s0
	s_delay_alu instid0(SALU_CYCLE_1)
	s_mov_b32 s0, exec_lo
	v_cmpx_gt_u32_e64 s31, v37
	s_cbranch_execz .LBB218_19
.LBB218_12:
	v_lshlrev_b32_e32 v9, 3, v37
	global_load_b64 v[9:10], v9, s[4:5]
	s_or_b32 exec_lo, exec_lo, s0
	s_delay_alu instid0(SALU_CYCLE_1)
	s_mov_b32 s0, exec_lo
	v_cmpx_gt_u32_e64 s31, v35
	s_cbranch_execnz .LBB218_20
.LBB218_13:
	s_or_b32 exec_lo, exec_lo, s0
	s_delay_alu instid0(SALU_CYCLE_1)
	s_mov_b32 s0, exec_lo
	v_cmpx_gt_u32_e64 s31, v33
	s_cbranch_execz .LBB218_21
.LBB218_14:
	v_lshlrev_b32_e32 v13, 3, v33
	global_load_b64 v[13:14], v13, s[4:5]
	s_or_b32 exec_lo, exec_lo, s0
	s_delay_alu instid0(SALU_CYCLE_1)
	s_mov_b32 s0, exec_lo
	v_cmpx_gt_u32_e64 s31, v36
	s_cbranch_execnz .LBB218_22
	s_branch .LBB218_23
.LBB218_15:
	s_or_b32 exec_lo, exec_lo, s1
	s_delay_alu instid0(SALU_CYCLE_1)
	s_mov_b32 s0, exec_lo
	v_cmpx_gt_u32_e64 s31, v39
	s_cbranch_execz .LBB218_9
.LBB218_16:
	v_lshlrev_b32_e32 v3, 3, v39
	global_load_b64 v[3:4], v3, s[4:5]
	s_or_b32 exec_lo, exec_lo, s0
	s_delay_alu instid0(SALU_CYCLE_1)
	s_mov_b32 s0, exec_lo
	v_cmpx_gt_u32_e64 s31, v38
	s_cbranch_execnz .LBB218_10
.LBB218_17:
	s_or_b32 exec_lo, exec_lo, s0
	s_delay_alu instid0(SALU_CYCLE_1)
	s_mov_b32 s0, exec_lo
	v_cmpx_gt_u32_e64 s31, v40
	s_cbranch_execz .LBB218_11
.LBB218_18:
	v_lshlrev_b32_e32 v7, 3, v40
	global_load_b64 v[7:8], v7, s[4:5]
	s_or_b32 exec_lo, exec_lo, s0
	s_delay_alu instid0(SALU_CYCLE_1)
	s_mov_b32 s0, exec_lo
	v_cmpx_gt_u32_e64 s31, v37
	s_cbranch_execnz .LBB218_12
.LBB218_19:
	s_or_b32 exec_lo, exec_lo, s0
	s_delay_alu instid0(SALU_CYCLE_1)
	s_mov_b32 s0, exec_lo
	v_cmpx_gt_u32_e64 s31, v35
	s_cbranch_execz .LBB218_13
.LBB218_20:
	v_lshlrev_b32_e32 v11, 3, v35
	global_load_b64 v[11:12], v11, s[4:5]
	s_or_b32 exec_lo, exec_lo, s0
	s_delay_alu instid0(SALU_CYCLE_1)
	s_mov_b32 s0, exec_lo
	v_cmpx_gt_u32_e64 s31, v33
	s_cbranch_execnz .LBB218_14
.LBB218_21:
	s_or_b32 exec_lo, exec_lo, s0
	s_delay_alu instid0(SALU_CYCLE_1)
	s_mov_b32 s0, exec_lo
	v_cmpx_gt_u32_e64 s31, v36
	s_cbranch_execz .LBB218_23
.LBB218_22:
	v_lshlrev_b32_e32 v15, 3, v36
	global_load_b64 v[15:16], v15, s[4:5]
.LBB218_23:
	s_or_b32 exec_lo, exec_lo, s0
	v_lshrrev_b32_e32 v17, 2, v39
	v_lshrrev_b32_e32 v18, 2, v38
	;; [unrolled: 1-line block ×4, first 2 shown]
	v_and_b32_e32 v19, 0x78, v34
	v_lshrrev_b32_e32 v22, 2, v35
	v_lshrrev_b32_e32 v23, 2, v33
	;; [unrolled: 1-line block ×3, first 2 shown]
	v_and_b32_e32 v17, 0xf8, v17
	v_and_b32_e32 v18, 0x1f8, v18
	;; [unrolled: 1-line block ×4, first 2 shown]
	v_add_nc_u32_e32 v19, v19, v55
	v_and_b32_e32 v22, 0x3f8, v22
	v_and_b32_e32 v23, 0x3f8, v23
	;; [unrolled: 1-line block ×3, first 2 shown]
	v_add_nc_u32_e32 v17, v17, v55
	v_add_nc_u32_e32 v18, v18, v55
	;; [unrolled: 1-line block ×7, first 2 shown]
	s_waitcnt vmcnt(0)
	ds_store_b64 v19, v[1:2]
	ds_store_b64 v17, v[3:4] offset:4096
	ds_store_b64 v18, v[5:6] offset:8192
	;; [unrolled: 1-line block ×7, first 2 shown]
	s_waitcnt lgkmcnt(0)
	s_barrier
.LBB218_24:
	v_add_lshl_u32 v41, v34, v55, 3
	buffer_gl0_inv
	s_add_u32 s0, s24, s26
	s_addc_u32 s1, s25, s27
	s_add_u32 s0, s0, s12
	ds_load_2addr_b64 v[29:32], v41 offset1:1
	ds_load_2addr_b64 v[25:28], v41 offset0:2 offset1:3
	ds_load_2addr_b64 v[21:24], v41 offset0:4 offset1:5
	;; [unrolled: 1-line block ×3, first 2 shown]
	s_addc_u32 s1, s1, s13
	s_and_b32 vcc_lo, exec_lo, s29
	s_mov_b32 s12, -1
	s_waitcnt lgkmcnt(0)
	s_barrier
	buffer_gl0_inv
	s_cbranch_vccz .LBB218_26
; %bb.25:
	v_add_co_u32 v9, s12, s0, v55
	s_delay_alu instid0(VALU_DEP_1)
	v_add_co_ci_u32_e64 v10, null, s1, 0, s12
	global_load_b64 v[1:2], v55, s[0:1]
	v_add_co_u32 v3, vcc_lo, v9, 0x2000
	v_add_co_ci_u32_e32 v4, vcc_lo, 0, v10, vcc_lo
	v_add_co_u32 v5, vcc_lo, v9, 0x4000
	v_add_co_ci_u32_e32 v6, vcc_lo, 0, v10, vcc_lo
	v_add_co_u32 v7, vcc_lo, v9, 0x6000
	v_add_co_ci_u32_e32 v8, vcc_lo, 0, v10, vcc_lo
	v_add_co_u32 v9, vcc_lo, 0x7000, v9
	v_add_co_ci_u32_e32 v10, vcc_lo, 0, v10, vcc_lo
	s_clause 0x6
	global_load_b64 v[11:12], v[3:4], off offset:-4096
	global_load_b64 v[3:4], v[3:4], off
	global_load_b64 v[13:14], v[5:6], off offset:-4096
	global_load_b64 v[5:6], v[5:6], off
	;; [unrolled: 2-line block ×3, first 2 shown]
	global_load_b64 v[9:10], v[9:10], off
	v_lshrrev_b32_e32 v43, 2, v39
	v_lshrrev_b32_e32 v44, 2, v38
	;; [unrolled: 1-line block ×4, first 2 shown]
	v_and_b32_e32 v42, 0x78, v34
	v_lshrrev_b32_e32 v47, 2, v35
	v_lshrrev_b32_e32 v48, 2, v33
	;; [unrolled: 1-line block ×3, first 2 shown]
	v_and_b32_e32 v43, 0xf8, v43
	v_and_b32_e32 v44, 0x178, v44
	;; [unrolled: 1-line block ×4, first 2 shown]
	v_add_nc_u32_e32 v42, v42, v55
	v_and_b32_e32 v47, 0x2f8, v47
	v_and_b32_e32 v48, 0x378, v48
	;; [unrolled: 1-line block ×3, first 2 shown]
	v_add_nc_u32_e32 v43, v43, v55
	v_add_nc_u32_e32 v44, v44, v55
	;; [unrolled: 1-line block ×4, first 2 shown]
	s_mov_b32 s12, 0
	v_add_nc_u32_e32 v47, v47, v55
	v_add_nc_u32_e32 v48, v48, v55
	;; [unrolled: 1-line block ×3, first 2 shown]
	s_waitcnt vmcnt(7)
	ds_store_b64 v42, v[1:2]
	s_waitcnt vmcnt(6)
	ds_store_b64 v43, v[11:12] offset:4096
	s_waitcnt vmcnt(5)
	ds_store_b64 v44, v[3:4] offset:8192
	s_waitcnt vmcnt(4)
	ds_store_b64 v45, v[13:14] offset:12288
	s_waitcnt vmcnt(3)
	ds_store_b64 v46, v[5:6] offset:16384
	s_waitcnt vmcnt(2)
	ds_store_b64 v47, v[15:16] offset:20480
	s_waitcnt vmcnt(1)
	ds_store_b64 v48, v[7:8] offset:24576
	s_waitcnt vmcnt(0)
	ds_store_b64 v49, v[9:10] offset:28672
	s_waitcnt lgkmcnt(0)
	s_barrier
.LBB218_26:
	s_and_not1_b32 vcc_lo, exec_lo, s12
	s_cbranch_vccnz .LBB218_44
; %bb.27:
	s_mov_b32 s12, exec_lo
                                        ; implicit-def: $vgpr1_vgpr2
	v_cmpx_gt_u32_e64 s31, v0
	s_cbranch_execz .LBB218_29
; %bb.28:
	global_load_b64 v[1:2], v55, s[0:1]
.LBB218_29:
	s_or_b32 exec_lo, exec_lo, s12
	s_delay_alu instid0(SALU_CYCLE_1)
	s_mov_b32 s12, exec_lo
                                        ; implicit-def: $vgpr3_vgpr4
	v_cmpx_gt_u32_e64 s31, v39
	s_cbranch_execz .LBB218_31
; %bb.30:
	v_lshlrev_b32_e32 v3, 3, v39
	global_load_b64 v[3:4], v3, s[0:1]
.LBB218_31:
	s_or_b32 exec_lo, exec_lo, s12
	s_delay_alu instid0(SALU_CYCLE_1)
	s_mov_b32 s12, exec_lo
                                        ; implicit-def: $vgpr5_vgpr6
	v_cmpx_gt_u32_e64 s31, v38
	s_cbranch_execz .LBB218_33
; %bb.32:
	v_lshlrev_b32_e32 v5, 3, v38
	global_load_b64 v[5:6], v5, s[0:1]
.LBB218_33:
	s_or_b32 exec_lo, exec_lo, s12
	s_delay_alu instid0(SALU_CYCLE_1)
	s_mov_b32 s12, exec_lo
                                        ; implicit-def: $vgpr7_vgpr8
	v_cmpx_gt_u32_e64 s31, v40
	s_cbranch_execz .LBB218_35
; %bb.34:
	v_lshlrev_b32_e32 v7, 3, v40
	global_load_b64 v[7:8], v7, s[0:1]
.LBB218_35:
	s_or_b32 exec_lo, exec_lo, s12
	s_delay_alu instid0(SALU_CYCLE_1)
	s_mov_b32 s12, exec_lo
                                        ; implicit-def: $vgpr9_vgpr10
	v_cmpx_gt_u32_e64 s31, v37
	s_cbranch_execz .LBB218_37
; %bb.36:
	v_lshlrev_b32_e32 v9, 3, v37
	global_load_b64 v[9:10], v9, s[0:1]
.LBB218_37:
	s_or_b32 exec_lo, exec_lo, s12
	s_delay_alu instid0(SALU_CYCLE_1)
	s_mov_b32 s12, exec_lo
                                        ; implicit-def: $vgpr11_vgpr12
	v_cmpx_gt_u32_e64 s31, v35
	s_cbranch_execz .LBB218_39
; %bb.38:
	v_lshlrev_b32_e32 v11, 3, v35
	global_load_b64 v[11:12], v11, s[0:1]
.LBB218_39:
	s_or_b32 exec_lo, exec_lo, s12
	s_delay_alu instid0(SALU_CYCLE_1)
	s_mov_b32 s12, exec_lo
                                        ; implicit-def: $vgpr13_vgpr14
	v_cmpx_gt_u32_e64 s31, v33
	s_cbranch_execz .LBB218_41
; %bb.40:
	v_lshlrev_b32_e32 v13, 3, v33
	global_load_b64 v[13:14], v13, s[0:1]
.LBB218_41:
	s_or_b32 exec_lo, exec_lo, s12
	s_delay_alu instid0(SALU_CYCLE_1)
	s_mov_b32 s12, exec_lo
                                        ; implicit-def: $vgpr15_vgpr16
	v_cmpx_gt_u32_e64 s31, v36
	s_cbranch_execz .LBB218_43
; %bb.42:
	v_lshlrev_b32_e32 v15, 3, v36
	global_load_b64 v[15:16], v15, s[0:1]
.LBB218_43:
	s_or_b32 exec_lo, exec_lo, s12
	v_lshrrev_b32_e32 v39, 2, v39
	v_lshrrev_b32_e32 v38, 2, v38
	;; [unrolled: 1-line block ×4, first 2 shown]
	v_and_b32_e32 v34, 0x78, v34
	v_lshrrev_b32_e32 v35, 2, v35
	v_lshrrev_b32_e32 v33, 2, v33
	;; [unrolled: 1-line block ×3, first 2 shown]
	v_and_b32_e32 v39, 0xf8, v39
	v_and_b32_e32 v38, 0x1f8, v38
	v_and_b32_e32 v40, 0x1f8, v40
	v_and_b32_e32 v37, 0x3f8, v37
	v_add_nc_u32_e32 v34, v34, v55
	v_and_b32_e32 v35, 0x3f8, v35
	v_and_b32_e32 v33, 0x3f8, v33
	v_and_b32_e32 v36, 0x3f8, v36
	v_add_nc_u32_e32 v39, v39, v55
	v_add_nc_u32_e32 v38, v38, v55
	;; [unrolled: 1-line block ×7, first 2 shown]
	s_waitcnt vmcnt(0)
	ds_store_b64 v34, v[1:2]
	ds_store_b64 v39, v[3:4] offset:4096
	ds_store_b64 v38, v[5:6] offset:8192
	;; [unrolled: 1-line block ×7, first 2 shown]
	s_waitcnt lgkmcnt(0)
	s_barrier
.LBB218_44:
	buffer_gl0_inv
	ds_load_2addr_b64 v[13:16], v41 offset1:1
	ds_load_2addr_b64 v[9:12], v41 offset0:2 offset1:3
	ds_load_2addr_b64 v[5:8], v41 offset0:4 offset1:5
	;; [unrolled: 1-line block ×3, first 2 shown]
	s_cmp_lg_u32 s30, 0
	s_waitcnt lgkmcnt(0)
	s_cselect_b32 s12, -1, 0
	s_cmp_lg_u64 s[6:7], 0
	v_cmp_gt_i64_e64 s7, s[14:15], 0
	s_cselect_b32 s0, -1, 0
	s_mov_b32 s6, 0
	s_or_b32 s0, s0, s12
	s_barrier
	s_and_b32 vcc_lo, exec_lo, s0
	buffer_gl0_inv
	s_cbranch_vccz .LBB218_53
; %bb.45:
	v_mov_b32_e32 v33, 0
	v_cndmask_b32_e64 v44, 0, 1, s7
	s_and_b32 vcc_lo, exec_lo, s29
	ds_store_b64 v55, v[19:20]
	global_load_b64 v[35:36], v33, s[4:5] offset:-8
	v_cmp_ne_u32_e64 s0, 1, v44
	s_cbranch_vccz .LBB218_54
; %bb.46:
	v_mul_lo_u32 v37, v18, s14
	v_mul_lo_u32 v38, v17, s15
	v_mad_u64_u32 v[33:34], null, v17, s14, 0
	s_and_b32 vcc_lo, exec_lo, s0
	s_mov_b32 s13, 0
	s_delay_alu instid0(VALU_DEP_1)
	v_add3_u32 v34, v34, v38, v37
	s_cbranch_vccnz .LBB218_57
; %bb.47:
	v_mad_u64_u32 v[37:38], null, v19, s14, s[20:21]
	v_mul_lo_u32 v41, v19, s15
	v_mul_lo_u32 v42, v20, s14
	v_add_co_u32 v39, vcc_lo, s20, v33
	v_add_co_ci_u32_e32 v40, vcc_lo, s21, v34, vcc_lo
	s_mov_b32 s13, -1
	s_mov_b32 s24, exec_lo
	s_delay_alu instid0(VALU_DEP_3)
	v_add3_u32 v38, v42, v38, v41
	s_clause 0x1
	global_load_u8 v41, v[39:40], off
	global_load_u8 v42, v[37:38], off
	s_waitcnt vmcnt(0)
	v_cmpx_eq_u16_e64 v41, v42
	s_cbranch_execz .LBB218_56
; %bb.48:
	s_mov_b64 s[0:1], 1
	s_mov_b32 s13, 0
                                        ; implicit-def: $sgpr25
	s_set_inst_prefetch_distance 0x1
	s_branch .LBB218_51
	.p2align	6
.LBB218_49:                             ;   in Loop: Header=BB218_51 Depth=1
	v_add_co_u32 v41, vcc_lo, v39, s0
	v_add_co_ci_u32_e32 v42, vcc_lo, s1, v40, vcc_lo
	v_add_co_u32 v45, vcc_lo, v37, s0
	v_add_co_ci_u32_e32 v46, vcc_lo, s1, v38, vcc_lo
	s_add_u32 s4, s0, 1
	s_clause 0x1
	global_load_u8 v41, v[41:42], off
	global_load_u8 v42, v[45:46], off
	s_addc_u32 s5, s1, 0
	s_and_not1_b32 s25, s25, exec_lo
	s_waitcnt vmcnt(0)
	v_cmp_ne_u16_e32 vcc_lo, v41, v42
	s_and_b32 s26, vcc_lo, exec_lo
	s_delay_alu instid0(SALU_CYCLE_1)
	s_or_b32 s25, s25, s26
.LBB218_50:                             ;   in Loop: Header=BB218_51 Depth=1
	v_dual_mov_b32 v42, s1 :: v_dual_mov_b32 v41, s0
	s_and_b32 s26, exec_lo, s25
	s_mov_b64 s[0:1], s[4:5]
	s_or_b32 s13, s26, s13
	s_delay_alu instid0(SALU_CYCLE_1)
	s_and_not1_b32 exec_lo, exec_lo, s13
	s_cbranch_execz .LBB218_55
.LBB218_51:                             ; =>This Inner Loop Header: Depth=1
	s_or_b32 s25, s25, exec_lo
	s_cmp_eq_u64 s[14:15], s[0:1]
	s_cbranch_scc0 .LBB218_49
; %bb.52:                               ;   in Loop: Header=BB218_51 Depth=1
	s_mov_b64 s[0:1], s[14:15]
                                        ; implicit-def: $sgpr4_sgpr5
	s_branch .LBB218_50
.LBB218_53:
                                        ; implicit-def: $sgpr0
                                        ; implicit-def: $vgpr34
	s_branch .LBB218_215
.LBB218_54:
                                        ; implicit-def: $sgpr0
                                        ; implicit-def: $vgpr34
	s_cbranch_execnz .LBB218_123
	s_branch .LBB218_214
.LBB218_55:
	s_set_inst_prefetch_distance 0x2
	s_or_b32 exec_lo, exec_lo, s13
	v_cmp_gt_i64_e32 vcc_lo, s[14:15], v[41:42]
	s_or_not1_b32 s13, vcc_lo, exec_lo
.LBB218_56:
	s_or_b32 exec_lo, exec_lo, s24
.LBB218_57:
	v_mul_lo_u32 v39, v24, s14
	v_mul_lo_u32 v40, v23, s15
	v_mad_u64_u32 v[37:38], null, v23, s14, 0
	s_and_not1_b32 vcc_lo, exec_lo, s7
	s_delay_alu instid0(VALU_DEP_1)
	v_add3_u32 v42, v38, v40, v39
	s_cbranch_vccnz .LBB218_66
; %bb.58:
	s_delay_alu instid0(VALU_DEP_2) | instskip(NEXT) | instid1(VALU_DEP_2)
	v_add_co_u32 v38, vcc_lo, s20, v37
	v_add_co_ci_u32_e32 v39, vcc_lo, s21, v42, vcc_lo
	v_add_co_u32 v33, vcc_lo, s20, v33
	v_add_co_ci_u32_e32 v34, vcc_lo, s21, v34, vcc_lo
	s_mov_b32 s6, -1
	s_clause 0x1
	global_load_u8 v40, v[38:39], off
	global_load_u8 v41, v[33:34], off
	s_mov_b32 s24, exec_lo
	s_waitcnt vmcnt(0)
	v_cmpx_eq_u16_e64 v40, v41
	s_cbranch_execz .LBB218_65
; %bb.59:
	s_mov_b64 s[0:1], 1
	s_mov_b32 s6, 0
                                        ; implicit-def: $sgpr25
	s_set_inst_prefetch_distance 0x1
	s_branch .LBB218_62
	.p2align	6
.LBB218_60:                             ;   in Loop: Header=BB218_62 Depth=1
	v_add_co_u32 v40, vcc_lo, v38, s0
	v_add_co_ci_u32_e32 v41, vcc_lo, s1, v39, vcc_lo
	v_add_co_u32 v45, vcc_lo, v33, s0
	v_add_co_ci_u32_e32 v46, vcc_lo, s1, v34, vcc_lo
	s_add_u32 s4, s0, 1
	s_clause 0x1
	global_load_u8 v40, v[40:41], off
	global_load_u8 v41, v[45:46], off
	s_addc_u32 s5, s1, 0
	s_and_not1_b32 s25, s25, exec_lo
	s_waitcnt vmcnt(0)
	v_cmp_ne_u16_e32 vcc_lo, v40, v41
	s_and_b32 s26, vcc_lo, exec_lo
	s_delay_alu instid0(SALU_CYCLE_1)
	s_or_b32 s25, s25, s26
.LBB218_61:                             ;   in Loop: Header=BB218_62 Depth=1
	v_dual_mov_b32 v41, s1 :: v_dual_mov_b32 v40, s0
	s_and_b32 s26, exec_lo, s25
	s_mov_b64 s[0:1], s[4:5]
	s_or_b32 s6, s26, s6
	s_delay_alu instid0(SALU_CYCLE_1)
	s_and_not1_b32 exec_lo, exec_lo, s6
	s_cbranch_execz .LBB218_64
.LBB218_62:                             ; =>This Inner Loop Header: Depth=1
	s_or_b32 s25, s25, exec_lo
	s_cmp_eq_u64 s[14:15], s[0:1]
	s_cbranch_scc0 .LBB218_60
; %bb.63:                               ;   in Loop: Header=BB218_62 Depth=1
	s_mov_b64 s[0:1], s[14:15]
                                        ; implicit-def: $sgpr4_sgpr5
	s_branch .LBB218_61
.LBB218_64:
	s_set_inst_prefetch_distance 0x2
	s_or_b32 exec_lo, exec_lo, s6
	v_cmp_gt_i64_e32 vcc_lo, s[14:15], v[40:41]
	s_or_not1_b32 s6, vcc_lo, exec_lo
.LBB218_65:
	s_or_b32 exec_lo, exec_lo, s24
.LBB218_66:
	v_mul_lo_u32 v38, v22, s14
	v_mul_lo_u32 v39, v21, s15
	v_mad_u64_u32 v[33:34], null, v21, s14, 0
	s_mov_b32 s24, 0
	s_and_not1_b32 vcc_lo, exec_lo, s7
	s_mov_b32 s25, 0
	s_delay_alu instid0(VALU_DEP_1)
	v_add3_u32 v34, v34, v39, v38
	s_cbranch_vccnz .LBB218_75
; %bb.67:
	s_delay_alu instid0(VALU_DEP_2) | instskip(NEXT) | instid1(VALU_DEP_2)
	v_add_co_u32 v38, vcc_lo, s20, v33
	v_add_co_ci_u32_e32 v39, vcc_lo, s21, v34, vcc_lo
	v_add_co_u32 v40, vcc_lo, s20, v37
	v_add_co_ci_u32_e32 v41, vcc_lo, s21, v42, vcc_lo
	s_mov_b32 s25, -1
	s_clause 0x1
	global_load_u8 v37, v[38:39], off
	global_load_u8 v42, v[40:41], off
	s_mov_b32 s26, exec_lo
	s_waitcnt vmcnt(0)
	v_cmpx_eq_u16_e64 v37, v42
	s_cbranch_execz .LBB218_74
; %bb.68:
	s_mov_b64 s[0:1], 1
	s_mov_b32 s25, 0
                                        ; implicit-def: $sgpr27
	s_set_inst_prefetch_distance 0x1
	s_branch .LBB218_71
	.p2align	6
.LBB218_69:                             ;   in Loop: Header=BB218_71 Depth=1
	v_add_co_u32 v42, vcc_lo, v38, s0
	v_add_co_ci_u32_e32 v43, vcc_lo, s1, v39, vcc_lo
	v_add_co_u32 v45, vcc_lo, v40, s0
	v_add_co_ci_u32_e32 v46, vcc_lo, s1, v41, vcc_lo
	s_add_u32 s4, s0, 1
	s_clause 0x1
	global_load_u8 v37, v[42:43], off
	global_load_u8 v42, v[45:46], off
	s_addc_u32 s5, s1, 0
	s_and_not1_b32 s27, s27, exec_lo
	s_waitcnt vmcnt(0)
	v_cmp_ne_u16_e32 vcc_lo, v37, v42
	s_and_b32 s34, vcc_lo, exec_lo
	s_delay_alu instid0(SALU_CYCLE_1)
	s_or_b32 s27, s27, s34
.LBB218_70:                             ;   in Loop: Header=BB218_71 Depth=1
	v_dual_mov_b32 v43, s1 :: v_dual_mov_b32 v42, s0
	s_and_b32 s34, exec_lo, s27
	s_mov_b64 s[0:1], s[4:5]
	s_or_b32 s25, s34, s25
	s_delay_alu instid0(SALU_CYCLE_1)
	s_and_not1_b32 exec_lo, exec_lo, s25
	s_cbranch_execz .LBB218_73
.LBB218_71:                             ; =>This Inner Loop Header: Depth=1
	s_or_b32 s27, s27, exec_lo
	s_cmp_eq_u64 s[14:15], s[0:1]
	s_cbranch_scc0 .LBB218_69
; %bb.72:                               ;   in Loop: Header=BB218_71 Depth=1
	s_mov_b64 s[0:1], s[14:15]
                                        ; implicit-def: $sgpr4_sgpr5
	s_branch .LBB218_70
.LBB218_73:
	s_set_inst_prefetch_distance 0x2
	s_or_b32 exec_lo, exec_lo, s25
	v_cmp_gt_i64_e32 vcc_lo, s[14:15], v[42:43]
	s_or_not1_b32 s25, vcc_lo, exec_lo
.LBB218_74:
	s_or_b32 exec_lo, exec_lo, s26
.LBB218_75:
	v_mul_lo_u32 v39, v28, s14
	v_mul_lo_u32 v40, v27, s15
	v_mad_u64_u32 v[37:38], null, v27, s14, 0
	s_and_not1_b32 vcc_lo, exec_lo, s7
	s_delay_alu instid0(VALU_DEP_1)
	v_add3_u32 v42, v38, v40, v39
	s_cbranch_vccnz .LBB218_84
; %bb.76:
	s_delay_alu instid0(VALU_DEP_2) | instskip(NEXT) | instid1(VALU_DEP_2)
	v_add_co_u32 v38, vcc_lo, s20, v37
	v_add_co_ci_u32_e32 v39, vcc_lo, s21, v42, vcc_lo
	v_add_co_u32 v33, vcc_lo, s20, v33
	v_add_co_ci_u32_e32 v34, vcc_lo, s21, v34, vcc_lo
	s_mov_b32 s24, -1
	s_clause 0x1
	global_load_u8 v40, v[38:39], off
	global_load_u8 v41, v[33:34], off
	s_mov_b32 s26, exec_lo
	s_waitcnt vmcnt(0)
	v_cmpx_eq_u16_e64 v40, v41
	s_cbranch_execz .LBB218_83
; %bb.77:
	s_mov_b64 s[0:1], 1
	s_mov_b32 s24, 0
                                        ; implicit-def: $sgpr27
	s_set_inst_prefetch_distance 0x1
	s_branch .LBB218_80
	.p2align	6
.LBB218_78:                             ;   in Loop: Header=BB218_80 Depth=1
	v_add_co_u32 v40, vcc_lo, v38, s0
	v_add_co_ci_u32_e32 v41, vcc_lo, s1, v39, vcc_lo
	v_add_co_u32 v45, vcc_lo, v33, s0
	v_add_co_ci_u32_e32 v46, vcc_lo, s1, v34, vcc_lo
	s_add_u32 s4, s0, 1
	s_clause 0x1
	global_load_u8 v40, v[40:41], off
	global_load_u8 v41, v[45:46], off
	s_addc_u32 s5, s1, 0
	s_and_not1_b32 s27, s27, exec_lo
	s_waitcnt vmcnt(0)
	v_cmp_ne_u16_e32 vcc_lo, v40, v41
	s_and_b32 s34, vcc_lo, exec_lo
	s_delay_alu instid0(SALU_CYCLE_1)
	s_or_b32 s27, s27, s34
.LBB218_79:                             ;   in Loop: Header=BB218_80 Depth=1
	v_dual_mov_b32 v41, s1 :: v_dual_mov_b32 v40, s0
	s_and_b32 s34, exec_lo, s27
	s_mov_b64 s[0:1], s[4:5]
	s_or_b32 s24, s34, s24
	s_delay_alu instid0(SALU_CYCLE_1)
	s_and_not1_b32 exec_lo, exec_lo, s24
	s_cbranch_execz .LBB218_82
.LBB218_80:                             ; =>This Inner Loop Header: Depth=1
	s_or_b32 s27, s27, exec_lo
	s_cmp_eq_u64 s[14:15], s[0:1]
	s_cbranch_scc0 .LBB218_78
; %bb.81:                               ;   in Loop: Header=BB218_80 Depth=1
	s_mov_b64 s[0:1], s[14:15]
                                        ; implicit-def: $sgpr4_sgpr5
	s_branch .LBB218_79
.LBB218_82:
	s_set_inst_prefetch_distance 0x2
	s_or_b32 exec_lo, exec_lo, s24
	v_cmp_gt_i64_e32 vcc_lo, s[14:15], v[40:41]
	s_or_not1_b32 s24, vcc_lo, exec_lo
.LBB218_83:
	s_or_b32 exec_lo, exec_lo, s26
.LBB218_84:
	v_mul_lo_u32 v38, v26, s14
	v_mul_lo_u32 v39, v25, s15
	v_mad_u64_u32 v[33:34], null, v25, s14, 0
	s_mov_b32 s26, 0
	s_and_not1_b32 vcc_lo, exec_lo, s7
	s_mov_b32 s27, 0
	s_delay_alu instid0(VALU_DEP_1)
	v_add3_u32 v34, v34, v39, v38
	s_cbranch_vccnz .LBB218_93
; %bb.85:
	s_delay_alu instid0(VALU_DEP_2) | instskip(NEXT) | instid1(VALU_DEP_2)
	v_add_co_u32 v38, vcc_lo, s20, v33
	v_add_co_ci_u32_e32 v39, vcc_lo, s21, v34, vcc_lo
	v_add_co_u32 v40, vcc_lo, s20, v37
	v_add_co_ci_u32_e32 v41, vcc_lo, s21, v42, vcc_lo
	s_mov_b32 s27, -1
	s_clause 0x1
	global_load_u8 v37, v[38:39], off
	global_load_u8 v42, v[40:41], off
	s_mov_b32 s34, exec_lo
	s_waitcnt vmcnt(0)
	v_cmpx_eq_u16_e64 v37, v42
	s_cbranch_execz .LBB218_92
; %bb.86:
	s_mov_b64 s[0:1], 1
	s_mov_b32 s27, 0
                                        ; implicit-def: $sgpr35
	s_set_inst_prefetch_distance 0x1
	s_branch .LBB218_89
	.p2align	6
.LBB218_87:                             ;   in Loop: Header=BB218_89 Depth=1
	v_add_co_u32 v42, vcc_lo, v38, s0
	v_add_co_ci_u32_e32 v43, vcc_lo, s1, v39, vcc_lo
	v_add_co_u32 v45, vcc_lo, v40, s0
	v_add_co_ci_u32_e32 v46, vcc_lo, s1, v41, vcc_lo
	s_add_u32 s4, s0, 1
	s_clause 0x1
	global_load_u8 v37, v[42:43], off
	global_load_u8 v42, v[45:46], off
	s_addc_u32 s5, s1, 0
	s_and_not1_b32 s35, s35, exec_lo
	s_waitcnt vmcnt(0)
	v_cmp_ne_u16_e32 vcc_lo, v37, v42
	s_and_b32 s36, vcc_lo, exec_lo
	s_delay_alu instid0(SALU_CYCLE_1)
	s_or_b32 s35, s35, s36
.LBB218_88:                             ;   in Loop: Header=BB218_89 Depth=1
	v_dual_mov_b32 v43, s1 :: v_dual_mov_b32 v42, s0
	s_and_b32 s36, exec_lo, s35
	s_mov_b64 s[0:1], s[4:5]
	s_or_b32 s27, s36, s27
	s_delay_alu instid0(SALU_CYCLE_1)
	s_and_not1_b32 exec_lo, exec_lo, s27
	s_cbranch_execz .LBB218_91
.LBB218_89:                             ; =>This Inner Loop Header: Depth=1
	s_or_b32 s35, s35, exec_lo
	s_cmp_eq_u64 s[14:15], s[0:1]
	s_cbranch_scc0 .LBB218_87
; %bb.90:                               ;   in Loop: Header=BB218_89 Depth=1
	s_mov_b64 s[0:1], s[14:15]
                                        ; implicit-def: $sgpr4_sgpr5
	s_branch .LBB218_88
.LBB218_91:
	s_set_inst_prefetch_distance 0x2
	s_or_b32 exec_lo, exec_lo, s27
	v_cmp_gt_i64_e32 vcc_lo, s[14:15], v[42:43]
	s_or_not1_b32 s27, vcc_lo, exec_lo
.LBB218_92:
	s_or_b32 exec_lo, exec_lo, s34
.LBB218_93:
	v_mul_lo_u32 v39, v32, s14
	v_mul_lo_u32 v40, v31, s15
	v_mad_u64_u32 v[37:38], null, v31, s14, 0
	s_and_not1_b32 vcc_lo, exec_lo, s7
	s_delay_alu instid0(VALU_DEP_1)
	v_add3_u32 v42, v38, v40, v39
	s_cbranch_vccnz .LBB218_102
; %bb.94:
	s_delay_alu instid0(VALU_DEP_2) | instskip(NEXT) | instid1(VALU_DEP_2)
	v_add_co_u32 v38, vcc_lo, s20, v37
	v_add_co_ci_u32_e32 v39, vcc_lo, s21, v42, vcc_lo
	v_add_co_u32 v33, vcc_lo, s20, v33
	v_add_co_ci_u32_e32 v34, vcc_lo, s21, v34, vcc_lo
	s_mov_b32 s26, -1
	s_clause 0x1
	global_load_u8 v40, v[38:39], off
	global_load_u8 v41, v[33:34], off
	s_mov_b32 s34, exec_lo
	s_waitcnt vmcnt(0)
	v_cmpx_eq_u16_e64 v40, v41
	s_cbranch_execz .LBB218_101
; %bb.95:
	s_mov_b64 s[0:1], 1
	s_mov_b32 s26, 0
                                        ; implicit-def: $sgpr35
	s_set_inst_prefetch_distance 0x1
	s_branch .LBB218_98
	.p2align	6
.LBB218_96:                             ;   in Loop: Header=BB218_98 Depth=1
	v_add_co_u32 v40, vcc_lo, v38, s0
	v_add_co_ci_u32_e32 v41, vcc_lo, s1, v39, vcc_lo
	v_add_co_u32 v45, vcc_lo, v33, s0
	v_add_co_ci_u32_e32 v46, vcc_lo, s1, v34, vcc_lo
	s_add_u32 s4, s0, 1
	s_clause 0x1
	global_load_u8 v40, v[40:41], off
	global_load_u8 v41, v[45:46], off
	s_addc_u32 s5, s1, 0
	s_and_not1_b32 s35, s35, exec_lo
	s_waitcnt vmcnt(0)
	v_cmp_ne_u16_e32 vcc_lo, v40, v41
	s_and_b32 s36, vcc_lo, exec_lo
	s_delay_alu instid0(SALU_CYCLE_1)
	s_or_b32 s35, s35, s36
.LBB218_97:                             ;   in Loop: Header=BB218_98 Depth=1
	v_dual_mov_b32 v41, s1 :: v_dual_mov_b32 v40, s0
	s_and_b32 s36, exec_lo, s35
	s_mov_b64 s[0:1], s[4:5]
	s_or_b32 s26, s36, s26
	s_delay_alu instid0(SALU_CYCLE_1)
	s_and_not1_b32 exec_lo, exec_lo, s26
	s_cbranch_execz .LBB218_100
.LBB218_98:                             ; =>This Inner Loop Header: Depth=1
	s_or_b32 s35, s35, exec_lo
	s_cmp_eq_u64 s[14:15], s[0:1]
	s_cbranch_scc0 .LBB218_96
; %bb.99:                               ;   in Loop: Header=BB218_98 Depth=1
	s_mov_b64 s[0:1], s[14:15]
                                        ; implicit-def: $sgpr4_sgpr5
	s_branch .LBB218_97
.LBB218_100:
	s_set_inst_prefetch_distance 0x2
	s_or_b32 exec_lo, exec_lo, s26
	v_cmp_gt_i64_e32 vcc_lo, s[14:15], v[40:41]
	s_or_not1_b32 s26, vcc_lo, exec_lo
.LBB218_101:
	s_or_b32 exec_lo, exec_lo, s34
.LBB218_102:
	v_mul_lo_u32 v38, v30, s14
	v_mul_lo_u32 v39, v29, s15
	v_mad_u64_u32 v[33:34], null, v29, s14, 0
	s_and_not1_b32 vcc_lo, exec_lo, s7
	s_mov_b32 s0, 0
	s_delay_alu instid0(VALU_DEP_1)
	v_add3_u32 v34, v34, v39, v38
	s_cbranch_vccnz .LBB218_111
; %bb.103:
	s_delay_alu instid0(VALU_DEP_2) | instskip(NEXT) | instid1(VALU_DEP_2)
	v_add_co_u32 v38, vcc_lo, s20, v33
	v_add_co_ci_u32_e32 v39, vcc_lo, s21, v34, vcc_lo
	v_add_co_u32 v40, vcc_lo, s20, v37
	v_add_co_ci_u32_e32 v41, vcc_lo, s21, v42, vcc_lo
	s_mov_b32 s0, -1
	s_clause 0x1
	global_load_u8 v37, v[38:39], off
	global_load_u8 v42, v[40:41], off
	s_mov_b32 s34, exec_lo
	s_waitcnt vmcnt(0)
	v_cmpx_eq_u16_e64 v37, v42
	s_cbranch_execz .LBB218_110
; %bb.104:
	s_mov_b64 s[0:1], 1
	s_mov_b32 s35, 0
                                        ; implicit-def: $sgpr36
	s_set_inst_prefetch_distance 0x1
	s_branch .LBB218_107
	.p2align	6
.LBB218_105:                            ;   in Loop: Header=BB218_107 Depth=1
	v_add_co_u32 v42, vcc_lo, v38, s0
	v_add_co_ci_u32_e32 v43, vcc_lo, s1, v39, vcc_lo
	v_add_co_u32 v45, vcc_lo, v40, s0
	v_add_co_ci_u32_e32 v46, vcc_lo, s1, v41, vcc_lo
	s_add_u32 s4, s0, 1
	s_clause 0x1
	global_load_u8 v37, v[42:43], off
	global_load_u8 v42, v[45:46], off
	s_addc_u32 s5, s1, 0
	s_and_not1_b32 s36, s36, exec_lo
	s_waitcnt vmcnt(0)
	v_cmp_ne_u16_e32 vcc_lo, v37, v42
	s_and_b32 s37, vcc_lo, exec_lo
	s_delay_alu instid0(SALU_CYCLE_1)
	s_or_b32 s36, s36, s37
.LBB218_106:                            ;   in Loop: Header=BB218_107 Depth=1
	v_dual_mov_b32 v43, s1 :: v_dual_mov_b32 v42, s0
	s_and_b32 s37, exec_lo, s36
	s_mov_b64 s[0:1], s[4:5]
	s_or_b32 s35, s37, s35
	s_delay_alu instid0(SALU_CYCLE_1)
	s_and_not1_b32 exec_lo, exec_lo, s35
	s_cbranch_execz .LBB218_109
.LBB218_107:                            ; =>This Inner Loop Header: Depth=1
	s_or_b32 s36, s36, exec_lo
	s_cmp_eq_u64 s[14:15], s[0:1]
	s_cbranch_scc0 .LBB218_105
; %bb.108:                              ;   in Loop: Header=BB218_107 Depth=1
	s_mov_b64 s[0:1], s[14:15]
                                        ; implicit-def: $sgpr4_sgpr5
	s_branch .LBB218_106
.LBB218_109:
	s_set_inst_prefetch_distance 0x2
	s_or_b32 exec_lo, exec_lo, s35
	v_cmp_gt_i64_e32 vcc_lo, s[14:15], v[42:43]
	s_or_not1_b32 s0, vcc_lo, exec_lo
.LBB218_110:
	s_or_b32 exec_lo, exec_lo, s34
.LBB218_111:
	s_waitcnt vmcnt(0)
	v_dual_mov_b32 v40, v36 :: v_dual_mov_b32 v39, v35
	s_waitcnt lgkmcnt(0)
	s_barrier
	buffer_gl0_inv
	s_and_saveexec_b32 s1, s3
	s_cbranch_execz .LBB218_113
; %bb.112:
	v_add_nc_u32_e32 v37, -8, v55
	ds_load_b64 v[39:40], v37
.LBB218_113:
	s_or_b32 exec_lo, exec_lo, s1
	v_cndmask_b32_e64 v38, 0, 1, s27
	v_cndmask_b32_e64 v42, 0, 1, s25
	;; [unrolled: 1-line block ×7, first 2 shown]
	v_lshlrev_b16 v38, 8, v38
	v_lshlrev_b16 v42, 8, v42
	;; [unrolled: 1-line block ×4, first 2 shown]
	s_mov_b32 s6, 0
	v_or_b32_e32 v37, v37, v38
	v_or_b32_e32 v38, v41, v42
	;; [unrolled: 1-line block ×3, first 2 shown]
	v_and_b32_e32 v41, 0xffff, v45
	s_and_not1_b32 vcc_lo, exec_lo, s7
	v_lshlrev_b32_e32 v42, 16, v37
	v_and_b32_e32 v43, 0xffff, v38
	v_lshlrev_b32_e32 v45, 16, v46
	s_mov_b32 s0, 0
	s_cbranch_vccnz .LBB218_122
; %bb.114:
	s_waitcnt lgkmcnt(0)
	v_mad_u64_u32 v[37:38], null, v39, s14, s[20:21]
	v_mul_lo_u32 v39, v39, s15
	v_mul_lo_u32 v40, v40, s14
	v_add_co_u32 v33, vcc_lo, s20, v33
	v_add_co_ci_u32_e32 v34, vcc_lo, s21, v34, vcc_lo
	s_mov_b32 s0, -1
	s_mov_b32 s13, exec_lo
	s_delay_alu instid0(VALU_DEP_3)
	v_add3_u32 v38, v40, v38, v39
	s_clause 0x1
	global_load_u8 v39, v[37:38], off
	global_load_u8 v40, v[33:34], off
	s_waitcnt vmcnt(0)
	v_cmpx_eq_u16_e64 v39, v40
	s_cbranch_execz .LBB218_121
; %bb.115:
	s_mov_b64 s[0:1], 1
	s_mov_b32 s24, 0
                                        ; implicit-def: $sgpr25
	s_set_inst_prefetch_distance 0x1
	s_branch .LBB218_118
	.p2align	6
.LBB218_116:                            ;   in Loop: Header=BB218_118 Depth=1
	v_add_co_u32 v39, vcc_lo, v37, s0
	v_add_co_ci_u32_e32 v40, vcc_lo, s1, v38, vcc_lo
	v_add_co_u32 v46, vcc_lo, v33, s0
	v_add_co_ci_u32_e32 v47, vcc_lo, s1, v34, vcc_lo
	s_add_u32 s4, s0, 1
	s_clause 0x1
	global_load_u8 v39, v[39:40], off
	global_load_u8 v40, v[46:47], off
	s_addc_u32 s5, s1, 0
	s_and_not1_b32 s25, s25, exec_lo
	s_waitcnt vmcnt(0)
	v_cmp_ne_u16_e32 vcc_lo, v39, v40
	s_and_b32 s26, vcc_lo, exec_lo
	s_delay_alu instid0(SALU_CYCLE_1)
	s_or_b32 s25, s25, s26
.LBB218_117:                            ;   in Loop: Header=BB218_118 Depth=1
	v_dual_mov_b32 v40, s1 :: v_dual_mov_b32 v39, s0
	s_and_b32 s26, exec_lo, s25
	s_mov_b64 s[0:1], s[4:5]
	s_or_b32 s24, s26, s24
	s_delay_alu instid0(SALU_CYCLE_1)
	s_and_not1_b32 exec_lo, exec_lo, s24
	s_cbranch_execz .LBB218_120
.LBB218_118:                            ; =>This Inner Loop Header: Depth=1
	s_or_b32 s25, s25, exec_lo
	s_cmp_eq_u64 s[14:15], s[0:1]
	s_cbranch_scc0 .LBB218_116
; %bb.119:                              ;   in Loop: Header=BB218_118 Depth=1
	s_mov_b64 s[0:1], s[14:15]
                                        ; implicit-def: $sgpr4_sgpr5
	s_branch .LBB218_117
.LBB218_120:
	s_set_inst_prefetch_distance 0x2
	s_or_b32 exec_lo, exec_lo, s24
	v_cmp_gt_i64_e32 vcc_lo, s[14:15], v[39:40]
	s_or_not1_b32 s0, vcc_lo, exec_lo
.LBB218_121:
	s_or_b32 exec_lo, exec_lo, s13
.LBB218_122:
	v_or_b32_e32 v33, v41, v42
	s_delay_alu instid0(VALU_DEP_2)
	v_or_b32_e32 v34, v43, v45
	s_and_b32 vcc_lo, exec_lo, s6
	s_cbranch_vccz .LBB218_214
.LBB218_123:
	v_or_b32_e32 v33, 7, v55
	s_mov_b32 s6, 0
	s_mov_b32 s13, 0
	s_mov_b32 s24, exec_lo
	s_delay_alu instid0(VALU_DEP_1)
	v_cmpx_gt_u32_e64 s31, v33
	s_cbranch_execz .LBB218_134
; %bb.124:
	s_and_not1_b32 vcc_lo, exec_lo, s7
	s_mov_b32 s0, 0
	s_cbranch_vccnz .LBB218_133
; %bb.125:
	v_mad_u64_u32 v[33:34], null, v17, s14, s[20:21]
	s_waitcnt lgkmcnt(0)
	v_mul_lo_u32 v39, v17, s15
	v_mul_lo_u32 v40, v18, s14
	v_mad_u64_u32 v[37:38], null, v19, s14, s[20:21]
	v_mul_lo_u32 v41, v19, s15
	v_mul_lo_u32 v42, v20, s14
	s_mov_b32 s0, -1
	s_mov_b32 s7, exec_lo
	s_delay_alu instid0(VALU_DEP_4) | instskip(NEXT) | instid1(VALU_DEP_2)
	v_add3_u32 v34, v40, v34, v39
	v_add3_u32 v38, v42, v38, v41
	s_clause 0x1
	global_load_u8 v39, v[33:34], off
	global_load_u8 v40, v[37:38], off
	s_waitcnt vmcnt(0)
	v_cmpx_eq_u16_e64 v39, v40
	s_cbranch_execz .LBB218_132
; %bb.126:
	s_mov_b64 s[0:1], 1
                                        ; implicit-def: $sgpr25
	s_set_inst_prefetch_distance 0x1
	s_branch .LBB218_129
	.p2align	6
.LBB218_127:                            ;   in Loop: Header=BB218_129 Depth=1
	v_add_co_u32 v39, vcc_lo, v33, s0
	v_add_co_ci_u32_e32 v40, vcc_lo, s1, v34, vcc_lo
	v_add_co_u32 v41, vcc_lo, v37, s0
	v_add_co_ci_u32_e32 v42, vcc_lo, s1, v38, vcc_lo
	s_add_u32 s4, s0, 1
	s_clause 0x1
	global_load_u8 v39, v[39:40], off
	global_load_u8 v40, v[41:42], off
	s_addc_u32 s5, s1, 0
	s_and_not1_b32 s25, s25, exec_lo
	s_waitcnt vmcnt(0)
	v_cmp_ne_u16_e32 vcc_lo, v39, v40
	s_and_b32 s26, vcc_lo, exec_lo
	s_delay_alu instid0(SALU_CYCLE_1)
	s_or_b32 s25, s25, s26
.LBB218_128:                            ;   in Loop: Header=BB218_129 Depth=1
	v_dual_mov_b32 v40, s1 :: v_dual_mov_b32 v39, s0
	s_and_b32 s26, exec_lo, s25
	s_mov_b64 s[0:1], s[4:5]
	s_or_b32 s13, s26, s13
	s_delay_alu instid0(SALU_CYCLE_1)
	s_and_not1_b32 exec_lo, exec_lo, s13
	s_cbranch_execz .LBB218_131
.LBB218_129:                            ; =>This Inner Loop Header: Depth=1
	s_or_b32 s25, s25, exec_lo
	s_cmp_eq_u64 s[14:15], s[0:1]
	s_cbranch_scc0 .LBB218_127
; %bb.130:                              ;   in Loop: Header=BB218_129 Depth=1
	s_mov_b64 s[0:1], s[14:15]
                                        ; implicit-def: $sgpr4_sgpr5
	s_branch .LBB218_128
.LBB218_131:
	s_set_inst_prefetch_distance 0x2
	s_or_b32 exec_lo, exec_lo, s13
	v_cmp_gt_i64_e32 vcc_lo, s[14:15], v[39:40]
	s_or_not1_b32 s0, vcc_lo, exec_lo
.LBB218_132:
	s_or_b32 exec_lo, exec_lo, s7
.LBB218_133:
	s_delay_alu instid0(SALU_CYCLE_1)
	s_and_b32 s13, s0, exec_lo
.LBB218_134:
	s_or_b32 exec_lo, exec_lo, s24
	v_or_b32_e32 v33, 6, v55
	s_mov_b32 s7, exec_lo
	s_delay_alu instid0(VALU_DEP_1)
	v_cmpx_gt_u32_e64 s31, v33
	s_cbranch_execz .LBB218_145
; %bb.135:
	v_cmp_ne_u32_e32 vcc_lo, 1, v44
	s_mov_b32 s0, 0
	s_cbranch_vccnz .LBB218_144
; %bb.136:
	v_mad_u64_u32 v[33:34], null, v23, s14, s[20:21]
	s_waitcnt lgkmcnt(0)
	v_mul_lo_u32 v39, v23, s15
	v_mul_lo_u32 v40, v24, s14
	v_mad_u64_u32 v[37:38], null, v17, s14, s[20:21]
	v_mul_lo_u32 v41, v17, s15
	v_mul_lo_u32 v42, v18, s14
	s_mov_b32 s0, -1
	s_mov_b32 s6, exec_lo
	s_delay_alu instid0(VALU_DEP_4) | instskip(NEXT) | instid1(VALU_DEP_2)
	v_add3_u32 v34, v40, v34, v39
	v_add3_u32 v38, v42, v38, v41
	s_clause 0x1
	global_load_u8 v39, v[33:34], off
	global_load_u8 v40, v[37:38], off
	s_waitcnt vmcnt(0)
	v_cmpx_eq_u16_e64 v39, v40
	s_cbranch_execz .LBB218_143
; %bb.137:
	s_mov_b64 s[0:1], 1
	s_mov_b32 s24, 0
                                        ; implicit-def: $sgpr25
	s_set_inst_prefetch_distance 0x1
	s_branch .LBB218_140
	.p2align	6
.LBB218_138:                            ;   in Loop: Header=BB218_140 Depth=1
	v_add_co_u32 v39, vcc_lo, v33, s0
	v_add_co_ci_u32_e32 v40, vcc_lo, s1, v34, vcc_lo
	v_add_co_u32 v41, vcc_lo, v37, s0
	v_add_co_ci_u32_e32 v42, vcc_lo, s1, v38, vcc_lo
	s_add_u32 s4, s0, 1
	s_clause 0x1
	global_load_u8 v39, v[39:40], off
	global_load_u8 v40, v[41:42], off
	s_addc_u32 s5, s1, 0
	s_and_not1_b32 s25, s25, exec_lo
	s_waitcnt vmcnt(0)
	v_cmp_ne_u16_e32 vcc_lo, v39, v40
	s_and_b32 s26, vcc_lo, exec_lo
	s_delay_alu instid0(SALU_CYCLE_1)
	s_or_b32 s25, s25, s26
.LBB218_139:                            ;   in Loop: Header=BB218_140 Depth=1
	v_dual_mov_b32 v40, s1 :: v_dual_mov_b32 v39, s0
	s_and_b32 s26, exec_lo, s25
	s_mov_b64 s[0:1], s[4:5]
	s_or_b32 s24, s26, s24
	s_delay_alu instid0(SALU_CYCLE_1)
	s_and_not1_b32 exec_lo, exec_lo, s24
	s_cbranch_execz .LBB218_142
.LBB218_140:                            ; =>This Inner Loop Header: Depth=1
	s_or_b32 s25, s25, exec_lo
	s_cmp_eq_u64 s[14:15], s[0:1]
	s_cbranch_scc0 .LBB218_138
; %bb.141:                              ;   in Loop: Header=BB218_140 Depth=1
	s_mov_b64 s[0:1], s[14:15]
                                        ; implicit-def: $sgpr4_sgpr5
	s_branch .LBB218_139
.LBB218_142:
	s_set_inst_prefetch_distance 0x2
	s_or_b32 exec_lo, exec_lo, s24
	v_cmp_gt_i64_e32 vcc_lo, s[14:15], v[39:40]
	s_or_not1_b32 s0, vcc_lo, exec_lo
.LBB218_143:
	s_or_b32 exec_lo, exec_lo, s6
.LBB218_144:
	s_delay_alu instid0(SALU_CYCLE_1)
	s_and_b32 s6, s0, exec_lo
.LBB218_145:
	s_or_b32 exec_lo, exec_lo, s7
	v_or_b32_e32 v33, 5, v55
	s_mov_b32 s24, 0
	s_mov_b32 s7, 0
	s_mov_b32 s25, exec_lo
	s_delay_alu instid0(VALU_DEP_1)
	v_cmpx_gt_u32_e64 s31, v33
	s_cbranch_execz .LBB218_156
; %bb.146:
	v_cmp_ne_u32_e32 vcc_lo, 1, v44
	s_mov_b32 s0, 0
	s_cbranch_vccnz .LBB218_155
; %bb.147:
	v_mad_u64_u32 v[33:34], null, v21, s14, s[20:21]
	s_waitcnt lgkmcnt(0)
	v_mul_lo_u32 v39, v21, s15
	v_mul_lo_u32 v40, v22, s14
	v_mad_u64_u32 v[37:38], null, v23, s14, s[20:21]
	v_mul_lo_u32 v41, v23, s15
	v_mul_lo_u32 v42, v24, s14
	s_mov_b32 s0, -1
	s_mov_b32 s7, exec_lo
	s_delay_alu instid0(VALU_DEP_4) | instskip(NEXT) | instid1(VALU_DEP_2)
	v_add3_u32 v34, v40, v34, v39
	v_add3_u32 v38, v42, v38, v41
	s_clause 0x1
	global_load_u8 v39, v[33:34], off
	global_load_u8 v40, v[37:38], off
	s_waitcnt vmcnt(0)
	v_cmpx_eq_u16_e64 v39, v40
	s_cbranch_execz .LBB218_154
; %bb.148:
	s_mov_b64 s[0:1], 1
	s_mov_b32 s26, 0
                                        ; implicit-def: $sgpr27
	s_set_inst_prefetch_distance 0x1
	s_branch .LBB218_151
	.p2align	6
.LBB218_149:                            ;   in Loop: Header=BB218_151 Depth=1
	v_add_co_u32 v39, vcc_lo, v33, s0
	v_add_co_ci_u32_e32 v40, vcc_lo, s1, v34, vcc_lo
	v_add_co_u32 v41, vcc_lo, v37, s0
	v_add_co_ci_u32_e32 v42, vcc_lo, s1, v38, vcc_lo
	s_add_u32 s4, s0, 1
	s_clause 0x1
	global_load_u8 v39, v[39:40], off
	global_load_u8 v40, v[41:42], off
	s_addc_u32 s5, s1, 0
	s_and_not1_b32 s27, s27, exec_lo
	s_waitcnt vmcnt(0)
	v_cmp_ne_u16_e32 vcc_lo, v39, v40
	s_and_b32 s34, vcc_lo, exec_lo
	s_delay_alu instid0(SALU_CYCLE_1)
	s_or_b32 s27, s27, s34
.LBB218_150:                            ;   in Loop: Header=BB218_151 Depth=1
	v_dual_mov_b32 v40, s1 :: v_dual_mov_b32 v39, s0
	s_and_b32 s34, exec_lo, s27
	s_mov_b64 s[0:1], s[4:5]
	s_or_b32 s26, s34, s26
	s_delay_alu instid0(SALU_CYCLE_1)
	s_and_not1_b32 exec_lo, exec_lo, s26
	s_cbranch_execz .LBB218_153
.LBB218_151:                            ; =>This Inner Loop Header: Depth=1
	s_or_b32 s27, s27, exec_lo
	s_cmp_eq_u64 s[14:15], s[0:1]
	s_cbranch_scc0 .LBB218_149
; %bb.152:                              ;   in Loop: Header=BB218_151 Depth=1
	s_mov_b64 s[0:1], s[14:15]
                                        ; implicit-def: $sgpr4_sgpr5
	s_branch .LBB218_150
.LBB218_153:
	s_set_inst_prefetch_distance 0x2
	s_or_b32 exec_lo, exec_lo, s26
	v_cmp_gt_i64_e32 vcc_lo, s[14:15], v[39:40]
	s_or_not1_b32 s0, vcc_lo, exec_lo
.LBB218_154:
	s_or_b32 exec_lo, exec_lo, s7
.LBB218_155:
	s_delay_alu instid0(SALU_CYCLE_1)
	s_and_b32 s7, s0, exec_lo
.LBB218_156:
	s_or_b32 exec_lo, exec_lo, s25
	v_or_b32_e32 v33, 4, v55
	s_mov_b32 s25, exec_lo
	s_delay_alu instid0(VALU_DEP_1)
	v_cmpx_gt_u32_e64 s31, v33
	s_cbranch_execz .LBB218_167
; %bb.157:
	v_cmp_ne_u32_e32 vcc_lo, 1, v44
	s_mov_b32 s0, 0
	s_cbranch_vccnz .LBB218_166
; %bb.158:
	v_mad_u64_u32 v[33:34], null, v27, s14, s[20:21]
	s_waitcnt lgkmcnt(0)
	v_mul_lo_u32 v39, v27, s15
	v_mul_lo_u32 v40, v28, s14
	v_mad_u64_u32 v[37:38], null, v21, s14, s[20:21]
	v_mul_lo_u32 v41, v21, s15
	v_mul_lo_u32 v42, v22, s14
	s_mov_b32 s0, -1
	s_mov_b32 s24, exec_lo
	s_delay_alu instid0(VALU_DEP_4) | instskip(NEXT) | instid1(VALU_DEP_2)
	v_add3_u32 v34, v40, v34, v39
	v_add3_u32 v38, v42, v38, v41
	s_clause 0x1
	global_load_u8 v39, v[33:34], off
	global_load_u8 v40, v[37:38], off
	s_waitcnt vmcnt(0)
	v_cmpx_eq_u16_e64 v39, v40
	s_cbranch_execz .LBB218_165
; %bb.159:
	s_mov_b64 s[0:1], 1
	s_mov_b32 s26, 0
                                        ; implicit-def: $sgpr27
	s_set_inst_prefetch_distance 0x1
	s_branch .LBB218_162
	.p2align	6
.LBB218_160:                            ;   in Loop: Header=BB218_162 Depth=1
	v_add_co_u32 v39, vcc_lo, v33, s0
	v_add_co_ci_u32_e32 v40, vcc_lo, s1, v34, vcc_lo
	v_add_co_u32 v41, vcc_lo, v37, s0
	v_add_co_ci_u32_e32 v42, vcc_lo, s1, v38, vcc_lo
	s_add_u32 s4, s0, 1
	s_clause 0x1
	global_load_u8 v39, v[39:40], off
	global_load_u8 v40, v[41:42], off
	s_addc_u32 s5, s1, 0
	s_and_not1_b32 s27, s27, exec_lo
	s_waitcnt vmcnt(0)
	v_cmp_ne_u16_e32 vcc_lo, v39, v40
	s_and_b32 s34, vcc_lo, exec_lo
	s_delay_alu instid0(SALU_CYCLE_1)
	s_or_b32 s27, s27, s34
.LBB218_161:                            ;   in Loop: Header=BB218_162 Depth=1
	v_dual_mov_b32 v40, s1 :: v_dual_mov_b32 v39, s0
	s_and_b32 s34, exec_lo, s27
	s_mov_b64 s[0:1], s[4:5]
	s_or_b32 s26, s34, s26
	s_delay_alu instid0(SALU_CYCLE_1)
	s_and_not1_b32 exec_lo, exec_lo, s26
	s_cbranch_execz .LBB218_164
.LBB218_162:                            ; =>This Inner Loop Header: Depth=1
	s_or_b32 s27, s27, exec_lo
	s_cmp_eq_u64 s[14:15], s[0:1]
	s_cbranch_scc0 .LBB218_160
; %bb.163:                              ;   in Loop: Header=BB218_162 Depth=1
	s_mov_b64 s[0:1], s[14:15]
                                        ; implicit-def: $sgpr4_sgpr5
	s_branch .LBB218_161
.LBB218_164:
	s_set_inst_prefetch_distance 0x2
	s_or_b32 exec_lo, exec_lo, s26
	v_cmp_gt_i64_e32 vcc_lo, s[14:15], v[39:40]
	s_or_not1_b32 s0, vcc_lo, exec_lo
.LBB218_165:
	s_or_b32 exec_lo, exec_lo, s24
.LBB218_166:
	s_delay_alu instid0(SALU_CYCLE_1)
	s_and_b32 s24, s0, exec_lo
.LBB218_167:
	s_or_b32 exec_lo, exec_lo, s25
	v_or_b32_e32 v33, 3, v55
	s_mov_b32 s26, 0
	s_mov_b32 s25, 0
	s_mov_b32 s27, exec_lo
	s_delay_alu instid0(VALU_DEP_1)
	v_cmpx_gt_u32_e64 s31, v33
	s_cbranch_execz .LBB218_178
; %bb.168:
	v_cmp_ne_u32_e32 vcc_lo, 1, v44
	s_mov_b32 s0, 0
	s_cbranch_vccnz .LBB218_177
; %bb.169:
	v_mad_u64_u32 v[33:34], null, v25, s14, s[20:21]
	s_waitcnt lgkmcnt(0)
	v_mul_lo_u32 v39, v25, s15
	v_mul_lo_u32 v40, v26, s14
	v_mad_u64_u32 v[37:38], null, v27, s14, s[20:21]
	v_mul_lo_u32 v41, v27, s15
	v_mul_lo_u32 v42, v28, s14
	s_mov_b32 s0, -1
	s_mov_b32 s25, exec_lo
	s_delay_alu instid0(VALU_DEP_4) | instskip(NEXT) | instid1(VALU_DEP_2)
	v_add3_u32 v34, v40, v34, v39
	v_add3_u32 v38, v42, v38, v41
	s_clause 0x1
	global_load_u8 v39, v[33:34], off
	global_load_u8 v40, v[37:38], off
	s_waitcnt vmcnt(0)
	v_cmpx_eq_u16_e64 v39, v40
	s_cbranch_execz .LBB218_176
; %bb.170:
	s_mov_b64 s[0:1], 1
	s_mov_b32 s34, 0
                                        ; implicit-def: $sgpr35
	s_set_inst_prefetch_distance 0x1
	s_branch .LBB218_173
	.p2align	6
.LBB218_171:                            ;   in Loop: Header=BB218_173 Depth=1
	v_add_co_u32 v39, vcc_lo, v33, s0
	v_add_co_ci_u32_e32 v40, vcc_lo, s1, v34, vcc_lo
	v_add_co_u32 v41, vcc_lo, v37, s0
	v_add_co_ci_u32_e32 v42, vcc_lo, s1, v38, vcc_lo
	s_add_u32 s4, s0, 1
	s_clause 0x1
	global_load_u8 v39, v[39:40], off
	global_load_u8 v40, v[41:42], off
	s_addc_u32 s5, s1, 0
	s_and_not1_b32 s35, s35, exec_lo
	s_waitcnt vmcnt(0)
	v_cmp_ne_u16_e32 vcc_lo, v39, v40
	s_and_b32 s36, vcc_lo, exec_lo
	s_delay_alu instid0(SALU_CYCLE_1)
	s_or_b32 s35, s35, s36
.LBB218_172:                            ;   in Loop: Header=BB218_173 Depth=1
	v_dual_mov_b32 v40, s1 :: v_dual_mov_b32 v39, s0
	s_and_b32 s36, exec_lo, s35
	s_mov_b64 s[0:1], s[4:5]
	s_or_b32 s34, s36, s34
	s_delay_alu instid0(SALU_CYCLE_1)
	s_and_not1_b32 exec_lo, exec_lo, s34
	s_cbranch_execz .LBB218_175
.LBB218_173:                            ; =>This Inner Loop Header: Depth=1
	s_or_b32 s35, s35, exec_lo
	s_cmp_eq_u64 s[14:15], s[0:1]
	s_cbranch_scc0 .LBB218_171
; %bb.174:                              ;   in Loop: Header=BB218_173 Depth=1
	s_mov_b64 s[0:1], s[14:15]
                                        ; implicit-def: $sgpr4_sgpr5
	s_branch .LBB218_172
.LBB218_175:
	s_set_inst_prefetch_distance 0x2
	s_or_b32 exec_lo, exec_lo, s34
	v_cmp_gt_i64_e32 vcc_lo, s[14:15], v[39:40]
	s_or_not1_b32 s0, vcc_lo, exec_lo
.LBB218_176:
	s_or_b32 exec_lo, exec_lo, s25
.LBB218_177:
	s_delay_alu instid0(SALU_CYCLE_1)
	s_and_b32 s25, s0, exec_lo
.LBB218_178:
	s_or_b32 exec_lo, exec_lo, s27
	v_or_b32_e32 v33, 2, v55
	s_mov_b32 s27, exec_lo
	s_delay_alu instid0(VALU_DEP_1)
	v_cmpx_gt_u32_e64 s31, v33
	s_cbranch_execz .LBB218_189
; %bb.179:
	v_cmp_ne_u32_e32 vcc_lo, 1, v44
	s_mov_b32 s0, 0
	s_cbranch_vccnz .LBB218_188
; %bb.180:
	v_mad_u64_u32 v[33:34], null, v31, s14, s[20:21]
	s_waitcnt lgkmcnt(0)
	v_mul_lo_u32 v39, v31, s15
	v_mul_lo_u32 v40, v32, s14
	v_mad_u64_u32 v[37:38], null, v25, s14, s[20:21]
	v_mul_lo_u32 v41, v25, s15
	v_mul_lo_u32 v42, v26, s14
	s_mov_b32 s0, -1
	s_mov_b32 s26, exec_lo
	s_delay_alu instid0(VALU_DEP_4) | instskip(NEXT) | instid1(VALU_DEP_2)
	v_add3_u32 v34, v40, v34, v39
	v_add3_u32 v38, v42, v38, v41
	s_clause 0x1
	global_load_u8 v39, v[33:34], off
	global_load_u8 v40, v[37:38], off
	s_waitcnt vmcnt(0)
	v_cmpx_eq_u16_e64 v39, v40
	s_cbranch_execz .LBB218_187
; %bb.181:
	s_mov_b64 s[0:1], 1
	s_mov_b32 s34, 0
                                        ; implicit-def: $sgpr35
	s_set_inst_prefetch_distance 0x1
	s_branch .LBB218_184
	.p2align	6
.LBB218_182:                            ;   in Loop: Header=BB218_184 Depth=1
	v_add_co_u32 v39, vcc_lo, v33, s0
	v_add_co_ci_u32_e32 v40, vcc_lo, s1, v34, vcc_lo
	v_add_co_u32 v41, vcc_lo, v37, s0
	v_add_co_ci_u32_e32 v42, vcc_lo, s1, v38, vcc_lo
	s_add_u32 s4, s0, 1
	s_clause 0x1
	global_load_u8 v39, v[39:40], off
	global_load_u8 v40, v[41:42], off
	s_addc_u32 s5, s1, 0
	s_and_not1_b32 s35, s35, exec_lo
	s_waitcnt vmcnt(0)
	v_cmp_ne_u16_e32 vcc_lo, v39, v40
	s_and_b32 s36, vcc_lo, exec_lo
	s_delay_alu instid0(SALU_CYCLE_1)
	s_or_b32 s35, s35, s36
.LBB218_183:                            ;   in Loop: Header=BB218_184 Depth=1
	v_dual_mov_b32 v40, s1 :: v_dual_mov_b32 v39, s0
	s_and_b32 s36, exec_lo, s35
	s_mov_b64 s[0:1], s[4:5]
	s_or_b32 s34, s36, s34
	s_delay_alu instid0(SALU_CYCLE_1)
	s_and_not1_b32 exec_lo, exec_lo, s34
	s_cbranch_execz .LBB218_186
.LBB218_184:                            ; =>This Inner Loop Header: Depth=1
	s_or_b32 s35, s35, exec_lo
	s_cmp_eq_u64 s[14:15], s[0:1]
	s_cbranch_scc0 .LBB218_182
; %bb.185:                              ;   in Loop: Header=BB218_184 Depth=1
	s_mov_b64 s[0:1], s[14:15]
                                        ; implicit-def: $sgpr4_sgpr5
	s_branch .LBB218_183
.LBB218_186:
	s_set_inst_prefetch_distance 0x2
	s_or_b32 exec_lo, exec_lo, s34
	v_cmp_gt_i64_e32 vcc_lo, s[14:15], v[39:40]
	s_or_not1_b32 s0, vcc_lo, exec_lo
.LBB218_187:
	s_or_b32 exec_lo, exec_lo, s26
.LBB218_188:
	s_delay_alu instid0(SALU_CYCLE_1)
	s_and_b32 s26, s0, exec_lo
.LBB218_189:
	s_or_b32 exec_lo, exec_lo, s27
	v_or_b32_e32 v33, 1, v55
	s_mov_b32 s0, 0
	s_mov_b32 s27, exec_lo
	s_delay_alu instid0(VALU_DEP_1)
	v_cmpx_gt_u32_e64 s31, v33
	s_cbranch_execz .LBB218_200
; %bb.190:
	v_cmp_ne_u32_e32 vcc_lo, 1, v44
	s_cbranch_vccnz .LBB218_199
; %bb.191:
	v_mad_u64_u32 v[33:34], null, v29, s14, s[20:21]
	s_waitcnt lgkmcnt(0)
	v_mul_lo_u32 v39, v29, s15
	v_mul_lo_u32 v40, v30, s14
	v_mad_u64_u32 v[37:38], null, v31, s14, s[20:21]
	v_mul_lo_u32 v41, v31, s15
	v_mul_lo_u32 v42, v32, s14
	s_mov_b32 s0, -1
	s_mov_b32 s34, exec_lo
	s_delay_alu instid0(VALU_DEP_4) | instskip(NEXT) | instid1(VALU_DEP_2)
	v_add3_u32 v34, v40, v34, v39
	v_add3_u32 v38, v42, v38, v41
	s_clause 0x1
	global_load_u8 v39, v[33:34], off
	global_load_u8 v40, v[37:38], off
	s_waitcnt vmcnt(0)
	v_cmpx_eq_u16_e64 v39, v40
	s_cbranch_execz .LBB218_198
; %bb.192:
	s_mov_b64 s[0:1], 1
	s_mov_b32 s35, 0
                                        ; implicit-def: $sgpr36
	s_set_inst_prefetch_distance 0x1
	s_branch .LBB218_195
	.p2align	6
.LBB218_193:                            ;   in Loop: Header=BB218_195 Depth=1
	v_add_co_u32 v39, vcc_lo, v33, s0
	v_add_co_ci_u32_e32 v40, vcc_lo, s1, v34, vcc_lo
	v_add_co_u32 v41, vcc_lo, v37, s0
	v_add_co_ci_u32_e32 v42, vcc_lo, s1, v38, vcc_lo
	s_add_u32 s4, s0, 1
	s_clause 0x1
	global_load_u8 v39, v[39:40], off
	global_load_u8 v40, v[41:42], off
	s_addc_u32 s5, s1, 0
	s_and_not1_b32 s36, s36, exec_lo
	s_waitcnt vmcnt(0)
	v_cmp_ne_u16_e32 vcc_lo, v39, v40
	s_and_b32 s37, vcc_lo, exec_lo
	s_delay_alu instid0(SALU_CYCLE_1)
	s_or_b32 s36, s36, s37
.LBB218_194:                            ;   in Loop: Header=BB218_195 Depth=1
	v_dual_mov_b32 v40, s1 :: v_dual_mov_b32 v39, s0
	s_and_b32 s37, exec_lo, s36
	s_mov_b64 s[0:1], s[4:5]
	s_or_b32 s35, s37, s35
	s_delay_alu instid0(SALU_CYCLE_1)
	s_and_not1_b32 exec_lo, exec_lo, s35
	s_cbranch_execz .LBB218_197
.LBB218_195:                            ; =>This Inner Loop Header: Depth=1
	s_or_b32 s36, s36, exec_lo
	s_cmp_eq_u64 s[14:15], s[0:1]
	s_cbranch_scc0 .LBB218_193
; %bb.196:                              ;   in Loop: Header=BB218_195 Depth=1
	s_mov_b64 s[0:1], s[14:15]
                                        ; implicit-def: $sgpr4_sgpr5
	s_branch .LBB218_194
.LBB218_197:
	s_set_inst_prefetch_distance 0x2
	s_or_b32 exec_lo, exec_lo, s35
	v_cmp_gt_i64_e32 vcc_lo, s[14:15], v[39:40]
	s_or_not1_b32 s0, vcc_lo, exec_lo
.LBB218_198:
	s_or_b32 exec_lo, exec_lo, s34
.LBB218_199:
	s_delay_alu instid0(SALU_CYCLE_1)
	s_and_b32 s0, s0, exec_lo
.LBB218_200:
	s_or_b32 exec_lo, exec_lo, s27
	s_waitcnt vmcnt(0) lgkmcnt(0)
	s_barrier
	buffer_gl0_inv
	s_and_saveexec_b32 s1, s3
	s_cbranch_execz .LBB218_202
; %bb.201:
	v_add_nc_u32_e32 v33, -8, v55
	ds_load_b64 v[35:36], v33
.LBB218_202:
	s_or_b32 exec_lo, exec_lo, s1
	v_cndmask_b32_e64 v34, 0, 1, s25
	v_cndmask_b32_e64 v38, 0, 1, s7
	;; [unrolled: 1-line block ×7, first 2 shown]
	v_lshlrev_b16 v34, 8, v34
	v_lshlrev_b16 v38, 8, v38
	;; [unrolled: 1-line block ×3, first 2 shown]
	s_mov_b32 s0, 0
	v_lshlrev_b16 v41, 8, v41
	v_or_b32_e32 v33, v33, v34
	v_or_b32_e32 v34, v37, v38
	;; [unrolled: 1-line block ×3, first 2 shown]
	s_mov_b32 s6, exec_lo
	v_and_b32_e32 v39, 0xffff, v41
	v_lshlrev_b32_e32 v40, 16, v33
	v_and_b32_e32 v41, 0xffff, v34
	v_lshlrev_b32_e32 v42, 16, v37
	v_cmpx_gt_u32_e64 s31, v55
	s_cbranch_execz .LBB218_213
; %bb.203:
	v_cmp_ne_u32_e32 vcc_lo, 1, v44
	s_cbranch_vccnz .LBB218_212
; %bb.204:
	s_waitcnt lgkmcnt(0)
	v_mad_u64_u32 v[33:34], null, v35, s14, s[20:21]
	v_mul_lo_u32 v37, v35, s15
	v_mul_lo_u32 v38, v36, s14
	v_mad_u64_u32 v[35:36], null, v29, s14, s[20:21]
	v_mul_lo_u32 v43, v29, s15
	v_mul_lo_u32 v44, v30, s14
	s_mov_b32 s0, -1
	s_mov_b32 s7, exec_lo
	s_delay_alu instid0(VALU_DEP_4) | instskip(NEXT) | instid1(VALU_DEP_2)
	v_add3_u32 v34, v38, v34, v37
	v_add3_u32 v36, v44, v36, v43
	s_clause 0x1
	global_load_u8 v37, v[33:34], off
	global_load_u8 v38, v[35:36], off
	s_waitcnt vmcnt(0)
	v_cmpx_eq_u16_e64 v37, v38
	s_cbranch_execz .LBB218_211
; %bb.205:
	s_mov_b64 s[0:1], 1
	s_mov_b32 s13, 0
                                        ; implicit-def: $sgpr24
	s_set_inst_prefetch_distance 0x1
	s_branch .LBB218_208
	.p2align	6
.LBB218_206:                            ;   in Loop: Header=BB218_208 Depth=1
	v_add_co_u32 v37, vcc_lo, v33, s0
	v_add_co_ci_u32_e32 v38, vcc_lo, s1, v34, vcc_lo
	v_add_co_u32 v43, vcc_lo, v35, s0
	v_add_co_ci_u32_e32 v44, vcc_lo, s1, v36, vcc_lo
	s_add_u32 s4, s0, 1
	s_clause 0x1
	global_load_u8 v37, v[37:38], off
	global_load_u8 v38, v[43:44], off
	s_addc_u32 s5, s1, 0
	s_and_not1_b32 s24, s24, exec_lo
	s_waitcnt vmcnt(0)
	v_cmp_ne_u16_e32 vcc_lo, v37, v38
	s_and_b32 s25, vcc_lo, exec_lo
	s_delay_alu instid0(SALU_CYCLE_1)
	s_or_b32 s24, s24, s25
.LBB218_207:                            ;   in Loop: Header=BB218_208 Depth=1
	v_dual_mov_b32 v38, s1 :: v_dual_mov_b32 v37, s0
	s_and_b32 s25, exec_lo, s24
	s_mov_b64 s[0:1], s[4:5]
	s_or_b32 s13, s25, s13
	s_delay_alu instid0(SALU_CYCLE_1)
	s_and_not1_b32 exec_lo, exec_lo, s13
	s_cbranch_execz .LBB218_210
.LBB218_208:                            ; =>This Inner Loop Header: Depth=1
	s_or_b32 s24, s24, exec_lo
	s_cmp_eq_u64 s[14:15], s[0:1]
	s_cbranch_scc0 .LBB218_206
; %bb.209:                              ;   in Loop: Header=BB218_208 Depth=1
	s_mov_b64 s[0:1], s[14:15]
                                        ; implicit-def: $sgpr4_sgpr5
	s_branch .LBB218_207
.LBB218_210:
	s_set_inst_prefetch_distance 0x2
	s_or_b32 exec_lo, exec_lo, s13
	v_cmp_gt_i64_e32 vcc_lo, s[14:15], v[37:38]
	s_or_not1_b32 s0, vcc_lo, exec_lo
.LBB218_211:
	s_or_b32 exec_lo, exec_lo, s7
.LBB218_212:
	s_delay_alu instid0(SALU_CYCLE_1)
	s_and_b32 s0, s0, exec_lo
.LBB218_213:
	s_or_b32 exec_lo, exec_lo, s6
	v_or_b32_e32 v33, v39, v40
	v_or_b32_e32 v34, v41, v42
.LBB218_214:
	s_mov_b32 s6, -1
	s_cbranch_execnz .LBB218_383
.LBB218_215:
	v_cmp_gt_i64_e64 s7, s[14:15], 0
	s_and_b32 vcc_lo, exec_lo, s29
	ds_store_b64 v55, v[19:20]
	s_cbranch_vccz .LBB218_223
; %bb.216:
	s_waitcnt vmcnt(0) lgkmcnt(1)
	v_mul_lo_u32 v35, v18, s14
	v_mul_lo_u32 v36, v17, s15
	v_mad_u64_u32 v[33:34], null, v17, s14, 0
	s_mov_b32 s13, 0
	s_and_not1_b32 vcc_lo, exec_lo, s7
	s_mov_b32 s24, 0
	s_delay_alu instid0(VALU_DEP_1)
	v_add3_u32 v40, v34, v36, v35
	s_cbranch_vccnz .LBB218_226
; %bb.217:
	v_mad_u64_u32 v[34:35], null, v19, s14, s[20:21]
	v_mul_lo_u32 v38, v19, s15
	v_mul_lo_u32 v39, v20, s14
	v_add_co_u32 v36, vcc_lo, s20, v33
	v_add_co_ci_u32_e32 v37, vcc_lo, s21, v40, vcc_lo
	s_mov_b32 s24, -1
	s_mov_b32 s25, exec_lo
	s_delay_alu instid0(VALU_DEP_3)
	v_add3_u32 v35, v39, v35, v38
	s_clause 0x1
	global_load_u8 v38, v[36:37], off
	global_load_u8 v39, v[34:35], off
	s_waitcnt vmcnt(0)
	v_cmpx_eq_u16_e64 v38, v39
	s_cbranch_execz .LBB218_225
; %bb.218:
	s_mov_b64 s[0:1], 1
	s_mov_b32 s24, 0
                                        ; implicit-def: $sgpr26
	s_set_inst_prefetch_distance 0x1
	s_branch .LBB218_221
	.p2align	6
.LBB218_219:                            ;   in Loop: Header=BB218_221 Depth=1
	v_add_co_u32 v38, vcc_lo, v36, s0
	v_add_co_ci_u32_e32 v39, vcc_lo, s1, v37, vcc_lo
	v_add_co_u32 v41, vcc_lo, v34, s0
	v_add_co_ci_u32_e32 v42, vcc_lo, s1, v35, vcc_lo
	s_add_u32 s4, s0, 1
	s_clause 0x1
	global_load_u8 v38, v[38:39], off
	global_load_u8 v39, v[41:42], off
	s_addc_u32 s5, s1, 0
	s_and_not1_b32 s26, s26, exec_lo
	s_waitcnt vmcnt(0)
	v_cmp_ne_u16_e32 vcc_lo, v38, v39
	s_and_b32 s27, vcc_lo, exec_lo
	s_delay_alu instid0(SALU_CYCLE_1)
	s_or_b32 s26, s26, s27
.LBB218_220:                            ;   in Loop: Header=BB218_221 Depth=1
	v_dual_mov_b32 v39, s1 :: v_dual_mov_b32 v38, s0
	s_and_b32 s27, exec_lo, s26
	s_mov_b64 s[0:1], s[4:5]
	s_or_b32 s24, s27, s24
	s_delay_alu instid0(SALU_CYCLE_1)
	s_and_not1_b32 exec_lo, exec_lo, s24
	s_cbranch_execz .LBB218_224
.LBB218_221:                            ; =>This Inner Loop Header: Depth=1
	s_or_b32 s26, s26, exec_lo
	s_cmp_eq_u64 s[14:15], s[0:1]
	s_cbranch_scc0 .LBB218_219
; %bb.222:                              ;   in Loop: Header=BB218_221 Depth=1
	s_mov_b64 s[0:1], s[14:15]
                                        ; implicit-def: $sgpr4_sgpr5
	s_branch .LBB218_220
.LBB218_223:
                                        ; implicit-def: $sgpr0
                                        ; implicit-def: $vgpr34
	s_cbranch_execnz .LBB218_292
	s_branch .LBB218_383
.LBB218_224:
	s_set_inst_prefetch_distance 0x2
	s_or_b32 exec_lo, exec_lo, s24
	v_cmp_gt_i64_e32 vcc_lo, s[14:15], v[38:39]
	s_or_not1_b32 s24, vcc_lo, exec_lo
.LBB218_225:
	s_or_b32 exec_lo, exec_lo, s25
.LBB218_226:
	v_mul_lo_u32 v36, v24, s14
	v_mul_lo_u32 v37, v23, s15
	v_mad_u64_u32 v[34:35], null, v23, s14, 0
	s_and_not1_b32 vcc_lo, exec_lo, s7
	s_delay_alu instid0(VALU_DEP_1)
	v_add3_u32 v41, v35, v37, v36
	s_cbranch_vccnz .LBB218_235
; %bb.227:
	s_delay_alu instid0(VALU_DEP_2) | instskip(NEXT) | instid1(VALU_DEP_2)
	v_add_co_u32 v35, vcc_lo, s20, v34
	v_add_co_ci_u32_e32 v36, vcc_lo, s21, v41, vcc_lo
	v_add_co_u32 v37, vcc_lo, s20, v33
	v_add_co_ci_u32_e32 v38, vcc_lo, s21, v40, vcc_lo
	s_mov_b32 s13, -1
	s_clause 0x1
	global_load_u8 v33, v[35:36], off
	global_load_u8 v39, v[37:38], off
	s_mov_b32 s25, exec_lo
	s_waitcnt vmcnt(0)
	v_cmpx_eq_u16_e64 v33, v39
	s_cbranch_execz .LBB218_234
; %bb.228:
	s_mov_b64 s[0:1], 1
	s_mov_b32 s13, 0
                                        ; implicit-def: $sgpr26
	s_set_inst_prefetch_distance 0x1
	s_branch .LBB218_231
	.p2align	6
.LBB218_229:                            ;   in Loop: Header=BB218_231 Depth=1
	v_add_co_u32 v39, vcc_lo, v35, s0
	v_add_co_ci_u32_e32 v40, vcc_lo, s1, v36, vcc_lo
	v_add_co_u32 v42, vcc_lo, v37, s0
	v_add_co_ci_u32_e32 v43, vcc_lo, s1, v38, vcc_lo
	s_add_u32 s4, s0, 1
	s_clause 0x1
	global_load_u8 v33, v[39:40], off
	global_load_u8 v39, v[42:43], off
	s_addc_u32 s5, s1, 0
	s_and_not1_b32 s26, s26, exec_lo
	s_waitcnt vmcnt(0)
	v_cmp_ne_u16_e32 vcc_lo, v33, v39
	s_and_b32 s27, vcc_lo, exec_lo
	s_delay_alu instid0(SALU_CYCLE_1)
	s_or_b32 s26, s26, s27
.LBB218_230:                            ;   in Loop: Header=BB218_231 Depth=1
	v_dual_mov_b32 v40, s1 :: v_dual_mov_b32 v39, s0
	s_and_b32 s27, exec_lo, s26
	s_mov_b64 s[0:1], s[4:5]
	s_or_b32 s13, s27, s13
	s_delay_alu instid0(SALU_CYCLE_1)
	s_and_not1_b32 exec_lo, exec_lo, s13
	s_cbranch_execz .LBB218_233
.LBB218_231:                            ; =>This Inner Loop Header: Depth=1
	s_or_b32 s26, s26, exec_lo
	s_cmp_eq_u64 s[14:15], s[0:1]
	s_cbranch_scc0 .LBB218_229
; %bb.232:                              ;   in Loop: Header=BB218_231 Depth=1
	s_mov_b64 s[0:1], s[14:15]
                                        ; implicit-def: $sgpr4_sgpr5
	s_branch .LBB218_230
.LBB218_233:
	s_set_inst_prefetch_distance 0x2
	s_or_b32 exec_lo, exec_lo, s13
	v_cmp_gt_i64_e32 vcc_lo, s[14:15], v[39:40]
	s_or_not1_b32 s13, vcc_lo, exec_lo
.LBB218_234:
	s_or_b32 exec_lo, exec_lo, s25
.LBB218_235:
	v_mul_lo_u32 v33, v22, s14
	v_mul_lo_u32 v37, v21, s15
	v_mad_u64_u32 v[35:36], null, v21, s14, 0
	s_mov_b32 s25, 0
	s_and_not1_b32 vcc_lo, exec_lo, s7
	s_mov_b32 s26, 0
	s_delay_alu instid0(VALU_DEP_1)
	v_add3_u32 v42, v36, v37, v33
	s_cbranch_vccnz .LBB218_244
; %bb.236:
	s_delay_alu instid0(VALU_DEP_2) | instskip(NEXT) | instid1(VALU_DEP_2)
	v_add_co_u32 v36, vcc_lo, s20, v35
	v_add_co_ci_u32_e32 v37, vcc_lo, s21, v42, vcc_lo
	v_add_co_u32 v33, vcc_lo, s20, v34
	v_add_co_ci_u32_e32 v34, vcc_lo, s21, v41, vcc_lo
	s_mov_b32 s26, -1
	s_clause 0x1
	global_load_u8 v38, v[36:37], off
	global_load_u8 v39, v[33:34], off
	s_mov_b32 s27, exec_lo
	s_waitcnt vmcnt(0)
	v_cmpx_eq_u16_e64 v38, v39
	s_cbranch_execz .LBB218_243
; %bb.237:
	s_mov_b64 s[0:1], 1
	s_mov_b32 s26, 0
                                        ; implicit-def: $sgpr34
	s_set_inst_prefetch_distance 0x1
	s_branch .LBB218_240
	.p2align	6
.LBB218_238:                            ;   in Loop: Header=BB218_240 Depth=1
	v_add_co_u32 v38, vcc_lo, v36, s0
	v_add_co_ci_u32_e32 v39, vcc_lo, s1, v37, vcc_lo
	v_add_co_u32 v40, vcc_lo, v33, s0
	v_add_co_ci_u32_e32 v41, vcc_lo, s1, v34, vcc_lo
	s_add_u32 s4, s0, 1
	s_clause 0x1
	global_load_u8 v38, v[38:39], off
	global_load_u8 v39, v[40:41], off
	s_addc_u32 s5, s1, 0
	s_and_not1_b32 s34, s34, exec_lo
	s_waitcnt vmcnt(0)
	v_cmp_ne_u16_e32 vcc_lo, v38, v39
	s_and_b32 s35, vcc_lo, exec_lo
	s_delay_alu instid0(SALU_CYCLE_1)
	s_or_b32 s34, s34, s35
.LBB218_239:                            ;   in Loop: Header=BB218_240 Depth=1
	v_dual_mov_b32 v39, s1 :: v_dual_mov_b32 v38, s0
	s_and_b32 s35, exec_lo, s34
	s_mov_b64 s[0:1], s[4:5]
	s_or_b32 s26, s35, s26
	s_delay_alu instid0(SALU_CYCLE_1)
	s_and_not1_b32 exec_lo, exec_lo, s26
	s_cbranch_execz .LBB218_242
.LBB218_240:                            ; =>This Inner Loop Header: Depth=1
	s_or_b32 s34, s34, exec_lo
	s_cmp_eq_u64 s[14:15], s[0:1]
	s_cbranch_scc0 .LBB218_238
; %bb.241:                              ;   in Loop: Header=BB218_240 Depth=1
	s_mov_b64 s[0:1], s[14:15]
                                        ; implicit-def: $sgpr4_sgpr5
	s_branch .LBB218_239
.LBB218_242:
	s_set_inst_prefetch_distance 0x2
	s_or_b32 exec_lo, exec_lo, s26
	v_cmp_gt_i64_e32 vcc_lo, s[14:15], v[38:39]
	s_or_not1_b32 s26, vcc_lo, exec_lo
.LBB218_243:
	s_or_b32 exec_lo, exec_lo, s27
.LBB218_244:
	v_mul_lo_u32 v36, v28, s14
	v_mul_lo_u32 v37, v27, s15
	v_mad_u64_u32 v[33:34], null, v27, s14, 0
	s_and_not1_b32 vcc_lo, exec_lo, s7
	s_delay_alu instid0(VALU_DEP_1)
	v_add3_u32 v40, v34, v37, v36
	s_cbranch_vccnz .LBB218_253
; %bb.245:
	s_delay_alu instid0(VALU_DEP_2) | instskip(NEXT) | instid1(VALU_DEP_2)
	v_add_co_u32 v36, vcc_lo, s20, v33
	v_add_co_ci_u32_e32 v37, vcc_lo, s21, v40, vcc_lo
	v_add_co_u32 v34, vcc_lo, s20, v35
	v_add_co_ci_u32_e32 v35, vcc_lo, s21, v42, vcc_lo
	s_mov_b32 s25, -1
	s_clause 0x1
	global_load_u8 v38, v[36:37], off
	global_load_u8 v39, v[34:35], off
	s_mov_b32 s27, exec_lo
	s_waitcnt vmcnt(0)
	v_cmpx_eq_u16_e64 v38, v39
	s_cbranch_execz .LBB218_252
; %bb.246:
	s_mov_b64 s[0:1], 1
	s_mov_b32 s25, 0
                                        ; implicit-def: $sgpr34
	s_set_inst_prefetch_distance 0x1
	s_branch .LBB218_249
	.p2align	6
.LBB218_247:                            ;   in Loop: Header=BB218_249 Depth=1
	v_add_co_u32 v38, vcc_lo, v36, s0
	v_add_co_ci_u32_e32 v39, vcc_lo, s1, v37, vcc_lo
	v_add_co_u32 v41, vcc_lo, v34, s0
	v_add_co_ci_u32_e32 v42, vcc_lo, s1, v35, vcc_lo
	s_add_u32 s4, s0, 1
	s_clause 0x1
	global_load_u8 v38, v[38:39], off
	global_load_u8 v39, v[41:42], off
	s_addc_u32 s5, s1, 0
	s_and_not1_b32 s34, s34, exec_lo
	s_waitcnt vmcnt(0)
	v_cmp_ne_u16_e32 vcc_lo, v38, v39
	s_and_b32 s35, vcc_lo, exec_lo
	s_delay_alu instid0(SALU_CYCLE_1)
	s_or_b32 s34, s34, s35
.LBB218_248:                            ;   in Loop: Header=BB218_249 Depth=1
	v_dual_mov_b32 v39, s1 :: v_dual_mov_b32 v38, s0
	s_and_b32 s35, exec_lo, s34
	s_mov_b64 s[0:1], s[4:5]
	s_or_b32 s25, s35, s25
	s_delay_alu instid0(SALU_CYCLE_1)
	s_and_not1_b32 exec_lo, exec_lo, s25
	s_cbranch_execz .LBB218_251
.LBB218_249:                            ; =>This Inner Loop Header: Depth=1
	s_or_b32 s34, s34, exec_lo
	s_cmp_eq_u64 s[14:15], s[0:1]
	s_cbranch_scc0 .LBB218_247
; %bb.250:                              ;   in Loop: Header=BB218_249 Depth=1
	s_mov_b64 s[0:1], s[14:15]
                                        ; implicit-def: $sgpr4_sgpr5
	s_branch .LBB218_248
.LBB218_251:
	s_set_inst_prefetch_distance 0x2
	s_or_b32 exec_lo, exec_lo, s25
	v_cmp_gt_i64_e32 vcc_lo, s[14:15], v[38:39]
	s_or_not1_b32 s25, vcc_lo, exec_lo
.LBB218_252:
	s_or_b32 exec_lo, exec_lo, s27
.LBB218_253:
	v_mul_lo_u32 v34, v26, s14
	v_mul_lo_u32 v37, v25, s15
	v_mad_u64_u32 v[35:36], null, v25, s14, 0
	s_mov_b32 s27, 0
	s_and_not1_b32 vcc_lo, exec_lo, s7
	s_mov_b32 s34, 0
	s_delay_alu instid0(VALU_DEP_1)
	v_add3_u32 v42, v36, v37, v34
	s_cbranch_vccnz .LBB218_262
; %bb.254:
	s_delay_alu instid0(VALU_DEP_2) | instskip(NEXT) | instid1(VALU_DEP_2)
	v_add_co_u32 v36, vcc_lo, s20, v35
	v_add_co_ci_u32_e32 v37, vcc_lo, s21, v42, vcc_lo
	v_add_co_u32 v33, vcc_lo, s20, v33
	v_add_co_ci_u32_e32 v34, vcc_lo, s21, v40, vcc_lo
	s_mov_b32 s34, -1
	s_clause 0x1
	global_load_u8 v38, v[36:37], off
	global_load_u8 v39, v[33:34], off
	s_mov_b32 s35, exec_lo
	s_waitcnt vmcnt(0)
	v_cmpx_eq_u16_e64 v38, v39
	s_cbranch_execz .LBB218_261
; %bb.255:
	s_mov_b64 s[0:1], 1
	s_mov_b32 s34, 0
                                        ; implicit-def: $sgpr36
	s_set_inst_prefetch_distance 0x1
	s_branch .LBB218_258
	.p2align	6
.LBB218_256:                            ;   in Loop: Header=BB218_258 Depth=1
	v_add_co_u32 v38, vcc_lo, v36, s0
	v_add_co_ci_u32_e32 v39, vcc_lo, s1, v37, vcc_lo
	v_add_co_u32 v40, vcc_lo, v33, s0
	v_add_co_ci_u32_e32 v41, vcc_lo, s1, v34, vcc_lo
	s_add_u32 s4, s0, 1
	s_clause 0x1
	global_load_u8 v38, v[38:39], off
	global_load_u8 v39, v[40:41], off
	s_addc_u32 s5, s1, 0
	s_and_not1_b32 s36, s36, exec_lo
	s_waitcnt vmcnt(0)
	v_cmp_ne_u16_e32 vcc_lo, v38, v39
	s_and_b32 s37, vcc_lo, exec_lo
	s_delay_alu instid0(SALU_CYCLE_1)
	s_or_b32 s36, s36, s37
.LBB218_257:                            ;   in Loop: Header=BB218_258 Depth=1
	v_dual_mov_b32 v39, s1 :: v_dual_mov_b32 v38, s0
	s_and_b32 s37, exec_lo, s36
	s_mov_b64 s[0:1], s[4:5]
	s_or_b32 s34, s37, s34
	s_delay_alu instid0(SALU_CYCLE_1)
	s_and_not1_b32 exec_lo, exec_lo, s34
	s_cbranch_execz .LBB218_260
.LBB218_258:                            ; =>This Inner Loop Header: Depth=1
	s_or_b32 s36, s36, exec_lo
	s_cmp_eq_u64 s[14:15], s[0:1]
	s_cbranch_scc0 .LBB218_256
; %bb.259:                              ;   in Loop: Header=BB218_258 Depth=1
	s_mov_b64 s[0:1], s[14:15]
                                        ; implicit-def: $sgpr4_sgpr5
	s_branch .LBB218_257
.LBB218_260:
	s_set_inst_prefetch_distance 0x2
	s_or_b32 exec_lo, exec_lo, s34
	v_cmp_gt_i64_e32 vcc_lo, s[14:15], v[38:39]
	s_or_not1_b32 s34, vcc_lo, exec_lo
.LBB218_261:
	s_or_b32 exec_lo, exec_lo, s35
.LBB218_262:
	v_mul_lo_u32 v36, v32, s14
	v_mul_lo_u32 v37, v31, s15
	v_mad_u64_u32 v[33:34], null, v31, s14, 0
	s_and_not1_b32 vcc_lo, exec_lo, s7
	s_delay_alu instid0(VALU_DEP_1)
	v_add3_u32 v41, v34, v37, v36
	s_cbranch_vccnz .LBB218_271
; %bb.263:
	s_delay_alu instid0(VALU_DEP_2) | instskip(NEXT) | instid1(VALU_DEP_2)
	v_add_co_u32 v36, vcc_lo, s20, v33
	v_add_co_ci_u32_e32 v37, vcc_lo, s21, v41, vcc_lo
	v_add_co_u32 v34, vcc_lo, s20, v35
	v_add_co_ci_u32_e32 v35, vcc_lo, s21, v42, vcc_lo
	s_mov_b32 s27, -1
	s_clause 0x1
	global_load_u8 v38, v[36:37], off
	global_load_u8 v39, v[34:35], off
	s_mov_b32 s35, exec_lo
	s_waitcnt vmcnt(0)
	v_cmpx_eq_u16_e64 v38, v39
	s_cbranch_execz .LBB218_270
; %bb.264:
	s_mov_b64 s[0:1], 1
	s_mov_b32 s27, 0
                                        ; implicit-def: $sgpr36
	s_set_inst_prefetch_distance 0x1
	s_branch .LBB218_267
	.p2align	6
.LBB218_265:                            ;   in Loop: Header=BB218_267 Depth=1
	v_add_co_u32 v38, vcc_lo, v36, s0
	v_add_co_ci_u32_e32 v39, vcc_lo, s1, v37, vcc_lo
	v_add_co_u32 v42, vcc_lo, v34, s0
	v_add_co_ci_u32_e32 v43, vcc_lo, s1, v35, vcc_lo
	s_add_u32 s4, s0, 1
	s_clause 0x1
	global_load_u8 v38, v[38:39], off
	global_load_u8 v39, v[42:43], off
	s_addc_u32 s5, s1, 0
	s_and_not1_b32 s36, s36, exec_lo
	s_waitcnt vmcnt(0)
	v_cmp_ne_u16_e32 vcc_lo, v38, v39
	s_and_b32 s37, vcc_lo, exec_lo
	s_delay_alu instid0(SALU_CYCLE_1)
	s_or_b32 s36, s36, s37
.LBB218_266:                            ;   in Loop: Header=BB218_267 Depth=1
	v_dual_mov_b32 v39, s1 :: v_dual_mov_b32 v38, s0
	s_and_b32 s37, exec_lo, s36
	s_mov_b64 s[0:1], s[4:5]
	s_or_b32 s27, s37, s27
	s_delay_alu instid0(SALU_CYCLE_1)
	s_and_not1_b32 exec_lo, exec_lo, s27
	s_cbranch_execz .LBB218_269
.LBB218_267:                            ; =>This Inner Loop Header: Depth=1
	s_or_b32 s36, s36, exec_lo
	s_cmp_eq_u64 s[14:15], s[0:1]
	s_cbranch_scc0 .LBB218_265
; %bb.268:                              ;   in Loop: Header=BB218_267 Depth=1
	s_mov_b64 s[0:1], s[14:15]
                                        ; implicit-def: $sgpr4_sgpr5
	s_branch .LBB218_266
.LBB218_269:
	s_set_inst_prefetch_distance 0x2
	s_or_b32 exec_lo, exec_lo, s27
	v_cmp_gt_i64_e32 vcc_lo, s[14:15], v[38:39]
	s_or_not1_b32 s27, vcc_lo, exec_lo
.LBB218_270:
	s_or_b32 exec_lo, exec_lo, s35
.LBB218_271:
	v_mul_lo_u32 v34, v30, s14
	v_mul_lo_u32 v37, v29, s15
	v_mad_u64_u32 v[35:36], null, v29, s14, 0
	s_and_not1_b32 vcc_lo, exec_lo, s7
	s_mov_b32 s0, 0
	s_delay_alu instid0(VALU_DEP_1)
	v_add3_u32 v40, v36, v37, v34
	s_cbranch_vccnz .LBB218_280
; %bb.272:
	s_delay_alu instid0(VALU_DEP_2) | instskip(NEXT) | instid1(VALU_DEP_2)
	v_add_co_u32 v36, vcc_lo, s20, v35
	v_add_co_ci_u32_e32 v37, vcc_lo, s21, v40, vcc_lo
	v_add_co_u32 v33, vcc_lo, s20, v33
	v_add_co_ci_u32_e32 v34, vcc_lo, s21, v41, vcc_lo
	s_mov_b32 s0, -1
	s_clause 0x1
	global_load_u8 v38, v[36:37], off
	global_load_u8 v39, v[33:34], off
	s_mov_b32 s35, exec_lo
	s_waitcnt vmcnt(0)
	v_cmpx_eq_u16_e64 v38, v39
	s_cbranch_execz .LBB218_279
; %bb.273:
	s_mov_b64 s[0:1], 1
	s_mov_b32 s36, 0
                                        ; implicit-def: $sgpr37
	s_set_inst_prefetch_distance 0x1
	s_branch .LBB218_276
	.p2align	6
.LBB218_274:                            ;   in Loop: Header=BB218_276 Depth=1
	v_add_co_u32 v38, vcc_lo, v36, s0
	v_add_co_ci_u32_e32 v39, vcc_lo, s1, v37, vcc_lo
	v_add_co_u32 v41, vcc_lo, v33, s0
	v_add_co_ci_u32_e32 v42, vcc_lo, s1, v34, vcc_lo
	s_add_u32 s4, s0, 1
	s_clause 0x1
	global_load_u8 v38, v[38:39], off
	global_load_u8 v39, v[41:42], off
	s_addc_u32 s5, s1, 0
	s_and_not1_b32 s37, s37, exec_lo
	s_waitcnt vmcnt(0)
	v_cmp_ne_u16_e32 vcc_lo, v38, v39
	s_and_b32 s38, vcc_lo, exec_lo
	s_delay_alu instid0(SALU_CYCLE_1)
	s_or_b32 s37, s37, s38
.LBB218_275:                            ;   in Loop: Header=BB218_276 Depth=1
	v_dual_mov_b32 v39, s1 :: v_dual_mov_b32 v38, s0
	s_and_b32 s38, exec_lo, s37
	s_mov_b64 s[0:1], s[4:5]
	s_or_b32 s36, s38, s36
	s_delay_alu instid0(SALU_CYCLE_1)
	s_and_not1_b32 exec_lo, exec_lo, s36
	s_cbranch_execz .LBB218_278
.LBB218_276:                            ; =>This Inner Loop Header: Depth=1
	s_or_b32 s37, s37, exec_lo
	s_cmp_eq_u64 s[14:15], s[0:1]
	s_cbranch_scc0 .LBB218_274
; %bb.277:                              ;   in Loop: Header=BB218_276 Depth=1
	s_mov_b64 s[0:1], s[14:15]
                                        ; implicit-def: $sgpr4_sgpr5
	s_branch .LBB218_275
.LBB218_278:
	s_set_inst_prefetch_distance 0x2
	s_or_b32 exec_lo, exec_lo, s36
	v_cmp_gt_i64_e32 vcc_lo, s[14:15], v[38:39]
	s_or_not1_b32 s0, vcc_lo, exec_lo
.LBB218_279:
	s_or_b32 exec_lo, exec_lo, s35
.LBB218_280:
	v_cndmask_b32_e64 v34, 0, 1, s34
	v_cndmask_b32_e64 v36, 0, 1, s26
	;; [unrolled: 1-line block ×7, first 2 shown]
	v_lshlrev_b16 v36, 8, v36
	v_lshlrev_b16 v37, 8, v37
	;; [unrolled: 1-line block ×4, first 2 shown]
	s_waitcnt lgkmcnt(0)
	v_or_b32_e32 v36, v39, v36
	v_or_b32_e32 v37, v41, v37
	;; [unrolled: 1-line block ×4, first 2 shown]
	s_barrier
	v_and_b32_e32 v34, 0xffff, v36
	v_lshlrev_b32_e32 v36, 16, v37
	v_and_b32_e32 v37, 0xffff, v38
	v_lshlrev_b32_e32 v33, 16, v33
	buffer_gl0_inv
                                        ; implicit-def: $sgpr0
	v_or_b32_e32 v34, v34, v36
	v_or_b32_e32 v33, v37, v33
	s_and_saveexec_b32 s1, s3
	s_delay_alu instid0(SALU_CYCLE_1)
	s_xor_b32 s13, exec_lo, s1
	s_cbranch_execz .LBB218_291
; %bb.281:
	s_and_not1_b32 vcc_lo, exec_lo, s7
	s_mov_b32 s0, 0
	s_cbranch_vccnz .LBB218_290
; %bb.282:
	v_add_nc_u32_e32 v36, -8, v55
	s_mov_b32 s0, -1
	s_mov_b32 s24, exec_lo
	ds_load_b64 v[38:39], v36
	s_waitcnt lgkmcnt(0)
	v_mul_lo_u32 v41, v38, s15
	v_mul_lo_u32 v39, v39, s14
	v_mad_u64_u32 v[36:37], null, v38, s14, s[20:21]
	v_add_co_u32 v38, vcc_lo, s20, v35
	s_delay_alu instid0(VALU_DEP_2)
	v_add3_u32 v37, v39, v37, v41
	v_add_co_ci_u32_e32 v39, vcc_lo, s21, v40, vcc_lo
	s_clause 0x1
	global_load_u8 v35, v[36:37], off
	global_load_u8 v40, v[38:39], off
	s_waitcnt vmcnt(0)
	v_cmpx_eq_u16_e64 v35, v40
	s_cbranch_execz .LBB218_289
; %bb.283:
	s_mov_b64 s[0:1], 1
	s_mov_b32 s25, 0
                                        ; implicit-def: $sgpr26
	s_set_inst_prefetch_distance 0x1
	s_branch .LBB218_286
	.p2align	6
.LBB218_284:                            ;   in Loop: Header=BB218_286 Depth=1
	v_add_co_u32 v40, vcc_lo, v36, s0
	v_add_co_ci_u32_e32 v41, vcc_lo, s1, v37, vcc_lo
	v_add_co_u32 v42, vcc_lo, v38, s0
	v_add_co_ci_u32_e32 v43, vcc_lo, s1, v39, vcc_lo
	s_add_u32 s4, s0, 1
	s_clause 0x1
	global_load_u8 v35, v[40:41], off
	global_load_u8 v40, v[42:43], off
	s_addc_u32 s5, s1, 0
	s_and_not1_b32 s26, s26, exec_lo
	s_waitcnt vmcnt(0)
	v_cmp_ne_u16_e32 vcc_lo, v35, v40
	s_and_b32 s27, vcc_lo, exec_lo
	s_delay_alu instid0(SALU_CYCLE_1)
	s_or_b32 s26, s26, s27
.LBB218_285:                            ;   in Loop: Header=BB218_286 Depth=1
	v_dual_mov_b32 v41, s1 :: v_dual_mov_b32 v40, s0
	s_and_b32 s27, exec_lo, s26
	s_mov_b64 s[0:1], s[4:5]
	s_or_b32 s25, s27, s25
	s_delay_alu instid0(SALU_CYCLE_1)
	s_and_not1_b32 exec_lo, exec_lo, s25
	s_cbranch_execz .LBB218_288
.LBB218_286:                            ; =>This Inner Loop Header: Depth=1
	s_or_b32 s26, s26, exec_lo
	s_cmp_eq_u64 s[14:15], s[0:1]
	s_cbranch_scc0 .LBB218_284
; %bb.287:                              ;   in Loop: Header=BB218_286 Depth=1
	s_mov_b64 s[0:1], s[14:15]
                                        ; implicit-def: $sgpr4_sgpr5
	s_branch .LBB218_285
.LBB218_288:
	s_set_inst_prefetch_distance 0x2
	s_or_b32 exec_lo, exec_lo, s25
	v_cmp_gt_i64_e32 vcc_lo, s[14:15], v[40:41]
	s_or_not1_b32 s0, vcc_lo, exec_lo
.LBB218_289:
	s_or_b32 exec_lo, exec_lo, s24
.LBB218_290:
	s_delay_alu instid0(SALU_CYCLE_1)
	s_and_b32 s0, s0, exec_lo
	s_or_b32 s6, s6, exec_lo
.LBB218_291:
	s_or_b32 exec_lo, exec_lo, s13
	s_branch .LBB218_383
.LBB218_292:
	v_or_b32_e32 v33, 7, v55
	s_mov_b32 s13, 0
	s_mov_b32 s24, 0
	s_mov_b32 s25, exec_lo
	s_delay_alu instid0(VALU_DEP_1)
	v_cmpx_gt_u32_e64 s31, v33
	s_cbranch_execz .LBB218_303
; %bb.293:
	s_and_not1_b32 vcc_lo, exec_lo, s7
	s_mov_b32 s0, 0
	s_cbranch_vccnz .LBB218_302
; %bb.294:
	v_mad_u64_u32 v[33:34], null, v17, s14, s[20:21]
	v_mul_lo_u32 v37, v17, s15
	v_mul_lo_u32 v38, v18, s14
	s_waitcnt vmcnt(0) lgkmcnt(1)
	v_mad_u64_u32 v[35:36], null, v19, s14, s[20:21]
	v_mul_lo_u32 v39, v19, s15
	v_mul_lo_u32 v40, v20, s14
	s_mov_b32 s0, -1
	s_mov_b32 s24, exec_lo
	s_delay_alu instid0(VALU_DEP_4) | instskip(NEXT) | instid1(VALU_DEP_2)
	v_add3_u32 v34, v38, v34, v37
	v_add3_u32 v36, v40, v36, v39
	s_clause 0x1
	global_load_u8 v37, v[33:34], off
	global_load_u8 v38, v[35:36], off
	s_waitcnt vmcnt(0)
	v_cmpx_eq_u16_e64 v37, v38
	s_cbranch_execz .LBB218_301
; %bb.295:
	s_mov_b64 s[0:1], 1
	s_mov_b32 s26, 0
                                        ; implicit-def: $sgpr27
	s_set_inst_prefetch_distance 0x1
	s_branch .LBB218_298
	.p2align	6
.LBB218_296:                            ;   in Loop: Header=BB218_298 Depth=1
	v_add_co_u32 v37, vcc_lo, v33, s0
	v_add_co_ci_u32_e32 v38, vcc_lo, s1, v34, vcc_lo
	v_add_co_u32 v39, vcc_lo, v35, s0
	v_add_co_ci_u32_e32 v40, vcc_lo, s1, v36, vcc_lo
	s_add_u32 s4, s0, 1
	s_clause 0x1
	global_load_u8 v37, v[37:38], off
	global_load_u8 v38, v[39:40], off
	s_addc_u32 s5, s1, 0
	s_and_not1_b32 s27, s27, exec_lo
	s_waitcnt vmcnt(0)
	v_cmp_ne_u16_e32 vcc_lo, v37, v38
	s_and_b32 s34, vcc_lo, exec_lo
	s_delay_alu instid0(SALU_CYCLE_1)
	s_or_b32 s27, s27, s34
.LBB218_297:                            ;   in Loop: Header=BB218_298 Depth=1
	v_dual_mov_b32 v38, s1 :: v_dual_mov_b32 v37, s0
	s_and_b32 s34, exec_lo, s27
	s_mov_b64 s[0:1], s[4:5]
	s_or_b32 s26, s34, s26
	s_delay_alu instid0(SALU_CYCLE_1)
	s_and_not1_b32 exec_lo, exec_lo, s26
	s_cbranch_execz .LBB218_300
.LBB218_298:                            ; =>This Inner Loop Header: Depth=1
	s_or_b32 s27, s27, exec_lo
	s_cmp_eq_u64 s[14:15], s[0:1]
	s_cbranch_scc0 .LBB218_296
; %bb.299:                              ;   in Loop: Header=BB218_298 Depth=1
	s_mov_b64 s[0:1], s[14:15]
                                        ; implicit-def: $sgpr4_sgpr5
	s_branch .LBB218_297
.LBB218_300:
	s_set_inst_prefetch_distance 0x2
	s_or_b32 exec_lo, exec_lo, s26
	v_cmp_gt_i64_e32 vcc_lo, s[14:15], v[37:38]
	s_or_not1_b32 s0, vcc_lo, exec_lo
.LBB218_301:
	s_or_b32 exec_lo, exec_lo, s24
.LBB218_302:
	s_delay_alu instid0(SALU_CYCLE_1)
	s_and_b32 s24, s0, exec_lo
.LBB218_303:
	s_or_b32 exec_lo, exec_lo, s25
	v_or_b32_e32 v33, 6, v55
	s_mov_b32 s25, exec_lo
	s_delay_alu instid0(VALU_DEP_1)
	v_cmpx_gt_u32_e64 s31, v33
	s_cbranch_execz .LBB218_314
; %bb.304:
	s_and_not1_b32 vcc_lo, exec_lo, s7
	s_mov_b32 s0, 0
	s_cbranch_vccnz .LBB218_313
; %bb.305:
	v_mad_u64_u32 v[33:34], null, v23, s14, s[20:21]
	v_mul_lo_u32 v37, v23, s15
	v_mul_lo_u32 v38, v24, s14
	s_waitcnt vmcnt(0) lgkmcnt(1)
	v_mad_u64_u32 v[35:36], null, v17, s14, s[20:21]
	v_mul_lo_u32 v39, v17, s15
	v_mul_lo_u32 v40, v18, s14
	s_mov_b32 s0, -1
	s_mov_b32 s13, exec_lo
	s_delay_alu instid0(VALU_DEP_4) | instskip(NEXT) | instid1(VALU_DEP_2)
	v_add3_u32 v34, v38, v34, v37
	v_add3_u32 v36, v40, v36, v39
	s_clause 0x1
	global_load_u8 v37, v[33:34], off
	global_load_u8 v38, v[35:36], off
	s_waitcnt vmcnt(0)
	v_cmpx_eq_u16_e64 v37, v38
	s_cbranch_execz .LBB218_312
; %bb.306:
	s_mov_b64 s[0:1], 1
	s_mov_b32 s26, 0
                                        ; implicit-def: $sgpr27
	s_set_inst_prefetch_distance 0x1
	s_branch .LBB218_309
	.p2align	6
.LBB218_307:                            ;   in Loop: Header=BB218_309 Depth=1
	v_add_co_u32 v37, vcc_lo, v33, s0
	v_add_co_ci_u32_e32 v38, vcc_lo, s1, v34, vcc_lo
	v_add_co_u32 v39, vcc_lo, v35, s0
	v_add_co_ci_u32_e32 v40, vcc_lo, s1, v36, vcc_lo
	s_add_u32 s4, s0, 1
	s_clause 0x1
	global_load_u8 v37, v[37:38], off
	global_load_u8 v38, v[39:40], off
	s_addc_u32 s5, s1, 0
	s_and_not1_b32 s27, s27, exec_lo
	s_waitcnt vmcnt(0)
	v_cmp_ne_u16_e32 vcc_lo, v37, v38
	s_and_b32 s34, vcc_lo, exec_lo
	s_delay_alu instid0(SALU_CYCLE_1)
	s_or_b32 s27, s27, s34
.LBB218_308:                            ;   in Loop: Header=BB218_309 Depth=1
	v_dual_mov_b32 v38, s1 :: v_dual_mov_b32 v37, s0
	s_and_b32 s34, exec_lo, s27
	s_mov_b64 s[0:1], s[4:5]
	s_or_b32 s26, s34, s26
	s_delay_alu instid0(SALU_CYCLE_1)
	s_and_not1_b32 exec_lo, exec_lo, s26
	s_cbranch_execz .LBB218_311
.LBB218_309:                            ; =>This Inner Loop Header: Depth=1
	s_or_b32 s27, s27, exec_lo
	s_cmp_eq_u64 s[14:15], s[0:1]
	s_cbranch_scc0 .LBB218_307
; %bb.310:                              ;   in Loop: Header=BB218_309 Depth=1
	s_mov_b64 s[0:1], s[14:15]
                                        ; implicit-def: $sgpr4_sgpr5
	s_branch .LBB218_308
.LBB218_311:
	s_set_inst_prefetch_distance 0x2
	s_or_b32 exec_lo, exec_lo, s26
	v_cmp_gt_i64_e32 vcc_lo, s[14:15], v[37:38]
	s_or_not1_b32 s0, vcc_lo, exec_lo
.LBB218_312:
	s_or_b32 exec_lo, exec_lo, s13
.LBB218_313:
	s_delay_alu instid0(SALU_CYCLE_1)
	s_and_b32 s13, s0, exec_lo
.LBB218_314:
	s_or_b32 exec_lo, exec_lo, s25
	v_or_b32_e32 v33, 5, v55
	s_mov_b32 s25, 0
	s_mov_b32 s26, 0
	s_mov_b32 s27, exec_lo
	s_delay_alu instid0(VALU_DEP_1)
	v_cmpx_gt_u32_e64 s31, v33
	s_cbranch_execz .LBB218_325
; %bb.315:
	s_and_not1_b32 vcc_lo, exec_lo, s7
	s_mov_b32 s0, 0
	s_cbranch_vccnz .LBB218_324
; %bb.316:
	v_mad_u64_u32 v[33:34], null, v21, s14, s[20:21]
	v_mul_lo_u32 v37, v21, s15
	v_mul_lo_u32 v38, v22, s14
	s_waitcnt vmcnt(0) lgkmcnt(1)
	v_mad_u64_u32 v[35:36], null, v23, s14, s[20:21]
	v_mul_lo_u32 v39, v23, s15
	v_mul_lo_u32 v40, v24, s14
	s_mov_b32 s0, -1
	s_mov_b32 s26, exec_lo
	s_delay_alu instid0(VALU_DEP_4) | instskip(NEXT) | instid1(VALU_DEP_2)
	v_add3_u32 v34, v38, v34, v37
	v_add3_u32 v36, v40, v36, v39
	s_clause 0x1
	global_load_u8 v37, v[33:34], off
	global_load_u8 v38, v[35:36], off
	s_waitcnt vmcnt(0)
	v_cmpx_eq_u16_e64 v37, v38
	s_cbranch_execz .LBB218_323
; %bb.317:
	s_mov_b64 s[0:1], 1
	s_mov_b32 s34, 0
                                        ; implicit-def: $sgpr35
	s_set_inst_prefetch_distance 0x1
	s_branch .LBB218_320
	.p2align	6
.LBB218_318:                            ;   in Loop: Header=BB218_320 Depth=1
	v_add_co_u32 v37, vcc_lo, v33, s0
	v_add_co_ci_u32_e32 v38, vcc_lo, s1, v34, vcc_lo
	v_add_co_u32 v39, vcc_lo, v35, s0
	v_add_co_ci_u32_e32 v40, vcc_lo, s1, v36, vcc_lo
	s_add_u32 s4, s0, 1
	s_clause 0x1
	global_load_u8 v37, v[37:38], off
	global_load_u8 v38, v[39:40], off
	s_addc_u32 s5, s1, 0
	s_and_not1_b32 s35, s35, exec_lo
	s_waitcnt vmcnt(0)
	v_cmp_ne_u16_e32 vcc_lo, v37, v38
	s_and_b32 s36, vcc_lo, exec_lo
	s_delay_alu instid0(SALU_CYCLE_1)
	s_or_b32 s35, s35, s36
.LBB218_319:                            ;   in Loop: Header=BB218_320 Depth=1
	v_dual_mov_b32 v38, s1 :: v_dual_mov_b32 v37, s0
	s_and_b32 s36, exec_lo, s35
	s_mov_b64 s[0:1], s[4:5]
	s_or_b32 s34, s36, s34
	s_delay_alu instid0(SALU_CYCLE_1)
	s_and_not1_b32 exec_lo, exec_lo, s34
	s_cbranch_execz .LBB218_322
.LBB218_320:                            ; =>This Inner Loop Header: Depth=1
	s_or_b32 s35, s35, exec_lo
	s_cmp_eq_u64 s[14:15], s[0:1]
	s_cbranch_scc0 .LBB218_318
; %bb.321:                              ;   in Loop: Header=BB218_320 Depth=1
	s_mov_b64 s[0:1], s[14:15]
                                        ; implicit-def: $sgpr4_sgpr5
	s_branch .LBB218_319
.LBB218_322:
	s_set_inst_prefetch_distance 0x2
	s_or_b32 exec_lo, exec_lo, s34
	v_cmp_gt_i64_e32 vcc_lo, s[14:15], v[37:38]
	s_or_not1_b32 s0, vcc_lo, exec_lo
.LBB218_323:
	s_or_b32 exec_lo, exec_lo, s26
.LBB218_324:
	s_delay_alu instid0(SALU_CYCLE_1)
	s_and_b32 s26, s0, exec_lo
.LBB218_325:
	s_or_b32 exec_lo, exec_lo, s27
	v_or_b32_e32 v33, 4, v55
	s_mov_b32 s27, exec_lo
	s_delay_alu instid0(VALU_DEP_1)
	v_cmpx_gt_u32_e64 s31, v33
	s_cbranch_execz .LBB218_336
; %bb.326:
	s_and_not1_b32 vcc_lo, exec_lo, s7
	s_mov_b32 s0, 0
	s_cbranch_vccnz .LBB218_335
; %bb.327:
	v_mad_u64_u32 v[33:34], null, v27, s14, s[20:21]
	v_mul_lo_u32 v37, v27, s15
	v_mul_lo_u32 v38, v28, s14
	s_waitcnt vmcnt(0) lgkmcnt(1)
	v_mad_u64_u32 v[35:36], null, v21, s14, s[20:21]
	v_mul_lo_u32 v39, v21, s15
	v_mul_lo_u32 v40, v22, s14
	s_mov_b32 s0, -1
	s_mov_b32 s25, exec_lo
	s_delay_alu instid0(VALU_DEP_4) | instskip(NEXT) | instid1(VALU_DEP_2)
	v_add3_u32 v34, v38, v34, v37
	v_add3_u32 v36, v40, v36, v39
	s_clause 0x1
	global_load_u8 v37, v[33:34], off
	global_load_u8 v38, v[35:36], off
	s_waitcnt vmcnt(0)
	v_cmpx_eq_u16_e64 v37, v38
	s_cbranch_execz .LBB218_334
; %bb.328:
	s_mov_b64 s[0:1], 1
	s_mov_b32 s34, 0
                                        ; implicit-def: $sgpr35
	s_set_inst_prefetch_distance 0x1
	s_branch .LBB218_331
	.p2align	6
.LBB218_329:                            ;   in Loop: Header=BB218_331 Depth=1
	v_add_co_u32 v37, vcc_lo, v33, s0
	v_add_co_ci_u32_e32 v38, vcc_lo, s1, v34, vcc_lo
	v_add_co_u32 v39, vcc_lo, v35, s0
	v_add_co_ci_u32_e32 v40, vcc_lo, s1, v36, vcc_lo
	s_add_u32 s4, s0, 1
	s_clause 0x1
	global_load_u8 v37, v[37:38], off
	global_load_u8 v38, v[39:40], off
	s_addc_u32 s5, s1, 0
	s_and_not1_b32 s35, s35, exec_lo
	s_waitcnt vmcnt(0)
	v_cmp_ne_u16_e32 vcc_lo, v37, v38
	s_and_b32 s36, vcc_lo, exec_lo
	s_delay_alu instid0(SALU_CYCLE_1)
	s_or_b32 s35, s35, s36
.LBB218_330:                            ;   in Loop: Header=BB218_331 Depth=1
	v_dual_mov_b32 v38, s1 :: v_dual_mov_b32 v37, s0
	s_and_b32 s36, exec_lo, s35
	s_mov_b64 s[0:1], s[4:5]
	s_or_b32 s34, s36, s34
	s_delay_alu instid0(SALU_CYCLE_1)
	s_and_not1_b32 exec_lo, exec_lo, s34
	s_cbranch_execz .LBB218_333
.LBB218_331:                            ; =>This Inner Loop Header: Depth=1
	s_or_b32 s35, s35, exec_lo
	s_cmp_eq_u64 s[14:15], s[0:1]
	s_cbranch_scc0 .LBB218_329
; %bb.332:                              ;   in Loop: Header=BB218_331 Depth=1
	s_mov_b64 s[0:1], s[14:15]
                                        ; implicit-def: $sgpr4_sgpr5
	s_branch .LBB218_330
.LBB218_333:
	s_set_inst_prefetch_distance 0x2
	s_or_b32 exec_lo, exec_lo, s34
	v_cmp_gt_i64_e32 vcc_lo, s[14:15], v[37:38]
	s_or_not1_b32 s0, vcc_lo, exec_lo
.LBB218_334:
	s_or_b32 exec_lo, exec_lo, s25
.LBB218_335:
	s_delay_alu instid0(SALU_CYCLE_1)
	s_and_b32 s25, s0, exec_lo
.LBB218_336:
	s_or_b32 exec_lo, exec_lo, s27
	v_or_b32_e32 v33, 3, v55
	s_mov_b32 s34, 0
	s_mov_b32 s27, 0
	s_mov_b32 s35, exec_lo
	s_delay_alu instid0(VALU_DEP_1)
	v_cmpx_gt_u32_e64 s31, v33
	s_cbranch_execz .LBB218_347
; %bb.337:
	s_and_not1_b32 vcc_lo, exec_lo, s7
	s_mov_b32 s0, 0
	s_cbranch_vccnz .LBB218_346
; %bb.338:
	v_mad_u64_u32 v[33:34], null, v25, s14, s[20:21]
	v_mul_lo_u32 v37, v25, s15
	v_mul_lo_u32 v38, v26, s14
	s_waitcnt vmcnt(0) lgkmcnt(1)
	v_mad_u64_u32 v[35:36], null, v27, s14, s[20:21]
	v_mul_lo_u32 v39, v27, s15
	v_mul_lo_u32 v40, v28, s14
	s_mov_b32 s0, -1
	s_mov_b32 s27, exec_lo
	s_delay_alu instid0(VALU_DEP_4) | instskip(NEXT) | instid1(VALU_DEP_2)
	v_add3_u32 v34, v38, v34, v37
	v_add3_u32 v36, v40, v36, v39
	s_clause 0x1
	global_load_u8 v37, v[33:34], off
	global_load_u8 v38, v[35:36], off
	s_waitcnt vmcnt(0)
	v_cmpx_eq_u16_e64 v37, v38
	s_cbranch_execz .LBB218_345
; %bb.339:
	s_mov_b64 s[0:1], 1
	s_mov_b32 s36, 0
                                        ; implicit-def: $sgpr37
	s_set_inst_prefetch_distance 0x1
	s_branch .LBB218_342
	.p2align	6
.LBB218_340:                            ;   in Loop: Header=BB218_342 Depth=1
	v_add_co_u32 v37, vcc_lo, v33, s0
	v_add_co_ci_u32_e32 v38, vcc_lo, s1, v34, vcc_lo
	v_add_co_u32 v39, vcc_lo, v35, s0
	v_add_co_ci_u32_e32 v40, vcc_lo, s1, v36, vcc_lo
	s_add_u32 s4, s0, 1
	s_clause 0x1
	global_load_u8 v37, v[37:38], off
	global_load_u8 v38, v[39:40], off
	s_addc_u32 s5, s1, 0
	s_and_not1_b32 s37, s37, exec_lo
	s_waitcnt vmcnt(0)
	v_cmp_ne_u16_e32 vcc_lo, v37, v38
	s_and_b32 s38, vcc_lo, exec_lo
	s_delay_alu instid0(SALU_CYCLE_1)
	s_or_b32 s37, s37, s38
.LBB218_341:                            ;   in Loop: Header=BB218_342 Depth=1
	v_dual_mov_b32 v38, s1 :: v_dual_mov_b32 v37, s0
	s_and_b32 s38, exec_lo, s37
	s_mov_b64 s[0:1], s[4:5]
	s_or_b32 s36, s38, s36
	s_delay_alu instid0(SALU_CYCLE_1)
	s_and_not1_b32 exec_lo, exec_lo, s36
	s_cbranch_execz .LBB218_344
.LBB218_342:                            ; =>This Inner Loop Header: Depth=1
	s_or_b32 s37, s37, exec_lo
	s_cmp_eq_u64 s[14:15], s[0:1]
	s_cbranch_scc0 .LBB218_340
; %bb.343:                              ;   in Loop: Header=BB218_342 Depth=1
	s_mov_b64 s[0:1], s[14:15]
                                        ; implicit-def: $sgpr4_sgpr5
	s_branch .LBB218_341
.LBB218_344:
	s_set_inst_prefetch_distance 0x2
	s_or_b32 exec_lo, exec_lo, s36
	v_cmp_gt_i64_e32 vcc_lo, s[14:15], v[37:38]
	s_or_not1_b32 s0, vcc_lo, exec_lo
.LBB218_345:
	s_or_b32 exec_lo, exec_lo, s27
.LBB218_346:
	s_delay_alu instid0(SALU_CYCLE_1)
	s_and_b32 s27, s0, exec_lo
.LBB218_347:
	s_or_b32 exec_lo, exec_lo, s35
	v_or_b32_e32 v33, 2, v55
	s_mov_b32 s35, exec_lo
	s_delay_alu instid0(VALU_DEP_1)
	v_cmpx_gt_u32_e64 s31, v33
	s_cbranch_execz .LBB218_358
; %bb.348:
	s_and_not1_b32 vcc_lo, exec_lo, s7
	s_mov_b32 s0, 0
	s_cbranch_vccnz .LBB218_357
; %bb.349:
	v_mad_u64_u32 v[33:34], null, v31, s14, s[20:21]
	v_mul_lo_u32 v37, v31, s15
	v_mul_lo_u32 v38, v32, s14
	s_waitcnt vmcnt(0) lgkmcnt(1)
	v_mad_u64_u32 v[35:36], null, v25, s14, s[20:21]
	v_mul_lo_u32 v39, v25, s15
	v_mul_lo_u32 v40, v26, s14
	s_mov_b32 s0, -1
	s_mov_b32 s34, exec_lo
	s_delay_alu instid0(VALU_DEP_4) | instskip(NEXT) | instid1(VALU_DEP_2)
	v_add3_u32 v34, v38, v34, v37
	v_add3_u32 v36, v40, v36, v39
	s_clause 0x1
	global_load_u8 v37, v[33:34], off
	global_load_u8 v38, v[35:36], off
	s_waitcnt vmcnt(0)
	v_cmpx_eq_u16_e64 v37, v38
	s_cbranch_execz .LBB218_356
; %bb.350:
	s_mov_b64 s[0:1], 1
	s_mov_b32 s36, 0
                                        ; implicit-def: $sgpr37
	s_set_inst_prefetch_distance 0x1
	s_branch .LBB218_353
	.p2align	6
.LBB218_351:                            ;   in Loop: Header=BB218_353 Depth=1
	v_add_co_u32 v37, vcc_lo, v33, s0
	v_add_co_ci_u32_e32 v38, vcc_lo, s1, v34, vcc_lo
	v_add_co_u32 v39, vcc_lo, v35, s0
	v_add_co_ci_u32_e32 v40, vcc_lo, s1, v36, vcc_lo
	s_add_u32 s4, s0, 1
	s_clause 0x1
	global_load_u8 v37, v[37:38], off
	global_load_u8 v38, v[39:40], off
	s_addc_u32 s5, s1, 0
	s_and_not1_b32 s37, s37, exec_lo
	s_waitcnt vmcnt(0)
	v_cmp_ne_u16_e32 vcc_lo, v37, v38
	s_and_b32 s38, vcc_lo, exec_lo
	s_delay_alu instid0(SALU_CYCLE_1)
	s_or_b32 s37, s37, s38
.LBB218_352:                            ;   in Loop: Header=BB218_353 Depth=1
	v_dual_mov_b32 v38, s1 :: v_dual_mov_b32 v37, s0
	s_and_b32 s38, exec_lo, s37
	s_mov_b64 s[0:1], s[4:5]
	s_or_b32 s36, s38, s36
	s_delay_alu instid0(SALU_CYCLE_1)
	s_and_not1_b32 exec_lo, exec_lo, s36
	s_cbranch_execz .LBB218_355
.LBB218_353:                            ; =>This Inner Loop Header: Depth=1
	s_or_b32 s37, s37, exec_lo
	s_cmp_eq_u64 s[14:15], s[0:1]
	s_cbranch_scc0 .LBB218_351
; %bb.354:                              ;   in Loop: Header=BB218_353 Depth=1
	s_mov_b64 s[0:1], s[14:15]
                                        ; implicit-def: $sgpr4_sgpr5
	s_branch .LBB218_352
.LBB218_355:
	s_set_inst_prefetch_distance 0x2
	s_or_b32 exec_lo, exec_lo, s36
	v_cmp_gt_i64_e32 vcc_lo, s[14:15], v[37:38]
	s_or_not1_b32 s0, vcc_lo, exec_lo
.LBB218_356:
	s_or_b32 exec_lo, exec_lo, s34
.LBB218_357:
	s_delay_alu instid0(SALU_CYCLE_1)
	s_and_b32 s34, s0, exec_lo
.LBB218_358:
	s_or_b32 exec_lo, exec_lo, s35
	v_or_b32_e32 v33, 1, v55
	s_mov_b32 s0, 0
	s_mov_b32 s35, exec_lo
	s_delay_alu instid0(VALU_DEP_1)
	v_cmpx_gt_u32_e64 s31, v33
	s_cbranch_execz .LBB218_369
; %bb.359:
	s_and_not1_b32 vcc_lo, exec_lo, s7
	s_cbranch_vccnz .LBB218_368
; %bb.360:
	v_mad_u64_u32 v[33:34], null, v29, s14, s[20:21]
	v_mul_lo_u32 v37, v29, s15
	v_mul_lo_u32 v38, v30, s14
	s_waitcnt vmcnt(0) lgkmcnt(1)
	v_mad_u64_u32 v[35:36], null, v31, s14, s[20:21]
	v_mul_lo_u32 v39, v31, s15
	v_mul_lo_u32 v40, v32, s14
	s_mov_b32 s0, -1
	s_mov_b32 s36, exec_lo
	s_delay_alu instid0(VALU_DEP_4) | instskip(NEXT) | instid1(VALU_DEP_2)
	v_add3_u32 v34, v38, v34, v37
	v_add3_u32 v36, v40, v36, v39
	s_clause 0x1
	global_load_u8 v37, v[33:34], off
	global_load_u8 v38, v[35:36], off
	s_waitcnt vmcnt(0)
	v_cmpx_eq_u16_e64 v37, v38
	s_cbranch_execz .LBB218_367
; %bb.361:
	s_mov_b64 s[0:1], 1
	s_mov_b32 s37, 0
                                        ; implicit-def: $sgpr38
	s_set_inst_prefetch_distance 0x1
	s_branch .LBB218_364
	.p2align	6
.LBB218_362:                            ;   in Loop: Header=BB218_364 Depth=1
	v_add_co_u32 v37, vcc_lo, v33, s0
	v_add_co_ci_u32_e32 v38, vcc_lo, s1, v34, vcc_lo
	v_add_co_u32 v39, vcc_lo, v35, s0
	v_add_co_ci_u32_e32 v40, vcc_lo, s1, v36, vcc_lo
	s_add_u32 s4, s0, 1
	s_clause 0x1
	global_load_u8 v37, v[37:38], off
	global_load_u8 v38, v[39:40], off
	s_addc_u32 s5, s1, 0
	s_and_not1_b32 s38, s38, exec_lo
	s_waitcnt vmcnt(0)
	v_cmp_ne_u16_e32 vcc_lo, v37, v38
	s_and_b32 s39, vcc_lo, exec_lo
	s_delay_alu instid0(SALU_CYCLE_1)
	s_or_b32 s38, s38, s39
.LBB218_363:                            ;   in Loop: Header=BB218_364 Depth=1
	v_dual_mov_b32 v38, s1 :: v_dual_mov_b32 v37, s0
	s_and_b32 s39, exec_lo, s38
	s_mov_b64 s[0:1], s[4:5]
	s_or_b32 s37, s39, s37
	s_delay_alu instid0(SALU_CYCLE_1)
	s_and_not1_b32 exec_lo, exec_lo, s37
	s_cbranch_execz .LBB218_366
.LBB218_364:                            ; =>This Inner Loop Header: Depth=1
	s_or_b32 s38, s38, exec_lo
	s_cmp_eq_u64 s[14:15], s[0:1]
	s_cbranch_scc0 .LBB218_362
; %bb.365:                              ;   in Loop: Header=BB218_364 Depth=1
	s_mov_b64 s[0:1], s[14:15]
                                        ; implicit-def: $sgpr4_sgpr5
	s_branch .LBB218_363
.LBB218_366:
	s_set_inst_prefetch_distance 0x2
	s_or_b32 exec_lo, exec_lo, s37
	v_cmp_gt_i64_e32 vcc_lo, s[14:15], v[37:38]
	s_or_not1_b32 s0, vcc_lo, exec_lo
.LBB218_367:
	s_or_b32 exec_lo, exec_lo, s36
.LBB218_368:
	s_delay_alu instid0(SALU_CYCLE_1)
	s_and_b32 s0, s0, exec_lo
.LBB218_369:
	s_or_b32 exec_lo, exec_lo, s35
	v_cndmask_b32_e64 v34, 0, 1, s27
	s_waitcnt vmcnt(0) lgkmcnt(1)
	v_cndmask_b32_e64 v35, 0, 1, s26
	v_cndmask_b32_e64 v36, 0, 1, s24
	;; [unrolled: 1-line block ×6, first 2 shown]
	v_lshlrev_b16 v35, 8, v35
	v_lshlrev_b16 v36, 8, v36
	;; [unrolled: 1-line block ×4, first 2 shown]
	s_waitcnt lgkmcnt(0)
	v_or_b32_e32 v35, v38, v35
	v_or_b32_e32 v36, v39, v36
	;; [unrolled: 1-line block ×4, first 2 shown]
	s_barrier
	v_and_b32_e32 v34, 0xffff, v35
	v_lshlrev_b32_e32 v35, 16, v36
	v_and_b32_e32 v36, 0xffff, v37
	v_lshlrev_b32_e32 v33, 16, v33
	buffer_gl0_inv
                                        ; implicit-def: $sgpr0
	v_or_b32_e32 v34, v34, v35
	v_or_b32_e32 v33, v36, v33
	s_and_saveexec_b32 s13, s3
	s_cbranch_execz .LBB218_382
; %bb.370:
	s_mov_b32 s0, 0
	s_mov_b32 s3, exec_lo
	v_cmpx_gt_u32_e64 s31, v55
	s_cbranch_execz .LBB218_381
; %bb.371:
	s_and_not1_b32 vcc_lo, exec_lo, s7
	s_cbranch_vccnz .LBB218_380
; %bb.372:
	v_add_nc_u32_e32 v35, -8, v55
	v_mul_lo_u32 v41, v29, s15
	s_mov_b32 s0, -1
	s_mov_b32 s7, exec_lo
	ds_load_b64 v[39:40], v35
	v_mad_u64_u32 v[35:36], null, v29, s14, s[20:21]
	s_waitcnt lgkmcnt(0)
	v_mul_lo_u32 v42, v39, s15
	v_mul_lo_u32 v40, v40, s14
	v_mad_u64_u32 v[37:38], null, v39, s14, s[20:21]
	v_mul_lo_u32 v39, v30, s14
	s_delay_alu instid0(VALU_DEP_2) | instskip(NEXT) | instid1(VALU_DEP_2)
	v_add3_u32 v38, v40, v38, v42
	v_add3_u32 v36, v39, v36, v41
	s_clause 0x1
	global_load_u8 v39, v[37:38], off
	global_load_u8 v40, v[35:36], off
	s_waitcnt vmcnt(0)
	v_cmpx_eq_u16_e64 v39, v40
	s_cbranch_execz .LBB218_379
; %bb.373:
	s_mov_b64 s[0:1], 1
	s_mov_b32 s20, 0
                                        ; implicit-def: $sgpr21
	s_set_inst_prefetch_distance 0x1
	s_branch .LBB218_376
	.p2align	6
.LBB218_374:                            ;   in Loop: Header=BB218_376 Depth=1
	v_add_co_u32 v39, vcc_lo, v37, s0
	v_add_co_ci_u32_e32 v40, vcc_lo, s1, v38, vcc_lo
	v_add_co_u32 v41, vcc_lo, v35, s0
	v_add_co_ci_u32_e32 v42, vcc_lo, s1, v36, vcc_lo
	s_add_u32 s4, s0, 1
	s_clause 0x1
	global_load_u8 v39, v[39:40], off
	global_load_u8 v40, v[41:42], off
	s_addc_u32 s5, s1, 0
	s_and_not1_b32 s21, s21, exec_lo
	s_waitcnt vmcnt(0)
	v_cmp_ne_u16_e32 vcc_lo, v39, v40
	s_and_b32 s24, vcc_lo, exec_lo
	s_delay_alu instid0(SALU_CYCLE_1)
	s_or_b32 s21, s21, s24
.LBB218_375:                            ;   in Loop: Header=BB218_376 Depth=1
	v_dual_mov_b32 v40, s1 :: v_dual_mov_b32 v39, s0
	s_and_b32 s24, exec_lo, s21
	s_mov_b64 s[0:1], s[4:5]
	s_or_b32 s20, s24, s20
	s_delay_alu instid0(SALU_CYCLE_1)
	s_and_not1_b32 exec_lo, exec_lo, s20
	s_cbranch_execz .LBB218_378
.LBB218_376:                            ; =>This Inner Loop Header: Depth=1
	s_or_b32 s21, s21, exec_lo
	s_cmp_eq_u64 s[14:15], s[0:1]
	s_cbranch_scc0 .LBB218_374
; %bb.377:                              ;   in Loop: Header=BB218_376 Depth=1
	s_mov_b64 s[0:1], s[14:15]
                                        ; implicit-def: $sgpr4_sgpr5
	s_branch .LBB218_375
.LBB218_378:
	s_set_inst_prefetch_distance 0x2
	s_or_b32 exec_lo, exec_lo, s20
	v_cmp_gt_i64_e32 vcc_lo, s[14:15], v[39:40]
	s_or_not1_b32 s0, vcc_lo, exec_lo
.LBB218_379:
	s_or_b32 exec_lo, exec_lo, s7
.LBB218_380:
	s_delay_alu instid0(SALU_CYCLE_1)
	s_and_b32 s0, s0, exec_lo
.LBB218_381:
	s_or_b32 exec_lo, exec_lo, s3
	s_delay_alu instid0(SALU_CYCLE_1)
	s_and_b32 s0, s0, exec_lo
	s_or_b32 s6, s6, exec_lo
.LBB218_382:
	s_or_b32 exec_lo, exec_lo, s13
.LBB218_383:
	s_and_saveexec_b32 s1, s6
	s_cbranch_execz .LBB218_385
; %bb.384:
	s_waitcnt vmcnt(0) lgkmcnt(0)
	v_and_b32_e32 v35, 0xffffff00, v33
	v_cndmask_b32_e64 v36, 0, 1, s0
	s_delay_alu instid0(VALU_DEP_1) | instskip(NEXT) | instid1(VALU_DEP_1)
	v_or_b32_e32 v35, v36, v35
	v_and_b32_e32 v35, 0xffff, v35
	s_delay_alu instid0(VALU_DEP_1)
	v_and_or_b32 v33, 0xffff0000, v33, v35
.LBB218_385:
	s_or_b32 exec_lo, exec_lo, s1
	s_delay_alu instid0(SALU_CYCLE_1)
	s_and_not1_b32 vcc_lo, exec_lo, s33
	s_cbranch_vccnz .LBB218_387
; %bb.386:
	v_cmp_gt_u32_e32 vcc_lo, s31, v55
	s_waitcnt vmcnt(0) lgkmcnt(0)
	v_or_b32_e32 v36, 1, v55
	v_and_b32_e32 v37, 0xffffff00, v34
	v_or_b32_e32 v38, 2, v55
	v_cndmask_b32_e32 v35, 0, v33, vcc_lo
	s_delay_alu instid0(VALU_DEP_4) | instskip(SKIP_1) | instid1(VALU_DEP_4)
	v_cmp_gt_u32_e32 vcc_lo, s31, v36
	v_or_b32_e32 v36, 4, v55
	v_cmp_gt_u32_e64 s0, s31, v38
	v_or_b32_e32 v38, 3, v55
	v_and_b32_e32 v35, 0xff, v35
	s_delay_alu instid0(VALU_DEP_2) | instskip(NEXT) | instid1(VALU_DEP_2)
	v_cmp_gt_u32_e64 s1, s31, v38
	v_cndmask_b32_e32 v35, v35, v33, vcc_lo
	v_cmp_gt_u32_e32 vcc_lo, s31, v36
	v_cndmask_b32_e32 v36, v37, v34, vcc_lo
	v_or_b32_e32 v37, 5, v55
	s_delay_alu instid0(VALU_DEP_2) | instskip(SKIP_1) | instid1(VALU_DEP_1)
	v_and_b32_e32 v36, 0xffff00ff, v36
	v_and_b32_e32 v35, 0xffff, v35
	v_cndmask_b32_e64 v35, v35, v33, s0
	s_delay_alu instid0(VALU_DEP_4) | instskip(SKIP_1) | instid1(VALU_DEP_3)
	v_cmp_gt_u32_e64 s0, s31, v37
	v_or_b32_e32 v37, 6, v55
	v_and_b32_e32 v35, 0xffffff, v35
	s_delay_alu instid0(VALU_DEP_3) | instskip(NEXT) | instid1(VALU_DEP_2)
	v_cndmask_b32_e64 v36, v36, v34, s0
	v_cndmask_b32_e64 v35, v35, v33, s1
	s_delay_alu instid0(VALU_DEP_1) | instskip(SKIP_2) | instid1(VALU_DEP_3)
	v_dual_cndmask_b32 v35, v35, v33 :: v_dual_and_b32 v36, 0xff00ffff, v36
	v_cmp_gt_u32_e32 vcc_lo, s31, v37
	v_or_b32_e32 v37, 7, v55
	v_cndmask_b32_e64 v35, v35, v33, s0
	s_delay_alu instid0(VALU_DEP_1) | instskip(NEXT) | instid1(VALU_DEP_1)
	v_dual_cndmask_b32 v36, v36, v34 :: v_dual_cndmask_b32 v35, v35, v33
	v_and_b32_e32 v36, 0xffffff, v36
	s_delay_alu instid0(VALU_DEP_4) | instskip(NEXT) | instid1(VALU_DEP_2)
	v_cmp_gt_u32_e32 vcc_lo, s31, v37
	v_dual_cndmask_b32 v34, v36, v34 :: v_dual_cndmask_b32 v33, v35, v33
.LBB218_387:
	s_delay_alu instid0(VALU_DEP_1) | instskip(SKIP_1) | instid1(VALU_DEP_2)
	v_and_b32_e32 v42, 0xff, v33
	s_waitcnt vmcnt(0) lgkmcnt(0)
	v_alignbit_b32 v35, v34, v33, 24
	v_bfe_u32 v44, v33, 8, 8
	v_bfe_u32 v46, v33, 16, 8
	v_and_b32_e32 v50, 0xff, v34
	v_bfe_u32 v52, v34, 8, 8
	v_and_b32_e32 v48, 0xff, v35
	v_add_nc_u32_e32 v35, v44, v42
	v_mbcnt_lo_u32_b32 v57, -1, 0
	v_bfe_u32 v54, v34, 16, 8
	v_lshrrev_b32_e32 v56, 24, v34
	v_lshrrev_b32_e32 v58, 5, v0
	v_add3_u32 v35, v35, v46, v48
	v_and_b32_e32 v36, 15, v57
	v_and_b32_e32 v37, 16, v57
	s_and_b32 vcc_lo, exec_lo, s12
	s_mov_b32 s7, -1
	v_add3_u32 v35, v35, v50, v52
	v_cmp_eq_u32_e64 s3, 0, v36
	v_cmp_lt_u32_e64 s0, 1, v36
	v_cmp_lt_u32_e64 s4, 3, v36
	;; [unrolled: 1-line block ×3, first 2 shown]
	v_add3_u32 v59, v35, v54, v56
	v_or_b32_e32 v35, 31, v0
	v_cmp_eq_u32_e64 s6, 0, v37
	s_barrier
	buffer_gl0_inv
	v_cmp_eq_u32_e64 s5, v35, v0
	s_cbranch_vccz .LBB218_418
; %bb.388:
	v_mov_b32_dpp v35, v59 row_shr:1 row_mask:0xf bank_mask:0xf
	s_delay_alu instid0(VALU_DEP_1) | instskip(NEXT) | instid1(VALU_DEP_1)
	v_cndmask_b32_e64 v35, v35, 0, s3
	v_add_nc_u32_e32 v35, v35, v59
	s_delay_alu instid0(VALU_DEP_1) | instskip(NEXT) | instid1(VALU_DEP_1)
	v_mov_b32_dpp v36, v35 row_shr:2 row_mask:0xf bank_mask:0xf
	v_cndmask_b32_e64 v36, 0, v36, s0
	s_delay_alu instid0(VALU_DEP_1) | instskip(NEXT) | instid1(VALU_DEP_1)
	v_add_nc_u32_e32 v35, v35, v36
	v_mov_b32_dpp v36, v35 row_shr:4 row_mask:0xf bank_mask:0xf
	s_delay_alu instid0(VALU_DEP_1) | instskip(NEXT) | instid1(VALU_DEP_1)
	v_cndmask_b32_e64 v36, 0, v36, s4
	v_add_nc_u32_e32 v35, v35, v36
	s_delay_alu instid0(VALU_DEP_1) | instskip(NEXT) | instid1(VALU_DEP_1)
	v_mov_b32_dpp v36, v35 row_shr:8 row_mask:0xf bank_mask:0xf
	v_cndmask_b32_e64 v36, 0, v36, s1
	s_delay_alu instid0(VALU_DEP_1) | instskip(SKIP_3) | instid1(VALU_DEP_1)
	v_add_nc_u32_e32 v35, v35, v36
	ds_swizzle_b32 v36, v35 offset:swizzle(BROADCAST,32,15)
	s_waitcnt lgkmcnt(0)
	v_cndmask_b32_e64 v36, v36, 0, s6
	v_add_nc_u32_e32 v35, v35, v36
	s_and_saveexec_b32 s7, s5
	s_cbranch_execz .LBB218_390
; %bb.389:
	v_lshlrev_b32_e32 v36, 2, v58
	ds_store_b32 v36, v35
.LBB218_390:
	s_or_b32 exec_lo, exec_lo, s7
	s_delay_alu instid0(SALU_CYCLE_1)
	s_mov_b32 s7, exec_lo
	s_waitcnt lgkmcnt(0)
	s_barrier
	buffer_gl0_inv
	v_cmpx_gt_u32_e32 16, v0
	s_cbranch_execz .LBB218_392
; %bb.391:
	v_lshlrev_b32_e32 v36, 2, v0
	ds_load_b32 v37, v36
	s_waitcnt lgkmcnt(0)
	v_mov_b32_dpp v38, v37 row_shr:1 row_mask:0xf bank_mask:0xf
	s_delay_alu instid0(VALU_DEP_1) | instskip(NEXT) | instid1(VALU_DEP_1)
	v_cndmask_b32_e64 v38, v38, 0, s3
	v_add_nc_u32_e32 v37, v38, v37
	s_delay_alu instid0(VALU_DEP_1) | instskip(NEXT) | instid1(VALU_DEP_1)
	v_mov_b32_dpp v38, v37 row_shr:2 row_mask:0xf bank_mask:0xf
	v_cndmask_b32_e64 v38, 0, v38, s0
	s_delay_alu instid0(VALU_DEP_1) | instskip(NEXT) | instid1(VALU_DEP_1)
	v_add_nc_u32_e32 v37, v37, v38
	v_mov_b32_dpp v38, v37 row_shr:4 row_mask:0xf bank_mask:0xf
	s_delay_alu instid0(VALU_DEP_1) | instskip(NEXT) | instid1(VALU_DEP_1)
	v_cndmask_b32_e64 v38, 0, v38, s4
	v_add_nc_u32_e32 v37, v37, v38
	s_delay_alu instid0(VALU_DEP_1) | instskip(NEXT) | instid1(VALU_DEP_1)
	v_mov_b32_dpp v38, v37 row_shr:8 row_mask:0xf bank_mask:0xf
	v_cndmask_b32_e64 v38, 0, v38, s1
	s_delay_alu instid0(VALU_DEP_1)
	v_add_nc_u32_e32 v37, v37, v38
	ds_store_b32 v36, v37
.LBB218_392:
	s_or_b32 exec_lo, exec_lo, s7
	v_cmp_gt_u32_e32 vcc_lo, 32, v0
	s_mov_b32 s12, exec_lo
	s_waitcnt lgkmcnt(0)
	s_barrier
	buffer_gl0_inv
                                        ; implicit-def: $vgpr43
	v_cmpx_lt_u32_e32 31, v0
	s_cbranch_execz .LBB218_394
; %bb.393:
	v_lshl_add_u32 v36, v58, 2, -4
	ds_load_b32 v43, v36
	s_waitcnt lgkmcnt(0)
	v_add_nc_u32_e32 v35, v43, v35
.LBB218_394:
	s_or_b32 exec_lo, exec_lo, s12
	v_add_nc_u32_e32 v36, -1, v57
	s_delay_alu instid0(VALU_DEP_1) | instskip(NEXT) | instid1(VALU_DEP_1)
	v_cmp_gt_i32_e64 s7, 0, v36
	v_cndmask_b32_e64 v36, v36, v57, s7
	v_cmp_eq_u32_e64 s7, 0, v57
	s_delay_alu instid0(VALU_DEP_2)
	v_lshlrev_b32_e32 v36, 2, v36
	ds_bpermute_b32 v45, v36, v35
	s_and_saveexec_b32 s12, vcc_lo
	s_cbranch_execz .LBB218_417
; %bb.395:
	v_mov_b32_e32 v38, 0
	ds_load_b32 v35, v38 offset:60
	s_and_saveexec_b32 s13, s7
	s_cbranch_execz .LBB218_397
; %bb.396:
	s_add_i32 s14, s30, 32
	s_mov_b32 s15, 0
	v_mov_b32_e32 v36, 1
	s_lshl_b64 s[14:15], s[14:15], 3
	s_delay_alu instid0(SALU_CYCLE_1)
	s_add_u32 s14, s22, s14
	s_addc_u32 s15, s23, s15
	s_waitcnt lgkmcnt(0)
	global_store_b64 v38, v[35:36], s[14:15]
.LBB218_397:
	s_or_b32 exec_lo, exec_lo, s13
	v_xad_u32 v36, v57, -1, s30
	s_mov_b32 s14, 0
	s_mov_b32 s13, exec_lo
	s_delay_alu instid0(VALU_DEP_1) | instskip(NEXT) | instid1(VALU_DEP_1)
	v_add_nc_u32_e32 v37, 32, v36
	v_lshlrev_b64 v[37:38], 3, v[37:38]
	s_delay_alu instid0(VALU_DEP_1) | instskip(NEXT) | instid1(VALU_DEP_2)
	v_add_co_u32 v40, vcc_lo, s22, v37
	v_add_co_ci_u32_e32 v41, vcc_lo, s23, v38, vcc_lo
	global_load_b64 v[38:39], v[40:41], off glc
	s_waitcnt vmcnt(0)
	v_and_b32_e32 v37, 0xff, v39
	s_delay_alu instid0(VALU_DEP_1)
	v_cmpx_eq_u16_e32 0, v37
	s_cbranch_execz .LBB218_403
; %bb.398:
	s_mov_b32 s15, 1
	.p2align	6
.LBB218_399:                            ; =>This Loop Header: Depth=1
                                        ;     Child Loop BB218_400 Depth 2
	s_delay_alu instid0(SALU_CYCLE_1)
	s_max_u32 s20, s15, 1
.LBB218_400:                            ;   Parent Loop BB218_399 Depth=1
                                        ; =>  This Inner Loop Header: Depth=2
	s_delay_alu instid0(SALU_CYCLE_1)
	s_add_i32 s20, s20, -1
	s_sleep 1
	s_cmp_eq_u32 s20, 0
	s_cbranch_scc0 .LBB218_400
; %bb.401:                              ;   in Loop: Header=BB218_399 Depth=1
	global_load_b64 v[38:39], v[40:41], off glc
	s_cmp_lt_u32 s15, 32
	s_cselect_b32 s20, -1, 0
	s_delay_alu instid0(SALU_CYCLE_1) | instskip(SKIP_3) | instid1(VALU_DEP_1)
	s_cmp_lg_u32 s20, 0
	s_addc_u32 s15, s15, 0
	s_waitcnt vmcnt(0)
	v_and_b32_e32 v37, 0xff, v39
	v_cmp_ne_u16_e32 vcc_lo, 0, v37
	s_or_b32 s14, vcc_lo, s14
	s_delay_alu instid0(SALU_CYCLE_1)
	s_and_not1_b32 exec_lo, exec_lo, s14
	s_cbranch_execnz .LBB218_399
; %bb.402:
	s_or_b32 exec_lo, exec_lo, s14
.LBB218_403:
	s_delay_alu instid0(SALU_CYCLE_1)
	s_or_b32 exec_lo, exec_lo, s13
	v_cmp_ne_u32_e32 vcc_lo, 31, v57
	v_lshlrev_b32_e64 v49, v57, -1
	v_add_nc_u32_e32 v53, 2, v57
	v_add_nc_u32_e32 v61, 4, v57
	v_add_nc_u32_e32 v64, 8, v57
	v_add_co_ci_u32_e32 v37, vcc_lo, 0, v57, vcc_lo
	v_add_nc_u32_e32 v66, 16, v57
	s_delay_alu instid0(VALU_DEP_2)
	v_lshlrev_b32_e32 v47, 2, v37
	v_and_b32_e32 v37, 0xff, v39
	ds_bpermute_b32 v40, v47, v38
	v_cmp_eq_u16_e32 vcc_lo, 2, v37
	v_and_or_b32 v37, vcc_lo, v49, 0x80000000
	v_cmp_gt_u32_e32 vcc_lo, 30, v57
	s_delay_alu instid0(VALU_DEP_2) | instskip(SKIP_1) | instid1(VALU_DEP_2)
	v_ctz_i32_b32_e32 v37, v37
	v_cndmask_b32_e64 v41, 0, 1, vcc_lo
	v_cmp_lt_u32_e32 vcc_lo, v57, v37
	s_waitcnt lgkmcnt(0)
	s_delay_alu instid0(VALU_DEP_2) | instskip(NEXT) | instid1(VALU_DEP_1)
	v_dual_cndmask_b32 v40, 0, v40 :: v_dual_lshlrev_b32 v41, 1, v41
	v_add_lshl_u32 v51, v41, v57, 2
	v_cmp_gt_u32_e32 vcc_lo, 28, v57
	s_delay_alu instid0(VALU_DEP_3) | instskip(SKIP_4) | instid1(VALU_DEP_1)
	v_add_nc_u32_e32 v38, v40, v38
	v_cndmask_b32_e64 v41, 0, 1, vcc_lo
	v_cmp_le_u32_e32 vcc_lo, v53, v37
	ds_bpermute_b32 v40, v51, v38
	v_lshlrev_b32_e32 v41, 2, v41
	v_add_lshl_u32 v60, v41, v57, 2
	s_waitcnt lgkmcnt(0)
	v_cndmask_b32_e32 v40, 0, v40, vcc_lo
	v_cmp_gt_u32_e32 vcc_lo, 24, v57
	s_delay_alu instid0(VALU_DEP_2) | instskip(SKIP_4) | instid1(VALU_DEP_1)
	v_add_nc_u32_e32 v38, v38, v40
	v_cndmask_b32_e64 v41, 0, 1, vcc_lo
	v_cmp_le_u32_e32 vcc_lo, v61, v37
	ds_bpermute_b32 v40, v60, v38
	v_lshlrev_b32_e32 v41, 3, v41
	v_add_lshl_u32 v63, v41, v57, 2
	s_waitcnt lgkmcnt(0)
	v_cndmask_b32_e32 v40, 0, v40, vcc_lo
	v_cmp_gt_u32_e32 vcc_lo, 16, v57
	s_delay_alu instid0(VALU_DEP_2) | instskip(SKIP_4) | instid1(VALU_DEP_1)
	v_add_nc_u32_e32 v38, v38, v40
	v_cndmask_b32_e64 v41, 0, 1, vcc_lo
	v_cmp_le_u32_e32 vcc_lo, v64, v37
	ds_bpermute_b32 v40, v63, v38
	v_lshlrev_b32_e32 v41, 4, v41
	v_add_lshl_u32 v65, v41, v57, 2
	s_waitcnt lgkmcnt(0)
	v_cndmask_b32_e32 v40, 0, v40, vcc_lo
	v_cmp_le_u32_e32 vcc_lo, v66, v37
	s_delay_alu instid0(VALU_DEP_2) | instskip(SKIP_3) | instid1(VALU_DEP_1)
	v_add_nc_u32_e32 v38, v38, v40
	ds_bpermute_b32 v40, v65, v38
	s_waitcnt lgkmcnt(0)
	v_cndmask_b32_e32 v37, 0, v40, vcc_lo
	v_dual_mov_b32 v37, 0 :: v_dual_add_nc_u32 v38, v38, v37
	s_branch .LBB218_405
.LBB218_404:                            ;   in Loop: Header=BB218_405 Depth=1
	s_or_b32 exec_lo, exec_lo, s13
	ds_bpermute_b32 v41, v47, v38
	v_and_b32_e32 v40, 0xff, v39
	v_subrev_nc_u32_e32 v36, 32, v36
	s_delay_alu instid0(VALU_DEP_2) | instskip(SKIP_1) | instid1(VALU_DEP_1)
	v_cmp_eq_u16_e32 vcc_lo, 2, v40
	v_and_or_b32 v40, vcc_lo, v49, 0x80000000
	v_ctz_i32_b32_e32 v40, v40
	s_delay_alu instid0(VALU_DEP_1) | instskip(SKIP_3) | instid1(VALU_DEP_2)
	v_cmp_lt_u32_e32 vcc_lo, v57, v40
	s_waitcnt lgkmcnt(0)
	v_cndmask_b32_e32 v41, 0, v41, vcc_lo
	v_cmp_le_u32_e32 vcc_lo, v53, v40
	v_add_nc_u32_e32 v38, v41, v38
	ds_bpermute_b32 v41, v51, v38
	s_waitcnt lgkmcnt(0)
	v_cndmask_b32_e32 v41, 0, v41, vcc_lo
	v_cmp_le_u32_e32 vcc_lo, v61, v40
	s_delay_alu instid0(VALU_DEP_2) | instskip(SKIP_4) | instid1(VALU_DEP_2)
	v_add_nc_u32_e32 v38, v38, v41
	ds_bpermute_b32 v41, v60, v38
	s_waitcnt lgkmcnt(0)
	v_cndmask_b32_e32 v41, 0, v41, vcc_lo
	v_cmp_le_u32_e32 vcc_lo, v64, v40
	v_add_nc_u32_e32 v38, v38, v41
	ds_bpermute_b32 v41, v63, v38
	s_waitcnt lgkmcnt(0)
	v_cndmask_b32_e32 v41, 0, v41, vcc_lo
	v_cmp_le_u32_e32 vcc_lo, v66, v40
	s_delay_alu instid0(VALU_DEP_2) | instskip(SKIP_3) | instid1(VALU_DEP_1)
	v_add_nc_u32_e32 v38, v38, v41
	ds_bpermute_b32 v41, v65, v38
	s_waitcnt lgkmcnt(0)
	v_cndmask_b32_e32 v40, 0, v41, vcc_lo
	v_add3_u32 v38, v40, v62, v38
.LBB218_405:                            ; =>This Loop Header: Depth=1
                                        ;     Child Loop BB218_408 Depth 2
                                        ;       Child Loop BB218_409 Depth 3
	s_delay_alu instid0(VALU_DEP_1) | instskip(NEXT) | instid1(VALU_DEP_1)
	v_dual_mov_b32 v62, v38 :: v_dual_and_b32 v39, 0xff, v39
	v_cmp_ne_u16_e32 vcc_lo, 2, v39
	v_cndmask_b32_e64 v39, 0, 1, vcc_lo
	;;#ASMSTART
	;;#ASMEND
	s_delay_alu instid0(VALU_DEP_1)
	v_cmp_ne_u32_e32 vcc_lo, 0, v39
	s_cmp_lg_u32 vcc_lo, exec_lo
	s_cbranch_scc1 .LBB218_412
; %bb.406:                              ;   in Loop: Header=BB218_405 Depth=1
	v_lshlrev_b64 v[38:39], 3, v[36:37]
	s_mov_b32 s13, exec_lo
	s_delay_alu instid0(VALU_DEP_1) | instskip(NEXT) | instid1(VALU_DEP_2)
	v_add_co_u32 v40, vcc_lo, s22, v38
	v_add_co_ci_u32_e32 v41, vcc_lo, s23, v39, vcc_lo
	global_load_b64 v[38:39], v[40:41], off glc
	s_waitcnt vmcnt(0)
	v_and_b32_e32 v67, 0xff, v39
	s_delay_alu instid0(VALU_DEP_1)
	v_cmpx_eq_u16_e32 0, v67
	s_cbranch_execz .LBB218_404
; %bb.407:                              ;   in Loop: Header=BB218_405 Depth=1
	s_mov_b32 s15, 1
	s_mov_b32 s14, 0
	.p2align	6
.LBB218_408:                            ;   Parent Loop BB218_405 Depth=1
                                        ; =>  This Loop Header: Depth=2
                                        ;       Child Loop BB218_409 Depth 3
	s_max_u32 s20, s15, 1
.LBB218_409:                            ;   Parent Loop BB218_405 Depth=1
                                        ;     Parent Loop BB218_408 Depth=2
                                        ; =>    This Inner Loop Header: Depth=3
	s_delay_alu instid0(SALU_CYCLE_1)
	s_add_i32 s20, s20, -1
	s_sleep 1
	s_cmp_eq_u32 s20, 0
	s_cbranch_scc0 .LBB218_409
; %bb.410:                              ;   in Loop: Header=BB218_408 Depth=2
	global_load_b64 v[38:39], v[40:41], off glc
	s_cmp_lt_u32 s15, 32
	s_cselect_b32 s20, -1, 0
	s_delay_alu instid0(SALU_CYCLE_1) | instskip(SKIP_3) | instid1(VALU_DEP_1)
	s_cmp_lg_u32 s20, 0
	s_addc_u32 s15, s15, 0
	s_waitcnt vmcnt(0)
	v_and_b32_e32 v67, 0xff, v39
	v_cmp_ne_u16_e32 vcc_lo, 0, v67
	s_or_b32 s14, vcc_lo, s14
	s_delay_alu instid0(SALU_CYCLE_1)
	s_and_not1_b32 exec_lo, exec_lo, s14
	s_cbranch_execnz .LBB218_408
; %bb.411:                              ;   in Loop: Header=BB218_405 Depth=1
	s_or_b32 exec_lo, exec_lo, s14
	s_branch .LBB218_404
.LBB218_412:                            ;   in Loop: Header=BB218_405 Depth=1
                                        ; implicit-def: $vgpr38
                                        ; implicit-def: $vgpr39
	s_cbranch_execz .LBB218_405
; %bb.413:
	s_and_saveexec_b32 s13, s7
	s_cbranch_execz .LBB218_415
; %bb.414:
	s_add_i32 s14, s30, 32
	s_mov_b32 s15, 0
	v_dual_mov_b32 v37, 2 :: v_dual_add_nc_u32 v36, v62, v35
	s_lshl_b64 s[14:15], s[14:15], 3
	v_mov_b32_e32 v38, 0
	v_add_nc_u32_e64 v39, 0x8400, 0
	s_add_u32 s14, s22, s14
	s_addc_u32 s15, s23, s15
	global_store_b64 v38, v[36:37], s[14:15]
	ds_store_2addr_b32 v39, v35, v62 offset1:2
.LBB218_415:
	s_or_b32 exec_lo, exec_lo, s13
	s_delay_alu instid0(SALU_CYCLE_1)
	s_and_b32 exec_lo, exec_lo, s2
	s_cbranch_execz .LBB218_417
; %bb.416:
	v_mov_b32_e32 v35, 0
	ds_store_b32 v35, v62 offset:60
.LBB218_417:
	s_or_b32 exec_lo, exec_lo, s12
	v_mov_b32_e32 v35, 0
	s_waitcnt lgkmcnt(0)
	s_waitcnt_vscnt null, 0x0
	s_barrier
	buffer_gl0_inv
	v_cndmask_b32_e64 v36, v45, v43, s7
	ds_load_b32 v35, v35 offset:60
	s_waitcnt lgkmcnt(0)
	s_barrier
	buffer_gl0_inv
	v_cndmask_b32_e64 v36, v36, 0, s2
	s_delay_alu instid0(VALU_DEP_1) | instskip(SKIP_1) | instid1(VALU_DEP_2)
	v_add_nc_u32_e32 v53, v35, v36
	v_add_nc_u32_e64 v35, 0x8400, 0
	v_add_nc_u32_e32 v51, v53, v42
	ds_load_2addr_b32 v[35:36], v35 offset1:2
	v_add_nc_u32_e32 v49, v51, v44
	s_delay_alu instid0(VALU_DEP_1) | instskip(NEXT) | instid1(VALU_DEP_1)
	v_add_nc_u32_e32 v47, v49, v46
	v_add_nc_u32_e32 v45, v47, v48
	s_delay_alu instid0(VALU_DEP_1) | instskip(SKIP_2) | instid1(VALU_DEP_2)
	v_add_nc_u32_e32 v43, v45, v50
	s_waitcnt lgkmcnt(0)
	v_readfirstlane_b32 s12, v36
	v_add_nc_u32_e32 v41, v43, v52
	s_delay_alu instid0(VALU_DEP_1)
	v_add_nc_u32_e32 v39, v41, v54
	v_lshrrev_b64 v[37:38], 24, v[33:34]
	s_branch .LBB218_428
.LBB218_418:
                                        ; implicit-def: $vgpr39
                                        ; implicit-def: $vgpr41
                                        ; implicit-def: $vgpr43
                                        ; implicit-def: $vgpr45
                                        ; implicit-def: $vgpr47
                                        ; implicit-def: $vgpr49
                                        ; implicit-def: $vgpr51
                                        ; implicit-def: $vgpr53
                                        ; implicit-def: $sgpr12
                                        ; implicit-def: $vgpr35
	v_lshrrev_b64 v[37:38], 24, v[33:34]
	s_and_b32 vcc_lo, exec_lo, s7
	s_cbranch_vccz .LBB218_428
; %bb.419:
	v_mov_b32_dpp v35, v59 row_shr:1 row_mask:0xf bank_mask:0xf
	s_delay_alu instid0(VALU_DEP_1) | instskip(NEXT) | instid1(VALU_DEP_1)
	v_cndmask_b32_e64 v35, v35, 0, s3
	v_add_nc_u32_e32 v35, v35, v59
	s_delay_alu instid0(VALU_DEP_1) | instskip(NEXT) | instid1(VALU_DEP_1)
	v_mov_b32_dpp v36, v35 row_shr:2 row_mask:0xf bank_mask:0xf
	v_cndmask_b32_e64 v36, 0, v36, s0
	s_delay_alu instid0(VALU_DEP_1) | instskip(NEXT) | instid1(VALU_DEP_1)
	v_add_nc_u32_e32 v35, v35, v36
	v_mov_b32_dpp v36, v35 row_shr:4 row_mask:0xf bank_mask:0xf
	s_delay_alu instid0(VALU_DEP_1) | instskip(NEXT) | instid1(VALU_DEP_1)
	v_cndmask_b32_e64 v36, 0, v36, s4
	v_add_nc_u32_e32 v35, v35, v36
	s_delay_alu instid0(VALU_DEP_1) | instskip(NEXT) | instid1(VALU_DEP_1)
	v_mov_b32_dpp v36, v35 row_shr:8 row_mask:0xf bank_mask:0xf
	v_cndmask_b32_e64 v36, 0, v36, s1
	s_delay_alu instid0(VALU_DEP_1) | instskip(SKIP_3) | instid1(VALU_DEP_1)
	v_add_nc_u32_e32 v35, v35, v36
	ds_swizzle_b32 v36, v35 offset:swizzle(BROADCAST,32,15)
	s_waitcnt lgkmcnt(0)
	v_cndmask_b32_e64 v36, v36, 0, s6
	v_add_nc_u32_e32 v35, v35, v36
	s_and_saveexec_b32 s6, s5
	s_cbranch_execz .LBB218_421
; %bb.420:
	v_lshlrev_b32_e32 v36, 2, v58
	ds_store_b32 v36, v35
.LBB218_421:
	s_or_b32 exec_lo, exec_lo, s6
	s_delay_alu instid0(SALU_CYCLE_1)
	s_mov_b32 s5, exec_lo
	s_waitcnt lgkmcnt(0)
	s_barrier
	buffer_gl0_inv
	v_cmpx_gt_u32_e32 16, v0
	s_cbranch_execz .LBB218_423
; %bb.422:
	v_lshlrev_b32_e32 v36, 2, v0
	ds_load_b32 v38, v36
	s_waitcnt lgkmcnt(0)
	v_mov_b32_dpp v39, v38 row_shr:1 row_mask:0xf bank_mask:0xf
	s_delay_alu instid0(VALU_DEP_1) | instskip(NEXT) | instid1(VALU_DEP_1)
	v_cndmask_b32_e64 v39, v39, 0, s3
	v_add_nc_u32_e32 v38, v39, v38
	s_delay_alu instid0(VALU_DEP_1) | instskip(NEXT) | instid1(VALU_DEP_1)
	v_mov_b32_dpp v39, v38 row_shr:2 row_mask:0xf bank_mask:0xf
	v_cndmask_b32_e64 v39, 0, v39, s0
	s_delay_alu instid0(VALU_DEP_1) | instskip(NEXT) | instid1(VALU_DEP_1)
	v_add_nc_u32_e32 v38, v38, v39
	v_mov_b32_dpp v39, v38 row_shr:4 row_mask:0xf bank_mask:0xf
	s_delay_alu instid0(VALU_DEP_1) | instskip(NEXT) | instid1(VALU_DEP_1)
	v_cndmask_b32_e64 v39, 0, v39, s4
	v_add_nc_u32_e32 v38, v38, v39
	s_delay_alu instid0(VALU_DEP_1) | instskip(NEXT) | instid1(VALU_DEP_1)
	v_mov_b32_dpp v39, v38 row_shr:8 row_mask:0xf bank_mask:0xf
	v_cndmask_b32_e64 v39, 0, v39, s1
	s_delay_alu instid0(VALU_DEP_1)
	v_add_nc_u32_e32 v38, v38, v39
	ds_store_b32 v36, v38
.LBB218_423:
	s_or_b32 exec_lo, exec_lo, s5
	v_mov_b32_e32 v36, 0
	v_mov_b32_e32 v38, 0
	s_mov_b32 s0, exec_lo
	s_waitcnt lgkmcnt(0)
	s_barrier
	buffer_gl0_inv
	v_cmpx_lt_u32_e32 31, v0
	s_cbranch_execz .LBB218_425
; %bb.424:
	v_lshl_add_u32 v38, v58, 2, -4
	ds_load_b32 v38, v38
.LBB218_425:
	s_or_b32 exec_lo, exec_lo, s0
	v_add_nc_u32_e32 v39, -1, v57
	s_waitcnt lgkmcnt(0)
	v_add_nc_u32_e32 v35, v38, v35
	s_mov_b32 s12, 0
	s_delay_alu instid0(VALU_DEP_2) | instskip(SKIP_1) | instid1(VALU_DEP_1)
	v_cmp_gt_i32_e32 vcc_lo, 0, v39
	v_cndmask_b32_e32 v39, v39, v57, vcc_lo
	v_lshlrev_b32_e32 v39, 2, v39
	ds_bpermute_b32 v39, v39, v35
	ds_load_b32 v35, v36 offset:60
	s_and_saveexec_b32 s0, s2
	s_cbranch_execz .LBB218_427
; %bb.426:
	v_mov_b32_e32 v40, 0
	v_mov_b32_e32 v36, 2
	s_waitcnt lgkmcnt(0)
	global_store_b64 v40, v[35:36], s[22:23] offset:256
.LBB218_427:
	s_or_b32 exec_lo, exec_lo, s0
	v_cmp_eq_u32_e32 vcc_lo, 0, v57
	s_waitcnt lgkmcnt(0)
	s_waitcnt_vscnt null, 0x0
	s_barrier
	buffer_gl0_inv
	v_cndmask_b32_e32 v36, v39, v38, vcc_lo
	s_delay_alu instid0(VALU_DEP_1) | instskip(NEXT) | instid1(VALU_DEP_1)
	v_cndmask_b32_e64 v53, v36, 0, s2
	v_add_nc_u32_e32 v51, v53, v42
	s_delay_alu instid0(VALU_DEP_1) | instskip(NEXT) | instid1(VALU_DEP_1)
	v_add_nc_u32_e32 v49, v51, v44
	v_add_nc_u32_e32 v47, v49, v46
	s_delay_alu instid0(VALU_DEP_1) | instskip(NEXT) | instid1(VALU_DEP_1)
	v_add_nc_u32_e32 v45, v47, v48
	;; [unrolled: 3-line block ×3, first 2 shown]
	v_add_nc_u32_e32 v39, v41, v54
.LBB218_428:
	v_add_nc_u32_e32 v59, s12, v35
	v_cmp_gt_u32_e64 s0, 0x201, v35
	v_lshrrev_b32_e32 v58, 8, v33
	v_lshrrev_b32_e32 v57, 16, v33
	;; [unrolled: 1-line block ×4, first 2 shown]
	v_cmp_lt_u32_e64 s1, v53, v59
	s_and_b32 vcc_lo, exec_lo, s0
	s_mov_b32 s3, -1
	s_cbranch_vccz .LBB218_454
; %bb.429:
	s_delay_alu instid0(VALU_DEP_1) | instskip(NEXT) | instid1(SALU_CYCLE_1)
	s_or_b32 s3, s29, s1
	s_and_saveexec_b32 s1, s3
	s_cbranch_execz .LBB218_432
; %bb.430:
	v_and_b32_e32 v40, 1, v33
	s_delay_alu instid0(VALU_DEP_1)
	v_cmp_eq_u32_e32 vcc_lo, 1, v40
	s_and_b32 exec_lo, exec_lo, vcc_lo
	s_cbranch_execz .LBB218_432
; %bb.431:
	v_mov_b32_e32 v54, 0
	s_lshl_b64 s[4:5], s[10:11], 3
	s_delay_alu instid0(SALU_CYCLE_1) | instskip(SKIP_1) | instid1(VALU_DEP_1)
	s_add_u32 s3, s16, s4
	s_addc_u32 s4, s17, s5
	v_lshlrev_b64 v[60:61], 3, v[53:54]
	s_delay_alu instid0(VALU_DEP_1) | instskip(NEXT) | instid1(VALU_DEP_2)
	v_add_co_u32 v60, vcc_lo, s3, v60
	v_add_co_ci_u32_e32 v61, vcc_lo, s4, v61, vcc_lo
	global_store_b64 v[60:61], v[29:30], off
.LBB218_432:
	s_or_b32 exec_lo, exec_lo, s1
	v_cmp_lt_u32_e32 vcc_lo, v51, v59
	s_or_b32 s3, s29, vcc_lo
	s_delay_alu instid0(SALU_CYCLE_1)
	s_and_saveexec_b32 s1, s3
	s_cbranch_execz .LBB218_435
; %bb.433:
	v_and_b32_e32 v40, 1, v58
	s_delay_alu instid0(VALU_DEP_1)
	v_cmp_eq_u32_e32 vcc_lo, 1, v40
	s_and_b32 exec_lo, exec_lo, vcc_lo
	s_cbranch_execz .LBB218_435
; %bb.434:
	v_mov_b32_e32 v52, 0
	s_lshl_b64 s[4:5], s[10:11], 3
	s_delay_alu instid0(SALU_CYCLE_1) | instskip(SKIP_1) | instid1(VALU_DEP_1)
	s_add_u32 s3, s16, s4
	s_addc_u32 s4, s17, s5
	v_lshlrev_b64 v[60:61], 3, v[51:52]
	s_delay_alu instid0(VALU_DEP_1) | instskip(NEXT) | instid1(VALU_DEP_2)
	v_add_co_u32 v60, vcc_lo, s3, v60
	v_add_co_ci_u32_e32 v61, vcc_lo, s4, v61, vcc_lo
	global_store_b64 v[60:61], v[31:32], off
.LBB218_435:
	s_or_b32 exec_lo, exec_lo, s1
	v_cmp_lt_u32_e32 vcc_lo, v49, v59
	s_or_b32 s3, s29, vcc_lo
	s_delay_alu instid0(SALU_CYCLE_1)
	;; [unrolled: 24-line block ×7, first 2 shown]
	s_and_saveexec_b32 s1, s3
	s_cbranch_execz .LBB218_453
; %bb.451:
	v_and_b32_e32 v40, 1, v56
	s_delay_alu instid0(VALU_DEP_1)
	v_cmp_eq_u32_e32 vcc_lo, 1, v40
	s_and_b32 exec_lo, exec_lo, vcc_lo
	s_cbranch_execz .LBB218_453
; %bb.452:
	v_mov_b32_e32 v40, 0
	s_lshl_b64 s[4:5], s[10:11], 3
	s_delay_alu instid0(SALU_CYCLE_1) | instskip(SKIP_1) | instid1(VALU_DEP_1)
	s_add_u32 s3, s16, s4
	s_addc_u32 s4, s17, s5
	v_lshlrev_b64 v[60:61], 3, v[39:40]
	s_delay_alu instid0(VALU_DEP_1) | instskip(NEXT) | instid1(VALU_DEP_2)
	v_add_co_u32 v60, vcc_lo, s3, v60
	v_add_co_ci_u32_e32 v61, vcc_lo, s4, v61, vcc_lo
	global_store_b64 v[60:61], v[19:20], off
.LBB218_453:
	s_or_b32 exec_lo, exec_lo, s1
	s_mov_b32 s3, 0
.LBB218_454:
	v_and_b32_e32 v33, 1, v33
	s_and_b32 vcc_lo, exec_lo, s3
	s_delay_alu instid0(VALU_DEP_1)
	v_cmp_eq_u32_e64 s1, 1, v33
	s_cbranch_vccz .LBB218_475
; %bb.455:
	s_delay_alu instid0(VALU_DEP_1)
	s_and_saveexec_b32 s3, s1
	s_cbranch_execz .LBB218_457
; %bb.456:
	v_subrev_nc_u32_e32 v40, s12, v53
	s_delay_alu instid0(VALU_DEP_1)
	v_lshlrev_b32_e32 v40, 3, v40
	ds_store_b64 v40, v[29:30]
.LBB218_457:
	s_or_b32 exec_lo, exec_lo, s3
	v_and_b32_e32 v29, 1, v58
	s_mov_b32 s1, exec_lo
	s_delay_alu instid0(VALU_DEP_1)
	v_cmpx_eq_u32_e32 1, v29
	s_cbranch_execz .LBB218_459
; %bb.458:
	v_subrev_nc_u32_e32 v29, s12, v51
	s_delay_alu instid0(VALU_DEP_1)
	v_lshlrev_b32_e32 v29, 3, v29
	ds_store_b64 v29, v[31:32]
.LBB218_459:
	s_or_b32 exec_lo, exec_lo, s1
	v_and_b32_e32 v29, 1, v57
	s_mov_b32 s1, exec_lo
	s_delay_alu instid0(VALU_DEP_1)
	v_cmpx_eq_u32_e32 1, v29
	;; [unrolled: 12-line block ×7, first 2 shown]
	s_cbranch_execz .LBB218_471
; %bb.470:
	v_subrev_nc_u32_e32 v17, s12, v39
	s_delay_alu instid0(VALU_DEP_1)
	v_lshlrev_b32_e32 v17, 3, v17
	ds_store_b64 v17, v[19:20]
.LBB218_471:
	s_or_b32 exec_lo, exec_lo, s1
	s_delay_alu instid0(SALU_CYCLE_1)
	s_mov_b32 s3, exec_lo
	s_waitcnt lgkmcnt(0)
	s_waitcnt_vscnt null, 0x0
	s_barrier
	buffer_gl0_inv
	v_cmpx_lt_u32_e64 v0, v35
	s_cbranch_execz .LBB218_474
; %bb.472:
	s_mov_b32 s13, 0
	s_lshl_b64 s[4:5], s[10:11], 3
	s_lshl_b64 s[6:7], s[12:13], 3
	v_dual_mov_b32 v19, v55 :: v_dual_mov_b32 v20, v0
	s_add_u32 s1, s4, s6
	s_addc_u32 s4, s5, s7
	s_add_u32 s1, s16, s1
	s_addc_u32 s4, s17, s4
	v_add_co_u32 v17, s1, s1, v55
	s_delay_alu instid0(VALU_DEP_1)
	v_add_co_ci_u32_e64 v18, null, s4, 0, s1
	.p2align	6
.LBB218_473:                            ; =>This Inner Loop Header: Depth=1
	ds_load_b64 v[21:22], v19
	v_add_nc_u32_e32 v20, 0x200, v20
	v_add_nc_u32_e32 v19, 0x1000, v19
	s_delay_alu instid0(VALU_DEP_2) | instskip(SKIP_4) | instid1(VALU_DEP_1)
	v_cmp_ge_u32_e32 vcc_lo, v20, v35
	s_or_b32 s13, vcc_lo, s13
	s_waitcnt lgkmcnt(0)
	global_store_b64 v[17:18], v[21:22], off
	v_add_co_u32 v17, s1, 0x1000, v17
	v_add_co_ci_u32_e64 v18, s1, 0, v18, s1
	s_and_not1_b32 exec_lo, exec_lo, s13
	s_cbranch_execnz .LBB218_473
.LBB218_474:
	s_or_b32 exec_lo, exec_lo, s3
.LBB218_475:
	s_delay_alu instid0(SALU_CYCLE_1)
	s_and_b32 vcc_lo, exec_lo, s0
	s_mov_b32 s0, -1
	s_waitcnt_vscnt null, 0x0
	s_barrier
	buffer_gl0_inv
	s_cbranch_vccz .LBB218_503
; %bb.476:
	v_cmp_lt_u32_e32 vcc_lo, v53, v59
	s_or_b32 s1, s29, vcc_lo
	s_delay_alu instid0(SALU_CYCLE_1)
	s_and_saveexec_b32 s0, s1
	s_cbranch_execz .LBB218_479
; %bb.477:
	v_cmp_eq_u32_e32 vcc_lo, 1, v33
	s_and_b32 exec_lo, exec_lo, vcc_lo
	s_cbranch_execz .LBB218_479
; %bb.478:
	v_mov_b32_e32 v54, 0
	s_lshl_b64 s[4:5], s[10:11], 3
	s_delay_alu instid0(SALU_CYCLE_1) | instskip(SKIP_1) | instid1(VALU_DEP_1)
	s_add_u32 s1, s18, s4
	s_addc_u32 s3, s19, s5
	v_lshlrev_b64 v[17:18], 3, v[53:54]
	s_delay_alu instid0(VALU_DEP_1) | instskip(NEXT) | instid1(VALU_DEP_2)
	v_add_co_u32 v17, vcc_lo, s1, v17
	v_add_co_ci_u32_e32 v18, vcc_lo, s3, v18, vcc_lo
	global_store_b64 v[17:18], v[13:14], off
.LBB218_479:
	s_or_b32 exec_lo, exec_lo, s0
	v_cmp_lt_u32_e32 vcc_lo, v51, v59
	s_or_b32 s1, s29, vcc_lo
	s_delay_alu instid0(SALU_CYCLE_1)
	s_and_saveexec_b32 s0, s1
	s_cbranch_execz .LBB218_482
; %bb.480:
	v_and_b32_e32 v17, 1, v58
	s_delay_alu instid0(VALU_DEP_1)
	v_cmp_eq_u32_e32 vcc_lo, 1, v17
	s_and_b32 exec_lo, exec_lo, vcc_lo
	s_cbranch_execz .LBB218_482
; %bb.481:
	v_mov_b32_e32 v52, 0
	s_lshl_b64 s[4:5], s[10:11], 3
	s_delay_alu instid0(SALU_CYCLE_1) | instskip(SKIP_1) | instid1(VALU_DEP_1)
	s_add_u32 s1, s18, s4
	s_addc_u32 s3, s19, s5
	v_lshlrev_b64 v[17:18], 3, v[51:52]
	s_delay_alu instid0(VALU_DEP_1) | instskip(NEXT) | instid1(VALU_DEP_2)
	v_add_co_u32 v17, vcc_lo, s1, v17
	v_add_co_ci_u32_e32 v18, vcc_lo, s3, v18, vcc_lo
	global_store_b64 v[17:18], v[15:16], off
.LBB218_482:
	s_or_b32 exec_lo, exec_lo, s0
	v_cmp_lt_u32_e32 vcc_lo, v49, v59
	s_or_b32 s1, s29, vcc_lo
	s_delay_alu instid0(SALU_CYCLE_1)
	s_and_saveexec_b32 s0, s1
	s_cbranch_execz .LBB218_485
; %bb.483:
	v_and_b32_e32 v17, 1, v57
	s_delay_alu instid0(VALU_DEP_1)
	v_cmp_eq_u32_e32 vcc_lo, 1, v17
	s_and_b32 exec_lo, exec_lo, vcc_lo
	s_cbranch_execz .LBB218_485
; %bb.484:
	v_mov_b32_e32 v50, 0
	s_lshl_b64 s[4:5], s[10:11], 3
	s_delay_alu instid0(SALU_CYCLE_1) | instskip(SKIP_1) | instid1(VALU_DEP_1)
	s_add_u32 s1, s18, s4
	s_addc_u32 s3, s19, s5
	v_lshlrev_b64 v[17:18], 3, v[49:50]
	s_delay_alu instid0(VALU_DEP_1) | instskip(NEXT) | instid1(VALU_DEP_2)
	v_add_co_u32 v17, vcc_lo, s1, v17
	v_add_co_ci_u32_e32 v18, vcc_lo, s3, v18, vcc_lo
	global_store_b64 v[17:18], v[9:10], off
.LBB218_485:
	;; [unrolled: 24-line block ×7, first 2 shown]
	s_or_b32 exec_lo, exec_lo, s0
.LBB218_501:
	s_and_b32 s0, s2, s28
	s_delay_alu instid0(SALU_CYCLE_1)
	s_and_saveexec_b32 s1, s0
	s_cbranch_execz .LBB218_524
.LBB218_502:
	v_add_co_u32 v0, s0, s10, v35
	s_delay_alu instid0(VALU_DEP_1) | instskip(SKIP_1) | instid1(VALU_DEP_3)
	v_add_co_ci_u32_e64 v1, null, s11, 0, s0
	v_mov_b32_e32 v2, 0
	v_add_co_u32 v0, vcc_lo, v0, s12
	s_delay_alu instid0(VALU_DEP_3)
	v_add_co_ci_u32_e32 v1, vcc_lo, 0, v1, vcc_lo
	global_store_b64 v2, v[0:1], s[8:9]
	s_nop 0
	s_sendmsg sendmsg(MSG_DEALLOC_VGPRS)
	s_endpgm
.LBB218_503:
	s_and_b32 vcc_lo, exec_lo, s0
	s_cbranch_vccz .LBB218_501
; %bb.504:
	s_mov_b32 s0, exec_lo
	v_cmpx_eq_u32_e32 1, v33
	s_cbranch_execz .LBB218_506
; %bb.505:
	v_subrev_nc_u32_e32 v17, s12, v53
	s_delay_alu instid0(VALU_DEP_1)
	v_lshlrev_b32_e32 v17, 3, v17
	ds_store_b64 v17, v[13:14]
.LBB218_506:
	s_or_b32 exec_lo, exec_lo, s0
	v_and_b32_e32 v13, 1, v58
	s_mov_b32 s0, exec_lo
	s_delay_alu instid0(VALU_DEP_1)
	v_cmpx_eq_u32_e32 1, v13
	s_cbranch_execz .LBB218_508
; %bb.507:
	v_subrev_nc_u32_e32 v13, s12, v51
	s_delay_alu instid0(VALU_DEP_1)
	v_lshlrev_b32_e32 v13, 3, v13
	ds_store_b64 v13, v[15:16]
.LBB218_508:
	s_or_b32 exec_lo, exec_lo, s0
	v_and_b32_e32 v13, 1, v57
	s_mov_b32 s0, exec_lo
	s_delay_alu instid0(VALU_DEP_1)
	;; [unrolled: 12-line block ×7, first 2 shown]
	v_cmpx_eq_u32_e32 1, v1
	s_cbranch_execz .LBB218_520
; %bb.519:
	v_subrev_nc_u32_e32 v1, s12, v39
	s_delay_alu instid0(VALU_DEP_1)
	v_lshlrev_b32_e32 v1, 3, v1
	ds_store_b64 v1, v[3:4]
.LBB218_520:
	s_or_b32 exec_lo, exec_lo, s0
	s_delay_alu instid0(SALU_CYCLE_1)
	s_mov_b32 s1, exec_lo
	s_waitcnt lgkmcnt(0)
	s_waitcnt_vscnt null, 0x0
	s_barrier
	buffer_gl0_inv
	v_cmpx_lt_u32_e64 v0, v35
	s_cbranch_execz .LBB218_523
; %bb.521:
	s_mov_b32 s13, 0
	s_lshl_b64 s[4:5], s[10:11], 3
	s_lshl_b64 s[6:7], s[12:13], 3
	s_delay_alu instid0(SALU_CYCLE_1) | instskip(SKIP_4) | instid1(VALU_DEP_1)
	s_add_u32 s0, s4, s6
	s_addc_u32 s3, s5, s7
	s_add_u32 s0, s18, s0
	s_addc_u32 s3, s19, s3
	v_add_co_u32 v1, s0, s0, v55
	v_add_co_ci_u32_e64 v2, null, s3, 0, s0
	.p2align	6
.LBB218_522:                            ; =>This Inner Loop Header: Depth=1
	ds_load_b64 v[3:4], v55
	v_add_nc_u32_e32 v0, 0x200, v0
	v_add_nc_u32_e32 v55, 0x1000, v55
	s_delay_alu instid0(VALU_DEP_2) | instskip(SKIP_4) | instid1(VALU_DEP_1)
	v_cmp_ge_u32_e32 vcc_lo, v0, v35
	s_or_b32 s13, vcc_lo, s13
	s_waitcnt lgkmcnt(0)
	global_store_b64 v[1:2], v[3:4], off
	v_add_co_u32 v1, s0, 0x1000, v1
	v_add_co_ci_u32_e64 v2, s0, 0, v2, s0
	s_and_not1_b32 exec_lo, exec_lo, s13
	s_cbranch_execnz .LBB218_522
.LBB218_523:
	s_or_b32 exec_lo, exec_lo, s1
	s_and_b32 s0, s2, s28
	s_delay_alu instid0(SALU_CYCLE_1)
	s_and_saveexec_b32 s1, s0
	s_cbranch_execnz .LBB218_502
.LBB218_524:
	s_nop 0
	s_sendmsg sendmsg(MSG_DEALLOC_VGPRS)
	s_endpgm
	.section	.rodata,"a",@progbits
	.p2align	6, 0x0
	.amdhsa_kernel _ZN7rocprim17ROCPRIM_400000_NS6detail17trampoline_kernelINS0_14default_configENS1_25partition_config_selectorILNS1_17partition_subalgoE9EllbEEZZNS1_14partition_implILS5_9ELb0ES3_jPlS8_PNS0_10empty_typeENS0_5tupleIJS8_S9_EEENSB_IJS8_SA_EEENS0_18inequality_wrapperIZN2at6native12_GLOBAL__N_124unique_dim_cuda_templateIhEESt5tupleIJNSF_6TensorESK_SK_EERKSK_lbbbEUlllE0_EEPmJS9_EEE10hipError_tPvRmT3_T4_T5_T6_T7_T9_mT8_P12ihipStream_tbDpT10_ENKUlT_T0_E_clISt17integral_constantIbLb1EES1A_EEDaS15_S16_EUlS15_E_NS1_11comp_targetILNS1_3genE9ELNS1_11target_archE1100ELNS1_3gpuE3ELNS1_3repE0EEENS1_30default_config_static_selectorELNS0_4arch9wavefront6targetE0EEEvT1_
		.amdhsa_group_segment_fixed_size 33804
		.amdhsa_private_segment_fixed_size 0
		.amdhsa_kernarg_size 136
		.amdhsa_user_sgpr_count 15
		.amdhsa_user_sgpr_dispatch_ptr 0
		.amdhsa_user_sgpr_queue_ptr 0
		.amdhsa_user_sgpr_kernarg_segment_ptr 1
		.amdhsa_user_sgpr_dispatch_id 0
		.amdhsa_user_sgpr_private_segment_size 0
		.amdhsa_wavefront_size32 1
		.amdhsa_uses_dynamic_stack 0
		.amdhsa_enable_private_segment 0
		.amdhsa_system_sgpr_workgroup_id_x 1
		.amdhsa_system_sgpr_workgroup_id_y 0
		.amdhsa_system_sgpr_workgroup_id_z 0
		.amdhsa_system_sgpr_workgroup_info 0
		.amdhsa_system_vgpr_workitem_id 0
		.amdhsa_next_free_vgpr 68
		.amdhsa_next_free_sgpr 40
		.amdhsa_reserve_vcc 1
		.amdhsa_float_round_mode_32 0
		.amdhsa_float_round_mode_16_64 0
		.amdhsa_float_denorm_mode_32 3
		.amdhsa_float_denorm_mode_16_64 3
		.amdhsa_dx10_clamp 1
		.amdhsa_ieee_mode 1
		.amdhsa_fp16_overflow 0
		.amdhsa_workgroup_processor_mode 1
		.amdhsa_memory_ordered 1
		.amdhsa_forward_progress 0
		.amdhsa_shared_vgpr_count 0
		.amdhsa_exception_fp_ieee_invalid_op 0
		.amdhsa_exception_fp_denorm_src 0
		.amdhsa_exception_fp_ieee_div_zero 0
		.amdhsa_exception_fp_ieee_overflow 0
		.amdhsa_exception_fp_ieee_underflow 0
		.amdhsa_exception_fp_ieee_inexact 0
		.amdhsa_exception_int_div_zero 0
	.end_amdhsa_kernel
	.section	.text._ZN7rocprim17ROCPRIM_400000_NS6detail17trampoline_kernelINS0_14default_configENS1_25partition_config_selectorILNS1_17partition_subalgoE9EllbEEZZNS1_14partition_implILS5_9ELb0ES3_jPlS8_PNS0_10empty_typeENS0_5tupleIJS8_S9_EEENSB_IJS8_SA_EEENS0_18inequality_wrapperIZN2at6native12_GLOBAL__N_124unique_dim_cuda_templateIhEESt5tupleIJNSF_6TensorESK_SK_EERKSK_lbbbEUlllE0_EEPmJS9_EEE10hipError_tPvRmT3_T4_T5_T6_T7_T9_mT8_P12ihipStream_tbDpT10_ENKUlT_T0_E_clISt17integral_constantIbLb1EES1A_EEDaS15_S16_EUlS15_E_NS1_11comp_targetILNS1_3genE9ELNS1_11target_archE1100ELNS1_3gpuE3ELNS1_3repE0EEENS1_30default_config_static_selectorELNS0_4arch9wavefront6targetE0EEEvT1_,"axG",@progbits,_ZN7rocprim17ROCPRIM_400000_NS6detail17trampoline_kernelINS0_14default_configENS1_25partition_config_selectorILNS1_17partition_subalgoE9EllbEEZZNS1_14partition_implILS5_9ELb0ES3_jPlS8_PNS0_10empty_typeENS0_5tupleIJS8_S9_EEENSB_IJS8_SA_EEENS0_18inequality_wrapperIZN2at6native12_GLOBAL__N_124unique_dim_cuda_templateIhEESt5tupleIJNSF_6TensorESK_SK_EERKSK_lbbbEUlllE0_EEPmJS9_EEE10hipError_tPvRmT3_T4_T5_T6_T7_T9_mT8_P12ihipStream_tbDpT10_ENKUlT_T0_E_clISt17integral_constantIbLb1EES1A_EEDaS15_S16_EUlS15_E_NS1_11comp_targetILNS1_3genE9ELNS1_11target_archE1100ELNS1_3gpuE3ELNS1_3repE0EEENS1_30default_config_static_selectorELNS0_4arch9wavefront6targetE0EEEvT1_,comdat
.Lfunc_end218:
	.size	_ZN7rocprim17ROCPRIM_400000_NS6detail17trampoline_kernelINS0_14default_configENS1_25partition_config_selectorILNS1_17partition_subalgoE9EllbEEZZNS1_14partition_implILS5_9ELb0ES3_jPlS8_PNS0_10empty_typeENS0_5tupleIJS8_S9_EEENSB_IJS8_SA_EEENS0_18inequality_wrapperIZN2at6native12_GLOBAL__N_124unique_dim_cuda_templateIhEESt5tupleIJNSF_6TensorESK_SK_EERKSK_lbbbEUlllE0_EEPmJS9_EEE10hipError_tPvRmT3_T4_T5_T6_T7_T9_mT8_P12ihipStream_tbDpT10_ENKUlT_T0_E_clISt17integral_constantIbLb1EES1A_EEDaS15_S16_EUlS15_E_NS1_11comp_targetILNS1_3genE9ELNS1_11target_archE1100ELNS1_3gpuE3ELNS1_3repE0EEENS1_30default_config_static_selectorELNS0_4arch9wavefront6targetE0EEEvT1_, .Lfunc_end218-_ZN7rocprim17ROCPRIM_400000_NS6detail17trampoline_kernelINS0_14default_configENS1_25partition_config_selectorILNS1_17partition_subalgoE9EllbEEZZNS1_14partition_implILS5_9ELb0ES3_jPlS8_PNS0_10empty_typeENS0_5tupleIJS8_S9_EEENSB_IJS8_SA_EEENS0_18inequality_wrapperIZN2at6native12_GLOBAL__N_124unique_dim_cuda_templateIhEESt5tupleIJNSF_6TensorESK_SK_EERKSK_lbbbEUlllE0_EEPmJS9_EEE10hipError_tPvRmT3_T4_T5_T6_T7_T9_mT8_P12ihipStream_tbDpT10_ENKUlT_T0_E_clISt17integral_constantIbLb1EES1A_EEDaS15_S16_EUlS15_E_NS1_11comp_targetILNS1_3genE9ELNS1_11target_archE1100ELNS1_3gpuE3ELNS1_3repE0EEENS1_30default_config_static_selectorELNS0_4arch9wavefront6targetE0EEEvT1_
                                        ; -- End function
	.section	.AMDGPU.csdata,"",@progbits
; Kernel info:
; codeLenInByte = 18688
; NumSgprs: 42
; NumVgprs: 68
; ScratchSize: 0
; MemoryBound: 0
; FloatMode: 240
; IeeeMode: 1
; LDSByteSize: 33804 bytes/workgroup (compile time only)
; SGPRBlocks: 5
; VGPRBlocks: 8
; NumSGPRsForWavesPerEU: 42
; NumVGPRsForWavesPerEU: 68
; Occupancy: 12
; WaveLimiterHint : 1
; COMPUTE_PGM_RSRC2:SCRATCH_EN: 0
; COMPUTE_PGM_RSRC2:USER_SGPR: 15
; COMPUTE_PGM_RSRC2:TRAP_HANDLER: 0
; COMPUTE_PGM_RSRC2:TGID_X_EN: 1
; COMPUTE_PGM_RSRC2:TGID_Y_EN: 0
; COMPUTE_PGM_RSRC2:TGID_Z_EN: 0
; COMPUTE_PGM_RSRC2:TIDIG_COMP_CNT: 0
	.section	.text._ZN7rocprim17ROCPRIM_400000_NS6detail17trampoline_kernelINS0_14default_configENS1_25partition_config_selectorILNS1_17partition_subalgoE9EllbEEZZNS1_14partition_implILS5_9ELb0ES3_jPlS8_PNS0_10empty_typeENS0_5tupleIJS8_S9_EEENSB_IJS8_SA_EEENS0_18inequality_wrapperIZN2at6native12_GLOBAL__N_124unique_dim_cuda_templateIhEESt5tupleIJNSF_6TensorESK_SK_EERKSK_lbbbEUlllE0_EEPmJS9_EEE10hipError_tPvRmT3_T4_T5_T6_T7_T9_mT8_P12ihipStream_tbDpT10_ENKUlT_T0_E_clISt17integral_constantIbLb1EES1A_EEDaS15_S16_EUlS15_E_NS1_11comp_targetILNS1_3genE8ELNS1_11target_archE1030ELNS1_3gpuE2ELNS1_3repE0EEENS1_30default_config_static_selectorELNS0_4arch9wavefront6targetE0EEEvT1_,"axG",@progbits,_ZN7rocprim17ROCPRIM_400000_NS6detail17trampoline_kernelINS0_14default_configENS1_25partition_config_selectorILNS1_17partition_subalgoE9EllbEEZZNS1_14partition_implILS5_9ELb0ES3_jPlS8_PNS0_10empty_typeENS0_5tupleIJS8_S9_EEENSB_IJS8_SA_EEENS0_18inequality_wrapperIZN2at6native12_GLOBAL__N_124unique_dim_cuda_templateIhEESt5tupleIJNSF_6TensorESK_SK_EERKSK_lbbbEUlllE0_EEPmJS9_EEE10hipError_tPvRmT3_T4_T5_T6_T7_T9_mT8_P12ihipStream_tbDpT10_ENKUlT_T0_E_clISt17integral_constantIbLb1EES1A_EEDaS15_S16_EUlS15_E_NS1_11comp_targetILNS1_3genE8ELNS1_11target_archE1030ELNS1_3gpuE2ELNS1_3repE0EEENS1_30default_config_static_selectorELNS0_4arch9wavefront6targetE0EEEvT1_,comdat
	.globl	_ZN7rocprim17ROCPRIM_400000_NS6detail17trampoline_kernelINS0_14default_configENS1_25partition_config_selectorILNS1_17partition_subalgoE9EllbEEZZNS1_14partition_implILS5_9ELb0ES3_jPlS8_PNS0_10empty_typeENS0_5tupleIJS8_S9_EEENSB_IJS8_SA_EEENS0_18inequality_wrapperIZN2at6native12_GLOBAL__N_124unique_dim_cuda_templateIhEESt5tupleIJNSF_6TensorESK_SK_EERKSK_lbbbEUlllE0_EEPmJS9_EEE10hipError_tPvRmT3_T4_T5_T6_T7_T9_mT8_P12ihipStream_tbDpT10_ENKUlT_T0_E_clISt17integral_constantIbLb1EES1A_EEDaS15_S16_EUlS15_E_NS1_11comp_targetILNS1_3genE8ELNS1_11target_archE1030ELNS1_3gpuE2ELNS1_3repE0EEENS1_30default_config_static_selectorELNS0_4arch9wavefront6targetE0EEEvT1_ ; -- Begin function _ZN7rocprim17ROCPRIM_400000_NS6detail17trampoline_kernelINS0_14default_configENS1_25partition_config_selectorILNS1_17partition_subalgoE9EllbEEZZNS1_14partition_implILS5_9ELb0ES3_jPlS8_PNS0_10empty_typeENS0_5tupleIJS8_S9_EEENSB_IJS8_SA_EEENS0_18inequality_wrapperIZN2at6native12_GLOBAL__N_124unique_dim_cuda_templateIhEESt5tupleIJNSF_6TensorESK_SK_EERKSK_lbbbEUlllE0_EEPmJS9_EEE10hipError_tPvRmT3_T4_T5_T6_T7_T9_mT8_P12ihipStream_tbDpT10_ENKUlT_T0_E_clISt17integral_constantIbLb1EES1A_EEDaS15_S16_EUlS15_E_NS1_11comp_targetILNS1_3genE8ELNS1_11target_archE1030ELNS1_3gpuE2ELNS1_3repE0EEENS1_30default_config_static_selectorELNS0_4arch9wavefront6targetE0EEEvT1_
	.p2align	8
	.type	_ZN7rocprim17ROCPRIM_400000_NS6detail17trampoline_kernelINS0_14default_configENS1_25partition_config_selectorILNS1_17partition_subalgoE9EllbEEZZNS1_14partition_implILS5_9ELb0ES3_jPlS8_PNS0_10empty_typeENS0_5tupleIJS8_S9_EEENSB_IJS8_SA_EEENS0_18inequality_wrapperIZN2at6native12_GLOBAL__N_124unique_dim_cuda_templateIhEESt5tupleIJNSF_6TensorESK_SK_EERKSK_lbbbEUlllE0_EEPmJS9_EEE10hipError_tPvRmT3_T4_T5_T6_T7_T9_mT8_P12ihipStream_tbDpT10_ENKUlT_T0_E_clISt17integral_constantIbLb1EES1A_EEDaS15_S16_EUlS15_E_NS1_11comp_targetILNS1_3genE8ELNS1_11target_archE1030ELNS1_3gpuE2ELNS1_3repE0EEENS1_30default_config_static_selectorELNS0_4arch9wavefront6targetE0EEEvT1_,@function
_ZN7rocprim17ROCPRIM_400000_NS6detail17trampoline_kernelINS0_14default_configENS1_25partition_config_selectorILNS1_17partition_subalgoE9EllbEEZZNS1_14partition_implILS5_9ELb0ES3_jPlS8_PNS0_10empty_typeENS0_5tupleIJS8_S9_EEENSB_IJS8_SA_EEENS0_18inequality_wrapperIZN2at6native12_GLOBAL__N_124unique_dim_cuda_templateIhEESt5tupleIJNSF_6TensorESK_SK_EERKSK_lbbbEUlllE0_EEPmJS9_EEE10hipError_tPvRmT3_T4_T5_T6_T7_T9_mT8_P12ihipStream_tbDpT10_ENKUlT_T0_E_clISt17integral_constantIbLb1EES1A_EEDaS15_S16_EUlS15_E_NS1_11comp_targetILNS1_3genE8ELNS1_11target_archE1030ELNS1_3gpuE2ELNS1_3repE0EEENS1_30default_config_static_selectorELNS0_4arch9wavefront6targetE0EEEvT1_: ; @_ZN7rocprim17ROCPRIM_400000_NS6detail17trampoline_kernelINS0_14default_configENS1_25partition_config_selectorILNS1_17partition_subalgoE9EllbEEZZNS1_14partition_implILS5_9ELb0ES3_jPlS8_PNS0_10empty_typeENS0_5tupleIJS8_S9_EEENSB_IJS8_SA_EEENS0_18inequality_wrapperIZN2at6native12_GLOBAL__N_124unique_dim_cuda_templateIhEESt5tupleIJNSF_6TensorESK_SK_EERKSK_lbbbEUlllE0_EEPmJS9_EEE10hipError_tPvRmT3_T4_T5_T6_T7_T9_mT8_P12ihipStream_tbDpT10_ENKUlT_T0_E_clISt17integral_constantIbLb1EES1A_EEDaS15_S16_EUlS15_E_NS1_11comp_targetILNS1_3genE8ELNS1_11target_archE1030ELNS1_3gpuE2ELNS1_3repE0EEENS1_30default_config_static_selectorELNS0_4arch9wavefront6targetE0EEEvT1_
; %bb.0:
	.section	.rodata,"a",@progbits
	.p2align	6, 0x0
	.amdhsa_kernel _ZN7rocprim17ROCPRIM_400000_NS6detail17trampoline_kernelINS0_14default_configENS1_25partition_config_selectorILNS1_17partition_subalgoE9EllbEEZZNS1_14partition_implILS5_9ELb0ES3_jPlS8_PNS0_10empty_typeENS0_5tupleIJS8_S9_EEENSB_IJS8_SA_EEENS0_18inequality_wrapperIZN2at6native12_GLOBAL__N_124unique_dim_cuda_templateIhEESt5tupleIJNSF_6TensorESK_SK_EERKSK_lbbbEUlllE0_EEPmJS9_EEE10hipError_tPvRmT3_T4_T5_T6_T7_T9_mT8_P12ihipStream_tbDpT10_ENKUlT_T0_E_clISt17integral_constantIbLb1EES1A_EEDaS15_S16_EUlS15_E_NS1_11comp_targetILNS1_3genE8ELNS1_11target_archE1030ELNS1_3gpuE2ELNS1_3repE0EEENS1_30default_config_static_selectorELNS0_4arch9wavefront6targetE0EEEvT1_
		.amdhsa_group_segment_fixed_size 0
		.amdhsa_private_segment_fixed_size 0
		.amdhsa_kernarg_size 136
		.amdhsa_user_sgpr_count 15
		.amdhsa_user_sgpr_dispatch_ptr 0
		.amdhsa_user_sgpr_queue_ptr 0
		.amdhsa_user_sgpr_kernarg_segment_ptr 1
		.amdhsa_user_sgpr_dispatch_id 0
		.amdhsa_user_sgpr_private_segment_size 0
		.amdhsa_wavefront_size32 1
		.amdhsa_uses_dynamic_stack 0
		.amdhsa_enable_private_segment 0
		.amdhsa_system_sgpr_workgroup_id_x 1
		.amdhsa_system_sgpr_workgroup_id_y 0
		.amdhsa_system_sgpr_workgroup_id_z 0
		.amdhsa_system_sgpr_workgroup_info 0
		.amdhsa_system_vgpr_workitem_id 0
		.amdhsa_next_free_vgpr 1
		.amdhsa_next_free_sgpr 1
		.amdhsa_reserve_vcc 0
		.amdhsa_float_round_mode_32 0
		.amdhsa_float_round_mode_16_64 0
		.amdhsa_float_denorm_mode_32 3
		.amdhsa_float_denorm_mode_16_64 3
		.amdhsa_dx10_clamp 1
		.amdhsa_ieee_mode 1
		.amdhsa_fp16_overflow 0
		.amdhsa_workgroup_processor_mode 1
		.amdhsa_memory_ordered 1
		.amdhsa_forward_progress 0
		.amdhsa_shared_vgpr_count 0
		.amdhsa_exception_fp_ieee_invalid_op 0
		.amdhsa_exception_fp_denorm_src 0
		.amdhsa_exception_fp_ieee_div_zero 0
		.amdhsa_exception_fp_ieee_overflow 0
		.amdhsa_exception_fp_ieee_underflow 0
		.amdhsa_exception_fp_ieee_inexact 0
		.amdhsa_exception_int_div_zero 0
	.end_amdhsa_kernel
	.section	.text._ZN7rocprim17ROCPRIM_400000_NS6detail17trampoline_kernelINS0_14default_configENS1_25partition_config_selectorILNS1_17partition_subalgoE9EllbEEZZNS1_14partition_implILS5_9ELb0ES3_jPlS8_PNS0_10empty_typeENS0_5tupleIJS8_S9_EEENSB_IJS8_SA_EEENS0_18inequality_wrapperIZN2at6native12_GLOBAL__N_124unique_dim_cuda_templateIhEESt5tupleIJNSF_6TensorESK_SK_EERKSK_lbbbEUlllE0_EEPmJS9_EEE10hipError_tPvRmT3_T4_T5_T6_T7_T9_mT8_P12ihipStream_tbDpT10_ENKUlT_T0_E_clISt17integral_constantIbLb1EES1A_EEDaS15_S16_EUlS15_E_NS1_11comp_targetILNS1_3genE8ELNS1_11target_archE1030ELNS1_3gpuE2ELNS1_3repE0EEENS1_30default_config_static_selectorELNS0_4arch9wavefront6targetE0EEEvT1_,"axG",@progbits,_ZN7rocprim17ROCPRIM_400000_NS6detail17trampoline_kernelINS0_14default_configENS1_25partition_config_selectorILNS1_17partition_subalgoE9EllbEEZZNS1_14partition_implILS5_9ELb0ES3_jPlS8_PNS0_10empty_typeENS0_5tupleIJS8_S9_EEENSB_IJS8_SA_EEENS0_18inequality_wrapperIZN2at6native12_GLOBAL__N_124unique_dim_cuda_templateIhEESt5tupleIJNSF_6TensorESK_SK_EERKSK_lbbbEUlllE0_EEPmJS9_EEE10hipError_tPvRmT3_T4_T5_T6_T7_T9_mT8_P12ihipStream_tbDpT10_ENKUlT_T0_E_clISt17integral_constantIbLb1EES1A_EEDaS15_S16_EUlS15_E_NS1_11comp_targetILNS1_3genE8ELNS1_11target_archE1030ELNS1_3gpuE2ELNS1_3repE0EEENS1_30default_config_static_selectorELNS0_4arch9wavefront6targetE0EEEvT1_,comdat
.Lfunc_end219:
	.size	_ZN7rocprim17ROCPRIM_400000_NS6detail17trampoline_kernelINS0_14default_configENS1_25partition_config_selectorILNS1_17partition_subalgoE9EllbEEZZNS1_14partition_implILS5_9ELb0ES3_jPlS8_PNS0_10empty_typeENS0_5tupleIJS8_S9_EEENSB_IJS8_SA_EEENS0_18inequality_wrapperIZN2at6native12_GLOBAL__N_124unique_dim_cuda_templateIhEESt5tupleIJNSF_6TensorESK_SK_EERKSK_lbbbEUlllE0_EEPmJS9_EEE10hipError_tPvRmT3_T4_T5_T6_T7_T9_mT8_P12ihipStream_tbDpT10_ENKUlT_T0_E_clISt17integral_constantIbLb1EES1A_EEDaS15_S16_EUlS15_E_NS1_11comp_targetILNS1_3genE8ELNS1_11target_archE1030ELNS1_3gpuE2ELNS1_3repE0EEENS1_30default_config_static_selectorELNS0_4arch9wavefront6targetE0EEEvT1_, .Lfunc_end219-_ZN7rocprim17ROCPRIM_400000_NS6detail17trampoline_kernelINS0_14default_configENS1_25partition_config_selectorILNS1_17partition_subalgoE9EllbEEZZNS1_14partition_implILS5_9ELb0ES3_jPlS8_PNS0_10empty_typeENS0_5tupleIJS8_S9_EEENSB_IJS8_SA_EEENS0_18inequality_wrapperIZN2at6native12_GLOBAL__N_124unique_dim_cuda_templateIhEESt5tupleIJNSF_6TensorESK_SK_EERKSK_lbbbEUlllE0_EEPmJS9_EEE10hipError_tPvRmT3_T4_T5_T6_T7_T9_mT8_P12ihipStream_tbDpT10_ENKUlT_T0_E_clISt17integral_constantIbLb1EES1A_EEDaS15_S16_EUlS15_E_NS1_11comp_targetILNS1_3genE8ELNS1_11target_archE1030ELNS1_3gpuE2ELNS1_3repE0EEENS1_30default_config_static_selectorELNS0_4arch9wavefront6targetE0EEEvT1_
                                        ; -- End function
	.section	.AMDGPU.csdata,"",@progbits
; Kernel info:
; codeLenInByte = 0
; NumSgprs: 0
; NumVgprs: 0
; ScratchSize: 0
; MemoryBound: 0
; FloatMode: 240
; IeeeMode: 1
; LDSByteSize: 0 bytes/workgroup (compile time only)
; SGPRBlocks: 0
; VGPRBlocks: 0
; NumSGPRsForWavesPerEU: 1
; NumVGPRsForWavesPerEU: 1
; Occupancy: 16
; WaveLimiterHint : 0
; COMPUTE_PGM_RSRC2:SCRATCH_EN: 0
; COMPUTE_PGM_RSRC2:USER_SGPR: 15
; COMPUTE_PGM_RSRC2:TRAP_HANDLER: 0
; COMPUTE_PGM_RSRC2:TGID_X_EN: 1
; COMPUTE_PGM_RSRC2:TGID_Y_EN: 0
; COMPUTE_PGM_RSRC2:TGID_Z_EN: 0
; COMPUTE_PGM_RSRC2:TIDIG_COMP_CNT: 0
	.section	.text._ZN7rocprim17ROCPRIM_400000_NS6detail17trampoline_kernelINS0_14default_configENS1_25partition_config_selectorILNS1_17partition_subalgoE9EllbEEZZNS1_14partition_implILS5_9ELb0ES3_jPlS8_PNS0_10empty_typeENS0_5tupleIJS8_S9_EEENSB_IJS8_SA_EEENS0_18inequality_wrapperIZN2at6native12_GLOBAL__N_124unique_dim_cuda_templateIhEESt5tupleIJNSF_6TensorESK_SK_EERKSK_lbbbEUlllE0_EEPmJS9_EEE10hipError_tPvRmT3_T4_T5_T6_T7_T9_mT8_P12ihipStream_tbDpT10_ENKUlT_T0_E_clISt17integral_constantIbLb1EES19_IbLb0EEEEDaS15_S16_EUlS15_E_NS1_11comp_targetILNS1_3genE0ELNS1_11target_archE4294967295ELNS1_3gpuE0ELNS1_3repE0EEENS1_30default_config_static_selectorELNS0_4arch9wavefront6targetE0EEEvT1_,"axG",@progbits,_ZN7rocprim17ROCPRIM_400000_NS6detail17trampoline_kernelINS0_14default_configENS1_25partition_config_selectorILNS1_17partition_subalgoE9EllbEEZZNS1_14partition_implILS5_9ELb0ES3_jPlS8_PNS0_10empty_typeENS0_5tupleIJS8_S9_EEENSB_IJS8_SA_EEENS0_18inequality_wrapperIZN2at6native12_GLOBAL__N_124unique_dim_cuda_templateIhEESt5tupleIJNSF_6TensorESK_SK_EERKSK_lbbbEUlllE0_EEPmJS9_EEE10hipError_tPvRmT3_T4_T5_T6_T7_T9_mT8_P12ihipStream_tbDpT10_ENKUlT_T0_E_clISt17integral_constantIbLb1EES19_IbLb0EEEEDaS15_S16_EUlS15_E_NS1_11comp_targetILNS1_3genE0ELNS1_11target_archE4294967295ELNS1_3gpuE0ELNS1_3repE0EEENS1_30default_config_static_selectorELNS0_4arch9wavefront6targetE0EEEvT1_,comdat
	.globl	_ZN7rocprim17ROCPRIM_400000_NS6detail17trampoline_kernelINS0_14default_configENS1_25partition_config_selectorILNS1_17partition_subalgoE9EllbEEZZNS1_14partition_implILS5_9ELb0ES3_jPlS8_PNS0_10empty_typeENS0_5tupleIJS8_S9_EEENSB_IJS8_SA_EEENS0_18inequality_wrapperIZN2at6native12_GLOBAL__N_124unique_dim_cuda_templateIhEESt5tupleIJNSF_6TensorESK_SK_EERKSK_lbbbEUlllE0_EEPmJS9_EEE10hipError_tPvRmT3_T4_T5_T6_T7_T9_mT8_P12ihipStream_tbDpT10_ENKUlT_T0_E_clISt17integral_constantIbLb1EES19_IbLb0EEEEDaS15_S16_EUlS15_E_NS1_11comp_targetILNS1_3genE0ELNS1_11target_archE4294967295ELNS1_3gpuE0ELNS1_3repE0EEENS1_30default_config_static_selectorELNS0_4arch9wavefront6targetE0EEEvT1_ ; -- Begin function _ZN7rocprim17ROCPRIM_400000_NS6detail17trampoline_kernelINS0_14default_configENS1_25partition_config_selectorILNS1_17partition_subalgoE9EllbEEZZNS1_14partition_implILS5_9ELb0ES3_jPlS8_PNS0_10empty_typeENS0_5tupleIJS8_S9_EEENSB_IJS8_SA_EEENS0_18inequality_wrapperIZN2at6native12_GLOBAL__N_124unique_dim_cuda_templateIhEESt5tupleIJNSF_6TensorESK_SK_EERKSK_lbbbEUlllE0_EEPmJS9_EEE10hipError_tPvRmT3_T4_T5_T6_T7_T9_mT8_P12ihipStream_tbDpT10_ENKUlT_T0_E_clISt17integral_constantIbLb1EES19_IbLb0EEEEDaS15_S16_EUlS15_E_NS1_11comp_targetILNS1_3genE0ELNS1_11target_archE4294967295ELNS1_3gpuE0ELNS1_3repE0EEENS1_30default_config_static_selectorELNS0_4arch9wavefront6targetE0EEEvT1_
	.p2align	8
	.type	_ZN7rocprim17ROCPRIM_400000_NS6detail17trampoline_kernelINS0_14default_configENS1_25partition_config_selectorILNS1_17partition_subalgoE9EllbEEZZNS1_14partition_implILS5_9ELb0ES3_jPlS8_PNS0_10empty_typeENS0_5tupleIJS8_S9_EEENSB_IJS8_SA_EEENS0_18inequality_wrapperIZN2at6native12_GLOBAL__N_124unique_dim_cuda_templateIhEESt5tupleIJNSF_6TensorESK_SK_EERKSK_lbbbEUlllE0_EEPmJS9_EEE10hipError_tPvRmT3_T4_T5_T6_T7_T9_mT8_P12ihipStream_tbDpT10_ENKUlT_T0_E_clISt17integral_constantIbLb1EES19_IbLb0EEEEDaS15_S16_EUlS15_E_NS1_11comp_targetILNS1_3genE0ELNS1_11target_archE4294967295ELNS1_3gpuE0ELNS1_3repE0EEENS1_30default_config_static_selectorELNS0_4arch9wavefront6targetE0EEEvT1_,@function
_ZN7rocprim17ROCPRIM_400000_NS6detail17trampoline_kernelINS0_14default_configENS1_25partition_config_selectorILNS1_17partition_subalgoE9EllbEEZZNS1_14partition_implILS5_9ELb0ES3_jPlS8_PNS0_10empty_typeENS0_5tupleIJS8_S9_EEENSB_IJS8_SA_EEENS0_18inequality_wrapperIZN2at6native12_GLOBAL__N_124unique_dim_cuda_templateIhEESt5tupleIJNSF_6TensorESK_SK_EERKSK_lbbbEUlllE0_EEPmJS9_EEE10hipError_tPvRmT3_T4_T5_T6_T7_T9_mT8_P12ihipStream_tbDpT10_ENKUlT_T0_E_clISt17integral_constantIbLb1EES19_IbLb0EEEEDaS15_S16_EUlS15_E_NS1_11comp_targetILNS1_3genE0ELNS1_11target_archE4294967295ELNS1_3gpuE0ELNS1_3repE0EEENS1_30default_config_static_selectorELNS0_4arch9wavefront6targetE0EEEvT1_: ; @_ZN7rocprim17ROCPRIM_400000_NS6detail17trampoline_kernelINS0_14default_configENS1_25partition_config_selectorILNS1_17partition_subalgoE9EllbEEZZNS1_14partition_implILS5_9ELb0ES3_jPlS8_PNS0_10empty_typeENS0_5tupleIJS8_S9_EEENSB_IJS8_SA_EEENS0_18inequality_wrapperIZN2at6native12_GLOBAL__N_124unique_dim_cuda_templateIhEESt5tupleIJNSF_6TensorESK_SK_EERKSK_lbbbEUlllE0_EEPmJS9_EEE10hipError_tPvRmT3_T4_T5_T6_T7_T9_mT8_P12ihipStream_tbDpT10_ENKUlT_T0_E_clISt17integral_constantIbLb1EES19_IbLb0EEEEDaS15_S16_EUlS15_E_NS1_11comp_targetILNS1_3genE0ELNS1_11target_archE4294967295ELNS1_3gpuE0ELNS1_3repE0EEENS1_30default_config_static_selectorELNS0_4arch9wavefront6targetE0EEEvT1_
; %bb.0:
	.section	.rodata,"a",@progbits
	.p2align	6, 0x0
	.amdhsa_kernel _ZN7rocprim17ROCPRIM_400000_NS6detail17trampoline_kernelINS0_14default_configENS1_25partition_config_selectorILNS1_17partition_subalgoE9EllbEEZZNS1_14partition_implILS5_9ELb0ES3_jPlS8_PNS0_10empty_typeENS0_5tupleIJS8_S9_EEENSB_IJS8_SA_EEENS0_18inequality_wrapperIZN2at6native12_GLOBAL__N_124unique_dim_cuda_templateIhEESt5tupleIJNSF_6TensorESK_SK_EERKSK_lbbbEUlllE0_EEPmJS9_EEE10hipError_tPvRmT3_T4_T5_T6_T7_T9_mT8_P12ihipStream_tbDpT10_ENKUlT_T0_E_clISt17integral_constantIbLb1EES19_IbLb0EEEEDaS15_S16_EUlS15_E_NS1_11comp_targetILNS1_3genE0ELNS1_11target_archE4294967295ELNS1_3gpuE0ELNS1_3repE0EEENS1_30default_config_static_selectorELNS0_4arch9wavefront6targetE0EEEvT1_
		.amdhsa_group_segment_fixed_size 0
		.amdhsa_private_segment_fixed_size 0
		.amdhsa_kernarg_size 120
		.amdhsa_user_sgpr_count 15
		.amdhsa_user_sgpr_dispatch_ptr 0
		.amdhsa_user_sgpr_queue_ptr 0
		.amdhsa_user_sgpr_kernarg_segment_ptr 1
		.amdhsa_user_sgpr_dispatch_id 0
		.amdhsa_user_sgpr_private_segment_size 0
		.amdhsa_wavefront_size32 1
		.amdhsa_uses_dynamic_stack 0
		.amdhsa_enable_private_segment 0
		.amdhsa_system_sgpr_workgroup_id_x 1
		.amdhsa_system_sgpr_workgroup_id_y 0
		.amdhsa_system_sgpr_workgroup_id_z 0
		.amdhsa_system_sgpr_workgroup_info 0
		.amdhsa_system_vgpr_workitem_id 0
		.amdhsa_next_free_vgpr 1
		.amdhsa_next_free_sgpr 1
		.amdhsa_reserve_vcc 0
		.amdhsa_float_round_mode_32 0
		.amdhsa_float_round_mode_16_64 0
		.amdhsa_float_denorm_mode_32 3
		.amdhsa_float_denorm_mode_16_64 3
		.amdhsa_dx10_clamp 1
		.amdhsa_ieee_mode 1
		.amdhsa_fp16_overflow 0
		.amdhsa_workgroup_processor_mode 1
		.amdhsa_memory_ordered 1
		.amdhsa_forward_progress 0
		.amdhsa_shared_vgpr_count 0
		.amdhsa_exception_fp_ieee_invalid_op 0
		.amdhsa_exception_fp_denorm_src 0
		.amdhsa_exception_fp_ieee_div_zero 0
		.amdhsa_exception_fp_ieee_overflow 0
		.amdhsa_exception_fp_ieee_underflow 0
		.amdhsa_exception_fp_ieee_inexact 0
		.amdhsa_exception_int_div_zero 0
	.end_amdhsa_kernel
	.section	.text._ZN7rocprim17ROCPRIM_400000_NS6detail17trampoline_kernelINS0_14default_configENS1_25partition_config_selectorILNS1_17partition_subalgoE9EllbEEZZNS1_14partition_implILS5_9ELb0ES3_jPlS8_PNS0_10empty_typeENS0_5tupleIJS8_S9_EEENSB_IJS8_SA_EEENS0_18inequality_wrapperIZN2at6native12_GLOBAL__N_124unique_dim_cuda_templateIhEESt5tupleIJNSF_6TensorESK_SK_EERKSK_lbbbEUlllE0_EEPmJS9_EEE10hipError_tPvRmT3_T4_T5_T6_T7_T9_mT8_P12ihipStream_tbDpT10_ENKUlT_T0_E_clISt17integral_constantIbLb1EES19_IbLb0EEEEDaS15_S16_EUlS15_E_NS1_11comp_targetILNS1_3genE0ELNS1_11target_archE4294967295ELNS1_3gpuE0ELNS1_3repE0EEENS1_30default_config_static_selectorELNS0_4arch9wavefront6targetE0EEEvT1_,"axG",@progbits,_ZN7rocprim17ROCPRIM_400000_NS6detail17trampoline_kernelINS0_14default_configENS1_25partition_config_selectorILNS1_17partition_subalgoE9EllbEEZZNS1_14partition_implILS5_9ELb0ES3_jPlS8_PNS0_10empty_typeENS0_5tupleIJS8_S9_EEENSB_IJS8_SA_EEENS0_18inequality_wrapperIZN2at6native12_GLOBAL__N_124unique_dim_cuda_templateIhEESt5tupleIJNSF_6TensorESK_SK_EERKSK_lbbbEUlllE0_EEPmJS9_EEE10hipError_tPvRmT3_T4_T5_T6_T7_T9_mT8_P12ihipStream_tbDpT10_ENKUlT_T0_E_clISt17integral_constantIbLb1EES19_IbLb0EEEEDaS15_S16_EUlS15_E_NS1_11comp_targetILNS1_3genE0ELNS1_11target_archE4294967295ELNS1_3gpuE0ELNS1_3repE0EEENS1_30default_config_static_selectorELNS0_4arch9wavefront6targetE0EEEvT1_,comdat
.Lfunc_end220:
	.size	_ZN7rocprim17ROCPRIM_400000_NS6detail17trampoline_kernelINS0_14default_configENS1_25partition_config_selectorILNS1_17partition_subalgoE9EllbEEZZNS1_14partition_implILS5_9ELb0ES3_jPlS8_PNS0_10empty_typeENS0_5tupleIJS8_S9_EEENSB_IJS8_SA_EEENS0_18inequality_wrapperIZN2at6native12_GLOBAL__N_124unique_dim_cuda_templateIhEESt5tupleIJNSF_6TensorESK_SK_EERKSK_lbbbEUlllE0_EEPmJS9_EEE10hipError_tPvRmT3_T4_T5_T6_T7_T9_mT8_P12ihipStream_tbDpT10_ENKUlT_T0_E_clISt17integral_constantIbLb1EES19_IbLb0EEEEDaS15_S16_EUlS15_E_NS1_11comp_targetILNS1_3genE0ELNS1_11target_archE4294967295ELNS1_3gpuE0ELNS1_3repE0EEENS1_30default_config_static_selectorELNS0_4arch9wavefront6targetE0EEEvT1_, .Lfunc_end220-_ZN7rocprim17ROCPRIM_400000_NS6detail17trampoline_kernelINS0_14default_configENS1_25partition_config_selectorILNS1_17partition_subalgoE9EllbEEZZNS1_14partition_implILS5_9ELb0ES3_jPlS8_PNS0_10empty_typeENS0_5tupleIJS8_S9_EEENSB_IJS8_SA_EEENS0_18inequality_wrapperIZN2at6native12_GLOBAL__N_124unique_dim_cuda_templateIhEESt5tupleIJNSF_6TensorESK_SK_EERKSK_lbbbEUlllE0_EEPmJS9_EEE10hipError_tPvRmT3_T4_T5_T6_T7_T9_mT8_P12ihipStream_tbDpT10_ENKUlT_T0_E_clISt17integral_constantIbLb1EES19_IbLb0EEEEDaS15_S16_EUlS15_E_NS1_11comp_targetILNS1_3genE0ELNS1_11target_archE4294967295ELNS1_3gpuE0ELNS1_3repE0EEENS1_30default_config_static_selectorELNS0_4arch9wavefront6targetE0EEEvT1_
                                        ; -- End function
	.section	.AMDGPU.csdata,"",@progbits
; Kernel info:
; codeLenInByte = 0
; NumSgprs: 0
; NumVgprs: 0
; ScratchSize: 0
; MemoryBound: 0
; FloatMode: 240
; IeeeMode: 1
; LDSByteSize: 0 bytes/workgroup (compile time only)
; SGPRBlocks: 0
; VGPRBlocks: 0
; NumSGPRsForWavesPerEU: 1
; NumVGPRsForWavesPerEU: 1
; Occupancy: 16
; WaveLimiterHint : 0
; COMPUTE_PGM_RSRC2:SCRATCH_EN: 0
; COMPUTE_PGM_RSRC2:USER_SGPR: 15
; COMPUTE_PGM_RSRC2:TRAP_HANDLER: 0
; COMPUTE_PGM_RSRC2:TGID_X_EN: 1
; COMPUTE_PGM_RSRC2:TGID_Y_EN: 0
; COMPUTE_PGM_RSRC2:TGID_Z_EN: 0
; COMPUTE_PGM_RSRC2:TIDIG_COMP_CNT: 0
	.section	.text._ZN7rocprim17ROCPRIM_400000_NS6detail17trampoline_kernelINS0_14default_configENS1_25partition_config_selectorILNS1_17partition_subalgoE9EllbEEZZNS1_14partition_implILS5_9ELb0ES3_jPlS8_PNS0_10empty_typeENS0_5tupleIJS8_S9_EEENSB_IJS8_SA_EEENS0_18inequality_wrapperIZN2at6native12_GLOBAL__N_124unique_dim_cuda_templateIhEESt5tupleIJNSF_6TensorESK_SK_EERKSK_lbbbEUlllE0_EEPmJS9_EEE10hipError_tPvRmT3_T4_T5_T6_T7_T9_mT8_P12ihipStream_tbDpT10_ENKUlT_T0_E_clISt17integral_constantIbLb1EES19_IbLb0EEEEDaS15_S16_EUlS15_E_NS1_11comp_targetILNS1_3genE5ELNS1_11target_archE942ELNS1_3gpuE9ELNS1_3repE0EEENS1_30default_config_static_selectorELNS0_4arch9wavefront6targetE0EEEvT1_,"axG",@progbits,_ZN7rocprim17ROCPRIM_400000_NS6detail17trampoline_kernelINS0_14default_configENS1_25partition_config_selectorILNS1_17partition_subalgoE9EllbEEZZNS1_14partition_implILS5_9ELb0ES3_jPlS8_PNS0_10empty_typeENS0_5tupleIJS8_S9_EEENSB_IJS8_SA_EEENS0_18inequality_wrapperIZN2at6native12_GLOBAL__N_124unique_dim_cuda_templateIhEESt5tupleIJNSF_6TensorESK_SK_EERKSK_lbbbEUlllE0_EEPmJS9_EEE10hipError_tPvRmT3_T4_T5_T6_T7_T9_mT8_P12ihipStream_tbDpT10_ENKUlT_T0_E_clISt17integral_constantIbLb1EES19_IbLb0EEEEDaS15_S16_EUlS15_E_NS1_11comp_targetILNS1_3genE5ELNS1_11target_archE942ELNS1_3gpuE9ELNS1_3repE0EEENS1_30default_config_static_selectorELNS0_4arch9wavefront6targetE0EEEvT1_,comdat
	.globl	_ZN7rocprim17ROCPRIM_400000_NS6detail17trampoline_kernelINS0_14default_configENS1_25partition_config_selectorILNS1_17partition_subalgoE9EllbEEZZNS1_14partition_implILS5_9ELb0ES3_jPlS8_PNS0_10empty_typeENS0_5tupleIJS8_S9_EEENSB_IJS8_SA_EEENS0_18inequality_wrapperIZN2at6native12_GLOBAL__N_124unique_dim_cuda_templateIhEESt5tupleIJNSF_6TensorESK_SK_EERKSK_lbbbEUlllE0_EEPmJS9_EEE10hipError_tPvRmT3_T4_T5_T6_T7_T9_mT8_P12ihipStream_tbDpT10_ENKUlT_T0_E_clISt17integral_constantIbLb1EES19_IbLb0EEEEDaS15_S16_EUlS15_E_NS1_11comp_targetILNS1_3genE5ELNS1_11target_archE942ELNS1_3gpuE9ELNS1_3repE0EEENS1_30default_config_static_selectorELNS0_4arch9wavefront6targetE0EEEvT1_ ; -- Begin function _ZN7rocprim17ROCPRIM_400000_NS6detail17trampoline_kernelINS0_14default_configENS1_25partition_config_selectorILNS1_17partition_subalgoE9EllbEEZZNS1_14partition_implILS5_9ELb0ES3_jPlS8_PNS0_10empty_typeENS0_5tupleIJS8_S9_EEENSB_IJS8_SA_EEENS0_18inequality_wrapperIZN2at6native12_GLOBAL__N_124unique_dim_cuda_templateIhEESt5tupleIJNSF_6TensorESK_SK_EERKSK_lbbbEUlllE0_EEPmJS9_EEE10hipError_tPvRmT3_T4_T5_T6_T7_T9_mT8_P12ihipStream_tbDpT10_ENKUlT_T0_E_clISt17integral_constantIbLb1EES19_IbLb0EEEEDaS15_S16_EUlS15_E_NS1_11comp_targetILNS1_3genE5ELNS1_11target_archE942ELNS1_3gpuE9ELNS1_3repE0EEENS1_30default_config_static_selectorELNS0_4arch9wavefront6targetE0EEEvT1_
	.p2align	8
	.type	_ZN7rocprim17ROCPRIM_400000_NS6detail17trampoline_kernelINS0_14default_configENS1_25partition_config_selectorILNS1_17partition_subalgoE9EllbEEZZNS1_14partition_implILS5_9ELb0ES3_jPlS8_PNS0_10empty_typeENS0_5tupleIJS8_S9_EEENSB_IJS8_SA_EEENS0_18inequality_wrapperIZN2at6native12_GLOBAL__N_124unique_dim_cuda_templateIhEESt5tupleIJNSF_6TensorESK_SK_EERKSK_lbbbEUlllE0_EEPmJS9_EEE10hipError_tPvRmT3_T4_T5_T6_T7_T9_mT8_P12ihipStream_tbDpT10_ENKUlT_T0_E_clISt17integral_constantIbLb1EES19_IbLb0EEEEDaS15_S16_EUlS15_E_NS1_11comp_targetILNS1_3genE5ELNS1_11target_archE942ELNS1_3gpuE9ELNS1_3repE0EEENS1_30default_config_static_selectorELNS0_4arch9wavefront6targetE0EEEvT1_,@function
_ZN7rocprim17ROCPRIM_400000_NS6detail17trampoline_kernelINS0_14default_configENS1_25partition_config_selectorILNS1_17partition_subalgoE9EllbEEZZNS1_14partition_implILS5_9ELb0ES3_jPlS8_PNS0_10empty_typeENS0_5tupleIJS8_S9_EEENSB_IJS8_SA_EEENS0_18inequality_wrapperIZN2at6native12_GLOBAL__N_124unique_dim_cuda_templateIhEESt5tupleIJNSF_6TensorESK_SK_EERKSK_lbbbEUlllE0_EEPmJS9_EEE10hipError_tPvRmT3_T4_T5_T6_T7_T9_mT8_P12ihipStream_tbDpT10_ENKUlT_T0_E_clISt17integral_constantIbLb1EES19_IbLb0EEEEDaS15_S16_EUlS15_E_NS1_11comp_targetILNS1_3genE5ELNS1_11target_archE942ELNS1_3gpuE9ELNS1_3repE0EEENS1_30default_config_static_selectorELNS0_4arch9wavefront6targetE0EEEvT1_: ; @_ZN7rocprim17ROCPRIM_400000_NS6detail17trampoline_kernelINS0_14default_configENS1_25partition_config_selectorILNS1_17partition_subalgoE9EllbEEZZNS1_14partition_implILS5_9ELb0ES3_jPlS8_PNS0_10empty_typeENS0_5tupleIJS8_S9_EEENSB_IJS8_SA_EEENS0_18inequality_wrapperIZN2at6native12_GLOBAL__N_124unique_dim_cuda_templateIhEESt5tupleIJNSF_6TensorESK_SK_EERKSK_lbbbEUlllE0_EEPmJS9_EEE10hipError_tPvRmT3_T4_T5_T6_T7_T9_mT8_P12ihipStream_tbDpT10_ENKUlT_T0_E_clISt17integral_constantIbLb1EES19_IbLb0EEEEDaS15_S16_EUlS15_E_NS1_11comp_targetILNS1_3genE5ELNS1_11target_archE942ELNS1_3gpuE9ELNS1_3repE0EEENS1_30default_config_static_selectorELNS0_4arch9wavefront6targetE0EEEvT1_
; %bb.0:
	.section	.rodata,"a",@progbits
	.p2align	6, 0x0
	.amdhsa_kernel _ZN7rocprim17ROCPRIM_400000_NS6detail17trampoline_kernelINS0_14default_configENS1_25partition_config_selectorILNS1_17partition_subalgoE9EllbEEZZNS1_14partition_implILS5_9ELb0ES3_jPlS8_PNS0_10empty_typeENS0_5tupleIJS8_S9_EEENSB_IJS8_SA_EEENS0_18inequality_wrapperIZN2at6native12_GLOBAL__N_124unique_dim_cuda_templateIhEESt5tupleIJNSF_6TensorESK_SK_EERKSK_lbbbEUlllE0_EEPmJS9_EEE10hipError_tPvRmT3_T4_T5_T6_T7_T9_mT8_P12ihipStream_tbDpT10_ENKUlT_T0_E_clISt17integral_constantIbLb1EES19_IbLb0EEEEDaS15_S16_EUlS15_E_NS1_11comp_targetILNS1_3genE5ELNS1_11target_archE942ELNS1_3gpuE9ELNS1_3repE0EEENS1_30default_config_static_selectorELNS0_4arch9wavefront6targetE0EEEvT1_
		.amdhsa_group_segment_fixed_size 0
		.amdhsa_private_segment_fixed_size 0
		.amdhsa_kernarg_size 120
		.amdhsa_user_sgpr_count 15
		.amdhsa_user_sgpr_dispatch_ptr 0
		.amdhsa_user_sgpr_queue_ptr 0
		.amdhsa_user_sgpr_kernarg_segment_ptr 1
		.amdhsa_user_sgpr_dispatch_id 0
		.amdhsa_user_sgpr_private_segment_size 0
		.amdhsa_wavefront_size32 1
		.amdhsa_uses_dynamic_stack 0
		.amdhsa_enable_private_segment 0
		.amdhsa_system_sgpr_workgroup_id_x 1
		.amdhsa_system_sgpr_workgroup_id_y 0
		.amdhsa_system_sgpr_workgroup_id_z 0
		.amdhsa_system_sgpr_workgroup_info 0
		.amdhsa_system_vgpr_workitem_id 0
		.amdhsa_next_free_vgpr 1
		.amdhsa_next_free_sgpr 1
		.amdhsa_reserve_vcc 0
		.amdhsa_float_round_mode_32 0
		.amdhsa_float_round_mode_16_64 0
		.amdhsa_float_denorm_mode_32 3
		.amdhsa_float_denorm_mode_16_64 3
		.amdhsa_dx10_clamp 1
		.amdhsa_ieee_mode 1
		.amdhsa_fp16_overflow 0
		.amdhsa_workgroup_processor_mode 1
		.amdhsa_memory_ordered 1
		.amdhsa_forward_progress 0
		.amdhsa_shared_vgpr_count 0
		.amdhsa_exception_fp_ieee_invalid_op 0
		.amdhsa_exception_fp_denorm_src 0
		.amdhsa_exception_fp_ieee_div_zero 0
		.amdhsa_exception_fp_ieee_overflow 0
		.amdhsa_exception_fp_ieee_underflow 0
		.amdhsa_exception_fp_ieee_inexact 0
		.amdhsa_exception_int_div_zero 0
	.end_amdhsa_kernel
	.section	.text._ZN7rocprim17ROCPRIM_400000_NS6detail17trampoline_kernelINS0_14default_configENS1_25partition_config_selectorILNS1_17partition_subalgoE9EllbEEZZNS1_14partition_implILS5_9ELb0ES3_jPlS8_PNS0_10empty_typeENS0_5tupleIJS8_S9_EEENSB_IJS8_SA_EEENS0_18inequality_wrapperIZN2at6native12_GLOBAL__N_124unique_dim_cuda_templateIhEESt5tupleIJNSF_6TensorESK_SK_EERKSK_lbbbEUlllE0_EEPmJS9_EEE10hipError_tPvRmT3_T4_T5_T6_T7_T9_mT8_P12ihipStream_tbDpT10_ENKUlT_T0_E_clISt17integral_constantIbLb1EES19_IbLb0EEEEDaS15_S16_EUlS15_E_NS1_11comp_targetILNS1_3genE5ELNS1_11target_archE942ELNS1_3gpuE9ELNS1_3repE0EEENS1_30default_config_static_selectorELNS0_4arch9wavefront6targetE0EEEvT1_,"axG",@progbits,_ZN7rocprim17ROCPRIM_400000_NS6detail17trampoline_kernelINS0_14default_configENS1_25partition_config_selectorILNS1_17partition_subalgoE9EllbEEZZNS1_14partition_implILS5_9ELb0ES3_jPlS8_PNS0_10empty_typeENS0_5tupleIJS8_S9_EEENSB_IJS8_SA_EEENS0_18inequality_wrapperIZN2at6native12_GLOBAL__N_124unique_dim_cuda_templateIhEESt5tupleIJNSF_6TensorESK_SK_EERKSK_lbbbEUlllE0_EEPmJS9_EEE10hipError_tPvRmT3_T4_T5_T6_T7_T9_mT8_P12ihipStream_tbDpT10_ENKUlT_T0_E_clISt17integral_constantIbLb1EES19_IbLb0EEEEDaS15_S16_EUlS15_E_NS1_11comp_targetILNS1_3genE5ELNS1_11target_archE942ELNS1_3gpuE9ELNS1_3repE0EEENS1_30default_config_static_selectorELNS0_4arch9wavefront6targetE0EEEvT1_,comdat
.Lfunc_end221:
	.size	_ZN7rocprim17ROCPRIM_400000_NS6detail17trampoline_kernelINS0_14default_configENS1_25partition_config_selectorILNS1_17partition_subalgoE9EllbEEZZNS1_14partition_implILS5_9ELb0ES3_jPlS8_PNS0_10empty_typeENS0_5tupleIJS8_S9_EEENSB_IJS8_SA_EEENS0_18inequality_wrapperIZN2at6native12_GLOBAL__N_124unique_dim_cuda_templateIhEESt5tupleIJNSF_6TensorESK_SK_EERKSK_lbbbEUlllE0_EEPmJS9_EEE10hipError_tPvRmT3_T4_T5_T6_T7_T9_mT8_P12ihipStream_tbDpT10_ENKUlT_T0_E_clISt17integral_constantIbLb1EES19_IbLb0EEEEDaS15_S16_EUlS15_E_NS1_11comp_targetILNS1_3genE5ELNS1_11target_archE942ELNS1_3gpuE9ELNS1_3repE0EEENS1_30default_config_static_selectorELNS0_4arch9wavefront6targetE0EEEvT1_, .Lfunc_end221-_ZN7rocprim17ROCPRIM_400000_NS6detail17trampoline_kernelINS0_14default_configENS1_25partition_config_selectorILNS1_17partition_subalgoE9EllbEEZZNS1_14partition_implILS5_9ELb0ES3_jPlS8_PNS0_10empty_typeENS0_5tupleIJS8_S9_EEENSB_IJS8_SA_EEENS0_18inequality_wrapperIZN2at6native12_GLOBAL__N_124unique_dim_cuda_templateIhEESt5tupleIJNSF_6TensorESK_SK_EERKSK_lbbbEUlllE0_EEPmJS9_EEE10hipError_tPvRmT3_T4_T5_T6_T7_T9_mT8_P12ihipStream_tbDpT10_ENKUlT_T0_E_clISt17integral_constantIbLb1EES19_IbLb0EEEEDaS15_S16_EUlS15_E_NS1_11comp_targetILNS1_3genE5ELNS1_11target_archE942ELNS1_3gpuE9ELNS1_3repE0EEENS1_30default_config_static_selectorELNS0_4arch9wavefront6targetE0EEEvT1_
                                        ; -- End function
	.section	.AMDGPU.csdata,"",@progbits
; Kernel info:
; codeLenInByte = 0
; NumSgprs: 0
; NumVgprs: 0
; ScratchSize: 0
; MemoryBound: 0
; FloatMode: 240
; IeeeMode: 1
; LDSByteSize: 0 bytes/workgroup (compile time only)
; SGPRBlocks: 0
; VGPRBlocks: 0
; NumSGPRsForWavesPerEU: 1
; NumVGPRsForWavesPerEU: 1
; Occupancy: 16
; WaveLimiterHint : 0
; COMPUTE_PGM_RSRC2:SCRATCH_EN: 0
; COMPUTE_PGM_RSRC2:USER_SGPR: 15
; COMPUTE_PGM_RSRC2:TRAP_HANDLER: 0
; COMPUTE_PGM_RSRC2:TGID_X_EN: 1
; COMPUTE_PGM_RSRC2:TGID_Y_EN: 0
; COMPUTE_PGM_RSRC2:TGID_Z_EN: 0
; COMPUTE_PGM_RSRC2:TIDIG_COMP_CNT: 0
	.section	.text._ZN7rocprim17ROCPRIM_400000_NS6detail17trampoline_kernelINS0_14default_configENS1_25partition_config_selectorILNS1_17partition_subalgoE9EllbEEZZNS1_14partition_implILS5_9ELb0ES3_jPlS8_PNS0_10empty_typeENS0_5tupleIJS8_S9_EEENSB_IJS8_SA_EEENS0_18inequality_wrapperIZN2at6native12_GLOBAL__N_124unique_dim_cuda_templateIhEESt5tupleIJNSF_6TensorESK_SK_EERKSK_lbbbEUlllE0_EEPmJS9_EEE10hipError_tPvRmT3_T4_T5_T6_T7_T9_mT8_P12ihipStream_tbDpT10_ENKUlT_T0_E_clISt17integral_constantIbLb1EES19_IbLb0EEEEDaS15_S16_EUlS15_E_NS1_11comp_targetILNS1_3genE4ELNS1_11target_archE910ELNS1_3gpuE8ELNS1_3repE0EEENS1_30default_config_static_selectorELNS0_4arch9wavefront6targetE0EEEvT1_,"axG",@progbits,_ZN7rocprim17ROCPRIM_400000_NS6detail17trampoline_kernelINS0_14default_configENS1_25partition_config_selectorILNS1_17partition_subalgoE9EllbEEZZNS1_14partition_implILS5_9ELb0ES3_jPlS8_PNS0_10empty_typeENS0_5tupleIJS8_S9_EEENSB_IJS8_SA_EEENS0_18inequality_wrapperIZN2at6native12_GLOBAL__N_124unique_dim_cuda_templateIhEESt5tupleIJNSF_6TensorESK_SK_EERKSK_lbbbEUlllE0_EEPmJS9_EEE10hipError_tPvRmT3_T4_T5_T6_T7_T9_mT8_P12ihipStream_tbDpT10_ENKUlT_T0_E_clISt17integral_constantIbLb1EES19_IbLb0EEEEDaS15_S16_EUlS15_E_NS1_11comp_targetILNS1_3genE4ELNS1_11target_archE910ELNS1_3gpuE8ELNS1_3repE0EEENS1_30default_config_static_selectorELNS0_4arch9wavefront6targetE0EEEvT1_,comdat
	.globl	_ZN7rocprim17ROCPRIM_400000_NS6detail17trampoline_kernelINS0_14default_configENS1_25partition_config_selectorILNS1_17partition_subalgoE9EllbEEZZNS1_14partition_implILS5_9ELb0ES3_jPlS8_PNS0_10empty_typeENS0_5tupleIJS8_S9_EEENSB_IJS8_SA_EEENS0_18inequality_wrapperIZN2at6native12_GLOBAL__N_124unique_dim_cuda_templateIhEESt5tupleIJNSF_6TensorESK_SK_EERKSK_lbbbEUlllE0_EEPmJS9_EEE10hipError_tPvRmT3_T4_T5_T6_T7_T9_mT8_P12ihipStream_tbDpT10_ENKUlT_T0_E_clISt17integral_constantIbLb1EES19_IbLb0EEEEDaS15_S16_EUlS15_E_NS1_11comp_targetILNS1_3genE4ELNS1_11target_archE910ELNS1_3gpuE8ELNS1_3repE0EEENS1_30default_config_static_selectorELNS0_4arch9wavefront6targetE0EEEvT1_ ; -- Begin function _ZN7rocprim17ROCPRIM_400000_NS6detail17trampoline_kernelINS0_14default_configENS1_25partition_config_selectorILNS1_17partition_subalgoE9EllbEEZZNS1_14partition_implILS5_9ELb0ES3_jPlS8_PNS0_10empty_typeENS0_5tupleIJS8_S9_EEENSB_IJS8_SA_EEENS0_18inequality_wrapperIZN2at6native12_GLOBAL__N_124unique_dim_cuda_templateIhEESt5tupleIJNSF_6TensorESK_SK_EERKSK_lbbbEUlllE0_EEPmJS9_EEE10hipError_tPvRmT3_T4_T5_T6_T7_T9_mT8_P12ihipStream_tbDpT10_ENKUlT_T0_E_clISt17integral_constantIbLb1EES19_IbLb0EEEEDaS15_S16_EUlS15_E_NS1_11comp_targetILNS1_3genE4ELNS1_11target_archE910ELNS1_3gpuE8ELNS1_3repE0EEENS1_30default_config_static_selectorELNS0_4arch9wavefront6targetE0EEEvT1_
	.p2align	8
	.type	_ZN7rocprim17ROCPRIM_400000_NS6detail17trampoline_kernelINS0_14default_configENS1_25partition_config_selectorILNS1_17partition_subalgoE9EllbEEZZNS1_14partition_implILS5_9ELb0ES3_jPlS8_PNS0_10empty_typeENS0_5tupleIJS8_S9_EEENSB_IJS8_SA_EEENS0_18inequality_wrapperIZN2at6native12_GLOBAL__N_124unique_dim_cuda_templateIhEESt5tupleIJNSF_6TensorESK_SK_EERKSK_lbbbEUlllE0_EEPmJS9_EEE10hipError_tPvRmT3_T4_T5_T6_T7_T9_mT8_P12ihipStream_tbDpT10_ENKUlT_T0_E_clISt17integral_constantIbLb1EES19_IbLb0EEEEDaS15_S16_EUlS15_E_NS1_11comp_targetILNS1_3genE4ELNS1_11target_archE910ELNS1_3gpuE8ELNS1_3repE0EEENS1_30default_config_static_selectorELNS0_4arch9wavefront6targetE0EEEvT1_,@function
_ZN7rocprim17ROCPRIM_400000_NS6detail17trampoline_kernelINS0_14default_configENS1_25partition_config_selectorILNS1_17partition_subalgoE9EllbEEZZNS1_14partition_implILS5_9ELb0ES3_jPlS8_PNS0_10empty_typeENS0_5tupleIJS8_S9_EEENSB_IJS8_SA_EEENS0_18inequality_wrapperIZN2at6native12_GLOBAL__N_124unique_dim_cuda_templateIhEESt5tupleIJNSF_6TensorESK_SK_EERKSK_lbbbEUlllE0_EEPmJS9_EEE10hipError_tPvRmT3_T4_T5_T6_T7_T9_mT8_P12ihipStream_tbDpT10_ENKUlT_T0_E_clISt17integral_constantIbLb1EES19_IbLb0EEEEDaS15_S16_EUlS15_E_NS1_11comp_targetILNS1_3genE4ELNS1_11target_archE910ELNS1_3gpuE8ELNS1_3repE0EEENS1_30default_config_static_selectorELNS0_4arch9wavefront6targetE0EEEvT1_: ; @_ZN7rocprim17ROCPRIM_400000_NS6detail17trampoline_kernelINS0_14default_configENS1_25partition_config_selectorILNS1_17partition_subalgoE9EllbEEZZNS1_14partition_implILS5_9ELb0ES3_jPlS8_PNS0_10empty_typeENS0_5tupleIJS8_S9_EEENSB_IJS8_SA_EEENS0_18inequality_wrapperIZN2at6native12_GLOBAL__N_124unique_dim_cuda_templateIhEESt5tupleIJNSF_6TensorESK_SK_EERKSK_lbbbEUlllE0_EEPmJS9_EEE10hipError_tPvRmT3_T4_T5_T6_T7_T9_mT8_P12ihipStream_tbDpT10_ENKUlT_T0_E_clISt17integral_constantIbLb1EES19_IbLb0EEEEDaS15_S16_EUlS15_E_NS1_11comp_targetILNS1_3genE4ELNS1_11target_archE910ELNS1_3gpuE8ELNS1_3repE0EEENS1_30default_config_static_selectorELNS0_4arch9wavefront6targetE0EEEvT1_
; %bb.0:
	.section	.rodata,"a",@progbits
	.p2align	6, 0x0
	.amdhsa_kernel _ZN7rocprim17ROCPRIM_400000_NS6detail17trampoline_kernelINS0_14default_configENS1_25partition_config_selectorILNS1_17partition_subalgoE9EllbEEZZNS1_14partition_implILS5_9ELb0ES3_jPlS8_PNS0_10empty_typeENS0_5tupleIJS8_S9_EEENSB_IJS8_SA_EEENS0_18inequality_wrapperIZN2at6native12_GLOBAL__N_124unique_dim_cuda_templateIhEESt5tupleIJNSF_6TensorESK_SK_EERKSK_lbbbEUlllE0_EEPmJS9_EEE10hipError_tPvRmT3_T4_T5_T6_T7_T9_mT8_P12ihipStream_tbDpT10_ENKUlT_T0_E_clISt17integral_constantIbLb1EES19_IbLb0EEEEDaS15_S16_EUlS15_E_NS1_11comp_targetILNS1_3genE4ELNS1_11target_archE910ELNS1_3gpuE8ELNS1_3repE0EEENS1_30default_config_static_selectorELNS0_4arch9wavefront6targetE0EEEvT1_
		.amdhsa_group_segment_fixed_size 0
		.amdhsa_private_segment_fixed_size 0
		.amdhsa_kernarg_size 120
		.amdhsa_user_sgpr_count 15
		.amdhsa_user_sgpr_dispatch_ptr 0
		.amdhsa_user_sgpr_queue_ptr 0
		.amdhsa_user_sgpr_kernarg_segment_ptr 1
		.amdhsa_user_sgpr_dispatch_id 0
		.amdhsa_user_sgpr_private_segment_size 0
		.amdhsa_wavefront_size32 1
		.amdhsa_uses_dynamic_stack 0
		.amdhsa_enable_private_segment 0
		.amdhsa_system_sgpr_workgroup_id_x 1
		.amdhsa_system_sgpr_workgroup_id_y 0
		.amdhsa_system_sgpr_workgroup_id_z 0
		.amdhsa_system_sgpr_workgroup_info 0
		.amdhsa_system_vgpr_workitem_id 0
		.amdhsa_next_free_vgpr 1
		.amdhsa_next_free_sgpr 1
		.amdhsa_reserve_vcc 0
		.amdhsa_float_round_mode_32 0
		.amdhsa_float_round_mode_16_64 0
		.amdhsa_float_denorm_mode_32 3
		.amdhsa_float_denorm_mode_16_64 3
		.amdhsa_dx10_clamp 1
		.amdhsa_ieee_mode 1
		.amdhsa_fp16_overflow 0
		.amdhsa_workgroup_processor_mode 1
		.amdhsa_memory_ordered 1
		.amdhsa_forward_progress 0
		.amdhsa_shared_vgpr_count 0
		.amdhsa_exception_fp_ieee_invalid_op 0
		.amdhsa_exception_fp_denorm_src 0
		.amdhsa_exception_fp_ieee_div_zero 0
		.amdhsa_exception_fp_ieee_overflow 0
		.amdhsa_exception_fp_ieee_underflow 0
		.amdhsa_exception_fp_ieee_inexact 0
		.amdhsa_exception_int_div_zero 0
	.end_amdhsa_kernel
	.section	.text._ZN7rocprim17ROCPRIM_400000_NS6detail17trampoline_kernelINS0_14default_configENS1_25partition_config_selectorILNS1_17partition_subalgoE9EllbEEZZNS1_14partition_implILS5_9ELb0ES3_jPlS8_PNS0_10empty_typeENS0_5tupleIJS8_S9_EEENSB_IJS8_SA_EEENS0_18inequality_wrapperIZN2at6native12_GLOBAL__N_124unique_dim_cuda_templateIhEESt5tupleIJNSF_6TensorESK_SK_EERKSK_lbbbEUlllE0_EEPmJS9_EEE10hipError_tPvRmT3_T4_T5_T6_T7_T9_mT8_P12ihipStream_tbDpT10_ENKUlT_T0_E_clISt17integral_constantIbLb1EES19_IbLb0EEEEDaS15_S16_EUlS15_E_NS1_11comp_targetILNS1_3genE4ELNS1_11target_archE910ELNS1_3gpuE8ELNS1_3repE0EEENS1_30default_config_static_selectorELNS0_4arch9wavefront6targetE0EEEvT1_,"axG",@progbits,_ZN7rocprim17ROCPRIM_400000_NS6detail17trampoline_kernelINS0_14default_configENS1_25partition_config_selectorILNS1_17partition_subalgoE9EllbEEZZNS1_14partition_implILS5_9ELb0ES3_jPlS8_PNS0_10empty_typeENS0_5tupleIJS8_S9_EEENSB_IJS8_SA_EEENS0_18inequality_wrapperIZN2at6native12_GLOBAL__N_124unique_dim_cuda_templateIhEESt5tupleIJNSF_6TensorESK_SK_EERKSK_lbbbEUlllE0_EEPmJS9_EEE10hipError_tPvRmT3_T4_T5_T6_T7_T9_mT8_P12ihipStream_tbDpT10_ENKUlT_T0_E_clISt17integral_constantIbLb1EES19_IbLb0EEEEDaS15_S16_EUlS15_E_NS1_11comp_targetILNS1_3genE4ELNS1_11target_archE910ELNS1_3gpuE8ELNS1_3repE0EEENS1_30default_config_static_selectorELNS0_4arch9wavefront6targetE0EEEvT1_,comdat
.Lfunc_end222:
	.size	_ZN7rocprim17ROCPRIM_400000_NS6detail17trampoline_kernelINS0_14default_configENS1_25partition_config_selectorILNS1_17partition_subalgoE9EllbEEZZNS1_14partition_implILS5_9ELb0ES3_jPlS8_PNS0_10empty_typeENS0_5tupleIJS8_S9_EEENSB_IJS8_SA_EEENS0_18inequality_wrapperIZN2at6native12_GLOBAL__N_124unique_dim_cuda_templateIhEESt5tupleIJNSF_6TensorESK_SK_EERKSK_lbbbEUlllE0_EEPmJS9_EEE10hipError_tPvRmT3_T4_T5_T6_T7_T9_mT8_P12ihipStream_tbDpT10_ENKUlT_T0_E_clISt17integral_constantIbLb1EES19_IbLb0EEEEDaS15_S16_EUlS15_E_NS1_11comp_targetILNS1_3genE4ELNS1_11target_archE910ELNS1_3gpuE8ELNS1_3repE0EEENS1_30default_config_static_selectorELNS0_4arch9wavefront6targetE0EEEvT1_, .Lfunc_end222-_ZN7rocprim17ROCPRIM_400000_NS6detail17trampoline_kernelINS0_14default_configENS1_25partition_config_selectorILNS1_17partition_subalgoE9EllbEEZZNS1_14partition_implILS5_9ELb0ES3_jPlS8_PNS0_10empty_typeENS0_5tupleIJS8_S9_EEENSB_IJS8_SA_EEENS0_18inequality_wrapperIZN2at6native12_GLOBAL__N_124unique_dim_cuda_templateIhEESt5tupleIJNSF_6TensorESK_SK_EERKSK_lbbbEUlllE0_EEPmJS9_EEE10hipError_tPvRmT3_T4_T5_T6_T7_T9_mT8_P12ihipStream_tbDpT10_ENKUlT_T0_E_clISt17integral_constantIbLb1EES19_IbLb0EEEEDaS15_S16_EUlS15_E_NS1_11comp_targetILNS1_3genE4ELNS1_11target_archE910ELNS1_3gpuE8ELNS1_3repE0EEENS1_30default_config_static_selectorELNS0_4arch9wavefront6targetE0EEEvT1_
                                        ; -- End function
	.section	.AMDGPU.csdata,"",@progbits
; Kernel info:
; codeLenInByte = 0
; NumSgprs: 0
; NumVgprs: 0
; ScratchSize: 0
; MemoryBound: 0
; FloatMode: 240
; IeeeMode: 1
; LDSByteSize: 0 bytes/workgroup (compile time only)
; SGPRBlocks: 0
; VGPRBlocks: 0
; NumSGPRsForWavesPerEU: 1
; NumVGPRsForWavesPerEU: 1
; Occupancy: 16
; WaveLimiterHint : 0
; COMPUTE_PGM_RSRC2:SCRATCH_EN: 0
; COMPUTE_PGM_RSRC2:USER_SGPR: 15
; COMPUTE_PGM_RSRC2:TRAP_HANDLER: 0
; COMPUTE_PGM_RSRC2:TGID_X_EN: 1
; COMPUTE_PGM_RSRC2:TGID_Y_EN: 0
; COMPUTE_PGM_RSRC2:TGID_Z_EN: 0
; COMPUTE_PGM_RSRC2:TIDIG_COMP_CNT: 0
	.section	.text._ZN7rocprim17ROCPRIM_400000_NS6detail17trampoline_kernelINS0_14default_configENS1_25partition_config_selectorILNS1_17partition_subalgoE9EllbEEZZNS1_14partition_implILS5_9ELb0ES3_jPlS8_PNS0_10empty_typeENS0_5tupleIJS8_S9_EEENSB_IJS8_SA_EEENS0_18inequality_wrapperIZN2at6native12_GLOBAL__N_124unique_dim_cuda_templateIhEESt5tupleIJNSF_6TensorESK_SK_EERKSK_lbbbEUlllE0_EEPmJS9_EEE10hipError_tPvRmT3_T4_T5_T6_T7_T9_mT8_P12ihipStream_tbDpT10_ENKUlT_T0_E_clISt17integral_constantIbLb1EES19_IbLb0EEEEDaS15_S16_EUlS15_E_NS1_11comp_targetILNS1_3genE3ELNS1_11target_archE908ELNS1_3gpuE7ELNS1_3repE0EEENS1_30default_config_static_selectorELNS0_4arch9wavefront6targetE0EEEvT1_,"axG",@progbits,_ZN7rocprim17ROCPRIM_400000_NS6detail17trampoline_kernelINS0_14default_configENS1_25partition_config_selectorILNS1_17partition_subalgoE9EllbEEZZNS1_14partition_implILS5_9ELb0ES3_jPlS8_PNS0_10empty_typeENS0_5tupleIJS8_S9_EEENSB_IJS8_SA_EEENS0_18inequality_wrapperIZN2at6native12_GLOBAL__N_124unique_dim_cuda_templateIhEESt5tupleIJNSF_6TensorESK_SK_EERKSK_lbbbEUlllE0_EEPmJS9_EEE10hipError_tPvRmT3_T4_T5_T6_T7_T9_mT8_P12ihipStream_tbDpT10_ENKUlT_T0_E_clISt17integral_constantIbLb1EES19_IbLb0EEEEDaS15_S16_EUlS15_E_NS1_11comp_targetILNS1_3genE3ELNS1_11target_archE908ELNS1_3gpuE7ELNS1_3repE0EEENS1_30default_config_static_selectorELNS0_4arch9wavefront6targetE0EEEvT1_,comdat
	.globl	_ZN7rocprim17ROCPRIM_400000_NS6detail17trampoline_kernelINS0_14default_configENS1_25partition_config_selectorILNS1_17partition_subalgoE9EllbEEZZNS1_14partition_implILS5_9ELb0ES3_jPlS8_PNS0_10empty_typeENS0_5tupleIJS8_S9_EEENSB_IJS8_SA_EEENS0_18inequality_wrapperIZN2at6native12_GLOBAL__N_124unique_dim_cuda_templateIhEESt5tupleIJNSF_6TensorESK_SK_EERKSK_lbbbEUlllE0_EEPmJS9_EEE10hipError_tPvRmT3_T4_T5_T6_T7_T9_mT8_P12ihipStream_tbDpT10_ENKUlT_T0_E_clISt17integral_constantIbLb1EES19_IbLb0EEEEDaS15_S16_EUlS15_E_NS1_11comp_targetILNS1_3genE3ELNS1_11target_archE908ELNS1_3gpuE7ELNS1_3repE0EEENS1_30default_config_static_selectorELNS0_4arch9wavefront6targetE0EEEvT1_ ; -- Begin function _ZN7rocprim17ROCPRIM_400000_NS6detail17trampoline_kernelINS0_14default_configENS1_25partition_config_selectorILNS1_17partition_subalgoE9EllbEEZZNS1_14partition_implILS5_9ELb0ES3_jPlS8_PNS0_10empty_typeENS0_5tupleIJS8_S9_EEENSB_IJS8_SA_EEENS0_18inequality_wrapperIZN2at6native12_GLOBAL__N_124unique_dim_cuda_templateIhEESt5tupleIJNSF_6TensorESK_SK_EERKSK_lbbbEUlllE0_EEPmJS9_EEE10hipError_tPvRmT3_T4_T5_T6_T7_T9_mT8_P12ihipStream_tbDpT10_ENKUlT_T0_E_clISt17integral_constantIbLb1EES19_IbLb0EEEEDaS15_S16_EUlS15_E_NS1_11comp_targetILNS1_3genE3ELNS1_11target_archE908ELNS1_3gpuE7ELNS1_3repE0EEENS1_30default_config_static_selectorELNS0_4arch9wavefront6targetE0EEEvT1_
	.p2align	8
	.type	_ZN7rocprim17ROCPRIM_400000_NS6detail17trampoline_kernelINS0_14default_configENS1_25partition_config_selectorILNS1_17partition_subalgoE9EllbEEZZNS1_14partition_implILS5_9ELb0ES3_jPlS8_PNS0_10empty_typeENS0_5tupleIJS8_S9_EEENSB_IJS8_SA_EEENS0_18inequality_wrapperIZN2at6native12_GLOBAL__N_124unique_dim_cuda_templateIhEESt5tupleIJNSF_6TensorESK_SK_EERKSK_lbbbEUlllE0_EEPmJS9_EEE10hipError_tPvRmT3_T4_T5_T6_T7_T9_mT8_P12ihipStream_tbDpT10_ENKUlT_T0_E_clISt17integral_constantIbLb1EES19_IbLb0EEEEDaS15_S16_EUlS15_E_NS1_11comp_targetILNS1_3genE3ELNS1_11target_archE908ELNS1_3gpuE7ELNS1_3repE0EEENS1_30default_config_static_selectorELNS0_4arch9wavefront6targetE0EEEvT1_,@function
_ZN7rocprim17ROCPRIM_400000_NS6detail17trampoline_kernelINS0_14default_configENS1_25partition_config_selectorILNS1_17partition_subalgoE9EllbEEZZNS1_14partition_implILS5_9ELb0ES3_jPlS8_PNS0_10empty_typeENS0_5tupleIJS8_S9_EEENSB_IJS8_SA_EEENS0_18inequality_wrapperIZN2at6native12_GLOBAL__N_124unique_dim_cuda_templateIhEESt5tupleIJNSF_6TensorESK_SK_EERKSK_lbbbEUlllE0_EEPmJS9_EEE10hipError_tPvRmT3_T4_T5_T6_T7_T9_mT8_P12ihipStream_tbDpT10_ENKUlT_T0_E_clISt17integral_constantIbLb1EES19_IbLb0EEEEDaS15_S16_EUlS15_E_NS1_11comp_targetILNS1_3genE3ELNS1_11target_archE908ELNS1_3gpuE7ELNS1_3repE0EEENS1_30default_config_static_selectorELNS0_4arch9wavefront6targetE0EEEvT1_: ; @_ZN7rocprim17ROCPRIM_400000_NS6detail17trampoline_kernelINS0_14default_configENS1_25partition_config_selectorILNS1_17partition_subalgoE9EllbEEZZNS1_14partition_implILS5_9ELb0ES3_jPlS8_PNS0_10empty_typeENS0_5tupleIJS8_S9_EEENSB_IJS8_SA_EEENS0_18inequality_wrapperIZN2at6native12_GLOBAL__N_124unique_dim_cuda_templateIhEESt5tupleIJNSF_6TensorESK_SK_EERKSK_lbbbEUlllE0_EEPmJS9_EEE10hipError_tPvRmT3_T4_T5_T6_T7_T9_mT8_P12ihipStream_tbDpT10_ENKUlT_T0_E_clISt17integral_constantIbLb1EES19_IbLb0EEEEDaS15_S16_EUlS15_E_NS1_11comp_targetILNS1_3genE3ELNS1_11target_archE908ELNS1_3gpuE7ELNS1_3repE0EEENS1_30default_config_static_selectorELNS0_4arch9wavefront6targetE0EEEvT1_
; %bb.0:
	.section	.rodata,"a",@progbits
	.p2align	6, 0x0
	.amdhsa_kernel _ZN7rocprim17ROCPRIM_400000_NS6detail17trampoline_kernelINS0_14default_configENS1_25partition_config_selectorILNS1_17partition_subalgoE9EllbEEZZNS1_14partition_implILS5_9ELb0ES3_jPlS8_PNS0_10empty_typeENS0_5tupleIJS8_S9_EEENSB_IJS8_SA_EEENS0_18inequality_wrapperIZN2at6native12_GLOBAL__N_124unique_dim_cuda_templateIhEESt5tupleIJNSF_6TensorESK_SK_EERKSK_lbbbEUlllE0_EEPmJS9_EEE10hipError_tPvRmT3_T4_T5_T6_T7_T9_mT8_P12ihipStream_tbDpT10_ENKUlT_T0_E_clISt17integral_constantIbLb1EES19_IbLb0EEEEDaS15_S16_EUlS15_E_NS1_11comp_targetILNS1_3genE3ELNS1_11target_archE908ELNS1_3gpuE7ELNS1_3repE0EEENS1_30default_config_static_selectorELNS0_4arch9wavefront6targetE0EEEvT1_
		.amdhsa_group_segment_fixed_size 0
		.amdhsa_private_segment_fixed_size 0
		.amdhsa_kernarg_size 120
		.amdhsa_user_sgpr_count 15
		.amdhsa_user_sgpr_dispatch_ptr 0
		.amdhsa_user_sgpr_queue_ptr 0
		.amdhsa_user_sgpr_kernarg_segment_ptr 1
		.amdhsa_user_sgpr_dispatch_id 0
		.amdhsa_user_sgpr_private_segment_size 0
		.amdhsa_wavefront_size32 1
		.amdhsa_uses_dynamic_stack 0
		.amdhsa_enable_private_segment 0
		.amdhsa_system_sgpr_workgroup_id_x 1
		.amdhsa_system_sgpr_workgroup_id_y 0
		.amdhsa_system_sgpr_workgroup_id_z 0
		.amdhsa_system_sgpr_workgroup_info 0
		.amdhsa_system_vgpr_workitem_id 0
		.amdhsa_next_free_vgpr 1
		.amdhsa_next_free_sgpr 1
		.amdhsa_reserve_vcc 0
		.amdhsa_float_round_mode_32 0
		.amdhsa_float_round_mode_16_64 0
		.amdhsa_float_denorm_mode_32 3
		.amdhsa_float_denorm_mode_16_64 3
		.amdhsa_dx10_clamp 1
		.amdhsa_ieee_mode 1
		.amdhsa_fp16_overflow 0
		.amdhsa_workgroup_processor_mode 1
		.amdhsa_memory_ordered 1
		.amdhsa_forward_progress 0
		.amdhsa_shared_vgpr_count 0
		.amdhsa_exception_fp_ieee_invalid_op 0
		.amdhsa_exception_fp_denorm_src 0
		.amdhsa_exception_fp_ieee_div_zero 0
		.amdhsa_exception_fp_ieee_overflow 0
		.amdhsa_exception_fp_ieee_underflow 0
		.amdhsa_exception_fp_ieee_inexact 0
		.amdhsa_exception_int_div_zero 0
	.end_amdhsa_kernel
	.section	.text._ZN7rocprim17ROCPRIM_400000_NS6detail17trampoline_kernelINS0_14default_configENS1_25partition_config_selectorILNS1_17partition_subalgoE9EllbEEZZNS1_14partition_implILS5_9ELb0ES3_jPlS8_PNS0_10empty_typeENS0_5tupleIJS8_S9_EEENSB_IJS8_SA_EEENS0_18inequality_wrapperIZN2at6native12_GLOBAL__N_124unique_dim_cuda_templateIhEESt5tupleIJNSF_6TensorESK_SK_EERKSK_lbbbEUlllE0_EEPmJS9_EEE10hipError_tPvRmT3_T4_T5_T6_T7_T9_mT8_P12ihipStream_tbDpT10_ENKUlT_T0_E_clISt17integral_constantIbLb1EES19_IbLb0EEEEDaS15_S16_EUlS15_E_NS1_11comp_targetILNS1_3genE3ELNS1_11target_archE908ELNS1_3gpuE7ELNS1_3repE0EEENS1_30default_config_static_selectorELNS0_4arch9wavefront6targetE0EEEvT1_,"axG",@progbits,_ZN7rocprim17ROCPRIM_400000_NS6detail17trampoline_kernelINS0_14default_configENS1_25partition_config_selectorILNS1_17partition_subalgoE9EllbEEZZNS1_14partition_implILS5_9ELb0ES3_jPlS8_PNS0_10empty_typeENS0_5tupleIJS8_S9_EEENSB_IJS8_SA_EEENS0_18inequality_wrapperIZN2at6native12_GLOBAL__N_124unique_dim_cuda_templateIhEESt5tupleIJNSF_6TensorESK_SK_EERKSK_lbbbEUlllE0_EEPmJS9_EEE10hipError_tPvRmT3_T4_T5_T6_T7_T9_mT8_P12ihipStream_tbDpT10_ENKUlT_T0_E_clISt17integral_constantIbLb1EES19_IbLb0EEEEDaS15_S16_EUlS15_E_NS1_11comp_targetILNS1_3genE3ELNS1_11target_archE908ELNS1_3gpuE7ELNS1_3repE0EEENS1_30default_config_static_selectorELNS0_4arch9wavefront6targetE0EEEvT1_,comdat
.Lfunc_end223:
	.size	_ZN7rocprim17ROCPRIM_400000_NS6detail17trampoline_kernelINS0_14default_configENS1_25partition_config_selectorILNS1_17partition_subalgoE9EllbEEZZNS1_14partition_implILS5_9ELb0ES3_jPlS8_PNS0_10empty_typeENS0_5tupleIJS8_S9_EEENSB_IJS8_SA_EEENS0_18inequality_wrapperIZN2at6native12_GLOBAL__N_124unique_dim_cuda_templateIhEESt5tupleIJNSF_6TensorESK_SK_EERKSK_lbbbEUlllE0_EEPmJS9_EEE10hipError_tPvRmT3_T4_T5_T6_T7_T9_mT8_P12ihipStream_tbDpT10_ENKUlT_T0_E_clISt17integral_constantIbLb1EES19_IbLb0EEEEDaS15_S16_EUlS15_E_NS1_11comp_targetILNS1_3genE3ELNS1_11target_archE908ELNS1_3gpuE7ELNS1_3repE0EEENS1_30default_config_static_selectorELNS0_4arch9wavefront6targetE0EEEvT1_, .Lfunc_end223-_ZN7rocprim17ROCPRIM_400000_NS6detail17trampoline_kernelINS0_14default_configENS1_25partition_config_selectorILNS1_17partition_subalgoE9EllbEEZZNS1_14partition_implILS5_9ELb0ES3_jPlS8_PNS0_10empty_typeENS0_5tupleIJS8_S9_EEENSB_IJS8_SA_EEENS0_18inequality_wrapperIZN2at6native12_GLOBAL__N_124unique_dim_cuda_templateIhEESt5tupleIJNSF_6TensorESK_SK_EERKSK_lbbbEUlllE0_EEPmJS9_EEE10hipError_tPvRmT3_T4_T5_T6_T7_T9_mT8_P12ihipStream_tbDpT10_ENKUlT_T0_E_clISt17integral_constantIbLb1EES19_IbLb0EEEEDaS15_S16_EUlS15_E_NS1_11comp_targetILNS1_3genE3ELNS1_11target_archE908ELNS1_3gpuE7ELNS1_3repE0EEENS1_30default_config_static_selectorELNS0_4arch9wavefront6targetE0EEEvT1_
                                        ; -- End function
	.section	.AMDGPU.csdata,"",@progbits
; Kernel info:
; codeLenInByte = 0
; NumSgprs: 0
; NumVgprs: 0
; ScratchSize: 0
; MemoryBound: 0
; FloatMode: 240
; IeeeMode: 1
; LDSByteSize: 0 bytes/workgroup (compile time only)
; SGPRBlocks: 0
; VGPRBlocks: 0
; NumSGPRsForWavesPerEU: 1
; NumVGPRsForWavesPerEU: 1
; Occupancy: 16
; WaveLimiterHint : 0
; COMPUTE_PGM_RSRC2:SCRATCH_EN: 0
; COMPUTE_PGM_RSRC2:USER_SGPR: 15
; COMPUTE_PGM_RSRC2:TRAP_HANDLER: 0
; COMPUTE_PGM_RSRC2:TGID_X_EN: 1
; COMPUTE_PGM_RSRC2:TGID_Y_EN: 0
; COMPUTE_PGM_RSRC2:TGID_Z_EN: 0
; COMPUTE_PGM_RSRC2:TIDIG_COMP_CNT: 0
	.section	.text._ZN7rocprim17ROCPRIM_400000_NS6detail17trampoline_kernelINS0_14default_configENS1_25partition_config_selectorILNS1_17partition_subalgoE9EllbEEZZNS1_14partition_implILS5_9ELb0ES3_jPlS8_PNS0_10empty_typeENS0_5tupleIJS8_S9_EEENSB_IJS8_SA_EEENS0_18inequality_wrapperIZN2at6native12_GLOBAL__N_124unique_dim_cuda_templateIhEESt5tupleIJNSF_6TensorESK_SK_EERKSK_lbbbEUlllE0_EEPmJS9_EEE10hipError_tPvRmT3_T4_T5_T6_T7_T9_mT8_P12ihipStream_tbDpT10_ENKUlT_T0_E_clISt17integral_constantIbLb1EES19_IbLb0EEEEDaS15_S16_EUlS15_E_NS1_11comp_targetILNS1_3genE2ELNS1_11target_archE906ELNS1_3gpuE6ELNS1_3repE0EEENS1_30default_config_static_selectorELNS0_4arch9wavefront6targetE0EEEvT1_,"axG",@progbits,_ZN7rocprim17ROCPRIM_400000_NS6detail17trampoline_kernelINS0_14default_configENS1_25partition_config_selectorILNS1_17partition_subalgoE9EllbEEZZNS1_14partition_implILS5_9ELb0ES3_jPlS8_PNS0_10empty_typeENS0_5tupleIJS8_S9_EEENSB_IJS8_SA_EEENS0_18inequality_wrapperIZN2at6native12_GLOBAL__N_124unique_dim_cuda_templateIhEESt5tupleIJNSF_6TensorESK_SK_EERKSK_lbbbEUlllE0_EEPmJS9_EEE10hipError_tPvRmT3_T4_T5_T6_T7_T9_mT8_P12ihipStream_tbDpT10_ENKUlT_T0_E_clISt17integral_constantIbLb1EES19_IbLb0EEEEDaS15_S16_EUlS15_E_NS1_11comp_targetILNS1_3genE2ELNS1_11target_archE906ELNS1_3gpuE6ELNS1_3repE0EEENS1_30default_config_static_selectorELNS0_4arch9wavefront6targetE0EEEvT1_,comdat
	.globl	_ZN7rocprim17ROCPRIM_400000_NS6detail17trampoline_kernelINS0_14default_configENS1_25partition_config_selectorILNS1_17partition_subalgoE9EllbEEZZNS1_14partition_implILS5_9ELb0ES3_jPlS8_PNS0_10empty_typeENS0_5tupleIJS8_S9_EEENSB_IJS8_SA_EEENS0_18inequality_wrapperIZN2at6native12_GLOBAL__N_124unique_dim_cuda_templateIhEESt5tupleIJNSF_6TensorESK_SK_EERKSK_lbbbEUlllE0_EEPmJS9_EEE10hipError_tPvRmT3_T4_T5_T6_T7_T9_mT8_P12ihipStream_tbDpT10_ENKUlT_T0_E_clISt17integral_constantIbLb1EES19_IbLb0EEEEDaS15_S16_EUlS15_E_NS1_11comp_targetILNS1_3genE2ELNS1_11target_archE906ELNS1_3gpuE6ELNS1_3repE0EEENS1_30default_config_static_selectorELNS0_4arch9wavefront6targetE0EEEvT1_ ; -- Begin function _ZN7rocprim17ROCPRIM_400000_NS6detail17trampoline_kernelINS0_14default_configENS1_25partition_config_selectorILNS1_17partition_subalgoE9EllbEEZZNS1_14partition_implILS5_9ELb0ES3_jPlS8_PNS0_10empty_typeENS0_5tupleIJS8_S9_EEENSB_IJS8_SA_EEENS0_18inequality_wrapperIZN2at6native12_GLOBAL__N_124unique_dim_cuda_templateIhEESt5tupleIJNSF_6TensorESK_SK_EERKSK_lbbbEUlllE0_EEPmJS9_EEE10hipError_tPvRmT3_T4_T5_T6_T7_T9_mT8_P12ihipStream_tbDpT10_ENKUlT_T0_E_clISt17integral_constantIbLb1EES19_IbLb0EEEEDaS15_S16_EUlS15_E_NS1_11comp_targetILNS1_3genE2ELNS1_11target_archE906ELNS1_3gpuE6ELNS1_3repE0EEENS1_30default_config_static_selectorELNS0_4arch9wavefront6targetE0EEEvT1_
	.p2align	8
	.type	_ZN7rocprim17ROCPRIM_400000_NS6detail17trampoline_kernelINS0_14default_configENS1_25partition_config_selectorILNS1_17partition_subalgoE9EllbEEZZNS1_14partition_implILS5_9ELb0ES3_jPlS8_PNS0_10empty_typeENS0_5tupleIJS8_S9_EEENSB_IJS8_SA_EEENS0_18inequality_wrapperIZN2at6native12_GLOBAL__N_124unique_dim_cuda_templateIhEESt5tupleIJNSF_6TensorESK_SK_EERKSK_lbbbEUlllE0_EEPmJS9_EEE10hipError_tPvRmT3_T4_T5_T6_T7_T9_mT8_P12ihipStream_tbDpT10_ENKUlT_T0_E_clISt17integral_constantIbLb1EES19_IbLb0EEEEDaS15_S16_EUlS15_E_NS1_11comp_targetILNS1_3genE2ELNS1_11target_archE906ELNS1_3gpuE6ELNS1_3repE0EEENS1_30default_config_static_selectorELNS0_4arch9wavefront6targetE0EEEvT1_,@function
_ZN7rocprim17ROCPRIM_400000_NS6detail17trampoline_kernelINS0_14default_configENS1_25partition_config_selectorILNS1_17partition_subalgoE9EllbEEZZNS1_14partition_implILS5_9ELb0ES3_jPlS8_PNS0_10empty_typeENS0_5tupleIJS8_S9_EEENSB_IJS8_SA_EEENS0_18inequality_wrapperIZN2at6native12_GLOBAL__N_124unique_dim_cuda_templateIhEESt5tupleIJNSF_6TensorESK_SK_EERKSK_lbbbEUlllE0_EEPmJS9_EEE10hipError_tPvRmT3_T4_T5_T6_T7_T9_mT8_P12ihipStream_tbDpT10_ENKUlT_T0_E_clISt17integral_constantIbLb1EES19_IbLb0EEEEDaS15_S16_EUlS15_E_NS1_11comp_targetILNS1_3genE2ELNS1_11target_archE906ELNS1_3gpuE6ELNS1_3repE0EEENS1_30default_config_static_selectorELNS0_4arch9wavefront6targetE0EEEvT1_: ; @_ZN7rocprim17ROCPRIM_400000_NS6detail17trampoline_kernelINS0_14default_configENS1_25partition_config_selectorILNS1_17partition_subalgoE9EllbEEZZNS1_14partition_implILS5_9ELb0ES3_jPlS8_PNS0_10empty_typeENS0_5tupleIJS8_S9_EEENSB_IJS8_SA_EEENS0_18inequality_wrapperIZN2at6native12_GLOBAL__N_124unique_dim_cuda_templateIhEESt5tupleIJNSF_6TensorESK_SK_EERKSK_lbbbEUlllE0_EEPmJS9_EEE10hipError_tPvRmT3_T4_T5_T6_T7_T9_mT8_P12ihipStream_tbDpT10_ENKUlT_T0_E_clISt17integral_constantIbLb1EES19_IbLb0EEEEDaS15_S16_EUlS15_E_NS1_11comp_targetILNS1_3genE2ELNS1_11target_archE906ELNS1_3gpuE6ELNS1_3repE0EEENS1_30default_config_static_selectorELNS0_4arch9wavefront6targetE0EEEvT1_
; %bb.0:
	.section	.rodata,"a",@progbits
	.p2align	6, 0x0
	.amdhsa_kernel _ZN7rocprim17ROCPRIM_400000_NS6detail17trampoline_kernelINS0_14default_configENS1_25partition_config_selectorILNS1_17partition_subalgoE9EllbEEZZNS1_14partition_implILS5_9ELb0ES3_jPlS8_PNS0_10empty_typeENS0_5tupleIJS8_S9_EEENSB_IJS8_SA_EEENS0_18inequality_wrapperIZN2at6native12_GLOBAL__N_124unique_dim_cuda_templateIhEESt5tupleIJNSF_6TensorESK_SK_EERKSK_lbbbEUlllE0_EEPmJS9_EEE10hipError_tPvRmT3_T4_T5_T6_T7_T9_mT8_P12ihipStream_tbDpT10_ENKUlT_T0_E_clISt17integral_constantIbLb1EES19_IbLb0EEEEDaS15_S16_EUlS15_E_NS1_11comp_targetILNS1_3genE2ELNS1_11target_archE906ELNS1_3gpuE6ELNS1_3repE0EEENS1_30default_config_static_selectorELNS0_4arch9wavefront6targetE0EEEvT1_
		.amdhsa_group_segment_fixed_size 0
		.amdhsa_private_segment_fixed_size 0
		.amdhsa_kernarg_size 120
		.amdhsa_user_sgpr_count 15
		.amdhsa_user_sgpr_dispatch_ptr 0
		.amdhsa_user_sgpr_queue_ptr 0
		.amdhsa_user_sgpr_kernarg_segment_ptr 1
		.amdhsa_user_sgpr_dispatch_id 0
		.amdhsa_user_sgpr_private_segment_size 0
		.amdhsa_wavefront_size32 1
		.amdhsa_uses_dynamic_stack 0
		.amdhsa_enable_private_segment 0
		.amdhsa_system_sgpr_workgroup_id_x 1
		.amdhsa_system_sgpr_workgroup_id_y 0
		.amdhsa_system_sgpr_workgroup_id_z 0
		.amdhsa_system_sgpr_workgroup_info 0
		.amdhsa_system_vgpr_workitem_id 0
		.amdhsa_next_free_vgpr 1
		.amdhsa_next_free_sgpr 1
		.amdhsa_reserve_vcc 0
		.amdhsa_float_round_mode_32 0
		.amdhsa_float_round_mode_16_64 0
		.amdhsa_float_denorm_mode_32 3
		.amdhsa_float_denorm_mode_16_64 3
		.amdhsa_dx10_clamp 1
		.amdhsa_ieee_mode 1
		.amdhsa_fp16_overflow 0
		.amdhsa_workgroup_processor_mode 1
		.amdhsa_memory_ordered 1
		.amdhsa_forward_progress 0
		.amdhsa_shared_vgpr_count 0
		.amdhsa_exception_fp_ieee_invalid_op 0
		.amdhsa_exception_fp_denorm_src 0
		.amdhsa_exception_fp_ieee_div_zero 0
		.amdhsa_exception_fp_ieee_overflow 0
		.amdhsa_exception_fp_ieee_underflow 0
		.amdhsa_exception_fp_ieee_inexact 0
		.amdhsa_exception_int_div_zero 0
	.end_amdhsa_kernel
	.section	.text._ZN7rocprim17ROCPRIM_400000_NS6detail17trampoline_kernelINS0_14default_configENS1_25partition_config_selectorILNS1_17partition_subalgoE9EllbEEZZNS1_14partition_implILS5_9ELb0ES3_jPlS8_PNS0_10empty_typeENS0_5tupleIJS8_S9_EEENSB_IJS8_SA_EEENS0_18inequality_wrapperIZN2at6native12_GLOBAL__N_124unique_dim_cuda_templateIhEESt5tupleIJNSF_6TensorESK_SK_EERKSK_lbbbEUlllE0_EEPmJS9_EEE10hipError_tPvRmT3_T4_T5_T6_T7_T9_mT8_P12ihipStream_tbDpT10_ENKUlT_T0_E_clISt17integral_constantIbLb1EES19_IbLb0EEEEDaS15_S16_EUlS15_E_NS1_11comp_targetILNS1_3genE2ELNS1_11target_archE906ELNS1_3gpuE6ELNS1_3repE0EEENS1_30default_config_static_selectorELNS0_4arch9wavefront6targetE0EEEvT1_,"axG",@progbits,_ZN7rocprim17ROCPRIM_400000_NS6detail17trampoline_kernelINS0_14default_configENS1_25partition_config_selectorILNS1_17partition_subalgoE9EllbEEZZNS1_14partition_implILS5_9ELb0ES3_jPlS8_PNS0_10empty_typeENS0_5tupleIJS8_S9_EEENSB_IJS8_SA_EEENS0_18inequality_wrapperIZN2at6native12_GLOBAL__N_124unique_dim_cuda_templateIhEESt5tupleIJNSF_6TensorESK_SK_EERKSK_lbbbEUlllE0_EEPmJS9_EEE10hipError_tPvRmT3_T4_T5_T6_T7_T9_mT8_P12ihipStream_tbDpT10_ENKUlT_T0_E_clISt17integral_constantIbLb1EES19_IbLb0EEEEDaS15_S16_EUlS15_E_NS1_11comp_targetILNS1_3genE2ELNS1_11target_archE906ELNS1_3gpuE6ELNS1_3repE0EEENS1_30default_config_static_selectorELNS0_4arch9wavefront6targetE0EEEvT1_,comdat
.Lfunc_end224:
	.size	_ZN7rocprim17ROCPRIM_400000_NS6detail17trampoline_kernelINS0_14default_configENS1_25partition_config_selectorILNS1_17partition_subalgoE9EllbEEZZNS1_14partition_implILS5_9ELb0ES3_jPlS8_PNS0_10empty_typeENS0_5tupleIJS8_S9_EEENSB_IJS8_SA_EEENS0_18inequality_wrapperIZN2at6native12_GLOBAL__N_124unique_dim_cuda_templateIhEESt5tupleIJNSF_6TensorESK_SK_EERKSK_lbbbEUlllE0_EEPmJS9_EEE10hipError_tPvRmT3_T4_T5_T6_T7_T9_mT8_P12ihipStream_tbDpT10_ENKUlT_T0_E_clISt17integral_constantIbLb1EES19_IbLb0EEEEDaS15_S16_EUlS15_E_NS1_11comp_targetILNS1_3genE2ELNS1_11target_archE906ELNS1_3gpuE6ELNS1_3repE0EEENS1_30default_config_static_selectorELNS0_4arch9wavefront6targetE0EEEvT1_, .Lfunc_end224-_ZN7rocprim17ROCPRIM_400000_NS6detail17trampoline_kernelINS0_14default_configENS1_25partition_config_selectorILNS1_17partition_subalgoE9EllbEEZZNS1_14partition_implILS5_9ELb0ES3_jPlS8_PNS0_10empty_typeENS0_5tupleIJS8_S9_EEENSB_IJS8_SA_EEENS0_18inequality_wrapperIZN2at6native12_GLOBAL__N_124unique_dim_cuda_templateIhEESt5tupleIJNSF_6TensorESK_SK_EERKSK_lbbbEUlllE0_EEPmJS9_EEE10hipError_tPvRmT3_T4_T5_T6_T7_T9_mT8_P12ihipStream_tbDpT10_ENKUlT_T0_E_clISt17integral_constantIbLb1EES19_IbLb0EEEEDaS15_S16_EUlS15_E_NS1_11comp_targetILNS1_3genE2ELNS1_11target_archE906ELNS1_3gpuE6ELNS1_3repE0EEENS1_30default_config_static_selectorELNS0_4arch9wavefront6targetE0EEEvT1_
                                        ; -- End function
	.section	.AMDGPU.csdata,"",@progbits
; Kernel info:
; codeLenInByte = 0
; NumSgprs: 0
; NumVgprs: 0
; ScratchSize: 0
; MemoryBound: 0
; FloatMode: 240
; IeeeMode: 1
; LDSByteSize: 0 bytes/workgroup (compile time only)
; SGPRBlocks: 0
; VGPRBlocks: 0
; NumSGPRsForWavesPerEU: 1
; NumVGPRsForWavesPerEU: 1
; Occupancy: 15
; WaveLimiterHint : 0
; COMPUTE_PGM_RSRC2:SCRATCH_EN: 0
; COMPUTE_PGM_RSRC2:USER_SGPR: 15
; COMPUTE_PGM_RSRC2:TRAP_HANDLER: 0
; COMPUTE_PGM_RSRC2:TGID_X_EN: 1
; COMPUTE_PGM_RSRC2:TGID_Y_EN: 0
; COMPUTE_PGM_RSRC2:TGID_Z_EN: 0
; COMPUTE_PGM_RSRC2:TIDIG_COMP_CNT: 0
	.section	.text._ZN7rocprim17ROCPRIM_400000_NS6detail17trampoline_kernelINS0_14default_configENS1_25partition_config_selectorILNS1_17partition_subalgoE9EllbEEZZNS1_14partition_implILS5_9ELb0ES3_jPlS8_PNS0_10empty_typeENS0_5tupleIJS8_S9_EEENSB_IJS8_SA_EEENS0_18inequality_wrapperIZN2at6native12_GLOBAL__N_124unique_dim_cuda_templateIhEESt5tupleIJNSF_6TensorESK_SK_EERKSK_lbbbEUlllE0_EEPmJS9_EEE10hipError_tPvRmT3_T4_T5_T6_T7_T9_mT8_P12ihipStream_tbDpT10_ENKUlT_T0_E_clISt17integral_constantIbLb1EES19_IbLb0EEEEDaS15_S16_EUlS15_E_NS1_11comp_targetILNS1_3genE10ELNS1_11target_archE1200ELNS1_3gpuE4ELNS1_3repE0EEENS1_30default_config_static_selectorELNS0_4arch9wavefront6targetE0EEEvT1_,"axG",@progbits,_ZN7rocprim17ROCPRIM_400000_NS6detail17trampoline_kernelINS0_14default_configENS1_25partition_config_selectorILNS1_17partition_subalgoE9EllbEEZZNS1_14partition_implILS5_9ELb0ES3_jPlS8_PNS0_10empty_typeENS0_5tupleIJS8_S9_EEENSB_IJS8_SA_EEENS0_18inequality_wrapperIZN2at6native12_GLOBAL__N_124unique_dim_cuda_templateIhEESt5tupleIJNSF_6TensorESK_SK_EERKSK_lbbbEUlllE0_EEPmJS9_EEE10hipError_tPvRmT3_T4_T5_T6_T7_T9_mT8_P12ihipStream_tbDpT10_ENKUlT_T0_E_clISt17integral_constantIbLb1EES19_IbLb0EEEEDaS15_S16_EUlS15_E_NS1_11comp_targetILNS1_3genE10ELNS1_11target_archE1200ELNS1_3gpuE4ELNS1_3repE0EEENS1_30default_config_static_selectorELNS0_4arch9wavefront6targetE0EEEvT1_,comdat
	.globl	_ZN7rocprim17ROCPRIM_400000_NS6detail17trampoline_kernelINS0_14default_configENS1_25partition_config_selectorILNS1_17partition_subalgoE9EllbEEZZNS1_14partition_implILS5_9ELb0ES3_jPlS8_PNS0_10empty_typeENS0_5tupleIJS8_S9_EEENSB_IJS8_SA_EEENS0_18inequality_wrapperIZN2at6native12_GLOBAL__N_124unique_dim_cuda_templateIhEESt5tupleIJNSF_6TensorESK_SK_EERKSK_lbbbEUlllE0_EEPmJS9_EEE10hipError_tPvRmT3_T4_T5_T6_T7_T9_mT8_P12ihipStream_tbDpT10_ENKUlT_T0_E_clISt17integral_constantIbLb1EES19_IbLb0EEEEDaS15_S16_EUlS15_E_NS1_11comp_targetILNS1_3genE10ELNS1_11target_archE1200ELNS1_3gpuE4ELNS1_3repE0EEENS1_30default_config_static_selectorELNS0_4arch9wavefront6targetE0EEEvT1_ ; -- Begin function _ZN7rocprim17ROCPRIM_400000_NS6detail17trampoline_kernelINS0_14default_configENS1_25partition_config_selectorILNS1_17partition_subalgoE9EllbEEZZNS1_14partition_implILS5_9ELb0ES3_jPlS8_PNS0_10empty_typeENS0_5tupleIJS8_S9_EEENSB_IJS8_SA_EEENS0_18inequality_wrapperIZN2at6native12_GLOBAL__N_124unique_dim_cuda_templateIhEESt5tupleIJNSF_6TensorESK_SK_EERKSK_lbbbEUlllE0_EEPmJS9_EEE10hipError_tPvRmT3_T4_T5_T6_T7_T9_mT8_P12ihipStream_tbDpT10_ENKUlT_T0_E_clISt17integral_constantIbLb1EES19_IbLb0EEEEDaS15_S16_EUlS15_E_NS1_11comp_targetILNS1_3genE10ELNS1_11target_archE1200ELNS1_3gpuE4ELNS1_3repE0EEENS1_30default_config_static_selectorELNS0_4arch9wavefront6targetE0EEEvT1_
	.p2align	8
	.type	_ZN7rocprim17ROCPRIM_400000_NS6detail17trampoline_kernelINS0_14default_configENS1_25partition_config_selectorILNS1_17partition_subalgoE9EllbEEZZNS1_14partition_implILS5_9ELb0ES3_jPlS8_PNS0_10empty_typeENS0_5tupleIJS8_S9_EEENSB_IJS8_SA_EEENS0_18inequality_wrapperIZN2at6native12_GLOBAL__N_124unique_dim_cuda_templateIhEESt5tupleIJNSF_6TensorESK_SK_EERKSK_lbbbEUlllE0_EEPmJS9_EEE10hipError_tPvRmT3_T4_T5_T6_T7_T9_mT8_P12ihipStream_tbDpT10_ENKUlT_T0_E_clISt17integral_constantIbLb1EES19_IbLb0EEEEDaS15_S16_EUlS15_E_NS1_11comp_targetILNS1_3genE10ELNS1_11target_archE1200ELNS1_3gpuE4ELNS1_3repE0EEENS1_30default_config_static_selectorELNS0_4arch9wavefront6targetE0EEEvT1_,@function
_ZN7rocprim17ROCPRIM_400000_NS6detail17trampoline_kernelINS0_14default_configENS1_25partition_config_selectorILNS1_17partition_subalgoE9EllbEEZZNS1_14partition_implILS5_9ELb0ES3_jPlS8_PNS0_10empty_typeENS0_5tupleIJS8_S9_EEENSB_IJS8_SA_EEENS0_18inequality_wrapperIZN2at6native12_GLOBAL__N_124unique_dim_cuda_templateIhEESt5tupleIJNSF_6TensorESK_SK_EERKSK_lbbbEUlllE0_EEPmJS9_EEE10hipError_tPvRmT3_T4_T5_T6_T7_T9_mT8_P12ihipStream_tbDpT10_ENKUlT_T0_E_clISt17integral_constantIbLb1EES19_IbLb0EEEEDaS15_S16_EUlS15_E_NS1_11comp_targetILNS1_3genE10ELNS1_11target_archE1200ELNS1_3gpuE4ELNS1_3repE0EEENS1_30default_config_static_selectorELNS0_4arch9wavefront6targetE0EEEvT1_: ; @_ZN7rocprim17ROCPRIM_400000_NS6detail17trampoline_kernelINS0_14default_configENS1_25partition_config_selectorILNS1_17partition_subalgoE9EllbEEZZNS1_14partition_implILS5_9ELb0ES3_jPlS8_PNS0_10empty_typeENS0_5tupleIJS8_S9_EEENSB_IJS8_SA_EEENS0_18inequality_wrapperIZN2at6native12_GLOBAL__N_124unique_dim_cuda_templateIhEESt5tupleIJNSF_6TensorESK_SK_EERKSK_lbbbEUlllE0_EEPmJS9_EEE10hipError_tPvRmT3_T4_T5_T6_T7_T9_mT8_P12ihipStream_tbDpT10_ENKUlT_T0_E_clISt17integral_constantIbLb1EES19_IbLb0EEEEDaS15_S16_EUlS15_E_NS1_11comp_targetILNS1_3genE10ELNS1_11target_archE1200ELNS1_3gpuE4ELNS1_3repE0EEENS1_30default_config_static_selectorELNS0_4arch9wavefront6targetE0EEEvT1_
; %bb.0:
	.section	.rodata,"a",@progbits
	.p2align	6, 0x0
	.amdhsa_kernel _ZN7rocprim17ROCPRIM_400000_NS6detail17trampoline_kernelINS0_14default_configENS1_25partition_config_selectorILNS1_17partition_subalgoE9EllbEEZZNS1_14partition_implILS5_9ELb0ES3_jPlS8_PNS0_10empty_typeENS0_5tupleIJS8_S9_EEENSB_IJS8_SA_EEENS0_18inequality_wrapperIZN2at6native12_GLOBAL__N_124unique_dim_cuda_templateIhEESt5tupleIJNSF_6TensorESK_SK_EERKSK_lbbbEUlllE0_EEPmJS9_EEE10hipError_tPvRmT3_T4_T5_T6_T7_T9_mT8_P12ihipStream_tbDpT10_ENKUlT_T0_E_clISt17integral_constantIbLb1EES19_IbLb0EEEEDaS15_S16_EUlS15_E_NS1_11comp_targetILNS1_3genE10ELNS1_11target_archE1200ELNS1_3gpuE4ELNS1_3repE0EEENS1_30default_config_static_selectorELNS0_4arch9wavefront6targetE0EEEvT1_
		.amdhsa_group_segment_fixed_size 0
		.amdhsa_private_segment_fixed_size 0
		.amdhsa_kernarg_size 120
		.amdhsa_user_sgpr_count 15
		.amdhsa_user_sgpr_dispatch_ptr 0
		.amdhsa_user_sgpr_queue_ptr 0
		.amdhsa_user_sgpr_kernarg_segment_ptr 1
		.amdhsa_user_sgpr_dispatch_id 0
		.amdhsa_user_sgpr_private_segment_size 0
		.amdhsa_wavefront_size32 1
		.amdhsa_uses_dynamic_stack 0
		.amdhsa_enable_private_segment 0
		.amdhsa_system_sgpr_workgroup_id_x 1
		.amdhsa_system_sgpr_workgroup_id_y 0
		.amdhsa_system_sgpr_workgroup_id_z 0
		.amdhsa_system_sgpr_workgroup_info 0
		.amdhsa_system_vgpr_workitem_id 0
		.amdhsa_next_free_vgpr 1
		.amdhsa_next_free_sgpr 1
		.amdhsa_reserve_vcc 0
		.amdhsa_float_round_mode_32 0
		.amdhsa_float_round_mode_16_64 0
		.amdhsa_float_denorm_mode_32 3
		.amdhsa_float_denorm_mode_16_64 3
		.amdhsa_dx10_clamp 1
		.amdhsa_ieee_mode 1
		.amdhsa_fp16_overflow 0
		.amdhsa_workgroup_processor_mode 1
		.amdhsa_memory_ordered 1
		.amdhsa_forward_progress 0
		.amdhsa_shared_vgpr_count 0
		.amdhsa_exception_fp_ieee_invalid_op 0
		.amdhsa_exception_fp_denorm_src 0
		.amdhsa_exception_fp_ieee_div_zero 0
		.amdhsa_exception_fp_ieee_overflow 0
		.amdhsa_exception_fp_ieee_underflow 0
		.amdhsa_exception_fp_ieee_inexact 0
		.amdhsa_exception_int_div_zero 0
	.end_amdhsa_kernel
	.section	.text._ZN7rocprim17ROCPRIM_400000_NS6detail17trampoline_kernelINS0_14default_configENS1_25partition_config_selectorILNS1_17partition_subalgoE9EllbEEZZNS1_14partition_implILS5_9ELb0ES3_jPlS8_PNS0_10empty_typeENS0_5tupleIJS8_S9_EEENSB_IJS8_SA_EEENS0_18inequality_wrapperIZN2at6native12_GLOBAL__N_124unique_dim_cuda_templateIhEESt5tupleIJNSF_6TensorESK_SK_EERKSK_lbbbEUlllE0_EEPmJS9_EEE10hipError_tPvRmT3_T4_T5_T6_T7_T9_mT8_P12ihipStream_tbDpT10_ENKUlT_T0_E_clISt17integral_constantIbLb1EES19_IbLb0EEEEDaS15_S16_EUlS15_E_NS1_11comp_targetILNS1_3genE10ELNS1_11target_archE1200ELNS1_3gpuE4ELNS1_3repE0EEENS1_30default_config_static_selectorELNS0_4arch9wavefront6targetE0EEEvT1_,"axG",@progbits,_ZN7rocprim17ROCPRIM_400000_NS6detail17trampoline_kernelINS0_14default_configENS1_25partition_config_selectorILNS1_17partition_subalgoE9EllbEEZZNS1_14partition_implILS5_9ELb0ES3_jPlS8_PNS0_10empty_typeENS0_5tupleIJS8_S9_EEENSB_IJS8_SA_EEENS0_18inequality_wrapperIZN2at6native12_GLOBAL__N_124unique_dim_cuda_templateIhEESt5tupleIJNSF_6TensorESK_SK_EERKSK_lbbbEUlllE0_EEPmJS9_EEE10hipError_tPvRmT3_T4_T5_T6_T7_T9_mT8_P12ihipStream_tbDpT10_ENKUlT_T0_E_clISt17integral_constantIbLb1EES19_IbLb0EEEEDaS15_S16_EUlS15_E_NS1_11comp_targetILNS1_3genE10ELNS1_11target_archE1200ELNS1_3gpuE4ELNS1_3repE0EEENS1_30default_config_static_selectorELNS0_4arch9wavefront6targetE0EEEvT1_,comdat
.Lfunc_end225:
	.size	_ZN7rocprim17ROCPRIM_400000_NS6detail17trampoline_kernelINS0_14default_configENS1_25partition_config_selectorILNS1_17partition_subalgoE9EllbEEZZNS1_14partition_implILS5_9ELb0ES3_jPlS8_PNS0_10empty_typeENS0_5tupleIJS8_S9_EEENSB_IJS8_SA_EEENS0_18inequality_wrapperIZN2at6native12_GLOBAL__N_124unique_dim_cuda_templateIhEESt5tupleIJNSF_6TensorESK_SK_EERKSK_lbbbEUlllE0_EEPmJS9_EEE10hipError_tPvRmT3_T4_T5_T6_T7_T9_mT8_P12ihipStream_tbDpT10_ENKUlT_T0_E_clISt17integral_constantIbLb1EES19_IbLb0EEEEDaS15_S16_EUlS15_E_NS1_11comp_targetILNS1_3genE10ELNS1_11target_archE1200ELNS1_3gpuE4ELNS1_3repE0EEENS1_30default_config_static_selectorELNS0_4arch9wavefront6targetE0EEEvT1_, .Lfunc_end225-_ZN7rocprim17ROCPRIM_400000_NS6detail17trampoline_kernelINS0_14default_configENS1_25partition_config_selectorILNS1_17partition_subalgoE9EllbEEZZNS1_14partition_implILS5_9ELb0ES3_jPlS8_PNS0_10empty_typeENS0_5tupleIJS8_S9_EEENSB_IJS8_SA_EEENS0_18inequality_wrapperIZN2at6native12_GLOBAL__N_124unique_dim_cuda_templateIhEESt5tupleIJNSF_6TensorESK_SK_EERKSK_lbbbEUlllE0_EEPmJS9_EEE10hipError_tPvRmT3_T4_T5_T6_T7_T9_mT8_P12ihipStream_tbDpT10_ENKUlT_T0_E_clISt17integral_constantIbLb1EES19_IbLb0EEEEDaS15_S16_EUlS15_E_NS1_11comp_targetILNS1_3genE10ELNS1_11target_archE1200ELNS1_3gpuE4ELNS1_3repE0EEENS1_30default_config_static_selectorELNS0_4arch9wavefront6targetE0EEEvT1_
                                        ; -- End function
	.section	.AMDGPU.csdata,"",@progbits
; Kernel info:
; codeLenInByte = 0
; NumSgprs: 0
; NumVgprs: 0
; ScratchSize: 0
; MemoryBound: 0
; FloatMode: 240
; IeeeMode: 1
; LDSByteSize: 0 bytes/workgroup (compile time only)
; SGPRBlocks: 0
; VGPRBlocks: 0
; NumSGPRsForWavesPerEU: 1
; NumVGPRsForWavesPerEU: 1
; Occupancy: 15
; WaveLimiterHint : 0
; COMPUTE_PGM_RSRC2:SCRATCH_EN: 0
; COMPUTE_PGM_RSRC2:USER_SGPR: 15
; COMPUTE_PGM_RSRC2:TRAP_HANDLER: 0
; COMPUTE_PGM_RSRC2:TGID_X_EN: 1
; COMPUTE_PGM_RSRC2:TGID_Y_EN: 0
; COMPUTE_PGM_RSRC2:TGID_Z_EN: 0
; COMPUTE_PGM_RSRC2:TIDIG_COMP_CNT: 0
	.section	.text._ZN7rocprim17ROCPRIM_400000_NS6detail17trampoline_kernelINS0_14default_configENS1_25partition_config_selectorILNS1_17partition_subalgoE9EllbEEZZNS1_14partition_implILS5_9ELb0ES3_jPlS8_PNS0_10empty_typeENS0_5tupleIJS8_S9_EEENSB_IJS8_SA_EEENS0_18inequality_wrapperIZN2at6native12_GLOBAL__N_124unique_dim_cuda_templateIhEESt5tupleIJNSF_6TensorESK_SK_EERKSK_lbbbEUlllE0_EEPmJS9_EEE10hipError_tPvRmT3_T4_T5_T6_T7_T9_mT8_P12ihipStream_tbDpT10_ENKUlT_T0_E_clISt17integral_constantIbLb1EES19_IbLb0EEEEDaS15_S16_EUlS15_E_NS1_11comp_targetILNS1_3genE9ELNS1_11target_archE1100ELNS1_3gpuE3ELNS1_3repE0EEENS1_30default_config_static_selectorELNS0_4arch9wavefront6targetE0EEEvT1_,"axG",@progbits,_ZN7rocprim17ROCPRIM_400000_NS6detail17trampoline_kernelINS0_14default_configENS1_25partition_config_selectorILNS1_17partition_subalgoE9EllbEEZZNS1_14partition_implILS5_9ELb0ES3_jPlS8_PNS0_10empty_typeENS0_5tupleIJS8_S9_EEENSB_IJS8_SA_EEENS0_18inequality_wrapperIZN2at6native12_GLOBAL__N_124unique_dim_cuda_templateIhEESt5tupleIJNSF_6TensorESK_SK_EERKSK_lbbbEUlllE0_EEPmJS9_EEE10hipError_tPvRmT3_T4_T5_T6_T7_T9_mT8_P12ihipStream_tbDpT10_ENKUlT_T0_E_clISt17integral_constantIbLb1EES19_IbLb0EEEEDaS15_S16_EUlS15_E_NS1_11comp_targetILNS1_3genE9ELNS1_11target_archE1100ELNS1_3gpuE3ELNS1_3repE0EEENS1_30default_config_static_selectorELNS0_4arch9wavefront6targetE0EEEvT1_,comdat
	.globl	_ZN7rocprim17ROCPRIM_400000_NS6detail17trampoline_kernelINS0_14default_configENS1_25partition_config_selectorILNS1_17partition_subalgoE9EllbEEZZNS1_14partition_implILS5_9ELb0ES3_jPlS8_PNS0_10empty_typeENS0_5tupleIJS8_S9_EEENSB_IJS8_SA_EEENS0_18inequality_wrapperIZN2at6native12_GLOBAL__N_124unique_dim_cuda_templateIhEESt5tupleIJNSF_6TensorESK_SK_EERKSK_lbbbEUlllE0_EEPmJS9_EEE10hipError_tPvRmT3_T4_T5_T6_T7_T9_mT8_P12ihipStream_tbDpT10_ENKUlT_T0_E_clISt17integral_constantIbLb1EES19_IbLb0EEEEDaS15_S16_EUlS15_E_NS1_11comp_targetILNS1_3genE9ELNS1_11target_archE1100ELNS1_3gpuE3ELNS1_3repE0EEENS1_30default_config_static_selectorELNS0_4arch9wavefront6targetE0EEEvT1_ ; -- Begin function _ZN7rocprim17ROCPRIM_400000_NS6detail17trampoline_kernelINS0_14default_configENS1_25partition_config_selectorILNS1_17partition_subalgoE9EllbEEZZNS1_14partition_implILS5_9ELb0ES3_jPlS8_PNS0_10empty_typeENS0_5tupleIJS8_S9_EEENSB_IJS8_SA_EEENS0_18inequality_wrapperIZN2at6native12_GLOBAL__N_124unique_dim_cuda_templateIhEESt5tupleIJNSF_6TensorESK_SK_EERKSK_lbbbEUlllE0_EEPmJS9_EEE10hipError_tPvRmT3_T4_T5_T6_T7_T9_mT8_P12ihipStream_tbDpT10_ENKUlT_T0_E_clISt17integral_constantIbLb1EES19_IbLb0EEEEDaS15_S16_EUlS15_E_NS1_11comp_targetILNS1_3genE9ELNS1_11target_archE1100ELNS1_3gpuE3ELNS1_3repE0EEENS1_30default_config_static_selectorELNS0_4arch9wavefront6targetE0EEEvT1_
	.p2align	8
	.type	_ZN7rocprim17ROCPRIM_400000_NS6detail17trampoline_kernelINS0_14default_configENS1_25partition_config_selectorILNS1_17partition_subalgoE9EllbEEZZNS1_14partition_implILS5_9ELb0ES3_jPlS8_PNS0_10empty_typeENS0_5tupleIJS8_S9_EEENSB_IJS8_SA_EEENS0_18inequality_wrapperIZN2at6native12_GLOBAL__N_124unique_dim_cuda_templateIhEESt5tupleIJNSF_6TensorESK_SK_EERKSK_lbbbEUlllE0_EEPmJS9_EEE10hipError_tPvRmT3_T4_T5_T6_T7_T9_mT8_P12ihipStream_tbDpT10_ENKUlT_T0_E_clISt17integral_constantIbLb1EES19_IbLb0EEEEDaS15_S16_EUlS15_E_NS1_11comp_targetILNS1_3genE9ELNS1_11target_archE1100ELNS1_3gpuE3ELNS1_3repE0EEENS1_30default_config_static_selectorELNS0_4arch9wavefront6targetE0EEEvT1_,@function
_ZN7rocprim17ROCPRIM_400000_NS6detail17trampoline_kernelINS0_14default_configENS1_25partition_config_selectorILNS1_17partition_subalgoE9EllbEEZZNS1_14partition_implILS5_9ELb0ES3_jPlS8_PNS0_10empty_typeENS0_5tupleIJS8_S9_EEENSB_IJS8_SA_EEENS0_18inequality_wrapperIZN2at6native12_GLOBAL__N_124unique_dim_cuda_templateIhEESt5tupleIJNSF_6TensorESK_SK_EERKSK_lbbbEUlllE0_EEPmJS9_EEE10hipError_tPvRmT3_T4_T5_T6_T7_T9_mT8_P12ihipStream_tbDpT10_ENKUlT_T0_E_clISt17integral_constantIbLb1EES19_IbLb0EEEEDaS15_S16_EUlS15_E_NS1_11comp_targetILNS1_3genE9ELNS1_11target_archE1100ELNS1_3gpuE3ELNS1_3repE0EEENS1_30default_config_static_selectorELNS0_4arch9wavefront6targetE0EEEvT1_: ; @_ZN7rocprim17ROCPRIM_400000_NS6detail17trampoline_kernelINS0_14default_configENS1_25partition_config_selectorILNS1_17partition_subalgoE9EllbEEZZNS1_14partition_implILS5_9ELb0ES3_jPlS8_PNS0_10empty_typeENS0_5tupleIJS8_S9_EEENSB_IJS8_SA_EEENS0_18inequality_wrapperIZN2at6native12_GLOBAL__N_124unique_dim_cuda_templateIhEESt5tupleIJNSF_6TensorESK_SK_EERKSK_lbbbEUlllE0_EEPmJS9_EEE10hipError_tPvRmT3_T4_T5_T6_T7_T9_mT8_P12ihipStream_tbDpT10_ENKUlT_T0_E_clISt17integral_constantIbLb1EES19_IbLb0EEEEDaS15_S16_EUlS15_E_NS1_11comp_targetILNS1_3genE9ELNS1_11target_archE1100ELNS1_3gpuE3ELNS1_3repE0EEENS1_30default_config_static_selectorELNS0_4arch9wavefront6targetE0EEEvT1_
; %bb.0:
	s_clause 0x3
	s_load_b128 s[4:7], s[0:1], 0x8
	s_load_b32 s8, s[0:1], 0x70
	s_load_b256 s[16:23], s[0:1], 0x40
	s_load_b64 s[24:25], s[0:1], 0x18
	s_mov_b32 s3, 0
	v_lshlrev_b32_e32 v55, 3, v0
	v_lshrrev_b32_e32 v33, 2, v0
	v_or_b32_e32 v38, 0x200, v0
	v_or_b32_e32 v36, 0x400, v0
	v_or_b32_e32 v40, 0x600, v0
	v_or_b32_e32 v39, 0x800, v0
	v_or_b32_e32 v37, 0xa00, v0
	v_or_b32_e32 v34, 0xc00, v0
	v_or_b32_e32 v35, 0xe00, v0
	s_waitcnt lgkmcnt(0)
	s_lshl_b64 s[26:27], s[6:7], 3
	s_delay_alu instid0(SALU_CYCLE_1)
	s_add_u32 s9, s4, s26
	s_addc_u32 s10, s5, s27
	s_add_i32 s11, s8, -1
	s_load_b64 s[12:13], s[18:19], 0x0
	s_lshl_b32 s4, s11, 12
	s_lshl_b32 s5, s8, 12
	s_add_i32 s4, s6, s4
	s_lshl_b32 s2, s15, 12
	s_sub_i32 s28, s20, s4
	s_add_u32 s4, s6, s5
	s_addc_u32 s5, s7, 0
	s_cmp_eq_u32 s15, s11
	v_cmp_ge_u64_e64 s4, s[4:5], s[20:21]
	s_cselect_b32 s14, -1, 0
	s_lshl_b64 s[18:19], s[2:3], 3
	s_mov_b32 s3, -1
	s_delay_alu instid0(VALU_DEP_1) | instskip(NEXT) | instid1(SALU_CYCLE_1)
	s_and_b32 s21, s14, s4
	s_xor_b32 s20, s21, -1
	s_add_u32 s4, s9, s18
	s_addc_u32 s5, s10, s19
	s_and_b32 vcc_lo, exec_lo, s20
	s_cbranch_vccz .LBB226_2
; %bb.1:
	v_add_co_u32 v9, s2, s4, v55
	s_delay_alu instid0(VALU_DEP_1)
	v_add_co_ci_u32_e64 v10, null, s5, 0, s2
	global_load_b64 v[1:2], v55, s[4:5]
	v_add_co_u32 v3, vcc_lo, v9, 0x2000
	v_add_co_ci_u32_e32 v4, vcc_lo, 0, v10, vcc_lo
	v_add_co_u32 v5, vcc_lo, v9, 0x4000
	v_add_co_ci_u32_e32 v6, vcc_lo, 0, v10, vcc_lo
	;; [unrolled: 2-line block ×4, first 2 shown]
	s_clause 0x6
	global_load_b64 v[11:12], v[3:4], off offset:-4096
	global_load_b64 v[3:4], v[3:4], off
	global_load_b64 v[13:14], v[5:6], off offset:-4096
	global_load_b64 v[5:6], v[5:6], off
	;; [unrolled: 2-line block ×3, first 2 shown]
	global_load_b64 v[9:10], v[9:10], off
	v_lshrrev_b32_e32 v18, 2, v38
	v_lshrrev_b32_e32 v19, 2, v36
	;; [unrolled: 1-line block ×4, first 2 shown]
	v_and_b32_e32 v17, 0x78, v33
	v_lshrrev_b32_e32 v22, 2, v37
	v_lshrrev_b32_e32 v23, 2, v34
	;; [unrolled: 1-line block ×3, first 2 shown]
	v_and_b32_e32 v18, 0xf8, v18
	v_and_b32_e32 v19, 0x178, v19
	;; [unrolled: 1-line block ×4, first 2 shown]
	v_add_nc_u32_e32 v17, v17, v55
	v_and_b32_e32 v22, 0x2f8, v22
	v_and_b32_e32 v23, 0x378, v23
	;; [unrolled: 1-line block ×3, first 2 shown]
	v_add_nc_u32_e32 v18, v18, v55
	v_add_nc_u32_e32 v19, v19, v55
	;; [unrolled: 1-line block ×4, first 2 shown]
	s_mov_b32 s3, 0
	v_add_nc_u32_e32 v22, v22, v55
	v_add_nc_u32_e32 v23, v23, v55
	;; [unrolled: 1-line block ×3, first 2 shown]
	s_waitcnt vmcnt(7)
	ds_store_b64 v17, v[1:2]
	s_waitcnt vmcnt(6)
	ds_store_b64 v18, v[11:12] offset:4096
	s_waitcnt vmcnt(5)
	ds_store_b64 v19, v[3:4] offset:8192
	;; [unrolled: 2-line block ×7, first 2 shown]
	s_waitcnt lgkmcnt(0)
	s_barrier
.LBB226_2:
	s_load_b128 s[8:11], s[0:1], 0x60
	v_cmp_gt_u32_e64 s2, s28, v0
	s_and_not1_b32 vcc_lo, exec_lo, s3
	s_cbranch_vccnz .LBB226_20
; %bb.3:
                                        ; implicit-def: $vgpr1_vgpr2_vgpr3_vgpr4_vgpr5_vgpr6_vgpr7_vgpr8_vgpr9_vgpr10_vgpr11_vgpr12_vgpr13_vgpr14_vgpr15_vgpr16
	s_delay_alu instid0(VALU_DEP_1)
	s_and_saveexec_b32 s3, s2
	s_cbranch_execz .LBB226_11
; %bb.4:
	global_load_b64 v[1:2], v55, s[4:5]
	s_or_b32 exec_lo, exec_lo, s3
	s_delay_alu instid0(SALU_CYCLE_1)
	s_mov_b32 s2, exec_lo
	v_cmpx_gt_u32_e64 s28, v38
	s_cbranch_execnz .LBB226_12
.LBB226_5:
	s_or_b32 exec_lo, exec_lo, s2
	s_delay_alu instid0(SALU_CYCLE_1)
	s_mov_b32 s2, exec_lo
	v_cmpx_gt_u32_e64 s28, v36
	s_cbranch_execz .LBB226_13
.LBB226_6:
	v_lshlrev_b32_e32 v5, 3, v36
	global_load_b64 v[5:6], v5, s[4:5]
	s_or_b32 exec_lo, exec_lo, s2
	s_delay_alu instid0(SALU_CYCLE_1)
	s_mov_b32 s2, exec_lo
	v_cmpx_gt_u32_e64 s28, v40
	s_cbranch_execnz .LBB226_14
.LBB226_7:
	s_or_b32 exec_lo, exec_lo, s2
	s_delay_alu instid0(SALU_CYCLE_1)
	s_mov_b32 s2, exec_lo
	v_cmpx_gt_u32_e64 s28, v39
	s_cbranch_execz .LBB226_15
.LBB226_8:
	v_lshlrev_b32_e32 v9, 3, v39
	global_load_b64 v[9:10], v9, s[4:5]
	s_or_b32 exec_lo, exec_lo, s2
	s_delay_alu instid0(SALU_CYCLE_1)
	s_mov_b32 s2, exec_lo
	v_cmpx_gt_u32_e64 s28, v37
	s_cbranch_execnz .LBB226_16
.LBB226_9:
	s_or_b32 exec_lo, exec_lo, s2
	s_delay_alu instid0(SALU_CYCLE_1)
	s_mov_b32 s2, exec_lo
	v_cmpx_gt_u32_e64 s28, v34
	s_cbranch_execz .LBB226_17
.LBB226_10:
	v_lshlrev_b32_e32 v13, 3, v34
	global_load_b64 v[13:14], v13, s[4:5]
	s_or_b32 exec_lo, exec_lo, s2
	s_delay_alu instid0(SALU_CYCLE_1)
	s_mov_b32 s2, exec_lo
	v_cmpx_gt_u32_e64 s28, v35
	s_cbranch_execnz .LBB226_18
	s_branch .LBB226_19
.LBB226_11:
	s_or_b32 exec_lo, exec_lo, s3
	s_delay_alu instid0(SALU_CYCLE_1)
	s_mov_b32 s2, exec_lo
	v_cmpx_gt_u32_e64 s28, v38
	s_cbranch_execz .LBB226_5
.LBB226_12:
	v_lshlrev_b32_e32 v3, 3, v38
	global_load_b64 v[3:4], v3, s[4:5]
	s_or_b32 exec_lo, exec_lo, s2
	s_delay_alu instid0(SALU_CYCLE_1)
	s_mov_b32 s2, exec_lo
	v_cmpx_gt_u32_e64 s28, v36
	s_cbranch_execnz .LBB226_6
.LBB226_13:
	s_or_b32 exec_lo, exec_lo, s2
	s_delay_alu instid0(SALU_CYCLE_1)
	s_mov_b32 s2, exec_lo
	v_cmpx_gt_u32_e64 s28, v40
	s_cbranch_execz .LBB226_7
.LBB226_14:
	v_lshlrev_b32_e32 v7, 3, v40
	global_load_b64 v[7:8], v7, s[4:5]
	s_or_b32 exec_lo, exec_lo, s2
	s_delay_alu instid0(SALU_CYCLE_1)
	s_mov_b32 s2, exec_lo
	v_cmpx_gt_u32_e64 s28, v39
	s_cbranch_execnz .LBB226_8
.LBB226_15:
	s_or_b32 exec_lo, exec_lo, s2
	s_delay_alu instid0(SALU_CYCLE_1)
	s_mov_b32 s2, exec_lo
	v_cmpx_gt_u32_e64 s28, v37
	s_cbranch_execz .LBB226_9
.LBB226_16:
	v_lshlrev_b32_e32 v11, 3, v37
	global_load_b64 v[11:12], v11, s[4:5]
	s_or_b32 exec_lo, exec_lo, s2
	s_delay_alu instid0(SALU_CYCLE_1)
	s_mov_b32 s2, exec_lo
	v_cmpx_gt_u32_e64 s28, v34
	s_cbranch_execnz .LBB226_10
.LBB226_17:
	s_or_b32 exec_lo, exec_lo, s2
	s_delay_alu instid0(SALU_CYCLE_1)
	s_mov_b32 s2, exec_lo
	v_cmpx_gt_u32_e64 s28, v35
	s_cbranch_execz .LBB226_19
.LBB226_18:
	v_lshlrev_b32_e32 v15, 3, v35
	global_load_b64 v[15:16], v15, s[4:5]
.LBB226_19:
	s_or_b32 exec_lo, exec_lo, s2
	v_lshrrev_b32_e32 v17, 2, v38
	v_lshrrev_b32_e32 v18, 2, v36
	;; [unrolled: 1-line block ×4, first 2 shown]
	v_and_b32_e32 v19, 0x78, v33
	v_lshrrev_b32_e32 v22, 2, v37
	v_lshrrev_b32_e32 v23, 2, v34
	;; [unrolled: 1-line block ×3, first 2 shown]
	v_and_b32_e32 v17, 0xf8, v17
	v_and_b32_e32 v18, 0x1f8, v18
	;; [unrolled: 1-line block ×4, first 2 shown]
	v_add_nc_u32_e32 v19, v19, v55
	v_and_b32_e32 v22, 0x3f8, v22
	v_and_b32_e32 v23, 0x3f8, v23
	;; [unrolled: 1-line block ×3, first 2 shown]
	v_add_nc_u32_e32 v17, v17, v55
	v_add_nc_u32_e32 v18, v18, v55
	;; [unrolled: 1-line block ×7, first 2 shown]
	s_waitcnt vmcnt(0)
	ds_store_b64 v19, v[1:2]
	ds_store_b64 v17, v[3:4] offset:4096
	ds_store_b64 v18, v[5:6] offset:8192
	;; [unrolled: 1-line block ×7, first 2 shown]
	s_waitcnt lgkmcnt(0)
	s_barrier
.LBB226_20:
	v_add_lshl_u32 v41, v33, v55, 3
	s_waitcnt lgkmcnt(0)
	buffer_gl0_inv
	s_add_u32 s2, s24, s26
	s_addc_u32 s3, s25, s27
	s_add_u32 s2, s2, s18
	ds_load_2addr_b64 v[29:32], v41 offset1:1
	ds_load_2addr_b64 v[25:28], v41 offset0:2 offset1:3
	ds_load_2addr_b64 v[21:24], v41 offset0:4 offset1:5
	;; [unrolled: 1-line block ×3, first 2 shown]
	s_addc_u32 s3, s3, s19
	s_and_b32 vcc_lo, exec_lo, s20
	s_mov_b32 s18, -1
	s_waitcnt lgkmcnt(0)
	s_barrier
	buffer_gl0_inv
	s_cbranch_vccz .LBB226_22
; %bb.21:
	v_add_co_u32 v9, s18, s2, v55
	s_delay_alu instid0(VALU_DEP_1)
	v_add_co_ci_u32_e64 v10, null, s3, 0, s18
	global_load_b64 v[1:2], v55, s[2:3]
	v_add_co_u32 v3, vcc_lo, v9, 0x2000
	v_add_co_ci_u32_e32 v4, vcc_lo, 0, v10, vcc_lo
	v_add_co_u32 v5, vcc_lo, v9, 0x4000
	v_add_co_ci_u32_e32 v6, vcc_lo, 0, v10, vcc_lo
	v_add_co_u32 v7, vcc_lo, v9, 0x6000
	v_add_co_ci_u32_e32 v8, vcc_lo, 0, v10, vcc_lo
	v_add_co_u32 v9, vcc_lo, 0x7000, v9
	v_add_co_ci_u32_e32 v10, vcc_lo, 0, v10, vcc_lo
	s_clause 0x6
	global_load_b64 v[11:12], v[3:4], off offset:-4096
	global_load_b64 v[3:4], v[3:4], off
	global_load_b64 v[13:14], v[5:6], off offset:-4096
	global_load_b64 v[5:6], v[5:6], off
	;; [unrolled: 2-line block ×3, first 2 shown]
	global_load_b64 v[9:10], v[9:10], off
	v_lshrrev_b32_e32 v43, 2, v38
	v_lshrrev_b32_e32 v44, 2, v36
	;; [unrolled: 1-line block ×4, first 2 shown]
	v_and_b32_e32 v42, 0x78, v33
	v_lshrrev_b32_e32 v47, 2, v37
	v_lshrrev_b32_e32 v48, 2, v34
	;; [unrolled: 1-line block ×3, first 2 shown]
	v_and_b32_e32 v43, 0xf8, v43
	v_and_b32_e32 v44, 0x178, v44
	;; [unrolled: 1-line block ×4, first 2 shown]
	v_add_nc_u32_e32 v42, v42, v55
	v_and_b32_e32 v47, 0x2f8, v47
	v_and_b32_e32 v48, 0x378, v48
	;; [unrolled: 1-line block ×3, first 2 shown]
	v_add_nc_u32_e32 v43, v43, v55
	v_add_nc_u32_e32 v44, v44, v55
	;; [unrolled: 1-line block ×4, first 2 shown]
	s_mov_b32 s18, 0
	v_add_nc_u32_e32 v47, v47, v55
	v_add_nc_u32_e32 v48, v48, v55
	;; [unrolled: 1-line block ×3, first 2 shown]
	s_waitcnt vmcnt(7)
	ds_store_b64 v42, v[1:2]
	s_waitcnt vmcnt(6)
	ds_store_b64 v43, v[11:12] offset:4096
	s_waitcnt vmcnt(5)
	ds_store_b64 v44, v[3:4] offset:8192
	s_waitcnt vmcnt(4)
	ds_store_b64 v45, v[13:14] offset:12288
	s_waitcnt vmcnt(3)
	ds_store_b64 v46, v[5:6] offset:16384
	s_waitcnt vmcnt(2)
	ds_store_b64 v47, v[15:16] offset:20480
	s_waitcnt vmcnt(1)
	ds_store_b64 v48, v[7:8] offset:24576
	s_waitcnt vmcnt(0)
	ds_store_b64 v49, v[9:10] offset:28672
	s_waitcnt lgkmcnt(0)
	s_barrier
.LBB226_22:
	s_and_not1_b32 vcc_lo, exec_lo, s18
	s_cbranch_vccnz .LBB226_40
; %bb.23:
	s_mov_b32 s18, exec_lo
                                        ; implicit-def: $vgpr1_vgpr2
	v_cmpx_gt_u32_e64 s28, v0
	s_cbranch_execz .LBB226_25
; %bb.24:
	global_load_b64 v[1:2], v55, s[2:3]
.LBB226_25:
	s_or_b32 exec_lo, exec_lo, s18
	s_delay_alu instid0(SALU_CYCLE_1)
	s_mov_b32 s18, exec_lo
                                        ; implicit-def: $vgpr3_vgpr4
	v_cmpx_gt_u32_e64 s28, v38
	s_cbranch_execz .LBB226_27
; %bb.26:
	v_lshlrev_b32_e32 v3, 3, v38
	global_load_b64 v[3:4], v3, s[2:3]
.LBB226_27:
	s_or_b32 exec_lo, exec_lo, s18
	s_delay_alu instid0(SALU_CYCLE_1)
	s_mov_b32 s18, exec_lo
                                        ; implicit-def: $vgpr5_vgpr6
	v_cmpx_gt_u32_e64 s28, v36
	s_cbranch_execz .LBB226_29
; %bb.28:
	v_lshlrev_b32_e32 v5, 3, v36
	global_load_b64 v[5:6], v5, s[2:3]
.LBB226_29:
	s_or_b32 exec_lo, exec_lo, s18
	s_delay_alu instid0(SALU_CYCLE_1)
	s_mov_b32 s18, exec_lo
                                        ; implicit-def: $vgpr7_vgpr8
	v_cmpx_gt_u32_e64 s28, v40
	s_cbranch_execz .LBB226_31
; %bb.30:
	v_lshlrev_b32_e32 v7, 3, v40
	global_load_b64 v[7:8], v7, s[2:3]
.LBB226_31:
	s_or_b32 exec_lo, exec_lo, s18
	s_delay_alu instid0(SALU_CYCLE_1)
	s_mov_b32 s18, exec_lo
                                        ; implicit-def: $vgpr9_vgpr10
	v_cmpx_gt_u32_e64 s28, v39
	s_cbranch_execz .LBB226_33
; %bb.32:
	v_lshlrev_b32_e32 v9, 3, v39
	global_load_b64 v[9:10], v9, s[2:3]
.LBB226_33:
	s_or_b32 exec_lo, exec_lo, s18
	s_delay_alu instid0(SALU_CYCLE_1)
	s_mov_b32 s18, exec_lo
                                        ; implicit-def: $vgpr11_vgpr12
	v_cmpx_gt_u32_e64 s28, v37
	s_cbranch_execz .LBB226_35
; %bb.34:
	v_lshlrev_b32_e32 v11, 3, v37
	global_load_b64 v[11:12], v11, s[2:3]
.LBB226_35:
	s_or_b32 exec_lo, exec_lo, s18
	s_delay_alu instid0(SALU_CYCLE_1)
	s_mov_b32 s18, exec_lo
                                        ; implicit-def: $vgpr13_vgpr14
	v_cmpx_gt_u32_e64 s28, v34
	s_cbranch_execz .LBB226_37
; %bb.36:
	v_lshlrev_b32_e32 v13, 3, v34
	global_load_b64 v[13:14], v13, s[2:3]
.LBB226_37:
	s_or_b32 exec_lo, exec_lo, s18
	s_delay_alu instid0(SALU_CYCLE_1)
	s_mov_b32 s18, exec_lo
                                        ; implicit-def: $vgpr15_vgpr16
	v_cmpx_gt_u32_e64 s28, v35
	s_cbranch_execz .LBB226_39
; %bb.38:
	v_lshlrev_b32_e32 v15, 3, v35
	global_load_b64 v[15:16], v15, s[2:3]
.LBB226_39:
	s_or_b32 exec_lo, exec_lo, s18
	v_lshrrev_b32_e32 v38, 2, v38
	v_lshrrev_b32_e32 v36, 2, v36
	v_lshrrev_b32_e32 v40, 2, v40
	v_lshrrev_b32_e32 v39, 2, v39
	v_and_b32_e32 v33, 0x78, v33
	v_lshrrev_b32_e32 v37, 2, v37
	v_lshrrev_b32_e32 v34, 2, v34
	;; [unrolled: 1-line block ×3, first 2 shown]
	v_and_b32_e32 v38, 0xf8, v38
	v_and_b32_e32 v36, 0x1f8, v36
	;; [unrolled: 1-line block ×4, first 2 shown]
	v_add_nc_u32_e32 v33, v33, v55
	v_and_b32_e32 v37, 0x3f8, v37
	v_and_b32_e32 v34, 0x3f8, v34
	;; [unrolled: 1-line block ×3, first 2 shown]
	v_add_nc_u32_e32 v38, v38, v55
	v_add_nc_u32_e32 v36, v36, v55
	v_add_nc_u32_e32 v40, v40, v55
	v_add_nc_u32_e32 v39, v39, v55
	v_add_nc_u32_e32 v37, v37, v55
	v_add_nc_u32_e32 v34, v34, v55
	v_add_nc_u32_e32 v35, v35, v55
	s_waitcnt vmcnt(0)
	ds_store_b64 v33, v[1:2]
	ds_store_b64 v38, v[3:4] offset:4096
	ds_store_b64 v36, v[5:6] offset:8192
	;; [unrolled: 1-line block ×7, first 2 shown]
	s_waitcnt lgkmcnt(0)
	s_barrier
.LBB226_40:
	buffer_gl0_inv
	ds_load_2addr_b64 v[13:16], v41 offset1:1
	ds_load_2addr_b64 v[9:12], v41 offset0:2 offset1:3
	ds_load_2addr_b64 v[5:8], v41 offset0:4 offset1:5
	;; [unrolled: 1-line block ×3, first 2 shown]
	s_cmp_lg_u32 s15, 0
	v_cmp_gt_i64_e64 s19, s[22:23], 0
	s_cselect_b32 s18, -1, 0
	s_cmp_lg_u64 s[6:7], 0
	s_mov_b32 s6, 0
	s_cselect_b32 s2, -1, 0
	s_waitcnt lgkmcnt(0)
	s_or_b32 s2, s18, s2
	s_barrier
	s_and_b32 vcc_lo, exec_lo, s2
	buffer_gl0_inv
	s_cbranch_vccz .LBB226_49
; %bb.41:
	s_add_u32 s2, s4, -8
	s_addc_u32 s3, s5, -1
	v_cndmask_b32_e64 v40, 0, 1, s19
	s_load_b64 s[4:5], s[2:3], 0x0
	s_and_b32 vcc_lo, exec_lo, s20
	ds_store_b64 v55, v[19:20]
	v_cmp_ne_u32_e64 s2, 1, v40
	s_cbranch_vccz .LBB226_50
; %bb.42:
	v_mul_lo_u32 v35, v18, s22
	v_mul_lo_u32 v36, v17, s23
	v_mad_u64_u32 v[33:34], null, v17, s22, 0
	s_mov_b32 s24, 0
	s_and_b32 vcc_lo, exec_lo, s2
	s_mov_b32 s25, 0
	s_delay_alu instid0(VALU_DEP_1)
	v_add3_u32 v41, v34, v36, v35
	s_cbranch_vccnz .LBB226_53
; %bb.43:
	v_mad_u64_u32 v[34:35], null, v19, s22, s[8:9]
	v_mul_lo_u32 v38, v19, s23
	v_mul_lo_u32 v39, v20, s22
	v_add_co_u32 v36, vcc_lo, s8, v33
	v_add_co_ci_u32_e32 v37, vcc_lo, s9, v41, vcc_lo
	s_mov_b32 s25, -1
	s_mov_b32 s26, exec_lo
	s_delay_alu instid0(VALU_DEP_3)
	v_add3_u32 v35, v39, v35, v38
	s_clause 0x1
	global_load_u8 v38, v[36:37], off
	global_load_u8 v39, v[34:35], off
	s_waitcnt vmcnt(0)
	v_cmpx_eq_u16_e64 v38, v39
	s_cbranch_execz .LBB226_52
; %bb.44:
	s_mov_b64 s[2:3], 1
	s_mov_b32 s25, 0
                                        ; implicit-def: $sgpr27
	s_set_inst_prefetch_distance 0x1
	s_branch .LBB226_47
	.p2align	6
.LBB226_45:                             ;   in Loop: Header=BB226_47 Depth=1
	v_add_co_u32 v38, vcc_lo, v36, s2
	v_add_co_ci_u32_e32 v39, vcc_lo, s3, v37, vcc_lo
	v_add_co_u32 v42, vcc_lo, v34, s2
	v_add_co_ci_u32_e32 v43, vcc_lo, s3, v35, vcc_lo
	s_add_u32 s6, s2, 1
	s_clause 0x1
	global_load_u8 v38, v[38:39], off
	global_load_u8 v39, v[42:43], off
	s_addc_u32 s7, s3, 0
	s_and_not1_b32 s27, s27, exec_lo
	s_waitcnt vmcnt(0)
	v_cmp_ne_u16_e32 vcc_lo, v38, v39
	s_and_b32 s29, vcc_lo, exec_lo
	s_delay_alu instid0(SALU_CYCLE_1)
	s_or_b32 s27, s27, s29
.LBB226_46:                             ;   in Loop: Header=BB226_47 Depth=1
	v_dual_mov_b32 v39, s3 :: v_dual_mov_b32 v38, s2
	s_and_b32 s29, exec_lo, s27
	s_mov_b64 s[2:3], s[6:7]
	s_or_b32 s25, s29, s25
	s_delay_alu instid0(SALU_CYCLE_1)
	s_and_not1_b32 exec_lo, exec_lo, s25
	s_cbranch_execz .LBB226_51
.LBB226_47:                             ; =>This Inner Loop Header: Depth=1
	s_or_b32 s27, s27, exec_lo
	s_cmp_eq_u64 s[22:23], s[2:3]
	s_cbranch_scc0 .LBB226_45
; %bb.48:                               ;   in Loop: Header=BB226_47 Depth=1
	s_mov_b64 s[2:3], s[22:23]
                                        ; implicit-def: $sgpr6_sgpr7
	s_branch .LBB226_46
.LBB226_49:
                                        ; implicit-def: $sgpr2
                                        ; implicit-def: $vgpr34
	s_branch .LBB226_211
.LBB226_50:
                                        ; implicit-def: $sgpr2
                                        ; implicit-def: $vgpr34
	s_cbranch_execnz .LBB226_119
	s_branch .LBB226_210
.LBB226_51:
	s_set_inst_prefetch_distance 0x2
	s_or_b32 exec_lo, exec_lo, s25
	v_cmp_gt_i64_e32 vcc_lo, s[22:23], v[38:39]
	s_or_not1_b32 s25, vcc_lo, exec_lo
.LBB226_52:
	s_or_b32 exec_lo, exec_lo, s26
.LBB226_53:
	v_mul_lo_u32 v34, v24, s22
	v_mul_lo_u32 v37, v23, s23
	v_mad_u64_u32 v[35:36], null, v23, s22, 0
	s_and_not1_b32 vcc_lo, exec_lo, s19
	s_delay_alu instid0(VALU_DEP_1)
	v_add3_u32 v42, v36, v37, v34
	s_cbranch_vccnz .LBB226_62
; %bb.54:
	s_delay_alu instid0(VALU_DEP_2) | instskip(NEXT) | instid1(VALU_DEP_2)
	v_add_co_u32 v36, vcc_lo, s8, v35
	v_add_co_ci_u32_e32 v37, vcc_lo, s9, v42, vcc_lo
	v_add_co_u32 v33, vcc_lo, s8, v33
	v_add_co_ci_u32_e32 v34, vcc_lo, s9, v41, vcc_lo
	s_mov_b32 s24, -1
	s_clause 0x1
	global_load_u8 v38, v[36:37], off
	global_load_u8 v39, v[33:34], off
	s_mov_b32 s26, exec_lo
	s_waitcnt vmcnt(0)
	v_cmpx_eq_u16_e64 v38, v39
	s_cbranch_execz .LBB226_61
; %bb.55:
	s_mov_b64 s[2:3], 1
	s_mov_b32 s24, 0
                                        ; implicit-def: $sgpr27
	s_set_inst_prefetch_distance 0x1
	s_branch .LBB226_58
	.p2align	6
.LBB226_56:                             ;   in Loop: Header=BB226_58 Depth=1
	v_add_co_u32 v38, vcc_lo, v36, s2
	v_add_co_ci_u32_e32 v39, vcc_lo, s3, v37, vcc_lo
	v_add_co_u32 v43, vcc_lo, v33, s2
	v_add_co_ci_u32_e32 v44, vcc_lo, s3, v34, vcc_lo
	s_add_u32 s6, s2, 1
	s_clause 0x1
	global_load_u8 v38, v[38:39], off
	global_load_u8 v39, v[43:44], off
	s_addc_u32 s7, s3, 0
	s_and_not1_b32 s27, s27, exec_lo
	s_waitcnt vmcnt(0)
	v_cmp_ne_u16_e32 vcc_lo, v38, v39
	s_and_b32 s29, vcc_lo, exec_lo
	s_delay_alu instid0(SALU_CYCLE_1)
	s_or_b32 s27, s27, s29
.LBB226_57:                             ;   in Loop: Header=BB226_58 Depth=1
	v_dual_mov_b32 v39, s3 :: v_dual_mov_b32 v38, s2
	s_and_b32 s29, exec_lo, s27
	s_mov_b64 s[2:3], s[6:7]
	s_or_b32 s24, s29, s24
	s_delay_alu instid0(SALU_CYCLE_1)
	s_and_not1_b32 exec_lo, exec_lo, s24
	s_cbranch_execz .LBB226_60
.LBB226_58:                             ; =>This Inner Loop Header: Depth=1
	s_or_b32 s27, s27, exec_lo
	s_cmp_eq_u64 s[22:23], s[2:3]
	s_cbranch_scc0 .LBB226_56
; %bb.59:                               ;   in Loop: Header=BB226_58 Depth=1
	s_mov_b64 s[2:3], s[22:23]
                                        ; implicit-def: $sgpr6_sgpr7
	s_branch .LBB226_57
.LBB226_60:
	s_set_inst_prefetch_distance 0x2
	s_or_b32 exec_lo, exec_lo, s24
	v_cmp_gt_i64_e32 vcc_lo, s[22:23], v[38:39]
	s_or_not1_b32 s24, vcc_lo, exec_lo
.LBB226_61:
	s_or_b32 exec_lo, exec_lo, s26
.LBB226_62:
	v_mul_lo_u32 v36, v22, s22
	v_mul_lo_u32 v37, v21, s23
	v_mad_u64_u32 v[33:34], null, v21, s22, 0
	s_mov_b32 s26, 0
	s_and_not1_b32 vcc_lo, exec_lo, s19
	s_mov_b32 s27, 0
	s_delay_alu instid0(VALU_DEP_1)
	v_add3_u32 v43, v34, v37, v36
	s_cbranch_vccnz .LBB226_71
; %bb.63:
	s_delay_alu instid0(VALU_DEP_2) | instskip(NEXT) | instid1(VALU_DEP_2)
	v_add_co_u32 v36, vcc_lo, s8, v33
	v_add_co_ci_u32_e32 v37, vcc_lo, s9, v43, vcc_lo
	v_add_co_u32 v34, vcc_lo, s8, v35
	v_add_co_ci_u32_e32 v35, vcc_lo, s9, v42, vcc_lo
	s_mov_b32 s27, -1
	s_clause 0x1
	global_load_u8 v38, v[36:37], off
	global_load_u8 v39, v[34:35], off
	s_mov_b32 s29, exec_lo
	s_waitcnt vmcnt(0)
	v_cmpx_eq_u16_e64 v38, v39
	s_cbranch_execz .LBB226_70
; %bb.64:
	s_mov_b64 s[2:3], 1
	s_mov_b32 s27, 0
                                        ; implicit-def: $sgpr30
	s_set_inst_prefetch_distance 0x1
	s_branch .LBB226_67
	.p2align	6
.LBB226_65:                             ;   in Loop: Header=BB226_67 Depth=1
	v_add_co_u32 v38, vcc_lo, v36, s2
	v_add_co_ci_u32_e32 v39, vcc_lo, s3, v37, vcc_lo
	v_add_co_u32 v41, vcc_lo, v34, s2
	v_add_co_ci_u32_e32 v42, vcc_lo, s3, v35, vcc_lo
	s_add_u32 s6, s2, 1
	s_clause 0x1
	global_load_u8 v38, v[38:39], off
	global_load_u8 v39, v[41:42], off
	s_addc_u32 s7, s3, 0
	s_and_not1_b32 s30, s30, exec_lo
	s_waitcnt vmcnt(0)
	v_cmp_ne_u16_e32 vcc_lo, v38, v39
	s_and_b32 s31, vcc_lo, exec_lo
	s_delay_alu instid0(SALU_CYCLE_1)
	s_or_b32 s30, s30, s31
.LBB226_66:                             ;   in Loop: Header=BB226_67 Depth=1
	v_dual_mov_b32 v39, s3 :: v_dual_mov_b32 v38, s2
	s_and_b32 s31, exec_lo, s30
	s_mov_b64 s[2:3], s[6:7]
	s_or_b32 s27, s31, s27
	s_delay_alu instid0(SALU_CYCLE_1)
	s_and_not1_b32 exec_lo, exec_lo, s27
	s_cbranch_execz .LBB226_69
.LBB226_67:                             ; =>This Inner Loop Header: Depth=1
	s_or_b32 s30, s30, exec_lo
	s_cmp_eq_u64 s[22:23], s[2:3]
	s_cbranch_scc0 .LBB226_65
; %bb.68:                               ;   in Loop: Header=BB226_67 Depth=1
	s_mov_b64 s[2:3], s[22:23]
                                        ; implicit-def: $sgpr6_sgpr7
	s_branch .LBB226_66
.LBB226_69:
	s_set_inst_prefetch_distance 0x2
	s_or_b32 exec_lo, exec_lo, s27
	v_cmp_gt_i64_e32 vcc_lo, s[22:23], v[38:39]
	s_or_not1_b32 s27, vcc_lo, exec_lo
.LBB226_70:
	s_or_b32 exec_lo, exec_lo, s29
.LBB226_71:
	v_mul_lo_u32 v34, v28, s22
	v_mul_lo_u32 v37, v27, s23
	v_mad_u64_u32 v[35:36], null, v27, s22, 0
	s_and_not1_b32 vcc_lo, exec_lo, s19
	s_delay_alu instid0(VALU_DEP_1)
	v_add3_u32 v41, v36, v37, v34
	s_cbranch_vccnz .LBB226_80
; %bb.72:
	s_delay_alu instid0(VALU_DEP_2) | instskip(NEXT) | instid1(VALU_DEP_2)
	v_add_co_u32 v36, vcc_lo, s8, v35
	v_add_co_ci_u32_e32 v37, vcc_lo, s9, v41, vcc_lo
	v_add_co_u32 v33, vcc_lo, s8, v33
	v_add_co_ci_u32_e32 v34, vcc_lo, s9, v43, vcc_lo
	s_mov_b32 s26, -1
	s_clause 0x1
	global_load_u8 v38, v[36:37], off
	global_load_u8 v39, v[33:34], off
	s_mov_b32 s29, exec_lo
	s_waitcnt vmcnt(0)
	v_cmpx_eq_u16_e64 v38, v39
	s_cbranch_execz .LBB226_79
; %bb.73:
	s_mov_b64 s[2:3], 1
	s_mov_b32 s26, 0
                                        ; implicit-def: $sgpr30
	s_set_inst_prefetch_distance 0x1
	s_branch .LBB226_76
	.p2align	6
.LBB226_74:                             ;   in Loop: Header=BB226_76 Depth=1
	v_add_co_u32 v38, vcc_lo, v36, s2
	v_add_co_ci_u32_e32 v39, vcc_lo, s3, v37, vcc_lo
	v_add_co_u32 v42, vcc_lo, v33, s2
	v_add_co_ci_u32_e32 v43, vcc_lo, s3, v34, vcc_lo
	s_add_u32 s6, s2, 1
	s_clause 0x1
	global_load_u8 v38, v[38:39], off
	global_load_u8 v39, v[42:43], off
	s_addc_u32 s7, s3, 0
	s_and_not1_b32 s30, s30, exec_lo
	s_waitcnt vmcnt(0)
	v_cmp_ne_u16_e32 vcc_lo, v38, v39
	s_and_b32 s31, vcc_lo, exec_lo
	s_delay_alu instid0(SALU_CYCLE_1)
	s_or_b32 s30, s30, s31
.LBB226_75:                             ;   in Loop: Header=BB226_76 Depth=1
	v_dual_mov_b32 v39, s3 :: v_dual_mov_b32 v38, s2
	s_and_b32 s31, exec_lo, s30
	s_mov_b64 s[2:3], s[6:7]
	s_or_b32 s26, s31, s26
	s_delay_alu instid0(SALU_CYCLE_1)
	s_and_not1_b32 exec_lo, exec_lo, s26
	s_cbranch_execz .LBB226_78
.LBB226_76:                             ; =>This Inner Loop Header: Depth=1
	s_or_b32 s30, s30, exec_lo
	s_cmp_eq_u64 s[22:23], s[2:3]
	s_cbranch_scc0 .LBB226_74
; %bb.77:                               ;   in Loop: Header=BB226_76 Depth=1
	s_mov_b64 s[2:3], s[22:23]
                                        ; implicit-def: $sgpr6_sgpr7
	s_branch .LBB226_75
.LBB226_78:
	s_set_inst_prefetch_distance 0x2
	s_or_b32 exec_lo, exec_lo, s26
	v_cmp_gt_i64_e32 vcc_lo, s[22:23], v[38:39]
	s_or_not1_b32 s26, vcc_lo, exec_lo
.LBB226_79:
	s_or_b32 exec_lo, exec_lo, s29
.LBB226_80:
	v_mul_lo_u32 v36, v26, s22
	v_mul_lo_u32 v37, v25, s23
	v_mad_u64_u32 v[33:34], null, v25, s22, 0
	s_mov_b32 s29, 0
	s_and_not1_b32 vcc_lo, exec_lo, s19
	s_mov_b32 s30, 0
	s_delay_alu instid0(VALU_DEP_1)
	v_add3_u32 v43, v34, v37, v36
	s_cbranch_vccnz .LBB226_89
; %bb.81:
	s_delay_alu instid0(VALU_DEP_2) | instskip(NEXT) | instid1(VALU_DEP_2)
	v_add_co_u32 v36, vcc_lo, s8, v33
	v_add_co_ci_u32_e32 v37, vcc_lo, s9, v43, vcc_lo
	v_add_co_u32 v34, vcc_lo, s8, v35
	v_add_co_ci_u32_e32 v35, vcc_lo, s9, v41, vcc_lo
	s_mov_b32 s30, -1
	s_clause 0x1
	global_load_u8 v38, v[36:37], off
	global_load_u8 v39, v[34:35], off
	s_mov_b32 s31, exec_lo
	s_waitcnt vmcnt(0)
	v_cmpx_eq_u16_e64 v38, v39
	s_cbranch_execz .LBB226_88
; %bb.82:
	s_mov_b64 s[2:3], 1
	s_mov_b32 s30, 0
                                        ; implicit-def: $sgpr33
	s_set_inst_prefetch_distance 0x1
	s_branch .LBB226_85
	.p2align	6
.LBB226_83:                             ;   in Loop: Header=BB226_85 Depth=1
	v_add_co_u32 v38, vcc_lo, v36, s2
	v_add_co_ci_u32_e32 v39, vcc_lo, s3, v37, vcc_lo
	v_add_co_u32 v41, vcc_lo, v34, s2
	v_add_co_ci_u32_e32 v42, vcc_lo, s3, v35, vcc_lo
	s_add_u32 s6, s2, 1
	s_clause 0x1
	global_load_u8 v38, v[38:39], off
	global_load_u8 v39, v[41:42], off
	s_addc_u32 s7, s3, 0
	s_and_not1_b32 s33, s33, exec_lo
	s_waitcnt vmcnt(0)
	v_cmp_ne_u16_e32 vcc_lo, v38, v39
	s_and_b32 s34, vcc_lo, exec_lo
	s_delay_alu instid0(SALU_CYCLE_1)
	s_or_b32 s33, s33, s34
.LBB226_84:                             ;   in Loop: Header=BB226_85 Depth=1
	v_dual_mov_b32 v39, s3 :: v_dual_mov_b32 v38, s2
	s_and_b32 s34, exec_lo, s33
	s_mov_b64 s[2:3], s[6:7]
	s_or_b32 s30, s34, s30
	s_delay_alu instid0(SALU_CYCLE_1)
	s_and_not1_b32 exec_lo, exec_lo, s30
	s_cbranch_execz .LBB226_87
.LBB226_85:                             ; =>This Inner Loop Header: Depth=1
	s_or_b32 s33, s33, exec_lo
	s_cmp_eq_u64 s[22:23], s[2:3]
	s_cbranch_scc0 .LBB226_83
; %bb.86:                               ;   in Loop: Header=BB226_85 Depth=1
	s_mov_b64 s[2:3], s[22:23]
                                        ; implicit-def: $sgpr6_sgpr7
	s_branch .LBB226_84
.LBB226_87:
	s_set_inst_prefetch_distance 0x2
	s_or_b32 exec_lo, exec_lo, s30
	v_cmp_gt_i64_e32 vcc_lo, s[22:23], v[38:39]
	s_or_not1_b32 s30, vcc_lo, exec_lo
.LBB226_88:
	s_or_b32 exec_lo, exec_lo, s31
.LBB226_89:
	v_mul_lo_u32 v34, v32, s22
	v_mul_lo_u32 v37, v31, s23
	v_mad_u64_u32 v[35:36], null, v31, s22, 0
	s_and_not1_b32 vcc_lo, exec_lo, s19
	s_delay_alu instid0(VALU_DEP_1)
	v_add3_u32 v42, v36, v37, v34
	s_cbranch_vccnz .LBB226_98
; %bb.90:
	s_delay_alu instid0(VALU_DEP_2) | instskip(NEXT) | instid1(VALU_DEP_2)
	v_add_co_u32 v36, vcc_lo, s8, v35
	v_add_co_ci_u32_e32 v37, vcc_lo, s9, v42, vcc_lo
	v_add_co_u32 v33, vcc_lo, s8, v33
	v_add_co_ci_u32_e32 v34, vcc_lo, s9, v43, vcc_lo
	s_mov_b32 s29, -1
	s_clause 0x1
	global_load_u8 v38, v[36:37], off
	global_load_u8 v39, v[33:34], off
	s_mov_b32 s31, exec_lo
	s_waitcnt vmcnt(0)
	v_cmpx_eq_u16_e64 v38, v39
	s_cbranch_execz .LBB226_97
; %bb.91:
	s_mov_b64 s[2:3], 1
	s_mov_b32 s29, 0
                                        ; implicit-def: $sgpr33
	s_set_inst_prefetch_distance 0x1
	s_branch .LBB226_94
	.p2align	6
.LBB226_92:                             ;   in Loop: Header=BB226_94 Depth=1
	v_add_co_u32 v38, vcc_lo, v36, s2
	v_add_co_ci_u32_e32 v39, vcc_lo, s3, v37, vcc_lo
	v_add_co_u32 v43, vcc_lo, v33, s2
	v_add_co_ci_u32_e32 v44, vcc_lo, s3, v34, vcc_lo
	s_add_u32 s6, s2, 1
	s_clause 0x1
	global_load_u8 v38, v[38:39], off
	global_load_u8 v39, v[43:44], off
	s_addc_u32 s7, s3, 0
	s_and_not1_b32 s33, s33, exec_lo
	s_waitcnt vmcnt(0)
	v_cmp_ne_u16_e32 vcc_lo, v38, v39
	s_and_b32 s34, vcc_lo, exec_lo
	s_delay_alu instid0(SALU_CYCLE_1)
	s_or_b32 s33, s33, s34
.LBB226_93:                             ;   in Loop: Header=BB226_94 Depth=1
	v_dual_mov_b32 v39, s3 :: v_dual_mov_b32 v38, s2
	s_and_b32 s34, exec_lo, s33
	s_mov_b64 s[2:3], s[6:7]
	s_or_b32 s29, s34, s29
	s_delay_alu instid0(SALU_CYCLE_1)
	s_and_not1_b32 exec_lo, exec_lo, s29
	s_cbranch_execz .LBB226_96
.LBB226_94:                             ; =>This Inner Loop Header: Depth=1
	s_or_b32 s33, s33, exec_lo
	s_cmp_eq_u64 s[22:23], s[2:3]
	s_cbranch_scc0 .LBB226_92
; %bb.95:                               ;   in Loop: Header=BB226_94 Depth=1
	s_mov_b64 s[2:3], s[22:23]
                                        ; implicit-def: $sgpr6_sgpr7
	s_branch .LBB226_93
.LBB226_96:
	s_set_inst_prefetch_distance 0x2
	s_or_b32 exec_lo, exec_lo, s29
	v_cmp_gt_i64_e32 vcc_lo, s[22:23], v[38:39]
	s_or_not1_b32 s29, vcc_lo, exec_lo
.LBB226_97:
	s_or_b32 exec_lo, exec_lo, s31
.LBB226_98:
	v_mul_lo_u32 v36, v30, s22
	v_mul_lo_u32 v37, v29, s23
	v_mad_u64_u32 v[33:34], null, v29, s22, 0
	s_and_not1_b32 vcc_lo, exec_lo, s19
	s_mov_b32 s2, 0
	s_delay_alu instid0(VALU_DEP_1)
	v_add3_u32 v41, v34, v37, v36
	s_cbranch_vccnz .LBB226_107
; %bb.99:
	s_delay_alu instid0(VALU_DEP_2) | instskip(NEXT) | instid1(VALU_DEP_2)
	v_add_co_u32 v36, vcc_lo, s8, v33
	v_add_co_ci_u32_e32 v37, vcc_lo, s9, v41, vcc_lo
	v_add_co_u32 v34, vcc_lo, s8, v35
	v_add_co_ci_u32_e32 v35, vcc_lo, s9, v42, vcc_lo
	s_mov_b32 s2, -1
	s_clause 0x1
	global_load_u8 v38, v[36:37], off
	global_load_u8 v39, v[34:35], off
	s_mov_b32 s31, exec_lo
	s_waitcnt vmcnt(0)
	v_cmpx_eq_u16_e64 v38, v39
	s_cbranch_execz .LBB226_106
; %bb.100:
	s_mov_b64 s[2:3], 1
	s_mov_b32 s33, 0
                                        ; implicit-def: $sgpr34
	s_set_inst_prefetch_distance 0x1
	s_branch .LBB226_103
	.p2align	6
.LBB226_101:                            ;   in Loop: Header=BB226_103 Depth=1
	v_add_co_u32 v38, vcc_lo, v36, s2
	v_add_co_ci_u32_e32 v39, vcc_lo, s3, v37, vcc_lo
	v_add_co_u32 v42, vcc_lo, v34, s2
	v_add_co_ci_u32_e32 v43, vcc_lo, s3, v35, vcc_lo
	s_add_u32 s6, s2, 1
	s_clause 0x1
	global_load_u8 v38, v[38:39], off
	global_load_u8 v39, v[42:43], off
	s_addc_u32 s7, s3, 0
	s_and_not1_b32 s34, s34, exec_lo
	s_waitcnt vmcnt(0)
	v_cmp_ne_u16_e32 vcc_lo, v38, v39
	s_and_b32 s35, vcc_lo, exec_lo
	s_delay_alu instid0(SALU_CYCLE_1)
	s_or_b32 s34, s34, s35
.LBB226_102:                            ;   in Loop: Header=BB226_103 Depth=1
	v_dual_mov_b32 v39, s3 :: v_dual_mov_b32 v38, s2
	s_and_b32 s35, exec_lo, s34
	s_mov_b64 s[2:3], s[6:7]
	s_or_b32 s33, s35, s33
	s_delay_alu instid0(SALU_CYCLE_1)
	s_and_not1_b32 exec_lo, exec_lo, s33
	s_cbranch_execz .LBB226_105
.LBB226_103:                            ; =>This Inner Loop Header: Depth=1
	s_or_b32 s34, s34, exec_lo
	s_cmp_eq_u64 s[22:23], s[2:3]
	s_cbranch_scc0 .LBB226_101
; %bb.104:                              ;   in Loop: Header=BB226_103 Depth=1
	s_mov_b64 s[2:3], s[22:23]
                                        ; implicit-def: $sgpr6_sgpr7
	s_branch .LBB226_102
.LBB226_105:
	s_set_inst_prefetch_distance 0x2
	s_or_b32 exec_lo, exec_lo, s33
	v_cmp_gt_i64_e32 vcc_lo, s[22:23], v[38:39]
	s_or_not1_b32 s2, vcc_lo, exec_lo
.LBB226_106:
	s_or_b32 exec_lo, exec_lo, s31
.LBB226_107:
	s_waitcnt lgkmcnt(0)
	v_dual_mov_b32 v37, s5 :: v_dual_mov_b32 v36, s4
	s_mov_b32 s3, exec_lo
	s_barrier
	buffer_gl0_inv
	v_cmpx_ne_u32_e32 0, v0
	s_cbranch_execz .LBB226_109
; %bb.108:
	v_add_nc_u32_e32 v34, -8, v55
	ds_load_b64 v[36:37], v34
.LBB226_109:
	s_or_b32 exec_lo, exec_lo, s3
	v_cndmask_b32_e64 v35, 0, 1, s30
	v_cndmask_b32_e64 v39, 0, 1, s27
	;; [unrolled: 1-line block ×7, first 2 shown]
	v_lshlrev_b16 v35, 8, v35
	v_lshlrev_b16 v39, 8, v39
	;; [unrolled: 1-line block ×4, first 2 shown]
	s_mov_b32 s24, 0
	v_or_b32_e32 v34, v34, v35
	v_or_b32_e32 v35, v38, v39
	;; [unrolled: 1-line block ×3, first 2 shown]
	v_and_b32_e32 v42, 0xffff, v43
	s_and_not1_b32 vcc_lo, exec_lo, s19
	v_lshlrev_b32_e32 v43, 16, v34
	v_and_b32_e32 v44, 0xffff, v35
	v_lshlrev_b32_e32 v45, 16, v38
	s_mov_b32 s2, 0
	s_cbranch_vccnz .LBB226_118
; %bb.110:
	s_waitcnt lgkmcnt(0)
	v_mad_u64_u32 v[34:35], null, v36, s22, s[8:9]
	v_mul_lo_u32 v36, v36, s23
	v_mul_lo_u32 v37, v37, s22
	s_mov_b32 s2, -1
	s_mov_b32 s25, exec_lo
	s_delay_alu instid0(VALU_DEP_1)
	v_add3_u32 v35, v37, v35, v36
	v_add_co_u32 v36, vcc_lo, s8, v33
	v_add_co_ci_u32_e32 v37, vcc_lo, s9, v41, vcc_lo
	s_clause 0x1
	global_load_u8 v33, v[34:35], off
	global_load_u8 v38, v[36:37], off
	s_waitcnt vmcnt(0)
	v_cmpx_eq_u16_e64 v33, v38
	s_cbranch_execz .LBB226_117
; %bb.111:
	s_mov_b64 s[2:3], 1
	s_mov_b32 s26, 0
                                        ; implicit-def: $sgpr27
	s_set_inst_prefetch_distance 0x1
	s_branch .LBB226_114
	.p2align	6
.LBB226_112:                            ;   in Loop: Header=BB226_114 Depth=1
	v_add_co_u32 v38, vcc_lo, v34, s2
	v_add_co_ci_u32_e32 v39, vcc_lo, s3, v35, vcc_lo
	v_add_co_u32 v46, vcc_lo, v36, s2
	v_add_co_ci_u32_e32 v47, vcc_lo, s3, v37, vcc_lo
	s_add_u32 s6, s2, 1
	s_clause 0x1
	global_load_u8 v33, v[38:39], off
	global_load_u8 v38, v[46:47], off
	s_addc_u32 s7, s3, 0
	s_and_not1_b32 s27, s27, exec_lo
	s_waitcnt vmcnt(0)
	v_cmp_ne_u16_e32 vcc_lo, v33, v38
	s_and_b32 s29, vcc_lo, exec_lo
	s_delay_alu instid0(SALU_CYCLE_1)
	s_or_b32 s27, s27, s29
.LBB226_113:                            ;   in Loop: Header=BB226_114 Depth=1
	v_dual_mov_b32 v39, s3 :: v_dual_mov_b32 v38, s2
	s_and_b32 s29, exec_lo, s27
	s_mov_b64 s[2:3], s[6:7]
	s_or_b32 s26, s29, s26
	s_delay_alu instid0(SALU_CYCLE_1)
	s_and_not1_b32 exec_lo, exec_lo, s26
	s_cbranch_execz .LBB226_116
.LBB226_114:                            ; =>This Inner Loop Header: Depth=1
	s_or_b32 s27, s27, exec_lo
	s_cmp_eq_u64 s[22:23], s[2:3]
	s_cbranch_scc0 .LBB226_112
; %bb.115:                              ;   in Loop: Header=BB226_114 Depth=1
	s_mov_b64 s[2:3], s[22:23]
                                        ; implicit-def: $sgpr6_sgpr7
	s_branch .LBB226_113
.LBB226_116:
	s_set_inst_prefetch_distance 0x2
	s_or_b32 exec_lo, exec_lo, s26
	v_cmp_gt_i64_e32 vcc_lo, s[22:23], v[38:39]
	s_or_not1_b32 s2, vcc_lo, exec_lo
.LBB226_117:
	s_or_b32 exec_lo, exec_lo, s25
.LBB226_118:
	v_or_b32_e32 v33, v42, v43
	s_delay_alu instid0(VALU_DEP_2)
	v_or_b32_e32 v34, v44, v45
	s_and_b32 vcc_lo, exec_lo, s24
	s_cbranch_vccz .LBB226_210
.LBB226_119:
	v_or_b32_e32 v33, 7, v55
	s_mov_b32 s24, 0
	s_mov_b32 s25, 0
	s_mov_b32 s26, exec_lo
	s_delay_alu instid0(VALU_DEP_1)
	v_cmpx_gt_u32_e64 s28, v33
	s_cbranch_execz .LBB226_130
; %bb.120:
	s_and_not1_b32 vcc_lo, exec_lo, s19
	s_mov_b32 s2, 0
	s_cbranch_vccnz .LBB226_129
; %bb.121:
	v_mad_u64_u32 v[33:34], null, v17, s22, s[8:9]
	s_waitcnt lgkmcnt(0)
	v_mul_lo_u32 v37, v17, s23
	v_mul_lo_u32 v38, v18, s22
	v_mad_u64_u32 v[35:36], null, v19, s22, s[8:9]
	v_mul_lo_u32 v39, v19, s23
	v_mul_lo_u32 v41, v20, s22
	s_mov_b32 s2, -1
	s_mov_b32 s19, exec_lo
	s_delay_alu instid0(VALU_DEP_4) | instskip(NEXT) | instid1(VALU_DEP_2)
	v_add3_u32 v34, v38, v34, v37
	v_add3_u32 v36, v41, v36, v39
	s_clause 0x1
	global_load_u8 v37, v[33:34], off
	global_load_u8 v38, v[35:36], off
	s_waitcnt vmcnt(0)
	v_cmpx_eq_u16_e64 v37, v38
	s_cbranch_execz .LBB226_128
; %bb.122:
	s_mov_b64 s[2:3], 1
                                        ; implicit-def: $sgpr27
	s_set_inst_prefetch_distance 0x1
	s_branch .LBB226_125
	.p2align	6
.LBB226_123:                            ;   in Loop: Header=BB226_125 Depth=1
	v_add_co_u32 v37, vcc_lo, v33, s2
	v_add_co_ci_u32_e32 v38, vcc_lo, s3, v34, vcc_lo
	v_add_co_u32 v41, vcc_lo, v35, s2
	v_add_co_ci_u32_e32 v42, vcc_lo, s3, v36, vcc_lo
	s_add_u32 s6, s2, 1
	s_clause 0x1
	global_load_u8 v37, v[37:38], off
	global_load_u8 v38, v[41:42], off
	s_addc_u32 s7, s3, 0
	s_and_not1_b32 s27, s27, exec_lo
	s_waitcnt vmcnt(0)
	v_cmp_ne_u16_e32 vcc_lo, v37, v38
	s_and_b32 s29, vcc_lo, exec_lo
	s_delay_alu instid0(SALU_CYCLE_1)
	s_or_b32 s27, s27, s29
.LBB226_124:                            ;   in Loop: Header=BB226_125 Depth=1
	v_dual_mov_b32 v38, s3 :: v_dual_mov_b32 v37, s2
	s_and_b32 s29, exec_lo, s27
	s_mov_b64 s[2:3], s[6:7]
	s_or_b32 s25, s29, s25
	s_delay_alu instid0(SALU_CYCLE_1)
	s_and_not1_b32 exec_lo, exec_lo, s25
	s_cbranch_execz .LBB226_127
.LBB226_125:                            ; =>This Inner Loop Header: Depth=1
	s_or_b32 s27, s27, exec_lo
	s_cmp_eq_u64 s[22:23], s[2:3]
	s_cbranch_scc0 .LBB226_123
; %bb.126:                              ;   in Loop: Header=BB226_125 Depth=1
	s_mov_b64 s[2:3], s[22:23]
                                        ; implicit-def: $sgpr6_sgpr7
	s_branch .LBB226_124
.LBB226_127:
	s_set_inst_prefetch_distance 0x2
	s_or_b32 exec_lo, exec_lo, s25
	v_cmp_gt_i64_e32 vcc_lo, s[22:23], v[37:38]
	s_or_not1_b32 s2, vcc_lo, exec_lo
.LBB226_128:
	s_or_b32 exec_lo, exec_lo, s19
.LBB226_129:
	s_delay_alu instid0(SALU_CYCLE_1)
	s_and_b32 s25, s2, exec_lo
.LBB226_130:
	s_or_b32 exec_lo, exec_lo, s26
	v_or_b32_e32 v33, 6, v55
	s_mov_b32 s19, exec_lo
	s_delay_alu instid0(VALU_DEP_1)
	v_cmpx_gt_u32_e64 s28, v33
	s_cbranch_execz .LBB226_141
; %bb.131:
	v_cmp_ne_u32_e32 vcc_lo, 1, v40
	s_mov_b32 s2, 0
	s_cbranch_vccnz .LBB226_140
; %bb.132:
	v_mad_u64_u32 v[33:34], null, v23, s22, s[8:9]
	s_waitcnt lgkmcnt(0)
	v_mul_lo_u32 v37, v23, s23
	v_mul_lo_u32 v38, v24, s22
	v_mad_u64_u32 v[35:36], null, v17, s22, s[8:9]
	v_mul_lo_u32 v39, v17, s23
	v_mul_lo_u32 v41, v18, s22
	s_mov_b32 s2, -1
	s_mov_b32 s24, exec_lo
	s_delay_alu instid0(VALU_DEP_4) | instskip(NEXT) | instid1(VALU_DEP_2)
	v_add3_u32 v34, v38, v34, v37
	v_add3_u32 v36, v41, v36, v39
	s_clause 0x1
	global_load_u8 v37, v[33:34], off
	global_load_u8 v38, v[35:36], off
	s_waitcnt vmcnt(0)
	v_cmpx_eq_u16_e64 v37, v38
	s_cbranch_execz .LBB226_139
; %bb.133:
	s_mov_b64 s[2:3], 1
	s_mov_b32 s26, 0
                                        ; implicit-def: $sgpr27
	s_set_inst_prefetch_distance 0x1
	s_branch .LBB226_136
	.p2align	6
.LBB226_134:                            ;   in Loop: Header=BB226_136 Depth=1
	v_add_co_u32 v37, vcc_lo, v33, s2
	v_add_co_ci_u32_e32 v38, vcc_lo, s3, v34, vcc_lo
	v_add_co_u32 v41, vcc_lo, v35, s2
	v_add_co_ci_u32_e32 v42, vcc_lo, s3, v36, vcc_lo
	s_add_u32 s6, s2, 1
	s_clause 0x1
	global_load_u8 v37, v[37:38], off
	global_load_u8 v38, v[41:42], off
	s_addc_u32 s7, s3, 0
	s_and_not1_b32 s27, s27, exec_lo
	s_waitcnt vmcnt(0)
	v_cmp_ne_u16_e32 vcc_lo, v37, v38
	s_and_b32 s29, vcc_lo, exec_lo
	s_delay_alu instid0(SALU_CYCLE_1)
	s_or_b32 s27, s27, s29
.LBB226_135:                            ;   in Loop: Header=BB226_136 Depth=1
	v_dual_mov_b32 v38, s3 :: v_dual_mov_b32 v37, s2
	s_and_b32 s29, exec_lo, s27
	s_mov_b64 s[2:3], s[6:7]
	s_or_b32 s26, s29, s26
	s_delay_alu instid0(SALU_CYCLE_1)
	s_and_not1_b32 exec_lo, exec_lo, s26
	s_cbranch_execz .LBB226_138
.LBB226_136:                            ; =>This Inner Loop Header: Depth=1
	s_or_b32 s27, s27, exec_lo
	s_cmp_eq_u64 s[22:23], s[2:3]
	s_cbranch_scc0 .LBB226_134
; %bb.137:                              ;   in Loop: Header=BB226_136 Depth=1
	s_mov_b64 s[2:3], s[22:23]
                                        ; implicit-def: $sgpr6_sgpr7
	s_branch .LBB226_135
.LBB226_138:
	s_set_inst_prefetch_distance 0x2
	s_or_b32 exec_lo, exec_lo, s26
	v_cmp_gt_i64_e32 vcc_lo, s[22:23], v[37:38]
	s_or_not1_b32 s2, vcc_lo, exec_lo
.LBB226_139:
	s_or_b32 exec_lo, exec_lo, s24
.LBB226_140:
	s_delay_alu instid0(SALU_CYCLE_1)
	s_and_b32 s24, s2, exec_lo
.LBB226_141:
	s_or_b32 exec_lo, exec_lo, s19
	v_or_b32_e32 v33, 5, v55
	s_mov_b32 s26, 0
	s_mov_b32 s19, 0
	s_mov_b32 s27, exec_lo
	s_delay_alu instid0(VALU_DEP_1)
	v_cmpx_gt_u32_e64 s28, v33
	s_cbranch_execz .LBB226_152
; %bb.142:
	v_cmp_ne_u32_e32 vcc_lo, 1, v40
	s_mov_b32 s2, 0
	s_cbranch_vccnz .LBB226_151
; %bb.143:
	v_mad_u64_u32 v[33:34], null, v21, s22, s[8:9]
	s_waitcnt lgkmcnt(0)
	v_mul_lo_u32 v37, v21, s23
	v_mul_lo_u32 v38, v22, s22
	v_mad_u64_u32 v[35:36], null, v23, s22, s[8:9]
	v_mul_lo_u32 v39, v23, s23
	v_mul_lo_u32 v41, v24, s22
	s_mov_b32 s2, -1
	s_mov_b32 s19, exec_lo
	s_delay_alu instid0(VALU_DEP_4) | instskip(NEXT) | instid1(VALU_DEP_2)
	v_add3_u32 v34, v38, v34, v37
	v_add3_u32 v36, v41, v36, v39
	s_clause 0x1
	global_load_u8 v37, v[33:34], off
	global_load_u8 v38, v[35:36], off
	s_waitcnt vmcnt(0)
	v_cmpx_eq_u16_e64 v37, v38
	s_cbranch_execz .LBB226_150
; %bb.144:
	s_mov_b64 s[2:3], 1
	s_mov_b32 s29, 0
                                        ; implicit-def: $sgpr30
	s_set_inst_prefetch_distance 0x1
	s_branch .LBB226_147
	.p2align	6
.LBB226_145:                            ;   in Loop: Header=BB226_147 Depth=1
	v_add_co_u32 v37, vcc_lo, v33, s2
	v_add_co_ci_u32_e32 v38, vcc_lo, s3, v34, vcc_lo
	v_add_co_u32 v41, vcc_lo, v35, s2
	v_add_co_ci_u32_e32 v42, vcc_lo, s3, v36, vcc_lo
	s_add_u32 s6, s2, 1
	s_clause 0x1
	global_load_u8 v37, v[37:38], off
	global_load_u8 v38, v[41:42], off
	s_addc_u32 s7, s3, 0
	s_and_not1_b32 s30, s30, exec_lo
	s_waitcnt vmcnt(0)
	v_cmp_ne_u16_e32 vcc_lo, v37, v38
	s_and_b32 s31, vcc_lo, exec_lo
	s_delay_alu instid0(SALU_CYCLE_1)
	s_or_b32 s30, s30, s31
.LBB226_146:                            ;   in Loop: Header=BB226_147 Depth=1
	v_dual_mov_b32 v38, s3 :: v_dual_mov_b32 v37, s2
	s_and_b32 s31, exec_lo, s30
	s_mov_b64 s[2:3], s[6:7]
	s_or_b32 s29, s31, s29
	s_delay_alu instid0(SALU_CYCLE_1)
	s_and_not1_b32 exec_lo, exec_lo, s29
	s_cbranch_execz .LBB226_149
.LBB226_147:                            ; =>This Inner Loop Header: Depth=1
	s_or_b32 s30, s30, exec_lo
	s_cmp_eq_u64 s[22:23], s[2:3]
	s_cbranch_scc0 .LBB226_145
; %bb.148:                              ;   in Loop: Header=BB226_147 Depth=1
	s_mov_b64 s[2:3], s[22:23]
                                        ; implicit-def: $sgpr6_sgpr7
	s_branch .LBB226_146
.LBB226_149:
	s_set_inst_prefetch_distance 0x2
	s_or_b32 exec_lo, exec_lo, s29
	v_cmp_gt_i64_e32 vcc_lo, s[22:23], v[37:38]
	s_or_not1_b32 s2, vcc_lo, exec_lo
.LBB226_150:
	s_or_b32 exec_lo, exec_lo, s19
.LBB226_151:
	s_delay_alu instid0(SALU_CYCLE_1)
	s_and_b32 s19, s2, exec_lo
.LBB226_152:
	s_or_b32 exec_lo, exec_lo, s27
	v_or_b32_e32 v33, 4, v55
	s_mov_b32 s27, exec_lo
	s_delay_alu instid0(VALU_DEP_1)
	v_cmpx_gt_u32_e64 s28, v33
	s_cbranch_execz .LBB226_163
; %bb.153:
	v_cmp_ne_u32_e32 vcc_lo, 1, v40
	s_mov_b32 s2, 0
	s_cbranch_vccnz .LBB226_162
; %bb.154:
	v_mad_u64_u32 v[33:34], null, v27, s22, s[8:9]
	s_waitcnt lgkmcnt(0)
	v_mul_lo_u32 v37, v27, s23
	v_mul_lo_u32 v38, v28, s22
	v_mad_u64_u32 v[35:36], null, v21, s22, s[8:9]
	v_mul_lo_u32 v39, v21, s23
	v_mul_lo_u32 v41, v22, s22
	s_mov_b32 s2, -1
	s_mov_b32 s26, exec_lo
	s_delay_alu instid0(VALU_DEP_4) | instskip(NEXT) | instid1(VALU_DEP_2)
	v_add3_u32 v34, v38, v34, v37
	v_add3_u32 v36, v41, v36, v39
	s_clause 0x1
	global_load_u8 v37, v[33:34], off
	global_load_u8 v38, v[35:36], off
	s_waitcnt vmcnt(0)
	v_cmpx_eq_u16_e64 v37, v38
	s_cbranch_execz .LBB226_161
; %bb.155:
	s_mov_b64 s[2:3], 1
	s_mov_b32 s29, 0
                                        ; implicit-def: $sgpr30
	s_set_inst_prefetch_distance 0x1
	s_branch .LBB226_158
	.p2align	6
.LBB226_156:                            ;   in Loop: Header=BB226_158 Depth=1
	v_add_co_u32 v37, vcc_lo, v33, s2
	v_add_co_ci_u32_e32 v38, vcc_lo, s3, v34, vcc_lo
	v_add_co_u32 v41, vcc_lo, v35, s2
	v_add_co_ci_u32_e32 v42, vcc_lo, s3, v36, vcc_lo
	s_add_u32 s6, s2, 1
	s_clause 0x1
	global_load_u8 v37, v[37:38], off
	global_load_u8 v38, v[41:42], off
	s_addc_u32 s7, s3, 0
	s_and_not1_b32 s30, s30, exec_lo
	s_waitcnt vmcnt(0)
	v_cmp_ne_u16_e32 vcc_lo, v37, v38
	s_and_b32 s31, vcc_lo, exec_lo
	s_delay_alu instid0(SALU_CYCLE_1)
	s_or_b32 s30, s30, s31
.LBB226_157:                            ;   in Loop: Header=BB226_158 Depth=1
	v_dual_mov_b32 v38, s3 :: v_dual_mov_b32 v37, s2
	s_and_b32 s31, exec_lo, s30
	s_mov_b64 s[2:3], s[6:7]
	s_or_b32 s29, s31, s29
	s_delay_alu instid0(SALU_CYCLE_1)
	s_and_not1_b32 exec_lo, exec_lo, s29
	s_cbranch_execz .LBB226_160
.LBB226_158:                            ; =>This Inner Loop Header: Depth=1
	s_or_b32 s30, s30, exec_lo
	s_cmp_eq_u64 s[22:23], s[2:3]
	s_cbranch_scc0 .LBB226_156
; %bb.159:                              ;   in Loop: Header=BB226_158 Depth=1
	s_mov_b64 s[2:3], s[22:23]
                                        ; implicit-def: $sgpr6_sgpr7
	s_branch .LBB226_157
.LBB226_160:
	s_set_inst_prefetch_distance 0x2
	s_or_b32 exec_lo, exec_lo, s29
	v_cmp_gt_i64_e32 vcc_lo, s[22:23], v[37:38]
	s_or_not1_b32 s2, vcc_lo, exec_lo
.LBB226_161:
	s_or_b32 exec_lo, exec_lo, s26
.LBB226_162:
	s_delay_alu instid0(SALU_CYCLE_1)
	s_and_b32 s26, s2, exec_lo
.LBB226_163:
	s_or_b32 exec_lo, exec_lo, s27
	v_or_b32_e32 v33, 3, v55
	s_mov_b32 s29, 0
	s_mov_b32 s27, 0
	s_mov_b32 s30, exec_lo
	s_delay_alu instid0(VALU_DEP_1)
	v_cmpx_gt_u32_e64 s28, v33
	s_cbranch_execz .LBB226_174
; %bb.164:
	v_cmp_ne_u32_e32 vcc_lo, 1, v40
	s_mov_b32 s2, 0
	s_cbranch_vccnz .LBB226_173
; %bb.165:
	v_mad_u64_u32 v[33:34], null, v25, s22, s[8:9]
	s_waitcnt lgkmcnt(0)
	v_mul_lo_u32 v37, v25, s23
	v_mul_lo_u32 v38, v26, s22
	v_mad_u64_u32 v[35:36], null, v27, s22, s[8:9]
	v_mul_lo_u32 v39, v27, s23
	v_mul_lo_u32 v41, v28, s22
	s_mov_b32 s2, -1
	s_mov_b32 s27, exec_lo
	s_delay_alu instid0(VALU_DEP_4) | instskip(NEXT) | instid1(VALU_DEP_2)
	v_add3_u32 v34, v38, v34, v37
	v_add3_u32 v36, v41, v36, v39
	s_clause 0x1
	global_load_u8 v37, v[33:34], off
	global_load_u8 v38, v[35:36], off
	s_waitcnt vmcnt(0)
	v_cmpx_eq_u16_e64 v37, v38
	s_cbranch_execz .LBB226_172
; %bb.166:
	s_mov_b64 s[2:3], 1
	s_mov_b32 s31, 0
                                        ; implicit-def: $sgpr33
	s_set_inst_prefetch_distance 0x1
	s_branch .LBB226_169
	.p2align	6
.LBB226_167:                            ;   in Loop: Header=BB226_169 Depth=1
	v_add_co_u32 v37, vcc_lo, v33, s2
	v_add_co_ci_u32_e32 v38, vcc_lo, s3, v34, vcc_lo
	v_add_co_u32 v41, vcc_lo, v35, s2
	v_add_co_ci_u32_e32 v42, vcc_lo, s3, v36, vcc_lo
	s_add_u32 s6, s2, 1
	s_clause 0x1
	global_load_u8 v37, v[37:38], off
	global_load_u8 v38, v[41:42], off
	s_addc_u32 s7, s3, 0
	s_and_not1_b32 s33, s33, exec_lo
	s_waitcnt vmcnt(0)
	v_cmp_ne_u16_e32 vcc_lo, v37, v38
	s_and_b32 s34, vcc_lo, exec_lo
	s_delay_alu instid0(SALU_CYCLE_1)
	s_or_b32 s33, s33, s34
.LBB226_168:                            ;   in Loop: Header=BB226_169 Depth=1
	v_dual_mov_b32 v38, s3 :: v_dual_mov_b32 v37, s2
	s_and_b32 s34, exec_lo, s33
	s_mov_b64 s[2:3], s[6:7]
	s_or_b32 s31, s34, s31
	s_delay_alu instid0(SALU_CYCLE_1)
	s_and_not1_b32 exec_lo, exec_lo, s31
	s_cbranch_execz .LBB226_171
.LBB226_169:                            ; =>This Inner Loop Header: Depth=1
	s_or_b32 s33, s33, exec_lo
	s_cmp_eq_u64 s[22:23], s[2:3]
	s_cbranch_scc0 .LBB226_167
; %bb.170:                              ;   in Loop: Header=BB226_169 Depth=1
	s_mov_b64 s[2:3], s[22:23]
                                        ; implicit-def: $sgpr6_sgpr7
	s_branch .LBB226_168
.LBB226_171:
	s_set_inst_prefetch_distance 0x2
	s_or_b32 exec_lo, exec_lo, s31
	v_cmp_gt_i64_e32 vcc_lo, s[22:23], v[37:38]
	s_or_not1_b32 s2, vcc_lo, exec_lo
.LBB226_172:
	s_or_b32 exec_lo, exec_lo, s27
.LBB226_173:
	s_delay_alu instid0(SALU_CYCLE_1)
	s_and_b32 s27, s2, exec_lo
.LBB226_174:
	s_or_b32 exec_lo, exec_lo, s30
	v_or_b32_e32 v33, 2, v55
	s_mov_b32 s30, exec_lo
	s_delay_alu instid0(VALU_DEP_1)
	v_cmpx_gt_u32_e64 s28, v33
	s_cbranch_execz .LBB226_185
; %bb.175:
	v_cmp_ne_u32_e32 vcc_lo, 1, v40
	s_mov_b32 s2, 0
	s_cbranch_vccnz .LBB226_184
; %bb.176:
	v_mad_u64_u32 v[33:34], null, v31, s22, s[8:9]
	s_waitcnt lgkmcnt(0)
	v_mul_lo_u32 v37, v31, s23
	v_mul_lo_u32 v38, v32, s22
	v_mad_u64_u32 v[35:36], null, v25, s22, s[8:9]
	v_mul_lo_u32 v39, v25, s23
	v_mul_lo_u32 v41, v26, s22
	s_mov_b32 s2, -1
	s_mov_b32 s29, exec_lo
	s_delay_alu instid0(VALU_DEP_4) | instskip(NEXT) | instid1(VALU_DEP_2)
	v_add3_u32 v34, v38, v34, v37
	v_add3_u32 v36, v41, v36, v39
	s_clause 0x1
	global_load_u8 v37, v[33:34], off
	global_load_u8 v38, v[35:36], off
	s_waitcnt vmcnt(0)
	v_cmpx_eq_u16_e64 v37, v38
	s_cbranch_execz .LBB226_183
; %bb.177:
	s_mov_b64 s[2:3], 1
	s_mov_b32 s31, 0
                                        ; implicit-def: $sgpr33
	s_set_inst_prefetch_distance 0x1
	s_branch .LBB226_180
	.p2align	6
.LBB226_178:                            ;   in Loop: Header=BB226_180 Depth=1
	v_add_co_u32 v37, vcc_lo, v33, s2
	v_add_co_ci_u32_e32 v38, vcc_lo, s3, v34, vcc_lo
	v_add_co_u32 v41, vcc_lo, v35, s2
	v_add_co_ci_u32_e32 v42, vcc_lo, s3, v36, vcc_lo
	s_add_u32 s6, s2, 1
	s_clause 0x1
	global_load_u8 v37, v[37:38], off
	global_load_u8 v38, v[41:42], off
	s_addc_u32 s7, s3, 0
	s_and_not1_b32 s33, s33, exec_lo
	s_waitcnt vmcnt(0)
	v_cmp_ne_u16_e32 vcc_lo, v37, v38
	s_and_b32 s34, vcc_lo, exec_lo
	s_delay_alu instid0(SALU_CYCLE_1)
	s_or_b32 s33, s33, s34
.LBB226_179:                            ;   in Loop: Header=BB226_180 Depth=1
	v_dual_mov_b32 v38, s3 :: v_dual_mov_b32 v37, s2
	s_and_b32 s34, exec_lo, s33
	s_mov_b64 s[2:3], s[6:7]
	s_or_b32 s31, s34, s31
	s_delay_alu instid0(SALU_CYCLE_1)
	s_and_not1_b32 exec_lo, exec_lo, s31
	s_cbranch_execz .LBB226_182
.LBB226_180:                            ; =>This Inner Loop Header: Depth=1
	s_or_b32 s33, s33, exec_lo
	s_cmp_eq_u64 s[22:23], s[2:3]
	s_cbranch_scc0 .LBB226_178
; %bb.181:                              ;   in Loop: Header=BB226_180 Depth=1
	s_mov_b64 s[2:3], s[22:23]
                                        ; implicit-def: $sgpr6_sgpr7
	s_branch .LBB226_179
.LBB226_182:
	s_set_inst_prefetch_distance 0x2
	s_or_b32 exec_lo, exec_lo, s31
	v_cmp_gt_i64_e32 vcc_lo, s[22:23], v[37:38]
	s_or_not1_b32 s2, vcc_lo, exec_lo
.LBB226_183:
	s_or_b32 exec_lo, exec_lo, s29
.LBB226_184:
	s_delay_alu instid0(SALU_CYCLE_1)
	s_and_b32 s29, s2, exec_lo
.LBB226_185:
	s_or_b32 exec_lo, exec_lo, s30
	v_or_b32_e32 v33, 1, v55
	s_mov_b32 s2, 0
	s_mov_b32 s30, exec_lo
	s_delay_alu instid0(VALU_DEP_1)
	v_cmpx_gt_u32_e64 s28, v33
	s_cbranch_execz .LBB226_196
; %bb.186:
	v_cmp_ne_u32_e32 vcc_lo, 1, v40
	s_cbranch_vccnz .LBB226_195
; %bb.187:
	v_mad_u64_u32 v[33:34], null, v29, s22, s[8:9]
	s_waitcnt lgkmcnt(0)
	v_mul_lo_u32 v37, v29, s23
	v_mul_lo_u32 v38, v30, s22
	v_mad_u64_u32 v[35:36], null, v31, s22, s[8:9]
	v_mul_lo_u32 v39, v31, s23
	v_mul_lo_u32 v41, v32, s22
	s_mov_b32 s2, -1
	s_mov_b32 s31, exec_lo
	s_delay_alu instid0(VALU_DEP_4) | instskip(NEXT) | instid1(VALU_DEP_2)
	v_add3_u32 v34, v38, v34, v37
	v_add3_u32 v36, v41, v36, v39
	s_clause 0x1
	global_load_u8 v37, v[33:34], off
	global_load_u8 v38, v[35:36], off
	s_waitcnt vmcnt(0)
	v_cmpx_eq_u16_e64 v37, v38
	s_cbranch_execz .LBB226_194
; %bb.188:
	s_mov_b64 s[2:3], 1
	s_mov_b32 s33, 0
                                        ; implicit-def: $sgpr34
	s_set_inst_prefetch_distance 0x1
	s_branch .LBB226_191
	.p2align	6
.LBB226_189:                            ;   in Loop: Header=BB226_191 Depth=1
	v_add_co_u32 v37, vcc_lo, v33, s2
	v_add_co_ci_u32_e32 v38, vcc_lo, s3, v34, vcc_lo
	v_add_co_u32 v41, vcc_lo, v35, s2
	v_add_co_ci_u32_e32 v42, vcc_lo, s3, v36, vcc_lo
	s_add_u32 s6, s2, 1
	s_clause 0x1
	global_load_u8 v37, v[37:38], off
	global_load_u8 v38, v[41:42], off
	s_addc_u32 s7, s3, 0
	s_and_not1_b32 s34, s34, exec_lo
	s_waitcnt vmcnt(0)
	v_cmp_ne_u16_e32 vcc_lo, v37, v38
	s_and_b32 s35, vcc_lo, exec_lo
	s_delay_alu instid0(SALU_CYCLE_1)
	s_or_b32 s34, s34, s35
.LBB226_190:                            ;   in Loop: Header=BB226_191 Depth=1
	v_dual_mov_b32 v38, s3 :: v_dual_mov_b32 v37, s2
	s_and_b32 s35, exec_lo, s34
	s_mov_b64 s[2:3], s[6:7]
	s_or_b32 s33, s35, s33
	s_delay_alu instid0(SALU_CYCLE_1)
	s_and_not1_b32 exec_lo, exec_lo, s33
	s_cbranch_execz .LBB226_193
.LBB226_191:                            ; =>This Inner Loop Header: Depth=1
	s_or_b32 s34, s34, exec_lo
	s_cmp_eq_u64 s[22:23], s[2:3]
	s_cbranch_scc0 .LBB226_189
; %bb.192:                              ;   in Loop: Header=BB226_191 Depth=1
	s_mov_b64 s[2:3], s[22:23]
                                        ; implicit-def: $sgpr6_sgpr7
	s_branch .LBB226_190
.LBB226_193:
	s_set_inst_prefetch_distance 0x2
	s_or_b32 exec_lo, exec_lo, s33
	v_cmp_gt_i64_e32 vcc_lo, s[22:23], v[37:38]
	s_or_not1_b32 s2, vcc_lo, exec_lo
.LBB226_194:
	s_or_b32 exec_lo, exec_lo, s31
.LBB226_195:
	s_delay_alu instid0(SALU_CYCLE_1)
	s_and_b32 s2, s2, exec_lo
.LBB226_196:
	s_or_b32 exec_lo, exec_lo, s30
	s_waitcnt lgkmcnt(0)
	v_dual_mov_b32 v36, s5 :: v_dual_mov_b32 v35, s4
	s_mov_b32 s3, exec_lo
	s_barrier
	buffer_gl0_inv
	v_cmpx_ne_u32_e32 0, v0
	s_cbranch_execz .LBB226_198
; %bb.197:
	v_add_nc_u32_e32 v33, -8, v55
	ds_load_b64 v[35:36], v33
.LBB226_198:
	s_or_b32 exec_lo, exec_lo, s3
	v_cndmask_b32_e64 v34, 0, 1, s27
	v_cndmask_b32_e64 v38, 0, 1, s19
	;; [unrolled: 1-line block ×7, first 2 shown]
	v_lshlrev_b16 v34, 8, v34
	v_lshlrev_b16 v38, 8, v38
	v_lshlrev_b16 v39, 8, v39
	s_mov_b32 s2, 0
	v_lshlrev_b16 v42, 8, v42
	v_or_b32_e32 v33, v33, v34
	v_or_b32_e32 v34, v37, v38
	;; [unrolled: 1-line block ×3, first 2 shown]
	s_mov_b32 s6, exec_lo
	v_and_b32_e32 v39, 0xffff, v42
	v_lshlrev_b32_e32 v41, 16, v33
	v_and_b32_e32 v42, 0xffff, v34
	v_lshlrev_b32_e32 v43, 16, v37
	v_cmpx_gt_u32_e64 s28, v55
	s_cbranch_execz .LBB226_209
; %bb.199:
	v_cmp_ne_u32_e32 vcc_lo, 1, v40
	s_cbranch_vccnz .LBB226_208
; %bb.200:
	s_waitcnt lgkmcnt(0)
	v_mad_u64_u32 v[33:34], null, v35, s22, s[8:9]
	v_mul_lo_u32 v37, v35, s23
	v_mul_lo_u32 v38, v36, s22
	v_mad_u64_u32 v[35:36], null, v29, s22, s[8:9]
	v_mul_lo_u32 v40, v29, s23
	v_mul_lo_u32 v44, v30, s22
	s_mov_b32 s2, -1
	s_mov_b32 s7, exec_lo
	s_delay_alu instid0(VALU_DEP_4) | instskip(NEXT) | instid1(VALU_DEP_2)
	v_add3_u32 v34, v38, v34, v37
	v_add3_u32 v36, v44, v36, v40
	s_clause 0x1
	global_load_u8 v37, v[33:34], off
	global_load_u8 v38, v[35:36], off
	s_waitcnt vmcnt(0)
	v_cmpx_eq_u16_e64 v37, v38
	s_cbranch_execz .LBB226_207
; %bb.201:
	s_mov_b64 s[2:3], 1
	s_mov_b32 s19, 0
                                        ; implicit-def: $sgpr24
	s_set_inst_prefetch_distance 0x1
	s_branch .LBB226_204
	.p2align	6
.LBB226_202:                            ;   in Loop: Header=BB226_204 Depth=1
	v_add_co_u32 v37, vcc_lo, v33, s2
	v_add_co_ci_u32_e32 v38, vcc_lo, s3, v34, vcc_lo
	v_add_co_u32 v44, vcc_lo, v35, s2
	v_add_co_ci_u32_e32 v45, vcc_lo, s3, v36, vcc_lo
	s_add_u32 s4, s2, 1
	s_clause 0x1
	global_load_u8 v37, v[37:38], off
	global_load_u8 v38, v[44:45], off
	s_addc_u32 s5, s3, 0
	s_and_not1_b32 s24, s24, exec_lo
	s_waitcnt vmcnt(0)
	v_cmp_ne_u16_e32 vcc_lo, v37, v38
	s_and_b32 s25, vcc_lo, exec_lo
	s_delay_alu instid0(SALU_CYCLE_1)
	s_or_b32 s24, s24, s25
.LBB226_203:                            ;   in Loop: Header=BB226_204 Depth=1
	v_dual_mov_b32 v38, s3 :: v_dual_mov_b32 v37, s2
	s_and_b32 s25, exec_lo, s24
	s_mov_b64 s[2:3], s[4:5]
	s_or_b32 s19, s25, s19
	s_delay_alu instid0(SALU_CYCLE_1)
	s_and_not1_b32 exec_lo, exec_lo, s19
	s_cbranch_execz .LBB226_206
.LBB226_204:                            ; =>This Inner Loop Header: Depth=1
	s_or_b32 s24, s24, exec_lo
	s_cmp_eq_u64 s[22:23], s[2:3]
	s_cbranch_scc0 .LBB226_202
; %bb.205:                              ;   in Loop: Header=BB226_204 Depth=1
	s_mov_b64 s[2:3], s[22:23]
                                        ; implicit-def: $sgpr4_sgpr5
	s_branch .LBB226_203
.LBB226_206:
	s_set_inst_prefetch_distance 0x2
	s_or_b32 exec_lo, exec_lo, s19
	v_cmp_gt_i64_e32 vcc_lo, s[22:23], v[37:38]
	s_or_not1_b32 s2, vcc_lo, exec_lo
.LBB226_207:
	s_or_b32 exec_lo, exec_lo, s7
.LBB226_208:
	s_delay_alu instid0(SALU_CYCLE_1)
	s_and_b32 s2, s2, exec_lo
.LBB226_209:
	s_or_b32 exec_lo, exec_lo, s6
	v_or_b32_e32 v33, v39, v41
	v_or_b32_e32 v34, v42, v43
.LBB226_210:
	s_mov_b32 s6, -1
	s_cbranch_execnz .LBB226_379
.LBB226_211:
	v_cmp_gt_i64_e64 s7, s[22:23], 0
	s_and_b32 vcc_lo, exec_lo, s20
	ds_store_b64 v55, v[19:20]
	s_cbranch_vccz .LBB226_219
; %bb.212:
	s_waitcnt lgkmcnt(0)
	v_mul_lo_u32 v35, v18, s22
	v_mul_lo_u32 v36, v17, s23
	v_mad_u64_u32 v[33:34], null, v17, s22, 0
	s_mov_b32 s19, 0
	s_and_not1_b32 vcc_lo, exec_lo, s7
	s_mov_b32 s24, 0
	s_delay_alu instid0(VALU_DEP_1)
	v_add3_u32 v40, v34, v36, v35
	s_cbranch_vccnz .LBB226_222
; %bb.213:
	v_mad_u64_u32 v[34:35], null, v19, s22, s[8:9]
	v_mul_lo_u32 v38, v19, s23
	v_mul_lo_u32 v39, v20, s22
	v_add_co_u32 v36, vcc_lo, s8, v33
	v_add_co_ci_u32_e32 v37, vcc_lo, s9, v40, vcc_lo
	s_mov_b32 s24, -1
	s_mov_b32 s25, exec_lo
	s_delay_alu instid0(VALU_DEP_3)
	v_add3_u32 v35, v39, v35, v38
	s_clause 0x1
	global_load_u8 v38, v[36:37], off
	global_load_u8 v39, v[34:35], off
	s_waitcnt vmcnt(0)
	v_cmpx_eq_u16_e64 v38, v39
	s_cbranch_execz .LBB226_221
; %bb.214:
	s_mov_b64 s[2:3], 1
	s_mov_b32 s24, 0
                                        ; implicit-def: $sgpr26
	s_set_inst_prefetch_distance 0x1
	s_branch .LBB226_217
	.p2align	6
.LBB226_215:                            ;   in Loop: Header=BB226_217 Depth=1
	v_add_co_u32 v38, vcc_lo, v36, s2
	v_add_co_ci_u32_e32 v39, vcc_lo, s3, v37, vcc_lo
	v_add_co_u32 v41, vcc_lo, v34, s2
	v_add_co_ci_u32_e32 v42, vcc_lo, s3, v35, vcc_lo
	s_add_u32 s4, s2, 1
	s_clause 0x1
	global_load_u8 v38, v[38:39], off
	global_load_u8 v39, v[41:42], off
	s_addc_u32 s5, s3, 0
	s_and_not1_b32 s26, s26, exec_lo
	s_waitcnt vmcnt(0)
	v_cmp_ne_u16_e32 vcc_lo, v38, v39
	s_and_b32 s27, vcc_lo, exec_lo
	s_delay_alu instid0(SALU_CYCLE_1)
	s_or_b32 s26, s26, s27
.LBB226_216:                            ;   in Loop: Header=BB226_217 Depth=1
	v_dual_mov_b32 v39, s3 :: v_dual_mov_b32 v38, s2
	s_and_b32 s27, exec_lo, s26
	s_mov_b64 s[2:3], s[4:5]
	s_or_b32 s24, s27, s24
	s_delay_alu instid0(SALU_CYCLE_1)
	s_and_not1_b32 exec_lo, exec_lo, s24
	s_cbranch_execz .LBB226_220
.LBB226_217:                            ; =>This Inner Loop Header: Depth=1
	s_or_b32 s26, s26, exec_lo
	s_cmp_eq_u64 s[22:23], s[2:3]
	s_cbranch_scc0 .LBB226_215
; %bb.218:                              ;   in Loop: Header=BB226_217 Depth=1
	s_mov_b64 s[2:3], s[22:23]
                                        ; implicit-def: $sgpr4_sgpr5
	s_branch .LBB226_216
.LBB226_219:
                                        ; implicit-def: $sgpr2
                                        ; implicit-def: $vgpr34
	s_cbranch_execnz .LBB226_288
	s_branch .LBB226_379
.LBB226_220:
	s_set_inst_prefetch_distance 0x2
	s_or_b32 exec_lo, exec_lo, s24
	v_cmp_gt_i64_e32 vcc_lo, s[22:23], v[38:39]
	s_or_not1_b32 s24, vcc_lo, exec_lo
.LBB226_221:
	s_or_b32 exec_lo, exec_lo, s25
.LBB226_222:
	v_mul_lo_u32 v36, v24, s22
	v_mul_lo_u32 v37, v23, s23
	v_mad_u64_u32 v[34:35], null, v23, s22, 0
	s_and_not1_b32 vcc_lo, exec_lo, s7
	s_delay_alu instid0(VALU_DEP_1)
	v_add3_u32 v41, v35, v37, v36
	s_cbranch_vccnz .LBB226_231
; %bb.223:
	s_delay_alu instid0(VALU_DEP_2) | instskip(NEXT) | instid1(VALU_DEP_2)
	v_add_co_u32 v35, vcc_lo, s8, v34
	v_add_co_ci_u32_e32 v36, vcc_lo, s9, v41, vcc_lo
	v_add_co_u32 v37, vcc_lo, s8, v33
	v_add_co_ci_u32_e32 v38, vcc_lo, s9, v40, vcc_lo
	s_mov_b32 s19, -1
	s_clause 0x1
	global_load_u8 v33, v[35:36], off
	global_load_u8 v39, v[37:38], off
	s_mov_b32 s25, exec_lo
	s_waitcnt vmcnt(0)
	v_cmpx_eq_u16_e64 v33, v39
	s_cbranch_execz .LBB226_230
; %bb.224:
	s_mov_b64 s[2:3], 1
	s_mov_b32 s19, 0
                                        ; implicit-def: $sgpr26
	s_set_inst_prefetch_distance 0x1
	s_branch .LBB226_227
	.p2align	6
.LBB226_225:                            ;   in Loop: Header=BB226_227 Depth=1
	v_add_co_u32 v39, vcc_lo, v35, s2
	v_add_co_ci_u32_e32 v40, vcc_lo, s3, v36, vcc_lo
	v_add_co_u32 v42, vcc_lo, v37, s2
	v_add_co_ci_u32_e32 v43, vcc_lo, s3, v38, vcc_lo
	s_add_u32 s4, s2, 1
	s_clause 0x1
	global_load_u8 v33, v[39:40], off
	global_load_u8 v39, v[42:43], off
	s_addc_u32 s5, s3, 0
	s_and_not1_b32 s26, s26, exec_lo
	s_waitcnt vmcnt(0)
	v_cmp_ne_u16_e32 vcc_lo, v33, v39
	s_and_b32 s27, vcc_lo, exec_lo
	s_delay_alu instid0(SALU_CYCLE_1)
	s_or_b32 s26, s26, s27
.LBB226_226:                            ;   in Loop: Header=BB226_227 Depth=1
	v_dual_mov_b32 v40, s3 :: v_dual_mov_b32 v39, s2
	s_and_b32 s27, exec_lo, s26
	s_mov_b64 s[2:3], s[4:5]
	s_or_b32 s19, s27, s19
	s_delay_alu instid0(SALU_CYCLE_1)
	s_and_not1_b32 exec_lo, exec_lo, s19
	s_cbranch_execz .LBB226_229
.LBB226_227:                            ; =>This Inner Loop Header: Depth=1
	s_or_b32 s26, s26, exec_lo
	s_cmp_eq_u64 s[22:23], s[2:3]
	s_cbranch_scc0 .LBB226_225
; %bb.228:                              ;   in Loop: Header=BB226_227 Depth=1
	s_mov_b64 s[2:3], s[22:23]
                                        ; implicit-def: $sgpr4_sgpr5
	s_branch .LBB226_226
.LBB226_229:
	s_set_inst_prefetch_distance 0x2
	s_or_b32 exec_lo, exec_lo, s19
	v_cmp_gt_i64_e32 vcc_lo, s[22:23], v[39:40]
	s_or_not1_b32 s19, vcc_lo, exec_lo
.LBB226_230:
	s_or_b32 exec_lo, exec_lo, s25
.LBB226_231:
	v_mul_lo_u32 v33, v22, s22
	v_mul_lo_u32 v37, v21, s23
	v_mad_u64_u32 v[35:36], null, v21, s22, 0
	s_mov_b32 s25, 0
	s_and_not1_b32 vcc_lo, exec_lo, s7
	s_mov_b32 s26, 0
	s_delay_alu instid0(VALU_DEP_1)
	v_add3_u32 v42, v36, v37, v33
	s_cbranch_vccnz .LBB226_240
; %bb.232:
	s_delay_alu instid0(VALU_DEP_2) | instskip(NEXT) | instid1(VALU_DEP_2)
	v_add_co_u32 v36, vcc_lo, s8, v35
	v_add_co_ci_u32_e32 v37, vcc_lo, s9, v42, vcc_lo
	v_add_co_u32 v33, vcc_lo, s8, v34
	v_add_co_ci_u32_e32 v34, vcc_lo, s9, v41, vcc_lo
	s_mov_b32 s26, -1
	s_clause 0x1
	global_load_u8 v38, v[36:37], off
	global_load_u8 v39, v[33:34], off
	s_mov_b32 s27, exec_lo
	s_waitcnt vmcnt(0)
	v_cmpx_eq_u16_e64 v38, v39
	s_cbranch_execz .LBB226_239
; %bb.233:
	s_mov_b64 s[2:3], 1
	s_mov_b32 s26, 0
                                        ; implicit-def: $sgpr29
	s_set_inst_prefetch_distance 0x1
	s_branch .LBB226_236
	.p2align	6
.LBB226_234:                            ;   in Loop: Header=BB226_236 Depth=1
	v_add_co_u32 v38, vcc_lo, v36, s2
	v_add_co_ci_u32_e32 v39, vcc_lo, s3, v37, vcc_lo
	v_add_co_u32 v40, vcc_lo, v33, s2
	v_add_co_ci_u32_e32 v41, vcc_lo, s3, v34, vcc_lo
	s_add_u32 s4, s2, 1
	s_clause 0x1
	global_load_u8 v38, v[38:39], off
	global_load_u8 v39, v[40:41], off
	s_addc_u32 s5, s3, 0
	s_and_not1_b32 s29, s29, exec_lo
	s_waitcnt vmcnt(0)
	v_cmp_ne_u16_e32 vcc_lo, v38, v39
	s_and_b32 s30, vcc_lo, exec_lo
	s_delay_alu instid0(SALU_CYCLE_1)
	s_or_b32 s29, s29, s30
.LBB226_235:                            ;   in Loop: Header=BB226_236 Depth=1
	v_dual_mov_b32 v39, s3 :: v_dual_mov_b32 v38, s2
	s_and_b32 s30, exec_lo, s29
	s_mov_b64 s[2:3], s[4:5]
	s_or_b32 s26, s30, s26
	s_delay_alu instid0(SALU_CYCLE_1)
	s_and_not1_b32 exec_lo, exec_lo, s26
	s_cbranch_execz .LBB226_238
.LBB226_236:                            ; =>This Inner Loop Header: Depth=1
	s_or_b32 s29, s29, exec_lo
	s_cmp_eq_u64 s[22:23], s[2:3]
	s_cbranch_scc0 .LBB226_234
; %bb.237:                              ;   in Loop: Header=BB226_236 Depth=1
	s_mov_b64 s[2:3], s[22:23]
                                        ; implicit-def: $sgpr4_sgpr5
	s_branch .LBB226_235
.LBB226_238:
	s_set_inst_prefetch_distance 0x2
	s_or_b32 exec_lo, exec_lo, s26
	v_cmp_gt_i64_e32 vcc_lo, s[22:23], v[38:39]
	s_or_not1_b32 s26, vcc_lo, exec_lo
.LBB226_239:
	s_or_b32 exec_lo, exec_lo, s27
.LBB226_240:
	v_mul_lo_u32 v36, v28, s22
	v_mul_lo_u32 v37, v27, s23
	v_mad_u64_u32 v[33:34], null, v27, s22, 0
	s_and_not1_b32 vcc_lo, exec_lo, s7
	s_delay_alu instid0(VALU_DEP_1)
	v_add3_u32 v40, v34, v37, v36
	s_cbranch_vccnz .LBB226_249
; %bb.241:
	s_delay_alu instid0(VALU_DEP_2) | instskip(NEXT) | instid1(VALU_DEP_2)
	v_add_co_u32 v36, vcc_lo, s8, v33
	v_add_co_ci_u32_e32 v37, vcc_lo, s9, v40, vcc_lo
	v_add_co_u32 v34, vcc_lo, s8, v35
	v_add_co_ci_u32_e32 v35, vcc_lo, s9, v42, vcc_lo
	s_mov_b32 s25, -1
	s_clause 0x1
	global_load_u8 v38, v[36:37], off
	global_load_u8 v39, v[34:35], off
	s_mov_b32 s27, exec_lo
	s_waitcnt vmcnt(0)
	v_cmpx_eq_u16_e64 v38, v39
	s_cbranch_execz .LBB226_248
; %bb.242:
	s_mov_b64 s[2:3], 1
	s_mov_b32 s25, 0
                                        ; implicit-def: $sgpr29
	s_set_inst_prefetch_distance 0x1
	s_branch .LBB226_245
	.p2align	6
.LBB226_243:                            ;   in Loop: Header=BB226_245 Depth=1
	v_add_co_u32 v38, vcc_lo, v36, s2
	v_add_co_ci_u32_e32 v39, vcc_lo, s3, v37, vcc_lo
	v_add_co_u32 v41, vcc_lo, v34, s2
	v_add_co_ci_u32_e32 v42, vcc_lo, s3, v35, vcc_lo
	s_add_u32 s4, s2, 1
	s_clause 0x1
	global_load_u8 v38, v[38:39], off
	global_load_u8 v39, v[41:42], off
	s_addc_u32 s5, s3, 0
	s_and_not1_b32 s29, s29, exec_lo
	s_waitcnt vmcnt(0)
	v_cmp_ne_u16_e32 vcc_lo, v38, v39
	s_and_b32 s30, vcc_lo, exec_lo
	s_delay_alu instid0(SALU_CYCLE_1)
	s_or_b32 s29, s29, s30
.LBB226_244:                            ;   in Loop: Header=BB226_245 Depth=1
	v_dual_mov_b32 v39, s3 :: v_dual_mov_b32 v38, s2
	s_and_b32 s30, exec_lo, s29
	s_mov_b64 s[2:3], s[4:5]
	s_or_b32 s25, s30, s25
	s_delay_alu instid0(SALU_CYCLE_1)
	s_and_not1_b32 exec_lo, exec_lo, s25
	s_cbranch_execz .LBB226_247
.LBB226_245:                            ; =>This Inner Loop Header: Depth=1
	s_or_b32 s29, s29, exec_lo
	s_cmp_eq_u64 s[22:23], s[2:3]
	s_cbranch_scc0 .LBB226_243
; %bb.246:                              ;   in Loop: Header=BB226_245 Depth=1
	s_mov_b64 s[2:3], s[22:23]
                                        ; implicit-def: $sgpr4_sgpr5
	s_branch .LBB226_244
.LBB226_247:
	s_set_inst_prefetch_distance 0x2
	s_or_b32 exec_lo, exec_lo, s25
	v_cmp_gt_i64_e32 vcc_lo, s[22:23], v[38:39]
	s_or_not1_b32 s25, vcc_lo, exec_lo
.LBB226_248:
	s_or_b32 exec_lo, exec_lo, s27
.LBB226_249:
	v_mul_lo_u32 v34, v26, s22
	v_mul_lo_u32 v37, v25, s23
	v_mad_u64_u32 v[35:36], null, v25, s22, 0
	s_mov_b32 s27, 0
	s_and_not1_b32 vcc_lo, exec_lo, s7
	s_mov_b32 s29, 0
	s_delay_alu instid0(VALU_DEP_1)
	v_add3_u32 v42, v36, v37, v34
	s_cbranch_vccnz .LBB226_258
; %bb.250:
	s_delay_alu instid0(VALU_DEP_2) | instskip(NEXT) | instid1(VALU_DEP_2)
	v_add_co_u32 v36, vcc_lo, s8, v35
	v_add_co_ci_u32_e32 v37, vcc_lo, s9, v42, vcc_lo
	v_add_co_u32 v33, vcc_lo, s8, v33
	v_add_co_ci_u32_e32 v34, vcc_lo, s9, v40, vcc_lo
	s_mov_b32 s29, -1
	s_clause 0x1
	global_load_u8 v38, v[36:37], off
	global_load_u8 v39, v[33:34], off
	s_mov_b32 s30, exec_lo
	s_waitcnt vmcnt(0)
	v_cmpx_eq_u16_e64 v38, v39
	s_cbranch_execz .LBB226_257
; %bb.251:
	s_mov_b64 s[2:3], 1
	s_mov_b32 s29, 0
                                        ; implicit-def: $sgpr31
	s_set_inst_prefetch_distance 0x1
	s_branch .LBB226_254
	.p2align	6
.LBB226_252:                            ;   in Loop: Header=BB226_254 Depth=1
	v_add_co_u32 v38, vcc_lo, v36, s2
	v_add_co_ci_u32_e32 v39, vcc_lo, s3, v37, vcc_lo
	v_add_co_u32 v40, vcc_lo, v33, s2
	v_add_co_ci_u32_e32 v41, vcc_lo, s3, v34, vcc_lo
	s_add_u32 s4, s2, 1
	s_clause 0x1
	global_load_u8 v38, v[38:39], off
	global_load_u8 v39, v[40:41], off
	s_addc_u32 s5, s3, 0
	s_and_not1_b32 s31, s31, exec_lo
	s_waitcnt vmcnt(0)
	v_cmp_ne_u16_e32 vcc_lo, v38, v39
	s_and_b32 s33, vcc_lo, exec_lo
	s_delay_alu instid0(SALU_CYCLE_1)
	s_or_b32 s31, s31, s33
.LBB226_253:                            ;   in Loop: Header=BB226_254 Depth=1
	v_dual_mov_b32 v39, s3 :: v_dual_mov_b32 v38, s2
	s_and_b32 s33, exec_lo, s31
	s_mov_b64 s[2:3], s[4:5]
	s_or_b32 s29, s33, s29
	s_delay_alu instid0(SALU_CYCLE_1)
	s_and_not1_b32 exec_lo, exec_lo, s29
	s_cbranch_execz .LBB226_256
.LBB226_254:                            ; =>This Inner Loop Header: Depth=1
	s_or_b32 s31, s31, exec_lo
	s_cmp_eq_u64 s[22:23], s[2:3]
	s_cbranch_scc0 .LBB226_252
; %bb.255:                              ;   in Loop: Header=BB226_254 Depth=1
	s_mov_b64 s[2:3], s[22:23]
                                        ; implicit-def: $sgpr4_sgpr5
	s_branch .LBB226_253
.LBB226_256:
	s_set_inst_prefetch_distance 0x2
	s_or_b32 exec_lo, exec_lo, s29
	v_cmp_gt_i64_e32 vcc_lo, s[22:23], v[38:39]
	s_or_not1_b32 s29, vcc_lo, exec_lo
.LBB226_257:
	s_or_b32 exec_lo, exec_lo, s30
.LBB226_258:
	v_mul_lo_u32 v36, v32, s22
	v_mul_lo_u32 v37, v31, s23
	v_mad_u64_u32 v[33:34], null, v31, s22, 0
	s_and_not1_b32 vcc_lo, exec_lo, s7
	s_delay_alu instid0(VALU_DEP_1)
	v_add3_u32 v41, v34, v37, v36
	s_cbranch_vccnz .LBB226_267
; %bb.259:
	s_delay_alu instid0(VALU_DEP_2) | instskip(NEXT) | instid1(VALU_DEP_2)
	v_add_co_u32 v36, vcc_lo, s8, v33
	v_add_co_ci_u32_e32 v37, vcc_lo, s9, v41, vcc_lo
	v_add_co_u32 v34, vcc_lo, s8, v35
	v_add_co_ci_u32_e32 v35, vcc_lo, s9, v42, vcc_lo
	s_mov_b32 s27, -1
	s_clause 0x1
	global_load_u8 v38, v[36:37], off
	global_load_u8 v39, v[34:35], off
	s_mov_b32 s30, exec_lo
	s_waitcnt vmcnt(0)
	v_cmpx_eq_u16_e64 v38, v39
	s_cbranch_execz .LBB226_266
; %bb.260:
	s_mov_b64 s[2:3], 1
	s_mov_b32 s27, 0
                                        ; implicit-def: $sgpr31
	s_set_inst_prefetch_distance 0x1
	s_branch .LBB226_263
	.p2align	6
.LBB226_261:                            ;   in Loop: Header=BB226_263 Depth=1
	v_add_co_u32 v38, vcc_lo, v36, s2
	v_add_co_ci_u32_e32 v39, vcc_lo, s3, v37, vcc_lo
	v_add_co_u32 v42, vcc_lo, v34, s2
	v_add_co_ci_u32_e32 v43, vcc_lo, s3, v35, vcc_lo
	s_add_u32 s4, s2, 1
	s_clause 0x1
	global_load_u8 v38, v[38:39], off
	global_load_u8 v39, v[42:43], off
	s_addc_u32 s5, s3, 0
	s_and_not1_b32 s31, s31, exec_lo
	s_waitcnt vmcnt(0)
	v_cmp_ne_u16_e32 vcc_lo, v38, v39
	s_and_b32 s33, vcc_lo, exec_lo
	s_delay_alu instid0(SALU_CYCLE_1)
	s_or_b32 s31, s31, s33
.LBB226_262:                            ;   in Loop: Header=BB226_263 Depth=1
	v_dual_mov_b32 v39, s3 :: v_dual_mov_b32 v38, s2
	s_and_b32 s33, exec_lo, s31
	s_mov_b64 s[2:3], s[4:5]
	s_or_b32 s27, s33, s27
	s_delay_alu instid0(SALU_CYCLE_1)
	s_and_not1_b32 exec_lo, exec_lo, s27
	s_cbranch_execz .LBB226_265
.LBB226_263:                            ; =>This Inner Loop Header: Depth=1
	s_or_b32 s31, s31, exec_lo
	s_cmp_eq_u64 s[22:23], s[2:3]
	s_cbranch_scc0 .LBB226_261
; %bb.264:                              ;   in Loop: Header=BB226_263 Depth=1
	s_mov_b64 s[2:3], s[22:23]
                                        ; implicit-def: $sgpr4_sgpr5
	s_branch .LBB226_262
.LBB226_265:
	s_set_inst_prefetch_distance 0x2
	s_or_b32 exec_lo, exec_lo, s27
	v_cmp_gt_i64_e32 vcc_lo, s[22:23], v[38:39]
	s_or_not1_b32 s27, vcc_lo, exec_lo
.LBB226_266:
	s_or_b32 exec_lo, exec_lo, s30
.LBB226_267:
	v_mul_lo_u32 v34, v30, s22
	v_mul_lo_u32 v37, v29, s23
	v_mad_u64_u32 v[35:36], null, v29, s22, 0
	s_and_not1_b32 vcc_lo, exec_lo, s7
	s_mov_b32 s2, 0
	s_delay_alu instid0(VALU_DEP_1)
	v_add3_u32 v40, v36, v37, v34
	s_cbranch_vccnz .LBB226_276
; %bb.268:
	s_delay_alu instid0(VALU_DEP_2) | instskip(NEXT) | instid1(VALU_DEP_2)
	v_add_co_u32 v36, vcc_lo, s8, v35
	v_add_co_ci_u32_e32 v37, vcc_lo, s9, v40, vcc_lo
	v_add_co_u32 v33, vcc_lo, s8, v33
	v_add_co_ci_u32_e32 v34, vcc_lo, s9, v41, vcc_lo
	s_mov_b32 s2, -1
	s_clause 0x1
	global_load_u8 v38, v[36:37], off
	global_load_u8 v39, v[33:34], off
	s_mov_b32 s30, exec_lo
	s_waitcnt vmcnt(0)
	v_cmpx_eq_u16_e64 v38, v39
	s_cbranch_execz .LBB226_275
; %bb.269:
	s_mov_b64 s[2:3], 1
	s_mov_b32 s31, 0
                                        ; implicit-def: $sgpr33
	s_set_inst_prefetch_distance 0x1
	s_branch .LBB226_272
	.p2align	6
.LBB226_270:                            ;   in Loop: Header=BB226_272 Depth=1
	v_add_co_u32 v38, vcc_lo, v36, s2
	v_add_co_ci_u32_e32 v39, vcc_lo, s3, v37, vcc_lo
	v_add_co_u32 v41, vcc_lo, v33, s2
	v_add_co_ci_u32_e32 v42, vcc_lo, s3, v34, vcc_lo
	s_add_u32 s4, s2, 1
	s_clause 0x1
	global_load_u8 v38, v[38:39], off
	global_load_u8 v39, v[41:42], off
	s_addc_u32 s5, s3, 0
	s_and_not1_b32 s33, s33, exec_lo
	s_waitcnt vmcnt(0)
	v_cmp_ne_u16_e32 vcc_lo, v38, v39
	s_and_b32 s34, vcc_lo, exec_lo
	s_delay_alu instid0(SALU_CYCLE_1)
	s_or_b32 s33, s33, s34
.LBB226_271:                            ;   in Loop: Header=BB226_272 Depth=1
	v_dual_mov_b32 v39, s3 :: v_dual_mov_b32 v38, s2
	s_and_b32 s34, exec_lo, s33
	s_mov_b64 s[2:3], s[4:5]
	s_or_b32 s31, s34, s31
	s_delay_alu instid0(SALU_CYCLE_1)
	s_and_not1_b32 exec_lo, exec_lo, s31
	s_cbranch_execz .LBB226_274
.LBB226_272:                            ; =>This Inner Loop Header: Depth=1
	s_or_b32 s33, s33, exec_lo
	s_cmp_eq_u64 s[22:23], s[2:3]
	s_cbranch_scc0 .LBB226_270
; %bb.273:                              ;   in Loop: Header=BB226_272 Depth=1
	s_mov_b64 s[2:3], s[22:23]
                                        ; implicit-def: $sgpr4_sgpr5
	s_branch .LBB226_271
.LBB226_274:
	s_set_inst_prefetch_distance 0x2
	s_or_b32 exec_lo, exec_lo, s31
	v_cmp_gt_i64_e32 vcc_lo, s[22:23], v[38:39]
	s_or_not1_b32 s2, vcc_lo, exec_lo
.LBB226_275:
	s_or_b32 exec_lo, exec_lo, s30
.LBB226_276:
	v_cndmask_b32_e64 v34, 0, 1, s29
	v_cndmask_b32_e64 v36, 0, 1, s26
	;; [unrolled: 1-line block ×7, first 2 shown]
	v_lshlrev_b16 v36, 8, v36
	v_lshlrev_b16 v37, 8, v37
	;; [unrolled: 1-line block ×4, first 2 shown]
	s_delay_alu instid0(VALU_DEP_4) | instskip(NEXT) | instid1(VALU_DEP_4)
	v_or_b32_e32 v36, v39, v36
	v_or_b32_e32 v37, v41, v37
	s_delay_alu instid0(VALU_DEP_4) | instskip(NEXT) | instid1(VALU_DEP_4)
	v_or_b32_e32 v38, 1, v38
	v_or_b32_e32 v33, v33, v34
	s_barrier
	v_and_b32_e32 v34, 0xffff, v36
	v_lshlrev_b32_e32 v36, 16, v37
	v_and_b32_e32 v37, 0xffff, v38
	v_lshlrev_b32_e32 v33, 16, v33
	buffer_gl0_inv
                                        ; implicit-def: $sgpr2
	s_mov_b32 s3, exec_lo
	v_or_b32_e32 v34, v34, v36
	v_or_b32_e32 v33, v37, v33
	v_cmpx_ne_u32_e32 0, v0
	s_xor_b32 s19, exec_lo, s3
	s_cbranch_execz .LBB226_287
; %bb.277:
	s_and_not1_b32 vcc_lo, exec_lo, s7
	s_mov_b32 s2, 0
	s_cbranch_vccnz .LBB226_286
; %bb.278:
	v_add_nc_u32_e32 v36, -8, v55
	s_mov_b32 s2, -1
	s_mov_b32 s24, exec_lo
	ds_load_b64 v[38:39], v36
	s_waitcnt lgkmcnt(0)
	v_mul_lo_u32 v41, v38, s23
	v_mul_lo_u32 v39, v39, s22
	v_mad_u64_u32 v[36:37], null, v38, s22, s[8:9]
	v_add_co_u32 v38, vcc_lo, s8, v35
	s_delay_alu instid0(VALU_DEP_2)
	v_add3_u32 v37, v39, v37, v41
	v_add_co_ci_u32_e32 v39, vcc_lo, s9, v40, vcc_lo
	s_clause 0x1
	global_load_u8 v35, v[36:37], off
	global_load_u8 v40, v[38:39], off
	s_waitcnt vmcnt(0)
	v_cmpx_eq_u16_e64 v35, v40
	s_cbranch_execz .LBB226_285
; %bb.279:
	s_mov_b64 s[2:3], 1
	s_mov_b32 s25, 0
                                        ; implicit-def: $sgpr26
	s_set_inst_prefetch_distance 0x1
	s_branch .LBB226_282
	.p2align	6
.LBB226_280:                            ;   in Loop: Header=BB226_282 Depth=1
	v_add_co_u32 v40, vcc_lo, v36, s2
	v_add_co_ci_u32_e32 v41, vcc_lo, s3, v37, vcc_lo
	v_add_co_u32 v42, vcc_lo, v38, s2
	v_add_co_ci_u32_e32 v43, vcc_lo, s3, v39, vcc_lo
	s_add_u32 s4, s2, 1
	s_clause 0x1
	global_load_u8 v35, v[40:41], off
	global_load_u8 v40, v[42:43], off
	s_addc_u32 s5, s3, 0
	s_and_not1_b32 s26, s26, exec_lo
	s_waitcnt vmcnt(0)
	v_cmp_ne_u16_e32 vcc_lo, v35, v40
	s_and_b32 s27, vcc_lo, exec_lo
	s_delay_alu instid0(SALU_CYCLE_1)
	s_or_b32 s26, s26, s27
.LBB226_281:                            ;   in Loop: Header=BB226_282 Depth=1
	v_dual_mov_b32 v41, s3 :: v_dual_mov_b32 v40, s2
	s_and_b32 s27, exec_lo, s26
	s_mov_b64 s[2:3], s[4:5]
	s_or_b32 s25, s27, s25
	s_delay_alu instid0(SALU_CYCLE_1)
	s_and_not1_b32 exec_lo, exec_lo, s25
	s_cbranch_execz .LBB226_284
.LBB226_282:                            ; =>This Inner Loop Header: Depth=1
	s_or_b32 s26, s26, exec_lo
	s_cmp_eq_u64 s[22:23], s[2:3]
	s_cbranch_scc0 .LBB226_280
; %bb.283:                              ;   in Loop: Header=BB226_282 Depth=1
	s_mov_b64 s[2:3], s[22:23]
                                        ; implicit-def: $sgpr4_sgpr5
	s_branch .LBB226_281
.LBB226_284:
	s_set_inst_prefetch_distance 0x2
	s_or_b32 exec_lo, exec_lo, s25
	v_cmp_gt_i64_e32 vcc_lo, s[22:23], v[40:41]
	s_or_not1_b32 s2, vcc_lo, exec_lo
.LBB226_285:
	s_or_b32 exec_lo, exec_lo, s24
.LBB226_286:
	s_delay_alu instid0(SALU_CYCLE_1)
	s_and_b32 s2, s2, exec_lo
	s_or_b32 s6, s6, exec_lo
.LBB226_287:
	s_or_b32 exec_lo, exec_lo, s19
	s_branch .LBB226_379
.LBB226_288:
	v_or_b32_e32 v33, 7, v55
	s_mov_b32 s19, 0
	s_mov_b32 s24, 0
	s_mov_b32 s25, exec_lo
	s_delay_alu instid0(VALU_DEP_1)
	v_cmpx_gt_u32_e64 s28, v33
	s_cbranch_execz .LBB226_299
; %bb.289:
	s_and_not1_b32 vcc_lo, exec_lo, s7
	s_mov_b32 s2, 0
	s_cbranch_vccnz .LBB226_298
; %bb.290:
	v_mad_u64_u32 v[33:34], null, v17, s22, s[8:9]
	s_waitcnt lgkmcnt(0)
	v_mul_lo_u32 v37, v17, s23
	v_mul_lo_u32 v38, v18, s22
	v_mad_u64_u32 v[35:36], null, v19, s22, s[8:9]
	v_mul_lo_u32 v39, v19, s23
	v_mul_lo_u32 v40, v20, s22
	s_mov_b32 s2, -1
	s_mov_b32 s24, exec_lo
	s_delay_alu instid0(VALU_DEP_4) | instskip(NEXT) | instid1(VALU_DEP_2)
	v_add3_u32 v34, v38, v34, v37
	v_add3_u32 v36, v40, v36, v39
	s_clause 0x1
	global_load_u8 v37, v[33:34], off
	global_load_u8 v38, v[35:36], off
	s_waitcnt vmcnt(0)
	v_cmpx_eq_u16_e64 v37, v38
	s_cbranch_execz .LBB226_297
; %bb.291:
	s_mov_b64 s[2:3], 1
	s_mov_b32 s26, 0
                                        ; implicit-def: $sgpr27
	s_set_inst_prefetch_distance 0x1
	s_branch .LBB226_294
	.p2align	6
.LBB226_292:                            ;   in Loop: Header=BB226_294 Depth=1
	v_add_co_u32 v37, vcc_lo, v33, s2
	v_add_co_ci_u32_e32 v38, vcc_lo, s3, v34, vcc_lo
	v_add_co_u32 v39, vcc_lo, v35, s2
	v_add_co_ci_u32_e32 v40, vcc_lo, s3, v36, vcc_lo
	s_add_u32 s4, s2, 1
	s_clause 0x1
	global_load_u8 v37, v[37:38], off
	global_load_u8 v38, v[39:40], off
	s_addc_u32 s5, s3, 0
	s_and_not1_b32 s27, s27, exec_lo
	s_waitcnt vmcnt(0)
	v_cmp_ne_u16_e32 vcc_lo, v37, v38
	s_and_b32 s29, vcc_lo, exec_lo
	s_delay_alu instid0(SALU_CYCLE_1)
	s_or_b32 s27, s27, s29
.LBB226_293:                            ;   in Loop: Header=BB226_294 Depth=1
	v_dual_mov_b32 v38, s3 :: v_dual_mov_b32 v37, s2
	s_and_b32 s29, exec_lo, s27
	s_mov_b64 s[2:3], s[4:5]
	s_or_b32 s26, s29, s26
	s_delay_alu instid0(SALU_CYCLE_1)
	s_and_not1_b32 exec_lo, exec_lo, s26
	s_cbranch_execz .LBB226_296
.LBB226_294:                            ; =>This Inner Loop Header: Depth=1
	s_or_b32 s27, s27, exec_lo
	s_cmp_eq_u64 s[22:23], s[2:3]
	s_cbranch_scc0 .LBB226_292
; %bb.295:                              ;   in Loop: Header=BB226_294 Depth=1
	s_mov_b64 s[2:3], s[22:23]
                                        ; implicit-def: $sgpr4_sgpr5
	s_branch .LBB226_293
.LBB226_296:
	s_set_inst_prefetch_distance 0x2
	s_or_b32 exec_lo, exec_lo, s26
	v_cmp_gt_i64_e32 vcc_lo, s[22:23], v[37:38]
	s_or_not1_b32 s2, vcc_lo, exec_lo
.LBB226_297:
	s_or_b32 exec_lo, exec_lo, s24
.LBB226_298:
	s_delay_alu instid0(SALU_CYCLE_1)
	s_and_b32 s24, s2, exec_lo
.LBB226_299:
	s_or_b32 exec_lo, exec_lo, s25
	v_or_b32_e32 v33, 6, v55
	s_mov_b32 s25, exec_lo
	s_delay_alu instid0(VALU_DEP_1)
	v_cmpx_gt_u32_e64 s28, v33
	s_cbranch_execz .LBB226_310
; %bb.300:
	s_and_not1_b32 vcc_lo, exec_lo, s7
	s_mov_b32 s2, 0
	s_cbranch_vccnz .LBB226_309
; %bb.301:
	v_mad_u64_u32 v[33:34], null, v23, s22, s[8:9]
	s_waitcnt lgkmcnt(0)
	v_mul_lo_u32 v37, v23, s23
	v_mul_lo_u32 v38, v24, s22
	v_mad_u64_u32 v[35:36], null, v17, s22, s[8:9]
	v_mul_lo_u32 v39, v17, s23
	v_mul_lo_u32 v40, v18, s22
	s_mov_b32 s2, -1
	s_mov_b32 s19, exec_lo
	s_delay_alu instid0(VALU_DEP_4) | instskip(NEXT) | instid1(VALU_DEP_2)
	v_add3_u32 v34, v38, v34, v37
	v_add3_u32 v36, v40, v36, v39
	s_clause 0x1
	global_load_u8 v37, v[33:34], off
	global_load_u8 v38, v[35:36], off
	s_waitcnt vmcnt(0)
	v_cmpx_eq_u16_e64 v37, v38
	s_cbranch_execz .LBB226_308
; %bb.302:
	s_mov_b64 s[2:3], 1
	s_mov_b32 s26, 0
                                        ; implicit-def: $sgpr27
	s_set_inst_prefetch_distance 0x1
	s_branch .LBB226_305
	.p2align	6
.LBB226_303:                            ;   in Loop: Header=BB226_305 Depth=1
	v_add_co_u32 v37, vcc_lo, v33, s2
	v_add_co_ci_u32_e32 v38, vcc_lo, s3, v34, vcc_lo
	v_add_co_u32 v39, vcc_lo, v35, s2
	v_add_co_ci_u32_e32 v40, vcc_lo, s3, v36, vcc_lo
	s_add_u32 s4, s2, 1
	s_clause 0x1
	global_load_u8 v37, v[37:38], off
	global_load_u8 v38, v[39:40], off
	s_addc_u32 s5, s3, 0
	s_and_not1_b32 s27, s27, exec_lo
	s_waitcnt vmcnt(0)
	v_cmp_ne_u16_e32 vcc_lo, v37, v38
	s_and_b32 s29, vcc_lo, exec_lo
	s_delay_alu instid0(SALU_CYCLE_1)
	s_or_b32 s27, s27, s29
.LBB226_304:                            ;   in Loop: Header=BB226_305 Depth=1
	v_dual_mov_b32 v38, s3 :: v_dual_mov_b32 v37, s2
	s_and_b32 s29, exec_lo, s27
	s_mov_b64 s[2:3], s[4:5]
	s_or_b32 s26, s29, s26
	s_delay_alu instid0(SALU_CYCLE_1)
	s_and_not1_b32 exec_lo, exec_lo, s26
	s_cbranch_execz .LBB226_307
.LBB226_305:                            ; =>This Inner Loop Header: Depth=1
	s_or_b32 s27, s27, exec_lo
	s_cmp_eq_u64 s[22:23], s[2:3]
	s_cbranch_scc0 .LBB226_303
; %bb.306:                              ;   in Loop: Header=BB226_305 Depth=1
	s_mov_b64 s[2:3], s[22:23]
                                        ; implicit-def: $sgpr4_sgpr5
	s_branch .LBB226_304
.LBB226_307:
	s_set_inst_prefetch_distance 0x2
	s_or_b32 exec_lo, exec_lo, s26
	v_cmp_gt_i64_e32 vcc_lo, s[22:23], v[37:38]
	s_or_not1_b32 s2, vcc_lo, exec_lo
.LBB226_308:
	s_or_b32 exec_lo, exec_lo, s19
.LBB226_309:
	s_delay_alu instid0(SALU_CYCLE_1)
	s_and_b32 s19, s2, exec_lo
.LBB226_310:
	s_or_b32 exec_lo, exec_lo, s25
	v_or_b32_e32 v33, 5, v55
	s_mov_b32 s25, 0
	s_mov_b32 s26, 0
	s_mov_b32 s27, exec_lo
	s_delay_alu instid0(VALU_DEP_1)
	v_cmpx_gt_u32_e64 s28, v33
	s_cbranch_execz .LBB226_321
; %bb.311:
	s_and_not1_b32 vcc_lo, exec_lo, s7
	s_mov_b32 s2, 0
	s_cbranch_vccnz .LBB226_320
; %bb.312:
	v_mad_u64_u32 v[33:34], null, v21, s22, s[8:9]
	s_waitcnt lgkmcnt(0)
	v_mul_lo_u32 v37, v21, s23
	v_mul_lo_u32 v38, v22, s22
	v_mad_u64_u32 v[35:36], null, v23, s22, s[8:9]
	v_mul_lo_u32 v39, v23, s23
	v_mul_lo_u32 v40, v24, s22
	s_mov_b32 s2, -1
	s_mov_b32 s26, exec_lo
	s_delay_alu instid0(VALU_DEP_4) | instskip(NEXT) | instid1(VALU_DEP_2)
	v_add3_u32 v34, v38, v34, v37
	v_add3_u32 v36, v40, v36, v39
	s_clause 0x1
	global_load_u8 v37, v[33:34], off
	global_load_u8 v38, v[35:36], off
	s_waitcnt vmcnt(0)
	v_cmpx_eq_u16_e64 v37, v38
	s_cbranch_execz .LBB226_319
; %bb.313:
	s_mov_b64 s[2:3], 1
	s_mov_b32 s29, 0
                                        ; implicit-def: $sgpr30
	s_set_inst_prefetch_distance 0x1
	s_branch .LBB226_316
	.p2align	6
.LBB226_314:                            ;   in Loop: Header=BB226_316 Depth=1
	v_add_co_u32 v37, vcc_lo, v33, s2
	v_add_co_ci_u32_e32 v38, vcc_lo, s3, v34, vcc_lo
	v_add_co_u32 v39, vcc_lo, v35, s2
	v_add_co_ci_u32_e32 v40, vcc_lo, s3, v36, vcc_lo
	s_add_u32 s4, s2, 1
	s_clause 0x1
	global_load_u8 v37, v[37:38], off
	global_load_u8 v38, v[39:40], off
	s_addc_u32 s5, s3, 0
	s_and_not1_b32 s30, s30, exec_lo
	s_waitcnt vmcnt(0)
	v_cmp_ne_u16_e32 vcc_lo, v37, v38
	s_and_b32 s31, vcc_lo, exec_lo
	s_delay_alu instid0(SALU_CYCLE_1)
	s_or_b32 s30, s30, s31
.LBB226_315:                            ;   in Loop: Header=BB226_316 Depth=1
	v_dual_mov_b32 v38, s3 :: v_dual_mov_b32 v37, s2
	s_and_b32 s31, exec_lo, s30
	s_mov_b64 s[2:3], s[4:5]
	s_or_b32 s29, s31, s29
	s_delay_alu instid0(SALU_CYCLE_1)
	s_and_not1_b32 exec_lo, exec_lo, s29
	s_cbranch_execz .LBB226_318
.LBB226_316:                            ; =>This Inner Loop Header: Depth=1
	s_or_b32 s30, s30, exec_lo
	s_cmp_eq_u64 s[22:23], s[2:3]
	s_cbranch_scc0 .LBB226_314
; %bb.317:                              ;   in Loop: Header=BB226_316 Depth=1
	s_mov_b64 s[2:3], s[22:23]
                                        ; implicit-def: $sgpr4_sgpr5
	s_branch .LBB226_315
.LBB226_318:
	s_set_inst_prefetch_distance 0x2
	s_or_b32 exec_lo, exec_lo, s29
	v_cmp_gt_i64_e32 vcc_lo, s[22:23], v[37:38]
	s_or_not1_b32 s2, vcc_lo, exec_lo
.LBB226_319:
	s_or_b32 exec_lo, exec_lo, s26
.LBB226_320:
	s_delay_alu instid0(SALU_CYCLE_1)
	s_and_b32 s26, s2, exec_lo
.LBB226_321:
	s_or_b32 exec_lo, exec_lo, s27
	v_or_b32_e32 v33, 4, v55
	s_mov_b32 s27, exec_lo
	s_delay_alu instid0(VALU_DEP_1)
	v_cmpx_gt_u32_e64 s28, v33
	s_cbranch_execz .LBB226_332
; %bb.322:
	s_and_not1_b32 vcc_lo, exec_lo, s7
	s_mov_b32 s2, 0
	s_cbranch_vccnz .LBB226_331
; %bb.323:
	v_mad_u64_u32 v[33:34], null, v27, s22, s[8:9]
	s_waitcnt lgkmcnt(0)
	v_mul_lo_u32 v37, v27, s23
	v_mul_lo_u32 v38, v28, s22
	v_mad_u64_u32 v[35:36], null, v21, s22, s[8:9]
	v_mul_lo_u32 v39, v21, s23
	v_mul_lo_u32 v40, v22, s22
	s_mov_b32 s2, -1
	s_mov_b32 s25, exec_lo
	s_delay_alu instid0(VALU_DEP_4) | instskip(NEXT) | instid1(VALU_DEP_2)
	v_add3_u32 v34, v38, v34, v37
	v_add3_u32 v36, v40, v36, v39
	s_clause 0x1
	global_load_u8 v37, v[33:34], off
	global_load_u8 v38, v[35:36], off
	s_waitcnt vmcnt(0)
	v_cmpx_eq_u16_e64 v37, v38
	s_cbranch_execz .LBB226_330
; %bb.324:
	s_mov_b64 s[2:3], 1
	s_mov_b32 s29, 0
                                        ; implicit-def: $sgpr30
	s_set_inst_prefetch_distance 0x1
	s_branch .LBB226_327
	.p2align	6
.LBB226_325:                            ;   in Loop: Header=BB226_327 Depth=1
	v_add_co_u32 v37, vcc_lo, v33, s2
	v_add_co_ci_u32_e32 v38, vcc_lo, s3, v34, vcc_lo
	v_add_co_u32 v39, vcc_lo, v35, s2
	v_add_co_ci_u32_e32 v40, vcc_lo, s3, v36, vcc_lo
	s_add_u32 s4, s2, 1
	s_clause 0x1
	global_load_u8 v37, v[37:38], off
	global_load_u8 v38, v[39:40], off
	s_addc_u32 s5, s3, 0
	s_and_not1_b32 s30, s30, exec_lo
	s_waitcnt vmcnt(0)
	v_cmp_ne_u16_e32 vcc_lo, v37, v38
	s_and_b32 s31, vcc_lo, exec_lo
	s_delay_alu instid0(SALU_CYCLE_1)
	s_or_b32 s30, s30, s31
.LBB226_326:                            ;   in Loop: Header=BB226_327 Depth=1
	v_dual_mov_b32 v38, s3 :: v_dual_mov_b32 v37, s2
	s_and_b32 s31, exec_lo, s30
	s_mov_b64 s[2:3], s[4:5]
	s_or_b32 s29, s31, s29
	s_delay_alu instid0(SALU_CYCLE_1)
	s_and_not1_b32 exec_lo, exec_lo, s29
	s_cbranch_execz .LBB226_329
.LBB226_327:                            ; =>This Inner Loop Header: Depth=1
	s_or_b32 s30, s30, exec_lo
	s_cmp_eq_u64 s[22:23], s[2:3]
	s_cbranch_scc0 .LBB226_325
; %bb.328:                              ;   in Loop: Header=BB226_327 Depth=1
	s_mov_b64 s[2:3], s[22:23]
                                        ; implicit-def: $sgpr4_sgpr5
	s_branch .LBB226_326
.LBB226_329:
	s_set_inst_prefetch_distance 0x2
	s_or_b32 exec_lo, exec_lo, s29
	v_cmp_gt_i64_e32 vcc_lo, s[22:23], v[37:38]
	s_or_not1_b32 s2, vcc_lo, exec_lo
.LBB226_330:
	s_or_b32 exec_lo, exec_lo, s25
.LBB226_331:
	s_delay_alu instid0(SALU_CYCLE_1)
	s_and_b32 s25, s2, exec_lo
.LBB226_332:
	s_or_b32 exec_lo, exec_lo, s27
	v_or_b32_e32 v33, 3, v55
	s_mov_b32 s29, 0
	s_mov_b32 s27, 0
	s_mov_b32 s30, exec_lo
	s_delay_alu instid0(VALU_DEP_1)
	v_cmpx_gt_u32_e64 s28, v33
	s_cbranch_execz .LBB226_343
; %bb.333:
	s_and_not1_b32 vcc_lo, exec_lo, s7
	s_mov_b32 s2, 0
	s_cbranch_vccnz .LBB226_342
; %bb.334:
	v_mad_u64_u32 v[33:34], null, v25, s22, s[8:9]
	s_waitcnt lgkmcnt(0)
	v_mul_lo_u32 v37, v25, s23
	v_mul_lo_u32 v38, v26, s22
	v_mad_u64_u32 v[35:36], null, v27, s22, s[8:9]
	v_mul_lo_u32 v39, v27, s23
	v_mul_lo_u32 v40, v28, s22
	s_mov_b32 s2, -1
	s_mov_b32 s27, exec_lo
	s_delay_alu instid0(VALU_DEP_4) | instskip(NEXT) | instid1(VALU_DEP_2)
	v_add3_u32 v34, v38, v34, v37
	v_add3_u32 v36, v40, v36, v39
	s_clause 0x1
	global_load_u8 v37, v[33:34], off
	global_load_u8 v38, v[35:36], off
	s_waitcnt vmcnt(0)
	v_cmpx_eq_u16_e64 v37, v38
	s_cbranch_execz .LBB226_341
; %bb.335:
	s_mov_b64 s[2:3], 1
	s_mov_b32 s31, 0
                                        ; implicit-def: $sgpr33
	s_set_inst_prefetch_distance 0x1
	s_branch .LBB226_338
	.p2align	6
.LBB226_336:                            ;   in Loop: Header=BB226_338 Depth=1
	v_add_co_u32 v37, vcc_lo, v33, s2
	v_add_co_ci_u32_e32 v38, vcc_lo, s3, v34, vcc_lo
	v_add_co_u32 v39, vcc_lo, v35, s2
	v_add_co_ci_u32_e32 v40, vcc_lo, s3, v36, vcc_lo
	s_add_u32 s4, s2, 1
	s_clause 0x1
	global_load_u8 v37, v[37:38], off
	global_load_u8 v38, v[39:40], off
	s_addc_u32 s5, s3, 0
	s_and_not1_b32 s33, s33, exec_lo
	s_waitcnt vmcnt(0)
	v_cmp_ne_u16_e32 vcc_lo, v37, v38
	s_and_b32 s34, vcc_lo, exec_lo
	s_delay_alu instid0(SALU_CYCLE_1)
	s_or_b32 s33, s33, s34
.LBB226_337:                            ;   in Loop: Header=BB226_338 Depth=1
	v_dual_mov_b32 v38, s3 :: v_dual_mov_b32 v37, s2
	s_and_b32 s34, exec_lo, s33
	s_mov_b64 s[2:3], s[4:5]
	s_or_b32 s31, s34, s31
	s_delay_alu instid0(SALU_CYCLE_1)
	s_and_not1_b32 exec_lo, exec_lo, s31
	s_cbranch_execz .LBB226_340
.LBB226_338:                            ; =>This Inner Loop Header: Depth=1
	s_or_b32 s33, s33, exec_lo
	s_cmp_eq_u64 s[22:23], s[2:3]
	s_cbranch_scc0 .LBB226_336
; %bb.339:                              ;   in Loop: Header=BB226_338 Depth=1
	s_mov_b64 s[2:3], s[22:23]
                                        ; implicit-def: $sgpr4_sgpr5
	s_branch .LBB226_337
.LBB226_340:
	s_set_inst_prefetch_distance 0x2
	s_or_b32 exec_lo, exec_lo, s31
	v_cmp_gt_i64_e32 vcc_lo, s[22:23], v[37:38]
	s_or_not1_b32 s2, vcc_lo, exec_lo
.LBB226_341:
	s_or_b32 exec_lo, exec_lo, s27
.LBB226_342:
	s_delay_alu instid0(SALU_CYCLE_1)
	s_and_b32 s27, s2, exec_lo
.LBB226_343:
	s_or_b32 exec_lo, exec_lo, s30
	v_or_b32_e32 v33, 2, v55
	s_mov_b32 s30, exec_lo
	s_delay_alu instid0(VALU_DEP_1)
	v_cmpx_gt_u32_e64 s28, v33
	s_cbranch_execz .LBB226_354
; %bb.344:
	s_and_not1_b32 vcc_lo, exec_lo, s7
	s_mov_b32 s2, 0
	s_cbranch_vccnz .LBB226_353
; %bb.345:
	v_mad_u64_u32 v[33:34], null, v31, s22, s[8:9]
	s_waitcnt lgkmcnt(0)
	v_mul_lo_u32 v37, v31, s23
	v_mul_lo_u32 v38, v32, s22
	v_mad_u64_u32 v[35:36], null, v25, s22, s[8:9]
	v_mul_lo_u32 v39, v25, s23
	v_mul_lo_u32 v40, v26, s22
	s_mov_b32 s2, -1
	s_mov_b32 s29, exec_lo
	s_delay_alu instid0(VALU_DEP_4) | instskip(NEXT) | instid1(VALU_DEP_2)
	v_add3_u32 v34, v38, v34, v37
	v_add3_u32 v36, v40, v36, v39
	s_clause 0x1
	global_load_u8 v37, v[33:34], off
	global_load_u8 v38, v[35:36], off
	s_waitcnt vmcnt(0)
	v_cmpx_eq_u16_e64 v37, v38
	s_cbranch_execz .LBB226_352
; %bb.346:
	s_mov_b64 s[2:3], 1
	s_mov_b32 s31, 0
                                        ; implicit-def: $sgpr33
	s_set_inst_prefetch_distance 0x1
	s_branch .LBB226_349
	.p2align	6
.LBB226_347:                            ;   in Loop: Header=BB226_349 Depth=1
	v_add_co_u32 v37, vcc_lo, v33, s2
	v_add_co_ci_u32_e32 v38, vcc_lo, s3, v34, vcc_lo
	v_add_co_u32 v39, vcc_lo, v35, s2
	v_add_co_ci_u32_e32 v40, vcc_lo, s3, v36, vcc_lo
	s_add_u32 s4, s2, 1
	s_clause 0x1
	global_load_u8 v37, v[37:38], off
	global_load_u8 v38, v[39:40], off
	s_addc_u32 s5, s3, 0
	s_and_not1_b32 s33, s33, exec_lo
	s_waitcnt vmcnt(0)
	v_cmp_ne_u16_e32 vcc_lo, v37, v38
	s_and_b32 s34, vcc_lo, exec_lo
	s_delay_alu instid0(SALU_CYCLE_1)
	s_or_b32 s33, s33, s34
.LBB226_348:                            ;   in Loop: Header=BB226_349 Depth=1
	v_dual_mov_b32 v38, s3 :: v_dual_mov_b32 v37, s2
	s_and_b32 s34, exec_lo, s33
	s_mov_b64 s[2:3], s[4:5]
	s_or_b32 s31, s34, s31
	s_delay_alu instid0(SALU_CYCLE_1)
	s_and_not1_b32 exec_lo, exec_lo, s31
	s_cbranch_execz .LBB226_351
.LBB226_349:                            ; =>This Inner Loop Header: Depth=1
	s_or_b32 s33, s33, exec_lo
	s_cmp_eq_u64 s[22:23], s[2:3]
	s_cbranch_scc0 .LBB226_347
; %bb.350:                              ;   in Loop: Header=BB226_349 Depth=1
	s_mov_b64 s[2:3], s[22:23]
                                        ; implicit-def: $sgpr4_sgpr5
	s_branch .LBB226_348
.LBB226_351:
	s_set_inst_prefetch_distance 0x2
	s_or_b32 exec_lo, exec_lo, s31
	v_cmp_gt_i64_e32 vcc_lo, s[22:23], v[37:38]
	s_or_not1_b32 s2, vcc_lo, exec_lo
.LBB226_352:
	s_or_b32 exec_lo, exec_lo, s29
.LBB226_353:
	s_delay_alu instid0(SALU_CYCLE_1)
	s_and_b32 s29, s2, exec_lo
.LBB226_354:
	s_or_b32 exec_lo, exec_lo, s30
	v_or_b32_e32 v33, 1, v55
	s_mov_b32 s2, 0
	s_mov_b32 s30, exec_lo
	s_delay_alu instid0(VALU_DEP_1)
	v_cmpx_gt_u32_e64 s28, v33
	s_cbranch_execz .LBB226_365
; %bb.355:
	s_and_not1_b32 vcc_lo, exec_lo, s7
	s_cbranch_vccnz .LBB226_364
; %bb.356:
	v_mad_u64_u32 v[33:34], null, v29, s22, s[8:9]
	s_waitcnt lgkmcnt(0)
	v_mul_lo_u32 v37, v29, s23
	v_mul_lo_u32 v38, v30, s22
	v_mad_u64_u32 v[35:36], null, v31, s22, s[8:9]
	v_mul_lo_u32 v39, v31, s23
	v_mul_lo_u32 v40, v32, s22
	s_mov_b32 s2, -1
	s_mov_b32 s31, exec_lo
	s_delay_alu instid0(VALU_DEP_4) | instskip(NEXT) | instid1(VALU_DEP_2)
	v_add3_u32 v34, v38, v34, v37
	v_add3_u32 v36, v40, v36, v39
	s_clause 0x1
	global_load_u8 v37, v[33:34], off
	global_load_u8 v38, v[35:36], off
	s_waitcnt vmcnt(0)
	v_cmpx_eq_u16_e64 v37, v38
	s_cbranch_execz .LBB226_363
; %bb.357:
	s_mov_b64 s[2:3], 1
	s_mov_b32 s33, 0
                                        ; implicit-def: $sgpr34
	s_set_inst_prefetch_distance 0x1
	s_branch .LBB226_360
	.p2align	6
.LBB226_358:                            ;   in Loop: Header=BB226_360 Depth=1
	v_add_co_u32 v37, vcc_lo, v33, s2
	v_add_co_ci_u32_e32 v38, vcc_lo, s3, v34, vcc_lo
	v_add_co_u32 v39, vcc_lo, v35, s2
	v_add_co_ci_u32_e32 v40, vcc_lo, s3, v36, vcc_lo
	s_add_u32 s4, s2, 1
	s_clause 0x1
	global_load_u8 v37, v[37:38], off
	global_load_u8 v38, v[39:40], off
	s_addc_u32 s5, s3, 0
	s_and_not1_b32 s34, s34, exec_lo
	s_waitcnt vmcnt(0)
	v_cmp_ne_u16_e32 vcc_lo, v37, v38
	s_and_b32 s35, vcc_lo, exec_lo
	s_delay_alu instid0(SALU_CYCLE_1)
	s_or_b32 s34, s34, s35
.LBB226_359:                            ;   in Loop: Header=BB226_360 Depth=1
	v_dual_mov_b32 v38, s3 :: v_dual_mov_b32 v37, s2
	s_and_b32 s35, exec_lo, s34
	s_mov_b64 s[2:3], s[4:5]
	s_or_b32 s33, s35, s33
	s_delay_alu instid0(SALU_CYCLE_1)
	s_and_not1_b32 exec_lo, exec_lo, s33
	s_cbranch_execz .LBB226_362
.LBB226_360:                            ; =>This Inner Loop Header: Depth=1
	s_or_b32 s34, s34, exec_lo
	s_cmp_eq_u64 s[22:23], s[2:3]
	s_cbranch_scc0 .LBB226_358
; %bb.361:                              ;   in Loop: Header=BB226_360 Depth=1
	s_mov_b64 s[2:3], s[22:23]
                                        ; implicit-def: $sgpr4_sgpr5
	s_branch .LBB226_359
.LBB226_362:
	s_set_inst_prefetch_distance 0x2
	s_or_b32 exec_lo, exec_lo, s33
	v_cmp_gt_i64_e32 vcc_lo, s[22:23], v[37:38]
	s_or_not1_b32 s2, vcc_lo, exec_lo
.LBB226_363:
	s_or_b32 exec_lo, exec_lo, s31
.LBB226_364:
	s_delay_alu instid0(SALU_CYCLE_1)
	s_and_b32 s2, s2, exec_lo
.LBB226_365:
	s_or_b32 exec_lo, exec_lo, s30
	v_cndmask_b32_e64 v34, 0, 1, s27
	s_waitcnt lgkmcnt(0)
	v_cndmask_b32_e64 v35, 0, 1, s26
	v_cndmask_b32_e64 v36, 0, 1, s24
	;; [unrolled: 1-line block ×6, first 2 shown]
	v_lshlrev_b16 v35, 8, v35
	v_lshlrev_b16 v36, 8, v36
	;; [unrolled: 1-line block ×4, first 2 shown]
	s_mov_b32 s19, exec_lo
	v_or_b32_e32 v35, v38, v35
	v_or_b32_e32 v36, v39, v36
	;; [unrolled: 1-line block ×4, first 2 shown]
	s_delay_alu instid0(VALU_DEP_4) | instskip(NEXT) | instid1(VALU_DEP_4)
	v_and_b32_e32 v34, 0xffff, v35
	v_lshlrev_b32_e32 v35, 16, v36
	s_delay_alu instid0(VALU_DEP_4) | instskip(NEXT) | instid1(VALU_DEP_4)
	v_and_b32_e32 v36, 0xffff, v37
	v_lshlrev_b32_e32 v33, 16, v33
	s_barrier
	buffer_gl0_inv
	v_or_b32_e32 v34, v34, v35
                                        ; implicit-def: $sgpr2
	v_or_b32_e32 v33, v36, v33
	v_cmpx_ne_u32_e32 0, v0
	s_cbranch_execz .LBB226_378
; %bb.366:
	s_mov_b32 s2, 0
	s_mov_b32 s24, exec_lo
	v_cmpx_gt_u32_e64 s28, v55
	s_cbranch_execz .LBB226_377
; %bb.367:
	s_and_not1_b32 vcc_lo, exec_lo, s7
	s_cbranch_vccnz .LBB226_376
; %bb.368:
	v_add_nc_u32_e32 v35, -8, v55
	v_mul_lo_u32 v41, v29, s23
	s_mov_b32 s2, -1
	s_mov_b32 s7, exec_lo
	ds_load_b64 v[39:40], v35
	v_mad_u64_u32 v[35:36], null, v29, s22, s[8:9]
	s_waitcnt lgkmcnt(0)
	v_mul_lo_u32 v42, v39, s23
	v_mul_lo_u32 v40, v40, s22
	v_mad_u64_u32 v[37:38], null, v39, s22, s[8:9]
	v_mul_lo_u32 v39, v30, s22
	s_delay_alu instid0(VALU_DEP_2) | instskip(NEXT) | instid1(VALU_DEP_2)
	v_add3_u32 v38, v40, v38, v42
	v_add3_u32 v36, v39, v36, v41
	s_clause 0x1
	global_load_u8 v39, v[37:38], off
	global_load_u8 v40, v[35:36], off
	s_waitcnt vmcnt(0)
	v_cmpx_eq_u16_e64 v39, v40
	s_cbranch_execz .LBB226_375
; %bb.369:
	s_mov_b64 s[2:3], 1
	s_mov_b32 s8, 0
                                        ; implicit-def: $sgpr9
	s_set_inst_prefetch_distance 0x1
	s_branch .LBB226_372
	.p2align	6
.LBB226_370:                            ;   in Loop: Header=BB226_372 Depth=1
	v_add_co_u32 v39, vcc_lo, v37, s2
	v_add_co_ci_u32_e32 v40, vcc_lo, s3, v38, vcc_lo
	v_add_co_u32 v41, vcc_lo, v35, s2
	v_add_co_ci_u32_e32 v42, vcc_lo, s3, v36, vcc_lo
	s_add_u32 s4, s2, 1
	s_clause 0x1
	global_load_u8 v39, v[39:40], off
	global_load_u8 v40, v[41:42], off
	s_addc_u32 s5, s3, 0
	s_and_not1_b32 s9, s9, exec_lo
	s_waitcnt vmcnt(0)
	v_cmp_ne_u16_e32 vcc_lo, v39, v40
	s_and_b32 s25, vcc_lo, exec_lo
	s_delay_alu instid0(SALU_CYCLE_1)
	s_or_b32 s9, s9, s25
.LBB226_371:                            ;   in Loop: Header=BB226_372 Depth=1
	v_dual_mov_b32 v40, s3 :: v_dual_mov_b32 v39, s2
	s_and_b32 s25, exec_lo, s9
	s_mov_b64 s[2:3], s[4:5]
	s_or_b32 s8, s25, s8
	s_delay_alu instid0(SALU_CYCLE_1)
	s_and_not1_b32 exec_lo, exec_lo, s8
	s_cbranch_execz .LBB226_374
.LBB226_372:                            ; =>This Inner Loop Header: Depth=1
	s_or_b32 s9, s9, exec_lo
	s_cmp_eq_u64 s[22:23], s[2:3]
	s_cbranch_scc0 .LBB226_370
; %bb.373:                              ;   in Loop: Header=BB226_372 Depth=1
	s_mov_b64 s[2:3], s[22:23]
                                        ; implicit-def: $sgpr4_sgpr5
	s_branch .LBB226_371
.LBB226_374:
	s_set_inst_prefetch_distance 0x2
	s_or_b32 exec_lo, exec_lo, s8
	v_cmp_gt_i64_e32 vcc_lo, s[22:23], v[39:40]
	s_or_not1_b32 s2, vcc_lo, exec_lo
.LBB226_375:
	s_or_b32 exec_lo, exec_lo, s7
.LBB226_376:
	s_delay_alu instid0(SALU_CYCLE_1)
	s_and_b32 s2, s2, exec_lo
.LBB226_377:
	s_or_b32 exec_lo, exec_lo, s24
	s_delay_alu instid0(SALU_CYCLE_1)
	s_and_b32 s2, s2, exec_lo
	s_or_b32 s6, s6, exec_lo
.LBB226_378:
	s_or_b32 exec_lo, exec_lo, s19
.LBB226_379:
	s_and_saveexec_b32 s3, s6
	s_cbranch_execz .LBB226_381
; %bb.380:
	s_waitcnt lgkmcnt(0)
	v_and_b32_e32 v35, 0xffffff00, v33
	v_cndmask_b32_e64 v36, 0, 1, s2
	s_delay_alu instid0(VALU_DEP_1) | instskip(NEXT) | instid1(VALU_DEP_1)
	v_or_b32_e32 v35, v36, v35
	v_and_b32_e32 v35, 0xffff, v35
	s_delay_alu instid0(VALU_DEP_1)
	v_and_or_b32 v33, 0xffff0000, v33, v35
.LBB226_381:
	s_or_b32 exec_lo, exec_lo, s3
	s_delay_alu instid0(SALU_CYCLE_1)
	s_and_not1_b32 vcc_lo, exec_lo, s21
	s_cbranch_vccnz .LBB226_383
; %bb.382:
	v_cmp_gt_u32_e32 vcc_lo, s28, v55
	s_waitcnt lgkmcnt(0)
	v_or_b32_e32 v36, 1, v55
	v_and_b32_e32 v37, 0xffffff00, v34
	v_or_b32_e32 v38, 2, v55
	v_cndmask_b32_e32 v35, 0, v33, vcc_lo
	s_delay_alu instid0(VALU_DEP_4) | instskip(SKIP_1) | instid1(VALU_DEP_4)
	v_cmp_gt_u32_e32 vcc_lo, s28, v36
	v_or_b32_e32 v36, 4, v55
	v_cmp_gt_u32_e64 s2, s28, v38
	v_or_b32_e32 v38, 3, v55
	v_and_b32_e32 v35, 0xff, v35
	s_delay_alu instid0(VALU_DEP_2) | instskip(NEXT) | instid1(VALU_DEP_2)
	v_cmp_gt_u32_e64 s3, s28, v38
	v_cndmask_b32_e32 v35, v35, v33, vcc_lo
	v_cmp_gt_u32_e32 vcc_lo, s28, v36
	v_cndmask_b32_e32 v36, v37, v34, vcc_lo
	v_or_b32_e32 v37, 5, v55
	s_delay_alu instid0(VALU_DEP_2) | instskip(SKIP_1) | instid1(VALU_DEP_1)
	v_and_b32_e32 v36, 0xffff00ff, v36
	v_and_b32_e32 v35, 0xffff, v35
	v_cndmask_b32_e64 v35, v35, v33, s2
	s_delay_alu instid0(VALU_DEP_4) | instskip(SKIP_1) | instid1(VALU_DEP_3)
	v_cmp_gt_u32_e64 s2, s28, v37
	v_or_b32_e32 v37, 6, v55
	v_and_b32_e32 v35, 0xffffff, v35
	s_delay_alu instid0(VALU_DEP_3) | instskip(NEXT) | instid1(VALU_DEP_2)
	v_cndmask_b32_e64 v36, v36, v34, s2
	v_cndmask_b32_e64 v35, v35, v33, s3
	s_delay_alu instid0(VALU_DEP_1) | instskip(SKIP_2) | instid1(VALU_DEP_3)
	v_dual_cndmask_b32 v35, v35, v33 :: v_dual_and_b32 v36, 0xff00ffff, v36
	v_cmp_gt_u32_e32 vcc_lo, s28, v37
	v_or_b32_e32 v37, 7, v55
	v_cndmask_b32_e64 v35, v35, v33, s2
	s_delay_alu instid0(VALU_DEP_1) | instskip(NEXT) | instid1(VALU_DEP_1)
	v_dual_cndmask_b32 v36, v36, v34 :: v_dual_cndmask_b32 v35, v35, v33
	v_and_b32_e32 v36, 0xffffff, v36
	s_delay_alu instid0(VALU_DEP_4) | instskip(NEXT) | instid1(VALU_DEP_2)
	v_cmp_gt_u32_e32 vcc_lo, s28, v37
	v_dual_cndmask_b32 v34, v36, v34 :: v_dual_cndmask_b32 v33, v35, v33
.LBB226_383:
	s_delay_alu instid0(VALU_DEP_1) | instskip(SKIP_1) | instid1(VALU_DEP_2)
	v_and_b32_e32 v42, 0xff, v33
	s_waitcnt lgkmcnt(0)
	v_alignbit_b32 v35, v34, v33, 24
	v_bfe_u32 v44, v33, 8, 8
	v_bfe_u32 v46, v33, 16, 8
	v_and_b32_e32 v50, 0xff, v34
	v_bfe_u32 v52, v34, 8, 8
	v_and_b32_e32 v48, 0xff, v35
	v_add_nc_u32_e32 v35, v44, v42
	v_mbcnt_lo_u32_b32 v57, -1, 0
	v_bfe_u32 v54, v34, 16, 8
	v_lshrrev_b32_e32 v56, 24, v34
	v_lshrrev_b32_e32 v58, 5, v0
	v_add3_u32 v35, v35, v46, v48
	v_and_b32_e32 v36, 15, v57
	v_and_b32_e32 v37, 16, v57
	s_and_b32 vcc_lo, exec_lo, s18
	s_mov_b32 s9, -1
	v_add3_u32 v35, v35, v50, v52
	v_cmp_eq_u32_e64 s4, 0, v36
	v_cmp_lt_u32_e64 s2, 1, v36
	v_cmp_lt_u32_e64 s5, 3, v36
	;; [unrolled: 1-line block ×3, first 2 shown]
	v_add3_u32 v59, v35, v54, v56
	v_or_b32_e32 v35, 31, v0
	v_cmp_eq_u32_e64 s7, 0, v37
	s_barrier
	buffer_gl0_inv
	v_cmp_eq_u32_e64 s6, v35, v0
	s_cbranch_vccz .LBB226_414
; %bb.384:
	v_mov_b32_dpp v35, v59 row_shr:1 row_mask:0xf bank_mask:0xf
	s_delay_alu instid0(VALU_DEP_1) | instskip(NEXT) | instid1(VALU_DEP_1)
	v_cndmask_b32_e64 v35, v35, 0, s4
	v_add_nc_u32_e32 v35, v35, v59
	s_delay_alu instid0(VALU_DEP_1) | instskip(NEXT) | instid1(VALU_DEP_1)
	v_mov_b32_dpp v36, v35 row_shr:2 row_mask:0xf bank_mask:0xf
	v_cndmask_b32_e64 v36, 0, v36, s2
	s_delay_alu instid0(VALU_DEP_1) | instskip(NEXT) | instid1(VALU_DEP_1)
	v_add_nc_u32_e32 v35, v35, v36
	v_mov_b32_dpp v36, v35 row_shr:4 row_mask:0xf bank_mask:0xf
	s_delay_alu instid0(VALU_DEP_1) | instskip(NEXT) | instid1(VALU_DEP_1)
	v_cndmask_b32_e64 v36, 0, v36, s5
	v_add_nc_u32_e32 v35, v35, v36
	s_delay_alu instid0(VALU_DEP_1) | instskip(NEXT) | instid1(VALU_DEP_1)
	v_mov_b32_dpp v36, v35 row_shr:8 row_mask:0xf bank_mask:0xf
	v_cndmask_b32_e64 v36, 0, v36, s3
	s_delay_alu instid0(VALU_DEP_1) | instskip(SKIP_3) | instid1(VALU_DEP_1)
	v_add_nc_u32_e32 v35, v35, v36
	ds_swizzle_b32 v36, v35 offset:swizzle(BROADCAST,32,15)
	s_waitcnt lgkmcnt(0)
	v_cndmask_b32_e64 v36, v36, 0, s7
	v_add_nc_u32_e32 v35, v35, v36
	s_and_saveexec_b32 s8, s6
	s_cbranch_execz .LBB226_386
; %bb.385:
	v_lshlrev_b32_e32 v36, 2, v58
	ds_store_b32 v36, v35
.LBB226_386:
	s_or_b32 exec_lo, exec_lo, s8
	s_delay_alu instid0(SALU_CYCLE_1)
	s_mov_b32 s8, exec_lo
	s_waitcnt lgkmcnt(0)
	s_barrier
	buffer_gl0_inv
	v_cmpx_gt_u32_e32 16, v0
	s_cbranch_execz .LBB226_388
; %bb.387:
	v_lshlrev_b32_e32 v36, 2, v0
	ds_load_b32 v37, v36
	s_waitcnt lgkmcnt(0)
	v_mov_b32_dpp v38, v37 row_shr:1 row_mask:0xf bank_mask:0xf
	s_delay_alu instid0(VALU_DEP_1) | instskip(NEXT) | instid1(VALU_DEP_1)
	v_cndmask_b32_e64 v38, v38, 0, s4
	v_add_nc_u32_e32 v37, v38, v37
	s_delay_alu instid0(VALU_DEP_1) | instskip(NEXT) | instid1(VALU_DEP_1)
	v_mov_b32_dpp v38, v37 row_shr:2 row_mask:0xf bank_mask:0xf
	v_cndmask_b32_e64 v38, 0, v38, s2
	s_delay_alu instid0(VALU_DEP_1) | instskip(NEXT) | instid1(VALU_DEP_1)
	v_add_nc_u32_e32 v37, v37, v38
	v_mov_b32_dpp v38, v37 row_shr:4 row_mask:0xf bank_mask:0xf
	s_delay_alu instid0(VALU_DEP_1) | instskip(NEXT) | instid1(VALU_DEP_1)
	v_cndmask_b32_e64 v38, 0, v38, s5
	v_add_nc_u32_e32 v37, v37, v38
	s_delay_alu instid0(VALU_DEP_1) | instskip(NEXT) | instid1(VALU_DEP_1)
	v_mov_b32_dpp v38, v37 row_shr:8 row_mask:0xf bank_mask:0xf
	v_cndmask_b32_e64 v38, 0, v38, s3
	s_delay_alu instid0(VALU_DEP_1)
	v_add_nc_u32_e32 v37, v37, v38
	ds_store_b32 v36, v37
.LBB226_388:
	s_or_b32 exec_lo, exec_lo, s8
	v_cmp_gt_u32_e32 vcc_lo, 32, v0
	s_mov_b32 s9, exec_lo
	s_waitcnt lgkmcnt(0)
	s_barrier
	buffer_gl0_inv
                                        ; implicit-def: $vgpr43
	v_cmpx_lt_u32_e32 31, v0
	s_cbranch_execz .LBB226_390
; %bb.389:
	v_lshl_add_u32 v36, v58, 2, -4
	ds_load_b32 v43, v36
	s_waitcnt lgkmcnt(0)
	v_add_nc_u32_e32 v35, v43, v35
.LBB226_390:
	s_or_b32 exec_lo, exec_lo, s9
	v_add_nc_u32_e32 v36, -1, v57
	s_delay_alu instid0(VALU_DEP_1) | instskip(NEXT) | instid1(VALU_DEP_1)
	v_cmp_gt_i32_e64 s8, 0, v36
	v_cndmask_b32_e64 v36, v36, v57, s8
	v_cmp_eq_u32_e64 s8, 0, v57
	s_delay_alu instid0(VALU_DEP_2)
	v_lshlrev_b32_e32 v36, 2, v36
	ds_bpermute_b32 v45, v36, v35
	s_and_saveexec_b32 s9, vcc_lo
	s_cbranch_execz .LBB226_413
; %bb.391:
	v_mov_b32_e32 v38, 0
	ds_load_b32 v35, v38 offset:60
	s_and_saveexec_b32 s18, s8
	s_cbranch_execz .LBB226_393
; %bb.392:
	s_add_i32 s22, s15, 32
	s_mov_b32 s23, 0
	v_mov_b32_e32 v36, 1
	s_lshl_b64 s[22:23], s[22:23], 3
	s_delay_alu instid0(SALU_CYCLE_1)
	s_add_u32 s22, s10, s22
	s_addc_u32 s23, s11, s23
	s_waitcnt lgkmcnt(0)
	global_store_b64 v38, v[35:36], s[22:23]
.LBB226_393:
	s_or_b32 exec_lo, exec_lo, s18
	v_xad_u32 v36, v57, -1, s15
	s_mov_b32 s19, 0
	s_mov_b32 s18, exec_lo
	s_delay_alu instid0(VALU_DEP_1) | instskip(NEXT) | instid1(VALU_DEP_1)
	v_add_nc_u32_e32 v37, 32, v36
	v_lshlrev_b64 v[37:38], 3, v[37:38]
	s_delay_alu instid0(VALU_DEP_1) | instskip(NEXT) | instid1(VALU_DEP_2)
	v_add_co_u32 v40, vcc_lo, s10, v37
	v_add_co_ci_u32_e32 v41, vcc_lo, s11, v38, vcc_lo
	global_load_b64 v[38:39], v[40:41], off glc
	s_waitcnt vmcnt(0)
	v_and_b32_e32 v37, 0xff, v39
	s_delay_alu instid0(VALU_DEP_1)
	v_cmpx_eq_u16_e32 0, v37
	s_cbranch_execz .LBB226_399
; %bb.394:
	s_mov_b32 s21, 1
	.p2align	6
.LBB226_395:                            ; =>This Loop Header: Depth=1
                                        ;     Child Loop BB226_396 Depth 2
	s_delay_alu instid0(SALU_CYCLE_1)
	s_max_u32 s22, s21, 1
.LBB226_396:                            ;   Parent Loop BB226_395 Depth=1
                                        ; =>  This Inner Loop Header: Depth=2
	s_delay_alu instid0(SALU_CYCLE_1)
	s_add_i32 s22, s22, -1
	s_sleep 1
	s_cmp_eq_u32 s22, 0
	s_cbranch_scc0 .LBB226_396
; %bb.397:                              ;   in Loop: Header=BB226_395 Depth=1
	global_load_b64 v[38:39], v[40:41], off glc
	s_cmp_lt_u32 s21, 32
	s_cselect_b32 s22, -1, 0
	s_delay_alu instid0(SALU_CYCLE_1) | instskip(SKIP_3) | instid1(VALU_DEP_1)
	s_cmp_lg_u32 s22, 0
	s_addc_u32 s21, s21, 0
	s_waitcnt vmcnt(0)
	v_and_b32_e32 v37, 0xff, v39
	v_cmp_ne_u16_e32 vcc_lo, 0, v37
	s_or_b32 s19, vcc_lo, s19
	s_delay_alu instid0(SALU_CYCLE_1)
	s_and_not1_b32 exec_lo, exec_lo, s19
	s_cbranch_execnz .LBB226_395
; %bb.398:
	s_or_b32 exec_lo, exec_lo, s19
.LBB226_399:
	s_delay_alu instid0(SALU_CYCLE_1)
	s_or_b32 exec_lo, exec_lo, s18
	v_cmp_ne_u32_e32 vcc_lo, 31, v57
	v_lshlrev_b32_e64 v49, v57, -1
	v_add_nc_u32_e32 v53, 2, v57
	v_add_nc_u32_e32 v62, 4, v57
	;; [unrolled: 1-line block ×3, first 2 shown]
	v_add_co_ci_u32_e32 v37, vcc_lo, 0, v57, vcc_lo
	v_add_nc_u32_e32 v66, 16, v57
	s_delay_alu instid0(VALU_DEP_2)
	v_lshlrev_b32_e32 v47, 2, v37
	v_and_b32_e32 v37, 0xff, v39
	ds_bpermute_b32 v40, v47, v38
	v_cmp_eq_u16_e32 vcc_lo, 2, v37
	v_and_or_b32 v37, vcc_lo, v49, 0x80000000
	v_cmp_gt_u32_e32 vcc_lo, 30, v57
	s_delay_alu instid0(VALU_DEP_2) | instskip(SKIP_1) | instid1(VALU_DEP_2)
	v_ctz_i32_b32_e32 v37, v37
	v_cndmask_b32_e64 v41, 0, 1, vcc_lo
	v_cmp_lt_u32_e32 vcc_lo, v57, v37
	s_waitcnt lgkmcnt(0)
	s_delay_alu instid0(VALU_DEP_2) | instskip(NEXT) | instid1(VALU_DEP_1)
	v_dual_cndmask_b32 v40, 0, v40 :: v_dual_lshlrev_b32 v41, 1, v41
	v_add_lshl_u32 v51, v41, v57, 2
	v_cmp_gt_u32_e32 vcc_lo, 28, v57
	s_delay_alu instid0(VALU_DEP_3) | instskip(SKIP_4) | instid1(VALU_DEP_1)
	v_add_nc_u32_e32 v38, v40, v38
	v_cndmask_b32_e64 v41, 0, 1, vcc_lo
	v_cmp_le_u32_e32 vcc_lo, v53, v37
	ds_bpermute_b32 v40, v51, v38
	v_lshlrev_b32_e32 v41, 2, v41
	v_add_lshl_u32 v60, v41, v57, 2
	s_waitcnt lgkmcnt(0)
	v_cndmask_b32_e32 v40, 0, v40, vcc_lo
	v_cmp_gt_u32_e32 vcc_lo, 24, v57
	s_delay_alu instid0(VALU_DEP_2) | instskip(SKIP_4) | instid1(VALU_DEP_1)
	v_add_nc_u32_e32 v38, v38, v40
	v_cndmask_b32_e64 v41, 0, 1, vcc_lo
	v_cmp_le_u32_e32 vcc_lo, v62, v37
	ds_bpermute_b32 v40, v60, v38
	v_lshlrev_b32_e32 v41, 3, v41
	v_add_lshl_u32 v63, v41, v57, 2
	s_waitcnt lgkmcnt(0)
	v_cndmask_b32_e32 v40, 0, v40, vcc_lo
	v_cmp_gt_u32_e32 vcc_lo, 16, v57
	s_delay_alu instid0(VALU_DEP_2) | instskip(SKIP_4) | instid1(VALU_DEP_1)
	v_add_nc_u32_e32 v38, v38, v40
	v_cndmask_b32_e64 v41, 0, 1, vcc_lo
	v_cmp_le_u32_e32 vcc_lo, v64, v37
	ds_bpermute_b32 v40, v63, v38
	v_lshlrev_b32_e32 v41, 4, v41
	v_add_lshl_u32 v65, v41, v57, 2
	s_waitcnt lgkmcnt(0)
	v_cndmask_b32_e32 v40, 0, v40, vcc_lo
	v_cmp_le_u32_e32 vcc_lo, v66, v37
	s_delay_alu instid0(VALU_DEP_2) | instskip(SKIP_3) | instid1(VALU_DEP_1)
	v_add_nc_u32_e32 v38, v38, v40
	ds_bpermute_b32 v40, v65, v38
	s_waitcnt lgkmcnt(0)
	v_cndmask_b32_e32 v37, 0, v40, vcc_lo
	v_dual_mov_b32 v37, 0 :: v_dual_add_nc_u32 v38, v38, v37
	s_branch .LBB226_401
.LBB226_400:                            ;   in Loop: Header=BB226_401 Depth=1
	s_or_b32 exec_lo, exec_lo, s18
	ds_bpermute_b32 v41, v47, v38
	v_and_b32_e32 v40, 0xff, v39
	v_subrev_nc_u32_e32 v36, 32, v36
	s_delay_alu instid0(VALU_DEP_2) | instskip(SKIP_1) | instid1(VALU_DEP_1)
	v_cmp_eq_u16_e32 vcc_lo, 2, v40
	v_and_or_b32 v40, vcc_lo, v49, 0x80000000
	v_ctz_i32_b32_e32 v40, v40
	s_delay_alu instid0(VALU_DEP_1) | instskip(SKIP_3) | instid1(VALU_DEP_2)
	v_cmp_lt_u32_e32 vcc_lo, v57, v40
	s_waitcnt lgkmcnt(0)
	v_cndmask_b32_e32 v41, 0, v41, vcc_lo
	v_cmp_le_u32_e32 vcc_lo, v53, v40
	v_add_nc_u32_e32 v38, v41, v38
	ds_bpermute_b32 v41, v51, v38
	s_waitcnt lgkmcnt(0)
	v_cndmask_b32_e32 v41, 0, v41, vcc_lo
	v_cmp_le_u32_e32 vcc_lo, v62, v40
	s_delay_alu instid0(VALU_DEP_2) | instskip(SKIP_4) | instid1(VALU_DEP_2)
	v_add_nc_u32_e32 v38, v38, v41
	ds_bpermute_b32 v41, v60, v38
	s_waitcnt lgkmcnt(0)
	v_cndmask_b32_e32 v41, 0, v41, vcc_lo
	v_cmp_le_u32_e32 vcc_lo, v64, v40
	v_add_nc_u32_e32 v38, v38, v41
	ds_bpermute_b32 v41, v63, v38
	s_waitcnt lgkmcnt(0)
	v_cndmask_b32_e32 v41, 0, v41, vcc_lo
	v_cmp_le_u32_e32 vcc_lo, v66, v40
	s_delay_alu instid0(VALU_DEP_2) | instskip(SKIP_3) | instid1(VALU_DEP_1)
	v_add_nc_u32_e32 v38, v38, v41
	ds_bpermute_b32 v41, v65, v38
	s_waitcnt lgkmcnt(0)
	v_cndmask_b32_e32 v40, 0, v41, vcc_lo
	v_add3_u32 v38, v40, v61, v38
.LBB226_401:                            ; =>This Loop Header: Depth=1
                                        ;     Child Loop BB226_404 Depth 2
                                        ;       Child Loop BB226_405 Depth 3
	v_and_b32_e32 v39, 0xff, v39
	s_delay_alu instid0(VALU_DEP_2) | instskip(NEXT) | instid1(VALU_DEP_2)
	v_mov_b32_e32 v61, v38
	v_cmp_ne_u16_e32 vcc_lo, 2, v39
	v_cndmask_b32_e64 v39, 0, 1, vcc_lo
	;;#ASMSTART
	;;#ASMEND
	s_delay_alu instid0(VALU_DEP_1)
	v_cmp_ne_u32_e32 vcc_lo, 0, v39
	s_cmp_lg_u32 vcc_lo, exec_lo
	s_cbranch_scc1 .LBB226_408
; %bb.402:                              ;   in Loop: Header=BB226_401 Depth=1
	v_lshlrev_b64 v[38:39], 3, v[36:37]
	s_mov_b32 s18, exec_lo
	s_delay_alu instid0(VALU_DEP_1) | instskip(NEXT) | instid1(VALU_DEP_2)
	v_add_co_u32 v40, vcc_lo, s10, v38
	v_add_co_ci_u32_e32 v41, vcc_lo, s11, v39, vcc_lo
	global_load_b64 v[38:39], v[40:41], off glc
	s_waitcnt vmcnt(0)
	v_and_b32_e32 v67, 0xff, v39
	s_delay_alu instid0(VALU_DEP_1)
	v_cmpx_eq_u16_e32 0, v67
	s_cbranch_execz .LBB226_400
; %bb.403:                              ;   in Loop: Header=BB226_401 Depth=1
	s_mov_b32 s21, 1
	s_mov_b32 s19, 0
	.p2align	6
.LBB226_404:                            ;   Parent Loop BB226_401 Depth=1
                                        ; =>  This Loop Header: Depth=2
                                        ;       Child Loop BB226_405 Depth 3
	s_max_u32 s22, s21, 1
.LBB226_405:                            ;   Parent Loop BB226_401 Depth=1
                                        ;     Parent Loop BB226_404 Depth=2
                                        ; =>    This Inner Loop Header: Depth=3
	s_delay_alu instid0(SALU_CYCLE_1)
	s_add_i32 s22, s22, -1
	s_sleep 1
	s_cmp_eq_u32 s22, 0
	s_cbranch_scc0 .LBB226_405
; %bb.406:                              ;   in Loop: Header=BB226_404 Depth=2
	global_load_b64 v[38:39], v[40:41], off glc
	s_cmp_lt_u32 s21, 32
	s_cselect_b32 s22, -1, 0
	s_delay_alu instid0(SALU_CYCLE_1) | instskip(SKIP_3) | instid1(VALU_DEP_1)
	s_cmp_lg_u32 s22, 0
	s_addc_u32 s21, s21, 0
	s_waitcnt vmcnt(0)
	v_and_b32_e32 v67, 0xff, v39
	v_cmp_ne_u16_e32 vcc_lo, 0, v67
	s_or_b32 s19, vcc_lo, s19
	s_delay_alu instid0(SALU_CYCLE_1)
	s_and_not1_b32 exec_lo, exec_lo, s19
	s_cbranch_execnz .LBB226_404
; %bb.407:                              ;   in Loop: Header=BB226_401 Depth=1
	s_or_b32 exec_lo, exec_lo, s19
	s_branch .LBB226_400
.LBB226_408:                            ;   in Loop: Header=BB226_401 Depth=1
                                        ; implicit-def: $vgpr38
                                        ; implicit-def: $vgpr39
	s_cbranch_execz .LBB226_401
; %bb.409:
	s_and_saveexec_b32 s18, s8
	s_cbranch_execz .LBB226_411
; %bb.410:
	s_add_i32 s22, s15, 32
	s_mov_b32 s23, 0
	v_dual_mov_b32 v37, 2 :: v_dual_add_nc_u32 v36, v61, v35
	s_lshl_b64 s[22:23], s[22:23], 3
	v_mov_b32_e32 v38, 0
	v_add_nc_u32_e64 v39, 0x8400, 0
	s_add_u32 s22, s10, s22
	s_addc_u32 s23, s11, s23
	global_store_b64 v38, v[36:37], s[22:23]
	ds_store_2addr_b32 v39, v35, v61 offset1:2
.LBB226_411:
	s_or_b32 exec_lo, exec_lo, s18
	v_cmp_eq_u32_e32 vcc_lo, 0, v0
	s_and_b32 exec_lo, exec_lo, vcc_lo
	s_cbranch_execz .LBB226_413
; %bb.412:
	v_mov_b32_e32 v35, 0
	ds_store_b32 v35, v61 offset:60
.LBB226_413:
	s_or_b32 exec_lo, exec_lo, s9
	s_waitcnt lgkmcnt(0)
	v_cndmask_b32_e64 v36, v45, v43, s8
	v_cmp_ne_u32_e32 vcc_lo, 0, v0
	v_mov_b32_e32 v35, 0
	s_waitcnt_vscnt null, 0x0
	s_barrier
	buffer_gl0_inv
	v_cndmask_b32_e32 v36, 0, v36, vcc_lo
	ds_load_b32 v35, v35 offset:60
	s_waitcnt lgkmcnt(0)
	s_barrier
	buffer_gl0_inv
	v_add_nc_u32_e32 v53, v35, v36
	v_add_nc_u32_e64 v35, 0x8400, 0
	s_delay_alu instid0(VALU_DEP_2) | instskip(SKIP_2) | instid1(VALU_DEP_1)
	v_add_nc_u32_e32 v51, v53, v42
	ds_load_2addr_b32 v[35:36], v35 offset1:2
	v_add_nc_u32_e32 v49, v51, v44
	v_add_nc_u32_e32 v47, v49, v46
	s_delay_alu instid0(VALU_DEP_1) | instskip(NEXT) | instid1(VALU_DEP_1)
	v_add_nc_u32_e32 v45, v47, v48
	v_add_nc_u32_e32 v43, v45, v50
	s_waitcnt lgkmcnt(0)
	v_readfirstlane_b32 s8, v36
	s_delay_alu instid0(VALU_DEP_2) | instskip(NEXT) | instid1(VALU_DEP_1)
	v_add_nc_u32_e32 v41, v43, v52
	v_add_nc_u32_e32 v39, v41, v54
	v_lshrrev_b64 v[37:38], 24, v[33:34]
	s_branch .LBB226_424
.LBB226_414:
                                        ; implicit-def: $vgpr39
                                        ; implicit-def: $vgpr41
                                        ; implicit-def: $vgpr43
                                        ; implicit-def: $vgpr45
                                        ; implicit-def: $vgpr47
                                        ; implicit-def: $vgpr49
                                        ; implicit-def: $vgpr51
                                        ; implicit-def: $vgpr53
                                        ; implicit-def: $sgpr8
                                        ; implicit-def: $vgpr35
	v_lshrrev_b64 v[37:38], 24, v[33:34]
	s_and_b32 vcc_lo, exec_lo, s9
	s_cbranch_vccz .LBB226_424
; %bb.415:
	v_mov_b32_dpp v35, v59 row_shr:1 row_mask:0xf bank_mask:0xf
	s_delay_alu instid0(VALU_DEP_1) | instskip(NEXT) | instid1(VALU_DEP_1)
	v_cndmask_b32_e64 v35, v35, 0, s4
	v_add_nc_u32_e32 v35, v35, v59
	s_delay_alu instid0(VALU_DEP_1) | instskip(NEXT) | instid1(VALU_DEP_1)
	v_mov_b32_dpp v36, v35 row_shr:2 row_mask:0xf bank_mask:0xf
	v_cndmask_b32_e64 v36, 0, v36, s2
	s_delay_alu instid0(VALU_DEP_1) | instskip(NEXT) | instid1(VALU_DEP_1)
	v_add_nc_u32_e32 v35, v35, v36
	v_mov_b32_dpp v36, v35 row_shr:4 row_mask:0xf bank_mask:0xf
	s_delay_alu instid0(VALU_DEP_1) | instskip(NEXT) | instid1(VALU_DEP_1)
	v_cndmask_b32_e64 v36, 0, v36, s5
	v_add_nc_u32_e32 v35, v35, v36
	s_delay_alu instid0(VALU_DEP_1) | instskip(NEXT) | instid1(VALU_DEP_1)
	v_mov_b32_dpp v36, v35 row_shr:8 row_mask:0xf bank_mask:0xf
	v_cndmask_b32_e64 v36, 0, v36, s3
	s_delay_alu instid0(VALU_DEP_1) | instskip(SKIP_3) | instid1(VALU_DEP_1)
	v_add_nc_u32_e32 v35, v35, v36
	ds_swizzle_b32 v36, v35 offset:swizzle(BROADCAST,32,15)
	s_waitcnt lgkmcnt(0)
	v_cndmask_b32_e64 v36, v36, 0, s7
	v_add_nc_u32_e32 v35, v35, v36
	s_and_saveexec_b32 s7, s6
	s_cbranch_execz .LBB226_417
; %bb.416:
	v_lshlrev_b32_e32 v36, 2, v58
	ds_store_b32 v36, v35
.LBB226_417:
	s_or_b32 exec_lo, exec_lo, s7
	s_delay_alu instid0(SALU_CYCLE_1)
	s_mov_b32 s6, exec_lo
	s_waitcnt lgkmcnt(0)
	s_barrier
	buffer_gl0_inv
	v_cmpx_gt_u32_e32 16, v0
	s_cbranch_execz .LBB226_419
; %bb.418:
	v_lshlrev_b32_e32 v36, 2, v0
	ds_load_b32 v38, v36
	s_waitcnt lgkmcnt(0)
	v_mov_b32_dpp v39, v38 row_shr:1 row_mask:0xf bank_mask:0xf
	s_delay_alu instid0(VALU_DEP_1) | instskip(NEXT) | instid1(VALU_DEP_1)
	v_cndmask_b32_e64 v39, v39, 0, s4
	v_add_nc_u32_e32 v38, v39, v38
	s_delay_alu instid0(VALU_DEP_1) | instskip(NEXT) | instid1(VALU_DEP_1)
	v_mov_b32_dpp v39, v38 row_shr:2 row_mask:0xf bank_mask:0xf
	v_cndmask_b32_e64 v39, 0, v39, s2
	s_delay_alu instid0(VALU_DEP_1) | instskip(NEXT) | instid1(VALU_DEP_1)
	v_add_nc_u32_e32 v38, v38, v39
	v_mov_b32_dpp v39, v38 row_shr:4 row_mask:0xf bank_mask:0xf
	s_delay_alu instid0(VALU_DEP_1) | instskip(NEXT) | instid1(VALU_DEP_1)
	v_cndmask_b32_e64 v39, 0, v39, s5
	v_add_nc_u32_e32 v38, v38, v39
	s_delay_alu instid0(VALU_DEP_1) | instskip(NEXT) | instid1(VALU_DEP_1)
	v_mov_b32_dpp v39, v38 row_shr:8 row_mask:0xf bank_mask:0xf
	v_cndmask_b32_e64 v39, 0, v39, s3
	s_delay_alu instid0(VALU_DEP_1)
	v_add_nc_u32_e32 v38, v38, v39
	ds_store_b32 v36, v38
.LBB226_419:
	s_or_b32 exec_lo, exec_lo, s6
	v_mov_b32_e32 v36, 0
	v_mov_b32_e32 v38, 0
	s_mov_b32 s2, exec_lo
	s_waitcnt lgkmcnt(0)
	s_barrier
	buffer_gl0_inv
	v_cmpx_lt_u32_e32 31, v0
	s_cbranch_execz .LBB226_421
; %bb.420:
	v_lshl_add_u32 v38, v58, 2, -4
	ds_load_b32 v38, v38
.LBB226_421:
	s_or_b32 exec_lo, exec_lo, s2
	v_add_nc_u32_e32 v39, -1, v57
	s_waitcnt lgkmcnt(0)
	v_add_nc_u32_e32 v35, v38, v35
	s_mov_b32 s8, 0
	s_delay_alu instid0(VALU_DEP_2) | instskip(SKIP_2) | instid1(VALU_DEP_2)
	v_cmp_gt_i32_e32 vcc_lo, 0, v39
	v_cndmask_b32_e32 v39, v39, v57, vcc_lo
	v_cmp_eq_u32_e32 vcc_lo, 0, v0
	v_lshlrev_b32_e32 v39, 2, v39
	ds_bpermute_b32 v39, v39, v35
	ds_load_b32 v35, v36 offset:60
	s_and_saveexec_b32 s2, vcc_lo
	s_cbranch_execz .LBB226_423
; %bb.422:
	v_mov_b32_e32 v40, 0
	v_mov_b32_e32 v36, 2
	s_waitcnt lgkmcnt(0)
	global_store_b64 v40, v[35:36], s[10:11] offset:256
.LBB226_423:
	s_or_b32 exec_lo, exec_lo, s2
	v_cmp_eq_u32_e64 s2, 0, v57
	s_waitcnt lgkmcnt(0)
	s_waitcnt_vscnt null, 0x0
	s_barrier
	buffer_gl0_inv
	v_cndmask_b32_e64 v36, v39, v38, s2
	s_delay_alu instid0(VALU_DEP_1) | instskip(NEXT) | instid1(VALU_DEP_1)
	v_cndmask_b32_e64 v53, v36, 0, vcc_lo
	v_add_nc_u32_e32 v51, v53, v42
	s_delay_alu instid0(VALU_DEP_1) | instskip(NEXT) | instid1(VALU_DEP_1)
	v_add_nc_u32_e32 v49, v51, v44
	v_add_nc_u32_e32 v47, v49, v46
	s_delay_alu instid0(VALU_DEP_1) | instskip(NEXT) | instid1(VALU_DEP_1)
	v_add_nc_u32_e32 v45, v47, v48
	;; [unrolled: 3-line block ×3, first 2 shown]
	v_add_nc_u32_e32 v39, v41, v54
.LBB226_424:
	s_load_b128 s[4:7], s[0:1], 0x28
	v_add_nc_u32_e32 v59, s8, v35
	v_cmp_gt_u32_e64 s0, 0x201, v35
	v_lshrrev_b32_e32 v58, 8, v33
	v_lshrrev_b32_e32 v57, 16, v33
	;; [unrolled: 1-line block ×4, first 2 shown]
	v_cmp_lt_u32_e64 s1, v53, v59
	s_and_b32 vcc_lo, exec_lo, s0
	s_mov_b32 s2, -1
	s_cbranch_vccz .LBB226_450
; %bb.425:
	s_delay_alu instid0(VALU_DEP_1) | instskip(NEXT) | instid1(SALU_CYCLE_1)
	s_or_b32 s2, s20, s1
	s_and_saveexec_b32 s1, s2
	s_cbranch_execz .LBB226_428
; %bb.426:
	v_and_b32_e32 v40, 1, v33
	s_delay_alu instid0(VALU_DEP_1)
	v_cmp_eq_u32_e32 vcc_lo, 1, v40
	s_and_b32 exec_lo, exec_lo, vcc_lo
	s_cbranch_execz .LBB226_428
; %bb.427:
	v_mov_b32_e32 v54, 0
	s_lshl_b64 s[2:3], s[12:13], 3
	s_waitcnt lgkmcnt(0)
	s_add_u32 s2, s4, s2
	s_addc_u32 s3, s5, s3
	v_lshlrev_b64 v[60:61], 3, v[53:54]
	s_delay_alu instid0(VALU_DEP_1) | instskip(NEXT) | instid1(VALU_DEP_2)
	v_add_co_u32 v60, vcc_lo, s2, v60
	v_add_co_ci_u32_e32 v61, vcc_lo, s3, v61, vcc_lo
	global_store_b64 v[60:61], v[29:30], off
.LBB226_428:
	s_or_b32 exec_lo, exec_lo, s1
	v_cmp_lt_u32_e32 vcc_lo, v51, v59
	s_or_b32 s2, s20, vcc_lo
	s_delay_alu instid0(SALU_CYCLE_1)
	s_and_saveexec_b32 s1, s2
	s_cbranch_execz .LBB226_431
; %bb.429:
	v_and_b32_e32 v40, 1, v58
	s_delay_alu instid0(VALU_DEP_1)
	v_cmp_eq_u32_e32 vcc_lo, 1, v40
	s_and_b32 exec_lo, exec_lo, vcc_lo
	s_cbranch_execz .LBB226_431
; %bb.430:
	v_mov_b32_e32 v52, 0
	s_lshl_b64 s[2:3], s[12:13], 3
	s_waitcnt lgkmcnt(0)
	s_add_u32 s2, s4, s2
	s_addc_u32 s3, s5, s3
	v_lshlrev_b64 v[60:61], 3, v[51:52]
	s_delay_alu instid0(VALU_DEP_1) | instskip(NEXT) | instid1(VALU_DEP_2)
	v_add_co_u32 v60, vcc_lo, s2, v60
	v_add_co_ci_u32_e32 v61, vcc_lo, s3, v61, vcc_lo
	global_store_b64 v[60:61], v[31:32], off
.LBB226_431:
	s_or_b32 exec_lo, exec_lo, s1
	v_cmp_lt_u32_e32 vcc_lo, v49, v59
	s_or_b32 s2, s20, vcc_lo
	s_delay_alu instid0(SALU_CYCLE_1)
	;; [unrolled: 24-line block ×7, first 2 shown]
	s_and_saveexec_b32 s1, s2
	s_cbranch_execz .LBB226_449
; %bb.447:
	v_and_b32_e32 v40, 1, v56
	s_delay_alu instid0(VALU_DEP_1)
	v_cmp_eq_u32_e32 vcc_lo, 1, v40
	s_and_b32 exec_lo, exec_lo, vcc_lo
	s_cbranch_execz .LBB226_449
; %bb.448:
	v_mov_b32_e32 v40, 0
	s_lshl_b64 s[2:3], s[12:13], 3
	s_waitcnt lgkmcnt(0)
	s_add_u32 s2, s4, s2
	s_addc_u32 s3, s5, s3
	v_lshlrev_b64 v[60:61], 3, v[39:40]
	s_delay_alu instid0(VALU_DEP_1) | instskip(NEXT) | instid1(VALU_DEP_2)
	v_add_co_u32 v60, vcc_lo, s2, v60
	v_add_co_ci_u32_e32 v61, vcc_lo, s3, v61, vcc_lo
	global_store_b64 v[60:61], v[19:20], off
.LBB226_449:
	s_or_b32 exec_lo, exec_lo, s1
	s_mov_b32 s2, 0
.LBB226_450:
	v_and_b32_e32 v33, 1, v33
	s_and_b32 vcc_lo, exec_lo, s2
	s_delay_alu instid0(VALU_DEP_1)
	v_cmp_eq_u32_e64 s1, 1, v33
	s_cbranch_vccz .LBB226_471
; %bb.451:
	s_delay_alu instid0(VALU_DEP_1)
	s_and_saveexec_b32 s2, s1
	s_cbranch_execz .LBB226_453
; %bb.452:
	v_subrev_nc_u32_e32 v40, s8, v53
	s_delay_alu instid0(VALU_DEP_1)
	v_lshlrev_b32_e32 v40, 3, v40
	ds_store_b64 v40, v[29:30]
.LBB226_453:
	s_or_b32 exec_lo, exec_lo, s2
	v_and_b32_e32 v29, 1, v58
	s_mov_b32 s1, exec_lo
	s_delay_alu instid0(VALU_DEP_1)
	v_cmpx_eq_u32_e32 1, v29
	s_cbranch_execz .LBB226_455
; %bb.454:
	v_subrev_nc_u32_e32 v29, s8, v51
	s_delay_alu instid0(VALU_DEP_1)
	v_lshlrev_b32_e32 v29, 3, v29
	ds_store_b64 v29, v[31:32]
.LBB226_455:
	s_or_b32 exec_lo, exec_lo, s1
	v_and_b32_e32 v29, 1, v57
	s_mov_b32 s1, exec_lo
	s_delay_alu instid0(VALU_DEP_1)
	v_cmpx_eq_u32_e32 1, v29
	;; [unrolled: 12-line block ×7, first 2 shown]
	s_cbranch_execz .LBB226_467
; %bb.466:
	v_subrev_nc_u32_e32 v17, s8, v39
	s_delay_alu instid0(VALU_DEP_1)
	v_lshlrev_b32_e32 v17, 3, v17
	ds_store_b64 v17, v[19:20]
.LBB226_467:
	s_or_b32 exec_lo, exec_lo, s1
	s_delay_alu instid0(SALU_CYCLE_1)
	s_mov_b32 s2, exec_lo
	s_waitcnt lgkmcnt(0)
	s_waitcnt_vscnt null, 0x0
	s_barrier
	buffer_gl0_inv
	v_cmpx_lt_u32_e64 v0, v35
	s_cbranch_execz .LBB226_470
; %bb.468:
	s_mov_b32 s9, 0
	s_lshl_b64 s[10:11], s[12:13], 3
	s_lshl_b64 s[18:19], s[8:9], 3
	v_dual_mov_b32 v19, v55 :: v_dual_mov_b32 v20, v0
	s_add_u32 s1, s10, s18
	s_addc_u32 s3, s11, s19
	s_add_u32 s1, s4, s1
	s_addc_u32 s3, s5, s3
	v_add_co_u32 v17, s1, s1, v55
	s_delay_alu instid0(VALU_DEP_1)
	v_add_co_ci_u32_e64 v18, null, s3, 0, s1
	.p2align	6
.LBB226_469:                            ; =>This Inner Loop Header: Depth=1
	ds_load_b64 v[21:22], v19
	v_add_nc_u32_e32 v20, 0x200, v20
	v_add_nc_u32_e32 v19, 0x1000, v19
	s_delay_alu instid0(VALU_DEP_2) | instskip(SKIP_4) | instid1(VALU_DEP_1)
	v_cmp_ge_u32_e32 vcc_lo, v20, v35
	s_or_b32 s9, vcc_lo, s9
	s_waitcnt lgkmcnt(0)
	global_store_b64 v[17:18], v[21:22], off
	v_add_co_u32 v17, s1, 0x1000, v17
	v_add_co_ci_u32_e64 v18, s1, 0, v18, s1
	s_and_not1_b32 exec_lo, exec_lo, s9
	s_cbranch_execnz .LBB226_469
.LBB226_470:
	s_or_b32 exec_lo, exec_lo, s2
.LBB226_471:
	s_delay_alu instid0(SALU_CYCLE_1)
	s_and_b32 vcc_lo, exec_lo, s0
	s_mov_b32 s0, -1
	s_waitcnt lgkmcnt(0)
	s_waitcnt_vscnt null, 0x0
	s_barrier
	buffer_gl0_inv
	s_cbranch_vccz .LBB226_499
; %bb.472:
	v_cmp_lt_u32_e32 vcc_lo, v53, v59
	s_or_b32 s1, s20, vcc_lo
	s_delay_alu instid0(SALU_CYCLE_1)
	s_and_saveexec_b32 s0, s1
	s_cbranch_execz .LBB226_475
; %bb.473:
	v_cmp_eq_u32_e32 vcc_lo, 1, v33
	s_and_b32 exec_lo, exec_lo, vcc_lo
	s_cbranch_execz .LBB226_475
; %bb.474:
	v_mov_b32_e32 v54, 0
	s_lshl_b64 s[2:3], s[12:13], 3
	s_delay_alu instid0(SALU_CYCLE_1) | instskip(SKIP_1) | instid1(VALU_DEP_1)
	s_add_u32 s1, s6, s2
	s_addc_u32 s2, s7, s3
	v_lshlrev_b64 v[17:18], 3, v[53:54]
	s_delay_alu instid0(VALU_DEP_1) | instskip(NEXT) | instid1(VALU_DEP_2)
	v_add_co_u32 v17, vcc_lo, s1, v17
	v_add_co_ci_u32_e32 v18, vcc_lo, s2, v18, vcc_lo
	global_store_b64 v[17:18], v[13:14], off
.LBB226_475:
	s_or_b32 exec_lo, exec_lo, s0
	v_cmp_lt_u32_e32 vcc_lo, v51, v59
	s_or_b32 s1, s20, vcc_lo
	s_delay_alu instid0(SALU_CYCLE_1)
	s_and_saveexec_b32 s0, s1
	s_cbranch_execz .LBB226_478
; %bb.476:
	v_and_b32_e32 v17, 1, v58
	s_delay_alu instid0(VALU_DEP_1)
	v_cmp_eq_u32_e32 vcc_lo, 1, v17
	s_and_b32 exec_lo, exec_lo, vcc_lo
	s_cbranch_execz .LBB226_478
; %bb.477:
	v_mov_b32_e32 v52, 0
	s_lshl_b64 s[2:3], s[12:13], 3
	s_delay_alu instid0(SALU_CYCLE_1) | instskip(SKIP_1) | instid1(VALU_DEP_1)
	s_add_u32 s1, s6, s2
	s_addc_u32 s2, s7, s3
	v_lshlrev_b64 v[17:18], 3, v[51:52]
	s_delay_alu instid0(VALU_DEP_1) | instskip(NEXT) | instid1(VALU_DEP_2)
	v_add_co_u32 v17, vcc_lo, s1, v17
	v_add_co_ci_u32_e32 v18, vcc_lo, s2, v18, vcc_lo
	global_store_b64 v[17:18], v[15:16], off
.LBB226_478:
	s_or_b32 exec_lo, exec_lo, s0
	v_cmp_lt_u32_e32 vcc_lo, v49, v59
	s_or_b32 s1, s20, vcc_lo
	s_delay_alu instid0(SALU_CYCLE_1)
	s_and_saveexec_b32 s0, s1
	s_cbranch_execz .LBB226_481
; %bb.479:
	v_and_b32_e32 v17, 1, v57
	s_delay_alu instid0(VALU_DEP_1)
	v_cmp_eq_u32_e32 vcc_lo, 1, v17
	s_and_b32 exec_lo, exec_lo, vcc_lo
	s_cbranch_execz .LBB226_481
; %bb.480:
	v_mov_b32_e32 v50, 0
	s_lshl_b64 s[2:3], s[12:13], 3
	s_delay_alu instid0(SALU_CYCLE_1) | instskip(SKIP_1) | instid1(VALU_DEP_1)
	s_add_u32 s1, s6, s2
	s_addc_u32 s2, s7, s3
	v_lshlrev_b64 v[17:18], 3, v[49:50]
	s_delay_alu instid0(VALU_DEP_1) | instskip(NEXT) | instid1(VALU_DEP_2)
	v_add_co_u32 v17, vcc_lo, s1, v17
	v_add_co_ci_u32_e32 v18, vcc_lo, s2, v18, vcc_lo
	global_store_b64 v[17:18], v[9:10], off
.LBB226_481:
	;; [unrolled: 24-line block ×7, first 2 shown]
	s_or_b32 exec_lo, exec_lo, s0
.LBB226_497:
	v_cmp_eq_u32_e32 vcc_lo, 0, v0
	s_and_b32 s0, vcc_lo, s14
	s_delay_alu instid0(SALU_CYCLE_1)
	s_and_saveexec_b32 s1, s0
	s_cbranch_execz .LBB226_520
.LBB226_498:
	v_add_co_u32 v0, s0, s12, v35
	s_delay_alu instid0(VALU_DEP_1) | instskip(SKIP_1) | instid1(VALU_DEP_3)
	v_add_co_ci_u32_e64 v1, null, s13, 0, s0
	v_mov_b32_e32 v2, 0
	v_add_co_u32 v0, vcc_lo, v0, s8
	s_delay_alu instid0(VALU_DEP_3)
	v_add_co_ci_u32_e32 v1, vcc_lo, 0, v1, vcc_lo
	global_store_b64 v2, v[0:1], s[16:17]
	s_nop 0
	s_sendmsg sendmsg(MSG_DEALLOC_VGPRS)
	s_endpgm
.LBB226_499:
	s_and_b32 vcc_lo, exec_lo, s0
	s_cbranch_vccz .LBB226_497
; %bb.500:
	s_mov_b32 s0, exec_lo
	v_cmpx_eq_u32_e32 1, v33
	s_cbranch_execz .LBB226_502
; %bb.501:
	v_subrev_nc_u32_e32 v17, s8, v53
	s_delay_alu instid0(VALU_DEP_1)
	v_lshlrev_b32_e32 v17, 3, v17
	ds_store_b64 v17, v[13:14]
.LBB226_502:
	s_or_b32 exec_lo, exec_lo, s0
	v_and_b32_e32 v13, 1, v58
	s_mov_b32 s0, exec_lo
	s_delay_alu instid0(VALU_DEP_1)
	v_cmpx_eq_u32_e32 1, v13
	s_cbranch_execz .LBB226_504
; %bb.503:
	v_subrev_nc_u32_e32 v13, s8, v51
	s_delay_alu instid0(VALU_DEP_1)
	v_lshlrev_b32_e32 v13, 3, v13
	ds_store_b64 v13, v[15:16]
.LBB226_504:
	s_or_b32 exec_lo, exec_lo, s0
	v_and_b32_e32 v13, 1, v57
	s_mov_b32 s0, exec_lo
	s_delay_alu instid0(VALU_DEP_1)
	;; [unrolled: 12-line block ×7, first 2 shown]
	v_cmpx_eq_u32_e32 1, v1
	s_cbranch_execz .LBB226_516
; %bb.515:
	v_subrev_nc_u32_e32 v1, s8, v39
	s_delay_alu instid0(VALU_DEP_1)
	v_lshlrev_b32_e32 v1, 3, v1
	ds_store_b64 v1, v[3:4]
.LBB226_516:
	s_or_b32 exec_lo, exec_lo, s0
	s_delay_alu instid0(SALU_CYCLE_1)
	s_mov_b32 s1, exec_lo
	s_waitcnt lgkmcnt(0)
	s_waitcnt_vscnt null, 0x0
	s_barrier
	buffer_gl0_inv
	v_cmpx_lt_u32_e64 v0, v35
	s_cbranch_execz .LBB226_519
; %bb.517:
	s_mov_b32 s9, 0
	s_lshl_b64 s[2:3], s[12:13], 3
	s_lshl_b64 s[4:5], s[8:9], 3
	v_mov_b32_e32 v3, v0
	s_add_u32 s0, s2, s4
	s_addc_u32 s2, s3, s5
	s_add_u32 s0, s6, s0
	s_addc_u32 s2, s7, s2
	v_add_co_u32 v1, s0, s0, v55
	s_delay_alu instid0(VALU_DEP_1)
	v_add_co_ci_u32_e64 v2, null, s2, 0, s0
	.p2align	6
.LBB226_518:                            ; =>This Inner Loop Header: Depth=1
	ds_load_b64 v[4:5], v55
	v_add_nc_u32_e32 v3, 0x200, v3
	v_add_nc_u32_e32 v55, 0x1000, v55
	s_delay_alu instid0(VALU_DEP_2) | instskip(SKIP_4) | instid1(VALU_DEP_1)
	v_cmp_ge_u32_e32 vcc_lo, v3, v35
	s_or_b32 s9, vcc_lo, s9
	s_waitcnt lgkmcnt(0)
	global_store_b64 v[1:2], v[4:5], off
	v_add_co_u32 v1, s0, 0x1000, v1
	v_add_co_ci_u32_e64 v2, s0, 0, v2, s0
	s_and_not1_b32 exec_lo, exec_lo, s9
	s_cbranch_execnz .LBB226_518
.LBB226_519:
	s_or_b32 exec_lo, exec_lo, s1
	v_cmp_eq_u32_e32 vcc_lo, 0, v0
	s_and_b32 s0, vcc_lo, s14
	s_delay_alu instid0(SALU_CYCLE_1)
	s_and_saveexec_b32 s1, s0
	s_cbranch_execnz .LBB226_498
.LBB226_520:
	s_nop 0
	s_sendmsg sendmsg(MSG_DEALLOC_VGPRS)
	s_endpgm
	.section	.rodata,"a",@progbits
	.p2align	6, 0x0
	.amdhsa_kernel _ZN7rocprim17ROCPRIM_400000_NS6detail17trampoline_kernelINS0_14default_configENS1_25partition_config_selectorILNS1_17partition_subalgoE9EllbEEZZNS1_14partition_implILS5_9ELb0ES3_jPlS8_PNS0_10empty_typeENS0_5tupleIJS8_S9_EEENSB_IJS8_SA_EEENS0_18inequality_wrapperIZN2at6native12_GLOBAL__N_124unique_dim_cuda_templateIhEESt5tupleIJNSF_6TensorESK_SK_EERKSK_lbbbEUlllE0_EEPmJS9_EEE10hipError_tPvRmT3_T4_T5_T6_T7_T9_mT8_P12ihipStream_tbDpT10_ENKUlT_T0_E_clISt17integral_constantIbLb1EES19_IbLb0EEEEDaS15_S16_EUlS15_E_NS1_11comp_targetILNS1_3genE9ELNS1_11target_archE1100ELNS1_3gpuE3ELNS1_3repE0EEENS1_30default_config_static_selectorELNS0_4arch9wavefront6targetE0EEEvT1_
		.amdhsa_group_segment_fixed_size 33804
		.amdhsa_private_segment_fixed_size 0
		.amdhsa_kernarg_size 120
		.amdhsa_user_sgpr_count 15
		.amdhsa_user_sgpr_dispatch_ptr 0
		.amdhsa_user_sgpr_queue_ptr 0
		.amdhsa_user_sgpr_kernarg_segment_ptr 1
		.amdhsa_user_sgpr_dispatch_id 0
		.amdhsa_user_sgpr_private_segment_size 0
		.amdhsa_wavefront_size32 1
		.amdhsa_uses_dynamic_stack 0
		.amdhsa_enable_private_segment 0
		.amdhsa_system_sgpr_workgroup_id_x 1
		.amdhsa_system_sgpr_workgroup_id_y 0
		.amdhsa_system_sgpr_workgroup_id_z 0
		.amdhsa_system_sgpr_workgroup_info 0
		.amdhsa_system_vgpr_workitem_id 0
		.amdhsa_next_free_vgpr 68
		.amdhsa_next_free_sgpr 36
		.amdhsa_reserve_vcc 1
		.amdhsa_float_round_mode_32 0
		.amdhsa_float_round_mode_16_64 0
		.amdhsa_float_denorm_mode_32 3
		.amdhsa_float_denorm_mode_16_64 3
		.amdhsa_dx10_clamp 1
		.amdhsa_ieee_mode 1
		.amdhsa_fp16_overflow 0
		.amdhsa_workgroup_processor_mode 1
		.amdhsa_memory_ordered 1
		.amdhsa_forward_progress 0
		.amdhsa_shared_vgpr_count 0
		.amdhsa_exception_fp_ieee_invalid_op 0
		.amdhsa_exception_fp_denorm_src 0
		.amdhsa_exception_fp_ieee_div_zero 0
		.amdhsa_exception_fp_ieee_overflow 0
		.amdhsa_exception_fp_ieee_underflow 0
		.amdhsa_exception_fp_ieee_inexact 0
		.amdhsa_exception_int_div_zero 0
	.end_amdhsa_kernel
	.section	.text._ZN7rocprim17ROCPRIM_400000_NS6detail17trampoline_kernelINS0_14default_configENS1_25partition_config_selectorILNS1_17partition_subalgoE9EllbEEZZNS1_14partition_implILS5_9ELb0ES3_jPlS8_PNS0_10empty_typeENS0_5tupleIJS8_S9_EEENSB_IJS8_SA_EEENS0_18inequality_wrapperIZN2at6native12_GLOBAL__N_124unique_dim_cuda_templateIhEESt5tupleIJNSF_6TensorESK_SK_EERKSK_lbbbEUlllE0_EEPmJS9_EEE10hipError_tPvRmT3_T4_T5_T6_T7_T9_mT8_P12ihipStream_tbDpT10_ENKUlT_T0_E_clISt17integral_constantIbLb1EES19_IbLb0EEEEDaS15_S16_EUlS15_E_NS1_11comp_targetILNS1_3genE9ELNS1_11target_archE1100ELNS1_3gpuE3ELNS1_3repE0EEENS1_30default_config_static_selectorELNS0_4arch9wavefront6targetE0EEEvT1_,"axG",@progbits,_ZN7rocprim17ROCPRIM_400000_NS6detail17trampoline_kernelINS0_14default_configENS1_25partition_config_selectorILNS1_17partition_subalgoE9EllbEEZZNS1_14partition_implILS5_9ELb0ES3_jPlS8_PNS0_10empty_typeENS0_5tupleIJS8_S9_EEENSB_IJS8_SA_EEENS0_18inequality_wrapperIZN2at6native12_GLOBAL__N_124unique_dim_cuda_templateIhEESt5tupleIJNSF_6TensorESK_SK_EERKSK_lbbbEUlllE0_EEPmJS9_EEE10hipError_tPvRmT3_T4_T5_T6_T7_T9_mT8_P12ihipStream_tbDpT10_ENKUlT_T0_E_clISt17integral_constantIbLb1EES19_IbLb0EEEEDaS15_S16_EUlS15_E_NS1_11comp_targetILNS1_3genE9ELNS1_11target_archE1100ELNS1_3gpuE3ELNS1_3repE0EEENS1_30default_config_static_selectorELNS0_4arch9wavefront6targetE0EEEvT1_,comdat
.Lfunc_end226:
	.size	_ZN7rocprim17ROCPRIM_400000_NS6detail17trampoline_kernelINS0_14default_configENS1_25partition_config_selectorILNS1_17partition_subalgoE9EllbEEZZNS1_14partition_implILS5_9ELb0ES3_jPlS8_PNS0_10empty_typeENS0_5tupleIJS8_S9_EEENSB_IJS8_SA_EEENS0_18inequality_wrapperIZN2at6native12_GLOBAL__N_124unique_dim_cuda_templateIhEESt5tupleIJNSF_6TensorESK_SK_EERKSK_lbbbEUlllE0_EEPmJS9_EEE10hipError_tPvRmT3_T4_T5_T6_T7_T9_mT8_P12ihipStream_tbDpT10_ENKUlT_T0_E_clISt17integral_constantIbLb1EES19_IbLb0EEEEDaS15_S16_EUlS15_E_NS1_11comp_targetILNS1_3genE9ELNS1_11target_archE1100ELNS1_3gpuE3ELNS1_3repE0EEENS1_30default_config_static_selectorELNS0_4arch9wavefront6targetE0EEEvT1_, .Lfunc_end226-_ZN7rocprim17ROCPRIM_400000_NS6detail17trampoline_kernelINS0_14default_configENS1_25partition_config_selectorILNS1_17partition_subalgoE9EllbEEZZNS1_14partition_implILS5_9ELb0ES3_jPlS8_PNS0_10empty_typeENS0_5tupleIJS8_S9_EEENSB_IJS8_SA_EEENS0_18inequality_wrapperIZN2at6native12_GLOBAL__N_124unique_dim_cuda_templateIhEESt5tupleIJNSF_6TensorESK_SK_EERKSK_lbbbEUlllE0_EEPmJS9_EEE10hipError_tPvRmT3_T4_T5_T6_T7_T9_mT8_P12ihipStream_tbDpT10_ENKUlT_T0_E_clISt17integral_constantIbLb1EES19_IbLb0EEEEDaS15_S16_EUlS15_E_NS1_11comp_targetILNS1_3genE9ELNS1_11target_archE1100ELNS1_3gpuE3ELNS1_3repE0EEENS1_30default_config_static_selectorELNS0_4arch9wavefront6targetE0EEEvT1_
                                        ; -- End function
	.section	.AMDGPU.csdata,"",@progbits
; Kernel info:
; codeLenInByte = 18560
; NumSgprs: 38
; NumVgprs: 68
; ScratchSize: 0
; MemoryBound: 0
; FloatMode: 240
; IeeeMode: 1
; LDSByteSize: 33804 bytes/workgroup (compile time only)
; SGPRBlocks: 4
; VGPRBlocks: 8
; NumSGPRsForWavesPerEU: 38
; NumVGPRsForWavesPerEU: 68
; Occupancy: 12
; WaveLimiterHint : 1
; COMPUTE_PGM_RSRC2:SCRATCH_EN: 0
; COMPUTE_PGM_RSRC2:USER_SGPR: 15
; COMPUTE_PGM_RSRC2:TRAP_HANDLER: 0
; COMPUTE_PGM_RSRC2:TGID_X_EN: 1
; COMPUTE_PGM_RSRC2:TGID_Y_EN: 0
; COMPUTE_PGM_RSRC2:TGID_Z_EN: 0
; COMPUTE_PGM_RSRC2:TIDIG_COMP_CNT: 0
	.section	.text._ZN7rocprim17ROCPRIM_400000_NS6detail17trampoline_kernelINS0_14default_configENS1_25partition_config_selectorILNS1_17partition_subalgoE9EllbEEZZNS1_14partition_implILS5_9ELb0ES3_jPlS8_PNS0_10empty_typeENS0_5tupleIJS8_S9_EEENSB_IJS8_SA_EEENS0_18inequality_wrapperIZN2at6native12_GLOBAL__N_124unique_dim_cuda_templateIhEESt5tupleIJNSF_6TensorESK_SK_EERKSK_lbbbEUlllE0_EEPmJS9_EEE10hipError_tPvRmT3_T4_T5_T6_T7_T9_mT8_P12ihipStream_tbDpT10_ENKUlT_T0_E_clISt17integral_constantIbLb1EES19_IbLb0EEEEDaS15_S16_EUlS15_E_NS1_11comp_targetILNS1_3genE8ELNS1_11target_archE1030ELNS1_3gpuE2ELNS1_3repE0EEENS1_30default_config_static_selectorELNS0_4arch9wavefront6targetE0EEEvT1_,"axG",@progbits,_ZN7rocprim17ROCPRIM_400000_NS6detail17trampoline_kernelINS0_14default_configENS1_25partition_config_selectorILNS1_17partition_subalgoE9EllbEEZZNS1_14partition_implILS5_9ELb0ES3_jPlS8_PNS0_10empty_typeENS0_5tupleIJS8_S9_EEENSB_IJS8_SA_EEENS0_18inequality_wrapperIZN2at6native12_GLOBAL__N_124unique_dim_cuda_templateIhEESt5tupleIJNSF_6TensorESK_SK_EERKSK_lbbbEUlllE0_EEPmJS9_EEE10hipError_tPvRmT3_T4_T5_T6_T7_T9_mT8_P12ihipStream_tbDpT10_ENKUlT_T0_E_clISt17integral_constantIbLb1EES19_IbLb0EEEEDaS15_S16_EUlS15_E_NS1_11comp_targetILNS1_3genE8ELNS1_11target_archE1030ELNS1_3gpuE2ELNS1_3repE0EEENS1_30default_config_static_selectorELNS0_4arch9wavefront6targetE0EEEvT1_,comdat
	.globl	_ZN7rocprim17ROCPRIM_400000_NS6detail17trampoline_kernelINS0_14default_configENS1_25partition_config_selectorILNS1_17partition_subalgoE9EllbEEZZNS1_14partition_implILS5_9ELb0ES3_jPlS8_PNS0_10empty_typeENS0_5tupleIJS8_S9_EEENSB_IJS8_SA_EEENS0_18inequality_wrapperIZN2at6native12_GLOBAL__N_124unique_dim_cuda_templateIhEESt5tupleIJNSF_6TensorESK_SK_EERKSK_lbbbEUlllE0_EEPmJS9_EEE10hipError_tPvRmT3_T4_T5_T6_T7_T9_mT8_P12ihipStream_tbDpT10_ENKUlT_T0_E_clISt17integral_constantIbLb1EES19_IbLb0EEEEDaS15_S16_EUlS15_E_NS1_11comp_targetILNS1_3genE8ELNS1_11target_archE1030ELNS1_3gpuE2ELNS1_3repE0EEENS1_30default_config_static_selectorELNS0_4arch9wavefront6targetE0EEEvT1_ ; -- Begin function _ZN7rocprim17ROCPRIM_400000_NS6detail17trampoline_kernelINS0_14default_configENS1_25partition_config_selectorILNS1_17partition_subalgoE9EllbEEZZNS1_14partition_implILS5_9ELb0ES3_jPlS8_PNS0_10empty_typeENS0_5tupleIJS8_S9_EEENSB_IJS8_SA_EEENS0_18inequality_wrapperIZN2at6native12_GLOBAL__N_124unique_dim_cuda_templateIhEESt5tupleIJNSF_6TensorESK_SK_EERKSK_lbbbEUlllE0_EEPmJS9_EEE10hipError_tPvRmT3_T4_T5_T6_T7_T9_mT8_P12ihipStream_tbDpT10_ENKUlT_T0_E_clISt17integral_constantIbLb1EES19_IbLb0EEEEDaS15_S16_EUlS15_E_NS1_11comp_targetILNS1_3genE8ELNS1_11target_archE1030ELNS1_3gpuE2ELNS1_3repE0EEENS1_30default_config_static_selectorELNS0_4arch9wavefront6targetE0EEEvT1_
	.p2align	8
	.type	_ZN7rocprim17ROCPRIM_400000_NS6detail17trampoline_kernelINS0_14default_configENS1_25partition_config_selectorILNS1_17partition_subalgoE9EllbEEZZNS1_14partition_implILS5_9ELb0ES3_jPlS8_PNS0_10empty_typeENS0_5tupleIJS8_S9_EEENSB_IJS8_SA_EEENS0_18inequality_wrapperIZN2at6native12_GLOBAL__N_124unique_dim_cuda_templateIhEESt5tupleIJNSF_6TensorESK_SK_EERKSK_lbbbEUlllE0_EEPmJS9_EEE10hipError_tPvRmT3_T4_T5_T6_T7_T9_mT8_P12ihipStream_tbDpT10_ENKUlT_T0_E_clISt17integral_constantIbLb1EES19_IbLb0EEEEDaS15_S16_EUlS15_E_NS1_11comp_targetILNS1_3genE8ELNS1_11target_archE1030ELNS1_3gpuE2ELNS1_3repE0EEENS1_30default_config_static_selectorELNS0_4arch9wavefront6targetE0EEEvT1_,@function
_ZN7rocprim17ROCPRIM_400000_NS6detail17trampoline_kernelINS0_14default_configENS1_25partition_config_selectorILNS1_17partition_subalgoE9EllbEEZZNS1_14partition_implILS5_9ELb0ES3_jPlS8_PNS0_10empty_typeENS0_5tupleIJS8_S9_EEENSB_IJS8_SA_EEENS0_18inequality_wrapperIZN2at6native12_GLOBAL__N_124unique_dim_cuda_templateIhEESt5tupleIJNSF_6TensorESK_SK_EERKSK_lbbbEUlllE0_EEPmJS9_EEE10hipError_tPvRmT3_T4_T5_T6_T7_T9_mT8_P12ihipStream_tbDpT10_ENKUlT_T0_E_clISt17integral_constantIbLb1EES19_IbLb0EEEEDaS15_S16_EUlS15_E_NS1_11comp_targetILNS1_3genE8ELNS1_11target_archE1030ELNS1_3gpuE2ELNS1_3repE0EEENS1_30default_config_static_selectorELNS0_4arch9wavefront6targetE0EEEvT1_: ; @_ZN7rocprim17ROCPRIM_400000_NS6detail17trampoline_kernelINS0_14default_configENS1_25partition_config_selectorILNS1_17partition_subalgoE9EllbEEZZNS1_14partition_implILS5_9ELb0ES3_jPlS8_PNS0_10empty_typeENS0_5tupleIJS8_S9_EEENSB_IJS8_SA_EEENS0_18inequality_wrapperIZN2at6native12_GLOBAL__N_124unique_dim_cuda_templateIhEESt5tupleIJNSF_6TensorESK_SK_EERKSK_lbbbEUlllE0_EEPmJS9_EEE10hipError_tPvRmT3_T4_T5_T6_T7_T9_mT8_P12ihipStream_tbDpT10_ENKUlT_T0_E_clISt17integral_constantIbLb1EES19_IbLb0EEEEDaS15_S16_EUlS15_E_NS1_11comp_targetILNS1_3genE8ELNS1_11target_archE1030ELNS1_3gpuE2ELNS1_3repE0EEENS1_30default_config_static_selectorELNS0_4arch9wavefront6targetE0EEEvT1_
; %bb.0:
	.section	.rodata,"a",@progbits
	.p2align	6, 0x0
	.amdhsa_kernel _ZN7rocprim17ROCPRIM_400000_NS6detail17trampoline_kernelINS0_14default_configENS1_25partition_config_selectorILNS1_17partition_subalgoE9EllbEEZZNS1_14partition_implILS5_9ELb0ES3_jPlS8_PNS0_10empty_typeENS0_5tupleIJS8_S9_EEENSB_IJS8_SA_EEENS0_18inequality_wrapperIZN2at6native12_GLOBAL__N_124unique_dim_cuda_templateIhEESt5tupleIJNSF_6TensorESK_SK_EERKSK_lbbbEUlllE0_EEPmJS9_EEE10hipError_tPvRmT3_T4_T5_T6_T7_T9_mT8_P12ihipStream_tbDpT10_ENKUlT_T0_E_clISt17integral_constantIbLb1EES19_IbLb0EEEEDaS15_S16_EUlS15_E_NS1_11comp_targetILNS1_3genE8ELNS1_11target_archE1030ELNS1_3gpuE2ELNS1_3repE0EEENS1_30default_config_static_selectorELNS0_4arch9wavefront6targetE0EEEvT1_
		.amdhsa_group_segment_fixed_size 0
		.amdhsa_private_segment_fixed_size 0
		.amdhsa_kernarg_size 120
		.amdhsa_user_sgpr_count 15
		.amdhsa_user_sgpr_dispatch_ptr 0
		.amdhsa_user_sgpr_queue_ptr 0
		.amdhsa_user_sgpr_kernarg_segment_ptr 1
		.amdhsa_user_sgpr_dispatch_id 0
		.amdhsa_user_sgpr_private_segment_size 0
		.amdhsa_wavefront_size32 1
		.amdhsa_uses_dynamic_stack 0
		.amdhsa_enable_private_segment 0
		.amdhsa_system_sgpr_workgroup_id_x 1
		.amdhsa_system_sgpr_workgroup_id_y 0
		.amdhsa_system_sgpr_workgroup_id_z 0
		.amdhsa_system_sgpr_workgroup_info 0
		.amdhsa_system_vgpr_workitem_id 0
		.amdhsa_next_free_vgpr 1
		.amdhsa_next_free_sgpr 1
		.amdhsa_reserve_vcc 0
		.amdhsa_float_round_mode_32 0
		.amdhsa_float_round_mode_16_64 0
		.amdhsa_float_denorm_mode_32 3
		.amdhsa_float_denorm_mode_16_64 3
		.amdhsa_dx10_clamp 1
		.amdhsa_ieee_mode 1
		.amdhsa_fp16_overflow 0
		.amdhsa_workgroup_processor_mode 1
		.amdhsa_memory_ordered 1
		.amdhsa_forward_progress 0
		.amdhsa_shared_vgpr_count 0
		.amdhsa_exception_fp_ieee_invalid_op 0
		.amdhsa_exception_fp_denorm_src 0
		.amdhsa_exception_fp_ieee_div_zero 0
		.amdhsa_exception_fp_ieee_overflow 0
		.amdhsa_exception_fp_ieee_underflow 0
		.amdhsa_exception_fp_ieee_inexact 0
		.amdhsa_exception_int_div_zero 0
	.end_amdhsa_kernel
	.section	.text._ZN7rocprim17ROCPRIM_400000_NS6detail17trampoline_kernelINS0_14default_configENS1_25partition_config_selectorILNS1_17partition_subalgoE9EllbEEZZNS1_14partition_implILS5_9ELb0ES3_jPlS8_PNS0_10empty_typeENS0_5tupleIJS8_S9_EEENSB_IJS8_SA_EEENS0_18inequality_wrapperIZN2at6native12_GLOBAL__N_124unique_dim_cuda_templateIhEESt5tupleIJNSF_6TensorESK_SK_EERKSK_lbbbEUlllE0_EEPmJS9_EEE10hipError_tPvRmT3_T4_T5_T6_T7_T9_mT8_P12ihipStream_tbDpT10_ENKUlT_T0_E_clISt17integral_constantIbLb1EES19_IbLb0EEEEDaS15_S16_EUlS15_E_NS1_11comp_targetILNS1_3genE8ELNS1_11target_archE1030ELNS1_3gpuE2ELNS1_3repE0EEENS1_30default_config_static_selectorELNS0_4arch9wavefront6targetE0EEEvT1_,"axG",@progbits,_ZN7rocprim17ROCPRIM_400000_NS6detail17trampoline_kernelINS0_14default_configENS1_25partition_config_selectorILNS1_17partition_subalgoE9EllbEEZZNS1_14partition_implILS5_9ELb0ES3_jPlS8_PNS0_10empty_typeENS0_5tupleIJS8_S9_EEENSB_IJS8_SA_EEENS0_18inequality_wrapperIZN2at6native12_GLOBAL__N_124unique_dim_cuda_templateIhEESt5tupleIJNSF_6TensorESK_SK_EERKSK_lbbbEUlllE0_EEPmJS9_EEE10hipError_tPvRmT3_T4_T5_T6_T7_T9_mT8_P12ihipStream_tbDpT10_ENKUlT_T0_E_clISt17integral_constantIbLb1EES19_IbLb0EEEEDaS15_S16_EUlS15_E_NS1_11comp_targetILNS1_3genE8ELNS1_11target_archE1030ELNS1_3gpuE2ELNS1_3repE0EEENS1_30default_config_static_selectorELNS0_4arch9wavefront6targetE0EEEvT1_,comdat
.Lfunc_end227:
	.size	_ZN7rocprim17ROCPRIM_400000_NS6detail17trampoline_kernelINS0_14default_configENS1_25partition_config_selectorILNS1_17partition_subalgoE9EllbEEZZNS1_14partition_implILS5_9ELb0ES3_jPlS8_PNS0_10empty_typeENS0_5tupleIJS8_S9_EEENSB_IJS8_SA_EEENS0_18inequality_wrapperIZN2at6native12_GLOBAL__N_124unique_dim_cuda_templateIhEESt5tupleIJNSF_6TensorESK_SK_EERKSK_lbbbEUlllE0_EEPmJS9_EEE10hipError_tPvRmT3_T4_T5_T6_T7_T9_mT8_P12ihipStream_tbDpT10_ENKUlT_T0_E_clISt17integral_constantIbLb1EES19_IbLb0EEEEDaS15_S16_EUlS15_E_NS1_11comp_targetILNS1_3genE8ELNS1_11target_archE1030ELNS1_3gpuE2ELNS1_3repE0EEENS1_30default_config_static_selectorELNS0_4arch9wavefront6targetE0EEEvT1_, .Lfunc_end227-_ZN7rocprim17ROCPRIM_400000_NS6detail17trampoline_kernelINS0_14default_configENS1_25partition_config_selectorILNS1_17partition_subalgoE9EllbEEZZNS1_14partition_implILS5_9ELb0ES3_jPlS8_PNS0_10empty_typeENS0_5tupleIJS8_S9_EEENSB_IJS8_SA_EEENS0_18inequality_wrapperIZN2at6native12_GLOBAL__N_124unique_dim_cuda_templateIhEESt5tupleIJNSF_6TensorESK_SK_EERKSK_lbbbEUlllE0_EEPmJS9_EEE10hipError_tPvRmT3_T4_T5_T6_T7_T9_mT8_P12ihipStream_tbDpT10_ENKUlT_T0_E_clISt17integral_constantIbLb1EES19_IbLb0EEEEDaS15_S16_EUlS15_E_NS1_11comp_targetILNS1_3genE8ELNS1_11target_archE1030ELNS1_3gpuE2ELNS1_3repE0EEENS1_30default_config_static_selectorELNS0_4arch9wavefront6targetE0EEEvT1_
                                        ; -- End function
	.section	.AMDGPU.csdata,"",@progbits
; Kernel info:
; codeLenInByte = 0
; NumSgprs: 0
; NumVgprs: 0
; ScratchSize: 0
; MemoryBound: 0
; FloatMode: 240
; IeeeMode: 1
; LDSByteSize: 0 bytes/workgroup (compile time only)
; SGPRBlocks: 0
; VGPRBlocks: 0
; NumSGPRsForWavesPerEU: 1
; NumVGPRsForWavesPerEU: 1
; Occupancy: 16
; WaveLimiterHint : 0
; COMPUTE_PGM_RSRC2:SCRATCH_EN: 0
; COMPUTE_PGM_RSRC2:USER_SGPR: 15
; COMPUTE_PGM_RSRC2:TRAP_HANDLER: 0
; COMPUTE_PGM_RSRC2:TGID_X_EN: 1
; COMPUTE_PGM_RSRC2:TGID_Y_EN: 0
; COMPUTE_PGM_RSRC2:TGID_Z_EN: 0
; COMPUTE_PGM_RSRC2:TIDIG_COMP_CNT: 0
	.section	.text._ZN7rocprim17ROCPRIM_400000_NS6detail17trampoline_kernelINS0_14default_configENS1_25partition_config_selectorILNS1_17partition_subalgoE9EllbEEZZNS1_14partition_implILS5_9ELb0ES3_jPlS8_PNS0_10empty_typeENS0_5tupleIJS8_S9_EEENSB_IJS8_SA_EEENS0_18inequality_wrapperIZN2at6native12_GLOBAL__N_124unique_dim_cuda_templateIhEESt5tupleIJNSF_6TensorESK_SK_EERKSK_lbbbEUlllE0_EEPmJS9_EEE10hipError_tPvRmT3_T4_T5_T6_T7_T9_mT8_P12ihipStream_tbDpT10_ENKUlT_T0_E_clISt17integral_constantIbLb0EES19_IbLb1EEEEDaS15_S16_EUlS15_E_NS1_11comp_targetILNS1_3genE0ELNS1_11target_archE4294967295ELNS1_3gpuE0ELNS1_3repE0EEENS1_30default_config_static_selectorELNS0_4arch9wavefront6targetE0EEEvT1_,"axG",@progbits,_ZN7rocprim17ROCPRIM_400000_NS6detail17trampoline_kernelINS0_14default_configENS1_25partition_config_selectorILNS1_17partition_subalgoE9EllbEEZZNS1_14partition_implILS5_9ELb0ES3_jPlS8_PNS0_10empty_typeENS0_5tupleIJS8_S9_EEENSB_IJS8_SA_EEENS0_18inequality_wrapperIZN2at6native12_GLOBAL__N_124unique_dim_cuda_templateIhEESt5tupleIJNSF_6TensorESK_SK_EERKSK_lbbbEUlllE0_EEPmJS9_EEE10hipError_tPvRmT3_T4_T5_T6_T7_T9_mT8_P12ihipStream_tbDpT10_ENKUlT_T0_E_clISt17integral_constantIbLb0EES19_IbLb1EEEEDaS15_S16_EUlS15_E_NS1_11comp_targetILNS1_3genE0ELNS1_11target_archE4294967295ELNS1_3gpuE0ELNS1_3repE0EEENS1_30default_config_static_selectorELNS0_4arch9wavefront6targetE0EEEvT1_,comdat
	.globl	_ZN7rocprim17ROCPRIM_400000_NS6detail17trampoline_kernelINS0_14default_configENS1_25partition_config_selectorILNS1_17partition_subalgoE9EllbEEZZNS1_14partition_implILS5_9ELb0ES3_jPlS8_PNS0_10empty_typeENS0_5tupleIJS8_S9_EEENSB_IJS8_SA_EEENS0_18inequality_wrapperIZN2at6native12_GLOBAL__N_124unique_dim_cuda_templateIhEESt5tupleIJNSF_6TensorESK_SK_EERKSK_lbbbEUlllE0_EEPmJS9_EEE10hipError_tPvRmT3_T4_T5_T6_T7_T9_mT8_P12ihipStream_tbDpT10_ENKUlT_T0_E_clISt17integral_constantIbLb0EES19_IbLb1EEEEDaS15_S16_EUlS15_E_NS1_11comp_targetILNS1_3genE0ELNS1_11target_archE4294967295ELNS1_3gpuE0ELNS1_3repE0EEENS1_30default_config_static_selectorELNS0_4arch9wavefront6targetE0EEEvT1_ ; -- Begin function _ZN7rocprim17ROCPRIM_400000_NS6detail17trampoline_kernelINS0_14default_configENS1_25partition_config_selectorILNS1_17partition_subalgoE9EllbEEZZNS1_14partition_implILS5_9ELb0ES3_jPlS8_PNS0_10empty_typeENS0_5tupleIJS8_S9_EEENSB_IJS8_SA_EEENS0_18inequality_wrapperIZN2at6native12_GLOBAL__N_124unique_dim_cuda_templateIhEESt5tupleIJNSF_6TensorESK_SK_EERKSK_lbbbEUlllE0_EEPmJS9_EEE10hipError_tPvRmT3_T4_T5_T6_T7_T9_mT8_P12ihipStream_tbDpT10_ENKUlT_T0_E_clISt17integral_constantIbLb0EES19_IbLb1EEEEDaS15_S16_EUlS15_E_NS1_11comp_targetILNS1_3genE0ELNS1_11target_archE4294967295ELNS1_3gpuE0ELNS1_3repE0EEENS1_30default_config_static_selectorELNS0_4arch9wavefront6targetE0EEEvT1_
	.p2align	8
	.type	_ZN7rocprim17ROCPRIM_400000_NS6detail17trampoline_kernelINS0_14default_configENS1_25partition_config_selectorILNS1_17partition_subalgoE9EllbEEZZNS1_14partition_implILS5_9ELb0ES3_jPlS8_PNS0_10empty_typeENS0_5tupleIJS8_S9_EEENSB_IJS8_SA_EEENS0_18inequality_wrapperIZN2at6native12_GLOBAL__N_124unique_dim_cuda_templateIhEESt5tupleIJNSF_6TensorESK_SK_EERKSK_lbbbEUlllE0_EEPmJS9_EEE10hipError_tPvRmT3_T4_T5_T6_T7_T9_mT8_P12ihipStream_tbDpT10_ENKUlT_T0_E_clISt17integral_constantIbLb0EES19_IbLb1EEEEDaS15_S16_EUlS15_E_NS1_11comp_targetILNS1_3genE0ELNS1_11target_archE4294967295ELNS1_3gpuE0ELNS1_3repE0EEENS1_30default_config_static_selectorELNS0_4arch9wavefront6targetE0EEEvT1_,@function
_ZN7rocprim17ROCPRIM_400000_NS6detail17trampoline_kernelINS0_14default_configENS1_25partition_config_selectorILNS1_17partition_subalgoE9EllbEEZZNS1_14partition_implILS5_9ELb0ES3_jPlS8_PNS0_10empty_typeENS0_5tupleIJS8_S9_EEENSB_IJS8_SA_EEENS0_18inequality_wrapperIZN2at6native12_GLOBAL__N_124unique_dim_cuda_templateIhEESt5tupleIJNSF_6TensorESK_SK_EERKSK_lbbbEUlllE0_EEPmJS9_EEE10hipError_tPvRmT3_T4_T5_T6_T7_T9_mT8_P12ihipStream_tbDpT10_ENKUlT_T0_E_clISt17integral_constantIbLb0EES19_IbLb1EEEEDaS15_S16_EUlS15_E_NS1_11comp_targetILNS1_3genE0ELNS1_11target_archE4294967295ELNS1_3gpuE0ELNS1_3repE0EEENS1_30default_config_static_selectorELNS0_4arch9wavefront6targetE0EEEvT1_: ; @_ZN7rocprim17ROCPRIM_400000_NS6detail17trampoline_kernelINS0_14default_configENS1_25partition_config_selectorILNS1_17partition_subalgoE9EllbEEZZNS1_14partition_implILS5_9ELb0ES3_jPlS8_PNS0_10empty_typeENS0_5tupleIJS8_S9_EEENSB_IJS8_SA_EEENS0_18inequality_wrapperIZN2at6native12_GLOBAL__N_124unique_dim_cuda_templateIhEESt5tupleIJNSF_6TensorESK_SK_EERKSK_lbbbEUlllE0_EEPmJS9_EEE10hipError_tPvRmT3_T4_T5_T6_T7_T9_mT8_P12ihipStream_tbDpT10_ENKUlT_T0_E_clISt17integral_constantIbLb0EES19_IbLb1EEEEDaS15_S16_EUlS15_E_NS1_11comp_targetILNS1_3genE0ELNS1_11target_archE4294967295ELNS1_3gpuE0ELNS1_3repE0EEENS1_30default_config_static_selectorELNS0_4arch9wavefront6targetE0EEEvT1_
; %bb.0:
	.section	.rodata,"a",@progbits
	.p2align	6, 0x0
	.amdhsa_kernel _ZN7rocprim17ROCPRIM_400000_NS6detail17trampoline_kernelINS0_14default_configENS1_25partition_config_selectorILNS1_17partition_subalgoE9EllbEEZZNS1_14partition_implILS5_9ELb0ES3_jPlS8_PNS0_10empty_typeENS0_5tupleIJS8_S9_EEENSB_IJS8_SA_EEENS0_18inequality_wrapperIZN2at6native12_GLOBAL__N_124unique_dim_cuda_templateIhEESt5tupleIJNSF_6TensorESK_SK_EERKSK_lbbbEUlllE0_EEPmJS9_EEE10hipError_tPvRmT3_T4_T5_T6_T7_T9_mT8_P12ihipStream_tbDpT10_ENKUlT_T0_E_clISt17integral_constantIbLb0EES19_IbLb1EEEEDaS15_S16_EUlS15_E_NS1_11comp_targetILNS1_3genE0ELNS1_11target_archE4294967295ELNS1_3gpuE0ELNS1_3repE0EEENS1_30default_config_static_selectorELNS0_4arch9wavefront6targetE0EEEvT1_
		.amdhsa_group_segment_fixed_size 0
		.amdhsa_private_segment_fixed_size 0
		.amdhsa_kernarg_size 136
		.amdhsa_user_sgpr_count 15
		.amdhsa_user_sgpr_dispatch_ptr 0
		.amdhsa_user_sgpr_queue_ptr 0
		.amdhsa_user_sgpr_kernarg_segment_ptr 1
		.amdhsa_user_sgpr_dispatch_id 0
		.amdhsa_user_sgpr_private_segment_size 0
		.amdhsa_wavefront_size32 1
		.amdhsa_uses_dynamic_stack 0
		.amdhsa_enable_private_segment 0
		.amdhsa_system_sgpr_workgroup_id_x 1
		.amdhsa_system_sgpr_workgroup_id_y 0
		.amdhsa_system_sgpr_workgroup_id_z 0
		.amdhsa_system_sgpr_workgroup_info 0
		.amdhsa_system_vgpr_workitem_id 0
		.amdhsa_next_free_vgpr 1
		.amdhsa_next_free_sgpr 1
		.amdhsa_reserve_vcc 0
		.amdhsa_float_round_mode_32 0
		.amdhsa_float_round_mode_16_64 0
		.amdhsa_float_denorm_mode_32 3
		.amdhsa_float_denorm_mode_16_64 3
		.amdhsa_dx10_clamp 1
		.amdhsa_ieee_mode 1
		.amdhsa_fp16_overflow 0
		.amdhsa_workgroup_processor_mode 1
		.amdhsa_memory_ordered 1
		.amdhsa_forward_progress 0
		.amdhsa_shared_vgpr_count 0
		.amdhsa_exception_fp_ieee_invalid_op 0
		.amdhsa_exception_fp_denorm_src 0
		.amdhsa_exception_fp_ieee_div_zero 0
		.amdhsa_exception_fp_ieee_overflow 0
		.amdhsa_exception_fp_ieee_underflow 0
		.amdhsa_exception_fp_ieee_inexact 0
		.amdhsa_exception_int_div_zero 0
	.end_amdhsa_kernel
	.section	.text._ZN7rocprim17ROCPRIM_400000_NS6detail17trampoline_kernelINS0_14default_configENS1_25partition_config_selectorILNS1_17partition_subalgoE9EllbEEZZNS1_14partition_implILS5_9ELb0ES3_jPlS8_PNS0_10empty_typeENS0_5tupleIJS8_S9_EEENSB_IJS8_SA_EEENS0_18inequality_wrapperIZN2at6native12_GLOBAL__N_124unique_dim_cuda_templateIhEESt5tupleIJNSF_6TensorESK_SK_EERKSK_lbbbEUlllE0_EEPmJS9_EEE10hipError_tPvRmT3_T4_T5_T6_T7_T9_mT8_P12ihipStream_tbDpT10_ENKUlT_T0_E_clISt17integral_constantIbLb0EES19_IbLb1EEEEDaS15_S16_EUlS15_E_NS1_11comp_targetILNS1_3genE0ELNS1_11target_archE4294967295ELNS1_3gpuE0ELNS1_3repE0EEENS1_30default_config_static_selectorELNS0_4arch9wavefront6targetE0EEEvT1_,"axG",@progbits,_ZN7rocprim17ROCPRIM_400000_NS6detail17trampoline_kernelINS0_14default_configENS1_25partition_config_selectorILNS1_17partition_subalgoE9EllbEEZZNS1_14partition_implILS5_9ELb0ES3_jPlS8_PNS0_10empty_typeENS0_5tupleIJS8_S9_EEENSB_IJS8_SA_EEENS0_18inequality_wrapperIZN2at6native12_GLOBAL__N_124unique_dim_cuda_templateIhEESt5tupleIJNSF_6TensorESK_SK_EERKSK_lbbbEUlllE0_EEPmJS9_EEE10hipError_tPvRmT3_T4_T5_T6_T7_T9_mT8_P12ihipStream_tbDpT10_ENKUlT_T0_E_clISt17integral_constantIbLb0EES19_IbLb1EEEEDaS15_S16_EUlS15_E_NS1_11comp_targetILNS1_3genE0ELNS1_11target_archE4294967295ELNS1_3gpuE0ELNS1_3repE0EEENS1_30default_config_static_selectorELNS0_4arch9wavefront6targetE0EEEvT1_,comdat
.Lfunc_end228:
	.size	_ZN7rocprim17ROCPRIM_400000_NS6detail17trampoline_kernelINS0_14default_configENS1_25partition_config_selectorILNS1_17partition_subalgoE9EllbEEZZNS1_14partition_implILS5_9ELb0ES3_jPlS8_PNS0_10empty_typeENS0_5tupleIJS8_S9_EEENSB_IJS8_SA_EEENS0_18inequality_wrapperIZN2at6native12_GLOBAL__N_124unique_dim_cuda_templateIhEESt5tupleIJNSF_6TensorESK_SK_EERKSK_lbbbEUlllE0_EEPmJS9_EEE10hipError_tPvRmT3_T4_T5_T6_T7_T9_mT8_P12ihipStream_tbDpT10_ENKUlT_T0_E_clISt17integral_constantIbLb0EES19_IbLb1EEEEDaS15_S16_EUlS15_E_NS1_11comp_targetILNS1_3genE0ELNS1_11target_archE4294967295ELNS1_3gpuE0ELNS1_3repE0EEENS1_30default_config_static_selectorELNS0_4arch9wavefront6targetE0EEEvT1_, .Lfunc_end228-_ZN7rocprim17ROCPRIM_400000_NS6detail17trampoline_kernelINS0_14default_configENS1_25partition_config_selectorILNS1_17partition_subalgoE9EllbEEZZNS1_14partition_implILS5_9ELb0ES3_jPlS8_PNS0_10empty_typeENS0_5tupleIJS8_S9_EEENSB_IJS8_SA_EEENS0_18inequality_wrapperIZN2at6native12_GLOBAL__N_124unique_dim_cuda_templateIhEESt5tupleIJNSF_6TensorESK_SK_EERKSK_lbbbEUlllE0_EEPmJS9_EEE10hipError_tPvRmT3_T4_T5_T6_T7_T9_mT8_P12ihipStream_tbDpT10_ENKUlT_T0_E_clISt17integral_constantIbLb0EES19_IbLb1EEEEDaS15_S16_EUlS15_E_NS1_11comp_targetILNS1_3genE0ELNS1_11target_archE4294967295ELNS1_3gpuE0ELNS1_3repE0EEENS1_30default_config_static_selectorELNS0_4arch9wavefront6targetE0EEEvT1_
                                        ; -- End function
	.section	.AMDGPU.csdata,"",@progbits
; Kernel info:
; codeLenInByte = 0
; NumSgprs: 0
; NumVgprs: 0
; ScratchSize: 0
; MemoryBound: 0
; FloatMode: 240
; IeeeMode: 1
; LDSByteSize: 0 bytes/workgroup (compile time only)
; SGPRBlocks: 0
; VGPRBlocks: 0
; NumSGPRsForWavesPerEU: 1
; NumVGPRsForWavesPerEU: 1
; Occupancy: 16
; WaveLimiterHint : 0
; COMPUTE_PGM_RSRC2:SCRATCH_EN: 0
; COMPUTE_PGM_RSRC2:USER_SGPR: 15
; COMPUTE_PGM_RSRC2:TRAP_HANDLER: 0
; COMPUTE_PGM_RSRC2:TGID_X_EN: 1
; COMPUTE_PGM_RSRC2:TGID_Y_EN: 0
; COMPUTE_PGM_RSRC2:TGID_Z_EN: 0
; COMPUTE_PGM_RSRC2:TIDIG_COMP_CNT: 0
	.section	.text._ZN7rocprim17ROCPRIM_400000_NS6detail17trampoline_kernelINS0_14default_configENS1_25partition_config_selectorILNS1_17partition_subalgoE9EllbEEZZNS1_14partition_implILS5_9ELb0ES3_jPlS8_PNS0_10empty_typeENS0_5tupleIJS8_S9_EEENSB_IJS8_SA_EEENS0_18inequality_wrapperIZN2at6native12_GLOBAL__N_124unique_dim_cuda_templateIhEESt5tupleIJNSF_6TensorESK_SK_EERKSK_lbbbEUlllE0_EEPmJS9_EEE10hipError_tPvRmT3_T4_T5_T6_T7_T9_mT8_P12ihipStream_tbDpT10_ENKUlT_T0_E_clISt17integral_constantIbLb0EES19_IbLb1EEEEDaS15_S16_EUlS15_E_NS1_11comp_targetILNS1_3genE5ELNS1_11target_archE942ELNS1_3gpuE9ELNS1_3repE0EEENS1_30default_config_static_selectorELNS0_4arch9wavefront6targetE0EEEvT1_,"axG",@progbits,_ZN7rocprim17ROCPRIM_400000_NS6detail17trampoline_kernelINS0_14default_configENS1_25partition_config_selectorILNS1_17partition_subalgoE9EllbEEZZNS1_14partition_implILS5_9ELb0ES3_jPlS8_PNS0_10empty_typeENS0_5tupleIJS8_S9_EEENSB_IJS8_SA_EEENS0_18inequality_wrapperIZN2at6native12_GLOBAL__N_124unique_dim_cuda_templateIhEESt5tupleIJNSF_6TensorESK_SK_EERKSK_lbbbEUlllE0_EEPmJS9_EEE10hipError_tPvRmT3_T4_T5_T6_T7_T9_mT8_P12ihipStream_tbDpT10_ENKUlT_T0_E_clISt17integral_constantIbLb0EES19_IbLb1EEEEDaS15_S16_EUlS15_E_NS1_11comp_targetILNS1_3genE5ELNS1_11target_archE942ELNS1_3gpuE9ELNS1_3repE0EEENS1_30default_config_static_selectorELNS0_4arch9wavefront6targetE0EEEvT1_,comdat
	.globl	_ZN7rocprim17ROCPRIM_400000_NS6detail17trampoline_kernelINS0_14default_configENS1_25partition_config_selectorILNS1_17partition_subalgoE9EllbEEZZNS1_14partition_implILS5_9ELb0ES3_jPlS8_PNS0_10empty_typeENS0_5tupleIJS8_S9_EEENSB_IJS8_SA_EEENS0_18inequality_wrapperIZN2at6native12_GLOBAL__N_124unique_dim_cuda_templateIhEESt5tupleIJNSF_6TensorESK_SK_EERKSK_lbbbEUlllE0_EEPmJS9_EEE10hipError_tPvRmT3_T4_T5_T6_T7_T9_mT8_P12ihipStream_tbDpT10_ENKUlT_T0_E_clISt17integral_constantIbLb0EES19_IbLb1EEEEDaS15_S16_EUlS15_E_NS1_11comp_targetILNS1_3genE5ELNS1_11target_archE942ELNS1_3gpuE9ELNS1_3repE0EEENS1_30default_config_static_selectorELNS0_4arch9wavefront6targetE0EEEvT1_ ; -- Begin function _ZN7rocprim17ROCPRIM_400000_NS6detail17trampoline_kernelINS0_14default_configENS1_25partition_config_selectorILNS1_17partition_subalgoE9EllbEEZZNS1_14partition_implILS5_9ELb0ES3_jPlS8_PNS0_10empty_typeENS0_5tupleIJS8_S9_EEENSB_IJS8_SA_EEENS0_18inequality_wrapperIZN2at6native12_GLOBAL__N_124unique_dim_cuda_templateIhEESt5tupleIJNSF_6TensorESK_SK_EERKSK_lbbbEUlllE0_EEPmJS9_EEE10hipError_tPvRmT3_T4_T5_T6_T7_T9_mT8_P12ihipStream_tbDpT10_ENKUlT_T0_E_clISt17integral_constantIbLb0EES19_IbLb1EEEEDaS15_S16_EUlS15_E_NS1_11comp_targetILNS1_3genE5ELNS1_11target_archE942ELNS1_3gpuE9ELNS1_3repE0EEENS1_30default_config_static_selectorELNS0_4arch9wavefront6targetE0EEEvT1_
	.p2align	8
	.type	_ZN7rocprim17ROCPRIM_400000_NS6detail17trampoline_kernelINS0_14default_configENS1_25partition_config_selectorILNS1_17partition_subalgoE9EllbEEZZNS1_14partition_implILS5_9ELb0ES3_jPlS8_PNS0_10empty_typeENS0_5tupleIJS8_S9_EEENSB_IJS8_SA_EEENS0_18inequality_wrapperIZN2at6native12_GLOBAL__N_124unique_dim_cuda_templateIhEESt5tupleIJNSF_6TensorESK_SK_EERKSK_lbbbEUlllE0_EEPmJS9_EEE10hipError_tPvRmT3_T4_T5_T6_T7_T9_mT8_P12ihipStream_tbDpT10_ENKUlT_T0_E_clISt17integral_constantIbLb0EES19_IbLb1EEEEDaS15_S16_EUlS15_E_NS1_11comp_targetILNS1_3genE5ELNS1_11target_archE942ELNS1_3gpuE9ELNS1_3repE0EEENS1_30default_config_static_selectorELNS0_4arch9wavefront6targetE0EEEvT1_,@function
_ZN7rocprim17ROCPRIM_400000_NS6detail17trampoline_kernelINS0_14default_configENS1_25partition_config_selectorILNS1_17partition_subalgoE9EllbEEZZNS1_14partition_implILS5_9ELb0ES3_jPlS8_PNS0_10empty_typeENS0_5tupleIJS8_S9_EEENSB_IJS8_SA_EEENS0_18inequality_wrapperIZN2at6native12_GLOBAL__N_124unique_dim_cuda_templateIhEESt5tupleIJNSF_6TensorESK_SK_EERKSK_lbbbEUlllE0_EEPmJS9_EEE10hipError_tPvRmT3_T4_T5_T6_T7_T9_mT8_P12ihipStream_tbDpT10_ENKUlT_T0_E_clISt17integral_constantIbLb0EES19_IbLb1EEEEDaS15_S16_EUlS15_E_NS1_11comp_targetILNS1_3genE5ELNS1_11target_archE942ELNS1_3gpuE9ELNS1_3repE0EEENS1_30default_config_static_selectorELNS0_4arch9wavefront6targetE0EEEvT1_: ; @_ZN7rocprim17ROCPRIM_400000_NS6detail17trampoline_kernelINS0_14default_configENS1_25partition_config_selectorILNS1_17partition_subalgoE9EllbEEZZNS1_14partition_implILS5_9ELb0ES3_jPlS8_PNS0_10empty_typeENS0_5tupleIJS8_S9_EEENSB_IJS8_SA_EEENS0_18inequality_wrapperIZN2at6native12_GLOBAL__N_124unique_dim_cuda_templateIhEESt5tupleIJNSF_6TensorESK_SK_EERKSK_lbbbEUlllE0_EEPmJS9_EEE10hipError_tPvRmT3_T4_T5_T6_T7_T9_mT8_P12ihipStream_tbDpT10_ENKUlT_T0_E_clISt17integral_constantIbLb0EES19_IbLb1EEEEDaS15_S16_EUlS15_E_NS1_11comp_targetILNS1_3genE5ELNS1_11target_archE942ELNS1_3gpuE9ELNS1_3repE0EEENS1_30default_config_static_selectorELNS0_4arch9wavefront6targetE0EEEvT1_
; %bb.0:
	.section	.rodata,"a",@progbits
	.p2align	6, 0x0
	.amdhsa_kernel _ZN7rocprim17ROCPRIM_400000_NS6detail17trampoline_kernelINS0_14default_configENS1_25partition_config_selectorILNS1_17partition_subalgoE9EllbEEZZNS1_14partition_implILS5_9ELb0ES3_jPlS8_PNS0_10empty_typeENS0_5tupleIJS8_S9_EEENSB_IJS8_SA_EEENS0_18inequality_wrapperIZN2at6native12_GLOBAL__N_124unique_dim_cuda_templateIhEESt5tupleIJNSF_6TensorESK_SK_EERKSK_lbbbEUlllE0_EEPmJS9_EEE10hipError_tPvRmT3_T4_T5_T6_T7_T9_mT8_P12ihipStream_tbDpT10_ENKUlT_T0_E_clISt17integral_constantIbLb0EES19_IbLb1EEEEDaS15_S16_EUlS15_E_NS1_11comp_targetILNS1_3genE5ELNS1_11target_archE942ELNS1_3gpuE9ELNS1_3repE0EEENS1_30default_config_static_selectorELNS0_4arch9wavefront6targetE0EEEvT1_
		.amdhsa_group_segment_fixed_size 0
		.amdhsa_private_segment_fixed_size 0
		.amdhsa_kernarg_size 136
		.amdhsa_user_sgpr_count 15
		.amdhsa_user_sgpr_dispatch_ptr 0
		.amdhsa_user_sgpr_queue_ptr 0
		.amdhsa_user_sgpr_kernarg_segment_ptr 1
		.amdhsa_user_sgpr_dispatch_id 0
		.amdhsa_user_sgpr_private_segment_size 0
		.amdhsa_wavefront_size32 1
		.amdhsa_uses_dynamic_stack 0
		.amdhsa_enable_private_segment 0
		.amdhsa_system_sgpr_workgroup_id_x 1
		.amdhsa_system_sgpr_workgroup_id_y 0
		.amdhsa_system_sgpr_workgroup_id_z 0
		.amdhsa_system_sgpr_workgroup_info 0
		.amdhsa_system_vgpr_workitem_id 0
		.amdhsa_next_free_vgpr 1
		.amdhsa_next_free_sgpr 1
		.amdhsa_reserve_vcc 0
		.amdhsa_float_round_mode_32 0
		.amdhsa_float_round_mode_16_64 0
		.amdhsa_float_denorm_mode_32 3
		.amdhsa_float_denorm_mode_16_64 3
		.amdhsa_dx10_clamp 1
		.amdhsa_ieee_mode 1
		.amdhsa_fp16_overflow 0
		.amdhsa_workgroup_processor_mode 1
		.amdhsa_memory_ordered 1
		.amdhsa_forward_progress 0
		.amdhsa_shared_vgpr_count 0
		.amdhsa_exception_fp_ieee_invalid_op 0
		.amdhsa_exception_fp_denorm_src 0
		.amdhsa_exception_fp_ieee_div_zero 0
		.amdhsa_exception_fp_ieee_overflow 0
		.amdhsa_exception_fp_ieee_underflow 0
		.amdhsa_exception_fp_ieee_inexact 0
		.amdhsa_exception_int_div_zero 0
	.end_amdhsa_kernel
	.section	.text._ZN7rocprim17ROCPRIM_400000_NS6detail17trampoline_kernelINS0_14default_configENS1_25partition_config_selectorILNS1_17partition_subalgoE9EllbEEZZNS1_14partition_implILS5_9ELb0ES3_jPlS8_PNS0_10empty_typeENS0_5tupleIJS8_S9_EEENSB_IJS8_SA_EEENS0_18inequality_wrapperIZN2at6native12_GLOBAL__N_124unique_dim_cuda_templateIhEESt5tupleIJNSF_6TensorESK_SK_EERKSK_lbbbEUlllE0_EEPmJS9_EEE10hipError_tPvRmT3_T4_T5_T6_T7_T9_mT8_P12ihipStream_tbDpT10_ENKUlT_T0_E_clISt17integral_constantIbLb0EES19_IbLb1EEEEDaS15_S16_EUlS15_E_NS1_11comp_targetILNS1_3genE5ELNS1_11target_archE942ELNS1_3gpuE9ELNS1_3repE0EEENS1_30default_config_static_selectorELNS0_4arch9wavefront6targetE0EEEvT1_,"axG",@progbits,_ZN7rocprim17ROCPRIM_400000_NS6detail17trampoline_kernelINS0_14default_configENS1_25partition_config_selectorILNS1_17partition_subalgoE9EllbEEZZNS1_14partition_implILS5_9ELb0ES3_jPlS8_PNS0_10empty_typeENS0_5tupleIJS8_S9_EEENSB_IJS8_SA_EEENS0_18inequality_wrapperIZN2at6native12_GLOBAL__N_124unique_dim_cuda_templateIhEESt5tupleIJNSF_6TensorESK_SK_EERKSK_lbbbEUlllE0_EEPmJS9_EEE10hipError_tPvRmT3_T4_T5_T6_T7_T9_mT8_P12ihipStream_tbDpT10_ENKUlT_T0_E_clISt17integral_constantIbLb0EES19_IbLb1EEEEDaS15_S16_EUlS15_E_NS1_11comp_targetILNS1_3genE5ELNS1_11target_archE942ELNS1_3gpuE9ELNS1_3repE0EEENS1_30default_config_static_selectorELNS0_4arch9wavefront6targetE0EEEvT1_,comdat
.Lfunc_end229:
	.size	_ZN7rocprim17ROCPRIM_400000_NS6detail17trampoline_kernelINS0_14default_configENS1_25partition_config_selectorILNS1_17partition_subalgoE9EllbEEZZNS1_14partition_implILS5_9ELb0ES3_jPlS8_PNS0_10empty_typeENS0_5tupleIJS8_S9_EEENSB_IJS8_SA_EEENS0_18inequality_wrapperIZN2at6native12_GLOBAL__N_124unique_dim_cuda_templateIhEESt5tupleIJNSF_6TensorESK_SK_EERKSK_lbbbEUlllE0_EEPmJS9_EEE10hipError_tPvRmT3_T4_T5_T6_T7_T9_mT8_P12ihipStream_tbDpT10_ENKUlT_T0_E_clISt17integral_constantIbLb0EES19_IbLb1EEEEDaS15_S16_EUlS15_E_NS1_11comp_targetILNS1_3genE5ELNS1_11target_archE942ELNS1_3gpuE9ELNS1_3repE0EEENS1_30default_config_static_selectorELNS0_4arch9wavefront6targetE0EEEvT1_, .Lfunc_end229-_ZN7rocprim17ROCPRIM_400000_NS6detail17trampoline_kernelINS0_14default_configENS1_25partition_config_selectorILNS1_17partition_subalgoE9EllbEEZZNS1_14partition_implILS5_9ELb0ES3_jPlS8_PNS0_10empty_typeENS0_5tupleIJS8_S9_EEENSB_IJS8_SA_EEENS0_18inequality_wrapperIZN2at6native12_GLOBAL__N_124unique_dim_cuda_templateIhEESt5tupleIJNSF_6TensorESK_SK_EERKSK_lbbbEUlllE0_EEPmJS9_EEE10hipError_tPvRmT3_T4_T5_T6_T7_T9_mT8_P12ihipStream_tbDpT10_ENKUlT_T0_E_clISt17integral_constantIbLb0EES19_IbLb1EEEEDaS15_S16_EUlS15_E_NS1_11comp_targetILNS1_3genE5ELNS1_11target_archE942ELNS1_3gpuE9ELNS1_3repE0EEENS1_30default_config_static_selectorELNS0_4arch9wavefront6targetE0EEEvT1_
                                        ; -- End function
	.section	.AMDGPU.csdata,"",@progbits
; Kernel info:
; codeLenInByte = 0
; NumSgprs: 0
; NumVgprs: 0
; ScratchSize: 0
; MemoryBound: 0
; FloatMode: 240
; IeeeMode: 1
; LDSByteSize: 0 bytes/workgroup (compile time only)
; SGPRBlocks: 0
; VGPRBlocks: 0
; NumSGPRsForWavesPerEU: 1
; NumVGPRsForWavesPerEU: 1
; Occupancy: 16
; WaveLimiterHint : 0
; COMPUTE_PGM_RSRC2:SCRATCH_EN: 0
; COMPUTE_PGM_RSRC2:USER_SGPR: 15
; COMPUTE_PGM_RSRC2:TRAP_HANDLER: 0
; COMPUTE_PGM_RSRC2:TGID_X_EN: 1
; COMPUTE_PGM_RSRC2:TGID_Y_EN: 0
; COMPUTE_PGM_RSRC2:TGID_Z_EN: 0
; COMPUTE_PGM_RSRC2:TIDIG_COMP_CNT: 0
	.section	.text._ZN7rocprim17ROCPRIM_400000_NS6detail17trampoline_kernelINS0_14default_configENS1_25partition_config_selectorILNS1_17partition_subalgoE9EllbEEZZNS1_14partition_implILS5_9ELb0ES3_jPlS8_PNS0_10empty_typeENS0_5tupleIJS8_S9_EEENSB_IJS8_SA_EEENS0_18inequality_wrapperIZN2at6native12_GLOBAL__N_124unique_dim_cuda_templateIhEESt5tupleIJNSF_6TensorESK_SK_EERKSK_lbbbEUlllE0_EEPmJS9_EEE10hipError_tPvRmT3_T4_T5_T6_T7_T9_mT8_P12ihipStream_tbDpT10_ENKUlT_T0_E_clISt17integral_constantIbLb0EES19_IbLb1EEEEDaS15_S16_EUlS15_E_NS1_11comp_targetILNS1_3genE4ELNS1_11target_archE910ELNS1_3gpuE8ELNS1_3repE0EEENS1_30default_config_static_selectorELNS0_4arch9wavefront6targetE0EEEvT1_,"axG",@progbits,_ZN7rocprim17ROCPRIM_400000_NS6detail17trampoline_kernelINS0_14default_configENS1_25partition_config_selectorILNS1_17partition_subalgoE9EllbEEZZNS1_14partition_implILS5_9ELb0ES3_jPlS8_PNS0_10empty_typeENS0_5tupleIJS8_S9_EEENSB_IJS8_SA_EEENS0_18inequality_wrapperIZN2at6native12_GLOBAL__N_124unique_dim_cuda_templateIhEESt5tupleIJNSF_6TensorESK_SK_EERKSK_lbbbEUlllE0_EEPmJS9_EEE10hipError_tPvRmT3_T4_T5_T6_T7_T9_mT8_P12ihipStream_tbDpT10_ENKUlT_T0_E_clISt17integral_constantIbLb0EES19_IbLb1EEEEDaS15_S16_EUlS15_E_NS1_11comp_targetILNS1_3genE4ELNS1_11target_archE910ELNS1_3gpuE8ELNS1_3repE0EEENS1_30default_config_static_selectorELNS0_4arch9wavefront6targetE0EEEvT1_,comdat
	.globl	_ZN7rocprim17ROCPRIM_400000_NS6detail17trampoline_kernelINS0_14default_configENS1_25partition_config_selectorILNS1_17partition_subalgoE9EllbEEZZNS1_14partition_implILS5_9ELb0ES3_jPlS8_PNS0_10empty_typeENS0_5tupleIJS8_S9_EEENSB_IJS8_SA_EEENS0_18inequality_wrapperIZN2at6native12_GLOBAL__N_124unique_dim_cuda_templateIhEESt5tupleIJNSF_6TensorESK_SK_EERKSK_lbbbEUlllE0_EEPmJS9_EEE10hipError_tPvRmT3_T4_T5_T6_T7_T9_mT8_P12ihipStream_tbDpT10_ENKUlT_T0_E_clISt17integral_constantIbLb0EES19_IbLb1EEEEDaS15_S16_EUlS15_E_NS1_11comp_targetILNS1_3genE4ELNS1_11target_archE910ELNS1_3gpuE8ELNS1_3repE0EEENS1_30default_config_static_selectorELNS0_4arch9wavefront6targetE0EEEvT1_ ; -- Begin function _ZN7rocprim17ROCPRIM_400000_NS6detail17trampoline_kernelINS0_14default_configENS1_25partition_config_selectorILNS1_17partition_subalgoE9EllbEEZZNS1_14partition_implILS5_9ELb0ES3_jPlS8_PNS0_10empty_typeENS0_5tupleIJS8_S9_EEENSB_IJS8_SA_EEENS0_18inequality_wrapperIZN2at6native12_GLOBAL__N_124unique_dim_cuda_templateIhEESt5tupleIJNSF_6TensorESK_SK_EERKSK_lbbbEUlllE0_EEPmJS9_EEE10hipError_tPvRmT3_T4_T5_T6_T7_T9_mT8_P12ihipStream_tbDpT10_ENKUlT_T0_E_clISt17integral_constantIbLb0EES19_IbLb1EEEEDaS15_S16_EUlS15_E_NS1_11comp_targetILNS1_3genE4ELNS1_11target_archE910ELNS1_3gpuE8ELNS1_3repE0EEENS1_30default_config_static_selectorELNS0_4arch9wavefront6targetE0EEEvT1_
	.p2align	8
	.type	_ZN7rocprim17ROCPRIM_400000_NS6detail17trampoline_kernelINS0_14default_configENS1_25partition_config_selectorILNS1_17partition_subalgoE9EllbEEZZNS1_14partition_implILS5_9ELb0ES3_jPlS8_PNS0_10empty_typeENS0_5tupleIJS8_S9_EEENSB_IJS8_SA_EEENS0_18inequality_wrapperIZN2at6native12_GLOBAL__N_124unique_dim_cuda_templateIhEESt5tupleIJNSF_6TensorESK_SK_EERKSK_lbbbEUlllE0_EEPmJS9_EEE10hipError_tPvRmT3_T4_T5_T6_T7_T9_mT8_P12ihipStream_tbDpT10_ENKUlT_T0_E_clISt17integral_constantIbLb0EES19_IbLb1EEEEDaS15_S16_EUlS15_E_NS1_11comp_targetILNS1_3genE4ELNS1_11target_archE910ELNS1_3gpuE8ELNS1_3repE0EEENS1_30default_config_static_selectorELNS0_4arch9wavefront6targetE0EEEvT1_,@function
_ZN7rocprim17ROCPRIM_400000_NS6detail17trampoline_kernelINS0_14default_configENS1_25partition_config_selectorILNS1_17partition_subalgoE9EllbEEZZNS1_14partition_implILS5_9ELb0ES3_jPlS8_PNS0_10empty_typeENS0_5tupleIJS8_S9_EEENSB_IJS8_SA_EEENS0_18inequality_wrapperIZN2at6native12_GLOBAL__N_124unique_dim_cuda_templateIhEESt5tupleIJNSF_6TensorESK_SK_EERKSK_lbbbEUlllE0_EEPmJS9_EEE10hipError_tPvRmT3_T4_T5_T6_T7_T9_mT8_P12ihipStream_tbDpT10_ENKUlT_T0_E_clISt17integral_constantIbLb0EES19_IbLb1EEEEDaS15_S16_EUlS15_E_NS1_11comp_targetILNS1_3genE4ELNS1_11target_archE910ELNS1_3gpuE8ELNS1_3repE0EEENS1_30default_config_static_selectorELNS0_4arch9wavefront6targetE0EEEvT1_: ; @_ZN7rocprim17ROCPRIM_400000_NS6detail17trampoline_kernelINS0_14default_configENS1_25partition_config_selectorILNS1_17partition_subalgoE9EllbEEZZNS1_14partition_implILS5_9ELb0ES3_jPlS8_PNS0_10empty_typeENS0_5tupleIJS8_S9_EEENSB_IJS8_SA_EEENS0_18inequality_wrapperIZN2at6native12_GLOBAL__N_124unique_dim_cuda_templateIhEESt5tupleIJNSF_6TensorESK_SK_EERKSK_lbbbEUlllE0_EEPmJS9_EEE10hipError_tPvRmT3_T4_T5_T6_T7_T9_mT8_P12ihipStream_tbDpT10_ENKUlT_T0_E_clISt17integral_constantIbLb0EES19_IbLb1EEEEDaS15_S16_EUlS15_E_NS1_11comp_targetILNS1_3genE4ELNS1_11target_archE910ELNS1_3gpuE8ELNS1_3repE0EEENS1_30default_config_static_selectorELNS0_4arch9wavefront6targetE0EEEvT1_
; %bb.0:
	.section	.rodata,"a",@progbits
	.p2align	6, 0x0
	.amdhsa_kernel _ZN7rocprim17ROCPRIM_400000_NS6detail17trampoline_kernelINS0_14default_configENS1_25partition_config_selectorILNS1_17partition_subalgoE9EllbEEZZNS1_14partition_implILS5_9ELb0ES3_jPlS8_PNS0_10empty_typeENS0_5tupleIJS8_S9_EEENSB_IJS8_SA_EEENS0_18inequality_wrapperIZN2at6native12_GLOBAL__N_124unique_dim_cuda_templateIhEESt5tupleIJNSF_6TensorESK_SK_EERKSK_lbbbEUlllE0_EEPmJS9_EEE10hipError_tPvRmT3_T4_T5_T6_T7_T9_mT8_P12ihipStream_tbDpT10_ENKUlT_T0_E_clISt17integral_constantIbLb0EES19_IbLb1EEEEDaS15_S16_EUlS15_E_NS1_11comp_targetILNS1_3genE4ELNS1_11target_archE910ELNS1_3gpuE8ELNS1_3repE0EEENS1_30default_config_static_selectorELNS0_4arch9wavefront6targetE0EEEvT1_
		.amdhsa_group_segment_fixed_size 0
		.amdhsa_private_segment_fixed_size 0
		.amdhsa_kernarg_size 136
		.amdhsa_user_sgpr_count 15
		.amdhsa_user_sgpr_dispatch_ptr 0
		.amdhsa_user_sgpr_queue_ptr 0
		.amdhsa_user_sgpr_kernarg_segment_ptr 1
		.amdhsa_user_sgpr_dispatch_id 0
		.amdhsa_user_sgpr_private_segment_size 0
		.amdhsa_wavefront_size32 1
		.amdhsa_uses_dynamic_stack 0
		.amdhsa_enable_private_segment 0
		.amdhsa_system_sgpr_workgroup_id_x 1
		.amdhsa_system_sgpr_workgroup_id_y 0
		.amdhsa_system_sgpr_workgroup_id_z 0
		.amdhsa_system_sgpr_workgroup_info 0
		.amdhsa_system_vgpr_workitem_id 0
		.amdhsa_next_free_vgpr 1
		.amdhsa_next_free_sgpr 1
		.amdhsa_reserve_vcc 0
		.amdhsa_float_round_mode_32 0
		.amdhsa_float_round_mode_16_64 0
		.amdhsa_float_denorm_mode_32 3
		.amdhsa_float_denorm_mode_16_64 3
		.amdhsa_dx10_clamp 1
		.amdhsa_ieee_mode 1
		.amdhsa_fp16_overflow 0
		.amdhsa_workgroup_processor_mode 1
		.amdhsa_memory_ordered 1
		.amdhsa_forward_progress 0
		.amdhsa_shared_vgpr_count 0
		.amdhsa_exception_fp_ieee_invalid_op 0
		.amdhsa_exception_fp_denorm_src 0
		.amdhsa_exception_fp_ieee_div_zero 0
		.amdhsa_exception_fp_ieee_overflow 0
		.amdhsa_exception_fp_ieee_underflow 0
		.amdhsa_exception_fp_ieee_inexact 0
		.amdhsa_exception_int_div_zero 0
	.end_amdhsa_kernel
	.section	.text._ZN7rocprim17ROCPRIM_400000_NS6detail17trampoline_kernelINS0_14default_configENS1_25partition_config_selectorILNS1_17partition_subalgoE9EllbEEZZNS1_14partition_implILS5_9ELb0ES3_jPlS8_PNS0_10empty_typeENS0_5tupleIJS8_S9_EEENSB_IJS8_SA_EEENS0_18inequality_wrapperIZN2at6native12_GLOBAL__N_124unique_dim_cuda_templateIhEESt5tupleIJNSF_6TensorESK_SK_EERKSK_lbbbEUlllE0_EEPmJS9_EEE10hipError_tPvRmT3_T4_T5_T6_T7_T9_mT8_P12ihipStream_tbDpT10_ENKUlT_T0_E_clISt17integral_constantIbLb0EES19_IbLb1EEEEDaS15_S16_EUlS15_E_NS1_11comp_targetILNS1_3genE4ELNS1_11target_archE910ELNS1_3gpuE8ELNS1_3repE0EEENS1_30default_config_static_selectorELNS0_4arch9wavefront6targetE0EEEvT1_,"axG",@progbits,_ZN7rocprim17ROCPRIM_400000_NS6detail17trampoline_kernelINS0_14default_configENS1_25partition_config_selectorILNS1_17partition_subalgoE9EllbEEZZNS1_14partition_implILS5_9ELb0ES3_jPlS8_PNS0_10empty_typeENS0_5tupleIJS8_S9_EEENSB_IJS8_SA_EEENS0_18inequality_wrapperIZN2at6native12_GLOBAL__N_124unique_dim_cuda_templateIhEESt5tupleIJNSF_6TensorESK_SK_EERKSK_lbbbEUlllE0_EEPmJS9_EEE10hipError_tPvRmT3_T4_T5_T6_T7_T9_mT8_P12ihipStream_tbDpT10_ENKUlT_T0_E_clISt17integral_constantIbLb0EES19_IbLb1EEEEDaS15_S16_EUlS15_E_NS1_11comp_targetILNS1_3genE4ELNS1_11target_archE910ELNS1_3gpuE8ELNS1_3repE0EEENS1_30default_config_static_selectorELNS0_4arch9wavefront6targetE0EEEvT1_,comdat
.Lfunc_end230:
	.size	_ZN7rocprim17ROCPRIM_400000_NS6detail17trampoline_kernelINS0_14default_configENS1_25partition_config_selectorILNS1_17partition_subalgoE9EllbEEZZNS1_14partition_implILS5_9ELb0ES3_jPlS8_PNS0_10empty_typeENS0_5tupleIJS8_S9_EEENSB_IJS8_SA_EEENS0_18inequality_wrapperIZN2at6native12_GLOBAL__N_124unique_dim_cuda_templateIhEESt5tupleIJNSF_6TensorESK_SK_EERKSK_lbbbEUlllE0_EEPmJS9_EEE10hipError_tPvRmT3_T4_T5_T6_T7_T9_mT8_P12ihipStream_tbDpT10_ENKUlT_T0_E_clISt17integral_constantIbLb0EES19_IbLb1EEEEDaS15_S16_EUlS15_E_NS1_11comp_targetILNS1_3genE4ELNS1_11target_archE910ELNS1_3gpuE8ELNS1_3repE0EEENS1_30default_config_static_selectorELNS0_4arch9wavefront6targetE0EEEvT1_, .Lfunc_end230-_ZN7rocprim17ROCPRIM_400000_NS6detail17trampoline_kernelINS0_14default_configENS1_25partition_config_selectorILNS1_17partition_subalgoE9EllbEEZZNS1_14partition_implILS5_9ELb0ES3_jPlS8_PNS0_10empty_typeENS0_5tupleIJS8_S9_EEENSB_IJS8_SA_EEENS0_18inequality_wrapperIZN2at6native12_GLOBAL__N_124unique_dim_cuda_templateIhEESt5tupleIJNSF_6TensorESK_SK_EERKSK_lbbbEUlllE0_EEPmJS9_EEE10hipError_tPvRmT3_T4_T5_T6_T7_T9_mT8_P12ihipStream_tbDpT10_ENKUlT_T0_E_clISt17integral_constantIbLb0EES19_IbLb1EEEEDaS15_S16_EUlS15_E_NS1_11comp_targetILNS1_3genE4ELNS1_11target_archE910ELNS1_3gpuE8ELNS1_3repE0EEENS1_30default_config_static_selectorELNS0_4arch9wavefront6targetE0EEEvT1_
                                        ; -- End function
	.section	.AMDGPU.csdata,"",@progbits
; Kernel info:
; codeLenInByte = 0
; NumSgprs: 0
; NumVgprs: 0
; ScratchSize: 0
; MemoryBound: 0
; FloatMode: 240
; IeeeMode: 1
; LDSByteSize: 0 bytes/workgroup (compile time only)
; SGPRBlocks: 0
; VGPRBlocks: 0
; NumSGPRsForWavesPerEU: 1
; NumVGPRsForWavesPerEU: 1
; Occupancy: 16
; WaveLimiterHint : 0
; COMPUTE_PGM_RSRC2:SCRATCH_EN: 0
; COMPUTE_PGM_RSRC2:USER_SGPR: 15
; COMPUTE_PGM_RSRC2:TRAP_HANDLER: 0
; COMPUTE_PGM_RSRC2:TGID_X_EN: 1
; COMPUTE_PGM_RSRC2:TGID_Y_EN: 0
; COMPUTE_PGM_RSRC2:TGID_Z_EN: 0
; COMPUTE_PGM_RSRC2:TIDIG_COMP_CNT: 0
	.section	.text._ZN7rocprim17ROCPRIM_400000_NS6detail17trampoline_kernelINS0_14default_configENS1_25partition_config_selectorILNS1_17partition_subalgoE9EllbEEZZNS1_14partition_implILS5_9ELb0ES3_jPlS8_PNS0_10empty_typeENS0_5tupleIJS8_S9_EEENSB_IJS8_SA_EEENS0_18inequality_wrapperIZN2at6native12_GLOBAL__N_124unique_dim_cuda_templateIhEESt5tupleIJNSF_6TensorESK_SK_EERKSK_lbbbEUlllE0_EEPmJS9_EEE10hipError_tPvRmT3_T4_T5_T6_T7_T9_mT8_P12ihipStream_tbDpT10_ENKUlT_T0_E_clISt17integral_constantIbLb0EES19_IbLb1EEEEDaS15_S16_EUlS15_E_NS1_11comp_targetILNS1_3genE3ELNS1_11target_archE908ELNS1_3gpuE7ELNS1_3repE0EEENS1_30default_config_static_selectorELNS0_4arch9wavefront6targetE0EEEvT1_,"axG",@progbits,_ZN7rocprim17ROCPRIM_400000_NS6detail17trampoline_kernelINS0_14default_configENS1_25partition_config_selectorILNS1_17partition_subalgoE9EllbEEZZNS1_14partition_implILS5_9ELb0ES3_jPlS8_PNS0_10empty_typeENS0_5tupleIJS8_S9_EEENSB_IJS8_SA_EEENS0_18inequality_wrapperIZN2at6native12_GLOBAL__N_124unique_dim_cuda_templateIhEESt5tupleIJNSF_6TensorESK_SK_EERKSK_lbbbEUlllE0_EEPmJS9_EEE10hipError_tPvRmT3_T4_T5_T6_T7_T9_mT8_P12ihipStream_tbDpT10_ENKUlT_T0_E_clISt17integral_constantIbLb0EES19_IbLb1EEEEDaS15_S16_EUlS15_E_NS1_11comp_targetILNS1_3genE3ELNS1_11target_archE908ELNS1_3gpuE7ELNS1_3repE0EEENS1_30default_config_static_selectorELNS0_4arch9wavefront6targetE0EEEvT1_,comdat
	.globl	_ZN7rocprim17ROCPRIM_400000_NS6detail17trampoline_kernelINS0_14default_configENS1_25partition_config_selectorILNS1_17partition_subalgoE9EllbEEZZNS1_14partition_implILS5_9ELb0ES3_jPlS8_PNS0_10empty_typeENS0_5tupleIJS8_S9_EEENSB_IJS8_SA_EEENS0_18inequality_wrapperIZN2at6native12_GLOBAL__N_124unique_dim_cuda_templateIhEESt5tupleIJNSF_6TensorESK_SK_EERKSK_lbbbEUlllE0_EEPmJS9_EEE10hipError_tPvRmT3_T4_T5_T6_T7_T9_mT8_P12ihipStream_tbDpT10_ENKUlT_T0_E_clISt17integral_constantIbLb0EES19_IbLb1EEEEDaS15_S16_EUlS15_E_NS1_11comp_targetILNS1_3genE3ELNS1_11target_archE908ELNS1_3gpuE7ELNS1_3repE0EEENS1_30default_config_static_selectorELNS0_4arch9wavefront6targetE0EEEvT1_ ; -- Begin function _ZN7rocprim17ROCPRIM_400000_NS6detail17trampoline_kernelINS0_14default_configENS1_25partition_config_selectorILNS1_17partition_subalgoE9EllbEEZZNS1_14partition_implILS5_9ELb0ES3_jPlS8_PNS0_10empty_typeENS0_5tupleIJS8_S9_EEENSB_IJS8_SA_EEENS0_18inequality_wrapperIZN2at6native12_GLOBAL__N_124unique_dim_cuda_templateIhEESt5tupleIJNSF_6TensorESK_SK_EERKSK_lbbbEUlllE0_EEPmJS9_EEE10hipError_tPvRmT3_T4_T5_T6_T7_T9_mT8_P12ihipStream_tbDpT10_ENKUlT_T0_E_clISt17integral_constantIbLb0EES19_IbLb1EEEEDaS15_S16_EUlS15_E_NS1_11comp_targetILNS1_3genE3ELNS1_11target_archE908ELNS1_3gpuE7ELNS1_3repE0EEENS1_30default_config_static_selectorELNS0_4arch9wavefront6targetE0EEEvT1_
	.p2align	8
	.type	_ZN7rocprim17ROCPRIM_400000_NS6detail17trampoline_kernelINS0_14default_configENS1_25partition_config_selectorILNS1_17partition_subalgoE9EllbEEZZNS1_14partition_implILS5_9ELb0ES3_jPlS8_PNS0_10empty_typeENS0_5tupleIJS8_S9_EEENSB_IJS8_SA_EEENS0_18inequality_wrapperIZN2at6native12_GLOBAL__N_124unique_dim_cuda_templateIhEESt5tupleIJNSF_6TensorESK_SK_EERKSK_lbbbEUlllE0_EEPmJS9_EEE10hipError_tPvRmT3_T4_T5_T6_T7_T9_mT8_P12ihipStream_tbDpT10_ENKUlT_T0_E_clISt17integral_constantIbLb0EES19_IbLb1EEEEDaS15_S16_EUlS15_E_NS1_11comp_targetILNS1_3genE3ELNS1_11target_archE908ELNS1_3gpuE7ELNS1_3repE0EEENS1_30default_config_static_selectorELNS0_4arch9wavefront6targetE0EEEvT1_,@function
_ZN7rocprim17ROCPRIM_400000_NS6detail17trampoline_kernelINS0_14default_configENS1_25partition_config_selectorILNS1_17partition_subalgoE9EllbEEZZNS1_14partition_implILS5_9ELb0ES3_jPlS8_PNS0_10empty_typeENS0_5tupleIJS8_S9_EEENSB_IJS8_SA_EEENS0_18inequality_wrapperIZN2at6native12_GLOBAL__N_124unique_dim_cuda_templateIhEESt5tupleIJNSF_6TensorESK_SK_EERKSK_lbbbEUlllE0_EEPmJS9_EEE10hipError_tPvRmT3_T4_T5_T6_T7_T9_mT8_P12ihipStream_tbDpT10_ENKUlT_T0_E_clISt17integral_constantIbLb0EES19_IbLb1EEEEDaS15_S16_EUlS15_E_NS1_11comp_targetILNS1_3genE3ELNS1_11target_archE908ELNS1_3gpuE7ELNS1_3repE0EEENS1_30default_config_static_selectorELNS0_4arch9wavefront6targetE0EEEvT1_: ; @_ZN7rocprim17ROCPRIM_400000_NS6detail17trampoline_kernelINS0_14default_configENS1_25partition_config_selectorILNS1_17partition_subalgoE9EllbEEZZNS1_14partition_implILS5_9ELb0ES3_jPlS8_PNS0_10empty_typeENS0_5tupleIJS8_S9_EEENSB_IJS8_SA_EEENS0_18inequality_wrapperIZN2at6native12_GLOBAL__N_124unique_dim_cuda_templateIhEESt5tupleIJNSF_6TensorESK_SK_EERKSK_lbbbEUlllE0_EEPmJS9_EEE10hipError_tPvRmT3_T4_T5_T6_T7_T9_mT8_P12ihipStream_tbDpT10_ENKUlT_T0_E_clISt17integral_constantIbLb0EES19_IbLb1EEEEDaS15_S16_EUlS15_E_NS1_11comp_targetILNS1_3genE3ELNS1_11target_archE908ELNS1_3gpuE7ELNS1_3repE0EEENS1_30default_config_static_selectorELNS0_4arch9wavefront6targetE0EEEvT1_
; %bb.0:
	.section	.rodata,"a",@progbits
	.p2align	6, 0x0
	.amdhsa_kernel _ZN7rocprim17ROCPRIM_400000_NS6detail17trampoline_kernelINS0_14default_configENS1_25partition_config_selectorILNS1_17partition_subalgoE9EllbEEZZNS1_14partition_implILS5_9ELb0ES3_jPlS8_PNS0_10empty_typeENS0_5tupleIJS8_S9_EEENSB_IJS8_SA_EEENS0_18inequality_wrapperIZN2at6native12_GLOBAL__N_124unique_dim_cuda_templateIhEESt5tupleIJNSF_6TensorESK_SK_EERKSK_lbbbEUlllE0_EEPmJS9_EEE10hipError_tPvRmT3_T4_T5_T6_T7_T9_mT8_P12ihipStream_tbDpT10_ENKUlT_T0_E_clISt17integral_constantIbLb0EES19_IbLb1EEEEDaS15_S16_EUlS15_E_NS1_11comp_targetILNS1_3genE3ELNS1_11target_archE908ELNS1_3gpuE7ELNS1_3repE0EEENS1_30default_config_static_selectorELNS0_4arch9wavefront6targetE0EEEvT1_
		.amdhsa_group_segment_fixed_size 0
		.amdhsa_private_segment_fixed_size 0
		.amdhsa_kernarg_size 136
		.amdhsa_user_sgpr_count 15
		.amdhsa_user_sgpr_dispatch_ptr 0
		.amdhsa_user_sgpr_queue_ptr 0
		.amdhsa_user_sgpr_kernarg_segment_ptr 1
		.amdhsa_user_sgpr_dispatch_id 0
		.amdhsa_user_sgpr_private_segment_size 0
		.amdhsa_wavefront_size32 1
		.amdhsa_uses_dynamic_stack 0
		.amdhsa_enable_private_segment 0
		.amdhsa_system_sgpr_workgroup_id_x 1
		.amdhsa_system_sgpr_workgroup_id_y 0
		.amdhsa_system_sgpr_workgroup_id_z 0
		.amdhsa_system_sgpr_workgroup_info 0
		.amdhsa_system_vgpr_workitem_id 0
		.amdhsa_next_free_vgpr 1
		.amdhsa_next_free_sgpr 1
		.amdhsa_reserve_vcc 0
		.amdhsa_float_round_mode_32 0
		.amdhsa_float_round_mode_16_64 0
		.amdhsa_float_denorm_mode_32 3
		.amdhsa_float_denorm_mode_16_64 3
		.amdhsa_dx10_clamp 1
		.amdhsa_ieee_mode 1
		.amdhsa_fp16_overflow 0
		.amdhsa_workgroup_processor_mode 1
		.amdhsa_memory_ordered 1
		.amdhsa_forward_progress 0
		.amdhsa_shared_vgpr_count 0
		.amdhsa_exception_fp_ieee_invalid_op 0
		.amdhsa_exception_fp_denorm_src 0
		.amdhsa_exception_fp_ieee_div_zero 0
		.amdhsa_exception_fp_ieee_overflow 0
		.amdhsa_exception_fp_ieee_underflow 0
		.amdhsa_exception_fp_ieee_inexact 0
		.amdhsa_exception_int_div_zero 0
	.end_amdhsa_kernel
	.section	.text._ZN7rocprim17ROCPRIM_400000_NS6detail17trampoline_kernelINS0_14default_configENS1_25partition_config_selectorILNS1_17partition_subalgoE9EllbEEZZNS1_14partition_implILS5_9ELb0ES3_jPlS8_PNS0_10empty_typeENS0_5tupleIJS8_S9_EEENSB_IJS8_SA_EEENS0_18inequality_wrapperIZN2at6native12_GLOBAL__N_124unique_dim_cuda_templateIhEESt5tupleIJNSF_6TensorESK_SK_EERKSK_lbbbEUlllE0_EEPmJS9_EEE10hipError_tPvRmT3_T4_T5_T6_T7_T9_mT8_P12ihipStream_tbDpT10_ENKUlT_T0_E_clISt17integral_constantIbLb0EES19_IbLb1EEEEDaS15_S16_EUlS15_E_NS1_11comp_targetILNS1_3genE3ELNS1_11target_archE908ELNS1_3gpuE7ELNS1_3repE0EEENS1_30default_config_static_selectorELNS0_4arch9wavefront6targetE0EEEvT1_,"axG",@progbits,_ZN7rocprim17ROCPRIM_400000_NS6detail17trampoline_kernelINS0_14default_configENS1_25partition_config_selectorILNS1_17partition_subalgoE9EllbEEZZNS1_14partition_implILS5_9ELb0ES3_jPlS8_PNS0_10empty_typeENS0_5tupleIJS8_S9_EEENSB_IJS8_SA_EEENS0_18inequality_wrapperIZN2at6native12_GLOBAL__N_124unique_dim_cuda_templateIhEESt5tupleIJNSF_6TensorESK_SK_EERKSK_lbbbEUlllE0_EEPmJS9_EEE10hipError_tPvRmT3_T4_T5_T6_T7_T9_mT8_P12ihipStream_tbDpT10_ENKUlT_T0_E_clISt17integral_constantIbLb0EES19_IbLb1EEEEDaS15_S16_EUlS15_E_NS1_11comp_targetILNS1_3genE3ELNS1_11target_archE908ELNS1_3gpuE7ELNS1_3repE0EEENS1_30default_config_static_selectorELNS0_4arch9wavefront6targetE0EEEvT1_,comdat
.Lfunc_end231:
	.size	_ZN7rocprim17ROCPRIM_400000_NS6detail17trampoline_kernelINS0_14default_configENS1_25partition_config_selectorILNS1_17partition_subalgoE9EllbEEZZNS1_14partition_implILS5_9ELb0ES3_jPlS8_PNS0_10empty_typeENS0_5tupleIJS8_S9_EEENSB_IJS8_SA_EEENS0_18inequality_wrapperIZN2at6native12_GLOBAL__N_124unique_dim_cuda_templateIhEESt5tupleIJNSF_6TensorESK_SK_EERKSK_lbbbEUlllE0_EEPmJS9_EEE10hipError_tPvRmT3_T4_T5_T6_T7_T9_mT8_P12ihipStream_tbDpT10_ENKUlT_T0_E_clISt17integral_constantIbLb0EES19_IbLb1EEEEDaS15_S16_EUlS15_E_NS1_11comp_targetILNS1_3genE3ELNS1_11target_archE908ELNS1_3gpuE7ELNS1_3repE0EEENS1_30default_config_static_selectorELNS0_4arch9wavefront6targetE0EEEvT1_, .Lfunc_end231-_ZN7rocprim17ROCPRIM_400000_NS6detail17trampoline_kernelINS0_14default_configENS1_25partition_config_selectorILNS1_17partition_subalgoE9EllbEEZZNS1_14partition_implILS5_9ELb0ES3_jPlS8_PNS0_10empty_typeENS0_5tupleIJS8_S9_EEENSB_IJS8_SA_EEENS0_18inequality_wrapperIZN2at6native12_GLOBAL__N_124unique_dim_cuda_templateIhEESt5tupleIJNSF_6TensorESK_SK_EERKSK_lbbbEUlllE0_EEPmJS9_EEE10hipError_tPvRmT3_T4_T5_T6_T7_T9_mT8_P12ihipStream_tbDpT10_ENKUlT_T0_E_clISt17integral_constantIbLb0EES19_IbLb1EEEEDaS15_S16_EUlS15_E_NS1_11comp_targetILNS1_3genE3ELNS1_11target_archE908ELNS1_3gpuE7ELNS1_3repE0EEENS1_30default_config_static_selectorELNS0_4arch9wavefront6targetE0EEEvT1_
                                        ; -- End function
	.section	.AMDGPU.csdata,"",@progbits
; Kernel info:
; codeLenInByte = 0
; NumSgprs: 0
; NumVgprs: 0
; ScratchSize: 0
; MemoryBound: 0
; FloatMode: 240
; IeeeMode: 1
; LDSByteSize: 0 bytes/workgroup (compile time only)
; SGPRBlocks: 0
; VGPRBlocks: 0
; NumSGPRsForWavesPerEU: 1
; NumVGPRsForWavesPerEU: 1
; Occupancy: 16
; WaveLimiterHint : 0
; COMPUTE_PGM_RSRC2:SCRATCH_EN: 0
; COMPUTE_PGM_RSRC2:USER_SGPR: 15
; COMPUTE_PGM_RSRC2:TRAP_HANDLER: 0
; COMPUTE_PGM_RSRC2:TGID_X_EN: 1
; COMPUTE_PGM_RSRC2:TGID_Y_EN: 0
; COMPUTE_PGM_RSRC2:TGID_Z_EN: 0
; COMPUTE_PGM_RSRC2:TIDIG_COMP_CNT: 0
	.section	.text._ZN7rocprim17ROCPRIM_400000_NS6detail17trampoline_kernelINS0_14default_configENS1_25partition_config_selectorILNS1_17partition_subalgoE9EllbEEZZNS1_14partition_implILS5_9ELb0ES3_jPlS8_PNS0_10empty_typeENS0_5tupleIJS8_S9_EEENSB_IJS8_SA_EEENS0_18inequality_wrapperIZN2at6native12_GLOBAL__N_124unique_dim_cuda_templateIhEESt5tupleIJNSF_6TensorESK_SK_EERKSK_lbbbEUlllE0_EEPmJS9_EEE10hipError_tPvRmT3_T4_T5_T6_T7_T9_mT8_P12ihipStream_tbDpT10_ENKUlT_T0_E_clISt17integral_constantIbLb0EES19_IbLb1EEEEDaS15_S16_EUlS15_E_NS1_11comp_targetILNS1_3genE2ELNS1_11target_archE906ELNS1_3gpuE6ELNS1_3repE0EEENS1_30default_config_static_selectorELNS0_4arch9wavefront6targetE0EEEvT1_,"axG",@progbits,_ZN7rocprim17ROCPRIM_400000_NS6detail17trampoline_kernelINS0_14default_configENS1_25partition_config_selectorILNS1_17partition_subalgoE9EllbEEZZNS1_14partition_implILS5_9ELb0ES3_jPlS8_PNS0_10empty_typeENS0_5tupleIJS8_S9_EEENSB_IJS8_SA_EEENS0_18inequality_wrapperIZN2at6native12_GLOBAL__N_124unique_dim_cuda_templateIhEESt5tupleIJNSF_6TensorESK_SK_EERKSK_lbbbEUlllE0_EEPmJS9_EEE10hipError_tPvRmT3_T4_T5_T6_T7_T9_mT8_P12ihipStream_tbDpT10_ENKUlT_T0_E_clISt17integral_constantIbLb0EES19_IbLb1EEEEDaS15_S16_EUlS15_E_NS1_11comp_targetILNS1_3genE2ELNS1_11target_archE906ELNS1_3gpuE6ELNS1_3repE0EEENS1_30default_config_static_selectorELNS0_4arch9wavefront6targetE0EEEvT1_,comdat
	.globl	_ZN7rocprim17ROCPRIM_400000_NS6detail17trampoline_kernelINS0_14default_configENS1_25partition_config_selectorILNS1_17partition_subalgoE9EllbEEZZNS1_14partition_implILS5_9ELb0ES3_jPlS8_PNS0_10empty_typeENS0_5tupleIJS8_S9_EEENSB_IJS8_SA_EEENS0_18inequality_wrapperIZN2at6native12_GLOBAL__N_124unique_dim_cuda_templateIhEESt5tupleIJNSF_6TensorESK_SK_EERKSK_lbbbEUlllE0_EEPmJS9_EEE10hipError_tPvRmT3_T4_T5_T6_T7_T9_mT8_P12ihipStream_tbDpT10_ENKUlT_T0_E_clISt17integral_constantIbLb0EES19_IbLb1EEEEDaS15_S16_EUlS15_E_NS1_11comp_targetILNS1_3genE2ELNS1_11target_archE906ELNS1_3gpuE6ELNS1_3repE0EEENS1_30default_config_static_selectorELNS0_4arch9wavefront6targetE0EEEvT1_ ; -- Begin function _ZN7rocprim17ROCPRIM_400000_NS6detail17trampoline_kernelINS0_14default_configENS1_25partition_config_selectorILNS1_17partition_subalgoE9EllbEEZZNS1_14partition_implILS5_9ELb0ES3_jPlS8_PNS0_10empty_typeENS0_5tupleIJS8_S9_EEENSB_IJS8_SA_EEENS0_18inequality_wrapperIZN2at6native12_GLOBAL__N_124unique_dim_cuda_templateIhEESt5tupleIJNSF_6TensorESK_SK_EERKSK_lbbbEUlllE0_EEPmJS9_EEE10hipError_tPvRmT3_T4_T5_T6_T7_T9_mT8_P12ihipStream_tbDpT10_ENKUlT_T0_E_clISt17integral_constantIbLb0EES19_IbLb1EEEEDaS15_S16_EUlS15_E_NS1_11comp_targetILNS1_3genE2ELNS1_11target_archE906ELNS1_3gpuE6ELNS1_3repE0EEENS1_30default_config_static_selectorELNS0_4arch9wavefront6targetE0EEEvT1_
	.p2align	8
	.type	_ZN7rocprim17ROCPRIM_400000_NS6detail17trampoline_kernelINS0_14default_configENS1_25partition_config_selectorILNS1_17partition_subalgoE9EllbEEZZNS1_14partition_implILS5_9ELb0ES3_jPlS8_PNS0_10empty_typeENS0_5tupleIJS8_S9_EEENSB_IJS8_SA_EEENS0_18inequality_wrapperIZN2at6native12_GLOBAL__N_124unique_dim_cuda_templateIhEESt5tupleIJNSF_6TensorESK_SK_EERKSK_lbbbEUlllE0_EEPmJS9_EEE10hipError_tPvRmT3_T4_T5_T6_T7_T9_mT8_P12ihipStream_tbDpT10_ENKUlT_T0_E_clISt17integral_constantIbLb0EES19_IbLb1EEEEDaS15_S16_EUlS15_E_NS1_11comp_targetILNS1_3genE2ELNS1_11target_archE906ELNS1_3gpuE6ELNS1_3repE0EEENS1_30default_config_static_selectorELNS0_4arch9wavefront6targetE0EEEvT1_,@function
_ZN7rocprim17ROCPRIM_400000_NS6detail17trampoline_kernelINS0_14default_configENS1_25partition_config_selectorILNS1_17partition_subalgoE9EllbEEZZNS1_14partition_implILS5_9ELb0ES3_jPlS8_PNS0_10empty_typeENS0_5tupleIJS8_S9_EEENSB_IJS8_SA_EEENS0_18inequality_wrapperIZN2at6native12_GLOBAL__N_124unique_dim_cuda_templateIhEESt5tupleIJNSF_6TensorESK_SK_EERKSK_lbbbEUlllE0_EEPmJS9_EEE10hipError_tPvRmT3_T4_T5_T6_T7_T9_mT8_P12ihipStream_tbDpT10_ENKUlT_T0_E_clISt17integral_constantIbLb0EES19_IbLb1EEEEDaS15_S16_EUlS15_E_NS1_11comp_targetILNS1_3genE2ELNS1_11target_archE906ELNS1_3gpuE6ELNS1_3repE0EEENS1_30default_config_static_selectorELNS0_4arch9wavefront6targetE0EEEvT1_: ; @_ZN7rocprim17ROCPRIM_400000_NS6detail17trampoline_kernelINS0_14default_configENS1_25partition_config_selectorILNS1_17partition_subalgoE9EllbEEZZNS1_14partition_implILS5_9ELb0ES3_jPlS8_PNS0_10empty_typeENS0_5tupleIJS8_S9_EEENSB_IJS8_SA_EEENS0_18inequality_wrapperIZN2at6native12_GLOBAL__N_124unique_dim_cuda_templateIhEESt5tupleIJNSF_6TensorESK_SK_EERKSK_lbbbEUlllE0_EEPmJS9_EEE10hipError_tPvRmT3_T4_T5_T6_T7_T9_mT8_P12ihipStream_tbDpT10_ENKUlT_T0_E_clISt17integral_constantIbLb0EES19_IbLb1EEEEDaS15_S16_EUlS15_E_NS1_11comp_targetILNS1_3genE2ELNS1_11target_archE906ELNS1_3gpuE6ELNS1_3repE0EEENS1_30default_config_static_selectorELNS0_4arch9wavefront6targetE0EEEvT1_
; %bb.0:
	.section	.rodata,"a",@progbits
	.p2align	6, 0x0
	.amdhsa_kernel _ZN7rocprim17ROCPRIM_400000_NS6detail17trampoline_kernelINS0_14default_configENS1_25partition_config_selectorILNS1_17partition_subalgoE9EllbEEZZNS1_14partition_implILS5_9ELb0ES3_jPlS8_PNS0_10empty_typeENS0_5tupleIJS8_S9_EEENSB_IJS8_SA_EEENS0_18inequality_wrapperIZN2at6native12_GLOBAL__N_124unique_dim_cuda_templateIhEESt5tupleIJNSF_6TensorESK_SK_EERKSK_lbbbEUlllE0_EEPmJS9_EEE10hipError_tPvRmT3_T4_T5_T6_T7_T9_mT8_P12ihipStream_tbDpT10_ENKUlT_T0_E_clISt17integral_constantIbLb0EES19_IbLb1EEEEDaS15_S16_EUlS15_E_NS1_11comp_targetILNS1_3genE2ELNS1_11target_archE906ELNS1_3gpuE6ELNS1_3repE0EEENS1_30default_config_static_selectorELNS0_4arch9wavefront6targetE0EEEvT1_
		.amdhsa_group_segment_fixed_size 0
		.amdhsa_private_segment_fixed_size 0
		.amdhsa_kernarg_size 136
		.amdhsa_user_sgpr_count 15
		.amdhsa_user_sgpr_dispatch_ptr 0
		.amdhsa_user_sgpr_queue_ptr 0
		.amdhsa_user_sgpr_kernarg_segment_ptr 1
		.amdhsa_user_sgpr_dispatch_id 0
		.amdhsa_user_sgpr_private_segment_size 0
		.amdhsa_wavefront_size32 1
		.amdhsa_uses_dynamic_stack 0
		.amdhsa_enable_private_segment 0
		.amdhsa_system_sgpr_workgroup_id_x 1
		.amdhsa_system_sgpr_workgroup_id_y 0
		.amdhsa_system_sgpr_workgroup_id_z 0
		.amdhsa_system_sgpr_workgroup_info 0
		.amdhsa_system_vgpr_workitem_id 0
		.amdhsa_next_free_vgpr 1
		.amdhsa_next_free_sgpr 1
		.amdhsa_reserve_vcc 0
		.amdhsa_float_round_mode_32 0
		.amdhsa_float_round_mode_16_64 0
		.amdhsa_float_denorm_mode_32 3
		.amdhsa_float_denorm_mode_16_64 3
		.amdhsa_dx10_clamp 1
		.amdhsa_ieee_mode 1
		.amdhsa_fp16_overflow 0
		.amdhsa_workgroup_processor_mode 1
		.amdhsa_memory_ordered 1
		.amdhsa_forward_progress 0
		.amdhsa_shared_vgpr_count 0
		.amdhsa_exception_fp_ieee_invalid_op 0
		.amdhsa_exception_fp_denorm_src 0
		.amdhsa_exception_fp_ieee_div_zero 0
		.amdhsa_exception_fp_ieee_overflow 0
		.amdhsa_exception_fp_ieee_underflow 0
		.amdhsa_exception_fp_ieee_inexact 0
		.amdhsa_exception_int_div_zero 0
	.end_amdhsa_kernel
	.section	.text._ZN7rocprim17ROCPRIM_400000_NS6detail17trampoline_kernelINS0_14default_configENS1_25partition_config_selectorILNS1_17partition_subalgoE9EllbEEZZNS1_14partition_implILS5_9ELb0ES3_jPlS8_PNS0_10empty_typeENS0_5tupleIJS8_S9_EEENSB_IJS8_SA_EEENS0_18inequality_wrapperIZN2at6native12_GLOBAL__N_124unique_dim_cuda_templateIhEESt5tupleIJNSF_6TensorESK_SK_EERKSK_lbbbEUlllE0_EEPmJS9_EEE10hipError_tPvRmT3_T4_T5_T6_T7_T9_mT8_P12ihipStream_tbDpT10_ENKUlT_T0_E_clISt17integral_constantIbLb0EES19_IbLb1EEEEDaS15_S16_EUlS15_E_NS1_11comp_targetILNS1_3genE2ELNS1_11target_archE906ELNS1_3gpuE6ELNS1_3repE0EEENS1_30default_config_static_selectorELNS0_4arch9wavefront6targetE0EEEvT1_,"axG",@progbits,_ZN7rocprim17ROCPRIM_400000_NS6detail17trampoline_kernelINS0_14default_configENS1_25partition_config_selectorILNS1_17partition_subalgoE9EllbEEZZNS1_14partition_implILS5_9ELb0ES3_jPlS8_PNS0_10empty_typeENS0_5tupleIJS8_S9_EEENSB_IJS8_SA_EEENS0_18inequality_wrapperIZN2at6native12_GLOBAL__N_124unique_dim_cuda_templateIhEESt5tupleIJNSF_6TensorESK_SK_EERKSK_lbbbEUlllE0_EEPmJS9_EEE10hipError_tPvRmT3_T4_T5_T6_T7_T9_mT8_P12ihipStream_tbDpT10_ENKUlT_T0_E_clISt17integral_constantIbLb0EES19_IbLb1EEEEDaS15_S16_EUlS15_E_NS1_11comp_targetILNS1_3genE2ELNS1_11target_archE906ELNS1_3gpuE6ELNS1_3repE0EEENS1_30default_config_static_selectorELNS0_4arch9wavefront6targetE0EEEvT1_,comdat
.Lfunc_end232:
	.size	_ZN7rocprim17ROCPRIM_400000_NS6detail17trampoline_kernelINS0_14default_configENS1_25partition_config_selectorILNS1_17partition_subalgoE9EllbEEZZNS1_14partition_implILS5_9ELb0ES3_jPlS8_PNS0_10empty_typeENS0_5tupleIJS8_S9_EEENSB_IJS8_SA_EEENS0_18inequality_wrapperIZN2at6native12_GLOBAL__N_124unique_dim_cuda_templateIhEESt5tupleIJNSF_6TensorESK_SK_EERKSK_lbbbEUlllE0_EEPmJS9_EEE10hipError_tPvRmT3_T4_T5_T6_T7_T9_mT8_P12ihipStream_tbDpT10_ENKUlT_T0_E_clISt17integral_constantIbLb0EES19_IbLb1EEEEDaS15_S16_EUlS15_E_NS1_11comp_targetILNS1_3genE2ELNS1_11target_archE906ELNS1_3gpuE6ELNS1_3repE0EEENS1_30default_config_static_selectorELNS0_4arch9wavefront6targetE0EEEvT1_, .Lfunc_end232-_ZN7rocprim17ROCPRIM_400000_NS6detail17trampoline_kernelINS0_14default_configENS1_25partition_config_selectorILNS1_17partition_subalgoE9EllbEEZZNS1_14partition_implILS5_9ELb0ES3_jPlS8_PNS0_10empty_typeENS0_5tupleIJS8_S9_EEENSB_IJS8_SA_EEENS0_18inequality_wrapperIZN2at6native12_GLOBAL__N_124unique_dim_cuda_templateIhEESt5tupleIJNSF_6TensorESK_SK_EERKSK_lbbbEUlllE0_EEPmJS9_EEE10hipError_tPvRmT3_T4_T5_T6_T7_T9_mT8_P12ihipStream_tbDpT10_ENKUlT_T0_E_clISt17integral_constantIbLb0EES19_IbLb1EEEEDaS15_S16_EUlS15_E_NS1_11comp_targetILNS1_3genE2ELNS1_11target_archE906ELNS1_3gpuE6ELNS1_3repE0EEENS1_30default_config_static_selectorELNS0_4arch9wavefront6targetE0EEEvT1_
                                        ; -- End function
	.section	.AMDGPU.csdata,"",@progbits
; Kernel info:
; codeLenInByte = 0
; NumSgprs: 0
; NumVgprs: 0
; ScratchSize: 0
; MemoryBound: 0
; FloatMode: 240
; IeeeMode: 1
; LDSByteSize: 0 bytes/workgroup (compile time only)
; SGPRBlocks: 0
; VGPRBlocks: 0
; NumSGPRsForWavesPerEU: 1
; NumVGPRsForWavesPerEU: 1
; Occupancy: 15
; WaveLimiterHint : 0
; COMPUTE_PGM_RSRC2:SCRATCH_EN: 0
; COMPUTE_PGM_RSRC2:USER_SGPR: 15
; COMPUTE_PGM_RSRC2:TRAP_HANDLER: 0
; COMPUTE_PGM_RSRC2:TGID_X_EN: 1
; COMPUTE_PGM_RSRC2:TGID_Y_EN: 0
; COMPUTE_PGM_RSRC2:TGID_Z_EN: 0
; COMPUTE_PGM_RSRC2:TIDIG_COMP_CNT: 0
	.section	.text._ZN7rocprim17ROCPRIM_400000_NS6detail17trampoline_kernelINS0_14default_configENS1_25partition_config_selectorILNS1_17partition_subalgoE9EllbEEZZNS1_14partition_implILS5_9ELb0ES3_jPlS8_PNS0_10empty_typeENS0_5tupleIJS8_S9_EEENSB_IJS8_SA_EEENS0_18inequality_wrapperIZN2at6native12_GLOBAL__N_124unique_dim_cuda_templateIhEESt5tupleIJNSF_6TensorESK_SK_EERKSK_lbbbEUlllE0_EEPmJS9_EEE10hipError_tPvRmT3_T4_T5_T6_T7_T9_mT8_P12ihipStream_tbDpT10_ENKUlT_T0_E_clISt17integral_constantIbLb0EES19_IbLb1EEEEDaS15_S16_EUlS15_E_NS1_11comp_targetILNS1_3genE10ELNS1_11target_archE1200ELNS1_3gpuE4ELNS1_3repE0EEENS1_30default_config_static_selectorELNS0_4arch9wavefront6targetE0EEEvT1_,"axG",@progbits,_ZN7rocprim17ROCPRIM_400000_NS6detail17trampoline_kernelINS0_14default_configENS1_25partition_config_selectorILNS1_17partition_subalgoE9EllbEEZZNS1_14partition_implILS5_9ELb0ES3_jPlS8_PNS0_10empty_typeENS0_5tupleIJS8_S9_EEENSB_IJS8_SA_EEENS0_18inequality_wrapperIZN2at6native12_GLOBAL__N_124unique_dim_cuda_templateIhEESt5tupleIJNSF_6TensorESK_SK_EERKSK_lbbbEUlllE0_EEPmJS9_EEE10hipError_tPvRmT3_T4_T5_T6_T7_T9_mT8_P12ihipStream_tbDpT10_ENKUlT_T0_E_clISt17integral_constantIbLb0EES19_IbLb1EEEEDaS15_S16_EUlS15_E_NS1_11comp_targetILNS1_3genE10ELNS1_11target_archE1200ELNS1_3gpuE4ELNS1_3repE0EEENS1_30default_config_static_selectorELNS0_4arch9wavefront6targetE0EEEvT1_,comdat
	.globl	_ZN7rocprim17ROCPRIM_400000_NS6detail17trampoline_kernelINS0_14default_configENS1_25partition_config_selectorILNS1_17partition_subalgoE9EllbEEZZNS1_14partition_implILS5_9ELb0ES3_jPlS8_PNS0_10empty_typeENS0_5tupleIJS8_S9_EEENSB_IJS8_SA_EEENS0_18inequality_wrapperIZN2at6native12_GLOBAL__N_124unique_dim_cuda_templateIhEESt5tupleIJNSF_6TensorESK_SK_EERKSK_lbbbEUlllE0_EEPmJS9_EEE10hipError_tPvRmT3_T4_T5_T6_T7_T9_mT8_P12ihipStream_tbDpT10_ENKUlT_T0_E_clISt17integral_constantIbLb0EES19_IbLb1EEEEDaS15_S16_EUlS15_E_NS1_11comp_targetILNS1_3genE10ELNS1_11target_archE1200ELNS1_3gpuE4ELNS1_3repE0EEENS1_30default_config_static_selectorELNS0_4arch9wavefront6targetE0EEEvT1_ ; -- Begin function _ZN7rocprim17ROCPRIM_400000_NS6detail17trampoline_kernelINS0_14default_configENS1_25partition_config_selectorILNS1_17partition_subalgoE9EllbEEZZNS1_14partition_implILS5_9ELb0ES3_jPlS8_PNS0_10empty_typeENS0_5tupleIJS8_S9_EEENSB_IJS8_SA_EEENS0_18inequality_wrapperIZN2at6native12_GLOBAL__N_124unique_dim_cuda_templateIhEESt5tupleIJNSF_6TensorESK_SK_EERKSK_lbbbEUlllE0_EEPmJS9_EEE10hipError_tPvRmT3_T4_T5_T6_T7_T9_mT8_P12ihipStream_tbDpT10_ENKUlT_T0_E_clISt17integral_constantIbLb0EES19_IbLb1EEEEDaS15_S16_EUlS15_E_NS1_11comp_targetILNS1_3genE10ELNS1_11target_archE1200ELNS1_3gpuE4ELNS1_3repE0EEENS1_30default_config_static_selectorELNS0_4arch9wavefront6targetE0EEEvT1_
	.p2align	8
	.type	_ZN7rocprim17ROCPRIM_400000_NS6detail17trampoline_kernelINS0_14default_configENS1_25partition_config_selectorILNS1_17partition_subalgoE9EllbEEZZNS1_14partition_implILS5_9ELb0ES3_jPlS8_PNS0_10empty_typeENS0_5tupleIJS8_S9_EEENSB_IJS8_SA_EEENS0_18inequality_wrapperIZN2at6native12_GLOBAL__N_124unique_dim_cuda_templateIhEESt5tupleIJNSF_6TensorESK_SK_EERKSK_lbbbEUlllE0_EEPmJS9_EEE10hipError_tPvRmT3_T4_T5_T6_T7_T9_mT8_P12ihipStream_tbDpT10_ENKUlT_T0_E_clISt17integral_constantIbLb0EES19_IbLb1EEEEDaS15_S16_EUlS15_E_NS1_11comp_targetILNS1_3genE10ELNS1_11target_archE1200ELNS1_3gpuE4ELNS1_3repE0EEENS1_30default_config_static_selectorELNS0_4arch9wavefront6targetE0EEEvT1_,@function
_ZN7rocprim17ROCPRIM_400000_NS6detail17trampoline_kernelINS0_14default_configENS1_25partition_config_selectorILNS1_17partition_subalgoE9EllbEEZZNS1_14partition_implILS5_9ELb0ES3_jPlS8_PNS0_10empty_typeENS0_5tupleIJS8_S9_EEENSB_IJS8_SA_EEENS0_18inequality_wrapperIZN2at6native12_GLOBAL__N_124unique_dim_cuda_templateIhEESt5tupleIJNSF_6TensorESK_SK_EERKSK_lbbbEUlllE0_EEPmJS9_EEE10hipError_tPvRmT3_T4_T5_T6_T7_T9_mT8_P12ihipStream_tbDpT10_ENKUlT_T0_E_clISt17integral_constantIbLb0EES19_IbLb1EEEEDaS15_S16_EUlS15_E_NS1_11comp_targetILNS1_3genE10ELNS1_11target_archE1200ELNS1_3gpuE4ELNS1_3repE0EEENS1_30default_config_static_selectorELNS0_4arch9wavefront6targetE0EEEvT1_: ; @_ZN7rocprim17ROCPRIM_400000_NS6detail17trampoline_kernelINS0_14default_configENS1_25partition_config_selectorILNS1_17partition_subalgoE9EllbEEZZNS1_14partition_implILS5_9ELb0ES3_jPlS8_PNS0_10empty_typeENS0_5tupleIJS8_S9_EEENSB_IJS8_SA_EEENS0_18inequality_wrapperIZN2at6native12_GLOBAL__N_124unique_dim_cuda_templateIhEESt5tupleIJNSF_6TensorESK_SK_EERKSK_lbbbEUlllE0_EEPmJS9_EEE10hipError_tPvRmT3_T4_T5_T6_T7_T9_mT8_P12ihipStream_tbDpT10_ENKUlT_T0_E_clISt17integral_constantIbLb0EES19_IbLb1EEEEDaS15_S16_EUlS15_E_NS1_11comp_targetILNS1_3genE10ELNS1_11target_archE1200ELNS1_3gpuE4ELNS1_3repE0EEENS1_30default_config_static_selectorELNS0_4arch9wavefront6targetE0EEEvT1_
; %bb.0:
	.section	.rodata,"a",@progbits
	.p2align	6, 0x0
	.amdhsa_kernel _ZN7rocprim17ROCPRIM_400000_NS6detail17trampoline_kernelINS0_14default_configENS1_25partition_config_selectorILNS1_17partition_subalgoE9EllbEEZZNS1_14partition_implILS5_9ELb0ES3_jPlS8_PNS0_10empty_typeENS0_5tupleIJS8_S9_EEENSB_IJS8_SA_EEENS0_18inequality_wrapperIZN2at6native12_GLOBAL__N_124unique_dim_cuda_templateIhEESt5tupleIJNSF_6TensorESK_SK_EERKSK_lbbbEUlllE0_EEPmJS9_EEE10hipError_tPvRmT3_T4_T5_T6_T7_T9_mT8_P12ihipStream_tbDpT10_ENKUlT_T0_E_clISt17integral_constantIbLb0EES19_IbLb1EEEEDaS15_S16_EUlS15_E_NS1_11comp_targetILNS1_3genE10ELNS1_11target_archE1200ELNS1_3gpuE4ELNS1_3repE0EEENS1_30default_config_static_selectorELNS0_4arch9wavefront6targetE0EEEvT1_
		.amdhsa_group_segment_fixed_size 0
		.amdhsa_private_segment_fixed_size 0
		.amdhsa_kernarg_size 136
		.amdhsa_user_sgpr_count 15
		.amdhsa_user_sgpr_dispatch_ptr 0
		.amdhsa_user_sgpr_queue_ptr 0
		.amdhsa_user_sgpr_kernarg_segment_ptr 1
		.amdhsa_user_sgpr_dispatch_id 0
		.amdhsa_user_sgpr_private_segment_size 0
		.amdhsa_wavefront_size32 1
		.amdhsa_uses_dynamic_stack 0
		.amdhsa_enable_private_segment 0
		.amdhsa_system_sgpr_workgroup_id_x 1
		.amdhsa_system_sgpr_workgroup_id_y 0
		.amdhsa_system_sgpr_workgroup_id_z 0
		.amdhsa_system_sgpr_workgroup_info 0
		.amdhsa_system_vgpr_workitem_id 0
		.amdhsa_next_free_vgpr 1
		.amdhsa_next_free_sgpr 1
		.amdhsa_reserve_vcc 0
		.amdhsa_float_round_mode_32 0
		.amdhsa_float_round_mode_16_64 0
		.amdhsa_float_denorm_mode_32 3
		.amdhsa_float_denorm_mode_16_64 3
		.amdhsa_dx10_clamp 1
		.amdhsa_ieee_mode 1
		.amdhsa_fp16_overflow 0
		.amdhsa_workgroup_processor_mode 1
		.amdhsa_memory_ordered 1
		.amdhsa_forward_progress 0
		.amdhsa_shared_vgpr_count 0
		.amdhsa_exception_fp_ieee_invalid_op 0
		.amdhsa_exception_fp_denorm_src 0
		.amdhsa_exception_fp_ieee_div_zero 0
		.amdhsa_exception_fp_ieee_overflow 0
		.amdhsa_exception_fp_ieee_underflow 0
		.amdhsa_exception_fp_ieee_inexact 0
		.amdhsa_exception_int_div_zero 0
	.end_amdhsa_kernel
	.section	.text._ZN7rocprim17ROCPRIM_400000_NS6detail17trampoline_kernelINS0_14default_configENS1_25partition_config_selectorILNS1_17partition_subalgoE9EllbEEZZNS1_14partition_implILS5_9ELb0ES3_jPlS8_PNS0_10empty_typeENS0_5tupleIJS8_S9_EEENSB_IJS8_SA_EEENS0_18inequality_wrapperIZN2at6native12_GLOBAL__N_124unique_dim_cuda_templateIhEESt5tupleIJNSF_6TensorESK_SK_EERKSK_lbbbEUlllE0_EEPmJS9_EEE10hipError_tPvRmT3_T4_T5_T6_T7_T9_mT8_P12ihipStream_tbDpT10_ENKUlT_T0_E_clISt17integral_constantIbLb0EES19_IbLb1EEEEDaS15_S16_EUlS15_E_NS1_11comp_targetILNS1_3genE10ELNS1_11target_archE1200ELNS1_3gpuE4ELNS1_3repE0EEENS1_30default_config_static_selectorELNS0_4arch9wavefront6targetE0EEEvT1_,"axG",@progbits,_ZN7rocprim17ROCPRIM_400000_NS6detail17trampoline_kernelINS0_14default_configENS1_25partition_config_selectorILNS1_17partition_subalgoE9EllbEEZZNS1_14partition_implILS5_9ELb0ES3_jPlS8_PNS0_10empty_typeENS0_5tupleIJS8_S9_EEENSB_IJS8_SA_EEENS0_18inequality_wrapperIZN2at6native12_GLOBAL__N_124unique_dim_cuda_templateIhEESt5tupleIJNSF_6TensorESK_SK_EERKSK_lbbbEUlllE0_EEPmJS9_EEE10hipError_tPvRmT3_T4_T5_T6_T7_T9_mT8_P12ihipStream_tbDpT10_ENKUlT_T0_E_clISt17integral_constantIbLb0EES19_IbLb1EEEEDaS15_S16_EUlS15_E_NS1_11comp_targetILNS1_3genE10ELNS1_11target_archE1200ELNS1_3gpuE4ELNS1_3repE0EEENS1_30default_config_static_selectorELNS0_4arch9wavefront6targetE0EEEvT1_,comdat
.Lfunc_end233:
	.size	_ZN7rocprim17ROCPRIM_400000_NS6detail17trampoline_kernelINS0_14default_configENS1_25partition_config_selectorILNS1_17partition_subalgoE9EllbEEZZNS1_14partition_implILS5_9ELb0ES3_jPlS8_PNS0_10empty_typeENS0_5tupleIJS8_S9_EEENSB_IJS8_SA_EEENS0_18inequality_wrapperIZN2at6native12_GLOBAL__N_124unique_dim_cuda_templateIhEESt5tupleIJNSF_6TensorESK_SK_EERKSK_lbbbEUlllE0_EEPmJS9_EEE10hipError_tPvRmT3_T4_T5_T6_T7_T9_mT8_P12ihipStream_tbDpT10_ENKUlT_T0_E_clISt17integral_constantIbLb0EES19_IbLb1EEEEDaS15_S16_EUlS15_E_NS1_11comp_targetILNS1_3genE10ELNS1_11target_archE1200ELNS1_3gpuE4ELNS1_3repE0EEENS1_30default_config_static_selectorELNS0_4arch9wavefront6targetE0EEEvT1_, .Lfunc_end233-_ZN7rocprim17ROCPRIM_400000_NS6detail17trampoline_kernelINS0_14default_configENS1_25partition_config_selectorILNS1_17partition_subalgoE9EllbEEZZNS1_14partition_implILS5_9ELb0ES3_jPlS8_PNS0_10empty_typeENS0_5tupleIJS8_S9_EEENSB_IJS8_SA_EEENS0_18inequality_wrapperIZN2at6native12_GLOBAL__N_124unique_dim_cuda_templateIhEESt5tupleIJNSF_6TensorESK_SK_EERKSK_lbbbEUlllE0_EEPmJS9_EEE10hipError_tPvRmT3_T4_T5_T6_T7_T9_mT8_P12ihipStream_tbDpT10_ENKUlT_T0_E_clISt17integral_constantIbLb0EES19_IbLb1EEEEDaS15_S16_EUlS15_E_NS1_11comp_targetILNS1_3genE10ELNS1_11target_archE1200ELNS1_3gpuE4ELNS1_3repE0EEENS1_30default_config_static_selectorELNS0_4arch9wavefront6targetE0EEEvT1_
                                        ; -- End function
	.section	.AMDGPU.csdata,"",@progbits
; Kernel info:
; codeLenInByte = 0
; NumSgprs: 0
; NumVgprs: 0
; ScratchSize: 0
; MemoryBound: 0
; FloatMode: 240
; IeeeMode: 1
; LDSByteSize: 0 bytes/workgroup (compile time only)
; SGPRBlocks: 0
; VGPRBlocks: 0
; NumSGPRsForWavesPerEU: 1
; NumVGPRsForWavesPerEU: 1
; Occupancy: 15
; WaveLimiterHint : 0
; COMPUTE_PGM_RSRC2:SCRATCH_EN: 0
; COMPUTE_PGM_RSRC2:USER_SGPR: 15
; COMPUTE_PGM_RSRC2:TRAP_HANDLER: 0
; COMPUTE_PGM_RSRC2:TGID_X_EN: 1
; COMPUTE_PGM_RSRC2:TGID_Y_EN: 0
; COMPUTE_PGM_RSRC2:TGID_Z_EN: 0
; COMPUTE_PGM_RSRC2:TIDIG_COMP_CNT: 0
	.section	.text._ZN7rocprim17ROCPRIM_400000_NS6detail17trampoline_kernelINS0_14default_configENS1_25partition_config_selectorILNS1_17partition_subalgoE9EllbEEZZNS1_14partition_implILS5_9ELb0ES3_jPlS8_PNS0_10empty_typeENS0_5tupleIJS8_S9_EEENSB_IJS8_SA_EEENS0_18inequality_wrapperIZN2at6native12_GLOBAL__N_124unique_dim_cuda_templateIhEESt5tupleIJNSF_6TensorESK_SK_EERKSK_lbbbEUlllE0_EEPmJS9_EEE10hipError_tPvRmT3_T4_T5_T6_T7_T9_mT8_P12ihipStream_tbDpT10_ENKUlT_T0_E_clISt17integral_constantIbLb0EES19_IbLb1EEEEDaS15_S16_EUlS15_E_NS1_11comp_targetILNS1_3genE9ELNS1_11target_archE1100ELNS1_3gpuE3ELNS1_3repE0EEENS1_30default_config_static_selectorELNS0_4arch9wavefront6targetE0EEEvT1_,"axG",@progbits,_ZN7rocprim17ROCPRIM_400000_NS6detail17trampoline_kernelINS0_14default_configENS1_25partition_config_selectorILNS1_17partition_subalgoE9EllbEEZZNS1_14partition_implILS5_9ELb0ES3_jPlS8_PNS0_10empty_typeENS0_5tupleIJS8_S9_EEENSB_IJS8_SA_EEENS0_18inequality_wrapperIZN2at6native12_GLOBAL__N_124unique_dim_cuda_templateIhEESt5tupleIJNSF_6TensorESK_SK_EERKSK_lbbbEUlllE0_EEPmJS9_EEE10hipError_tPvRmT3_T4_T5_T6_T7_T9_mT8_P12ihipStream_tbDpT10_ENKUlT_T0_E_clISt17integral_constantIbLb0EES19_IbLb1EEEEDaS15_S16_EUlS15_E_NS1_11comp_targetILNS1_3genE9ELNS1_11target_archE1100ELNS1_3gpuE3ELNS1_3repE0EEENS1_30default_config_static_selectorELNS0_4arch9wavefront6targetE0EEEvT1_,comdat
	.globl	_ZN7rocprim17ROCPRIM_400000_NS6detail17trampoline_kernelINS0_14default_configENS1_25partition_config_selectorILNS1_17partition_subalgoE9EllbEEZZNS1_14partition_implILS5_9ELb0ES3_jPlS8_PNS0_10empty_typeENS0_5tupleIJS8_S9_EEENSB_IJS8_SA_EEENS0_18inequality_wrapperIZN2at6native12_GLOBAL__N_124unique_dim_cuda_templateIhEESt5tupleIJNSF_6TensorESK_SK_EERKSK_lbbbEUlllE0_EEPmJS9_EEE10hipError_tPvRmT3_T4_T5_T6_T7_T9_mT8_P12ihipStream_tbDpT10_ENKUlT_T0_E_clISt17integral_constantIbLb0EES19_IbLb1EEEEDaS15_S16_EUlS15_E_NS1_11comp_targetILNS1_3genE9ELNS1_11target_archE1100ELNS1_3gpuE3ELNS1_3repE0EEENS1_30default_config_static_selectorELNS0_4arch9wavefront6targetE0EEEvT1_ ; -- Begin function _ZN7rocprim17ROCPRIM_400000_NS6detail17trampoline_kernelINS0_14default_configENS1_25partition_config_selectorILNS1_17partition_subalgoE9EllbEEZZNS1_14partition_implILS5_9ELb0ES3_jPlS8_PNS0_10empty_typeENS0_5tupleIJS8_S9_EEENSB_IJS8_SA_EEENS0_18inequality_wrapperIZN2at6native12_GLOBAL__N_124unique_dim_cuda_templateIhEESt5tupleIJNSF_6TensorESK_SK_EERKSK_lbbbEUlllE0_EEPmJS9_EEE10hipError_tPvRmT3_T4_T5_T6_T7_T9_mT8_P12ihipStream_tbDpT10_ENKUlT_T0_E_clISt17integral_constantIbLb0EES19_IbLb1EEEEDaS15_S16_EUlS15_E_NS1_11comp_targetILNS1_3genE9ELNS1_11target_archE1100ELNS1_3gpuE3ELNS1_3repE0EEENS1_30default_config_static_selectorELNS0_4arch9wavefront6targetE0EEEvT1_
	.p2align	8
	.type	_ZN7rocprim17ROCPRIM_400000_NS6detail17trampoline_kernelINS0_14default_configENS1_25partition_config_selectorILNS1_17partition_subalgoE9EllbEEZZNS1_14partition_implILS5_9ELb0ES3_jPlS8_PNS0_10empty_typeENS0_5tupleIJS8_S9_EEENSB_IJS8_SA_EEENS0_18inequality_wrapperIZN2at6native12_GLOBAL__N_124unique_dim_cuda_templateIhEESt5tupleIJNSF_6TensorESK_SK_EERKSK_lbbbEUlllE0_EEPmJS9_EEE10hipError_tPvRmT3_T4_T5_T6_T7_T9_mT8_P12ihipStream_tbDpT10_ENKUlT_T0_E_clISt17integral_constantIbLb0EES19_IbLb1EEEEDaS15_S16_EUlS15_E_NS1_11comp_targetILNS1_3genE9ELNS1_11target_archE1100ELNS1_3gpuE3ELNS1_3repE0EEENS1_30default_config_static_selectorELNS0_4arch9wavefront6targetE0EEEvT1_,@function
_ZN7rocprim17ROCPRIM_400000_NS6detail17trampoline_kernelINS0_14default_configENS1_25partition_config_selectorILNS1_17partition_subalgoE9EllbEEZZNS1_14partition_implILS5_9ELb0ES3_jPlS8_PNS0_10empty_typeENS0_5tupleIJS8_S9_EEENSB_IJS8_SA_EEENS0_18inequality_wrapperIZN2at6native12_GLOBAL__N_124unique_dim_cuda_templateIhEESt5tupleIJNSF_6TensorESK_SK_EERKSK_lbbbEUlllE0_EEPmJS9_EEE10hipError_tPvRmT3_T4_T5_T6_T7_T9_mT8_P12ihipStream_tbDpT10_ENKUlT_T0_E_clISt17integral_constantIbLb0EES19_IbLb1EEEEDaS15_S16_EUlS15_E_NS1_11comp_targetILNS1_3genE9ELNS1_11target_archE1100ELNS1_3gpuE3ELNS1_3repE0EEENS1_30default_config_static_selectorELNS0_4arch9wavefront6targetE0EEEvT1_: ; @_ZN7rocprim17ROCPRIM_400000_NS6detail17trampoline_kernelINS0_14default_configENS1_25partition_config_selectorILNS1_17partition_subalgoE9EllbEEZZNS1_14partition_implILS5_9ELb0ES3_jPlS8_PNS0_10empty_typeENS0_5tupleIJS8_S9_EEENSB_IJS8_SA_EEENS0_18inequality_wrapperIZN2at6native12_GLOBAL__N_124unique_dim_cuda_templateIhEESt5tupleIJNSF_6TensorESK_SK_EERKSK_lbbbEUlllE0_EEPmJS9_EEE10hipError_tPvRmT3_T4_T5_T6_T7_T9_mT8_P12ihipStream_tbDpT10_ENKUlT_T0_E_clISt17integral_constantIbLb0EES19_IbLb1EEEEDaS15_S16_EUlS15_E_NS1_11comp_targetILNS1_3genE9ELNS1_11target_archE1100ELNS1_3gpuE3ELNS1_3repE0EEENS1_30default_config_static_selectorELNS0_4arch9wavefront6targetE0EEEvT1_
; %bb.0:
	s_clause 0x3
	s_load_b128 s[4:7], s[0:1], 0x8
	s_load_b64 s[24:25], s[0:1], 0x18
	s_load_b256 s[8:15], s[0:1], 0x40
	s_load_b128 s[20:23], s[0:1], 0x60
	v_cmp_ne_u32_e64 s3, 0, v0
	v_cmp_eq_u32_e64 s2, 0, v0
	s_delay_alu instid0(VALU_DEP_1)
	s_and_saveexec_b32 s16, s2
	s_cbranch_execz .LBB234_4
; %bb.1:
	s_mov_b32 s18, exec_lo
	s_mov_b32 s17, exec_lo
	v_mbcnt_lo_u32_b32 v1, s18, 0
                                        ; implicit-def: $vgpr2
	s_delay_alu instid0(VALU_DEP_1)
	v_cmpx_eq_u32_e32 0, v1
	s_cbranch_execz .LBB234_3
; %bb.2:
	s_load_b64 s[26:27], s[0:1], 0x78
	s_bcnt1_i32_b32 s18, s18
	s_delay_alu instid0(SALU_CYCLE_1)
	v_dual_mov_b32 v2, 0 :: v_dual_mov_b32 v3, s18
	s_waitcnt lgkmcnt(0)
	global_atomic_add_u32 v2, v2, v3, s[26:27] glc
.LBB234_3:
	s_or_b32 exec_lo, exec_lo, s17
	s_waitcnt vmcnt(0)
	v_readfirstlane_b32 s17, v2
	s_delay_alu instid0(VALU_DEP_1)
	v_dual_mov_b32 v2, 0 :: v_dual_add_nc_u32 v1, s17, v1
	ds_store_b32 v2, v1
.LBB234_4:
	s_or_b32 exec_lo, exec_lo, s16
	v_mov_b32_e32 v1, 0
	s_clause 0x1
	s_load_b128 s[16:19], s[0:1], 0x28
	s_load_b32 s0, s[0:1], 0x70
	s_waitcnt lgkmcnt(0)
	s_barrier
	buffer_gl0_inv
	ds_load_b32 v3, v1
	s_waitcnt lgkmcnt(0)
	s_barrier
	buffer_gl0_inv
	global_load_b64 v[1:2], v1, s[10:11]
	s_lshl_b64 s[26:27], s[6:7], 3
	s_mov_b32 s1, 0
	s_add_u32 s10, s4, s26
	s_addc_u32 s11, s5, s27
	v_lshlrev_b32_e32 v55, 3, v0
	v_lshrrev_b32_e32 v34, 2, v0
	v_or_b32_e32 v39, 0x200, v0
	v_or_b32_e32 v38, 0x400, v0
	;; [unrolled: 1-line block ×5, first 2 shown]
	s_add_i32 s28, s0, -1
	s_lshl_b32 s5, s0, 12
	s_lshl_b32 s4, s28, 12
	v_or_b32_e32 v33, 0xc00, v0
	v_readfirstlane_b32 s30, v3
	s_add_i32 s4, s6, s4
	v_or_b32_e32 v36, 0xe00, v0
	s_sub_i32 s31, s12, s4
	s_delay_alu instid0(VALU_DEP_2)
	s_lshl_b32 s0, s30, 12
	s_add_u32 s4, s6, s5
	s_addc_u32 s5, s7, 0
	s_cmp_eq_u32 s30, s28
	v_cmp_ge_u64_e64 s4, s[4:5], s[12:13]
	s_cselect_b32 s28, -1, 0
	s_lshl_b64 s[12:13], s[0:1], 3
	s_mov_b32 s1, -1
	s_delay_alu instid0(VALU_DEP_1) | instskip(NEXT) | instid1(SALU_CYCLE_1)
	s_and_b32 s33, s4, s28
	s_xor_b32 s29, s33, -1
	s_add_u32 s4, s10, s12
	s_addc_u32 s5, s11, s13
	s_and_b32 vcc_lo, exec_lo, s29
	s_waitcnt vmcnt(0)
	v_readfirstlane_b32 s10, v1
	v_readfirstlane_b32 s11, v2
	s_cbranch_vccz .LBB234_6
; %bb.5:
	v_add_co_u32 v9, s0, s4, v55
	s_delay_alu instid0(VALU_DEP_1)
	v_add_co_ci_u32_e64 v10, null, s5, 0, s0
	global_load_b64 v[1:2], v55, s[4:5]
	v_add_co_u32 v3, vcc_lo, v9, 0x2000
	v_add_co_ci_u32_e32 v4, vcc_lo, 0, v10, vcc_lo
	v_add_co_u32 v5, vcc_lo, v9, 0x4000
	v_add_co_ci_u32_e32 v6, vcc_lo, 0, v10, vcc_lo
	;; [unrolled: 2-line block ×4, first 2 shown]
	s_clause 0x6
	global_load_b64 v[11:12], v[3:4], off offset:-4096
	global_load_b64 v[3:4], v[3:4], off
	global_load_b64 v[13:14], v[5:6], off offset:-4096
	global_load_b64 v[5:6], v[5:6], off
	;; [unrolled: 2-line block ×3, first 2 shown]
	global_load_b64 v[9:10], v[9:10], off
	v_lshrrev_b32_e32 v18, 2, v39
	v_lshrrev_b32_e32 v19, 2, v38
	;; [unrolled: 1-line block ×4, first 2 shown]
	v_and_b32_e32 v17, 0x78, v34
	v_lshrrev_b32_e32 v22, 2, v35
	v_lshrrev_b32_e32 v23, 2, v33
	;; [unrolled: 1-line block ×3, first 2 shown]
	v_and_b32_e32 v18, 0xf8, v18
	v_and_b32_e32 v19, 0x178, v19
	;; [unrolled: 1-line block ×4, first 2 shown]
	v_add_nc_u32_e32 v17, v17, v55
	v_and_b32_e32 v22, 0x2f8, v22
	v_and_b32_e32 v23, 0x378, v23
	;; [unrolled: 1-line block ×3, first 2 shown]
	v_add_nc_u32_e32 v18, v18, v55
	v_add_nc_u32_e32 v19, v19, v55
	;; [unrolled: 1-line block ×4, first 2 shown]
	s_mov_b32 s1, 0
	v_add_nc_u32_e32 v22, v22, v55
	v_add_nc_u32_e32 v23, v23, v55
	;; [unrolled: 1-line block ×3, first 2 shown]
	s_waitcnt vmcnt(7)
	ds_store_b64 v17, v[1:2]
	s_waitcnt vmcnt(6)
	ds_store_b64 v18, v[11:12] offset:4096
	s_waitcnt vmcnt(5)
	ds_store_b64 v19, v[3:4] offset:8192
	;; [unrolled: 2-line block ×7, first 2 shown]
	s_waitcnt lgkmcnt(0)
	s_barrier
.LBB234_6:
	v_cmp_gt_u32_e64 s0, s31, v0
	s_and_not1_b32 vcc_lo, exec_lo, s1
	s_cbranch_vccnz .LBB234_24
; %bb.7:
                                        ; implicit-def: $vgpr1_vgpr2_vgpr3_vgpr4_vgpr5_vgpr6_vgpr7_vgpr8_vgpr9_vgpr10_vgpr11_vgpr12_vgpr13_vgpr14_vgpr15_vgpr16
	s_delay_alu instid0(VALU_DEP_1)
	s_and_saveexec_b32 s1, s0
	s_cbranch_execz .LBB234_15
; %bb.8:
	global_load_b64 v[1:2], v55, s[4:5]
	s_or_b32 exec_lo, exec_lo, s1
	s_delay_alu instid0(SALU_CYCLE_1)
	s_mov_b32 s0, exec_lo
	v_cmpx_gt_u32_e64 s31, v39
	s_cbranch_execnz .LBB234_16
.LBB234_9:
	s_or_b32 exec_lo, exec_lo, s0
	s_delay_alu instid0(SALU_CYCLE_1)
	s_mov_b32 s0, exec_lo
	v_cmpx_gt_u32_e64 s31, v38
	s_cbranch_execz .LBB234_17
.LBB234_10:
	v_lshlrev_b32_e32 v5, 3, v38
	global_load_b64 v[5:6], v5, s[4:5]
	s_or_b32 exec_lo, exec_lo, s0
	s_delay_alu instid0(SALU_CYCLE_1)
	s_mov_b32 s0, exec_lo
	v_cmpx_gt_u32_e64 s31, v40
	s_cbranch_execnz .LBB234_18
.LBB234_11:
	s_or_b32 exec_lo, exec_lo, s0
	s_delay_alu instid0(SALU_CYCLE_1)
	s_mov_b32 s0, exec_lo
	v_cmpx_gt_u32_e64 s31, v37
	s_cbranch_execz .LBB234_19
.LBB234_12:
	v_lshlrev_b32_e32 v9, 3, v37
	global_load_b64 v[9:10], v9, s[4:5]
	s_or_b32 exec_lo, exec_lo, s0
	s_delay_alu instid0(SALU_CYCLE_1)
	s_mov_b32 s0, exec_lo
	v_cmpx_gt_u32_e64 s31, v35
	s_cbranch_execnz .LBB234_20
.LBB234_13:
	s_or_b32 exec_lo, exec_lo, s0
	s_delay_alu instid0(SALU_CYCLE_1)
	s_mov_b32 s0, exec_lo
	v_cmpx_gt_u32_e64 s31, v33
	s_cbranch_execz .LBB234_21
.LBB234_14:
	v_lshlrev_b32_e32 v13, 3, v33
	global_load_b64 v[13:14], v13, s[4:5]
	s_or_b32 exec_lo, exec_lo, s0
	s_delay_alu instid0(SALU_CYCLE_1)
	s_mov_b32 s0, exec_lo
	v_cmpx_gt_u32_e64 s31, v36
	s_cbranch_execnz .LBB234_22
	s_branch .LBB234_23
.LBB234_15:
	s_or_b32 exec_lo, exec_lo, s1
	s_delay_alu instid0(SALU_CYCLE_1)
	s_mov_b32 s0, exec_lo
	v_cmpx_gt_u32_e64 s31, v39
	s_cbranch_execz .LBB234_9
.LBB234_16:
	v_lshlrev_b32_e32 v3, 3, v39
	global_load_b64 v[3:4], v3, s[4:5]
	s_or_b32 exec_lo, exec_lo, s0
	s_delay_alu instid0(SALU_CYCLE_1)
	s_mov_b32 s0, exec_lo
	v_cmpx_gt_u32_e64 s31, v38
	s_cbranch_execnz .LBB234_10
.LBB234_17:
	s_or_b32 exec_lo, exec_lo, s0
	s_delay_alu instid0(SALU_CYCLE_1)
	s_mov_b32 s0, exec_lo
	v_cmpx_gt_u32_e64 s31, v40
	s_cbranch_execz .LBB234_11
.LBB234_18:
	v_lshlrev_b32_e32 v7, 3, v40
	global_load_b64 v[7:8], v7, s[4:5]
	s_or_b32 exec_lo, exec_lo, s0
	s_delay_alu instid0(SALU_CYCLE_1)
	s_mov_b32 s0, exec_lo
	v_cmpx_gt_u32_e64 s31, v37
	s_cbranch_execnz .LBB234_12
.LBB234_19:
	s_or_b32 exec_lo, exec_lo, s0
	s_delay_alu instid0(SALU_CYCLE_1)
	s_mov_b32 s0, exec_lo
	v_cmpx_gt_u32_e64 s31, v35
	s_cbranch_execz .LBB234_13
.LBB234_20:
	v_lshlrev_b32_e32 v11, 3, v35
	global_load_b64 v[11:12], v11, s[4:5]
	s_or_b32 exec_lo, exec_lo, s0
	s_delay_alu instid0(SALU_CYCLE_1)
	s_mov_b32 s0, exec_lo
	v_cmpx_gt_u32_e64 s31, v33
	s_cbranch_execnz .LBB234_14
.LBB234_21:
	s_or_b32 exec_lo, exec_lo, s0
	s_delay_alu instid0(SALU_CYCLE_1)
	s_mov_b32 s0, exec_lo
	v_cmpx_gt_u32_e64 s31, v36
	s_cbranch_execz .LBB234_23
.LBB234_22:
	v_lshlrev_b32_e32 v15, 3, v36
	global_load_b64 v[15:16], v15, s[4:5]
.LBB234_23:
	s_or_b32 exec_lo, exec_lo, s0
	v_lshrrev_b32_e32 v17, 2, v39
	v_lshrrev_b32_e32 v18, 2, v38
	;; [unrolled: 1-line block ×4, first 2 shown]
	v_and_b32_e32 v19, 0x78, v34
	v_lshrrev_b32_e32 v22, 2, v35
	v_lshrrev_b32_e32 v23, 2, v33
	;; [unrolled: 1-line block ×3, first 2 shown]
	v_and_b32_e32 v17, 0xf8, v17
	v_and_b32_e32 v18, 0x1f8, v18
	;; [unrolled: 1-line block ×4, first 2 shown]
	v_add_nc_u32_e32 v19, v19, v55
	v_and_b32_e32 v22, 0x3f8, v22
	v_and_b32_e32 v23, 0x3f8, v23
	;; [unrolled: 1-line block ×3, first 2 shown]
	v_add_nc_u32_e32 v17, v17, v55
	v_add_nc_u32_e32 v18, v18, v55
	;; [unrolled: 1-line block ×7, first 2 shown]
	s_waitcnt vmcnt(0)
	ds_store_b64 v19, v[1:2]
	ds_store_b64 v17, v[3:4] offset:4096
	ds_store_b64 v18, v[5:6] offset:8192
	;; [unrolled: 1-line block ×7, first 2 shown]
	s_waitcnt lgkmcnt(0)
	s_barrier
.LBB234_24:
	v_add_lshl_u32 v41, v34, v55, 3
	buffer_gl0_inv
	s_add_u32 s0, s24, s26
	s_addc_u32 s1, s25, s27
	s_add_u32 s0, s0, s12
	ds_load_2addr_b64 v[29:32], v41 offset1:1
	ds_load_2addr_b64 v[25:28], v41 offset0:2 offset1:3
	ds_load_2addr_b64 v[21:24], v41 offset0:4 offset1:5
	;; [unrolled: 1-line block ×3, first 2 shown]
	s_addc_u32 s1, s1, s13
	s_and_b32 vcc_lo, exec_lo, s29
	s_mov_b32 s12, -1
	s_waitcnt lgkmcnt(0)
	s_barrier
	buffer_gl0_inv
	s_cbranch_vccz .LBB234_26
; %bb.25:
	v_add_co_u32 v9, s12, s0, v55
	s_delay_alu instid0(VALU_DEP_1)
	v_add_co_ci_u32_e64 v10, null, s1, 0, s12
	global_load_b64 v[1:2], v55, s[0:1]
	v_add_co_u32 v3, vcc_lo, v9, 0x2000
	v_add_co_ci_u32_e32 v4, vcc_lo, 0, v10, vcc_lo
	v_add_co_u32 v5, vcc_lo, v9, 0x4000
	v_add_co_ci_u32_e32 v6, vcc_lo, 0, v10, vcc_lo
	;; [unrolled: 2-line block ×4, first 2 shown]
	s_clause 0x6
	global_load_b64 v[11:12], v[3:4], off offset:-4096
	global_load_b64 v[3:4], v[3:4], off
	global_load_b64 v[13:14], v[5:6], off offset:-4096
	global_load_b64 v[5:6], v[5:6], off
	;; [unrolled: 2-line block ×3, first 2 shown]
	global_load_b64 v[9:10], v[9:10], off
	v_lshrrev_b32_e32 v43, 2, v39
	v_lshrrev_b32_e32 v44, 2, v38
	v_lshrrev_b32_e32 v45, 2, v40
	v_lshrrev_b32_e32 v46, 2, v37
	v_and_b32_e32 v42, 0x78, v34
	v_lshrrev_b32_e32 v47, 2, v35
	v_lshrrev_b32_e32 v48, 2, v33
	;; [unrolled: 1-line block ×3, first 2 shown]
	v_and_b32_e32 v43, 0xf8, v43
	v_and_b32_e32 v44, 0x178, v44
	;; [unrolled: 1-line block ×4, first 2 shown]
	v_add_nc_u32_e32 v42, v42, v55
	v_and_b32_e32 v47, 0x2f8, v47
	v_and_b32_e32 v48, 0x378, v48
	;; [unrolled: 1-line block ×3, first 2 shown]
	v_add_nc_u32_e32 v43, v43, v55
	v_add_nc_u32_e32 v44, v44, v55
	;; [unrolled: 1-line block ×4, first 2 shown]
	s_mov_b32 s12, 0
	v_add_nc_u32_e32 v47, v47, v55
	v_add_nc_u32_e32 v48, v48, v55
	;; [unrolled: 1-line block ×3, first 2 shown]
	s_waitcnt vmcnt(7)
	ds_store_b64 v42, v[1:2]
	s_waitcnt vmcnt(6)
	ds_store_b64 v43, v[11:12] offset:4096
	s_waitcnt vmcnt(5)
	ds_store_b64 v44, v[3:4] offset:8192
	;; [unrolled: 2-line block ×7, first 2 shown]
	s_waitcnt lgkmcnt(0)
	s_barrier
.LBB234_26:
	s_and_not1_b32 vcc_lo, exec_lo, s12
	s_cbranch_vccnz .LBB234_44
; %bb.27:
	s_mov_b32 s12, exec_lo
                                        ; implicit-def: $vgpr1_vgpr2
	v_cmpx_gt_u32_e64 s31, v0
	s_cbranch_execz .LBB234_29
; %bb.28:
	global_load_b64 v[1:2], v55, s[0:1]
.LBB234_29:
	s_or_b32 exec_lo, exec_lo, s12
	s_delay_alu instid0(SALU_CYCLE_1)
	s_mov_b32 s12, exec_lo
                                        ; implicit-def: $vgpr3_vgpr4
	v_cmpx_gt_u32_e64 s31, v39
	s_cbranch_execz .LBB234_31
; %bb.30:
	v_lshlrev_b32_e32 v3, 3, v39
	global_load_b64 v[3:4], v3, s[0:1]
.LBB234_31:
	s_or_b32 exec_lo, exec_lo, s12
	s_delay_alu instid0(SALU_CYCLE_1)
	s_mov_b32 s12, exec_lo
                                        ; implicit-def: $vgpr5_vgpr6
	v_cmpx_gt_u32_e64 s31, v38
	s_cbranch_execz .LBB234_33
; %bb.32:
	v_lshlrev_b32_e32 v5, 3, v38
	global_load_b64 v[5:6], v5, s[0:1]
.LBB234_33:
	s_or_b32 exec_lo, exec_lo, s12
	s_delay_alu instid0(SALU_CYCLE_1)
	s_mov_b32 s12, exec_lo
                                        ; implicit-def: $vgpr7_vgpr8
	v_cmpx_gt_u32_e64 s31, v40
	s_cbranch_execz .LBB234_35
; %bb.34:
	v_lshlrev_b32_e32 v7, 3, v40
	global_load_b64 v[7:8], v7, s[0:1]
.LBB234_35:
	s_or_b32 exec_lo, exec_lo, s12
	s_delay_alu instid0(SALU_CYCLE_1)
	s_mov_b32 s12, exec_lo
                                        ; implicit-def: $vgpr9_vgpr10
	v_cmpx_gt_u32_e64 s31, v37
	s_cbranch_execz .LBB234_37
; %bb.36:
	v_lshlrev_b32_e32 v9, 3, v37
	global_load_b64 v[9:10], v9, s[0:1]
.LBB234_37:
	s_or_b32 exec_lo, exec_lo, s12
	s_delay_alu instid0(SALU_CYCLE_1)
	s_mov_b32 s12, exec_lo
                                        ; implicit-def: $vgpr11_vgpr12
	v_cmpx_gt_u32_e64 s31, v35
	s_cbranch_execz .LBB234_39
; %bb.38:
	v_lshlrev_b32_e32 v11, 3, v35
	global_load_b64 v[11:12], v11, s[0:1]
.LBB234_39:
	s_or_b32 exec_lo, exec_lo, s12
	s_delay_alu instid0(SALU_CYCLE_1)
	s_mov_b32 s12, exec_lo
                                        ; implicit-def: $vgpr13_vgpr14
	v_cmpx_gt_u32_e64 s31, v33
	s_cbranch_execz .LBB234_41
; %bb.40:
	v_lshlrev_b32_e32 v13, 3, v33
	global_load_b64 v[13:14], v13, s[0:1]
.LBB234_41:
	s_or_b32 exec_lo, exec_lo, s12
	s_delay_alu instid0(SALU_CYCLE_1)
	s_mov_b32 s12, exec_lo
                                        ; implicit-def: $vgpr15_vgpr16
	v_cmpx_gt_u32_e64 s31, v36
	s_cbranch_execz .LBB234_43
; %bb.42:
	v_lshlrev_b32_e32 v15, 3, v36
	global_load_b64 v[15:16], v15, s[0:1]
.LBB234_43:
	s_or_b32 exec_lo, exec_lo, s12
	v_lshrrev_b32_e32 v39, 2, v39
	v_lshrrev_b32_e32 v38, 2, v38
	;; [unrolled: 1-line block ×4, first 2 shown]
	v_and_b32_e32 v34, 0x78, v34
	v_lshrrev_b32_e32 v35, 2, v35
	v_lshrrev_b32_e32 v33, 2, v33
	;; [unrolled: 1-line block ×3, first 2 shown]
	v_and_b32_e32 v39, 0xf8, v39
	v_and_b32_e32 v38, 0x1f8, v38
	;; [unrolled: 1-line block ×4, first 2 shown]
	v_add_nc_u32_e32 v34, v34, v55
	v_and_b32_e32 v35, 0x3f8, v35
	v_and_b32_e32 v33, 0x3f8, v33
	;; [unrolled: 1-line block ×3, first 2 shown]
	v_add_nc_u32_e32 v39, v39, v55
	v_add_nc_u32_e32 v38, v38, v55
	v_add_nc_u32_e32 v40, v40, v55
	v_add_nc_u32_e32 v37, v37, v55
	v_add_nc_u32_e32 v35, v35, v55
	v_add_nc_u32_e32 v33, v33, v55
	v_add_nc_u32_e32 v36, v36, v55
	s_waitcnt vmcnt(0)
	ds_store_b64 v34, v[1:2]
	ds_store_b64 v39, v[3:4] offset:4096
	ds_store_b64 v38, v[5:6] offset:8192
	;; [unrolled: 1-line block ×7, first 2 shown]
	s_waitcnt lgkmcnt(0)
	s_barrier
.LBB234_44:
	buffer_gl0_inv
	ds_load_2addr_b64 v[13:16], v41 offset1:1
	ds_load_2addr_b64 v[9:12], v41 offset0:2 offset1:3
	ds_load_2addr_b64 v[5:8], v41 offset0:4 offset1:5
	;; [unrolled: 1-line block ×3, first 2 shown]
	s_cmp_lg_u32 s30, 0
	s_waitcnt lgkmcnt(0)
	s_cselect_b32 s12, -1, 0
	s_cmp_lg_u64 s[6:7], 0
	v_cmp_gt_i64_e64 s7, s[14:15], 0
	s_cselect_b32 s0, -1, 0
	s_mov_b32 s6, 0
	s_or_b32 s0, s0, s12
	s_barrier
	s_and_b32 vcc_lo, exec_lo, s0
	buffer_gl0_inv
	s_cbranch_vccz .LBB234_53
; %bb.45:
	v_mov_b32_e32 v33, 0
	v_cndmask_b32_e64 v44, 0, 1, s7
	s_and_b32 vcc_lo, exec_lo, s29
	ds_store_b64 v55, v[19:20]
	global_load_b64 v[35:36], v33, s[4:5] offset:-8
	v_cmp_ne_u32_e64 s0, 1, v44
	s_cbranch_vccz .LBB234_54
; %bb.46:
	v_mul_lo_u32 v37, v18, s14
	v_mul_lo_u32 v38, v17, s15
	v_mad_u64_u32 v[33:34], null, v17, s14, 0
	s_and_b32 vcc_lo, exec_lo, s0
	s_mov_b32 s13, 0
	s_delay_alu instid0(VALU_DEP_1)
	v_add3_u32 v34, v34, v38, v37
	s_cbranch_vccnz .LBB234_57
; %bb.47:
	v_mad_u64_u32 v[37:38], null, v19, s14, s[20:21]
	v_mul_lo_u32 v41, v19, s15
	v_mul_lo_u32 v42, v20, s14
	v_add_co_u32 v39, vcc_lo, s20, v33
	v_add_co_ci_u32_e32 v40, vcc_lo, s21, v34, vcc_lo
	s_mov_b32 s13, -1
	s_mov_b32 s24, exec_lo
	s_delay_alu instid0(VALU_DEP_3)
	v_add3_u32 v38, v42, v38, v41
	s_clause 0x1
	global_load_u8 v41, v[39:40], off
	global_load_u8 v42, v[37:38], off
	s_waitcnt vmcnt(0)
	v_cmpx_eq_u16_e64 v41, v42
	s_cbranch_execz .LBB234_56
; %bb.48:
	s_mov_b64 s[0:1], 1
	s_mov_b32 s13, 0
                                        ; implicit-def: $sgpr25
	s_set_inst_prefetch_distance 0x1
	s_branch .LBB234_51
	.p2align	6
.LBB234_49:                             ;   in Loop: Header=BB234_51 Depth=1
	v_add_co_u32 v41, vcc_lo, v39, s0
	v_add_co_ci_u32_e32 v42, vcc_lo, s1, v40, vcc_lo
	v_add_co_u32 v45, vcc_lo, v37, s0
	v_add_co_ci_u32_e32 v46, vcc_lo, s1, v38, vcc_lo
	s_add_u32 s4, s0, 1
	s_clause 0x1
	global_load_u8 v41, v[41:42], off
	global_load_u8 v42, v[45:46], off
	s_addc_u32 s5, s1, 0
	s_and_not1_b32 s25, s25, exec_lo
	s_waitcnt vmcnt(0)
	v_cmp_ne_u16_e32 vcc_lo, v41, v42
	s_and_b32 s26, vcc_lo, exec_lo
	s_delay_alu instid0(SALU_CYCLE_1)
	s_or_b32 s25, s25, s26
.LBB234_50:                             ;   in Loop: Header=BB234_51 Depth=1
	v_dual_mov_b32 v42, s1 :: v_dual_mov_b32 v41, s0
	s_and_b32 s26, exec_lo, s25
	s_mov_b64 s[0:1], s[4:5]
	s_or_b32 s13, s26, s13
	s_delay_alu instid0(SALU_CYCLE_1)
	s_and_not1_b32 exec_lo, exec_lo, s13
	s_cbranch_execz .LBB234_55
.LBB234_51:                             ; =>This Inner Loop Header: Depth=1
	s_or_b32 s25, s25, exec_lo
	s_cmp_eq_u64 s[14:15], s[0:1]
	s_cbranch_scc0 .LBB234_49
; %bb.52:                               ;   in Loop: Header=BB234_51 Depth=1
	s_mov_b64 s[0:1], s[14:15]
                                        ; implicit-def: $sgpr4_sgpr5
	s_branch .LBB234_50
.LBB234_53:
                                        ; implicit-def: $sgpr0
                                        ; implicit-def: $vgpr34
	s_branch .LBB234_215
.LBB234_54:
                                        ; implicit-def: $sgpr0
                                        ; implicit-def: $vgpr34
	s_cbranch_execnz .LBB234_123
	s_branch .LBB234_214
.LBB234_55:
	s_set_inst_prefetch_distance 0x2
	s_or_b32 exec_lo, exec_lo, s13
	v_cmp_gt_i64_e32 vcc_lo, s[14:15], v[41:42]
	s_or_not1_b32 s13, vcc_lo, exec_lo
.LBB234_56:
	s_or_b32 exec_lo, exec_lo, s24
.LBB234_57:
	v_mul_lo_u32 v39, v24, s14
	v_mul_lo_u32 v40, v23, s15
	v_mad_u64_u32 v[37:38], null, v23, s14, 0
	s_and_not1_b32 vcc_lo, exec_lo, s7
	s_delay_alu instid0(VALU_DEP_1)
	v_add3_u32 v42, v38, v40, v39
	s_cbranch_vccnz .LBB234_66
; %bb.58:
	s_delay_alu instid0(VALU_DEP_2) | instskip(NEXT) | instid1(VALU_DEP_2)
	v_add_co_u32 v38, vcc_lo, s20, v37
	v_add_co_ci_u32_e32 v39, vcc_lo, s21, v42, vcc_lo
	v_add_co_u32 v33, vcc_lo, s20, v33
	v_add_co_ci_u32_e32 v34, vcc_lo, s21, v34, vcc_lo
	s_mov_b32 s6, -1
	s_clause 0x1
	global_load_u8 v40, v[38:39], off
	global_load_u8 v41, v[33:34], off
	s_mov_b32 s24, exec_lo
	s_waitcnt vmcnt(0)
	v_cmpx_eq_u16_e64 v40, v41
	s_cbranch_execz .LBB234_65
; %bb.59:
	s_mov_b64 s[0:1], 1
	s_mov_b32 s6, 0
                                        ; implicit-def: $sgpr25
	s_set_inst_prefetch_distance 0x1
	s_branch .LBB234_62
	.p2align	6
.LBB234_60:                             ;   in Loop: Header=BB234_62 Depth=1
	v_add_co_u32 v40, vcc_lo, v38, s0
	v_add_co_ci_u32_e32 v41, vcc_lo, s1, v39, vcc_lo
	v_add_co_u32 v45, vcc_lo, v33, s0
	v_add_co_ci_u32_e32 v46, vcc_lo, s1, v34, vcc_lo
	s_add_u32 s4, s0, 1
	s_clause 0x1
	global_load_u8 v40, v[40:41], off
	global_load_u8 v41, v[45:46], off
	s_addc_u32 s5, s1, 0
	s_and_not1_b32 s25, s25, exec_lo
	s_waitcnt vmcnt(0)
	v_cmp_ne_u16_e32 vcc_lo, v40, v41
	s_and_b32 s26, vcc_lo, exec_lo
	s_delay_alu instid0(SALU_CYCLE_1)
	s_or_b32 s25, s25, s26
.LBB234_61:                             ;   in Loop: Header=BB234_62 Depth=1
	v_dual_mov_b32 v41, s1 :: v_dual_mov_b32 v40, s0
	s_and_b32 s26, exec_lo, s25
	s_mov_b64 s[0:1], s[4:5]
	s_or_b32 s6, s26, s6
	s_delay_alu instid0(SALU_CYCLE_1)
	s_and_not1_b32 exec_lo, exec_lo, s6
	s_cbranch_execz .LBB234_64
.LBB234_62:                             ; =>This Inner Loop Header: Depth=1
	s_or_b32 s25, s25, exec_lo
	s_cmp_eq_u64 s[14:15], s[0:1]
	s_cbranch_scc0 .LBB234_60
; %bb.63:                               ;   in Loop: Header=BB234_62 Depth=1
	s_mov_b64 s[0:1], s[14:15]
                                        ; implicit-def: $sgpr4_sgpr5
	s_branch .LBB234_61
.LBB234_64:
	s_set_inst_prefetch_distance 0x2
	s_or_b32 exec_lo, exec_lo, s6
	v_cmp_gt_i64_e32 vcc_lo, s[14:15], v[40:41]
	s_or_not1_b32 s6, vcc_lo, exec_lo
.LBB234_65:
	s_or_b32 exec_lo, exec_lo, s24
.LBB234_66:
	v_mul_lo_u32 v38, v22, s14
	v_mul_lo_u32 v39, v21, s15
	v_mad_u64_u32 v[33:34], null, v21, s14, 0
	s_mov_b32 s24, 0
	s_and_not1_b32 vcc_lo, exec_lo, s7
	s_mov_b32 s25, 0
	s_delay_alu instid0(VALU_DEP_1)
	v_add3_u32 v34, v34, v39, v38
	s_cbranch_vccnz .LBB234_75
; %bb.67:
	s_delay_alu instid0(VALU_DEP_2) | instskip(NEXT) | instid1(VALU_DEP_2)
	v_add_co_u32 v38, vcc_lo, s20, v33
	v_add_co_ci_u32_e32 v39, vcc_lo, s21, v34, vcc_lo
	v_add_co_u32 v40, vcc_lo, s20, v37
	v_add_co_ci_u32_e32 v41, vcc_lo, s21, v42, vcc_lo
	s_mov_b32 s25, -1
	s_clause 0x1
	global_load_u8 v37, v[38:39], off
	global_load_u8 v42, v[40:41], off
	s_mov_b32 s26, exec_lo
	s_waitcnt vmcnt(0)
	v_cmpx_eq_u16_e64 v37, v42
	s_cbranch_execz .LBB234_74
; %bb.68:
	s_mov_b64 s[0:1], 1
	s_mov_b32 s25, 0
                                        ; implicit-def: $sgpr27
	s_set_inst_prefetch_distance 0x1
	s_branch .LBB234_71
	.p2align	6
.LBB234_69:                             ;   in Loop: Header=BB234_71 Depth=1
	v_add_co_u32 v42, vcc_lo, v38, s0
	v_add_co_ci_u32_e32 v43, vcc_lo, s1, v39, vcc_lo
	v_add_co_u32 v45, vcc_lo, v40, s0
	v_add_co_ci_u32_e32 v46, vcc_lo, s1, v41, vcc_lo
	s_add_u32 s4, s0, 1
	s_clause 0x1
	global_load_u8 v37, v[42:43], off
	global_load_u8 v42, v[45:46], off
	s_addc_u32 s5, s1, 0
	s_and_not1_b32 s27, s27, exec_lo
	s_waitcnt vmcnt(0)
	v_cmp_ne_u16_e32 vcc_lo, v37, v42
	s_and_b32 s34, vcc_lo, exec_lo
	s_delay_alu instid0(SALU_CYCLE_1)
	s_or_b32 s27, s27, s34
.LBB234_70:                             ;   in Loop: Header=BB234_71 Depth=1
	v_dual_mov_b32 v43, s1 :: v_dual_mov_b32 v42, s0
	s_and_b32 s34, exec_lo, s27
	s_mov_b64 s[0:1], s[4:5]
	s_or_b32 s25, s34, s25
	s_delay_alu instid0(SALU_CYCLE_1)
	s_and_not1_b32 exec_lo, exec_lo, s25
	s_cbranch_execz .LBB234_73
.LBB234_71:                             ; =>This Inner Loop Header: Depth=1
	s_or_b32 s27, s27, exec_lo
	s_cmp_eq_u64 s[14:15], s[0:1]
	s_cbranch_scc0 .LBB234_69
; %bb.72:                               ;   in Loop: Header=BB234_71 Depth=1
	s_mov_b64 s[0:1], s[14:15]
                                        ; implicit-def: $sgpr4_sgpr5
	s_branch .LBB234_70
.LBB234_73:
	s_set_inst_prefetch_distance 0x2
	s_or_b32 exec_lo, exec_lo, s25
	v_cmp_gt_i64_e32 vcc_lo, s[14:15], v[42:43]
	s_or_not1_b32 s25, vcc_lo, exec_lo
.LBB234_74:
	s_or_b32 exec_lo, exec_lo, s26
.LBB234_75:
	v_mul_lo_u32 v39, v28, s14
	v_mul_lo_u32 v40, v27, s15
	v_mad_u64_u32 v[37:38], null, v27, s14, 0
	s_and_not1_b32 vcc_lo, exec_lo, s7
	s_delay_alu instid0(VALU_DEP_1)
	v_add3_u32 v42, v38, v40, v39
	s_cbranch_vccnz .LBB234_84
; %bb.76:
	s_delay_alu instid0(VALU_DEP_2) | instskip(NEXT) | instid1(VALU_DEP_2)
	v_add_co_u32 v38, vcc_lo, s20, v37
	v_add_co_ci_u32_e32 v39, vcc_lo, s21, v42, vcc_lo
	v_add_co_u32 v33, vcc_lo, s20, v33
	v_add_co_ci_u32_e32 v34, vcc_lo, s21, v34, vcc_lo
	s_mov_b32 s24, -1
	s_clause 0x1
	global_load_u8 v40, v[38:39], off
	global_load_u8 v41, v[33:34], off
	s_mov_b32 s26, exec_lo
	s_waitcnt vmcnt(0)
	v_cmpx_eq_u16_e64 v40, v41
	s_cbranch_execz .LBB234_83
; %bb.77:
	s_mov_b64 s[0:1], 1
	s_mov_b32 s24, 0
                                        ; implicit-def: $sgpr27
	s_set_inst_prefetch_distance 0x1
	s_branch .LBB234_80
	.p2align	6
.LBB234_78:                             ;   in Loop: Header=BB234_80 Depth=1
	v_add_co_u32 v40, vcc_lo, v38, s0
	v_add_co_ci_u32_e32 v41, vcc_lo, s1, v39, vcc_lo
	v_add_co_u32 v45, vcc_lo, v33, s0
	v_add_co_ci_u32_e32 v46, vcc_lo, s1, v34, vcc_lo
	s_add_u32 s4, s0, 1
	s_clause 0x1
	global_load_u8 v40, v[40:41], off
	global_load_u8 v41, v[45:46], off
	s_addc_u32 s5, s1, 0
	s_and_not1_b32 s27, s27, exec_lo
	s_waitcnt vmcnt(0)
	v_cmp_ne_u16_e32 vcc_lo, v40, v41
	s_and_b32 s34, vcc_lo, exec_lo
	s_delay_alu instid0(SALU_CYCLE_1)
	s_or_b32 s27, s27, s34
.LBB234_79:                             ;   in Loop: Header=BB234_80 Depth=1
	v_dual_mov_b32 v41, s1 :: v_dual_mov_b32 v40, s0
	s_and_b32 s34, exec_lo, s27
	s_mov_b64 s[0:1], s[4:5]
	s_or_b32 s24, s34, s24
	s_delay_alu instid0(SALU_CYCLE_1)
	s_and_not1_b32 exec_lo, exec_lo, s24
	s_cbranch_execz .LBB234_82
.LBB234_80:                             ; =>This Inner Loop Header: Depth=1
	s_or_b32 s27, s27, exec_lo
	s_cmp_eq_u64 s[14:15], s[0:1]
	s_cbranch_scc0 .LBB234_78
; %bb.81:                               ;   in Loop: Header=BB234_80 Depth=1
	s_mov_b64 s[0:1], s[14:15]
                                        ; implicit-def: $sgpr4_sgpr5
	s_branch .LBB234_79
.LBB234_82:
	s_set_inst_prefetch_distance 0x2
	s_or_b32 exec_lo, exec_lo, s24
	v_cmp_gt_i64_e32 vcc_lo, s[14:15], v[40:41]
	s_or_not1_b32 s24, vcc_lo, exec_lo
.LBB234_83:
	s_or_b32 exec_lo, exec_lo, s26
.LBB234_84:
	v_mul_lo_u32 v38, v26, s14
	v_mul_lo_u32 v39, v25, s15
	v_mad_u64_u32 v[33:34], null, v25, s14, 0
	s_mov_b32 s26, 0
	s_and_not1_b32 vcc_lo, exec_lo, s7
	s_mov_b32 s27, 0
	s_delay_alu instid0(VALU_DEP_1)
	v_add3_u32 v34, v34, v39, v38
	s_cbranch_vccnz .LBB234_93
; %bb.85:
	s_delay_alu instid0(VALU_DEP_2) | instskip(NEXT) | instid1(VALU_DEP_2)
	v_add_co_u32 v38, vcc_lo, s20, v33
	v_add_co_ci_u32_e32 v39, vcc_lo, s21, v34, vcc_lo
	v_add_co_u32 v40, vcc_lo, s20, v37
	v_add_co_ci_u32_e32 v41, vcc_lo, s21, v42, vcc_lo
	s_mov_b32 s27, -1
	s_clause 0x1
	global_load_u8 v37, v[38:39], off
	global_load_u8 v42, v[40:41], off
	s_mov_b32 s34, exec_lo
	s_waitcnt vmcnt(0)
	v_cmpx_eq_u16_e64 v37, v42
	s_cbranch_execz .LBB234_92
; %bb.86:
	s_mov_b64 s[0:1], 1
	s_mov_b32 s27, 0
                                        ; implicit-def: $sgpr35
	s_set_inst_prefetch_distance 0x1
	s_branch .LBB234_89
	.p2align	6
.LBB234_87:                             ;   in Loop: Header=BB234_89 Depth=1
	v_add_co_u32 v42, vcc_lo, v38, s0
	v_add_co_ci_u32_e32 v43, vcc_lo, s1, v39, vcc_lo
	v_add_co_u32 v45, vcc_lo, v40, s0
	v_add_co_ci_u32_e32 v46, vcc_lo, s1, v41, vcc_lo
	s_add_u32 s4, s0, 1
	s_clause 0x1
	global_load_u8 v37, v[42:43], off
	global_load_u8 v42, v[45:46], off
	s_addc_u32 s5, s1, 0
	s_and_not1_b32 s35, s35, exec_lo
	s_waitcnt vmcnt(0)
	v_cmp_ne_u16_e32 vcc_lo, v37, v42
	s_and_b32 s36, vcc_lo, exec_lo
	s_delay_alu instid0(SALU_CYCLE_1)
	s_or_b32 s35, s35, s36
.LBB234_88:                             ;   in Loop: Header=BB234_89 Depth=1
	v_dual_mov_b32 v43, s1 :: v_dual_mov_b32 v42, s0
	s_and_b32 s36, exec_lo, s35
	s_mov_b64 s[0:1], s[4:5]
	s_or_b32 s27, s36, s27
	s_delay_alu instid0(SALU_CYCLE_1)
	s_and_not1_b32 exec_lo, exec_lo, s27
	s_cbranch_execz .LBB234_91
.LBB234_89:                             ; =>This Inner Loop Header: Depth=1
	s_or_b32 s35, s35, exec_lo
	s_cmp_eq_u64 s[14:15], s[0:1]
	s_cbranch_scc0 .LBB234_87
; %bb.90:                               ;   in Loop: Header=BB234_89 Depth=1
	s_mov_b64 s[0:1], s[14:15]
                                        ; implicit-def: $sgpr4_sgpr5
	s_branch .LBB234_88
.LBB234_91:
	s_set_inst_prefetch_distance 0x2
	s_or_b32 exec_lo, exec_lo, s27
	v_cmp_gt_i64_e32 vcc_lo, s[14:15], v[42:43]
	s_or_not1_b32 s27, vcc_lo, exec_lo
.LBB234_92:
	s_or_b32 exec_lo, exec_lo, s34
.LBB234_93:
	v_mul_lo_u32 v39, v32, s14
	v_mul_lo_u32 v40, v31, s15
	v_mad_u64_u32 v[37:38], null, v31, s14, 0
	s_and_not1_b32 vcc_lo, exec_lo, s7
	s_delay_alu instid0(VALU_DEP_1)
	v_add3_u32 v42, v38, v40, v39
	s_cbranch_vccnz .LBB234_102
; %bb.94:
	s_delay_alu instid0(VALU_DEP_2) | instskip(NEXT) | instid1(VALU_DEP_2)
	v_add_co_u32 v38, vcc_lo, s20, v37
	v_add_co_ci_u32_e32 v39, vcc_lo, s21, v42, vcc_lo
	v_add_co_u32 v33, vcc_lo, s20, v33
	v_add_co_ci_u32_e32 v34, vcc_lo, s21, v34, vcc_lo
	s_mov_b32 s26, -1
	s_clause 0x1
	global_load_u8 v40, v[38:39], off
	global_load_u8 v41, v[33:34], off
	s_mov_b32 s34, exec_lo
	s_waitcnt vmcnt(0)
	v_cmpx_eq_u16_e64 v40, v41
	s_cbranch_execz .LBB234_101
; %bb.95:
	s_mov_b64 s[0:1], 1
	s_mov_b32 s26, 0
                                        ; implicit-def: $sgpr35
	s_set_inst_prefetch_distance 0x1
	s_branch .LBB234_98
	.p2align	6
.LBB234_96:                             ;   in Loop: Header=BB234_98 Depth=1
	v_add_co_u32 v40, vcc_lo, v38, s0
	v_add_co_ci_u32_e32 v41, vcc_lo, s1, v39, vcc_lo
	v_add_co_u32 v45, vcc_lo, v33, s0
	v_add_co_ci_u32_e32 v46, vcc_lo, s1, v34, vcc_lo
	s_add_u32 s4, s0, 1
	s_clause 0x1
	global_load_u8 v40, v[40:41], off
	global_load_u8 v41, v[45:46], off
	s_addc_u32 s5, s1, 0
	s_and_not1_b32 s35, s35, exec_lo
	s_waitcnt vmcnt(0)
	v_cmp_ne_u16_e32 vcc_lo, v40, v41
	s_and_b32 s36, vcc_lo, exec_lo
	s_delay_alu instid0(SALU_CYCLE_1)
	s_or_b32 s35, s35, s36
.LBB234_97:                             ;   in Loop: Header=BB234_98 Depth=1
	v_dual_mov_b32 v41, s1 :: v_dual_mov_b32 v40, s0
	s_and_b32 s36, exec_lo, s35
	s_mov_b64 s[0:1], s[4:5]
	s_or_b32 s26, s36, s26
	s_delay_alu instid0(SALU_CYCLE_1)
	s_and_not1_b32 exec_lo, exec_lo, s26
	s_cbranch_execz .LBB234_100
.LBB234_98:                             ; =>This Inner Loop Header: Depth=1
	s_or_b32 s35, s35, exec_lo
	s_cmp_eq_u64 s[14:15], s[0:1]
	s_cbranch_scc0 .LBB234_96
; %bb.99:                               ;   in Loop: Header=BB234_98 Depth=1
	s_mov_b64 s[0:1], s[14:15]
                                        ; implicit-def: $sgpr4_sgpr5
	s_branch .LBB234_97
.LBB234_100:
	s_set_inst_prefetch_distance 0x2
	s_or_b32 exec_lo, exec_lo, s26
	v_cmp_gt_i64_e32 vcc_lo, s[14:15], v[40:41]
	s_or_not1_b32 s26, vcc_lo, exec_lo
.LBB234_101:
	s_or_b32 exec_lo, exec_lo, s34
.LBB234_102:
	v_mul_lo_u32 v38, v30, s14
	v_mul_lo_u32 v39, v29, s15
	v_mad_u64_u32 v[33:34], null, v29, s14, 0
	s_and_not1_b32 vcc_lo, exec_lo, s7
	s_mov_b32 s0, 0
	s_delay_alu instid0(VALU_DEP_1)
	v_add3_u32 v34, v34, v39, v38
	s_cbranch_vccnz .LBB234_111
; %bb.103:
	s_delay_alu instid0(VALU_DEP_2) | instskip(NEXT) | instid1(VALU_DEP_2)
	v_add_co_u32 v38, vcc_lo, s20, v33
	v_add_co_ci_u32_e32 v39, vcc_lo, s21, v34, vcc_lo
	v_add_co_u32 v40, vcc_lo, s20, v37
	v_add_co_ci_u32_e32 v41, vcc_lo, s21, v42, vcc_lo
	s_mov_b32 s0, -1
	s_clause 0x1
	global_load_u8 v37, v[38:39], off
	global_load_u8 v42, v[40:41], off
	s_mov_b32 s34, exec_lo
	s_waitcnt vmcnt(0)
	v_cmpx_eq_u16_e64 v37, v42
	s_cbranch_execz .LBB234_110
; %bb.104:
	s_mov_b64 s[0:1], 1
	s_mov_b32 s35, 0
                                        ; implicit-def: $sgpr36
	s_set_inst_prefetch_distance 0x1
	s_branch .LBB234_107
	.p2align	6
.LBB234_105:                            ;   in Loop: Header=BB234_107 Depth=1
	v_add_co_u32 v42, vcc_lo, v38, s0
	v_add_co_ci_u32_e32 v43, vcc_lo, s1, v39, vcc_lo
	v_add_co_u32 v45, vcc_lo, v40, s0
	v_add_co_ci_u32_e32 v46, vcc_lo, s1, v41, vcc_lo
	s_add_u32 s4, s0, 1
	s_clause 0x1
	global_load_u8 v37, v[42:43], off
	global_load_u8 v42, v[45:46], off
	s_addc_u32 s5, s1, 0
	s_and_not1_b32 s36, s36, exec_lo
	s_waitcnt vmcnt(0)
	v_cmp_ne_u16_e32 vcc_lo, v37, v42
	s_and_b32 s37, vcc_lo, exec_lo
	s_delay_alu instid0(SALU_CYCLE_1)
	s_or_b32 s36, s36, s37
.LBB234_106:                            ;   in Loop: Header=BB234_107 Depth=1
	v_dual_mov_b32 v43, s1 :: v_dual_mov_b32 v42, s0
	s_and_b32 s37, exec_lo, s36
	s_mov_b64 s[0:1], s[4:5]
	s_or_b32 s35, s37, s35
	s_delay_alu instid0(SALU_CYCLE_1)
	s_and_not1_b32 exec_lo, exec_lo, s35
	s_cbranch_execz .LBB234_109
.LBB234_107:                            ; =>This Inner Loop Header: Depth=1
	s_or_b32 s36, s36, exec_lo
	s_cmp_eq_u64 s[14:15], s[0:1]
	s_cbranch_scc0 .LBB234_105
; %bb.108:                              ;   in Loop: Header=BB234_107 Depth=1
	s_mov_b64 s[0:1], s[14:15]
                                        ; implicit-def: $sgpr4_sgpr5
	s_branch .LBB234_106
.LBB234_109:
	s_set_inst_prefetch_distance 0x2
	s_or_b32 exec_lo, exec_lo, s35
	v_cmp_gt_i64_e32 vcc_lo, s[14:15], v[42:43]
	s_or_not1_b32 s0, vcc_lo, exec_lo
.LBB234_110:
	s_or_b32 exec_lo, exec_lo, s34
.LBB234_111:
	s_waitcnt vmcnt(0)
	v_dual_mov_b32 v40, v36 :: v_dual_mov_b32 v39, v35
	s_waitcnt lgkmcnt(0)
	s_barrier
	buffer_gl0_inv
	s_and_saveexec_b32 s1, s3
	s_cbranch_execz .LBB234_113
; %bb.112:
	v_add_nc_u32_e32 v37, -8, v55
	ds_load_b64 v[39:40], v37
.LBB234_113:
	s_or_b32 exec_lo, exec_lo, s1
	v_cndmask_b32_e64 v38, 0, 1, s27
	v_cndmask_b32_e64 v42, 0, 1, s25
	;; [unrolled: 1-line block ×7, first 2 shown]
	v_lshlrev_b16 v38, 8, v38
	v_lshlrev_b16 v42, 8, v42
	;; [unrolled: 1-line block ×4, first 2 shown]
	s_mov_b32 s6, 0
	v_or_b32_e32 v37, v37, v38
	v_or_b32_e32 v38, v41, v42
	;; [unrolled: 1-line block ×3, first 2 shown]
	v_and_b32_e32 v41, 0xffff, v45
	s_and_not1_b32 vcc_lo, exec_lo, s7
	v_lshlrev_b32_e32 v42, 16, v37
	v_and_b32_e32 v43, 0xffff, v38
	v_lshlrev_b32_e32 v45, 16, v46
	s_mov_b32 s0, 0
	s_cbranch_vccnz .LBB234_122
; %bb.114:
	s_waitcnt lgkmcnt(0)
	v_mad_u64_u32 v[37:38], null, v39, s14, s[20:21]
	v_mul_lo_u32 v39, v39, s15
	v_mul_lo_u32 v40, v40, s14
	v_add_co_u32 v33, vcc_lo, s20, v33
	v_add_co_ci_u32_e32 v34, vcc_lo, s21, v34, vcc_lo
	s_mov_b32 s0, -1
	s_mov_b32 s13, exec_lo
	s_delay_alu instid0(VALU_DEP_3)
	v_add3_u32 v38, v40, v38, v39
	s_clause 0x1
	global_load_u8 v39, v[37:38], off
	global_load_u8 v40, v[33:34], off
	s_waitcnt vmcnt(0)
	v_cmpx_eq_u16_e64 v39, v40
	s_cbranch_execz .LBB234_121
; %bb.115:
	s_mov_b64 s[0:1], 1
	s_mov_b32 s24, 0
                                        ; implicit-def: $sgpr25
	s_set_inst_prefetch_distance 0x1
	s_branch .LBB234_118
	.p2align	6
.LBB234_116:                            ;   in Loop: Header=BB234_118 Depth=1
	v_add_co_u32 v39, vcc_lo, v37, s0
	v_add_co_ci_u32_e32 v40, vcc_lo, s1, v38, vcc_lo
	v_add_co_u32 v46, vcc_lo, v33, s0
	v_add_co_ci_u32_e32 v47, vcc_lo, s1, v34, vcc_lo
	s_add_u32 s4, s0, 1
	s_clause 0x1
	global_load_u8 v39, v[39:40], off
	global_load_u8 v40, v[46:47], off
	s_addc_u32 s5, s1, 0
	s_and_not1_b32 s25, s25, exec_lo
	s_waitcnt vmcnt(0)
	v_cmp_ne_u16_e32 vcc_lo, v39, v40
	s_and_b32 s26, vcc_lo, exec_lo
	s_delay_alu instid0(SALU_CYCLE_1)
	s_or_b32 s25, s25, s26
.LBB234_117:                            ;   in Loop: Header=BB234_118 Depth=1
	v_dual_mov_b32 v40, s1 :: v_dual_mov_b32 v39, s0
	s_and_b32 s26, exec_lo, s25
	s_mov_b64 s[0:1], s[4:5]
	s_or_b32 s24, s26, s24
	s_delay_alu instid0(SALU_CYCLE_1)
	s_and_not1_b32 exec_lo, exec_lo, s24
	s_cbranch_execz .LBB234_120
.LBB234_118:                            ; =>This Inner Loop Header: Depth=1
	s_or_b32 s25, s25, exec_lo
	s_cmp_eq_u64 s[14:15], s[0:1]
	s_cbranch_scc0 .LBB234_116
; %bb.119:                              ;   in Loop: Header=BB234_118 Depth=1
	s_mov_b64 s[0:1], s[14:15]
                                        ; implicit-def: $sgpr4_sgpr5
	s_branch .LBB234_117
.LBB234_120:
	s_set_inst_prefetch_distance 0x2
	s_or_b32 exec_lo, exec_lo, s24
	v_cmp_gt_i64_e32 vcc_lo, s[14:15], v[39:40]
	s_or_not1_b32 s0, vcc_lo, exec_lo
.LBB234_121:
	s_or_b32 exec_lo, exec_lo, s13
.LBB234_122:
	v_or_b32_e32 v33, v41, v42
	s_delay_alu instid0(VALU_DEP_2)
	v_or_b32_e32 v34, v43, v45
	s_and_b32 vcc_lo, exec_lo, s6
	s_cbranch_vccz .LBB234_214
.LBB234_123:
	v_or_b32_e32 v33, 7, v55
	s_mov_b32 s6, 0
	s_mov_b32 s13, 0
	s_mov_b32 s24, exec_lo
	s_delay_alu instid0(VALU_DEP_1)
	v_cmpx_gt_u32_e64 s31, v33
	s_cbranch_execz .LBB234_134
; %bb.124:
	s_and_not1_b32 vcc_lo, exec_lo, s7
	s_mov_b32 s0, 0
	s_cbranch_vccnz .LBB234_133
; %bb.125:
	v_mad_u64_u32 v[33:34], null, v17, s14, s[20:21]
	s_waitcnt lgkmcnt(0)
	v_mul_lo_u32 v39, v17, s15
	v_mul_lo_u32 v40, v18, s14
	v_mad_u64_u32 v[37:38], null, v19, s14, s[20:21]
	v_mul_lo_u32 v41, v19, s15
	v_mul_lo_u32 v42, v20, s14
	s_mov_b32 s0, -1
	s_mov_b32 s7, exec_lo
	s_delay_alu instid0(VALU_DEP_4) | instskip(NEXT) | instid1(VALU_DEP_2)
	v_add3_u32 v34, v40, v34, v39
	v_add3_u32 v38, v42, v38, v41
	s_clause 0x1
	global_load_u8 v39, v[33:34], off
	global_load_u8 v40, v[37:38], off
	s_waitcnt vmcnt(0)
	v_cmpx_eq_u16_e64 v39, v40
	s_cbranch_execz .LBB234_132
; %bb.126:
	s_mov_b64 s[0:1], 1
                                        ; implicit-def: $sgpr25
	s_set_inst_prefetch_distance 0x1
	s_branch .LBB234_129
	.p2align	6
.LBB234_127:                            ;   in Loop: Header=BB234_129 Depth=1
	v_add_co_u32 v39, vcc_lo, v33, s0
	v_add_co_ci_u32_e32 v40, vcc_lo, s1, v34, vcc_lo
	v_add_co_u32 v41, vcc_lo, v37, s0
	v_add_co_ci_u32_e32 v42, vcc_lo, s1, v38, vcc_lo
	s_add_u32 s4, s0, 1
	s_clause 0x1
	global_load_u8 v39, v[39:40], off
	global_load_u8 v40, v[41:42], off
	s_addc_u32 s5, s1, 0
	s_and_not1_b32 s25, s25, exec_lo
	s_waitcnt vmcnt(0)
	v_cmp_ne_u16_e32 vcc_lo, v39, v40
	s_and_b32 s26, vcc_lo, exec_lo
	s_delay_alu instid0(SALU_CYCLE_1)
	s_or_b32 s25, s25, s26
.LBB234_128:                            ;   in Loop: Header=BB234_129 Depth=1
	v_dual_mov_b32 v40, s1 :: v_dual_mov_b32 v39, s0
	s_and_b32 s26, exec_lo, s25
	s_mov_b64 s[0:1], s[4:5]
	s_or_b32 s13, s26, s13
	s_delay_alu instid0(SALU_CYCLE_1)
	s_and_not1_b32 exec_lo, exec_lo, s13
	s_cbranch_execz .LBB234_131
.LBB234_129:                            ; =>This Inner Loop Header: Depth=1
	s_or_b32 s25, s25, exec_lo
	s_cmp_eq_u64 s[14:15], s[0:1]
	s_cbranch_scc0 .LBB234_127
; %bb.130:                              ;   in Loop: Header=BB234_129 Depth=1
	s_mov_b64 s[0:1], s[14:15]
                                        ; implicit-def: $sgpr4_sgpr5
	s_branch .LBB234_128
.LBB234_131:
	s_set_inst_prefetch_distance 0x2
	s_or_b32 exec_lo, exec_lo, s13
	v_cmp_gt_i64_e32 vcc_lo, s[14:15], v[39:40]
	s_or_not1_b32 s0, vcc_lo, exec_lo
.LBB234_132:
	s_or_b32 exec_lo, exec_lo, s7
.LBB234_133:
	s_delay_alu instid0(SALU_CYCLE_1)
	s_and_b32 s13, s0, exec_lo
.LBB234_134:
	s_or_b32 exec_lo, exec_lo, s24
	v_or_b32_e32 v33, 6, v55
	s_mov_b32 s7, exec_lo
	s_delay_alu instid0(VALU_DEP_1)
	v_cmpx_gt_u32_e64 s31, v33
	s_cbranch_execz .LBB234_145
; %bb.135:
	v_cmp_ne_u32_e32 vcc_lo, 1, v44
	s_mov_b32 s0, 0
	s_cbranch_vccnz .LBB234_144
; %bb.136:
	v_mad_u64_u32 v[33:34], null, v23, s14, s[20:21]
	s_waitcnt lgkmcnt(0)
	v_mul_lo_u32 v39, v23, s15
	v_mul_lo_u32 v40, v24, s14
	v_mad_u64_u32 v[37:38], null, v17, s14, s[20:21]
	v_mul_lo_u32 v41, v17, s15
	v_mul_lo_u32 v42, v18, s14
	s_mov_b32 s0, -1
	s_mov_b32 s6, exec_lo
	s_delay_alu instid0(VALU_DEP_4) | instskip(NEXT) | instid1(VALU_DEP_2)
	v_add3_u32 v34, v40, v34, v39
	v_add3_u32 v38, v42, v38, v41
	s_clause 0x1
	global_load_u8 v39, v[33:34], off
	global_load_u8 v40, v[37:38], off
	s_waitcnt vmcnt(0)
	v_cmpx_eq_u16_e64 v39, v40
	s_cbranch_execz .LBB234_143
; %bb.137:
	s_mov_b64 s[0:1], 1
	s_mov_b32 s24, 0
                                        ; implicit-def: $sgpr25
	s_set_inst_prefetch_distance 0x1
	s_branch .LBB234_140
	.p2align	6
.LBB234_138:                            ;   in Loop: Header=BB234_140 Depth=1
	v_add_co_u32 v39, vcc_lo, v33, s0
	v_add_co_ci_u32_e32 v40, vcc_lo, s1, v34, vcc_lo
	v_add_co_u32 v41, vcc_lo, v37, s0
	v_add_co_ci_u32_e32 v42, vcc_lo, s1, v38, vcc_lo
	s_add_u32 s4, s0, 1
	s_clause 0x1
	global_load_u8 v39, v[39:40], off
	global_load_u8 v40, v[41:42], off
	s_addc_u32 s5, s1, 0
	s_and_not1_b32 s25, s25, exec_lo
	s_waitcnt vmcnt(0)
	v_cmp_ne_u16_e32 vcc_lo, v39, v40
	s_and_b32 s26, vcc_lo, exec_lo
	s_delay_alu instid0(SALU_CYCLE_1)
	s_or_b32 s25, s25, s26
.LBB234_139:                            ;   in Loop: Header=BB234_140 Depth=1
	v_dual_mov_b32 v40, s1 :: v_dual_mov_b32 v39, s0
	s_and_b32 s26, exec_lo, s25
	s_mov_b64 s[0:1], s[4:5]
	s_or_b32 s24, s26, s24
	s_delay_alu instid0(SALU_CYCLE_1)
	s_and_not1_b32 exec_lo, exec_lo, s24
	s_cbranch_execz .LBB234_142
.LBB234_140:                            ; =>This Inner Loop Header: Depth=1
	s_or_b32 s25, s25, exec_lo
	s_cmp_eq_u64 s[14:15], s[0:1]
	s_cbranch_scc0 .LBB234_138
; %bb.141:                              ;   in Loop: Header=BB234_140 Depth=1
	s_mov_b64 s[0:1], s[14:15]
                                        ; implicit-def: $sgpr4_sgpr5
	s_branch .LBB234_139
.LBB234_142:
	s_set_inst_prefetch_distance 0x2
	s_or_b32 exec_lo, exec_lo, s24
	v_cmp_gt_i64_e32 vcc_lo, s[14:15], v[39:40]
	s_or_not1_b32 s0, vcc_lo, exec_lo
.LBB234_143:
	s_or_b32 exec_lo, exec_lo, s6
.LBB234_144:
	s_delay_alu instid0(SALU_CYCLE_1)
	s_and_b32 s6, s0, exec_lo
.LBB234_145:
	s_or_b32 exec_lo, exec_lo, s7
	v_or_b32_e32 v33, 5, v55
	s_mov_b32 s24, 0
	s_mov_b32 s7, 0
	s_mov_b32 s25, exec_lo
	s_delay_alu instid0(VALU_DEP_1)
	v_cmpx_gt_u32_e64 s31, v33
	s_cbranch_execz .LBB234_156
; %bb.146:
	v_cmp_ne_u32_e32 vcc_lo, 1, v44
	s_mov_b32 s0, 0
	s_cbranch_vccnz .LBB234_155
; %bb.147:
	v_mad_u64_u32 v[33:34], null, v21, s14, s[20:21]
	s_waitcnt lgkmcnt(0)
	v_mul_lo_u32 v39, v21, s15
	v_mul_lo_u32 v40, v22, s14
	v_mad_u64_u32 v[37:38], null, v23, s14, s[20:21]
	v_mul_lo_u32 v41, v23, s15
	v_mul_lo_u32 v42, v24, s14
	s_mov_b32 s0, -1
	s_mov_b32 s7, exec_lo
	s_delay_alu instid0(VALU_DEP_4) | instskip(NEXT) | instid1(VALU_DEP_2)
	v_add3_u32 v34, v40, v34, v39
	v_add3_u32 v38, v42, v38, v41
	s_clause 0x1
	global_load_u8 v39, v[33:34], off
	global_load_u8 v40, v[37:38], off
	s_waitcnt vmcnt(0)
	v_cmpx_eq_u16_e64 v39, v40
	s_cbranch_execz .LBB234_154
; %bb.148:
	s_mov_b64 s[0:1], 1
	s_mov_b32 s26, 0
                                        ; implicit-def: $sgpr27
	s_set_inst_prefetch_distance 0x1
	s_branch .LBB234_151
	.p2align	6
.LBB234_149:                            ;   in Loop: Header=BB234_151 Depth=1
	v_add_co_u32 v39, vcc_lo, v33, s0
	v_add_co_ci_u32_e32 v40, vcc_lo, s1, v34, vcc_lo
	v_add_co_u32 v41, vcc_lo, v37, s0
	v_add_co_ci_u32_e32 v42, vcc_lo, s1, v38, vcc_lo
	s_add_u32 s4, s0, 1
	s_clause 0x1
	global_load_u8 v39, v[39:40], off
	global_load_u8 v40, v[41:42], off
	s_addc_u32 s5, s1, 0
	s_and_not1_b32 s27, s27, exec_lo
	s_waitcnt vmcnt(0)
	v_cmp_ne_u16_e32 vcc_lo, v39, v40
	s_and_b32 s34, vcc_lo, exec_lo
	s_delay_alu instid0(SALU_CYCLE_1)
	s_or_b32 s27, s27, s34
.LBB234_150:                            ;   in Loop: Header=BB234_151 Depth=1
	v_dual_mov_b32 v40, s1 :: v_dual_mov_b32 v39, s0
	s_and_b32 s34, exec_lo, s27
	s_mov_b64 s[0:1], s[4:5]
	s_or_b32 s26, s34, s26
	s_delay_alu instid0(SALU_CYCLE_1)
	s_and_not1_b32 exec_lo, exec_lo, s26
	s_cbranch_execz .LBB234_153
.LBB234_151:                            ; =>This Inner Loop Header: Depth=1
	s_or_b32 s27, s27, exec_lo
	s_cmp_eq_u64 s[14:15], s[0:1]
	s_cbranch_scc0 .LBB234_149
; %bb.152:                              ;   in Loop: Header=BB234_151 Depth=1
	s_mov_b64 s[0:1], s[14:15]
                                        ; implicit-def: $sgpr4_sgpr5
	s_branch .LBB234_150
.LBB234_153:
	s_set_inst_prefetch_distance 0x2
	s_or_b32 exec_lo, exec_lo, s26
	v_cmp_gt_i64_e32 vcc_lo, s[14:15], v[39:40]
	s_or_not1_b32 s0, vcc_lo, exec_lo
.LBB234_154:
	s_or_b32 exec_lo, exec_lo, s7
.LBB234_155:
	s_delay_alu instid0(SALU_CYCLE_1)
	s_and_b32 s7, s0, exec_lo
.LBB234_156:
	s_or_b32 exec_lo, exec_lo, s25
	v_or_b32_e32 v33, 4, v55
	s_mov_b32 s25, exec_lo
	s_delay_alu instid0(VALU_DEP_1)
	v_cmpx_gt_u32_e64 s31, v33
	s_cbranch_execz .LBB234_167
; %bb.157:
	v_cmp_ne_u32_e32 vcc_lo, 1, v44
	s_mov_b32 s0, 0
	s_cbranch_vccnz .LBB234_166
; %bb.158:
	v_mad_u64_u32 v[33:34], null, v27, s14, s[20:21]
	s_waitcnt lgkmcnt(0)
	v_mul_lo_u32 v39, v27, s15
	v_mul_lo_u32 v40, v28, s14
	v_mad_u64_u32 v[37:38], null, v21, s14, s[20:21]
	v_mul_lo_u32 v41, v21, s15
	v_mul_lo_u32 v42, v22, s14
	s_mov_b32 s0, -1
	s_mov_b32 s24, exec_lo
	s_delay_alu instid0(VALU_DEP_4) | instskip(NEXT) | instid1(VALU_DEP_2)
	v_add3_u32 v34, v40, v34, v39
	v_add3_u32 v38, v42, v38, v41
	s_clause 0x1
	global_load_u8 v39, v[33:34], off
	global_load_u8 v40, v[37:38], off
	s_waitcnt vmcnt(0)
	v_cmpx_eq_u16_e64 v39, v40
	s_cbranch_execz .LBB234_165
; %bb.159:
	s_mov_b64 s[0:1], 1
	s_mov_b32 s26, 0
                                        ; implicit-def: $sgpr27
	s_set_inst_prefetch_distance 0x1
	s_branch .LBB234_162
	.p2align	6
.LBB234_160:                            ;   in Loop: Header=BB234_162 Depth=1
	v_add_co_u32 v39, vcc_lo, v33, s0
	v_add_co_ci_u32_e32 v40, vcc_lo, s1, v34, vcc_lo
	v_add_co_u32 v41, vcc_lo, v37, s0
	v_add_co_ci_u32_e32 v42, vcc_lo, s1, v38, vcc_lo
	s_add_u32 s4, s0, 1
	s_clause 0x1
	global_load_u8 v39, v[39:40], off
	global_load_u8 v40, v[41:42], off
	s_addc_u32 s5, s1, 0
	s_and_not1_b32 s27, s27, exec_lo
	s_waitcnt vmcnt(0)
	v_cmp_ne_u16_e32 vcc_lo, v39, v40
	s_and_b32 s34, vcc_lo, exec_lo
	s_delay_alu instid0(SALU_CYCLE_1)
	s_or_b32 s27, s27, s34
.LBB234_161:                            ;   in Loop: Header=BB234_162 Depth=1
	v_dual_mov_b32 v40, s1 :: v_dual_mov_b32 v39, s0
	s_and_b32 s34, exec_lo, s27
	s_mov_b64 s[0:1], s[4:5]
	s_or_b32 s26, s34, s26
	s_delay_alu instid0(SALU_CYCLE_1)
	s_and_not1_b32 exec_lo, exec_lo, s26
	s_cbranch_execz .LBB234_164
.LBB234_162:                            ; =>This Inner Loop Header: Depth=1
	s_or_b32 s27, s27, exec_lo
	s_cmp_eq_u64 s[14:15], s[0:1]
	s_cbranch_scc0 .LBB234_160
; %bb.163:                              ;   in Loop: Header=BB234_162 Depth=1
	s_mov_b64 s[0:1], s[14:15]
                                        ; implicit-def: $sgpr4_sgpr5
	s_branch .LBB234_161
.LBB234_164:
	s_set_inst_prefetch_distance 0x2
	s_or_b32 exec_lo, exec_lo, s26
	v_cmp_gt_i64_e32 vcc_lo, s[14:15], v[39:40]
	s_or_not1_b32 s0, vcc_lo, exec_lo
.LBB234_165:
	s_or_b32 exec_lo, exec_lo, s24
.LBB234_166:
	s_delay_alu instid0(SALU_CYCLE_1)
	s_and_b32 s24, s0, exec_lo
.LBB234_167:
	s_or_b32 exec_lo, exec_lo, s25
	v_or_b32_e32 v33, 3, v55
	s_mov_b32 s26, 0
	s_mov_b32 s25, 0
	s_mov_b32 s27, exec_lo
	s_delay_alu instid0(VALU_DEP_1)
	v_cmpx_gt_u32_e64 s31, v33
	s_cbranch_execz .LBB234_178
; %bb.168:
	v_cmp_ne_u32_e32 vcc_lo, 1, v44
	s_mov_b32 s0, 0
	s_cbranch_vccnz .LBB234_177
; %bb.169:
	v_mad_u64_u32 v[33:34], null, v25, s14, s[20:21]
	s_waitcnt lgkmcnt(0)
	v_mul_lo_u32 v39, v25, s15
	v_mul_lo_u32 v40, v26, s14
	v_mad_u64_u32 v[37:38], null, v27, s14, s[20:21]
	v_mul_lo_u32 v41, v27, s15
	v_mul_lo_u32 v42, v28, s14
	s_mov_b32 s0, -1
	s_mov_b32 s25, exec_lo
	s_delay_alu instid0(VALU_DEP_4) | instskip(NEXT) | instid1(VALU_DEP_2)
	v_add3_u32 v34, v40, v34, v39
	v_add3_u32 v38, v42, v38, v41
	s_clause 0x1
	global_load_u8 v39, v[33:34], off
	global_load_u8 v40, v[37:38], off
	s_waitcnt vmcnt(0)
	v_cmpx_eq_u16_e64 v39, v40
	s_cbranch_execz .LBB234_176
; %bb.170:
	s_mov_b64 s[0:1], 1
	s_mov_b32 s34, 0
                                        ; implicit-def: $sgpr35
	s_set_inst_prefetch_distance 0x1
	s_branch .LBB234_173
	.p2align	6
.LBB234_171:                            ;   in Loop: Header=BB234_173 Depth=1
	v_add_co_u32 v39, vcc_lo, v33, s0
	v_add_co_ci_u32_e32 v40, vcc_lo, s1, v34, vcc_lo
	v_add_co_u32 v41, vcc_lo, v37, s0
	v_add_co_ci_u32_e32 v42, vcc_lo, s1, v38, vcc_lo
	s_add_u32 s4, s0, 1
	s_clause 0x1
	global_load_u8 v39, v[39:40], off
	global_load_u8 v40, v[41:42], off
	s_addc_u32 s5, s1, 0
	s_and_not1_b32 s35, s35, exec_lo
	s_waitcnt vmcnt(0)
	v_cmp_ne_u16_e32 vcc_lo, v39, v40
	s_and_b32 s36, vcc_lo, exec_lo
	s_delay_alu instid0(SALU_CYCLE_1)
	s_or_b32 s35, s35, s36
.LBB234_172:                            ;   in Loop: Header=BB234_173 Depth=1
	v_dual_mov_b32 v40, s1 :: v_dual_mov_b32 v39, s0
	s_and_b32 s36, exec_lo, s35
	s_mov_b64 s[0:1], s[4:5]
	s_or_b32 s34, s36, s34
	s_delay_alu instid0(SALU_CYCLE_1)
	s_and_not1_b32 exec_lo, exec_lo, s34
	s_cbranch_execz .LBB234_175
.LBB234_173:                            ; =>This Inner Loop Header: Depth=1
	s_or_b32 s35, s35, exec_lo
	s_cmp_eq_u64 s[14:15], s[0:1]
	s_cbranch_scc0 .LBB234_171
; %bb.174:                              ;   in Loop: Header=BB234_173 Depth=1
	s_mov_b64 s[0:1], s[14:15]
                                        ; implicit-def: $sgpr4_sgpr5
	s_branch .LBB234_172
.LBB234_175:
	s_set_inst_prefetch_distance 0x2
	s_or_b32 exec_lo, exec_lo, s34
	v_cmp_gt_i64_e32 vcc_lo, s[14:15], v[39:40]
	s_or_not1_b32 s0, vcc_lo, exec_lo
.LBB234_176:
	s_or_b32 exec_lo, exec_lo, s25
.LBB234_177:
	s_delay_alu instid0(SALU_CYCLE_1)
	s_and_b32 s25, s0, exec_lo
.LBB234_178:
	s_or_b32 exec_lo, exec_lo, s27
	v_or_b32_e32 v33, 2, v55
	s_mov_b32 s27, exec_lo
	s_delay_alu instid0(VALU_DEP_1)
	v_cmpx_gt_u32_e64 s31, v33
	s_cbranch_execz .LBB234_189
; %bb.179:
	v_cmp_ne_u32_e32 vcc_lo, 1, v44
	s_mov_b32 s0, 0
	s_cbranch_vccnz .LBB234_188
; %bb.180:
	v_mad_u64_u32 v[33:34], null, v31, s14, s[20:21]
	s_waitcnt lgkmcnt(0)
	v_mul_lo_u32 v39, v31, s15
	v_mul_lo_u32 v40, v32, s14
	v_mad_u64_u32 v[37:38], null, v25, s14, s[20:21]
	v_mul_lo_u32 v41, v25, s15
	v_mul_lo_u32 v42, v26, s14
	s_mov_b32 s0, -1
	s_mov_b32 s26, exec_lo
	s_delay_alu instid0(VALU_DEP_4) | instskip(NEXT) | instid1(VALU_DEP_2)
	v_add3_u32 v34, v40, v34, v39
	v_add3_u32 v38, v42, v38, v41
	s_clause 0x1
	global_load_u8 v39, v[33:34], off
	global_load_u8 v40, v[37:38], off
	s_waitcnt vmcnt(0)
	v_cmpx_eq_u16_e64 v39, v40
	s_cbranch_execz .LBB234_187
; %bb.181:
	s_mov_b64 s[0:1], 1
	s_mov_b32 s34, 0
                                        ; implicit-def: $sgpr35
	s_set_inst_prefetch_distance 0x1
	s_branch .LBB234_184
	.p2align	6
.LBB234_182:                            ;   in Loop: Header=BB234_184 Depth=1
	v_add_co_u32 v39, vcc_lo, v33, s0
	v_add_co_ci_u32_e32 v40, vcc_lo, s1, v34, vcc_lo
	v_add_co_u32 v41, vcc_lo, v37, s0
	v_add_co_ci_u32_e32 v42, vcc_lo, s1, v38, vcc_lo
	s_add_u32 s4, s0, 1
	s_clause 0x1
	global_load_u8 v39, v[39:40], off
	global_load_u8 v40, v[41:42], off
	s_addc_u32 s5, s1, 0
	s_and_not1_b32 s35, s35, exec_lo
	s_waitcnt vmcnt(0)
	v_cmp_ne_u16_e32 vcc_lo, v39, v40
	s_and_b32 s36, vcc_lo, exec_lo
	s_delay_alu instid0(SALU_CYCLE_1)
	s_or_b32 s35, s35, s36
.LBB234_183:                            ;   in Loop: Header=BB234_184 Depth=1
	v_dual_mov_b32 v40, s1 :: v_dual_mov_b32 v39, s0
	s_and_b32 s36, exec_lo, s35
	s_mov_b64 s[0:1], s[4:5]
	s_or_b32 s34, s36, s34
	s_delay_alu instid0(SALU_CYCLE_1)
	s_and_not1_b32 exec_lo, exec_lo, s34
	s_cbranch_execz .LBB234_186
.LBB234_184:                            ; =>This Inner Loop Header: Depth=1
	s_or_b32 s35, s35, exec_lo
	s_cmp_eq_u64 s[14:15], s[0:1]
	s_cbranch_scc0 .LBB234_182
; %bb.185:                              ;   in Loop: Header=BB234_184 Depth=1
	s_mov_b64 s[0:1], s[14:15]
                                        ; implicit-def: $sgpr4_sgpr5
	s_branch .LBB234_183
.LBB234_186:
	s_set_inst_prefetch_distance 0x2
	s_or_b32 exec_lo, exec_lo, s34
	v_cmp_gt_i64_e32 vcc_lo, s[14:15], v[39:40]
	s_or_not1_b32 s0, vcc_lo, exec_lo
.LBB234_187:
	s_or_b32 exec_lo, exec_lo, s26
.LBB234_188:
	s_delay_alu instid0(SALU_CYCLE_1)
	s_and_b32 s26, s0, exec_lo
.LBB234_189:
	s_or_b32 exec_lo, exec_lo, s27
	v_or_b32_e32 v33, 1, v55
	s_mov_b32 s0, 0
	s_mov_b32 s27, exec_lo
	s_delay_alu instid0(VALU_DEP_1)
	v_cmpx_gt_u32_e64 s31, v33
	s_cbranch_execz .LBB234_200
; %bb.190:
	v_cmp_ne_u32_e32 vcc_lo, 1, v44
	s_cbranch_vccnz .LBB234_199
; %bb.191:
	v_mad_u64_u32 v[33:34], null, v29, s14, s[20:21]
	s_waitcnt lgkmcnt(0)
	v_mul_lo_u32 v39, v29, s15
	v_mul_lo_u32 v40, v30, s14
	v_mad_u64_u32 v[37:38], null, v31, s14, s[20:21]
	v_mul_lo_u32 v41, v31, s15
	v_mul_lo_u32 v42, v32, s14
	s_mov_b32 s0, -1
	s_mov_b32 s34, exec_lo
	s_delay_alu instid0(VALU_DEP_4) | instskip(NEXT) | instid1(VALU_DEP_2)
	v_add3_u32 v34, v40, v34, v39
	v_add3_u32 v38, v42, v38, v41
	s_clause 0x1
	global_load_u8 v39, v[33:34], off
	global_load_u8 v40, v[37:38], off
	s_waitcnt vmcnt(0)
	v_cmpx_eq_u16_e64 v39, v40
	s_cbranch_execz .LBB234_198
; %bb.192:
	s_mov_b64 s[0:1], 1
	s_mov_b32 s35, 0
                                        ; implicit-def: $sgpr36
	s_set_inst_prefetch_distance 0x1
	s_branch .LBB234_195
	.p2align	6
.LBB234_193:                            ;   in Loop: Header=BB234_195 Depth=1
	v_add_co_u32 v39, vcc_lo, v33, s0
	v_add_co_ci_u32_e32 v40, vcc_lo, s1, v34, vcc_lo
	v_add_co_u32 v41, vcc_lo, v37, s0
	v_add_co_ci_u32_e32 v42, vcc_lo, s1, v38, vcc_lo
	s_add_u32 s4, s0, 1
	s_clause 0x1
	global_load_u8 v39, v[39:40], off
	global_load_u8 v40, v[41:42], off
	s_addc_u32 s5, s1, 0
	s_and_not1_b32 s36, s36, exec_lo
	s_waitcnt vmcnt(0)
	v_cmp_ne_u16_e32 vcc_lo, v39, v40
	s_and_b32 s37, vcc_lo, exec_lo
	s_delay_alu instid0(SALU_CYCLE_1)
	s_or_b32 s36, s36, s37
.LBB234_194:                            ;   in Loop: Header=BB234_195 Depth=1
	v_dual_mov_b32 v40, s1 :: v_dual_mov_b32 v39, s0
	s_and_b32 s37, exec_lo, s36
	s_mov_b64 s[0:1], s[4:5]
	s_or_b32 s35, s37, s35
	s_delay_alu instid0(SALU_CYCLE_1)
	s_and_not1_b32 exec_lo, exec_lo, s35
	s_cbranch_execz .LBB234_197
.LBB234_195:                            ; =>This Inner Loop Header: Depth=1
	s_or_b32 s36, s36, exec_lo
	s_cmp_eq_u64 s[14:15], s[0:1]
	s_cbranch_scc0 .LBB234_193
; %bb.196:                              ;   in Loop: Header=BB234_195 Depth=1
	s_mov_b64 s[0:1], s[14:15]
                                        ; implicit-def: $sgpr4_sgpr5
	s_branch .LBB234_194
.LBB234_197:
	s_set_inst_prefetch_distance 0x2
	s_or_b32 exec_lo, exec_lo, s35
	v_cmp_gt_i64_e32 vcc_lo, s[14:15], v[39:40]
	s_or_not1_b32 s0, vcc_lo, exec_lo
.LBB234_198:
	s_or_b32 exec_lo, exec_lo, s34
.LBB234_199:
	s_delay_alu instid0(SALU_CYCLE_1)
	s_and_b32 s0, s0, exec_lo
.LBB234_200:
	s_or_b32 exec_lo, exec_lo, s27
	s_waitcnt vmcnt(0) lgkmcnt(0)
	s_barrier
	buffer_gl0_inv
	s_and_saveexec_b32 s1, s3
	s_cbranch_execz .LBB234_202
; %bb.201:
	v_add_nc_u32_e32 v33, -8, v55
	ds_load_b64 v[35:36], v33
.LBB234_202:
	s_or_b32 exec_lo, exec_lo, s1
	v_cndmask_b32_e64 v34, 0, 1, s25
	v_cndmask_b32_e64 v38, 0, 1, s7
	;; [unrolled: 1-line block ×7, first 2 shown]
	v_lshlrev_b16 v34, 8, v34
	v_lshlrev_b16 v38, 8, v38
	;; [unrolled: 1-line block ×3, first 2 shown]
	s_mov_b32 s0, 0
	v_lshlrev_b16 v41, 8, v41
	v_or_b32_e32 v33, v33, v34
	v_or_b32_e32 v34, v37, v38
	;; [unrolled: 1-line block ×3, first 2 shown]
	s_mov_b32 s6, exec_lo
	v_and_b32_e32 v39, 0xffff, v41
	v_lshlrev_b32_e32 v40, 16, v33
	v_and_b32_e32 v41, 0xffff, v34
	v_lshlrev_b32_e32 v42, 16, v37
	v_cmpx_gt_u32_e64 s31, v55
	s_cbranch_execz .LBB234_213
; %bb.203:
	v_cmp_ne_u32_e32 vcc_lo, 1, v44
	s_cbranch_vccnz .LBB234_212
; %bb.204:
	s_waitcnt lgkmcnt(0)
	v_mad_u64_u32 v[33:34], null, v35, s14, s[20:21]
	v_mul_lo_u32 v37, v35, s15
	v_mul_lo_u32 v38, v36, s14
	v_mad_u64_u32 v[35:36], null, v29, s14, s[20:21]
	v_mul_lo_u32 v43, v29, s15
	v_mul_lo_u32 v44, v30, s14
	s_mov_b32 s0, -1
	s_mov_b32 s7, exec_lo
	s_delay_alu instid0(VALU_DEP_4) | instskip(NEXT) | instid1(VALU_DEP_2)
	v_add3_u32 v34, v38, v34, v37
	v_add3_u32 v36, v44, v36, v43
	s_clause 0x1
	global_load_u8 v37, v[33:34], off
	global_load_u8 v38, v[35:36], off
	s_waitcnt vmcnt(0)
	v_cmpx_eq_u16_e64 v37, v38
	s_cbranch_execz .LBB234_211
; %bb.205:
	s_mov_b64 s[0:1], 1
	s_mov_b32 s13, 0
                                        ; implicit-def: $sgpr24
	s_set_inst_prefetch_distance 0x1
	s_branch .LBB234_208
	.p2align	6
.LBB234_206:                            ;   in Loop: Header=BB234_208 Depth=1
	v_add_co_u32 v37, vcc_lo, v33, s0
	v_add_co_ci_u32_e32 v38, vcc_lo, s1, v34, vcc_lo
	v_add_co_u32 v43, vcc_lo, v35, s0
	v_add_co_ci_u32_e32 v44, vcc_lo, s1, v36, vcc_lo
	s_add_u32 s4, s0, 1
	s_clause 0x1
	global_load_u8 v37, v[37:38], off
	global_load_u8 v38, v[43:44], off
	s_addc_u32 s5, s1, 0
	s_and_not1_b32 s24, s24, exec_lo
	s_waitcnt vmcnt(0)
	v_cmp_ne_u16_e32 vcc_lo, v37, v38
	s_and_b32 s25, vcc_lo, exec_lo
	s_delay_alu instid0(SALU_CYCLE_1)
	s_or_b32 s24, s24, s25
.LBB234_207:                            ;   in Loop: Header=BB234_208 Depth=1
	v_dual_mov_b32 v38, s1 :: v_dual_mov_b32 v37, s0
	s_and_b32 s25, exec_lo, s24
	s_mov_b64 s[0:1], s[4:5]
	s_or_b32 s13, s25, s13
	s_delay_alu instid0(SALU_CYCLE_1)
	s_and_not1_b32 exec_lo, exec_lo, s13
	s_cbranch_execz .LBB234_210
.LBB234_208:                            ; =>This Inner Loop Header: Depth=1
	s_or_b32 s24, s24, exec_lo
	s_cmp_eq_u64 s[14:15], s[0:1]
	s_cbranch_scc0 .LBB234_206
; %bb.209:                              ;   in Loop: Header=BB234_208 Depth=1
	s_mov_b64 s[0:1], s[14:15]
                                        ; implicit-def: $sgpr4_sgpr5
	s_branch .LBB234_207
.LBB234_210:
	s_set_inst_prefetch_distance 0x2
	s_or_b32 exec_lo, exec_lo, s13
	v_cmp_gt_i64_e32 vcc_lo, s[14:15], v[37:38]
	s_or_not1_b32 s0, vcc_lo, exec_lo
.LBB234_211:
	s_or_b32 exec_lo, exec_lo, s7
.LBB234_212:
	s_delay_alu instid0(SALU_CYCLE_1)
	s_and_b32 s0, s0, exec_lo
.LBB234_213:
	s_or_b32 exec_lo, exec_lo, s6
	v_or_b32_e32 v33, v39, v40
	v_or_b32_e32 v34, v41, v42
.LBB234_214:
	s_mov_b32 s6, -1
	s_cbranch_execnz .LBB234_383
.LBB234_215:
	v_cmp_gt_i64_e64 s7, s[14:15], 0
	s_and_b32 vcc_lo, exec_lo, s29
	ds_store_b64 v55, v[19:20]
	s_cbranch_vccz .LBB234_223
; %bb.216:
	s_waitcnt vmcnt(0) lgkmcnt(1)
	v_mul_lo_u32 v35, v18, s14
	v_mul_lo_u32 v36, v17, s15
	v_mad_u64_u32 v[33:34], null, v17, s14, 0
	s_mov_b32 s13, 0
	s_and_not1_b32 vcc_lo, exec_lo, s7
	s_mov_b32 s24, 0
	s_delay_alu instid0(VALU_DEP_1)
	v_add3_u32 v40, v34, v36, v35
	s_cbranch_vccnz .LBB234_226
; %bb.217:
	v_mad_u64_u32 v[34:35], null, v19, s14, s[20:21]
	v_mul_lo_u32 v38, v19, s15
	v_mul_lo_u32 v39, v20, s14
	v_add_co_u32 v36, vcc_lo, s20, v33
	v_add_co_ci_u32_e32 v37, vcc_lo, s21, v40, vcc_lo
	s_mov_b32 s24, -1
	s_mov_b32 s25, exec_lo
	s_delay_alu instid0(VALU_DEP_3)
	v_add3_u32 v35, v39, v35, v38
	s_clause 0x1
	global_load_u8 v38, v[36:37], off
	global_load_u8 v39, v[34:35], off
	s_waitcnt vmcnt(0)
	v_cmpx_eq_u16_e64 v38, v39
	s_cbranch_execz .LBB234_225
; %bb.218:
	s_mov_b64 s[0:1], 1
	s_mov_b32 s24, 0
                                        ; implicit-def: $sgpr26
	s_set_inst_prefetch_distance 0x1
	s_branch .LBB234_221
	.p2align	6
.LBB234_219:                            ;   in Loop: Header=BB234_221 Depth=1
	v_add_co_u32 v38, vcc_lo, v36, s0
	v_add_co_ci_u32_e32 v39, vcc_lo, s1, v37, vcc_lo
	v_add_co_u32 v41, vcc_lo, v34, s0
	v_add_co_ci_u32_e32 v42, vcc_lo, s1, v35, vcc_lo
	s_add_u32 s4, s0, 1
	s_clause 0x1
	global_load_u8 v38, v[38:39], off
	global_load_u8 v39, v[41:42], off
	s_addc_u32 s5, s1, 0
	s_and_not1_b32 s26, s26, exec_lo
	s_waitcnt vmcnt(0)
	v_cmp_ne_u16_e32 vcc_lo, v38, v39
	s_and_b32 s27, vcc_lo, exec_lo
	s_delay_alu instid0(SALU_CYCLE_1)
	s_or_b32 s26, s26, s27
.LBB234_220:                            ;   in Loop: Header=BB234_221 Depth=1
	v_dual_mov_b32 v39, s1 :: v_dual_mov_b32 v38, s0
	s_and_b32 s27, exec_lo, s26
	s_mov_b64 s[0:1], s[4:5]
	s_or_b32 s24, s27, s24
	s_delay_alu instid0(SALU_CYCLE_1)
	s_and_not1_b32 exec_lo, exec_lo, s24
	s_cbranch_execz .LBB234_224
.LBB234_221:                            ; =>This Inner Loop Header: Depth=1
	s_or_b32 s26, s26, exec_lo
	s_cmp_eq_u64 s[14:15], s[0:1]
	s_cbranch_scc0 .LBB234_219
; %bb.222:                              ;   in Loop: Header=BB234_221 Depth=1
	s_mov_b64 s[0:1], s[14:15]
                                        ; implicit-def: $sgpr4_sgpr5
	s_branch .LBB234_220
.LBB234_223:
                                        ; implicit-def: $sgpr0
                                        ; implicit-def: $vgpr34
	s_cbranch_execnz .LBB234_292
	s_branch .LBB234_383
.LBB234_224:
	s_set_inst_prefetch_distance 0x2
	s_or_b32 exec_lo, exec_lo, s24
	v_cmp_gt_i64_e32 vcc_lo, s[14:15], v[38:39]
	s_or_not1_b32 s24, vcc_lo, exec_lo
.LBB234_225:
	s_or_b32 exec_lo, exec_lo, s25
.LBB234_226:
	v_mul_lo_u32 v36, v24, s14
	v_mul_lo_u32 v37, v23, s15
	v_mad_u64_u32 v[34:35], null, v23, s14, 0
	s_and_not1_b32 vcc_lo, exec_lo, s7
	s_delay_alu instid0(VALU_DEP_1)
	v_add3_u32 v41, v35, v37, v36
	s_cbranch_vccnz .LBB234_235
; %bb.227:
	s_delay_alu instid0(VALU_DEP_2) | instskip(NEXT) | instid1(VALU_DEP_2)
	v_add_co_u32 v35, vcc_lo, s20, v34
	v_add_co_ci_u32_e32 v36, vcc_lo, s21, v41, vcc_lo
	v_add_co_u32 v37, vcc_lo, s20, v33
	v_add_co_ci_u32_e32 v38, vcc_lo, s21, v40, vcc_lo
	s_mov_b32 s13, -1
	s_clause 0x1
	global_load_u8 v33, v[35:36], off
	global_load_u8 v39, v[37:38], off
	s_mov_b32 s25, exec_lo
	s_waitcnt vmcnt(0)
	v_cmpx_eq_u16_e64 v33, v39
	s_cbranch_execz .LBB234_234
; %bb.228:
	s_mov_b64 s[0:1], 1
	s_mov_b32 s13, 0
                                        ; implicit-def: $sgpr26
	s_set_inst_prefetch_distance 0x1
	s_branch .LBB234_231
	.p2align	6
.LBB234_229:                            ;   in Loop: Header=BB234_231 Depth=1
	v_add_co_u32 v39, vcc_lo, v35, s0
	v_add_co_ci_u32_e32 v40, vcc_lo, s1, v36, vcc_lo
	v_add_co_u32 v42, vcc_lo, v37, s0
	v_add_co_ci_u32_e32 v43, vcc_lo, s1, v38, vcc_lo
	s_add_u32 s4, s0, 1
	s_clause 0x1
	global_load_u8 v33, v[39:40], off
	global_load_u8 v39, v[42:43], off
	s_addc_u32 s5, s1, 0
	s_and_not1_b32 s26, s26, exec_lo
	s_waitcnt vmcnt(0)
	v_cmp_ne_u16_e32 vcc_lo, v33, v39
	s_and_b32 s27, vcc_lo, exec_lo
	s_delay_alu instid0(SALU_CYCLE_1)
	s_or_b32 s26, s26, s27
.LBB234_230:                            ;   in Loop: Header=BB234_231 Depth=1
	v_dual_mov_b32 v40, s1 :: v_dual_mov_b32 v39, s0
	s_and_b32 s27, exec_lo, s26
	s_mov_b64 s[0:1], s[4:5]
	s_or_b32 s13, s27, s13
	s_delay_alu instid0(SALU_CYCLE_1)
	s_and_not1_b32 exec_lo, exec_lo, s13
	s_cbranch_execz .LBB234_233
.LBB234_231:                            ; =>This Inner Loop Header: Depth=1
	s_or_b32 s26, s26, exec_lo
	s_cmp_eq_u64 s[14:15], s[0:1]
	s_cbranch_scc0 .LBB234_229
; %bb.232:                              ;   in Loop: Header=BB234_231 Depth=1
	s_mov_b64 s[0:1], s[14:15]
                                        ; implicit-def: $sgpr4_sgpr5
	s_branch .LBB234_230
.LBB234_233:
	s_set_inst_prefetch_distance 0x2
	s_or_b32 exec_lo, exec_lo, s13
	v_cmp_gt_i64_e32 vcc_lo, s[14:15], v[39:40]
	s_or_not1_b32 s13, vcc_lo, exec_lo
.LBB234_234:
	s_or_b32 exec_lo, exec_lo, s25
.LBB234_235:
	v_mul_lo_u32 v33, v22, s14
	v_mul_lo_u32 v37, v21, s15
	v_mad_u64_u32 v[35:36], null, v21, s14, 0
	s_mov_b32 s25, 0
	s_and_not1_b32 vcc_lo, exec_lo, s7
	s_mov_b32 s26, 0
	s_delay_alu instid0(VALU_DEP_1)
	v_add3_u32 v42, v36, v37, v33
	s_cbranch_vccnz .LBB234_244
; %bb.236:
	s_delay_alu instid0(VALU_DEP_2) | instskip(NEXT) | instid1(VALU_DEP_2)
	v_add_co_u32 v36, vcc_lo, s20, v35
	v_add_co_ci_u32_e32 v37, vcc_lo, s21, v42, vcc_lo
	v_add_co_u32 v33, vcc_lo, s20, v34
	v_add_co_ci_u32_e32 v34, vcc_lo, s21, v41, vcc_lo
	s_mov_b32 s26, -1
	s_clause 0x1
	global_load_u8 v38, v[36:37], off
	global_load_u8 v39, v[33:34], off
	s_mov_b32 s27, exec_lo
	s_waitcnt vmcnt(0)
	v_cmpx_eq_u16_e64 v38, v39
	s_cbranch_execz .LBB234_243
; %bb.237:
	s_mov_b64 s[0:1], 1
	s_mov_b32 s26, 0
                                        ; implicit-def: $sgpr34
	s_set_inst_prefetch_distance 0x1
	s_branch .LBB234_240
	.p2align	6
.LBB234_238:                            ;   in Loop: Header=BB234_240 Depth=1
	v_add_co_u32 v38, vcc_lo, v36, s0
	v_add_co_ci_u32_e32 v39, vcc_lo, s1, v37, vcc_lo
	v_add_co_u32 v40, vcc_lo, v33, s0
	v_add_co_ci_u32_e32 v41, vcc_lo, s1, v34, vcc_lo
	s_add_u32 s4, s0, 1
	s_clause 0x1
	global_load_u8 v38, v[38:39], off
	global_load_u8 v39, v[40:41], off
	s_addc_u32 s5, s1, 0
	s_and_not1_b32 s34, s34, exec_lo
	s_waitcnt vmcnt(0)
	v_cmp_ne_u16_e32 vcc_lo, v38, v39
	s_and_b32 s35, vcc_lo, exec_lo
	s_delay_alu instid0(SALU_CYCLE_1)
	s_or_b32 s34, s34, s35
.LBB234_239:                            ;   in Loop: Header=BB234_240 Depth=1
	v_dual_mov_b32 v39, s1 :: v_dual_mov_b32 v38, s0
	s_and_b32 s35, exec_lo, s34
	s_mov_b64 s[0:1], s[4:5]
	s_or_b32 s26, s35, s26
	s_delay_alu instid0(SALU_CYCLE_1)
	s_and_not1_b32 exec_lo, exec_lo, s26
	s_cbranch_execz .LBB234_242
.LBB234_240:                            ; =>This Inner Loop Header: Depth=1
	s_or_b32 s34, s34, exec_lo
	s_cmp_eq_u64 s[14:15], s[0:1]
	s_cbranch_scc0 .LBB234_238
; %bb.241:                              ;   in Loop: Header=BB234_240 Depth=1
	s_mov_b64 s[0:1], s[14:15]
                                        ; implicit-def: $sgpr4_sgpr5
	s_branch .LBB234_239
.LBB234_242:
	s_set_inst_prefetch_distance 0x2
	s_or_b32 exec_lo, exec_lo, s26
	v_cmp_gt_i64_e32 vcc_lo, s[14:15], v[38:39]
	s_or_not1_b32 s26, vcc_lo, exec_lo
.LBB234_243:
	s_or_b32 exec_lo, exec_lo, s27
.LBB234_244:
	v_mul_lo_u32 v36, v28, s14
	v_mul_lo_u32 v37, v27, s15
	v_mad_u64_u32 v[33:34], null, v27, s14, 0
	s_and_not1_b32 vcc_lo, exec_lo, s7
	s_delay_alu instid0(VALU_DEP_1)
	v_add3_u32 v40, v34, v37, v36
	s_cbranch_vccnz .LBB234_253
; %bb.245:
	s_delay_alu instid0(VALU_DEP_2) | instskip(NEXT) | instid1(VALU_DEP_2)
	v_add_co_u32 v36, vcc_lo, s20, v33
	v_add_co_ci_u32_e32 v37, vcc_lo, s21, v40, vcc_lo
	v_add_co_u32 v34, vcc_lo, s20, v35
	v_add_co_ci_u32_e32 v35, vcc_lo, s21, v42, vcc_lo
	s_mov_b32 s25, -1
	s_clause 0x1
	global_load_u8 v38, v[36:37], off
	global_load_u8 v39, v[34:35], off
	s_mov_b32 s27, exec_lo
	s_waitcnt vmcnt(0)
	v_cmpx_eq_u16_e64 v38, v39
	s_cbranch_execz .LBB234_252
; %bb.246:
	s_mov_b64 s[0:1], 1
	s_mov_b32 s25, 0
                                        ; implicit-def: $sgpr34
	s_set_inst_prefetch_distance 0x1
	s_branch .LBB234_249
	.p2align	6
.LBB234_247:                            ;   in Loop: Header=BB234_249 Depth=1
	v_add_co_u32 v38, vcc_lo, v36, s0
	v_add_co_ci_u32_e32 v39, vcc_lo, s1, v37, vcc_lo
	v_add_co_u32 v41, vcc_lo, v34, s0
	v_add_co_ci_u32_e32 v42, vcc_lo, s1, v35, vcc_lo
	s_add_u32 s4, s0, 1
	s_clause 0x1
	global_load_u8 v38, v[38:39], off
	global_load_u8 v39, v[41:42], off
	s_addc_u32 s5, s1, 0
	s_and_not1_b32 s34, s34, exec_lo
	s_waitcnt vmcnt(0)
	v_cmp_ne_u16_e32 vcc_lo, v38, v39
	s_and_b32 s35, vcc_lo, exec_lo
	s_delay_alu instid0(SALU_CYCLE_1)
	s_or_b32 s34, s34, s35
.LBB234_248:                            ;   in Loop: Header=BB234_249 Depth=1
	v_dual_mov_b32 v39, s1 :: v_dual_mov_b32 v38, s0
	s_and_b32 s35, exec_lo, s34
	s_mov_b64 s[0:1], s[4:5]
	s_or_b32 s25, s35, s25
	s_delay_alu instid0(SALU_CYCLE_1)
	s_and_not1_b32 exec_lo, exec_lo, s25
	s_cbranch_execz .LBB234_251
.LBB234_249:                            ; =>This Inner Loop Header: Depth=1
	s_or_b32 s34, s34, exec_lo
	s_cmp_eq_u64 s[14:15], s[0:1]
	s_cbranch_scc0 .LBB234_247
; %bb.250:                              ;   in Loop: Header=BB234_249 Depth=1
	s_mov_b64 s[0:1], s[14:15]
                                        ; implicit-def: $sgpr4_sgpr5
	s_branch .LBB234_248
.LBB234_251:
	s_set_inst_prefetch_distance 0x2
	s_or_b32 exec_lo, exec_lo, s25
	v_cmp_gt_i64_e32 vcc_lo, s[14:15], v[38:39]
	s_or_not1_b32 s25, vcc_lo, exec_lo
.LBB234_252:
	s_or_b32 exec_lo, exec_lo, s27
.LBB234_253:
	v_mul_lo_u32 v34, v26, s14
	v_mul_lo_u32 v37, v25, s15
	v_mad_u64_u32 v[35:36], null, v25, s14, 0
	s_mov_b32 s27, 0
	s_and_not1_b32 vcc_lo, exec_lo, s7
	s_mov_b32 s34, 0
	s_delay_alu instid0(VALU_DEP_1)
	v_add3_u32 v42, v36, v37, v34
	s_cbranch_vccnz .LBB234_262
; %bb.254:
	s_delay_alu instid0(VALU_DEP_2) | instskip(NEXT) | instid1(VALU_DEP_2)
	v_add_co_u32 v36, vcc_lo, s20, v35
	v_add_co_ci_u32_e32 v37, vcc_lo, s21, v42, vcc_lo
	v_add_co_u32 v33, vcc_lo, s20, v33
	v_add_co_ci_u32_e32 v34, vcc_lo, s21, v40, vcc_lo
	s_mov_b32 s34, -1
	s_clause 0x1
	global_load_u8 v38, v[36:37], off
	global_load_u8 v39, v[33:34], off
	s_mov_b32 s35, exec_lo
	s_waitcnt vmcnt(0)
	v_cmpx_eq_u16_e64 v38, v39
	s_cbranch_execz .LBB234_261
; %bb.255:
	s_mov_b64 s[0:1], 1
	s_mov_b32 s34, 0
                                        ; implicit-def: $sgpr36
	s_set_inst_prefetch_distance 0x1
	s_branch .LBB234_258
	.p2align	6
.LBB234_256:                            ;   in Loop: Header=BB234_258 Depth=1
	v_add_co_u32 v38, vcc_lo, v36, s0
	v_add_co_ci_u32_e32 v39, vcc_lo, s1, v37, vcc_lo
	v_add_co_u32 v40, vcc_lo, v33, s0
	v_add_co_ci_u32_e32 v41, vcc_lo, s1, v34, vcc_lo
	s_add_u32 s4, s0, 1
	s_clause 0x1
	global_load_u8 v38, v[38:39], off
	global_load_u8 v39, v[40:41], off
	s_addc_u32 s5, s1, 0
	s_and_not1_b32 s36, s36, exec_lo
	s_waitcnt vmcnt(0)
	v_cmp_ne_u16_e32 vcc_lo, v38, v39
	s_and_b32 s37, vcc_lo, exec_lo
	s_delay_alu instid0(SALU_CYCLE_1)
	s_or_b32 s36, s36, s37
.LBB234_257:                            ;   in Loop: Header=BB234_258 Depth=1
	v_dual_mov_b32 v39, s1 :: v_dual_mov_b32 v38, s0
	s_and_b32 s37, exec_lo, s36
	s_mov_b64 s[0:1], s[4:5]
	s_or_b32 s34, s37, s34
	s_delay_alu instid0(SALU_CYCLE_1)
	s_and_not1_b32 exec_lo, exec_lo, s34
	s_cbranch_execz .LBB234_260
.LBB234_258:                            ; =>This Inner Loop Header: Depth=1
	s_or_b32 s36, s36, exec_lo
	s_cmp_eq_u64 s[14:15], s[0:1]
	s_cbranch_scc0 .LBB234_256
; %bb.259:                              ;   in Loop: Header=BB234_258 Depth=1
	s_mov_b64 s[0:1], s[14:15]
                                        ; implicit-def: $sgpr4_sgpr5
	s_branch .LBB234_257
.LBB234_260:
	s_set_inst_prefetch_distance 0x2
	s_or_b32 exec_lo, exec_lo, s34
	v_cmp_gt_i64_e32 vcc_lo, s[14:15], v[38:39]
	s_or_not1_b32 s34, vcc_lo, exec_lo
.LBB234_261:
	s_or_b32 exec_lo, exec_lo, s35
.LBB234_262:
	v_mul_lo_u32 v36, v32, s14
	v_mul_lo_u32 v37, v31, s15
	v_mad_u64_u32 v[33:34], null, v31, s14, 0
	s_and_not1_b32 vcc_lo, exec_lo, s7
	s_delay_alu instid0(VALU_DEP_1)
	v_add3_u32 v41, v34, v37, v36
	s_cbranch_vccnz .LBB234_271
; %bb.263:
	s_delay_alu instid0(VALU_DEP_2) | instskip(NEXT) | instid1(VALU_DEP_2)
	v_add_co_u32 v36, vcc_lo, s20, v33
	v_add_co_ci_u32_e32 v37, vcc_lo, s21, v41, vcc_lo
	v_add_co_u32 v34, vcc_lo, s20, v35
	v_add_co_ci_u32_e32 v35, vcc_lo, s21, v42, vcc_lo
	s_mov_b32 s27, -1
	s_clause 0x1
	global_load_u8 v38, v[36:37], off
	global_load_u8 v39, v[34:35], off
	s_mov_b32 s35, exec_lo
	s_waitcnt vmcnt(0)
	v_cmpx_eq_u16_e64 v38, v39
	s_cbranch_execz .LBB234_270
; %bb.264:
	s_mov_b64 s[0:1], 1
	s_mov_b32 s27, 0
                                        ; implicit-def: $sgpr36
	s_set_inst_prefetch_distance 0x1
	s_branch .LBB234_267
	.p2align	6
.LBB234_265:                            ;   in Loop: Header=BB234_267 Depth=1
	v_add_co_u32 v38, vcc_lo, v36, s0
	v_add_co_ci_u32_e32 v39, vcc_lo, s1, v37, vcc_lo
	v_add_co_u32 v42, vcc_lo, v34, s0
	v_add_co_ci_u32_e32 v43, vcc_lo, s1, v35, vcc_lo
	s_add_u32 s4, s0, 1
	s_clause 0x1
	global_load_u8 v38, v[38:39], off
	global_load_u8 v39, v[42:43], off
	s_addc_u32 s5, s1, 0
	s_and_not1_b32 s36, s36, exec_lo
	s_waitcnt vmcnt(0)
	v_cmp_ne_u16_e32 vcc_lo, v38, v39
	s_and_b32 s37, vcc_lo, exec_lo
	s_delay_alu instid0(SALU_CYCLE_1)
	s_or_b32 s36, s36, s37
.LBB234_266:                            ;   in Loop: Header=BB234_267 Depth=1
	v_dual_mov_b32 v39, s1 :: v_dual_mov_b32 v38, s0
	s_and_b32 s37, exec_lo, s36
	s_mov_b64 s[0:1], s[4:5]
	s_or_b32 s27, s37, s27
	s_delay_alu instid0(SALU_CYCLE_1)
	s_and_not1_b32 exec_lo, exec_lo, s27
	s_cbranch_execz .LBB234_269
.LBB234_267:                            ; =>This Inner Loop Header: Depth=1
	s_or_b32 s36, s36, exec_lo
	s_cmp_eq_u64 s[14:15], s[0:1]
	s_cbranch_scc0 .LBB234_265
; %bb.268:                              ;   in Loop: Header=BB234_267 Depth=1
	s_mov_b64 s[0:1], s[14:15]
                                        ; implicit-def: $sgpr4_sgpr5
	s_branch .LBB234_266
.LBB234_269:
	s_set_inst_prefetch_distance 0x2
	s_or_b32 exec_lo, exec_lo, s27
	v_cmp_gt_i64_e32 vcc_lo, s[14:15], v[38:39]
	s_or_not1_b32 s27, vcc_lo, exec_lo
.LBB234_270:
	s_or_b32 exec_lo, exec_lo, s35
.LBB234_271:
	v_mul_lo_u32 v34, v30, s14
	v_mul_lo_u32 v37, v29, s15
	v_mad_u64_u32 v[35:36], null, v29, s14, 0
	s_and_not1_b32 vcc_lo, exec_lo, s7
	s_mov_b32 s0, 0
	s_delay_alu instid0(VALU_DEP_1)
	v_add3_u32 v40, v36, v37, v34
	s_cbranch_vccnz .LBB234_280
; %bb.272:
	s_delay_alu instid0(VALU_DEP_2) | instskip(NEXT) | instid1(VALU_DEP_2)
	v_add_co_u32 v36, vcc_lo, s20, v35
	v_add_co_ci_u32_e32 v37, vcc_lo, s21, v40, vcc_lo
	v_add_co_u32 v33, vcc_lo, s20, v33
	v_add_co_ci_u32_e32 v34, vcc_lo, s21, v41, vcc_lo
	s_mov_b32 s0, -1
	s_clause 0x1
	global_load_u8 v38, v[36:37], off
	global_load_u8 v39, v[33:34], off
	s_mov_b32 s35, exec_lo
	s_waitcnt vmcnt(0)
	v_cmpx_eq_u16_e64 v38, v39
	s_cbranch_execz .LBB234_279
; %bb.273:
	s_mov_b64 s[0:1], 1
	s_mov_b32 s36, 0
                                        ; implicit-def: $sgpr37
	s_set_inst_prefetch_distance 0x1
	s_branch .LBB234_276
	.p2align	6
.LBB234_274:                            ;   in Loop: Header=BB234_276 Depth=1
	v_add_co_u32 v38, vcc_lo, v36, s0
	v_add_co_ci_u32_e32 v39, vcc_lo, s1, v37, vcc_lo
	v_add_co_u32 v41, vcc_lo, v33, s0
	v_add_co_ci_u32_e32 v42, vcc_lo, s1, v34, vcc_lo
	s_add_u32 s4, s0, 1
	s_clause 0x1
	global_load_u8 v38, v[38:39], off
	global_load_u8 v39, v[41:42], off
	s_addc_u32 s5, s1, 0
	s_and_not1_b32 s37, s37, exec_lo
	s_waitcnt vmcnt(0)
	v_cmp_ne_u16_e32 vcc_lo, v38, v39
	s_and_b32 s38, vcc_lo, exec_lo
	s_delay_alu instid0(SALU_CYCLE_1)
	s_or_b32 s37, s37, s38
.LBB234_275:                            ;   in Loop: Header=BB234_276 Depth=1
	v_dual_mov_b32 v39, s1 :: v_dual_mov_b32 v38, s0
	s_and_b32 s38, exec_lo, s37
	s_mov_b64 s[0:1], s[4:5]
	s_or_b32 s36, s38, s36
	s_delay_alu instid0(SALU_CYCLE_1)
	s_and_not1_b32 exec_lo, exec_lo, s36
	s_cbranch_execz .LBB234_278
.LBB234_276:                            ; =>This Inner Loop Header: Depth=1
	s_or_b32 s37, s37, exec_lo
	s_cmp_eq_u64 s[14:15], s[0:1]
	s_cbranch_scc0 .LBB234_274
; %bb.277:                              ;   in Loop: Header=BB234_276 Depth=1
	s_mov_b64 s[0:1], s[14:15]
                                        ; implicit-def: $sgpr4_sgpr5
	s_branch .LBB234_275
.LBB234_278:
	s_set_inst_prefetch_distance 0x2
	s_or_b32 exec_lo, exec_lo, s36
	v_cmp_gt_i64_e32 vcc_lo, s[14:15], v[38:39]
	s_or_not1_b32 s0, vcc_lo, exec_lo
.LBB234_279:
	s_or_b32 exec_lo, exec_lo, s35
.LBB234_280:
	v_cndmask_b32_e64 v34, 0, 1, s34
	v_cndmask_b32_e64 v36, 0, 1, s26
	;; [unrolled: 1-line block ×7, first 2 shown]
	v_lshlrev_b16 v36, 8, v36
	v_lshlrev_b16 v37, 8, v37
	;; [unrolled: 1-line block ×4, first 2 shown]
	s_waitcnt lgkmcnt(0)
	v_or_b32_e32 v36, v39, v36
	v_or_b32_e32 v37, v41, v37
	;; [unrolled: 1-line block ×4, first 2 shown]
	s_barrier
	v_and_b32_e32 v34, 0xffff, v36
	v_lshlrev_b32_e32 v36, 16, v37
	v_and_b32_e32 v37, 0xffff, v38
	v_lshlrev_b32_e32 v33, 16, v33
	buffer_gl0_inv
                                        ; implicit-def: $sgpr0
	v_or_b32_e32 v34, v34, v36
	v_or_b32_e32 v33, v37, v33
	s_and_saveexec_b32 s1, s3
	s_delay_alu instid0(SALU_CYCLE_1)
	s_xor_b32 s13, exec_lo, s1
	s_cbranch_execz .LBB234_291
; %bb.281:
	s_and_not1_b32 vcc_lo, exec_lo, s7
	s_mov_b32 s0, 0
	s_cbranch_vccnz .LBB234_290
; %bb.282:
	v_add_nc_u32_e32 v36, -8, v55
	s_mov_b32 s0, -1
	s_mov_b32 s24, exec_lo
	ds_load_b64 v[38:39], v36
	s_waitcnt lgkmcnt(0)
	v_mul_lo_u32 v41, v38, s15
	v_mul_lo_u32 v39, v39, s14
	v_mad_u64_u32 v[36:37], null, v38, s14, s[20:21]
	v_add_co_u32 v38, vcc_lo, s20, v35
	s_delay_alu instid0(VALU_DEP_2)
	v_add3_u32 v37, v39, v37, v41
	v_add_co_ci_u32_e32 v39, vcc_lo, s21, v40, vcc_lo
	s_clause 0x1
	global_load_u8 v35, v[36:37], off
	global_load_u8 v40, v[38:39], off
	s_waitcnt vmcnt(0)
	v_cmpx_eq_u16_e64 v35, v40
	s_cbranch_execz .LBB234_289
; %bb.283:
	s_mov_b64 s[0:1], 1
	s_mov_b32 s25, 0
                                        ; implicit-def: $sgpr26
	s_set_inst_prefetch_distance 0x1
	s_branch .LBB234_286
	.p2align	6
.LBB234_284:                            ;   in Loop: Header=BB234_286 Depth=1
	v_add_co_u32 v40, vcc_lo, v36, s0
	v_add_co_ci_u32_e32 v41, vcc_lo, s1, v37, vcc_lo
	v_add_co_u32 v42, vcc_lo, v38, s0
	v_add_co_ci_u32_e32 v43, vcc_lo, s1, v39, vcc_lo
	s_add_u32 s4, s0, 1
	s_clause 0x1
	global_load_u8 v35, v[40:41], off
	global_load_u8 v40, v[42:43], off
	s_addc_u32 s5, s1, 0
	s_and_not1_b32 s26, s26, exec_lo
	s_waitcnt vmcnt(0)
	v_cmp_ne_u16_e32 vcc_lo, v35, v40
	s_and_b32 s27, vcc_lo, exec_lo
	s_delay_alu instid0(SALU_CYCLE_1)
	s_or_b32 s26, s26, s27
.LBB234_285:                            ;   in Loop: Header=BB234_286 Depth=1
	v_dual_mov_b32 v41, s1 :: v_dual_mov_b32 v40, s0
	s_and_b32 s27, exec_lo, s26
	s_mov_b64 s[0:1], s[4:5]
	s_or_b32 s25, s27, s25
	s_delay_alu instid0(SALU_CYCLE_1)
	s_and_not1_b32 exec_lo, exec_lo, s25
	s_cbranch_execz .LBB234_288
.LBB234_286:                            ; =>This Inner Loop Header: Depth=1
	s_or_b32 s26, s26, exec_lo
	s_cmp_eq_u64 s[14:15], s[0:1]
	s_cbranch_scc0 .LBB234_284
; %bb.287:                              ;   in Loop: Header=BB234_286 Depth=1
	s_mov_b64 s[0:1], s[14:15]
                                        ; implicit-def: $sgpr4_sgpr5
	s_branch .LBB234_285
.LBB234_288:
	s_set_inst_prefetch_distance 0x2
	s_or_b32 exec_lo, exec_lo, s25
	v_cmp_gt_i64_e32 vcc_lo, s[14:15], v[40:41]
	s_or_not1_b32 s0, vcc_lo, exec_lo
.LBB234_289:
	s_or_b32 exec_lo, exec_lo, s24
.LBB234_290:
	s_delay_alu instid0(SALU_CYCLE_1)
	s_and_b32 s0, s0, exec_lo
	s_or_b32 s6, s6, exec_lo
.LBB234_291:
	s_or_b32 exec_lo, exec_lo, s13
	s_branch .LBB234_383
.LBB234_292:
	v_or_b32_e32 v33, 7, v55
	s_mov_b32 s13, 0
	s_mov_b32 s24, 0
	s_mov_b32 s25, exec_lo
	s_delay_alu instid0(VALU_DEP_1)
	v_cmpx_gt_u32_e64 s31, v33
	s_cbranch_execz .LBB234_303
; %bb.293:
	s_and_not1_b32 vcc_lo, exec_lo, s7
	s_mov_b32 s0, 0
	s_cbranch_vccnz .LBB234_302
; %bb.294:
	v_mad_u64_u32 v[33:34], null, v17, s14, s[20:21]
	v_mul_lo_u32 v37, v17, s15
	v_mul_lo_u32 v38, v18, s14
	s_waitcnt vmcnt(0) lgkmcnt(1)
	v_mad_u64_u32 v[35:36], null, v19, s14, s[20:21]
	v_mul_lo_u32 v39, v19, s15
	v_mul_lo_u32 v40, v20, s14
	s_mov_b32 s0, -1
	s_mov_b32 s24, exec_lo
	s_delay_alu instid0(VALU_DEP_4) | instskip(NEXT) | instid1(VALU_DEP_2)
	v_add3_u32 v34, v38, v34, v37
	v_add3_u32 v36, v40, v36, v39
	s_clause 0x1
	global_load_u8 v37, v[33:34], off
	global_load_u8 v38, v[35:36], off
	s_waitcnt vmcnt(0)
	v_cmpx_eq_u16_e64 v37, v38
	s_cbranch_execz .LBB234_301
; %bb.295:
	s_mov_b64 s[0:1], 1
	s_mov_b32 s26, 0
                                        ; implicit-def: $sgpr27
	s_set_inst_prefetch_distance 0x1
	s_branch .LBB234_298
	.p2align	6
.LBB234_296:                            ;   in Loop: Header=BB234_298 Depth=1
	v_add_co_u32 v37, vcc_lo, v33, s0
	v_add_co_ci_u32_e32 v38, vcc_lo, s1, v34, vcc_lo
	v_add_co_u32 v39, vcc_lo, v35, s0
	v_add_co_ci_u32_e32 v40, vcc_lo, s1, v36, vcc_lo
	s_add_u32 s4, s0, 1
	s_clause 0x1
	global_load_u8 v37, v[37:38], off
	global_load_u8 v38, v[39:40], off
	s_addc_u32 s5, s1, 0
	s_and_not1_b32 s27, s27, exec_lo
	s_waitcnt vmcnt(0)
	v_cmp_ne_u16_e32 vcc_lo, v37, v38
	s_and_b32 s34, vcc_lo, exec_lo
	s_delay_alu instid0(SALU_CYCLE_1)
	s_or_b32 s27, s27, s34
.LBB234_297:                            ;   in Loop: Header=BB234_298 Depth=1
	v_dual_mov_b32 v38, s1 :: v_dual_mov_b32 v37, s0
	s_and_b32 s34, exec_lo, s27
	s_mov_b64 s[0:1], s[4:5]
	s_or_b32 s26, s34, s26
	s_delay_alu instid0(SALU_CYCLE_1)
	s_and_not1_b32 exec_lo, exec_lo, s26
	s_cbranch_execz .LBB234_300
.LBB234_298:                            ; =>This Inner Loop Header: Depth=1
	s_or_b32 s27, s27, exec_lo
	s_cmp_eq_u64 s[14:15], s[0:1]
	s_cbranch_scc0 .LBB234_296
; %bb.299:                              ;   in Loop: Header=BB234_298 Depth=1
	s_mov_b64 s[0:1], s[14:15]
                                        ; implicit-def: $sgpr4_sgpr5
	s_branch .LBB234_297
.LBB234_300:
	s_set_inst_prefetch_distance 0x2
	s_or_b32 exec_lo, exec_lo, s26
	v_cmp_gt_i64_e32 vcc_lo, s[14:15], v[37:38]
	s_or_not1_b32 s0, vcc_lo, exec_lo
.LBB234_301:
	s_or_b32 exec_lo, exec_lo, s24
.LBB234_302:
	s_delay_alu instid0(SALU_CYCLE_1)
	s_and_b32 s24, s0, exec_lo
.LBB234_303:
	s_or_b32 exec_lo, exec_lo, s25
	v_or_b32_e32 v33, 6, v55
	s_mov_b32 s25, exec_lo
	s_delay_alu instid0(VALU_DEP_1)
	v_cmpx_gt_u32_e64 s31, v33
	s_cbranch_execz .LBB234_314
; %bb.304:
	s_and_not1_b32 vcc_lo, exec_lo, s7
	s_mov_b32 s0, 0
	s_cbranch_vccnz .LBB234_313
; %bb.305:
	v_mad_u64_u32 v[33:34], null, v23, s14, s[20:21]
	v_mul_lo_u32 v37, v23, s15
	v_mul_lo_u32 v38, v24, s14
	s_waitcnt vmcnt(0) lgkmcnt(1)
	v_mad_u64_u32 v[35:36], null, v17, s14, s[20:21]
	v_mul_lo_u32 v39, v17, s15
	v_mul_lo_u32 v40, v18, s14
	s_mov_b32 s0, -1
	s_mov_b32 s13, exec_lo
	s_delay_alu instid0(VALU_DEP_4) | instskip(NEXT) | instid1(VALU_DEP_2)
	v_add3_u32 v34, v38, v34, v37
	v_add3_u32 v36, v40, v36, v39
	s_clause 0x1
	global_load_u8 v37, v[33:34], off
	global_load_u8 v38, v[35:36], off
	s_waitcnt vmcnt(0)
	v_cmpx_eq_u16_e64 v37, v38
	s_cbranch_execz .LBB234_312
; %bb.306:
	s_mov_b64 s[0:1], 1
	s_mov_b32 s26, 0
                                        ; implicit-def: $sgpr27
	s_set_inst_prefetch_distance 0x1
	s_branch .LBB234_309
	.p2align	6
.LBB234_307:                            ;   in Loop: Header=BB234_309 Depth=1
	v_add_co_u32 v37, vcc_lo, v33, s0
	v_add_co_ci_u32_e32 v38, vcc_lo, s1, v34, vcc_lo
	v_add_co_u32 v39, vcc_lo, v35, s0
	v_add_co_ci_u32_e32 v40, vcc_lo, s1, v36, vcc_lo
	s_add_u32 s4, s0, 1
	s_clause 0x1
	global_load_u8 v37, v[37:38], off
	global_load_u8 v38, v[39:40], off
	s_addc_u32 s5, s1, 0
	s_and_not1_b32 s27, s27, exec_lo
	s_waitcnt vmcnt(0)
	v_cmp_ne_u16_e32 vcc_lo, v37, v38
	s_and_b32 s34, vcc_lo, exec_lo
	s_delay_alu instid0(SALU_CYCLE_1)
	s_or_b32 s27, s27, s34
.LBB234_308:                            ;   in Loop: Header=BB234_309 Depth=1
	v_dual_mov_b32 v38, s1 :: v_dual_mov_b32 v37, s0
	s_and_b32 s34, exec_lo, s27
	s_mov_b64 s[0:1], s[4:5]
	s_or_b32 s26, s34, s26
	s_delay_alu instid0(SALU_CYCLE_1)
	s_and_not1_b32 exec_lo, exec_lo, s26
	s_cbranch_execz .LBB234_311
.LBB234_309:                            ; =>This Inner Loop Header: Depth=1
	s_or_b32 s27, s27, exec_lo
	s_cmp_eq_u64 s[14:15], s[0:1]
	s_cbranch_scc0 .LBB234_307
; %bb.310:                              ;   in Loop: Header=BB234_309 Depth=1
	s_mov_b64 s[0:1], s[14:15]
                                        ; implicit-def: $sgpr4_sgpr5
	s_branch .LBB234_308
.LBB234_311:
	s_set_inst_prefetch_distance 0x2
	s_or_b32 exec_lo, exec_lo, s26
	v_cmp_gt_i64_e32 vcc_lo, s[14:15], v[37:38]
	s_or_not1_b32 s0, vcc_lo, exec_lo
.LBB234_312:
	s_or_b32 exec_lo, exec_lo, s13
.LBB234_313:
	s_delay_alu instid0(SALU_CYCLE_1)
	s_and_b32 s13, s0, exec_lo
.LBB234_314:
	s_or_b32 exec_lo, exec_lo, s25
	v_or_b32_e32 v33, 5, v55
	s_mov_b32 s25, 0
	s_mov_b32 s26, 0
	s_mov_b32 s27, exec_lo
	s_delay_alu instid0(VALU_DEP_1)
	v_cmpx_gt_u32_e64 s31, v33
	s_cbranch_execz .LBB234_325
; %bb.315:
	s_and_not1_b32 vcc_lo, exec_lo, s7
	s_mov_b32 s0, 0
	s_cbranch_vccnz .LBB234_324
; %bb.316:
	v_mad_u64_u32 v[33:34], null, v21, s14, s[20:21]
	v_mul_lo_u32 v37, v21, s15
	v_mul_lo_u32 v38, v22, s14
	s_waitcnt vmcnt(0) lgkmcnt(1)
	v_mad_u64_u32 v[35:36], null, v23, s14, s[20:21]
	v_mul_lo_u32 v39, v23, s15
	v_mul_lo_u32 v40, v24, s14
	s_mov_b32 s0, -1
	s_mov_b32 s26, exec_lo
	s_delay_alu instid0(VALU_DEP_4) | instskip(NEXT) | instid1(VALU_DEP_2)
	v_add3_u32 v34, v38, v34, v37
	v_add3_u32 v36, v40, v36, v39
	s_clause 0x1
	global_load_u8 v37, v[33:34], off
	global_load_u8 v38, v[35:36], off
	s_waitcnt vmcnt(0)
	v_cmpx_eq_u16_e64 v37, v38
	s_cbranch_execz .LBB234_323
; %bb.317:
	s_mov_b64 s[0:1], 1
	s_mov_b32 s34, 0
                                        ; implicit-def: $sgpr35
	s_set_inst_prefetch_distance 0x1
	s_branch .LBB234_320
	.p2align	6
.LBB234_318:                            ;   in Loop: Header=BB234_320 Depth=1
	v_add_co_u32 v37, vcc_lo, v33, s0
	v_add_co_ci_u32_e32 v38, vcc_lo, s1, v34, vcc_lo
	v_add_co_u32 v39, vcc_lo, v35, s0
	v_add_co_ci_u32_e32 v40, vcc_lo, s1, v36, vcc_lo
	s_add_u32 s4, s0, 1
	s_clause 0x1
	global_load_u8 v37, v[37:38], off
	global_load_u8 v38, v[39:40], off
	s_addc_u32 s5, s1, 0
	s_and_not1_b32 s35, s35, exec_lo
	s_waitcnt vmcnt(0)
	v_cmp_ne_u16_e32 vcc_lo, v37, v38
	s_and_b32 s36, vcc_lo, exec_lo
	s_delay_alu instid0(SALU_CYCLE_1)
	s_or_b32 s35, s35, s36
.LBB234_319:                            ;   in Loop: Header=BB234_320 Depth=1
	v_dual_mov_b32 v38, s1 :: v_dual_mov_b32 v37, s0
	s_and_b32 s36, exec_lo, s35
	s_mov_b64 s[0:1], s[4:5]
	s_or_b32 s34, s36, s34
	s_delay_alu instid0(SALU_CYCLE_1)
	s_and_not1_b32 exec_lo, exec_lo, s34
	s_cbranch_execz .LBB234_322
.LBB234_320:                            ; =>This Inner Loop Header: Depth=1
	s_or_b32 s35, s35, exec_lo
	s_cmp_eq_u64 s[14:15], s[0:1]
	s_cbranch_scc0 .LBB234_318
; %bb.321:                              ;   in Loop: Header=BB234_320 Depth=1
	s_mov_b64 s[0:1], s[14:15]
                                        ; implicit-def: $sgpr4_sgpr5
	s_branch .LBB234_319
.LBB234_322:
	s_set_inst_prefetch_distance 0x2
	s_or_b32 exec_lo, exec_lo, s34
	v_cmp_gt_i64_e32 vcc_lo, s[14:15], v[37:38]
	s_or_not1_b32 s0, vcc_lo, exec_lo
.LBB234_323:
	s_or_b32 exec_lo, exec_lo, s26
.LBB234_324:
	s_delay_alu instid0(SALU_CYCLE_1)
	s_and_b32 s26, s0, exec_lo
.LBB234_325:
	s_or_b32 exec_lo, exec_lo, s27
	v_or_b32_e32 v33, 4, v55
	s_mov_b32 s27, exec_lo
	s_delay_alu instid0(VALU_DEP_1)
	v_cmpx_gt_u32_e64 s31, v33
	s_cbranch_execz .LBB234_336
; %bb.326:
	s_and_not1_b32 vcc_lo, exec_lo, s7
	s_mov_b32 s0, 0
	s_cbranch_vccnz .LBB234_335
; %bb.327:
	v_mad_u64_u32 v[33:34], null, v27, s14, s[20:21]
	v_mul_lo_u32 v37, v27, s15
	v_mul_lo_u32 v38, v28, s14
	s_waitcnt vmcnt(0) lgkmcnt(1)
	v_mad_u64_u32 v[35:36], null, v21, s14, s[20:21]
	v_mul_lo_u32 v39, v21, s15
	v_mul_lo_u32 v40, v22, s14
	s_mov_b32 s0, -1
	s_mov_b32 s25, exec_lo
	s_delay_alu instid0(VALU_DEP_4) | instskip(NEXT) | instid1(VALU_DEP_2)
	v_add3_u32 v34, v38, v34, v37
	v_add3_u32 v36, v40, v36, v39
	s_clause 0x1
	global_load_u8 v37, v[33:34], off
	global_load_u8 v38, v[35:36], off
	s_waitcnt vmcnt(0)
	v_cmpx_eq_u16_e64 v37, v38
	s_cbranch_execz .LBB234_334
; %bb.328:
	s_mov_b64 s[0:1], 1
	s_mov_b32 s34, 0
                                        ; implicit-def: $sgpr35
	s_set_inst_prefetch_distance 0x1
	s_branch .LBB234_331
	.p2align	6
.LBB234_329:                            ;   in Loop: Header=BB234_331 Depth=1
	v_add_co_u32 v37, vcc_lo, v33, s0
	v_add_co_ci_u32_e32 v38, vcc_lo, s1, v34, vcc_lo
	v_add_co_u32 v39, vcc_lo, v35, s0
	v_add_co_ci_u32_e32 v40, vcc_lo, s1, v36, vcc_lo
	s_add_u32 s4, s0, 1
	s_clause 0x1
	global_load_u8 v37, v[37:38], off
	global_load_u8 v38, v[39:40], off
	s_addc_u32 s5, s1, 0
	s_and_not1_b32 s35, s35, exec_lo
	s_waitcnt vmcnt(0)
	v_cmp_ne_u16_e32 vcc_lo, v37, v38
	s_and_b32 s36, vcc_lo, exec_lo
	s_delay_alu instid0(SALU_CYCLE_1)
	s_or_b32 s35, s35, s36
.LBB234_330:                            ;   in Loop: Header=BB234_331 Depth=1
	v_dual_mov_b32 v38, s1 :: v_dual_mov_b32 v37, s0
	s_and_b32 s36, exec_lo, s35
	s_mov_b64 s[0:1], s[4:5]
	s_or_b32 s34, s36, s34
	s_delay_alu instid0(SALU_CYCLE_1)
	s_and_not1_b32 exec_lo, exec_lo, s34
	s_cbranch_execz .LBB234_333
.LBB234_331:                            ; =>This Inner Loop Header: Depth=1
	s_or_b32 s35, s35, exec_lo
	s_cmp_eq_u64 s[14:15], s[0:1]
	s_cbranch_scc0 .LBB234_329
; %bb.332:                              ;   in Loop: Header=BB234_331 Depth=1
	s_mov_b64 s[0:1], s[14:15]
                                        ; implicit-def: $sgpr4_sgpr5
	s_branch .LBB234_330
.LBB234_333:
	s_set_inst_prefetch_distance 0x2
	s_or_b32 exec_lo, exec_lo, s34
	v_cmp_gt_i64_e32 vcc_lo, s[14:15], v[37:38]
	s_or_not1_b32 s0, vcc_lo, exec_lo
.LBB234_334:
	s_or_b32 exec_lo, exec_lo, s25
.LBB234_335:
	s_delay_alu instid0(SALU_CYCLE_1)
	s_and_b32 s25, s0, exec_lo
.LBB234_336:
	s_or_b32 exec_lo, exec_lo, s27
	v_or_b32_e32 v33, 3, v55
	s_mov_b32 s34, 0
	s_mov_b32 s27, 0
	s_mov_b32 s35, exec_lo
	s_delay_alu instid0(VALU_DEP_1)
	v_cmpx_gt_u32_e64 s31, v33
	s_cbranch_execz .LBB234_347
; %bb.337:
	s_and_not1_b32 vcc_lo, exec_lo, s7
	s_mov_b32 s0, 0
	s_cbranch_vccnz .LBB234_346
; %bb.338:
	v_mad_u64_u32 v[33:34], null, v25, s14, s[20:21]
	v_mul_lo_u32 v37, v25, s15
	v_mul_lo_u32 v38, v26, s14
	s_waitcnt vmcnt(0) lgkmcnt(1)
	v_mad_u64_u32 v[35:36], null, v27, s14, s[20:21]
	v_mul_lo_u32 v39, v27, s15
	v_mul_lo_u32 v40, v28, s14
	s_mov_b32 s0, -1
	s_mov_b32 s27, exec_lo
	s_delay_alu instid0(VALU_DEP_4) | instskip(NEXT) | instid1(VALU_DEP_2)
	v_add3_u32 v34, v38, v34, v37
	v_add3_u32 v36, v40, v36, v39
	s_clause 0x1
	global_load_u8 v37, v[33:34], off
	global_load_u8 v38, v[35:36], off
	s_waitcnt vmcnt(0)
	v_cmpx_eq_u16_e64 v37, v38
	s_cbranch_execz .LBB234_345
; %bb.339:
	s_mov_b64 s[0:1], 1
	s_mov_b32 s36, 0
                                        ; implicit-def: $sgpr37
	s_set_inst_prefetch_distance 0x1
	s_branch .LBB234_342
	.p2align	6
.LBB234_340:                            ;   in Loop: Header=BB234_342 Depth=1
	v_add_co_u32 v37, vcc_lo, v33, s0
	v_add_co_ci_u32_e32 v38, vcc_lo, s1, v34, vcc_lo
	v_add_co_u32 v39, vcc_lo, v35, s0
	v_add_co_ci_u32_e32 v40, vcc_lo, s1, v36, vcc_lo
	s_add_u32 s4, s0, 1
	s_clause 0x1
	global_load_u8 v37, v[37:38], off
	global_load_u8 v38, v[39:40], off
	s_addc_u32 s5, s1, 0
	s_and_not1_b32 s37, s37, exec_lo
	s_waitcnt vmcnt(0)
	v_cmp_ne_u16_e32 vcc_lo, v37, v38
	s_and_b32 s38, vcc_lo, exec_lo
	s_delay_alu instid0(SALU_CYCLE_1)
	s_or_b32 s37, s37, s38
.LBB234_341:                            ;   in Loop: Header=BB234_342 Depth=1
	v_dual_mov_b32 v38, s1 :: v_dual_mov_b32 v37, s0
	s_and_b32 s38, exec_lo, s37
	s_mov_b64 s[0:1], s[4:5]
	s_or_b32 s36, s38, s36
	s_delay_alu instid0(SALU_CYCLE_1)
	s_and_not1_b32 exec_lo, exec_lo, s36
	s_cbranch_execz .LBB234_344
.LBB234_342:                            ; =>This Inner Loop Header: Depth=1
	s_or_b32 s37, s37, exec_lo
	s_cmp_eq_u64 s[14:15], s[0:1]
	s_cbranch_scc0 .LBB234_340
; %bb.343:                              ;   in Loop: Header=BB234_342 Depth=1
	s_mov_b64 s[0:1], s[14:15]
                                        ; implicit-def: $sgpr4_sgpr5
	s_branch .LBB234_341
.LBB234_344:
	s_set_inst_prefetch_distance 0x2
	s_or_b32 exec_lo, exec_lo, s36
	v_cmp_gt_i64_e32 vcc_lo, s[14:15], v[37:38]
	s_or_not1_b32 s0, vcc_lo, exec_lo
.LBB234_345:
	s_or_b32 exec_lo, exec_lo, s27
.LBB234_346:
	s_delay_alu instid0(SALU_CYCLE_1)
	s_and_b32 s27, s0, exec_lo
.LBB234_347:
	s_or_b32 exec_lo, exec_lo, s35
	v_or_b32_e32 v33, 2, v55
	s_mov_b32 s35, exec_lo
	s_delay_alu instid0(VALU_DEP_1)
	v_cmpx_gt_u32_e64 s31, v33
	s_cbranch_execz .LBB234_358
; %bb.348:
	s_and_not1_b32 vcc_lo, exec_lo, s7
	s_mov_b32 s0, 0
	s_cbranch_vccnz .LBB234_357
; %bb.349:
	v_mad_u64_u32 v[33:34], null, v31, s14, s[20:21]
	v_mul_lo_u32 v37, v31, s15
	v_mul_lo_u32 v38, v32, s14
	s_waitcnt vmcnt(0) lgkmcnt(1)
	v_mad_u64_u32 v[35:36], null, v25, s14, s[20:21]
	v_mul_lo_u32 v39, v25, s15
	v_mul_lo_u32 v40, v26, s14
	s_mov_b32 s0, -1
	s_mov_b32 s34, exec_lo
	s_delay_alu instid0(VALU_DEP_4) | instskip(NEXT) | instid1(VALU_DEP_2)
	v_add3_u32 v34, v38, v34, v37
	v_add3_u32 v36, v40, v36, v39
	s_clause 0x1
	global_load_u8 v37, v[33:34], off
	global_load_u8 v38, v[35:36], off
	s_waitcnt vmcnt(0)
	v_cmpx_eq_u16_e64 v37, v38
	s_cbranch_execz .LBB234_356
; %bb.350:
	s_mov_b64 s[0:1], 1
	s_mov_b32 s36, 0
                                        ; implicit-def: $sgpr37
	s_set_inst_prefetch_distance 0x1
	s_branch .LBB234_353
	.p2align	6
.LBB234_351:                            ;   in Loop: Header=BB234_353 Depth=1
	v_add_co_u32 v37, vcc_lo, v33, s0
	v_add_co_ci_u32_e32 v38, vcc_lo, s1, v34, vcc_lo
	v_add_co_u32 v39, vcc_lo, v35, s0
	v_add_co_ci_u32_e32 v40, vcc_lo, s1, v36, vcc_lo
	s_add_u32 s4, s0, 1
	s_clause 0x1
	global_load_u8 v37, v[37:38], off
	global_load_u8 v38, v[39:40], off
	s_addc_u32 s5, s1, 0
	s_and_not1_b32 s37, s37, exec_lo
	s_waitcnt vmcnt(0)
	v_cmp_ne_u16_e32 vcc_lo, v37, v38
	s_and_b32 s38, vcc_lo, exec_lo
	s_delay_alu instid0(SALU_CYCLE_1)
	s_or_b32 s37, s37, s38
.LBB234_352:                            ;   in Loop: Header=BB234_353 Depth=1
	v_dual_mov_b32 v38, s1 :: v_dual_mov_b32 v37, s0
	s_and_b32 s38, exec_lo, s37
	s_mov_b64 s[0:1], s[4:5]
	s_or_b32 s36, s38, s36
	s_delay_alu instid0(SALU_CYCLE_1)
	s_and_not1_b32 exec_lo, exec_lo, s36
	s_cbranch_execz .LBB234_355
.LBB234_353:                            ; =>This Inner Loop Header: Depth=1
	s_or_b32 s37, s37, exec_lo
	s_cmp_eq_u64 s[14:15], s[0:1]
	s_cbranch_scc0 .LBB234_351
; %bb.354:                              ;   in Loop: Header=BB234_353 Depth=1
	s_mov_b64 s[0:1], s[14:15]
                                        ; implicit-def: $sgpr4_sgpr5
	s_branch .LBB234_352
.LBB234_355:
	s_set_inst_prefetch_distance 0x2
	s_or_b32 exec_lo, exec_lo, s36
	v_cmp_gt_i64_e32 vcc_lo, s[14:15], v[37:38]
	s_or_not1_b32 s0, vcc_lo, exec_lo
.LBB234_356:
	s_or_b32 exec_lo, exec_lo, s34
.LBB234_357:
	s_delay_alu instid0(SALU_CYCLE_1)
	s_and_b32 s34, s0, exec_lo
.LBB234_358:
	s_or_b32 exec_lo, exec_lo, s35
	v_or_b32_e32 v33, 1, v55
	s_mov_b32 s0, 0
	s_mov_b32 s35, exec_lo
	s_delay_alu instid0(VALU_DEP_1)
	v_cmpx_gt_u32_e64 s31, v33
	s_cbranch_execz .LBB234_369
; %bb.359:
	s_and_not1_b32 vcc_lo, exec_lo, s7
	s_cbranch_vccnz .LBB234_368
; %bb.360:
	v_mad_u64_u32 v[33:34], null, v29, s14, s[20:21]
	v_mul_lo_u32 v37, v29, s15
	v_mul_lo_u32 v38, v30, s14
	s_waitcnt vmcnt(0) lgkmcnt(1)
	v_mad_u64_u32 v[35:36], null, v31, s14, s[20:21]
	v_mul_lo_u32 v39, v31, s15
	v_mul_lo_u32 v40, v32, s14
	s_mov_b32 s0, -1
	s_mov_b32 s36, exec_lo
	s_delay_alu instid0(VALU_DEP_4) | instskip(NEXT) | instid1(VALU_DEP_2)
	v_add3_u32 v34, v38, v34, v37
	v_add3_u32 v36, v40, v36, v39
	s_clause 0x1
	global_load_u8 v37, v[33:34], off
	global_load_u8 v38, v[35:36], off
	s_waitcnt vmcnt(0)
	v_cmpx_eq_u16_e64 v37, v38
	s_cbranch_execz .LBB234_367
; %bb.361:
	s_mov_b64 s[0:1], 1
	s_mov_b32 s37, 0
                                        ; implicit-def: $sgpr38
	s_set_inst_prefetch_distance 0x1
	s_branch .LBB234_364
	.p2align	6
.LBB234_362:                            ;   in Loop: Header=BB234_364 Depth=1
	v_add_co_u32 v37, vcc_lo, v33, s0
	v_add_co_ci_u32_e32 v38, vcc_lo, s1, v34, vcc_lo
	v_add_co_u32 v39, vcc_lo, v35, s0
	v_add_co_ci_u32_e32 v40, vcc_lo, s1, v36, vcc_lo
	s_add_u32 s4, s0, 1
	s_clause 0x1
	global_load_u8 v37, v[37:38], off
	global_load_u8 v38, v[39:40], off
	s_addc_u32 s5, s1, 0
	s_and_not1_b32 s38, s38, exec_lo
	s_waitcnt vmcnt(0)
	v_cmp_ne_u16_e32 vcc_lo, v37, v38
	s_and_b32 s39, vcc_lo, exec_lo
	s_delay_alu instid0(SALU_CYCLE_1)
	s_or_b32 s38, s38, s39
.LBB234_363:                            ;   in Loop: Header=BB234_364 Depth=1
	v_dual_mov_b32 v38, s1 :: v_dual_mov_b32 v37, s0
	s_and_b32 s39, exec_lo, s38
	s_mov_b64 s[0:1], s[4:5]
	s_or_b32 s37, s39, s37
	s_delay_alu instid0(SALU_CYCLE_1)
	s_and_not1_b32 exec_lo, exec_lo, s37
	s_cbranch_execz .LBB234_366
.LBB234_364:                            ; =>This Inner Loop Header: Depth=1
	s_or_b32 s38, s38, exec_lo
	s_cmp_eq_u64 s[14:15], s[0:1]
	s_cbranch_scc0 .LBB234_362
; %bb.365:                              ;   in Loop: Header=BB234_364 Depth=1
	s_mov_b64 s[0:1], s[14:15]
                                        ; implicit-def: $sgpr4_sgpr5
	s_branch .LBB234_363
.LBB234_366:
	s_set_inst_prefetch_distance 0x2
	s_or_b32 exec_lo, exec_lo, s37
	v_cmp_gt_i64_e32 vcc_lo, s[14:15], v[37:38]
	s_or_not1_b32 s0, vcc_lo, exec_lo
.LBB234_367:
	s_or_b32 exec_lo, exec_lo, s36
.LBB234_368:
	s_delay_alu instid0(SALU_CYCLE_1)
	s_and_b32 s0, s0, exec_lo
.LBB234_369:
	s_or_b32 exec_lo, exec_lo, s35
	v_cndmask_b32_e64 v34, 0, 1, s27
	s_waitcnt vmcnt(0) lgkmcnt(1)
	v_cndmask_b32_e64 v35, 0, 1, s26
	v_cndmask_b32_e64 v36, 0, 1, s24
	;; [unrolled: 1-line block ×6, first 2 shown]
	v_lshlrev_b16 v35, 8, v35
	v_lshlrev_b16 v36, 8, v36
	;; [unrolled: 1-line block ×4, first 2 shown]
	s_waitcnt lgkmcnt(0)
	v_or_b32_e32 v35, v38, v35
	v_or_b32_e32 v36, v39, v36
	;; [unrolled: 1-line block ×4, first 2 shown]
	s_barrier
	v_and_b32_e32 v34, 0xffff, v35
	v_lshlrev_b32_e32 v35, 16, v36
	v_and_b32_e32 v36, 0xffff, v37
	v_lshlrev_b32_e32 v33, 16, v33
	buffer_gl0_inv
                                        ; implicit-def: $sgpr0
	v_or_b32_e32 v34, v34, v35
	v_or_b32_e32 v33, v36, v33
	s_and_saveexec_b32 s13, s3
	s_cbranch_execz .LBB234_382
; %bb.370:
	s_mov_b32 s0, 0
	s_mov_b32 s3, exec_lo
	v_cmpx_gt_u32_e64 s31, v55
	s_cbranch_execz .LBB234_381
; %bb.371:
	s_and_not1_b32 vcc_lo, exec_lo, s7
	s_cbranch_vccnz .LBB234_380
; %bb.372:
	v_add_nc_u32_e32 v35, -8, v55
	v_mul_lo_u32 v41, v29, s15
	s_mov_b32 s0, -1
	s_mov_b32 s7, exec_lo
	ds_load_b64 v[39:40], v35
	v_mad_u64_u32 v[35:36], null, v29, s14, s[20:21]
	s_waitcnt lgkmcnt(0)
	v_mul_lo_u32 v42, v39, s15
	v_mul_lo_u32 v40, v40, s14
	v_mad_u64_u32 v[37:38], null, v39, s14, s[20:21]
	v_mul_lo_u32 v39, v30, s14
	s_delay_alu instid0(VALU_DEP_2) | instskip(NEXT) | instid1(VALU_DEP_2)
	v_add3_u32 v38, v40, v38, v42
	v_add3_u32 v36, v39, v36, v41
	s_clause 0x1
	global_load_u8 v39, v[37:38], off
	global_load_u8 v40, v[35:36], off
	s_waitcnt vmcnt(0)
	v_cmpx_eq_u16_e64 v39, v40
	s_cbranch_execz .LBB234_379
; %bb.373:
	s_mov_b64 s[0:1], 1
	s_mov_b32 s20, 0
                                        ; implicit-def: $sgpr21
	s_set_inst_prefetch_distance 0x1
	s_branch .LBB234_376
	.p2align	6
.LBB234_374:                            ;   in Loop: Header=BB234_376 Depth=1
	v_add_co_u32 v39, vcc_lo, v37, s0
	v_add_co_ci_u32_e32 v40, vcc_lo, s1, v38, vcc_lo
	v_add_co_u32 v41, vcc_lo, v35, s0
	v_add_co_ci_u32_e32 v42, vcc_lo, s1, v36, vcc_lo
	s_add_u32 s4, s0, 1
	s_clause 0x1
	global_load_u8 v39, v[39:40], off
	global_load_u8 v40, v[41:42], off
	s_addc_u32 s5, s1, 0
	s_and_not1_b32 s21, s21, exec_lo
	s_waitcnt vmcnt(0)
	v_cmp_ne_u16_e32 vcc_lo, v39, v40
	s_and_b32 s24, vcc_lo, exec_lo
	s_delay_alu instid0(SALU_CYCLE_1)
	s_or_b32 s21, s21, s24
.LBB234_375:                            ;   in Loop: Header=BB234_376 Depth=1
	v_dual_mov_b32 v40, s1 :: v_dual_mov_b32 v39, s0
	s_and_b32 s24, exec_lo, s21
	s_mov_b64 s[0:1], s[4:5]
	s_or_b32 s20, s24, s20
	s_delay_alu instid0(SALU_CYCLE_1)
	s_and_not1_b32 exec_lo, exec_lo, s20
	s_cbranch_execz .LBB234_378
.LBB234_376:                            ; =>This Inner Loop Header: Depth=1
	s_or_b32 s21, s21, exec_lo
	s_cmp_eq_u64 s[14:15], s[0:1]
	s_cbranch_scc0 .LBB234_374
; %bb.377:                              ;   in Loop: Header=BB234_376 Depth=1
	s_mov_b64 s[0:1], s[14:15]
                                        ; implicit-def: $sgpr4_sgpr5
	s_branch .LBB234_375
.LBB234_378:
	s_set_inst_prefetch_distance 0x2
	s_or_b32 exec_lo, exec_lo, s20
	v_cmp_gt_i64_e32 vcc_lo, s[14:15], v[39:40]
	s_or_not1_b32 s0, vcc_lo, exec_lo
.LBB234_379:
	s_or_b32 exec_lo, exec_lo, s7
.LBB234_380:
	s_delay_alu instid0(SALU_CYCLE_1)
	s_and_b32 s0, s0, exec_lo
.LBB234_381:
	s_or_b32 exec_lo, exec_lo, s3
	s_delay_alu instid0(SALU_CYCLE_1)
	s_and_b32 s0, s0, exec_lo
	s_or_b32 s6, s6, exec_lo
.LBB234_382:
	s_or_b32 exec_lo, exec_lo, s13
.LBB234_383:
	s_and_saveexec_b32 s1, s6
	s_cbranch_execz .LBB234_385
; %bb.384:
	s_waitcnt vmcnt(0) lgkmcnt(0)
	v_and_b32_e32 v35, 0xffffff00, v33
	v_cndmask_b32_e64 v36, 0, 1, s0
	s_delay_alu instid0(VALU_DEP_1) | instskip(NEXT) | instid1(VALU_DEP_1)
	v_or_b32_e32 v35, v36, v35
	v_and_b32_e32 v35, 0xffff, v35
	s_delay_alu instid0(VALU_DEP_1)
	v_and_or_b32 v33, 0xffff0000, v33, v35
.LBB234_385:
	s_or_b32 exec_lo, exec_lo, s1
	s_delay_alu instid0(SALU_CYCLE_1)
	s_and_not1_b32 vcc_lo, exec_lo, s33
	s_cbranch_vccnz .LBB234_387
; %bb.386:
	v_cmp_gt_u32_e32 vcc_lo, s31, v55
	s_waitcnt vmcnt(0) lgkmcnt(0)
	v_or_b32_e32 v36, 1, v55
	v_and_b32_e32 v37, 0xffffff00, v34
	v_or_b32_e32 v38, 2, v55
	v_cndmask_b32_e32 v35, 0, v33, vcc_lo
	s_delay_alu instid0(VALU_DEP_4) | instskip(SKIP_1) | instid1(VALU_DEP_4)
	v_cmp_gt_u32_e32 vcc_lo, s31, v36
	v_or_b32_e32 v36, 4, v55
	v_cmp_gt_u32_e64 s0, s31, v38
	v_or_b32_e32 v38, 3, v55
	v_and_b32_e32 v35, 0xff, v35
	s_delay_alu instid0(VALU_DEP_2) | instskip(NEXT) | instid1(VALU_DEP_2)
	v_cmp_gt_u32_e64 s1, s31, v38
	v_cndmask_b32_e32 v35, v35, v33, vcc_lo
	v_cmp_gt_u32_e32 vcc_lo, s31, v36
	v_cndmask_b32_e32 v36, v37, v34, vcc_lo
	v_or_b32_e32 v37, 5, v55
	s_delay_alu instid0(VALU_DEP_2) | instskip(SKIP_1) | instid1(VALU_DEP_1)
	v_and_b32_e32 v36, 0xffff00ff, v36
	v_and_b32_e32 v35, 0xffff, v35
	v_cndmask_b32_e64 v35, v35, v33, s0
	s_delay_alu instid0(VALU_DEP_4) | instskip(SKIP_1) | instid1(VALU_DEP_3)
	v_cmp_gt_u32_e64 s0, s31, v37
	v_or_b32_e32 v37, 6, v55
	v_and_b32_e32 v35, 0xffffff, v35
	s_delay_alu instid0(VALU_DEP_3) | instskip(NEXT) | instid1(VALU_DEP_2)
	v_cndmask_b32_e64 v36, v36, v34, s0
	v_cndmask_b32_e64 v35, v35, v33, s1
	s_delay_alu instid0(VALU_DEP_1) | instskip(SKIP_2) | instid1(VALU_DEP_3)
	v_dual_cndmask_b32 v35, v35, v33 :: v_dual_and_b32 v36, 0xff00ffff, v36
	v_cmp_gt_u32_e32 vcc_lo, s31, v37
	v_or_b32_e32 v37, 7, v55
	v_cndmask_b32_e64 v35, v35, v33, s0
	s_delay_alu instid0(VALU_DEP_1) | instskip(NEXT) | instid1(VALU_DEP_1)
	v_dual_cndmask_b32 v36, v36, v34 :: v_dual_cndmask_b32 v35, v35, v33
	v_and_b32_e32 v36, 0xffffff, v36
	s_delay_alu instid0(VALU_DEP_4) | instskip(NEXT) | instid1(VALU_DEP_2)
	v_cmp_gt_u32_e32 vcc_lo, s31, v37
	v_dual_cndmask_b32 v34, v36, v34 :: v_dual_cndmask_b32 v33, v35, v33
.LBB234_387:
	s_delay_alu instid0(VALU_DEP_1) | instskip(SKIP_1) | instid1(VALU_DEP_2)
	v_and_b32_e32 v42, 0xff, v33
	s_waitcnt vmcnt(0) lgkmcnt(0)
	v_alignbit_b32 v35, v34, v33, 24
	v_bfe_u32 v44, v33, 8, 8
	v_bfe_u32 v46, v33, 16, 8
	v_and_b32_e32 v50, 0xff, v34
	v_bfe_u32 v52, v34, 8, 8
	v_and_b32_e32 v48, 0xff, v35
	v_add_nc_u32_e32 v35, v44, v42
	v_mbcnt_lo_u32_b32 v57, -1, 0
	v_bfe_u32 v54, v34, 16, 8
	v_lshrrev_b32_e32 v56, 24, v34
	v_lshrrev_b32_e32 v58, 5, v0
	v_add3_u32 v35, v35, v46, v48
	v_and_b32_e32 v36, 15, v57
	v_and_b32_e32 v37, 16, v57
	s_and_b32 vcc_lo, exec_lo, s12
	s_mov_b32 s7, -1
	v_add3_u32 v35, v35, v50, v52
	v_cmp_eq_u32_e64 s3, 0, v36
	v_cmp_lt_u32_e64 s0, 1, v36
	v_cmp_lt_u32_e64 s4, 3, v36
	;; [unrolled: 1-line block ×3, first 2 shown]
	v_add3_u32 v59, v35, v54, v56
	v_or_b32_e32 v35, 31, v0
	v_cmp_eq_u32_e64 s6, 0, v37
	s_barrier
	buffer_gl0_inv
	v_cmp_eq_u32_e64 s5, v35, v0
	s_cbranch_vccz .LBB234_413
; %bb.388:
	v_mov_b32_dpp v35, v59 row_shr:1 row_mask:0xf bank_mask:0xf
	s_delay_alu instid0(VALU_DEP_1) | instskip(NEXT) | instid1(VALU_DEP_1)
	v_cndmask_b32_e64 v35, v35, 0, s3
	v_add_nc_u32_e32 v35, v35, v59
	s_delay_alu instid0(VALU_DEP_1) | instskip(NEXT) | instid1(VALU_DEP_1)
	v_mov_b32_dpp v36, v35 row_shr:2 row_mask:0xf bank_mask:0xf
	v_cndmask_b32_e64 v36, 0, v36, s0
	s_delay_alu instid0(VALU_DEP_1) | instskip(NEXT) | instid1(VALU_DEP_1)
	v_add_nc_u32_e32 v35, v35, v36
	v_mov_b32_dpp v36, v35 row_shr:4 row_mask:0xf bank_mask:0xf
	s_delay_alu instid0(VALU_DEP_1) | instskip(NEXT) | instid1(VALU_DEP_1)
	v_cndmask_b32_e64 v36, 0, v36, s4
	v_add_nc_u32_e32 v35, v35, v36
	s_delay_alu instid0(VALU_DEP_1) | instskip(NEXT) | instid1(VALU_DEP_1)
	v_mov_b32_dpp v36, v35 row_shr:8 row_mask:0xf bank_mask:0xf
	v_cndmask_b32_e64 v36, 0, v36, s1
	s_delay_alu instid0(VALU_DEP_1) | instskip(SKIP_3) | instid1(VALU_DEP_1)
	v_add_nc_u32_e32 v35, v35, v36
	ds_swizzle_b32 v36, v35 offset:swizzle(BROADCAST,32,15)
	s_waitcnt lgkmcnt(0)
	v_cndmask_b32_e64 v36, v36, 0, s6
	v_add_nc_u32_e32 v35, v35, v36
	s_and_saveexec_b32 s7, s5
	s_cbranch_execz .LBB234_390
; %bb.389:
	v_lshlrev_b32_e32 v36, 2, v58
	ds_store_b32 v36, v35
.LBB234_390:
	s_or_b32 exec_lo, exec_lo, s7
	s_delay_alu instid0(SALU_CYCLE_1)
	s_mov_b32 s7, exec_lo
	s_waitcnt lgkmcnt(0)
	s_barrier
	buffer_gl0_inv
	v_cmpx_gt_u32_e32 16, v0
	s_cbranch_execz .LBB234_392
; %bb.391:
	v_lshlrev_b32_e32 v36, 2, v0
	ds_load_b32 v37, v36
	s_waitcnt lgkmcnt(0)
	v_mov_b32_dpp v38, v37 row_shr:1 row_mask:0xf bank_mask:0xf
	s_delay_alu instid0(VALU_DEP_1) | instskip(NEXT) | instid1(VALU_DEP_1)
	v_cndmask_b32_e64 v38, v38, 0, s3
	v_add_nc_u32_e32 v37, v38, v37
	s_delay_alu instid0(VALU_DEP_1) | instskip(NEXT) | instid1(VALU_DEP_1)
	v_mov_b32_dpp v38, v37 row_shr:2 row_mask:0xf bank_mask:0xf
	v_cndmask_b32_e64 v38, 0, v38, s0
	s_delay_alu instid0(VALU_DEP_1) | instskip(NEXT) | instid1(VALU_DEP_1)
	v_add_nc_u32_e32 v37, v37, v38
	v_mov_b32_dpp v38, v37 row_shr:4 row_mask:0xf bank_mask:0xf
	s_delay_alu instid0(VALU_DEP_1) | instskip(NEXT) | instid1(VALU_DEP_1)
	v_cndmask_b32_e64 v38, 0, v38, s4
	v_add_nc_u32_e32 v37, v37, v38
	s_delay_alu instid0(VALU_DEP_1) | instskip(NEXT) | instid1(VALU_DEP_1)
	v_mov_b32_dpp v38, v37 row_shr:8 row_mask:0xf bank_mask:0xf
	v_cndmask_b32_e64 v38, 0, v38, s1
	s_delay_alu instid0(VALU_DEP_1)
	v_add_nc_u32_e32 v37, v37, v38
	ds_store_b32 v36, v37
.LBB234_392:
	s_or_b32 exec_lo, exec_lo, s7
	v_cmp_gt_u32_e32 vcc_lo, 32, v0
	s_mov_b32 s12, exec_lo
	s_waitcnt lgkmcnt(0)
	s_barrier
	buffer_gl0_inv
                                        ; implicit-def: $vgpr43
	v_cmpx_lt_u32_e32 31, v0
	s_cbranch_execz .LBB234_394
; %bb.393:
	v_lshl_add_u32 v36, v58, 2, -4
	ds_load_b32 v43, v36
	s_waitcnt lgkmcnt(0)
	v_add_nc_u32_e32 v35, v43, v35
.LBB234_394:
	s_or_b32 exec_lo, exec_lo, s12
	v_add_nc_u32_e32 v36, -1, v57
	s_delay_alu instid0(VALU_DEP_1) | instskip(NEXT) | instid1(VALU_DEP_1)
	v_cmp_gt_i32_e64 s7, 0, v36
	v_cndmask_b32_e64 v36, v36, v57, s7
	v_cmp_eq_u32_e64 s7, 0, v57
	s_delay_alu instid0(VALU_DEP_2)
	v_lshlrev_b32_e32 v36, 2, v36
	ds_bpermute_b32 v45, v36, v35
	s_and_saveexec_b32 s12, vcc_lo
	s_cbranch_execz .LBB234_412
; %bb.395:
	v_mov_b32_e32 v38, 0
	ds_load_b32 v35, v38 offset:60
	s_and_saveexec_b32 s13, s7
	s_cbranch_execz .LBB234_397
; %bb.396:
	s_add_i32 s14, s30, 32
	s_mov_b32 s15, 0
	v_mov_b32_e32 v36, 1
	s_lshl_b64 s[14:15], s[14:15], 3
	s_delay_alu instid0(SALU_CYCLE_1)
	s_add_u32 s14, s22, s14
	s_addc_u32 s15, s23, s15
	s_waitcnt lgkmcnt(0)
	global_store_b64 v38, v[35:36], s[14:15]
.LBB234_397:
	s_or_b32 exec_lo, exec_lo, s13
	v_xad_u32 v36, v57, -1, s30
	s_mov_b32 s14, 0
	s_mov_b32 s13, exec_lo
	s_delay_alu instid0(VALU_DEP_1) | instskip(NEXT) | instid1(VALU_DEP_1)
	v_add_nc_u32_e32 v37, 32, v36
	v_lshlrev_b64 v[37:38], 3, v[37:38]
	s_delay_alu instid0(VALU_DEP_1) | instskip(NEXT) | instid1(VALU_DEP_2)
	v_add_co_u32 v40, vcc_lo, s22, v37
	v_add_co_ci_u32_e32 v41, vcc_lo, s23, v38, vcc_lo
	global_load_b64 v[38:39], v[40:41], off glc
	s_waitcnt vmcnt(0)
	v_and_b32_e32 v37, 0xff, v39
	s_delay_alu instid0(VALU_DEP_1)
	v_cmpx_eq_u16_e32 0, v37
	s_cbranch_execz .LBB234_400
.LBB234_398:                            ; =>This Inner Loop Header: Depth=1
	global_load_b64 v[38:39], v[40:41], off glc
	s_waitcnt vmcnt(0)
	v_and_b32_e32 v37, 0xff, v39
	s_delay_alu instid0(VALU_DEP_1) | instskip(SKIP_1) | instid1(SALU_CYCLE_1)
	v_cmp_ne_u16_e32 vcc_lo, 0, v37
	s_or_b32 s14, vcc_lo, s14
	s_and_not1_b32 exec_lo, exec_lo, s14
	s_cbranch_execnz .LBB234_398
; %bb.399:
	s_or_b32 exec_lo, exec_lo, s14
.LBB234_400:
	s_delay_alu instid0(SALU_CYCLE_1)
	s_or_b32 exec_lo, exec_lo, s13
	v_cmp_ne_u32_e32 vcc_lo, 31, v57
	v_lshlrev_b32_e64 v49, v57, -1
	v_add_nc_u32_e32 v53, 2, v57
	v_add_nc_u32_e32 v61, 4, v57
	;; [unrolled: 1-line block ×3, first 2 shown]
	v_add_co_ci_u32_e32 v37, vcc_lo, 0, v57, vcc_lo
	v_add_nc_u32_e32 v66, 16, v57
	s_delay_alu instid0(VALU_DEP_2)
	v_lshlrev_b32_e32 v47, 2, v37
	v_and_b32_e32 v37, 0xff, v39
	ds_bpermute_b32 v40, v47, v38
	v_cmp_eq_u16_e32 vcc_lo, 2, v37
	v_and_or_b32 v37, vcc_lo, v49, 0x80000000
	v_cmp_gt_u32_e32 vcc_lo, 30, v57
	s_delay_alu instid0(VALU_DEP_2) | instskip(SKIP_1) | instid1(VALU_DEP_2)
	v_ctz_i32_b32_e32 v37, v37
	v_cndmask_b32_e64 v41, 0, 1, vcc_lo
	v_cmp_lt_u32_e32 vcc_lo, v57, v37
	s_waitcnt lgkmcnt(0)
	s_delay_alu instid0(VALU_DEP_2) | instskip(NEXT) | instid1(VALU_DEP_1)
	v_dual_cndmask_b32 v40, 0, v40 :: v_dual_lshlrev_b32 v41, 1, v41
	v_add_lshl_u32 v51, v41, v57, 2
	v_cmp_gt_u32_e32 vcc_lo, 28, v57
	s_delay_alu instid0(VALU_DEP_3) | instskip(SKIP_4) | instid1(VALU_DEP_1)
	v_add_nc_u32_e32 v38, v40, v38
	v_cndmask_b32_e64 v41, 0, 1, vcc_lo
	v_cmp_le_u32_e32 vcc_lo, v53, v37
	ds_bpermute_b32 v40, v51, v38
	v_lshlrev_b32_e32 v41, 2, v41
	v_add_lshl_u32 v60, v41, v57, 2
	s_waitcnt lgkmcnt(0)
	v_cndmask_b32_e32 v40, 0, v40, vcc_lo
	v_cmp_gt_u32_e32 vcc_lo, 24, v57
	s_delay_alu instid0(VALU_DEP_2) | instskip(SKIP_4) | instid1(VALU_DEP_1)
	v_add_nc_u32_e32 v38, v38, v40
	v_cndmask_b32_e64 v41, 0, 1, vcc_lo
	v_cmp_le_u32_e32 vcc_lo, v61, v37
	ds_bpermute_b32 v40, v60, v38
	v_lshlrev_b32_e32 v41, 3, v41
	v_add_lshl_u32 v63, v41, v57, 2
	s_waitcnt lgkmcnt(0)
	v_cndmask_b32_e32 v40, 0, v40, vcc_lo
	v_cmp_gt_u32_e32 vcc_lo, 16, v57
	s_delay_alu instid0(VALU_DEP_2) | instskip(SKIP_4) | instid1(VALU_DEP_1)
	v_add_nc_u32_e32 v38, v38, v40
	v_cndmask_b32_e64 v41, 0, 1, vcc_lo
	v_cmp_le_u32_e32 vcc_lo, v64, v37
	ds_bpermute_b32 v40, v63, v38
	v_lshlrev_b32_e32 v41, 4, v41
	v_add_lshl_u32 v65, v41, v57, 2
	s_waitcnt lgkmcnt(0)
	v_cndmask_b32_e32 v40, 0, v40, vcc_lo
	v_cmp_le_u32_e32 vcc_lo, v66, v37
	s_delay_alu instid0(VALU_DEP_2) | instskip(SKIP_3) | instid1(VALU_DEP_1)
	v_add_nc_u32_e32 v38, v38, v40
	ds_bpermute_b32 v40, v65, v38
	s_waitcnt lgkmcnt(0)
	v_cndmask_b32_e32 v37, 0, v40, vcc_lo
	v_dual_mov_b32 v37, 0 :: v_dual_add_nc_u32 v38, v38, v37
	s_branch .LBB234_402
.LBB234_401:                            ;   in Loop: Header=BB234_402 Depth=1
	s_or_b32 exec_lo, exec_lo, s13
	ds_bpermute_b32 v41, v47, v38
	v_and_b32_e32 v40, 0xff, v39
	v_subrev_nc_u32_e32 v36, 32, v36
	s_delay_alu instid0(VALU_DEP_2) | instskip(SKIP_1) | instid1(VALU_DEP_1)
	v_cmp_eq_u16_e32 vcc_lo, 2, v40
	v_and_or_b32 v40, vcc_lo, v49, 0x80000000
	v_ctz_i32_b32_e32 v40, v40
	s_delay_alu instid0(VALU_DEP_1) | instskip(SKIP_3) | instid1(VALU_DEP_2)
	v_cmp_lt_u32_e32 vcc_lo, v57, v40
	s_waitcnt lgkmcnt(0)
	v_cndmask_b32_e32 v41, 0, v41, vcc_lo
	v_cmp_le_u32_e32 vcc_lo, v53, v40
	v_add_nc_u32_e32 v38, v41, v38
	ds_bpermute_b32 v41, v51, v38
	s_waitcnt lgkmcnt(0)
	v_cndmask_b32_e32 v41, 0, v41, vcc_lo
	v_cmp_le_u32_e32 vcc_lo, v61, v40
	s_delay_alu instid0(VALU_DEP_2) | instskip(SKIP_4) | instid1(VALU_DEP_2)
	v_add_nc_u32_e32 v38, v38, v41
	ds_bpermute_b32 v41, v60, v38
	s_waitcnt lgkmcnt(0)
	v_cndmask_b32_e32 v41, 0, v41, vcc_lo
	v_cmp_le_u32_e32 vcc_lo, v64, v40
	v_add_nc_u32_e32 v38, v38, v41
	ds_bpermute_b32 v41, v63, v38
	s_waitcnt lgkmcnt(0)
	v_cndmask_b32_e32 v41, 0, v41, vcc_lo
	v_cmp_le_u32_e32 vcc_lo, v66, v40
	s_delay_alu instid0(VALU_DEP_2) | instskip(SKIP_3) | instid1(VALU_DEP_1)
	v_add_nc_u32_e32 v38, v38, v41
	ds_bpermute_b32 v41, v65, v38
	s_waitcnt lgkmcnt(0)
	v_cndmask_b32_e32 v40, 0, v41, vcc_lo
	v_add3_u32 v38, v40, v62, v38
.LBB234_402:                            ; =>This Loop Header: Depth=1
                                        ;     Child Loop BB234_405 Depth 2
	s_delay_alu instid0(VALU_DEP_1) | instskip(NEXT) | instid1(VALU_DEP_1)
	v_dual_mov_b32 v62, v38 :: v_dual_and_b32 v39, 0xff, v39
	v_cmp_ne_u16_e32 vcc_lo, 2, v39
	v_cndmask_b32_e64 v39, 0, 1, vcc_lo
	;;#ASMSTART
	;;#ASMEND
	s_delay_alu instid0(VALU_DEP_1)
	v_cmp_ne_u32_e32 vcc_lo, 0, v39
	s_cmp_lg_u32 vcc_lo, exec_lo
	s_cbranch_scc1 .LBB234_407
; %bb.403:                              ;   in Loop: Header=BB234_402 Depth=1
	v_lshlrev_b64 v[38:39], 3, v[36:37]
	s_mov_b32 s13, exec_lo
	s_delay_alu instid0(VALU_DEP_1) | instskip(NEXT) | instid1(VALU_DEP_2)
	v_add_co_u32 v40, vcc_lo, s22, v38
	v_add_co_ci_u32_e32 v41, vcc_lo, s23, v39, vcc_lo
	global_load_b64 v[38:39], v[40:41], off glc
	s_waitcnt vmcnt(0)
	v_and_b32_e32 v67, 0xff, v39
	s_delay_alu instid0(VALU_DEP_1)
	v_cmpx_eq_u16_e32 0, v67
	s_cbranch_execz .LBB234_401
; %bb.404:                              ;   in Loop: Header=BB234_402 Depth=1
	s_mov_b32 s14, 0
.LBB234_405:                            ;   Parent Loop BB234_402 Depth=1
                                        ; =>  This Inner Loop Header: Depth=2
	global_load_b64 v[38:39], v[40:41], off glc
	s_waitcnt vmcnt(0)
	v_and_b32_e32 v67, 0xff, v39
	s_delay_alu instid0(VALU_DEP_1) | instskip(SKIP_1) | instid1(SALU_CYCLE_1)
	v_cmp_ne_u16_e32 vcc_lo, 0, v67
	s_or_b32 s14, vcc_lo, s14
	s_and_not1_b32 exec_lo, exec_lo, s14
	s_cbranch_execnz .LBB234_405
; %bb.406:                              ;   in Loop: Header=BB234_402 Depth=1
	s_or_b32 exec_lo, exec_lo, s14
	s_branch .LBB234_401
.LBB234_407:                            ;   in Loop: Header=BB234_402 Depth=1
                                        ; implicit-def: $vgpr38
                                        ; implicit-def: $vgpr39
	s_cbranch_execz .LBB234_402
; %bb.408:
	s_and_saveexec_b32 s13, s7
	s_cbranch_execz .LBB234_410
; %bb.409:
	s_add_i32 s14, s30, 32
	s_mov_b32 s15, 0
	v_dual_mov_b32 v37, 2 :: v_dual_add_nc_u32 v36, v62, v35
	s_lshl_b64 s[14:15], s[14:15], 3
	v_mov_b32_e32 v38, 0
	v_add_nc_u32_e64 v39, 0x8400, 0
	s_add_u32 s14, s22, s14
	s_addc_u32 s15, s23, s15
	global_store_b64 v38, v[36:37], s[14:15]
	ds_store_2addr_b32 v39, v35, v62 offset1:2
.LBB234_410:
	s_or_b32 exec_lo, exec_lo, s13
	s_delay_alu instid0(SALU_CYCLE_1)
	s_and_b32 exec_lo, exec_lo, s2
	s_cbranch_execz .LBB234_412
; %bb.411:
	v_mov_b32_e32 v35, 0
	ds_store_b32 v35, v62 offset:60
.LBB234_412:
	s_or_b32 exec_lo, exec_lo, s12
	v_mov_b32_e32 v35, 0
	s_waitcnt lgkmcnt(0)
	s_waitcnt_vscnt null, 0x0
	s_barrier
	buffer_gl0_inv
	v_cndmask_b32_e64 v36, v45, v43, s7
	ds_load_b32 v35, v35 offset:60
	s_waitcnt lgkmcnt(0)
	s_barrier
	buffer_gl0_inv
	v_cndmask_b32_e64 v36, v36, 0, s2
	s_delay_alu instid0(VALU_DEP_1) | instskip(SKIP_1) | instid1(VALU_DEP_2)
	v_add_nc_u32_e32 v53, v35, v36
	v_add_nc_u32_e64 v35, 0x8400, 0
	v_add_nc_u32_e32 v51, v53, v42
	ds_load_2addr_b32 v[35:36], v35 offset1:2
	v_add_nc_u32_e32 v49, v51, v44
	s_delay_alu instid0(VALU_DEP_1) | instskip(NEXT) | instid1(VALU_DEP_1)
	v_add_nc_u32_e32 v47, v49, v46
	v_add_nc_u32_e32 v45, v47, v48
	s_delay_alu instid0(VALU_DEP_1) | instskip(SKIP_2) | instid1(VALU_DEP_2)
	v_add_nc_u32_e32 v43, v45, v50
	s_waitcnt lgkmcnt(0)
	v_readfirstlane_b32 s12, v36
	v_add_nc_u32_e32 v41, v43, v52
	s_delay_alu instid0(VALU_DEP_1)
	v_add_nc_u32_e32 v39, v41, v54
	v_lshrrev_b64 v[37:38], 24, v[33:34]
	s_branch .LBB234_423
.LBB234_413:
                                        ; implicit-def: $vgpr39
                                        ; implicit-def: $vgpr41
                                        ; implicit-def: $vgpr43
                                        ; implicit-def: $vgpr45
                                        ; implicit-def: $vgpr47
                                        ; implicit-def: $vgpr49
                                        ; implicit-def: $vgpr51
                                        ; implicit-def: $vgpr53
                                        ; implicit-def: $sgpr12
                                        ; implicit-def: $vgpr35
	v_lshrrev_b64 v[37:38], 24, v[33:34]
	s_and_b32 vcc_lo, exec_lo, s7
	s_cbranch_vccz .LBB234_423
; %bb.414:
	v_mov_b32_dpp v35, v59 row_shr:1 row_mask:0xf bank_mask:0xf
	s_delay_alu instid0(VALU_DEP_1) | instskip(NEXT) | instid1(VALU_DEP_1)
	v_cndmask_b32_e64 v35, v35, 0, s3
	v_add_nc_u32_e32 v35, v35, v59
	s_delay_alu instid0(VALU_DEP_1) | instskip(NEXT) | instid1(VALU_DEP_1)
	v_mov_b32_dpp v36, v35 row_shr:2 row_mask:0xf bank_mask:0xf
	v_cndmask_b32_e64 v36, 0, v36, s0
	s_delay_alu instid0(VALU_DEP_1) | instskip(NEXT) | instid1(VALU_DEP_1)
	v_add_nc_u32_e32 v35, v35, v36
	v_mov_b32_dpp v36, v35 row_shr:4 row_mask:0xf bank_mask:0xf
	s_delay_alu instid0(VALU_DEP_1) | instskip(NEXT) | instid1(VALU_DEP_1)
	v_cndmask_b32_e64 v36, 0, v36, s4
	v_add_nc_u32_e32 v35, v35, v36
	s_delay_alu instid0(VALU_DEP_1) | instskip(NEXT) | instid1(VALU_DEP_1)
	v_mov_b32_dpp v36, v35 row_shr:8 row_mask:0xf bank_mask:0xf
	v_cndmask_b32_e64 v36, 0, v36, s1
	s_delay_alu instid0(VALU_DEP_1) | instskip(SKIP_3) | instid1(VALU_DEP_1)
	v_add_nc_u32_e32 v35, v35, v36
	ds_swizzle_b32 v36, v35 offset:swizzle(BROADCAST,32,15)
	s_waitcnt lgkmcnt(0)
	v_cndmask_b32_e64 v36, v36, 0, s6
	v_add_nc_u32_e32 v35, v35, v36
	s_and_saveexec_b32 s6, s5
	s_cbranch_execz .LBB234_416
; %bb.415:
	v_lshlrev_b32_e32 v36, 2, v58
	ds_store_b32 v36, v35
.LBB234_416:
	s_or_b32 exec_lo, exec_lo, s6
	s_delay_alu instid0(SALU_CYCLE_1)
	s_mov_b32 s5, exec_lo
	s_waitcnt lgkmcnt(0)
	s_barrier
	buffer_gl0_inv
	v_cmpx_gt_u32_e32 16, v0
	s_cbranch_execz .LBB234_418
; %bb.417:
	v_lshlrev_b32_e32 v36, 2, v0
	ds_load_b32 v38, v36
	s_waitcnt lgkmcnt(0)
	v_mov_b32_dpp v39, v38 row_shr:1 row_mask:0xf bank_mask:0xf
	s_delay_alu instid0(VALU_DEP_1) | instskip(NEXT) | instid1(VALU_DEP_1)
	v_cndmask_b32_e64 v39, v39, 0, s3
	v_add_nc_u32_e32 v38, v39, v38
	s_delay_alu instid0(VALU_DEP_1) | instskip(NEXT) | instid1(VALU_DEP_1)
	v_mov_b32_dpp v39, v38 row_shr:2 row_mask:0xf bank_mask:0xf
	v_cndmask_b32_e64 v39, 0, v39, s0
	s_delay_alu instid0(VALU_DEP_1) | instskip(NEXT) | instid1(VALU_DEP_1)
	v_add_nc_u32_e32 v38, v38, v39
	v_mov_b32_dpp v39, v38 row_shr:4 row_mask:0xf bank_mask:0xf
	s_delay_alu instid0(VALU_DEP_1) | instskip(NEXT) | instid1(VALU_DEP_1)
	v_cndmask_b32_e64 v39, 0, v39, s4
	v_add_nc_u32_e32 v38, v38, v39
	s_delay_alu instid0(VALU_DEP_1) | instskip(NEXT) | instid1(VALU_DEP_1)
	v_mov_b32_dpp v39, v38 row_shr:8 row_mask:0xf bank_mask:0xf
	v_cndmask_b32_e64 v39, 0, v39, s1
	s_delay_alu instid0(VALU_DEP_1)
	v_add_nc_u32_e32 v38, v38, v39
	ds_store_b32 v36, v38
.LBB234_418:
	s_or_b32 exec_lo, exec_lo, s5
	v_mov_b32_e32 v36, 0
	v_mov_b32_e32 v38, 0
	s_mov_b32 s0, exec_lo
	s_waitcnt lgkmcnt(0)
	s_barrier
	buffer_gl0_inv
	v_cmpx_lt_u32_e32 31, v0
	s_cbranch_execz .LBB234_420
; %bb.419:
	v_lshl_add_u32 v38, v58, 2, -4
	ds_load_b32 v38, v38
.LBB234_420:
	s_or_b32 exec_lo, exec_lo, s0
	v_add_nc_u32_e32 v39, -1, v57
	s_waitcnt lgkmcnt(0)
	v_add_nc_u32_e32 v35, v38, v35
	s_mov_b32 s12, 0
	s_delay_alu instid0(VALU_DEP_2) | instskip(SKIP_1) | instid1(VALU_DEP_1)
	v_cmp_gt_i32_e32 vcc_lo, 0, v39
	v_cndmask_b32_e32 v39, v39, v57, vcc_lo
	v_lshlrev_b32_e32 v39, 2, v39
	ds_bpermute_b32 v39, v39, v35
	ds_load_b32 v35, v36 offset:60
	s_and_saveexec_b32 s0, s2
	s_cbranch_execz .LBB234_422
; %bb.421:
	v_mov_b32_e32 v40, 0
	v_mov_b32_e32 v36, 2
	s_waitcnt lgkmcnt(0)
	global_store_b64 v40, v[35:36], s[22:23] offset:256
.LBB234_422:
	s_or_b32 exec_lo, exec_lo, s0
	v_cmp_eq_u32_e32 vcc_lo, 0, v57
	s_waitcnt lgkmcnt(0)
	s_waitcnt_vscnt null, 0x0
	s_barrier
	buffer_gl0_inv
	v_cndmask_b32_e32 v36, v39, v38, vcc_lo
	s_delay_alu instid0(VALU_DEP_1) | instskip(NEXT) | instid1(VALU_DEP_1)
	v_cndmask_b32_e64 v53, v36, 0, s2
	v_add_nc_u32_e32 v51, v53, v42
	s_delay_alu instid0(VALU_DEP_1) | instskip(NEXT) | instid1(VALU_DEP_1)
	v_add_nc_u32_e32 v49, v51, v44
	v_add_nc_u32_e32 v47, v49, v46
	s_delay_alu instid0(VALU_DEP_1) | instskip(NEXT) | instid1(VALU_DEP_1)
	v_add_nc_u32_e32 v45, v47, v48
	;; [unrolled: 3-line block ×3, first 2 shown]
	v_add_nc_u32_e32 v39, v41, v54
.LBB234_423:
	v_add_nc_u32_e32 v59, s12, v35
	v_cmp_gt_u32_e64 s0, 0x201, v35
	v_lshrrev_b32_e32 v58, 8, v33
	v_lshrrev_b32_e32 v57, 16, v33
	;; [unrolled: 1-line block ×4, first 2 shown]
	v_cmp_lt_u32_e64 s1, v53, v59
	s_and_b32 vcc_lo, exec_lo, s0
	s_mov_b32 s3, -1
	s_cbranch_vccz .LBB234_449
; %bb.424:
	s_delay_alu instid0(VALU_DEP_1) | instskip(NEXT) | instid1(SALU_CYCLE_1)
	s_or_b32 s3, s29, s1
	s_and_saveexec_b32 s1, s3
	s_cbranch_execz .LBB234_427
; %bb.425:
	v_and_b32_e32 v40, 1, v33
	s_delay_alu instid0(VALU_DEP_1)
	v_cmp_eq_u32_e32 vcc_lo, 1, v40
	s_and_b32 exec_lo, exec_lo, vcc_lo
	s_cbranch_execz .LBB234_427
; %bb.426:
	v_mov_b32_e32 v54, 0
	s_lshl_b64 s[4:5], s[10:11], 3
	s_delay_alu instid0(SALU_CYCLE_1) | instskip(SKIP_1) | instid1(VALU_DEP_1)
	s_add_u32 s3, s16, s4
	s_addc_u32 s4, s17, s5
	v_lshlrev_b64 v[60:61], 3, v[53:54]
	s_delay_alu instid0(VALU_DEP_1) | instskip(NEXT) | instid1(VALU_DEP_2)
	v_add_co_u32 v60, vcc_lo, s3, v60
	v_add_co_ci_u32_e32 v61, vcc_lo, s4, v61, vcc_lo
	global_store_b64 v[60:61], v[29:30], off
.LBB234_427:
	s_or_b32 exec_lo, exec_lo, s1
	v_cmp_lt_u32_e32 vcc_lo, v51, v59
	s_or_b32 s3, s29, vcc_lo
	s_delay_alu instid0(SALU_CYCLE_1)
	s_and_saveexec_b32 s1, s3
	s_cbranch_execz .LBB234_430
; %bb.428:
	v_and_b32_e32 v40, 1, v58
	s_delay_alu instid0(VALU_DEP_1)
	v_cmp_eq_u32_e32 vcc_lo, 1, v40
	s_and_b32 exec_lo, exec_lo, vcc_lo
	s_cbranch_execz .LBB234_430
; %bb.429:
	v_mov_b32_e32 v52, 0
	s_lshl_b64 s[4:5], s[10:11], 3
	s_delay_alu instid0(SALU_CYCLE_1) | instskip(SKIP_1) | instid1(VALU_DEP_1)
	s_add_u32 s3, s16, s4
	s_addc_u32 s4, s17, s5
	v_lshlrev_b64 v[60:61], 3, v[51:52]
	s_delay_alu instid0(VALU_DEP_1) | instskip(NEXT) | instid1(VALU_DEP_2)
	v_add_co_u32 v60, vcc_lo, s3, v60
	v_add_co_ci_u32_e32 v61, vcc_lo, s4, v61, vcc_lo
	global_store_b64 v[60:61], v[31:32], off
.LBB234_430:
	s_or_b32 exec_lo, exec_lo, s1
	v_cmp_lt_u32_e32 vcc_lo, v49, v59
	s_or_b32 s3, s29, vcc_lo
	s_delay_alu instid0(SALU_CYCLE_1)
	s_and_saveexec_b32 s1, s3
	s_cbranch_execz .LBB234_433
; %bb.431:
	v_and_b32_e32 v40, 1, v57
	s_delay_alu instid0(VALU_DEP_1)
	v_cmp_eq_u32_e32 vcc_lo, 1, v40
	s_and_b32 exec_lo, exec_lo, vcc_lo
	s_cbranch_execz .LBB234_433
; %bb.432:
	v_mov_b32_e32 v50, 0
	s_lshl_b64 s[4:5], s[10:11], 3
	s_delay_alu instid0(SALU_CYCLE_1) | instskip(SKIP_1) | instid1(VALU_DEP_1)
	s_add_u32 s3, s16, s4
	s_addc_u32 s4, s17, s5
	v_lshlrev_b64 v[60:61], 3, v[49:50]
	s_delay_alu instid0(VALU_DEP_1) | instskip(NEXT) | instid1(VALU_DEP_2)
	v_add_co_u32 v60, vcc_lo, s3, v60
	v_add_co_ci_u32_e32 v61, vcc_lo, s4, v61, vcc_lo
	global_store_b64 v[60:61], v[25:26], off
.LBB234_433:
	s_or_b32 exec_lo, exec_lo, s1
	v_cmp_lt_u32_e32 vcc_lo, v47, v59
	s_or_b32 s3, s29, vcc_lo
	s_delay_alu instid0(SALU_CYCLE_1)
	s_and_saveexec_b32 s1, s3
	s_cbranch_execz .LBB234_436
; %bb.434:
	v_and_b32_e32 v40, 1, v37
	s_delay_alu instid0(VALU_DEP_1)
	v_cmp_eq_u32_e32 vcc_lo, 1, v40
	s_and_b32 exec_lo, exec_lo, vcc_lo
	s_cbranch_execz .LBB234_436
; %bb.435:
	v_mov_b32_e32 v48, 0
	s_lshl_b64 s[4:5], s[10:11], 3
	s_delay_alu instid0(SALU_CYCLE_1) | instskip(SKIP_1) | instid1(VALU_DEP_1)
	s_add_u32 s3, s16, s4
	s_addc_u32 s4, s17, s5
	v_lshlrev_b64 v[60:61], 3, v[47:48]
	s_delay_alu instid0(VALU_DEP_1) | instskip(NEXT) | instid1(VALU_DEP_2)
	v_add_co_u32 v60, vcc_lo, s3, v60
	v_add_co_ci_u32_e32 v61, vcc_lo, s4, v61, vcc_lo
	global_store_b64 v[60:61], v[27:28], off
.LBB234_436:
	s_or_b32 exec_lo, exec_lo, s1
	v_cmp_lt_u32_e32 vcc_lo, v45, v59
	s_or_b32 s3, s29, vcc_lo
	s_delay_alu instid0(SALU_CYCLE_1)
	s_and_saveexec_b32 s1, s3
	s_cbranch_execz .LBB234_439
; %bb.437:
	v_and_b32_e32 v40, 1, v34
	s_delay_alu instid0(VALU_DEP_1)
	v_cmp_eq_u32_e32 vcc_lo, 1, v40
	s_and_b32 exec_lo, exec_lo, vcc_lo
	s_cbranch_execz .LBB234_439
; %bb.438:
	v_mov_b32_e32 v46, 0
	s_lshl_b64 s[4:5], s[10:11], 3
	s_delay_alu instid0(SALU_CYCLE_1) | instskip(SKIP_1) | instid1(VALU_DEP_1)
	s_add_u32 s3, s16, s4
	s_addc_u32 s4, s17, s5
	v_lshlrev_b64 v[60:61], 3, v[45:46]
	s_delay_alu instid0(VALU_DEP_1) | instskip(NEXT) | instid1(VALU_DEP_2)
	v_add_co_u32 v60, vcc_lo, s3, v60
	v_add_co_ci_u32_e32 v61, vcc_lo, s4, v61, vcc_lo
	global_store_b64 v[60:61], v[21:22], off
.LBB234_439:
	s_or_b32 exec_lo, exec_lo, s1
	v_cmp_lt_u32_e32 vcc_lo, v43, v59
	s_or_b32 s3, s29, vcc_lo
	s_delay_alu instid0(SALU_CYCLE_1)
	s_and_saveexec_b32 s1, s3
	s_cbranch_execz .LBB234_442
; %bb.440:
	v_and_b32_e32 v40, 1, v38
	s_delay_alu instid0(VALU_DEP_1)
	v_cmp_eq_u32_e32 vcc_lo, 1, v40
	s_and_b32 exec_lo, exec_lo, vcc_lo
	s_cbranch_execz .LBB234_442
; %bb.441:
	v_mov_b32_e32 v44, 0
	s_lshl_b64 s[4:5], s[10:11], 3
	s_delay_alu instid0(SALU_CYCLE_1) | instskip(SKIP_1) | instid1(VALU_DEP_1)
	s_add_u32 s3, s16, s4
	s_addc_u32 s4, s17, s5
	v_lshlrev_b64 v[60:61], 3, v[43:44]
	s_delay_alu instid0(VALU_DEP_1) | instskip(NEXT) | instid1(VALU_DEP_2)
	v_add_co_u32 v60, vcc_lo, s3, v60
	v_add_co_ci_u32_e32 v61, vcc_lo, s4, v61, vcc_lo
	global_store_b64 v[60:61], v[23:24], off
.LBB234_442:
	s_or_b32 exec_lo, exec_lo, s1
	v_cmp_lt_u32_e32 vcc_lo, v41, v59
	s_or_b32 s3, s29, vcc_lo
	s_delay_alu instid0(SALU_CYCLE_1)
	s_and_saveexec_b32 s1, s3
	s_cbranch_execz .LBB234_445
; %bb.443:
	v_and_b32_e32 v40, 1, v36
	s_delay_alu instid0(VALU_DEP_1)
	v_cmp_eq_u32_e32 vcc_lo, 1, v40
	s_and_b32 exec_lo, exec_lo, vcc_lo
	s_cbranch_execz .LBB234_445
; %bb.444:
	v_mov_b32_e32 v42, 0
	s_lshl_b64 s[4:5], s[10:11], 3
	s_delay_alu instid0(SALU_CYCLE_1) | instskip(SKIP_1) | instid1(VALU_DEP_1)
	s_add_u32 s3, s16, s4
	s_addc_u32 s4, s17, s5
	v_lshlrev_b64 v[60:61], 3, v[41:42]
	s_delay_alu instid0(VALU_DEP_1) | instskip(NEXT) | instid1(VALU_DEP_2)
	v_add_co_u32 v60, vcc_lo, s3, v60
	v_add_co_ci_u32_e32 v61, vcc_lo, s4, v61, vcc_lo
	global_store_b64 v[60:61], v[17:18], off
.LBB234_445:
	s_or_b32 exec_lo, exec_lo, s1
	v_cmp_lt_u32_e32 vcc_lo, v39, v59
	s_or_b32 s3, s29, vcc_lo
	s_delay_alu instid0(SALU_CYCLE_1)
	s_and_saveexec_b32 s1, s3
	s_cbranch_execz .LBB234_448
; %bb.446:
	v_and_b32_e32 v40, 1, v56
	s_delay_alu instid0(VALU_DEP_1)
	v_cmp_eq_u32_e32 vcc_lo, 1, v40
	s_and_b32 exec_lo, exec_lo, vcc_lo
	s_cbranch_execz .LBB234_448
; %bb.447:
	v_mov_b32_e32 v40, 0
	s_lshl_b64 s[4:5], s[10:11], 3
	s_delay_alu instid0(SALU_CYCLE_1) | instskip(SKIP_1) | instid1(VALU_DEP_1)
	s_add_u32 s3, s16, s4
	s_addc_u32 s4, s17, s5
	v_lshlrev_b64 v[60:61], 3, v[39:40]
	s_delay_alu instid0(VALU_DEP_1) | instskip(NEXT) | instid1(VALU_DEP_2)
	v_add_co_u32 v60, vcc_lo, s3, v60
	v_add_co_ci_u32_e32 v61, vcc_lo, s4, v61, vcc_lo
	global_store_b64 v[60:61], v[19:20], off
.LBB234_448:
	s_or_b32 exec_lo, exec_lo, s1
	s_mov_b32 s3, 0
.LBB234_449:
	v_and_b32_e32 v33, 1, v33
	s_and_b32 vcc_lo, exec_lo, s3
	s_delay_alu instid0(VALU_DEP_1)
	v_cmp_eq_u32_e64 s1, 1, v33
	s_cbranch_vccz .LBB234_470
; %bb.450:
	s_delay_alu instid0(VALU_DEP_1)
	s_and_saveexec_b32 s3, s1
	s_cbranch_execz .LBB234_452
; %bb.451:
	v_subrev_nc_u32_e32 v40, s12, v53
	s_delay_alu instid0(VALU_DEP_1)
	v_lshlrev_b32_e32 v40, 3, v40
	ds_store_b64 v40, v[29:30]
.LBB234_452:
	s_or_b32 exec_lo, exec_lo, s3
	v_and_b32_e32 v29, 1, v58
	s_mov_b32 s1, exec_lo
	s_delay_alu instid0(VALU_DEP_1)
	v_cmpx_eq_u32_e32 1, v29
	s_cbranch_execz .LBB234_454
; %bb.453:
	v_subrev_nc_u32_e32 v29, s12, v51
	s_delay_alu instid0(VALU_DEP_1)
	v_lshlrev_b32_e32 v29, 3, v29
	ds_store_b64 v29, v[31:32]
.LBB234_454:
	s_or_b32 exec_lo, exec_lo, s1
	v_and_b32_e32 v29, 1, v57
	s_mov_b32 s1, exec_lo
	s_delay_alu instid0(VALU_DEP_1)
	v_cmpx_eq_u32_e32 1, v29
	s_cbranch_execz .LBB234_456
; %bb.455:
	v_subrev_nc_u32_e32 v29, s12, v49
	s_delay_alu instid0(VALU_DEP_1)
	v_lshlrev_b32_e32 v29, 3, v29
	ds_store_b64 v29, v[25:26]
.LBB234_456:
	s_or_b32 exec_lo, exec_lo, s1
	v_and_b32_e32 v25, 1, v37
	s_mov_b32 s1, exec_lo
	s_delay_alu instid0(VALU_DEP_1)
	v_cmpx_eq_u32_e32 1, v25
	s_cbranch_execz .LBB234_458
; %bb.457:
	v_subrev_nc_u32_e32 v25, s12, v47
	s_delay_alu instid0(VALU_DEP_1)
	v_lshlrev_b32_e32 v25, 3, v25
	ds_store_b64 v25, v[27:28]
.LBB234_458:
	s_or_b32 exec_lo, exec_lo, s1
	v_and_b32_e32 v25, 1, v34
	s_mov_b32 s1, exec_lo
	s_delay_alu instid0(VALU_DEP_1)
	v_cmpx_eq_u32_e32 1, v25
	s_cbranch_execz .LBB234_460
; %bb.459:
	v_subrev_nc_u32_e32 v25, s12, v45
	s_delay_alu instid0(VALU_DEP_1)
	v_lshlrev_b32_e32 v25, 3, v25
	ds_store_b64 v25, v[21:22]
.LBB234_460:
	s_or_b32 exec_lo, exec_lo, s1
	v_and_b32_e32 v21, 1, v38
	s_mov_b32 s1, exec_lo
	s_delay_alu instid0(VALU_DEP_1)
	v_cmpx_eq_u32_e32 1, v21
	s_cbranch_execz .LBB234_462
; %bb.461:
	v_subrev_nc_u32_e32 v21, s12, v43
	s_delay_alu instid0(VALU_DEP_1)
	v_lshlrev_b32_e32 v21, 3, v21
	ds_store_b64 v21, v[23:24]
.LBB234_462:
	s_or_b32 exec_lo, exec_lo, s1
	v_and_b32_e32 v21, 1, v36
	s_mov_b32 s1, exec_lo
	s_delay_alu instid0(VALU_DEP_1)
	v_cmpx_eq_u32_e32 1, v21
	s_cbranch_execz .LBB234_464
; %bb.463:
	v_subrev_nc_u32_e32 v21, s12, v41
	s_delay_alu instid0(VALU_DEP_1)
	v_lshlrev_b32_e32 v21, 3, v21
	ds_store_b64 v21, v[17:18]
.LBB234_464:
	s_or_b32 exec_lo, exec_lo, s1
	v_and_b32_e32 v17, 1, v56
	s_mov_b32 s1, exec_lo
	s_delay_alu instid0(VALU_DEP_1)
	v_cmpx_eq_u32_e32 1, v17
	s_cbranch_execz .LBB234_466
; %bb.465:
	v_subrev_nc_u32_e32 v17, s12, v39
	s_delay_alu instid0(VALU_DEP_1)
	v_lshlrev_b32_e32 v17, 3, v17
	ds_store_b64 v17, v[19:20]
.LBB234_466:
	s_or_b32 exec_lo, exec_lo, s1
	s_delay_alu instid0(SALU_CYCLE_1)
	s_mov_b32 s3, exec_lo
	s_waitcnt lgkmcnt(0)
	s_waitcnt_vscnt null, 0x0
	s_barrier
	buffer_gl0_inv
	v_cmpx_lt_u32_e64 v0, v35
	s_cbranch_execz .LBB234_469
; %bb.467:
	s_mov_b32 s13, 0
	s_lshl_b64 s[4:5], s[10:11], 3
	s_lshl_b64 s[6:7], s[12:13], 3
	v_dual_mov_b32 v19, v55 :: v_dual_mov_b32 v20, v0
	s_add_u32 s1, s4, s6
	s_addc_u32 s4, s5, s7
	s_add_u32 s1, s16, s1
	s_addc_u32 s4, s17, s4
	v_add_co_u32 v17, s1, s1, v55
	s_delay_alu instid0(VALU_DEP_1)
	v_add_co_ci_u32_e64 v18, null, s4, 0, s1
	.p2align	6
.LBB234_468:                            ; =>This Inner Loop Header: Depth=1
	ds_load_b64 v[21:22], v19
	v_add_nc_u32_e32 v20, 0x200, v20
	v_add_nc_u32_e32 v19, 0x1000, v19
	s_delay_alu instid0(VALU_DEP_2) | instskip(SKIP_4) | instid1(VALU_DEP_1)
	v_cmp_ge_u32_e32 vcc_lo, v20, v35
	s_or_b32 s13, vcc_lo, s13
	s_waitcnt lgkmcnt(0)
	global_store_b64 v[17:18], v[21:22], off
	v_add_co_u32 v17, s1, 0x1000, v17
	v_add_co_ci_u32_e64 v18, s1, 0, v18, s1
	s_and_not1_b32 exec_lo, exec_lo, s13
	s_cbranch_execnz .LBB234_468
.LBB234_469:
	s_or_b32 exec_lo, exec_lo, s3
.LBB234_470:
	s_delay_alu instid0(SALU_CYCLE_1)
	s_and_b32 vcc_lo, exec_lo, s0
	s_mov_b32 s0, -1
	s_waitcnt_vscnt null, 0x0
	s_barrier
	buffer_gl0_inv
	s_cbranch_vccz .LBB234_498
; %bb.471:
	v_cmp_lt_u32_e32 vcc_lo, v53, v59
	s_or_b32 s1, s29, vcc_lo
	s_delay_alu instid0(SALU_CYCLE_1)
	s_and_saveexec_b32 s0, s1
	s_cbranch_execz .LBB234_474
; %bb.472:
	v_cmp_eq_u32_e32 vcc_lo, 1, v33
	s_and_b32 exec_lo, exec_lo, vcc_lo
	s_cbranch_execz .LBB234_474
; %bb.473:
	v_mov_b32_e32 v54, 0
	s_lshl_b64 s[4:5], s[10:11], 3
	s_delay_alu instid0(SALU_CYCLE_1) | instskip(SKIP_1) | instid1(VALU_DEP_1)
	s_add_u32 s1, s18, s4
	s_addc_u32 s3, s19, s5
	v_lshlrev_b64 v[17:18], 3, v[53:54]
	s_delay_alu instid0(VALU_DEP_1) | instskip(NEXT) | instid1(VALU_DEP_2)
	v_add_co_u32 v17, vcc_lo, s1, v17
	v_add_co_ci_u32_e32 v18, vcc_lo, s3, v18, vcc_lo
	global_store_b64 v[17:18], v[13:14], off
.LBB234_474:
	s_or_b32 exec_lo, exec_lo, s0
	v_cmp_lt_u32_e32 vcc_lo, v51, v59
	s_or_b32 s1, s29, vcc_lo
	s_delay_alu instid0(SALU_CYCLE_1)
	s_and_saveexec_b32 s0, s1
	s_cbranch_execz .LBB234_477
; %bb.475:
	v_and_b32_e32 v17, 1, v58
	s_delay_alu instid0(VALU_DEP_1)
	v_cmp_eq_u32_e32 vcc_lo, 1, v17
	s_and_b32 exec_lo, exec_lo, vcc_lo
	s_cbranch_execz .LBB234_477
; %bb.476:
	v_mov_b32_e32 v52, 0
	s_lshl_b64 s[4:5], s[10:11], 3
	s_delay_alu instid0(SALU_CYCLE_1) | instskip(SKIP_1) | instid1(VALU_DEP_1)
	s_add_u32 s1, s18, s4
	s_addc_u32 s3, s19, s5
	v_lshlrev_b64 v[17:18], 3, v[51:52]
	s_delay_alu instid0(VALU_DEP_1) | instskip(NEXT) | instid1(VALU_DEP_2)
	v_add_co_u32 v17, vcc_lo, s1, v17
	v_add_co_ci_u32_e32 v18, vcc_lo, s3, v18, vcc_lo
	global_store_b64 v[17:18], v[15:16], off
.LBB234_477:
	s_or_b32 exec_lo, exec_lo, s0
	v_cmp_lt_u32_e32 vcc_lo, v49, v59
	s_or_b32 s1, s29, vcc_lo
	s_delay_alu instid0(SALU_CYCLE_1)
	s_and_saveexec_b32 s0, s1
	s_cbranch_execz .LBB234_480
; %bb.478:
	v_and_b32_e32 v17, 1, v57
	s_delay_alu instid0(VALU_DEP_1)
	v_cmp_eq_u32_e32 vcc_lo, 1, v17
	s_and_b32 exec_lo, exec_lo, vcc_lo
	s_cbranch_execz .LBB234_480
; %bb.479:
	v_mov_b32_e32 v50, 0
	s_lshl_b64 s[4:5], s[10:11], 3
	s_delay_alu instid0(SALU_CYCLE_1) | instskip(SKIP_1) | instid1(VALU_DEP_1)
	s_add_u32 s1, s18, s4
	s_addc_u32 s3, s19, s5
	v_lshlrev_b64 v[17:18], 3, v[49:50]
	s_delay_alu instid0(VALU_DEP_1) | instskip(NEXT) | instid1(VALU_DEP_2)
	v_add_co_u32 v17, vcc_lo, s1, v17
	v_add_co_ci_u32_e32 v18, vcc_lo, s3, v18, vcc_lo
	global_store_b64 v[17:18], v[9:10], off
.LBB234_480:
	;; [unrolled: 24-line block ×7, first 2 shown]
	s_or_b32 exec_lo, exec_lo, s0
.LBB234_496:
	s_and_b32 s0, s2, s28
	s_delay_alu instid0(SALU_CYCLE_1)
	s_and_saveexec_b32 s1, s0
	s_cbranch_execz .LBB234_519
.LBB234_497:
	v_add_co_u32 v0, s0, s10, v35
	s_delay_alu instid0(VALU_DEP_1) | instskip(SKIP_1) | instid1(VALU_DEP_3)
	v_add_co_ci_u32_e64 v1, null, s11, 0, s0
	v_mov_b32_e32 v2, 0
	v_add_co_u32 v0, vcc_lo, v0, s12
	s_delay_alu instid0(VALU_DEP_3)
	v_add_co_ci_u32_e32 v1, vcc_lo, 0, v1, vcc_lo
	global_store_b64 v2, v[0:1], s[8:9]
	s_nop 0
	s_sendmsg sendmsg(MSG_DEALLOC_VGPRS)
	s_endpgm
.LBB234_498:
	s_and_b32 vcc_lo, exec_lo, s0
	s_cbranch_vccz .LBB234_496
; %bb.499:
	s_mov_b32 s0, exec_lo
	v_cmpx_eq_u32_e32 1, v33
	s_cbranch_execz .LBB234_501
; %bb.500:
	v_subrev_nc_u32_e32 v17, s12, v53
	s_delay_alu instid0(VALU_DEP_1)
	v_lshlrev_b32_e32 v17, 3, v17
	ds_store_b64 v17, v[13:14]
.LBB234_501:
	s_or_b32 exec_lo, exec_lo, s0
	v_and_b32_e32 v13, 1, v58
	s_mov_b32 s0, exec_lo
	s_delay_alu instid0(VALU_DEP_1)
	v_cmpx_eq_u32_e32 1, v13
	s_cbranch_execz .LBB234_503
; %bb.502:
	v_subrev_nc_u32_e32 v13, s12, v51
	s_delay_alu instid0(VALU_DEP_1)
	v_lshlrev_b32_e32 v13, 3, v13
	ds_store_b64 v13, v[15:16]
.LBB234_503:
	s_or_b32 exec_lo, exec_lo, s0
	v_and_b32_e32 v13, 1, v57
	s_mov_b32 s0, exec_lo
	s_delay_alu instid0(VALU_DEP_1)
	;; [unrolled: 12-line block ×7, first 2 shown]
	v_cmpx_eq_u32_e32 1, v1
	s_cbranch_execz .LBB234_515
; %bb.514:
	v_subrev_nc_u32_e32 v1, s12, v39
	s_delay_alu instid0(VALU_DEP_1)
	v_lshlrev_b32_e32 v1, 3, v1
	ds_store_b64 v1, v[3:4]
.LBB234_515:
	s_or_b32 exec_lo, exec_lo, s0
	s_delay_alu instid0(SALU_CYCLE_1)
	s_mov_b32 s1, exec_lo
	s_waitcnt lgkmcnt(0)
	s_waitcnt_vscnt null, 0x0
	s_barrier
	buffer_gl0_inv
	v_cmpx_lt_u32_e64 v0, v35
	s_cbranch_execz .LBB234_518
; %bb.516:
	s_mov_b32 s13, 0
	s_lshl_b64 s[4:5], s[10:11], 3
	s_lshl_b64 s[6:7], s[12:13], 3
	s_delay_alu instid0(SALU_CYCLE_1) | instskip(SKIP_4) | instid1(VALU_DEP_1)
	s_add_u32 s0, s4, s6
	s_addc_u32 s3, s5, s7
	s_add_u32 s0, s18, s0
	s_addc_u32 s3, s19, s3
	v_add_co_u32 v1, s0, s0, v55
	v_add_co_ci_u32_e64 v2, null, s3, 0, s0
	.p2align	6
.LBB234_517:                            ; =>This Inner Loop Header: Depth=1
	ds_load_b64 v[3:4], v55
	v_add_nc_u32_e32 v0, 0x200, v0
	v_add_nc_u32_e32 v55, 0x1000, v55
	s_delay_alu instid0(VALU_DEP_2) | instskip(SKIP_4) | instid1(VALU_DEP_1)
	v_cmp_ge_u32_e32 vcc_lo, v0, v35
	s_or_b32 s13, vcc_lo, s13
	s_waitcnt lgkmcnt(0)
	global_store_b64 v[1:2], v[3:4], off
	v_add_co_u32 v1, s0, 0x1000, v1
	v_add_co_ci_u32_e64 v2, s0, 0, v2, s0
	s_and_not1_b32 exec_lo, exec_lo, s13
	s_cbranch_execnz .LBB234_517
.LBB234_518:
	s_or_b32 exec_lo, exec_lo, s1
	s_and_b32 s0, s2, s28
	s_delay_alu instid0(SALU_CYCLE_1)
	s_and_saveexec_b32 s1, s0
	s_cbranch_execnz .LBB234_497
.LBB234_519:
	s_nop 0
	s_sendmsg sendmsg(MSG_DEALLOC_VGPRS)
	s_endpgm
	.section	.rodata,"a",@progbits
	.p2align	6, 0x0
	.amdhsa_kernel _ZN7rocprim17ROCPRIM_400000_NS6detail17trampoline_kernelINS0_14default_configENS1_25partition_config_selectorILNS1_17partition_subalgoE9EllbEEZZNS1_14partition_implILS5_9ELb0ES3_jPlS8_PNS0_10empty_typeENS0_5tupleIJS8_S9_EEENSB_IJS8_SA_EEENS0_18inequality_wrapperIZN2at6native12_GLOBAL__N_124unique_dim_cuda_templateIhEESt5tupleIJNSF_6TensorESK_SK_EERKSK_lbbbEUlllE0_EEPmJS9_EEE10hipError_tPvRmT3_T4_T5_T6_T7_T9_mT8_P12ihipStream_tbDpT10_ENKUlT_T0_E_clISt17integral_constantIbLb0EES19_IbLb1EEEEDaS15_S16_EUlS15_E_NS1_11comp_targetILNS1_3genE9ELNS1_11target_archE1100ELNS1_3gpuE3ELNS1_3repE0EEENS1_30default_config_static_selectorELNS0_4arch9wavefront6targetE0EEEvT1_
		.amdhsa_group_segment_fixed_size 33804
		.amdhsa_private_segment_fixed_size 0
		.amdhsa_kernarg_size 136
		.amdhsa_user_sgpr_count 15
		.amdhsa_user_sgpr_dispatch_ptr 0
		.amdhsa_user_sgpr_queue_ptr 0
		.amdhsa_user_sgpr_kernarg_segment_ptr 1
		.amdhsa_user_sgpr_dispatch_id 0
		.amdhsa_user_sgpr_private_segment_size 0
		.amdhsa_wavefront_size32 1
		.amdhsa_uses_dynamic_stack 0
		.amdhsa_enable_private_segment 0
		.amdhsa_system_sgpr_workgroup_id_x 1
		.amdhsa_system_sgpr_workgroup_id_y 0
		.amdhsa_system_sgpr_workgroup_id_z 0
		.amdhsa_system_sgpr_workgroup_info 0
		.amdhsa_system_vgpr_workitem_id 0
		.amdhsa_next_free_vgpr 68
		.amdhsa_next_free_sgpr 40
		.amdhsa_reserve_vcc 1
		.amdhsa_float_round_mode_32 0
		.amdhsa_float_round_mode_16_64 0
		.amdhsa_float_denorm_mode_32 3
		.amdhsa_float_denorm_mode_16_64 3
		.amdhsa_dx10_clamp 1
		.amdhsa_ieee_mode 1
		.amdhsa_fp16_overflow 0
		.amdhsa_workgroup_processor_mode 1
		.amdhsa_memory_ordered 1
		.amdhsa_forward_progress 0
		.amdhsa_shared_vgpr_count 0
		.amdhsa_exception_fp_ieee_invalid_op 0
		.amdhsa_exception_fp_denorm_src 0
		.amdhsa_exception_fp_ieee_div_zero 0
		.amdhsa_exception_fp_ieee_overflow 0
		.amdhsa_exception_fp_ieee_underflow 0
		.amdhsa_exception_fp_ieee_inexact 0
		.amdhsa_exception_int_div_zero 0
	.end_amdhsa_kernel
	.section	.text._ZN7rocprim17ROCPRIM_400000_NS6detail17trampoline_kernelINS0_14default_configENS1_25partition_config_selectorILNS1_17partition_subalgoE9EllbEEZZNS1_14partition_implILS5_9ELb0ES3_jPlS8_PNS0_10empty_typeENS0_5tupleIJS8_S9_EEENSB_IJS8_SA_EEENS0_18inequality_wrapperIZN2at6native12_GLOBAL__N_124unique_dim_cuda_templateIhEESt5tupleIJNSF_6TensorESK_SK_EERKSK_lbbbEUlllE0_EEPmJS9_EEE10hipError_tPvRmT3_T4_T5_T6_T7_T9_mT8_P12ihipStream_tbDpT10_ENKUlT_T0_E_clISt17integral_constantIbLb0EES19_IbLb1EEEEDaS15_S16_EUlS15_E_NS1_11comp_targetILNS1_3genE9ELNS1_11target_archE1100ELNS1_3gpuE3ELNS1_3repE0EEENS1_30default_config_static_selectorELNS0_4arch9wavefront6targetE0EEEvT1_,"axG",@progbits,_ZN7rocprim17ROCPRIM_400000_NS6detail17trampoline_kernelINS0_14default_configENS1_25partition_config_selectorILNS1_17partition_subalgoE9EllbEEZZNS1_14partition_implILS5_9ELb0ES3_jPlS8_PNS0_10empty_typeENS0_5tupleIJS8_S9_EEENSB_IJS8_SA_EEENS0_18inequality_wrapperIZN2at6native12_GLOBAL__N_124unique_dim_cuda_templateIhEESt5tupleIJNSF_6TensorESK_SK_EERKSK_lbbbEUlllE0_EEPmJS9_EEE10hipError_tPvRmT3_T4_T5_T6_T7_T9_mT8_P12ihipStream_tbDpT10_ENKUlT_T0_E_clISt17integral_constantIbLb0EES19_IbLb1EEEEDaS15_S16_EUlS15_E_NS1_11comp_targetILNS1_3genE9ELNS1_11target_archE1100ELNS1_3gpuE3ELNS1_3repE0EEENS1_30default_config_static_selectorELNS0_4arch9wavefront6targetE0EEEvT1_,comdat
.Lfunc_end234:
	.size	_ZN7rocprim17ROCPRIM_400000_NS6detail17trampoline_kernelINS0_14default_configENS1_25partition_config_selectorILNS1_17partition_subalgoE9EllbEEZZNS1_14partition_implILS5_9ELb0ES3_jPlS8_PNS0_10empty_typeENS0_5tupleIJS8_S9_EEENSB_IJS8_SA_EEENS0_18inequality_wrapperIZN2at6native12_GLOBAL__N_124unique_dim_cuda_templateIhEESt5tupleIJNSF_6TensorESK_SK_EERKSK_lbbbEUlllE0_EEPmJS9_EEE10hipError_tPvRmT3_T4_T5_T6_T7_T9_mT8_P12ihipStream_tbDpT10_ENKUlT_T0_E_clISt17integral_constantIbLb0EES19_IbLb1EEEEDaS15_S16_EUlS15_E_NS1_11comp_targetILNS1_3genE9ELNS1_11target_archE1100ELNS1_3gpuE3ELNS1_3repE0EEENS1_30default_config_static_selectorELNS0_4arch9wavefront6targetE0EEEvT1_, .Lfunc_end234-_ZN7rocprim17ROCPRIM_400000_NS6detail17trampoline_kernelINS0_14default_configENS1_25partition_config_selectorILNS1_17partition_subalgoE9EllbEEZZNS1_14partition_implILS5_9ELb0ES3_jPlS8_PNS0_10empty_typeENS0_5tupleIJS8_S9_EEENSB_IJS8_SA_EEENS0_18inequality_wrapperIZN2at6native12_GLOBAL__N_124unique_dim_cuda_templateIhEESt5tupleIJNSF_6TensorESK_SK_EERKSK_lbbbEUlllE0_EEPmJS9_EEE10hipError_tPvRmT3_T4_T5_T6_T7_T9_mT8_P12ihipStream_tbDpT10_ENKUlT_T0_E_clISt17integral_constantIbLb0EES19_IbLb1EEEEDaS15_S16_EUlS15_E_NS1_11comp_targetILNS1_3genE9ELNS1_11target_archE1100ELNS1_3gpuE3ELNS1_3repE0EEENS1_30default_config_static_selectorELNS0_4arch9wavefront6targetE0EEEvT1_
                                        ; -- End function
	.section	.AMDGPU.csdata,"",@progbits
; Kernel info:
; codeLenInByte = 18588
; NumSgprs: 42
; NumVgprs: 68
; ScratchSize: 0
; MemoryBound: 0
; FloatMode: 240
; IeeeMode: 1
; LDSByteSize: 33804 bytes/workgroup (compile time only)
; SGPRBlocks: 5
; VGPRBlocks: 8
; NumSGPRsForWavesPerEU: 42
; NumVGPRsForWavesPerEU: 68
; Occupancy: 12
; WaveLimiterHint : 1
; COMPUTE_PGM_RSRC2:SCRATCH_EN: 0
; COMPUTE_PGM_RSRC2:USER_SGPR: 15
; COMPUTE_PGM_RSRC2:TRAP_HANDLER: 0
; COMPUTE_PGM_RSRC2:TGID_X_EN: 1
; COMPUTE_PGM_RSRC2:TGID_Y_EN: 0
; COMPUTE_PGM_RSRC2:TGID_Z_EN: 0
; COMPUTE_PGM_RSRC2:TIDIG_COMP_CNT: 0
	.section	.text._ZN7rocprim17ROCPRIM_400000_NS6detail17trampoline_kernelINS0_14default_configENS1_25partition_config_selectorILNS1_17partition_subalgoE9EllbEEZZNS1_14partition_implILS5_9ELb0ES3_jPlS8_PNS0_10empty_typeENS0_5tupleIJS8_S9_EEENSB_IJS8_SA_EEENS0_18inequality_wrapperIZN2at6native12_GLOBAL__N_124unique_dim_cuda_templateIhEESt5tupleIJNSF_6TensorESK_SK_EERKSK_lbbbEUlllE0_EEPmJS9_EEE10hipError_tPvRmT3_T4_T5_T6_T7_T9_mT8_P12ihipStream_tbDpT10_ENKUlT_T0_E_clISt17integral_constantIbLb0EES19_IbLb1EEEEDaS15_S16_EUlS15_E_NS1_11comp_targetILNS1_3genE8ELNS1_11target_archE1030ELNS1_3gpuE2ELNS1_3repE0EEENS1_30default_config_static_selectorELNS0_4arch9wavefront6targetE0EEEvT1_,"axG",@progbits,_ZN7rocprim17ROCPRIM_400000_NS6detail17trampoline_kernelINS0_14default_configENS1_25partition_config_selectorILNS1_17partition_subalgoE9EllbEEZZNS1_14partition_implILS5_9ELb0ES3_jPlS8_PNS0_10empty_typeENS0_5tupleIJS8_S9_EEENSB_IJS8_SA_EEENS0_18inequality_wrapperIZN2at6native12_GLOBAL__N_124unique_dim_cuda_templateIhEESt5tupleIJNSF_6TensorESK_SK_EERKSK_lbbbEUlllE0_EEPmJS9_EEE10hipError_tPvRmT3_T4_T5_T6_T7_T9_mT8_P12ihipStream_tbDpT10_ENKUlT_T0_E_clISt17integral_constantIbLb0EES19_IbLb1EEEEDaS15_S16_EUlS15_E_NS1_11comp_targetILNS1_3genE8ELNS1_11target_archE1030ELNS1_3gpuE2ELNS1_3repE0EEENS1_30default_config_static_selectorELNS0_4arch9wavefront6targetE0EEEvT1_,comdat
	.globl	_ZN7rocprim17ROCPRIM_400000_NS6detail17trampoline_kernelINS0_14default_configENS1_25partition_config_selectorILNS1_17partition_subalgoE9EllbEEZZNS1_14partition_implILS5_9ELb0ES3_jPlS8_PNS0_10empty_typeENS0_5tupleIJS8_S9_EEENSB_IJS8_SA_EEENS0_18inequality_wrapperIZN2at6native12_GLOBAL__N_124unique_dim_cuda_templateIhEESt5tupleIJNSF_6TensorESK_SK_EERKSK_lbbbEUlllE0_EEPmJS9_EEE10hipError_tPvRmT3_T4_T5_T6_T7_T9_mT8_P12ihipStream_tbDpT10_ENKUlT_T0_E_clISt17integral_constantIbLb0EES19_IbLb1EEEEDaS15_S16_EUlS15_E_NS1_11comp_targetILNS1_3genE8ELNS1_11target_archE1030ELNS1_3gpuE2ELNS1_3repE0EEENS1_30default_config_static_selectorELNS0_4arch9wavefront6targetE0EEEvT1_ ; -- Begin function _ZN7rocprim17ROCPRIM_400000_NS6detail17trampoline_kernelINS0_14default_configENS1_25partition_config_selectorILNS1_17partition_subalgoE9EllbEEZZNS1_14partition_implILS5_9ELb0ES3_jPlS8_PNS0_10empty_typeENS0_5tupleIJS8_S9_EEENSB_IJS8_SA_EEENS0_18inequality_wrapperIZN2at6native12_GLOBAL__N_124unique_dim_cuda_templateIhEESt5tupleIJNSF_6TensorESK_SK_EERKSK_lbbbEUlllE0_EEPmJS9_EEE10hipError_tPvRmT3_T4_T5_T6_T7_T9_mT8_P12ihipStream_tbDpT10_ENKUlT_T0_E_clISt17integral_constantIbLb0EES19_IbLb1EEEEDaS15_S16_EUlS15_E_NS1_11comp_targetILNS1_3genE8ELNS1_11target_archE1030ELNS1_3gpuE2ELNS1_3repE0EEENS1_30default_config_static_selectorELNS0_4arch9wavefront6targetE0EEEvT1_
	.p2align	8
	.type	_ZN7rocprim17ROCPRIM_400000_NS6detail17trampoline_kernelINS0_14default_configENS1_25partition_config_selectorILNS1_17partition_subalgoE9EllbEEZZNS1_14partition_implILS5_9ELb0ES3_jPlS8_PNS0_10empty_typeENS0_5tupleIJS8_S9_EEENSB_IJS8_SA_EEENS0_18inequality_wrapperIZN2at6native12_GLOBAL__N_124unique_dim_cuda_templateIhEESt5tupleIJNSF_6TensorESK_SK_EERKSK_lbbbEUlllE0_EEPmJS9_EEE10hipError_tPvRmT3_T4_T5_T6_T7_T9_mT8_P12ihipStream_tbDpT10_ENKUlT_T0_E_clISt17integral_constantIbLb0EES19_IbLb1EEEEDaS15_S16_EUlS15_E_NS1_11comp_targetILNS1_3genE8ELNS1_11target_archE1030ELNS1_3gpuE2ELNS1_3repE0EEENS1_30default_config_static_selectorELNS0_4arch9wavefront6targetE0EEEvT1_,@function
_ZN7rocprim17ROCPRIM_400000_NS6detail17trampoline_kernelINS0_14default_configENS1_25partition_config_selectorILNS1_17partition_subalgoE9EllbEEZZNS1_14partition_implILS5_9ELb0ES3_jPlS8_PNS0_10empty_typeENS0_5tupleIJS8_S9_EEENSB_IJS8_SA_EEENS0_18inequality_wrapperIZN2at6native12_GLOBAL__N_124unique_dim_cuda_templateIhEESt5tupleIJNSF_6TensorESK_SK_EERKSK_lbbbEUlllE0_EEPmJS9_EEE10hipError_tPvRmT3_T4_T5_T6_T7_T9_mT8_P12ihipStream_tbDpT10_ENKUlT_T0_E_clISt17integral_constantIbLb0EES19_IbLb1EEEEDaS15_S16_EUlS15_E_NS1_11comp_targetILNS1_3genE8ELNS1_11target_archE1030ELNS1_3gpuE2ELNS1_3repE0EEENS1_30default_config_static_selectorELNS0_4arch9wavefront6targetE0EEEvT1_: ; @_ZN7rocprim17ROCPRIM_400000_NS6detail17trampoline_kernelINS0_14default_configENS1_25partition_config_selectorILNS1_17partition_subalgoE9EllbEEZZNS1_14partition_implILS5_9ELb0ES3_jPlS8_PNS0_10empty_typeENS0_5tupleIJS8_S9_EEENSB_IJS8_SA_EEENS0_18inequality_wrapperIZN2at6native12_GLOBAL__N_124unique_dim_cuda_templateIhEESt5tupleIJNSF_6TensorESK_SK_EERKSK_lbbbEUlllE0_EEPmJS9_EEE10hipError_tPvRmT3_T4_T5_T6_T7_T9_mT8_P12ihipStream_tbDpT10_ENKUlT_T0_E_clISt17integral_constantIbLb0EES19_IbLb1EEEEDaS15_S16_EUlS15_E_NS1_11comp_targetILNS1_3genE8ELNS1_11target_archE1030ELNS1_3gpuE2ELNS1_3repE0EEENS1_30default_config_static_selectorELNS0_4arch9wavefront6targetE0EEEvT1_
; %bb.0:
	.section	.rodata,"a",@progbits
	.p2align	6, 0x0
	.amdhsa_kernel _ZN7rocprim17ROCPRIM_400000_NS6detail17trampoline_kernelINS0_14default_configENS1_25partition_config_selectorILNS1_17partition_subalgoE9EllbEEZZNS1_14partition_implILS5_9ELb0ES3_jPlS8_PNS0_10empty_typeENS0_5tupleIJS8_S9_EEENSB_IJS8_SA_EEENS0_18inequality_wrapperIZN2at6native12_GLOBAL__N_124unique_dim_cuda_templateIhEESt5tupleIJNSF_6TensorESK_SK_EERKSK_lbbbEUlllE0_EEPmJS9_EEE10hipError_tPvRmT3_T4_T5_T6_T7_T9_mT8_P12ihipStream_tbDpT10_ENKUlT_T0_E_clISt17integral_constantIbLb0EES19_IbLb1EEEEDaS15_S16_EUlS15_E_NS1_11comp_targetILNS1_3genE8ELNS1_11target_archE1030ELNS1_3gpuE2ELNS1_3repE0EEENS1_30default_config_static_selectorELNS0_4arch9wavefront6targetE0EEEvT1_
		.amdhsa_group_segment_fixed_size 0
		.amdhsa_private_segment_fixed_size 0
		.amdhsa_kernarg_size 136
		.amdhsa_user_sgpr_count 15
		.amdhsa_user_sgpr_dispatch_ptr 0
		.amdhsa_user_sgpr_queue_ptr 0
		.amdhsa_user_sgpr_kernarg_segment_ptr 1
		.amdhsa_user_sgpr_dispatch_id 0
		.amdhsa_user_sgpr_private_segment_size 0
		.amdhsa_wavefront_size32 1
		.amdhsa_uses_dynamic_stack 0
		.amdhsa_enable_private_segment 0
		.amdhsa_system_sgpr_workgroup_id_x 1
		.amdhsa_system_sgpr_workgroup_id_y 0
		.amdhsa_system_sgpr_workgroup_id_z 0
		.amdhsa_system_sgpr_workgroup_info 0
		.amdhsa_system_vgpr_workitem_id 0
		.amdhsa_next_free_vgpr 1
		.amdhsa_next_free_sgpr 1
		.amdhsa_reserve_vcc 0
		.amdhsa_float_round_mode_32 0
		.amdhsa_float_round_mode_16_64 0
		.amdhsa_float_denorm_mode_32 3
		.amdhsa_float_denorm_mode_16_64 3
		.amdhsa_dx10_clamp 1
		.amdhsa_ieee_mode 1
		.amdhsa_fp16_overflow 0
		.amdhsa_workgroup_processor_mode 1
		.amdhsa_memory_ordered 1
		.amdhsa_forward_progress 0
		.amdhsa_shared_vgpr_count 0
		.amdhsa_exception_fp_ieee_invalid_op 0
		.amdhsa_exception_fp_denorm_src 0
		.amdhsa_exception_fp_ieee_div_zero 0
		.amdhsa_exception_fp_ieee_overflow 0
		.amdhsa_exception_fp_ieee_underflow 0
		.amdhsa_exception_fp_ieee_inexact 0
		.amdhsa_exception_int_div_zero 0
	.end_amdhsa_kernel
	.section	.text._ZN7rocprim17ROCPRIM_400000_NS6detail17trampoline_kernelINS0_14default_configENS1_25partition_config_selectorILNS1_17partition_subalgoE9EllbEEZZNS1_14partition_implILS5_9ELb0ES3_jPlS8_PNS0_10empty_typeENS0_5tupleIJS8_S9_EEENSB_IJS8_SA_EEENS0_18inequality_wrapperIZN2at6native12_GLOBAL__N_124unique_dim_cuda_templateIhEESt5tupleIJNSF_6TensorESK_SK_EERKSK_lbbbEUlllE0_EEPmJS9_EEE10hipError_tPvRmT3_T4_T5_T6_T7_T9_mT8_P12ihipStream_tbDpT10_ENKUlT_T0_E_clISt17integral_constantIbLb0EES19_IbLb1EEEEDaS15_S16_EUlS15_E_NS1_11comp_targetILNS1_3genE8ELNS1_11target_archE1030ELNS1_3gpuE2ELNS1_3repE0EEENS1_30default_config_static_selectorELNS0_4arch9wavefront6targetE0EEEvT1_,"axG",@progbits,_ZN7rocprim17ROCPRIM_400000_NS6detail17trampoline_kernelINS0_14default_configENS1_25partition_config_selectorILNS1_17partition_subalgoE9EllbEEZZNS1_14partition_implILS5_9ELb0ES3_jPlS8_PNS0_10empty_typeENS0_5tupleIJS8_S9_EEENSB_IJS8_SA_EEENS0_18inequality_wrapperIZN2at6native12_GLOBAL__N_124unique_dim_cuda_templateIhEESt5tupleIJNSF_6TensorESK_SK_EERKSK_lbbbEUlllE0_EEPmJS9_EEE10hipError_tPvRmT3_T4_T5_T6_T7_T9_mT8_P12ihipStream_tbDpT10_ENKUlT_T0_E_clISt17integral_constantIbLb0EES19_IbLb1EEEEDaS15_S16_EUlS15_E_NS1_11comp_targetILNS1_3genE8ELNS1_11target_archE1030ELNS1_3gpuE2ELNS1_3repE0EEENS1_30default_config_static_selectorELNS0_4arch9wavefront6targetE0EEEvT1_,comdat
.Lfunc_end235:
	.size	_ZN7rocprim17ROCPRIM_400000_NS6detail17trampoline_kernelINS0_14default_configENS1_25partition_config_selectorILNS1_17partition_subalgoE9EllbEEZZNS1_14partition_implILS5_9ELb0ES3_jPlS8_PNS0_10empty_typeENS0_5tupleIJS8_S9_EEENSB_IJS8_SA_EEENS0_18inequality_wrapperIZN2at6native12_GLOBAL__N_124unique_dim_cuda_templateIhEESt5tupleIJNSF_6TensorESK_SK_EERKSK_lbbbEUlllE0_EEPmJS9_EEE10hipError_tPvRmT3_T4_T5_T6_T7_T9_mT8_P12ihipStream_tbDpT10_ENKUlT_T0_E_clISt17integral_constantIbLb0EES19_IbLb1EEEEDaS15_S16_EUlS15_E_NS1_11comp_targetILNS1_3genE8ELNS1_11target_archE1030ELNS1_3gpuE2ELNS1_3repE0EEENS1_30default_config_static_selectorELNS0_4arch9wavefront6targetE0EEEvT1_, .Lfunc_end235-_ZN7rocprim17ROCPRIM_400000_NS6detail17trampoline_kernelINS0_14default_configENS1_25partition_config_selectorILNS1_17partition_subalgoE9EllbEEZZNS1_14partition_implILS5_9ELb0ES3_jPlS8_PNS0_10empty_typeENS0_5tupleIJS8_S9_EEENSB_IJS8_SA_EEENS0_18inequality_wrapperIZN2at6native12_GLOBAL__N_124unique_dim_cuda_templateIhEESt5tupleIJNSF_6TensorESK_SK_EERKSK_lbbbEUlllE0_EEPmJS9_EEE10hipError_tPvRmT3_T4_T5_T6_T7_T9_mT8_P12ihipStream_tbDpT10_ENKUlT_T0_E_clISt17integral_constantIbLb0EES19_IbLb1EEEEDaS15_S16_EUlS15_E_NS1_11comp_targetILNS1_3genE8ELNS1_11target_archE1030ELNS1_3gpuE2ELNS1_3repE0EEENS1_30default_config_static_selectorELNS0_4arch9wavefront6targetE0EEEvT1_
                                        ; -- End function
	.section	.AMDGPU.csdata,"",@progbits
; Kernel info:
; codeLenInByte = 0
; NumSgprs: 0
; NumVgprs: 0
; ScratchSize: 0
; MemoryBound: 0
; FloatMode: 240
; IeeeMode: 1
; LDSByteSize: 0 bytes/workgroup (compile time only)
; SGPRBlocks: 0
; VGPRBlocks: 0
; NumSGPRsForWavesPerEU: 1
; NumVGPRsForWavesPerEU: 1
; Occupancy: 16
; WaveLimiterHint : 0
; COMPUTE_PGM_RSRC2:SCRATCH_EN: 0
; COMPUTE_PGM_RSRC2:USER_SGPR: 15
; COMPUTE_PGM_RSRC2:TRAP_HANDLER: 0
; COMPUTE_PGM_RSRC2:TGID_X_EN: 1
; COMPUTE_PGM_RSRC2:TGID_Y_EN: 0
; COMPUTE_PGM_RSRC2:TGID_Z_EN: 0
; COMPUTE_PGM_RSRC2:TIDIG_COMP_CNT: 0
	.section	.text._ZN7rocprim17ROCPRIM_400000_NS6detail17trampoline_kernelINS0_14default_configENS1_35adjacent_difference_config_selectorILb0ElEEZNS1_24adjacent_difference_implIS3_Lb0ELb0EPlS7_N6thrust23THRUST_200600_302600_NS5minusIlEEEE10hipError_tPvRmT2_T3_mT4_P12ihipStream_tbEUlT_E_NS1_11comp_targetILNS1_3genE0ELNS1_11target_archE4294967295ELNS1_3gpuE0ELNS1_3repE0EEENS1_30default_config_static_selectorELNS0_4arch9wavefront6targetE0EEEvT1_,"axG",@progbits,_ZN7rocprim17ROCPRIM_400000_NS6detail17trampoline_kernelINS0_14default_configENS1_35adjacent_difference_config_selectorILb0ElEEZNS1_24adjacent_difference_implIS3_Lb0ELb0EPlS7_N6thrust23THRUST_200600_302600_NS5minusIlEEEE10hipError_tPvRmT2_T3_mT4_P12ihipStream_tbEUlT_E_NS1_11comp_targetILNS1_3genE0ELNS1_11target_archE4294967295ELNS1_3gpuE0ELNS1_3repE0EEENS1_30default_config_static_selectorELNS0_4arch9wavefront6targetE0EEEvT1_,comdat
	.protected	_ZN7rocprim17ROCPRIM_400000_NS6detail17trampoline_kernelINS0_14default_configENS1_35adjacent_difference_config_selectorILb0ElEEZNS1_24adjacent_difference_implIS3_Lb0ELb0EPlS7_N6thrust23THRUST_200600_302600_NS5minusIlEEEE10hipError_tPvRmT2_T3_mT4_P12ihipStream_tbEUlT_E_NS1_11comp_targetILNS1_3genE0ELNS1_11target_archE4294967295ELNS1_3gpuE0ELNS1_3repE0EEENS1_30default_config_static_selectorELNS0_4arch9wavefront6targetE0EEEvT1_ ; -- Begin function _ZN7rocprim17ROCPRIM_400000_NS6detail17trampoline_kernelINS0_14default_configENS1_35adjacent_difference_config_selectorILb0ElEEZNS1_24adjacent_difference_implIS3_Lb0ELb0EPlS7_N6thrust23THRUST_200600_302600_NS5minusIlEEEE10hipError_tPvRmT2_T3_mT4_P12ihipStream_tbEUlT_E_NS1_11comp_targetILNS1_3genE0ELNS1_11target_archE4294967295ELNS1_3gpuE0ELNS1_3repE0EEENS1_30default_config_static_selectorELNS0_4arch9wavefront6targetE0EEEvT1_
	.globl	_ZN7rocprim17ROCPRIM_400000_NS6detail17trampoline_kernelINS0_14default_configENS1_35adjacent_difference_config_selectorILb0ElEEZNS1_24adjacent_difference_implIS3_Lb0ELb0EPlS7_N6thrust23THRUST_200600_302600_NS5minusIlEEEE10hipError_tPvRmT2_T3_mT4_P12ihipStream_tbEUlT_E_NS1_11comp_targetILNS1_3genE0ELNS1_11target_archE4294967295ELNS1_3gpuE0ELNS1_3repE0EEENS1_30default_config_static_selectorELNS0_4arch9wavefront6targetE0EEEvT1_
	.p2align	8
	.type	_ZN7rocprim17ROCPRIM_400000_NS6detail17trampoline_kernelINS0_14default_configENS1_35adjacent_difference_config_selectorILb0ElEEZNS1_24adjacent_difference_implIS3_Lb0ELb0EPlS7_N6thrust23THRUST_200600_302600_NS5minusIlEEEE10hipError_tPvRmT2_T3_mT4_P12ihipStream_tbEUlT_E_NS1_11comp_targetILNS1_3genE0ELNS1_11target_archE4294967295ELNS1_3gpuE0ELNS1_3repE0EEENS1_30default_config_static_selectorELNS0_4arch9wavefront6targetE0EEEvT1_,@function
_ZN7rocprim17ROCPRIM_400000_NS6detail17trampoline_kernelINS0_14default_configENS1_35adjacent_difference_config_selectorILb0ElEEZNS1_24adjacent_difference_implIS3_Lb0ELb0EPlS7_N6thrust23THRUST_200600_302600_NS5minusIlEEEE10hipError_tPvRmT2_T3_mT4_P12ihipStream_tbEUlT_E_NS1_11comp_targetILNS1_3genE0ELNS1_11target_archE4294967295ELNS1_3gpuE0ELNS1_3repE0EEENS1_30default_config_static_selectorELNS0_4arch9wavefront6targetE0EEEvT1_: ; @_ZN7rocprim17ROCPRIM_400000_NS6detail17trampoline_kernelINS0_14default_configENS1_35adjacent_difference_config_selectorILb0ElEEZNS1_24adjacent_difference_implIS3_Lb0ELb0EPlS7_N6thrust23THRUST_200600_302600_NS5minusIlEEEE10hipError_tPvRmT2_T3_mT4_P12ihipStream_tbEUlT_E_NS1_11comp_targetILNS1_3genE0ELNS1_11target_archE4294967295ELNS1_3gpuE0ELNS1_3repE0EEENS1_30default_config_static_selectorELNS0_4arch9wavefront6targetE0EEEvT1_
; %bb.0:
	.section	.rodata,"a",@progbits
	.p2align	6, 0x0
	.amdhsa_kernel _ZN7rocprim17ROCPRIM_400000_NS6detail17trampoline_kernelINS0_14default_configENS1_35adjacent_difference_config_selectorILb0ElEEZNS1_24adjacent_difference_implIS3_Lb0ELb0EPlS7_N6thrust23THRUST_200600_302600_NS5minusIlEEEE10hipError_tPvRmT2_T3_mT4_P12ihipStream_tbEUlT_E_NS1_11comp_targetILNS1_3genE0ELNS1_11target_archE4294967295ELNS1_3gpuE0ELNS1_3repE0EEENS1_30default_config_static_selectorELNS0_4arch9wavefront6targetE0EEEvT1_
		.amdhsa_group_segment_fixed_size 0
		.amdhsa_private_segment_fixed_size 0
		.amdhsa_kernarg_size 56
		.amdhsa_user_sgpr_count 15
		.amdhsa_user_sgpr_dispatch_ptr 0
		.amdhsa_user_sgpr_queue_ptr 0
		.amdhsa_user_sgpr_kernarg_segment_ptr 1
		.amdhsa_user_sgpr_dispatch_id 0
		.amdhsa_user_sgpr_private_segment_size 0
		.amdhsa_wavefront_size32 1
		.amdhsa_uses_dynamic_stack 0
		.amdhsa_enable_private_segment 0
		.amdhsa_system_sgpr_workgroup_id_x 1
		.amdhsa_system_sgpr_workgroup_id_y 0
		.amdhsa_system_sgpr_workgroup_id_z 0
		.amdhsa_system_sgpr_workgroup_info 0
		.amdhsa_system_vgpr_workitem_id 0
		.amdhsa_next_free_vgpr 1
		.amdhsa_next_free_sgpr 1
		.amdhsa_reserve_vcc 0
		.amdhsa_float_round_mode_32 0
		.amdhsa_float_round_mode_16_64 0
		.amdhsa_float_denorm_mode_32 3
		.amdhsa_float_denorm_mode_16_64 3
		.amdhsa_dx10_clamp 1
		.amdhsa_ieee_mode 1
		.amdhsa_fp16_overflow 0
		.amdhsa_workgroup_processor_mode 1
		.amdhsa_memory_ordered 1
		.amdhsa_forward_progress 0
		.amdhsa_shared_vgpr_count 0
		.amdhsa_exception_fp_ieee_invalid_op 0
		.amdhsa_exception_fp_denorm_src 0
		.amdhsa_exception_fp_ieee_div_zero 0
		.amdhsa_exception_fp_ieee_overflow 0
		.amdhsa_exception_fp_ieee_underflow 0
		.amdhsa_exception_fp_ieee_inexact 0
		.amdhsa_exception_int_div_zero 0
	.end_amdhsa_kernel
	.section	.text._ZN7rocprim17ROCPRIM_400000_NS6detail17trampoline_kernelINS0_14default_configENS1_35adjacent_difference_config_selectorILb0ElEEZNS1_24adjacent_difference_implIS3_Lb0ELb0EPlS7_N6thrust23THRUST_200600_302600_NS5minusIlEEEE10hipError_tPvRmT2_T3_mT4_P12ihipStream_tbEUlT_E_NS1_11comp_targetILNS1_3genE0ELNS1_11target_archE4294967295ELNS1_3gpuE0ELNS1_3repE0EEENS1_30default_config_static_selectorELNS0_4arch9wavefront6targetE0EEEvT1_,"axG",@progbits,_ZN7rocprim17ROCPRIM_400000_NS6detail17trampoline_kernelINS0_14default_configENS1_35adjacent_difference_config_selectorILb0ElEEZNS1_24adjacent_difference_implIS3_Lb0ELb0EPlS7_N6thrust23THRUST_200600_302600_NS5minusIlEEEE10hipError_tPvRmT2_T3_mT4_P12ihipStream_tbEUlT_E_NS1_11comp_targetILNS1_3genE0ELNS1_11target_archE4294967295ELNS1_3gpuE0ELNS1_3repE0EEENS1_30default_config_static_selectorELNS0_4arch9wavefront6targetE0EEEvT1_,comdat
.Lfunc_end236:
	.size	_ZN7rocprim17ROCPRIM_400000_NS6detail17trampoline_kernelINS0_14default_configENS1_35adjacent_difference_config_selectorILb0ElEEZNS1_24adjacent_difference_implIS3_Lb0ELb0EPlS7_N6thrust23THRUST_200600_302600_NS5minusIlEEEE10hipError_tPvRmT2_T3_mT4_P12ihipStream_tbEUlT_E_NS1_11comp_targetILNS1_3genE0ELNS1_11target_archE4294967295ELNS1_3gpuE0ELNS1_3repE0EEENS1_30default_config_static_selectorELNS0_4arch9wavefront6targetE0EEEvT1_, .Lfunc_end236-_ZN7rocprim17ROCPRIM_400000_NS6detail17trampoline_kernelINS0_14default_configENS1_35adjacent_difference_config_selectorILb0ElEEZNS1_24adjacent_difference_implIS3_Lb0ELb0EPlS7_N6thrust23THRUST_200600_302600_NS5minusIlEEEE10hipError_tPvRmT2_T3_mT4_P12ihipStream_tbEUlT_E_NS1_11comp_targetILNS1_3genE0ELNS1_11target_archE4294967295ELNS1_3gpuE0ELNS1_3repE0EEENS1_30default_config_static_selectorELNS0_4arch9wavefront6targetE0EEEvT1_
                                        ; -- End function
	.section	.AMDGPU.csdata,"",@progbits
; Kernel info:
; codeLenInByte = 0
; NumSgprs: 0
; NumVgprs: 0
; ScratchSize: 0
; MemoryBound: 0
; FloatMode: 240
; IeeeMode: 1
; LDSByteSize: 0 bytes/workgroup (compile time only)
; SGPRBlocks: 0
; VGPRBlocks: 0
; NumSGPRsForWavesPerEU: 1
; NumVGPRsForWavesPerEU: 1
; Occupancy: 16
; WaveLimiterHint : 0
; COMPUTE_PGM_RSRC2:SCRATCH_EN: 0
; COMPUTE_PGM_RSRC2:USER_SGPR: 15
; COMPUTE_PGM_RSRC2:TRAP_HANDLER: 0
; COMPUTE_PGM_RSRC2:TGID_X_EN: 1
; COMPUTE_PGM_RSRC2:TGID_Y_EN: 0
; COMPUTE_PGM_RSRC2:TGID_Z_EN: 0
; COMPUTE_PGM_RSRC2:TIDIG_COMP_CNT: 0
	.section	.text._ZN7rocprim17ROCPRIM_400000_NS6detail17trampoline_kernelINS0_14default_configENS1_35adjacent_difference_config_selectorILb0ElEEZNS1_24adjacent_difference_implIS3_Lb0ELb0EPlS7_N6thrust23THRUST_200600_302600_NS5minusIlEEEE10hipError_tPvRmT2_T3_mT4_P12ihipStream_tbEUlT_E_NS1_11comp_targetILNS1_3genE10ELNS1_11target_archE1201ELNS1_3gpuE5ELNS1_3repE0EEENS1_30default_config_static_selectorELNS0_4arch9wavefront6targetE0EEEvT1_,"axG",@progbits,_ZN7rocprim17ROCPRIM_400000_NS6detail17trampoline_kernelINS0_14default_configENS1_35adjacent_difference_config_selectorILb0ElEEZNS1_24adjacent_difference_implIS3_Lb0ELb0EPlS7_N6thrust23THRUST_200600_302600_NS5minusIlEEEE10hipError_tPvRmT2_T3_mT4_P12ihipStream_tbEUlT_E_NS1_11comp_targetILNS1_3genE10ELNS1_11target_archE1201ELNS1_3gpuE5ELNS1_3repE0EEENS1_30default_config_static_selectorELNS0_4arch9wavefront6targetE0EEEvT1_,comdat
	.protected	_ZN7rocprim17ROCPRIM_400000_NS6detail17trampoline_kernelINS0_14default_configENS1_35adjacent_difference_config_selectorILb0ElEEZNS1_24adjacent_difference_implIS3_Lb0ELb0EPlS7_N6thrust23THRUST_200600_302600_NS5minusIlEEEE10hipError_tPvRmT2_T3_mT4_P12ihipStream_tbEUlT_E_NS1_11comp_targetILNS1_3genE10ELNS1_11target_archE1201ELNS1_3gpuE5ELNS1_3repE0EEENS1_30default_config_static_selectorELNS0_4arch9wavefront6targetE0EEEvT1_ ; -- Begin function _ZN7rocprim17ROCPRIM_400000_NS6detail17trampoline_kernelINS0_14default_configENS1_35adjacent_difference_config_selectorILb0ElEEZNS1_24adjacent_difference_implIS3_Lb0ELb0EPlS7_N6thrust23THRUST_200600_302600_NS5minusIlEEEE10hipError_tPvRmT2_T3_mT4_P12ihipStream_tbEUlT_E_NS1_11comp_targetILNS1_3genE10ELNS1_11target_archE1201ELNS1_3gpuE5ELNS1_3repE0EEENS1_30default_config_static_selectorELNS0_4arch9wavefront6targetE0EEEvT1_
	.globl	_ZN7rocprim17ROCPRIM_400000_NS6detail17trampoline_kernelINS0_14default_configENS1_35adjacent_difference_config_selectorILb0ElEEZNS1_24adjacent_difference_implIS3_Lb0ELb0EPlS7_N6thrust23THRUST_200600_302600_NS5minusIlEEEE10hipError_tPvRmT2_T3_mT4_P12ihipStream_tbEUlT_E_NS1_11comp_targetILNS1_3genE10ELNS1_11target_archE1201ELNS1_3gpuE5ELNS1_3repE0EEENS1_30default_config_static_selectorELNS0_4arch9wavefront6targetE0EEEvT1_
	.p2align	8
	.type	_ZN7rocprim17ROCPRIM_400000_NS6detail17trampoline_kernelINS0_14default_configENS1_35adjacent_difference_config_selectorILb0ElEEZNS1_24adjacent_difference_implIS3_Lb0ELb0EPlS7_N6thrust23THRUST_200600_302600_NS5minusIlEEEE10hipError_tPvRmT2_T3_mT4_P12ihipStream_tbEUlT_E_NS1_11comp_targetILNS1_3genE10ELNS1_11target_archE1201ELNS1_3gpuE5ELNS1_3repE0EEENS1_30default_config_static_selectorELNS0_4arch9wavefront6targetE0EEEvT1_,@function
_ZN7rocprim17ROCPRIM_400000_NS6detail17trampoline_kernelINS0_14default_configENS1_35adjacent_difference_config_selectorILb0ElEEZNS1_24adjacent_difference_implIS3_Lb0ELb0EPlS7_N6thrust23THRUST_200600_302600_NS5minusIlEEEE10hipError_tPvRmT2_T3_mT4_P12ihipStream_tbEUlT_E_NS1_11comp_targetILNS1_3genE10ELNS1_11target_archE1201ELNS1_3gpuE5ELNS1_3repE0EEENS1_30default_config_static_selectorELNS0_4arch9wavefront6targetE0EEEvT1_: ; @_ZN7rocprim17ROCPRIM_400000_NS6detail17trampoline_kernelINS0_14default_configENS1_35adjacent_difference_config_selectorILb0ElEEZNS1_24adjacent_difference_implIS3_Lb0ELb0EPlS7_N6thrust23THRUST_200600_302600_NS5minusIlEEEE10hipError_tPvRmT2_T3_mT4_P12ihipStream_tbEUlT_E_NS1_11comp_targetILNS1_3genE10ELNS1_11target_archE1201ELNS1_3gpuE5ELNS1_3repE0EEENS1_30default_config_static_selectorELNS0_4arch9wavefront6targetE0EEEvT1_
; %bb.0:
	.section	.rodata,"a",@progbits
	.p2align	6, 0x0
	.amdhsa_kernel _ZN7rocprim17ROCPRIM_400000_NS6detail17trampoline_kernelINS0_14default_configENS1_35adjacent_difference_config_selectorILb0ElEEZNS1_24adjacent_difference_implIS3_Lb0ELb0EPlS7_N6thrust23THRUST_200600_302600_NS5minusIlEEEE10hipError_tPvRmT2_T3_mT4_P12ihipStream_tbEUlT_E_NS1_11comp_targetILNS1_3genE10ELNS1_11target_archE1201ELNS1_3gpuE5ELNS1_3repE0EEENS1_30default_config_static_selectorELNS0_4arch9wavefront6targetE0EEEvT1_
		.amdhsa_group_segment_fixed_size 0
		.amdhsa_private_segment_fixed_size 0
		.amdhsa_kernarg_size 56
		.amdhsa_user_sgpr_count 15
		.amdhsa_user_sgpr_dispatch_ptr 0
		.amdhsa_user_sgpr_queue_ptr 0
		.amdhsa_user_sgpr_kernarg_segment_ptr 1
		.amdhsa_user_sgpr_dispatch_id 0
		.amdhsa_user_sgpr_private_segment_size 0
		.amdhsa_wavefront_size32 1
		.amdhsa_uses_dynamic_stack 0
		.amdhsa_enable_private_segment 0
		.amdhsa_system_sgpr_workgroup_id_x 1
		.amdhsa_system_sgpr_workgroup_id_y 0
		.amdhsa_system_sgpr_workgroup_id_z 0
		.amdhsa_system_sgpr_workgroup_info 0
		.amdhsa_system_vgpr_workitem_id 0
		.amdhsa_next_free_vgpr 1
		.amdhsa_next_free_sgpr 1
		.amdhsa_reserve_vcc 0
		.amdhsa_float_round_mode_32 0
		.amdhsa_float_round_mode_16_64 0
		.amdhsa_float_denorm_mode_32 3
		.amdhsa_float_denorm_mode_16_64 3
		.amdhsa_dx10_clamp 1
		.amdhsa_ieee_mode 1
		.amdhsa_fp16_overflow 0
		.amdhsa_workgroup_processor_mode 1
		.amdhsa_memory_ordered 1
		.amdhsa_forward_progress 0
		.amdhsa_shared_vgpr_count 0
		.amdhsa_exception_fp_ieee_invalid_op 0
		.amdhsa_exception_fp_denorm_src 0
		.amdhsa_exception_fp_ieee_div_zero 0
		.amdhsa_exception_fp_ieee_overflow 0
		.amdhsa_exception_fp_ieee_underflow 0
		.amdhsa_exception_fp_ieee_inexact 0
		.amdhsa_exception_int_div_zero 0
	.end_amdhsa_kernel
	.section	.text._ZN7rocprim17ROCPRIM_400000_NS6detail17trampoline_kernelINS0_14default_configENS1_35adjacent_difference_config_selectorILb0ElEEZNS1_24adjacent_difference_implIS3_Lb0ELb0EPlS7_N6thrust23THRUST_200600_302600_NS5minusIlEEEE10hipError_tPvRmT2_T3_mT4_P12ihipStream_tbEUlT_E_NS1_11comp_targetILNS1_3genE10ELNS1_11target_archE1201ELNS1_3gpuE5ELNS1_3repE0EEENS1_30default_config_static_selectorELNS0_4arch9wavefront6targetE0EEEvT1_,"axG",@progbits,_ZN7rocprim17ROCPRIM_400000_NS6detail17trampoline_kernelINS0_14default_configENS1_35adjacent_difference_config_selectorILb0ElEEZNS1_24adjacent_difference_implIS3_Lb0ELb0EPlS7_N6thrust23THRUST_200600_302600_NS5minusIlEEEE10hipError_tPvRmT2_T3_mT4_P12ihipStream_tbEUlT_E_NS1_11comp_targetILNS1_3genE10ELNS1_11target_archE1201ELNS1_3gpuE5ELNS1_3repE0EEENS1_30default_config_static_selectorELNS0_4arch9wavefront6targetE0EEEvT1_,comdat
.Lfunc_end237:
	.size	_ZN7rocprim17ROCPRIM_400000_NS6detail17trampoline_kernelINS0_14default_configENS1_35adjacent_difference_config_selectorILb0ElEEZNS1_24adjacent_difference_implIS3_Lb0ELb0EPlS7_N6thrust23THRUST_200600_302600_NS5minusIlEEEE10hipError_tPvRmT2_T3_mT4_P12ihipStream_tbEUlT_E_NS1_11comp_targetILNS1_3genE10ELNS1_11target_archE1201ELNS1_3gpuE5ELNS1_3repE0EEENS1_30default_config_static_selectorELNS0_4arch9wavefront6targetE0EEEvT1_, .Lfunc_end237-_ZN7rocprim17ROCPRIM_400000_NS6detail17trampoline_kernelINS0_14default_configENS1_35adjacent_difference_config_selectorILb0ElEEZNS1_24adjacent_difference_implIS3_Lb0ELb0EPlS7_N6thrust23THRUST_200600_302600_NS5minusIlEEEE10hipError_tPvRmT2_T3_mT4_P12ihipStream_tbEUlT_E_NS1_11comp_targetILNS1_3genE10ELNS1_11target_archE1201ELNS1_3gpuE5ELNS1_3repE0EEENS1_30default_config_static_selectorELNS0_4arch9wavefront6targetE0EEEvT1_
                                        ; -- End function
	.section	.AMDGPU.csdata,"",@progbits
; Kernel info:
; codeLenInByte = 0
; NumSgprs: 0
; NumVgprs: 0
; ScratchSize: 0
; MemoryBound: 0
; FloatMode: 240
; IeeeMode: 1
; LDSByteSize: 0 bytes/workgroup (compile time only)
; SGPRBlocks: 0
; VGPRBlocks: 0
; NumSGPRsForWavesPerEU: 1
; NumVGPRsForWavesPerEU: 1
; Occupancy: 16
; WaveLimiterHint : 0
; COMPUTE_PGM_RSRC2:SCRATCH_EN: 0
; COMPUTE_PGM_RSRC2:USER_SGPR: 15
; COMPUTE_PGM_RSRC2:TRAP_HANDLER: 0
; COMPUTE_PGM_RSRC2:TGID_X_EN: 1
; COMPUTE_PGM_RSRC2:TGID_Y_EN: 0
; COMPUTE_PGM_RSRC2:TGID_Z_EN: 0
; COMPUTE_PGM_RSRC2:TIDIG_COMP_CNT: 0
	.section	.text._ZN7rocprim17ROCPRIM_400000_NS6detail17trampoline_kernelINS0_14default_configENS1_35adjacent_difference_config_selectorILb0ElEEZNS1_24adjacent_difference_implIS3_Lb0ELb0EPlS7_N6thrust23THRUST_200600_302600_NS5minusIlEEEE10hipError_tPvRmT2_T3_mT4_P12ihipStream_tbEUlT_E_NS1_11comp_targetILNS1_3genE5ELNS1_11target_archE942ELNS1_3gpuE9ELNS1_3repE0EEENS1_30default_config_static_selectorELNS0_4arch9wavefront6targetE0EEEvT1_,"axG",@progbits,_ZN7rocprim17ROCPRIM_400000_NS6detail17trampoline_kernelINS0_14default_configENS1_35adjacent_difference_config_selectorILb0ElEEZNS1_24adjacent_difference_implIS3_Lb0ELb0EPlS7_N6thrust23THRUST_200600_302600_NS5minusIlEEEE10hipError_tPvRmT2_T3_mT4_P12ihipStream_tbEUlT_E_NS1_11comp_targetILNS1_3genE5ELNS1_11target_archE942ELNS1_3gpuE9ELNS1_3repE0EEENS1_30default_config_static_selectorELNS0_4arch9wavefront6targetE0EEEvT1_,comdat
	.protected	_ZN7rocprim17ROCPRIM_400000_NS6detail17trampoline_kernelINS0_14default_configENS1_35adjacent_difference_config_selectorILb0ElEEZNS1_24adjacent_difference_implIS3_Lb0ELb0EPlS7_N6thrust23THRUST_200600_302600_NS5minusIlEEEE10hipError_tPvRmT2_T3_mT4_P12ihipStream_tbEUlT_E_NS1_11comp_targetILNS1_3genE5ELNS1_11target_archE942ELNS1_3gpuE9ELNS1_3repE0EEENS1_30default_config_static_selectorELNS0_4arch9wavefront6targetE0EEEvT1_ ; -- Begin function _ZN7rocprim17ROCPRIM_400000_NS6detail17trampoline_kernelINS0_14default_configENS1_35adjacent_difference_config_selectorILb0ElEEZNS1_24adjacent_difference_implIS3_Lb0ELb0EPlS7_N6thrust23THRUST_200600_302600_NS5minusIlEEEE10hipError_tPvRmT2_T3_mT4_P12ihipStream_tbEUlT_E_NS1_11comp_targetILNS1_3genE5ELNS1_11target_archE942ELNS1_3gpuE9ELNS1_3repE0EEENS1_30default_config_static_selectorELNS0_4arch9wavefront6targetE0EEEvT1_
	.globl	_ZN7rocprim17ROCPRIM_400000_NS6detail17trampoline_kernelINS0_14default_configENS1_35adjacent_difference_config_selectorILb0ElEEZNS1_24adjacent_difference_implIS3_Lb0ELb0EPlS7_N6thrust23THRUST_200600_302600_NS5minusIlEEEE10hipError_tPvRmT2_T3_mT4_P12ihipStream_tbEUlT_E_NS1_11comp_targetILNS1_3genE5ELNS1_11target_archE942ELNS1_3gpuE9ELNS1_3repE0EEENS1_30default_config_static_selectorELNS0_4arch9wavefront6targetE0EEEvT1_
	.p2align	8
	.type	_ZN7rocprim17ROCPRIM_400000_NS6detail17trampoline_kernelINS0_14default_configENS1_35adjacent_difference_config_selectorILb0ElEEZNS1_24adjacent_difference_implIS3_Lb0ELb0EPlS7_N6thrust23THRUST_200600_302600_NS5minusIlEEEE10hipError_tPvRmT2_T3_mT4_P12ihipStream_tbEUlT_E_NS1_11comp_targetILNS1_3genE5ELNS1_11target_archE942ELNS1_3gpuE9ELNS1_3repE0EEENS1_30default_config_static_selectorELNS0_4arch9wavefront6targetE0EEEvT1_,@function
_ZN7rocprim17ROCPRIM_400000_NS6detail17trampoline_kernelINS0_14default_configENS1_35adjacent_difference_config_selectorILb0ElEEZNS1_24adjacent_difference_implIS3_Lb0ELb0EPlS7_N6thrust23THRUST_200600_302600_NS5minusIlEEEE10hipError_tPvRmT2_T3_mT4_P12ihipStream_tbEUlT_E_NS1_11comp_targetILNS1_3genE5ELNS1_11target_archE942ELNS1_3gpuE9ELNS1_3repE0EEENS1_30default_config_static_selectorELNS0_4arch9wavefront6targetE0EEEvT1_: ; @_ZN7rocprim17ROCPRIM_400000_NS6detail17trampoline_kernelINS0_14default_configENS1_35adjacent_difference_config_selectorILb0ElEEZNS1_24adjacent_difference_implIS3_Lb0ELb0EPlS7_N6thrust23THRUST_200600_302600_NS5minusIlEEEE10hipError_tPvRmT2_T3_mT4_P12ihipStream_tbEUlT_E_NS1_11comp_targetILNS1_3genE5ELNS1_11target_archE942ELNS1_3gpuE9ELNS1_3repE0EEENS1_30default_config_static_selectorELNS0_4arch9wavefront6targetE0EEEvT1_
; %bb.0:
	.section	.rodata,"a",@progbits
	.p2align	6, 0x0
	.amdhsa_kernel _ZN7rocprim17ROCPRIM_400000_NS6detail17trampoline_kernelINS0_14default_configENS1_35adjacent_difference_config_selectorILb0ElEEZNS1_24adjacent_difference_implIS3_Lb0ELb0EPlS7_N6thrust23THRUST_200600_302600_NS5minusIlEEEE10hipError_tPvRmT2_T3_mT4_P12ihipStream_tbEUlT_E_NS1_11comp_targetILNS1_3genE5ELNS1_11target_archE942ELNS1_3gpuE9ELNS1_3repE0EEENS1_30default_config_static_selectorELNS0_4arch9wavefront6targetE0EEEvT1_
		.amdhsa_group_segment_fixed_size 0
		.amdhsa_private_segment_fixed_size 0
		.amdhsa_kernarg_size 56
		.amdhsa_user_sgpr_count 15
		.amdhsa_user_sgpr_dispatch_ptr 0
		.amdhsa_user_sgpr_queue_ptr 0
		.amdhsa_user_sgpr_kernarg_segment_ptr 1
		.amdhsa_user_sgpr_dispatch_id 0
		.amdhsa_user_sgpr_private_segment_size 0
		.amdhsa_wavefront_size32 1
		.amdhsa_uses_dynamic_stack 0
		.amdhsa_enable_private_segment 0
		.amdhsa_system_sgpr_workgroup_id_x 1
		.amdhsa_system_sgpr_workgroup_id_y 0
		.amdhsa_system_sgpr_workgroup_id_z 0
		.amdhsa_system_sgpr_workgroup_info 0
		.amdhsa_system_vgpr_workitem_id 0
		.amdhsa_next_free_vgpr 1
		.amdhsa_next_free_sgpr 1
		.amdhsa_reserve_vcc 0
		.amdhsa_float_round_mode_32 0
		.amdhsa_float_round_mode_16_64 0
		.amdhsa_float_denorm_mode_32 3
		.amdhsa_float_denorm_mode_16_64 3
		.amdhsa_dx10_clamp 1
		.amdhsa_ieee_mode 1
		.amdhsa_fp16_overflow 0
		.amdhsa_workgroup_processor_mode 1
		.amdhsa_memory_ordered 1
		.amdhsa_forward_progress 0
		.amdhsa_shared_vgpr_count 0
		.amdhsa_exception_fp_ieee_invalid_op 0
		.amdhsa_exception_fp_denorm_src 0
		.amdhsa_exception_fp_ieee_div_zero 0
		.amdhsa_exception_fp_ieee_overflow 0
		.amdhsa_exception_fp_ieee_underflow 0
		.amdhsa_exception_fp_ieee_inexact 0
		.amdhsa_exception_int_div_zero 0
	.end_amdhsa_kernel
	.section	.text._ZN7rocprim17ROCPRIM_400000_NS6detail17trampoline_kernelINS0_14default_configENS1_35adjacent_difference_config_selectorILb0ElEEZNS1_24adjacent_difference_implIS3_Lb0ELb0EPlS7_N6thrust23THRUST_200600_302600_NS5minusIlEEEE10hipError_tPvRmT2_T3_mT4_P12ihipStream_tbEUlT_E_NS1_11comp_targetILNS1_3genE5ELNS1_11target_archE942ELNS1_3gpuE9ELNS1_3repE0EEENS1_30default_config_static_selectorELNS0_4arch9wavefront6targetE0EEEvT1_,"axG",@progbits,_ZN7rocprim17ROCPRIM_400000_NS6detail17trampoline_kernelINS0_14default_configENS1_35adjacent_difference_config_selectorILb0ElEEZNS1_24adjacent_difference_implIS3_Lb0ELb0EPlS7_N6thrust23THRUST_200600_302600_NS5minusIlEEEE10hipError_tPvRmT2_T3_mT4_P12ihipStream_tbEUlT_E_NS1_11comp_targetILNS1_3genE5ELNS1_11target_archE942ELNS1_3gpuE9ELNS1_3repE0EEENS1_30default_config_static_selectorELNS0_4arch9wavefront6targetE0EEEvT1_,comdat
.Lfunc_end238:
	.size	_ZN7rocprim17ROCPRIM_400000_NS6detail17trampoline_kernelINS0_14default_configENS1_35adjacent_difference_config_selectorILb0ElEEZNS1_24adjacent_difference_implIS3_Lb0ELb0EPlS7_N6thrust23THRUST_200600_302600_NS5minusIlEEEE10hipError_tPvRmT2_T3_mT4_P12ihipStream_tbEUlT_E_NS1_11comp_targetILNS1_3genE5ELNS1_11target_archE942ELNS1_3gpuE9ELNS1_3repE0EEENS1_30default_config_static_selectorELNS0_4arch9wavefront6targetE0EEEvT1_, .Lfunc_end238-_ZN7rocprim17ROCPRIM_400000_NS6detail17trampoline_kernelINS0_14default_configENS1_35adjacent_difference_config_selectorILb0ElEEZNS1_24adjacent_difference_implIS3_Lb0ELb0EPlS7_N6thrust23THRUST_200600_302600_NS5minusIlEEEE10hipError_tPvRmT2_T3_mT4_P12ihipStream_tbEUlT_E_NS1_11comp_targetILNS1_3genE5ELNS1_11target_archE942ELNS1_3gpuE9ELNS1_3repE0EEENS1_30default_config_static_selectorELNS0_4arch9wavefront6targetE0EEEvT1_
                                        ; -- End function
	.section	.AMDGPU.csdata,"",@progbits
; Kernel info:
; codeLenInByte = 0
; NumSgprs: 0
; NumVgprs: 0
; ScratchSize: 0
; MemoryBound: 0
; FloatMode: 240
; IeeeMode: 1
; LDSByteSize: 0 bytes/workgroup (compile time only)
; SGPRBlocks: 0
; VGPRBlocks: 0
; NumSGPRsForWavesPerEU: 1
; NumVGPRsForWavesPerEU: 1
; Occupancy: 16
; WaveLimiterHint : 0
; COMPUTE_PGM_RSRC2:SCRATCH_EN: 0
; COMPUTE_PGM_RSRC2:USER_SGPR: 15
; COMPUTE_PGM_RSRC2:TRAP_HANDLER: 0
; COMPUTE_PGM_RSRC2:TGID_X_EN: 1
; COMPUTE_PGM_RSRC2:TGID_Y_EN: 0
; COMPUTE_PGM_RSRC2:TGID_Z_EN: 0
; COMPUTE_PGM_RSRC2:TIDIG_COMP_CNT: 0
	.section	.text._ZN7rocprim17ROCPRIM_400000_NS6detail17trampoline_kernelINS0_14default_configENS1_35adjacent_difference_config_selectorILb0ElEEZNS1_24adjacent_difference_implIS3_Lb0ELb0EPlS7_N6thrust23THRUST_200600_302600_NS5minusIlEEEE10hipError_tPvRmT2_T3_mT4_P12ihipStream_tbEUlT_E_NS1_11comp_targetILNS1_3genE4ELNS1_11target_archE910ELNS1_3gpuE8ELNS1_3repE0EEENS1_30default_config_static_selectorELNS0_4arch9wavefront6targetE0EEEvT1_,"axG",@progbits,_ZN7rocprim17ROCPRIM_400000_NS6detail17trampoline_kernelINS0_14default_configENS1_35adjacent_difference_config_selectorILb0ElEEZNS1_24adjacent_difference_implIS3_Lb0ELb0EPlS7_N6thrust23THRUST_200600_302600_NS5minusIlEEEE10hipError_tPvRmT2_T3_mT4_P12ihipStream_tbEUlT_E_NS1_11comp_targetILNS1_3genE4ELNS1_11target_archE910ELNS1_3gpuE8ELNS1_3repE0EEENS1_30default_config_static_selectorELNS0_4arch9wavefront6targetE0EEEvT1_,comdat
	.protected	_ZN7rocprim17ROCPRIM_400000_NS6detail17trampoline_kernelINS0_14default_configENS1_35adjacent_difference_config_selectorILb0ElEEZNS1_24adjacent_difference_implIS3_Lb0ELb0EPlS7_N6thrust23THRUST_200600_302600_NS5minusIlEEEE10hipError_tPvRmT2_T3_mT4_P12ihipStream_tbEUlT_E_NS1_11comp_targetILNS1_3genE4ELNS1_11target_archE910ELNS1_3gpuE8ELNS1_3repE0EEENS1_30default_config_static_selectorELNS0_4arch9wavefront6targetE0EEEvT1_ ; -- Begin function _ZN7rocprim17ROCPRIM_400000_NS6detail17trampoline_kernelINS0_14default_configENS1_35adjacent_difference_config_selectorILb0ElEEZNS1_24adjacent_difference_implIS3_Lb0ELb0EPlS7_N6thrust23THRUST_200600_302600_NS5minusIlEEEE10hipError_tPvRmT2_T3_mT4_P12ihipStream_tbEUlT_E_NS1_11comp_targetILNS1_3genE4ELNS1_11target_archE910ELNS1_3gpuE8ELNS1_3repE0EEENS1_30default_config_static_selectorELNS0_4arch9wavefront6targetE0EEEvT1_
	.globl	_ZN7rocprim17ROCPRIM_400000_NS6detail17trampoline_kernelINS0_14default_configENS1_35adjacent_difference_config_selectorILb0ElEEZNS1_24adjacent_difference_implIS3_Lb0ELb0EPlS7_N6thrust23THRUST_200600_302600_NS5minusIlEEEE10hipError_tPvRmT2_T3_mT4_P12ihipStream_tbEUlT_E_NS1_11comp_targetILNS1_3genE4ELNS1_11target_archE910ELNS1_3gpuE8ELNS1_3repE0EEENS1_30default_config_static_selectorELNS0_4arch9wavefront6targetE0EEEvT1_
	.p2align	8
	.type	_ZN7rocprim17ROCPRIM_400000_NS6detail17trampoline_kernelINS0_14default_configENS1_35adjacent_difference_config_selectorILb0ElEEZNS1_24adjacent_difference_implIS3_Lb0ELb0EPlS7_N6thrust23THRUST_200600_302600_NS5minusIlEEEE10hipError_tPvRmT2_T3_mT4_P12ihipStream_tbEUlT_E_NS1_11comp_targetILNS1_3genE4ELNS1_11target_archE910ELNS1_3gpuE8ELNS1_3repE0EEENS1_30default_config_static_selectorELNS0_4arch9wavefront6targetE0EEEvT1_,@function
_ZN7rocprim17ROCPRIM_400000_NS6detail17trampoline_kernelINS0_14default_configENS1_35adjacent_difference_config_selectorILb0ElEEZNS1_24adjacent_difference_implIS3_Lb0ELb0EPlS7_N6thrust23THRUST_200600_302600_NS5minusIlEEEE10hipError_tPvRmT2_T3_mT4_P12ihipStream_tbEUlT_E_NS1_11comp_targetILNS1_3genE4ELNS1_11target_archE910ELNS1_3gpuE8ELNS1_3repE0EEENS1_30default_config_static_selectorELNS0_4arch9wavefront6targetE0EEEvT1_: ; @_ZN7rocprim17ROCPRIM_400000_NS6detail17trampoline_kernelINS0_14default_configENS1_35adjacent_difference_config_selectorILb0ElEEZNS1_24adjacent_difference_implIS3_Lb0ELb0EPlS7_N6thrust23THRUST_200600_302600_NS5minusIlEEEE10hipError_tPvRmT2_T3_mT4_P12ihipStream_tbEUlT_E_NS1_11comp_targetILNS1_3genE4ELNS1_11target_archE910ELNS1_3gpuE8ELNS1_3repE0EEENS1_30default_config_static_selectorELNS0_4arch9wavefront6targetE0EEEvT1_
; %bb.0:
	.section	.rodata,"a",@progbits
	.p2align	6, 0x0
	.amdhsa_kernel _ZN7rocprim17ROCPRIM_400000_NS6detail17trampoline_kernelINS0_14default_configENS1_35adjacent_difference_config_selectorILb0ElEEZNS1_24adjacent_difference_implIS3_Lb0ELb0EPlS7_N6thrust23THRUST_200600_302600_NS5minusIlEEEE10hipError_tPvRmT2_T3_mT4_P12ihipStream_tbEUlT_E_NS1_11comp_targetILNS1_3genE4ELNS1_11target_archE910ELNS1_3gpuE8ELNS1_3repE0EEENS1_30default_config_static_selectorELNS0_4arch9wavefront6targetE0EEEvT1_
		.amdhsa_group_segment_fixed_size 0
		.amdhsa_private_segment_fixed_size 0
		.amdhsa_kernarg_size 56
		.amdhsa_user_sgpr_count 15
		.amdhsa_user_sgpr_dispatch_ptr 0
		.amdhsa_user_sgpr_queue_ptr 0
		.amdhsa_user_sgpr_kernarg_segment_ptr 1
		.amdhsa_user_sgpr_dispatch_id 0
		.amdhsa_user_sgpr_private_segment_size 0
		.amdhsa_wavefront_size32 1
		.amdhsa_uses_dynamic_stack 0
		.amdhsa_enable_private_segment 0
		.amdhsa_system_sgpr_workgroup_id_x 1
		.amdhsa_system_sgpr_workgroup_id_y 0
		.amdhsa_system_sgpr_workgroup_id_z 0
		.amdhsa_system_sgpr_workgroup_info 0
		.amdhsa_system_vgpr_workitem_id 0
		.amdhsa_next_free_vgpr 1
		.amdhsa_next_free_sgpr 1
		.amdhsa_reserve_vcc 0
		.amdhsa_float_round_mode_32 0
		.amdhsa_float_round_mode_16_64 0
		.amdhsa_float_denorm_mode_32 3
		.amdhsa_float_denorm_mode_16_64 3
		.amdhsa_dx10_clamp 1
		.amdhsa_ieee_mode 1
		.amdhsa_fp16_overflow 0
		.amdhsa_workgroup_processor_mode 1
		.amdhsa_memory_ordered 1
		.amdhsa_forward_progress 0
		.amdhsa_shared_vgpr_count 0
		.amdhsa_exception_fp_ieee_invalid_op 0
		.amdhsa_exception_fp_denorm_src 0
		.amdhsa_exception_fp_ieee_div_zero 0
		.amdhsa_exception_fp_ieee_overflow 0
		.amdhsa_exception_fp_ieee_underflow 0
		.amdhsa_exception_fp_ieee_inexact 0
		.amdhsa_exception_int_div_zero 0
	.end_amdhsa_kernel
	.section	.text._ZN7rocprim17ROCPRIM_400000_NS6detail17trampoline_kernelINS0_14default_configENS1_35adjacent_difference_config_selectorILb0ElEEZNS1_24adjacent_difference_implIS3_Lb0ELb0EPlS7_N6thrust23THRUST_200600_302600_NS5minusIlEEEE10hipError_tPvRmT2_T3_mT4_P12ihipStream_tbEUlT_E_NS1_11comp_targetILNS1_3genE4ELNS1_11target_archE910ELNS1_3gpuE8ELNS1_3repE0EEENS1_30default_config_static_selectorELNS0_4arch9wavefront6targetE0EEEvT1_,"axG",@progbits,_ZN7rocprim17ROCPRIM_400000_NS6detail17trampoline_kernelINS0_14default_configENS1_35adjacent_difference_config_selectorILb0ElEEZNS1_24adjacent_difference_implIS3_Lb0ELb0EPlS7_N6thrust23THRUST_200600_302600_NS5minusIlEEEE10hipError_tPvRmT2_T3_mT4_P12ihipStream_tbEUlT_E_NS1_11comp_targetILNS1_3genE4ELNS1_11target_archE910ELNS1_3gpuE8ELNS1_3repE0EEENS1_30default_config_static_selectorELNS0_4arch9wavefront6targetE0EEEvT1_,comdat
.Lfunc_end239:
	.size	_ZN7rocprim17ROCPRIM_400000_NS6detail17trampoline_kernelINS0_14default_configENS1_35adjacent_difference_config_selectorILb0ElEEZNS1_24adjacent_difference_implIS3_Lb0ELb0EPlS7_N6thrust23THRUST_200600_302600_NS5minusIlEEEE10hipError_tPvRmT2_T3_mT4_P12ihipStream_tbEUlT_E_NS1_11comp_targetILNS1_3genE4ELNS1_11target_archE910ELNS1_3gpuE8ELNS1_3repE0EEENS1_30default_config_static_selectorELNS0_4arch9wavefront6targetE0EEEvT1_, .Lfunc_end239-_ZN7rocprim17ROCPRIM_400000_NS6detail17trampoline_kernelINS0_14default_configENS1_35adjacent_difference_config_selectorILb0ElEEZNS1_24adjacent_difference_implIS3_Lb0ELb0EPlS7_N6thrust23THRUST_200600_302600_NS5minusIlEEEE10hipError_tPvRmT2_T3_mT4_P12ihipStream_tbEUlT_E_NS1_11comp_targetILNS1_3genE4ELNS1_11target_archE910ELNS1_3gpuE8ELNS1_3repE0EEENS1_30default_config_static_selectorELNS0_4arch9wavefront6targetE0EEEvT1_
                                        ; -- End function
	.section	.AMDGPU.csdata,"",@progbits
; Kernel info:
; codeLenInByte = 0
; NumSgprs: 0
; NumVgprs: 0
; ScratchSize: 0
; MemoryBound: 0
; FloatMode: 240
; IeeeMode: 1
; LDSByteSize: 0 bytes/workgroup (compile time only)
; SGPRBlocks: 0
; VGPRBlocks: 0
; NumSGPRsForWavesPerEU: 1
; NumVGPRsForWavesPerEU: 1
; Occupancy: 16
; WaveLimiterHint : 0
; COMPUTE_PGM_RSRC2:SCRATCH_EN: 0
; COMPUTE_PGM_RSRC2:USER_SGPR: 15
; COMPUTE_PGM_RSRC2:TRAP_HANDLER: 0
; COMPUTE_PGM_RSRC2:TGID_X_EN: 1
; COMPUTE_PGM_RSRC2:TGID_Y_EN: 0
; COMPUTE_PGM_RSRC2:TGID_Z_EN: 0
; COMPUTE_PGM_RSRC2:TIDIG_COMP_CNT: 0
	.section	.text._ZN7rocprim17ROCPRIM_400000_NS6detail17trampoline_kernelINS0_14default_configENS1_35adjacent_difference_config_selectorILb0ElEEZNS1_24adjacent_difference_implIS3_Lb0ELb0EPlS7_N6thrust23THRUST_200600_302600_NS5minusIlEEEE10hipError_tPvRmT2_T3_mT4_P12ihipStream_tbEUlT_E_NS1_11comp_targetILNS1_3genE3ELNS1_11target_archE908ELNS1_3gpuE7ELNS1_3repE0EEENS1_30default_config_static_selectorELNS0_4arch9wavefront6targetE0EEEvT1_,"axG",@progbits,_ZN7rocprim17ROCPRIM_400000_NS6detail17trampoline_kernelINS0_14default_configENS1_35adjacent_difference_config_selectorILb0ElEEZNS1_24adjacent_difference_implIS3_Lb0ELb0EPlS7_N6thrust23THRUST_200600_302600_NS5minusIlEEEE10hipError_tPvRmT2_T3_mT4_P12ihipStream_tbEUlT_E_NS1_11comp_targetILNS1_3genE3ELNS1_11target_archE908ELNS1_3gpuE7ELNS1_3repE0EEENS1_30default_config_static_selectorELNS0_4arch9wavefront6targetE0EEEvT1_,comdat
	.protected	_ZN7rocprim17ROCPRIM_400000_NS6detail17trampoline_kernelINS0_14default_configENS1_35adjacent_difference_config_selectorILb0ElEEZNS1_24adjacent_difference_implIS3_Lb0ELb0EPlS7_N6thrust23THRUST_200600_302600_NS5minusIlEEEE10hipError_tPvRmT2_T3_mT4_P12ihipStream_tbEUlT_E_NS1_11comp_targetILNS1_3genE3ELNS1_11target_archE908ELNS1_3gpuE7ELNS1_3repE0EEENS1_30default_config_static_selectorELNS0_4arch9wavefront6targetE0EEEvT1_ ; -- Begin function _ZN7rocprim17ROCPRIM_400000_NS6detail17trampoline_kernelINS0_14default_configENS1_35adjacent_difference_config_selectorILb0ElEEZNS1_24adjacent_difference_implIS3_Lb0ELb0EPlS7_N6thrust23THRUST_200600_302600_NS5minusIlEEEE10hipError_tPvRmT2_T3_mT4_P12ihipStream_tbEUlT_E_NS1_11comp_targetILNS1_3genE3ELNS1_11target_archE908ELNS1_3gpuE7ELNS1_3repE0EEENS1_30default_config_static_selectorELNS0_4arch9wavefront6targetE0EEEvT1_
	.globl	_ZN7rocprim17ROCPRIM_400000_NS6detail17trampoline_kernelINS0_14default_configENS1_35adjacent_difference_config_selectorILb0ElEEZNS1_24adjacent_difference_implIS3_Lb0ELb0EPlS7_N6thrust23THRUST_200600_302600_NS5minusIlEEEE10hipError_tPvRmT2_T3_mT4_P12ihipStream_tbEUlT_E_NS1_11comp_targetILNS1_3genE3ELNS1_11target_archE908ELNS1_3gpuE7ELNS1_3repE0EEENS1_30default_config_static_selectorELNS0_4arch9wavefront6targetE0EEEvT1_
	.p2align	8
	.type	_ZN7rocprim17ROCPRIM_400000_NS6detail17trampoline_kernelINS0_14default_configENS1_35adjacent_difference_config_selectorILb0ElEEZNS1_24adjacent_difference_implIS3_Lb0ELb0EPlS7_N6thrust23THRUST_200600_302600_NS5minusIlEEEE10hipError_tPvRmT2_T3_mT4_P12ihipStream_tbEUlT_E_NS1_11comp_targetILNS1_3genE3ELNS1_11target_archE908ELNS1_3gpuE7ELNS1_3repE0EEENS1_30default_config_static_selectorELNS0_4arch9wavefront6targetE0EEEvT1_,@function
_ZN7rocprim17ROCPRIM_400000_NS6detail17trampoline_kernelINS0_14default_configENS1_35adjacent_difference_config_selectorILb0ElEEZNS1_24adjacent_difference_implIS3_Lb0ELb0EPlS7_N6thrust23THRUST_200600_302600_NS5minusIlEEEE10hipError_tPvRmT2_T3_mT4_P12ihipStream_tbEUlT_E_NS1_11comp_targetILNS1_3genE3ELNS1_11target_archE908ELNS1_3gpuE7ELNS1_3repE0EEENS1_30default_config_static_selectorELNS0_4arch9wavefront6targetE0EEEvT1_: ; @_ZN7rocprim17ROCPRIM_400000_NS6detail17trampoline_kernelINS0_14default_configENS1_35adjacent_difference_config_selectorILb0ElEEZNS1_24adjacent_difference_implIS3_Lb0ELb0EPlS7_N6thrust23THRUST_200600_302600_NS5minusIlEEEE10hipError_tPvRmT2_T3_mT4_P12ihipStream_tbEUlT_E_NS1_11comp_targetILNS1_3genE3ELNS1_11target_archE908ELNS1_3gpuE7ELNS1_3repE0EEENS1_30default_config_static_selectorELNS0_4arch9wavefront6targetE0EEEvT1_
; %bb.0:
	.section	.rodata,"a",@progbits
	.p2align	6, 0x0
	.amdhsa_kernel _ZN7rocprim17ROCPRIM_400000_NS6detail17trampoline_kernelINS0_14default_configENS1_35adjacent_difference_config_selectorILb0ElEEZNS1_24adjacent_difference_implIS3_Lb0ELb0EPlS7_N6thrust23THRUST_200600_302600_NS5minusIlEEEE10hipError_tPvRmT2_T3_mT4_P12ihipStream_tbEUlT_E_NS1_11comp_targetILNS1_3genE3ELNS1_11target_archE908ELNS1_3gpuE7ELNS1_3repE0EEENS1_30default_config_static_selectorELNS0_4arch9wavefront6targetE0EEEvT1_
		.amdhsa_group_segment_fixed_size 0
		.amdhsa_private_segment_fixed_size 0
		.amdhsa_kernarg_size 56
		.amdhsa_user_sgpr_count 15
		.amdhsa_user_sgpr_dispatch_ptr 0
		.amdhsa_user_sgpr_queue_ptr 0
		.amdhsa_user_sgpr_kernarg_segment_ptr 1
		.amdhsa_user_sgpr_dispatch_id 0
		.amdhsa_user_sgpr_private_segment_size 0
		.amdhsa_wavefront_size32 1
		.amdhsa_uses_dynamic_stack 0
		.amdhsa_enable_private_segment 0
		.amdhsa_system_sgpr_workgroup_id_x 1
		.amdhsa_system_sgpr_workgroup_id_y 0
		.amdhsa_system_sgpr_workgroup_id_z 0
		.amdhsa_system_sgpr_workgroup_info 0
		.amdhsa_system_vgpr_workitem_id 0
		.amdhsa_next_free_vgpr 1
		.amdhsa_next_free_sgpr 1
		.amdhsa_reserve_vcc 0
		.amdhsa_float_round_mode_32 0
		.amdhsa_float_round_mode_16_64 0
		.amdhsa_float_denorm_mode_32 3
		.amdhsa_float_denorm_mode_16_64 3
		.amdhsa_dx10_clamp 1
		.amdhsa_ieee_mode 1
		.amdhsa_fp16_overflow 0
		.amdhsa_workgroup_processor_mode 1
		.amdhsa_memory_ordered 1
		.amdhsa_forward_progress 0
		.amdhsa_shared_vgpr_count 0
		.amdhsa_exception_fp_ieee_invalid_op 0
		.amdhsa_exception_fp_denorm_src 0
		.amdhsa_exception_fp_ieee_div_zero 0
		.amdhsa_exception_fp_ieee_overflow 0
		.amdhsa_exception_fp_ieee_underflow 0
		.amdhsa_exception_fp_ieee_inexact 0
		.amdhsa_exception_int_div_zero 0
	.end_amdhsa_kernel
	.section	.text._ZN7rocprim17ROCPRIM_400000_NS6detail17trampoline_kernelINS0_14default_configENS1_35adjacent_difference_config_selectorILb0ElEEZNS1_24adjacent_difference_implIS3_Lb0ELb0EPlS7_N6thrust23THRUST_200600_302600_NS5minusIlEEEE10hipError_tPvRmT2_T3_mT4_P12ihipStream_tbEUlT_E_NS1_11comp_targetILNS1_3genE3ELNS1_11target_archE908ELNS1_3gpuE7ELNS1_3repE0EEENS1_30default_config_static_selectorELNS0_4arch9wavefront6targetE0EEEvT1_,"axG",@progbits,_ZN7rocprim17ROCPRIM_400000_NS6detail17trampoline_kernelINS0_14default_configENS1_35adjacent_difference_config_selectorILb0ElEEZNS1_24adjacent_difference_implIS3_Lb0ELb0EPlS7_N6thrust23THRUST_200600_302600_NS5minusIlEEEE10hipError_tPvRmT2_T3_mT4_P12ihipStream_tbEUlT_E_NS1_11comp_targetILNS1_3genE3ELNS1_11target_archE908ELNS1_3gpuE7ELNS1_3repE0EEENS1_30default_config_static_selectorELNS0_4arch9wavefront6targetE0EEEvT1_,comdat
.Lfunc_end240:
	.size	_ZN7rocprim17ROCPRIM_400000_NS6detail17trampoline_kernelINS0_14default_configENS1_35adjacent_difference_config_selectorILb0ElEEZNS1_24adjacent_difference_implIS3_Lb0ELb0EPlS7_N6thrust23THRUST_200600_302600_NS5minusIlEEEE10hipError_tPvRmT2_T3_mT4_P12ihipStream_tbEUlT_E_NS1_11comp_targetILNS1_3genE3ELNS1_11target_archE908ELNS1_3gpuE7ELNS1_3repE0EEENS1_30default_config_static_selectorELNS0_4arch9wavefront6targetE0EEEvT1_, .Lfunc_end240-_ZN7rocprim17ROCPRIM_400000_NS6detail17trampoline_kernelINS0_14default_configENS1_35adjacent_difference_config_selectorILb0ElEEZNS1_24adjacent_difference_implIS3_Lb0ELb0EPlS7_N6thrust23THRUST_200600_302600_NS5minusIlEEEE10hipError_tPvRmT2_T3_mT4_P12ihipStream_tbEUlT_E_NS1_11comp_targetILNS1_3genE3ELNS1_11target_archE908ELNS1_3gpuE7ELNS1_3repE0EEENS1_30default_config_static_selectorELNS0_4arch9wavefront6targetE0EEEvT1_
                                        ; -- End function
	.section	.AMDGPU.csdata,"",@progbits
; Kernel info:
; codeLenInByte = 0
; NumSgprs: 0
; NumVgprs: 0
; ScratchSize: 0
; MemoryBound: 0
; FloatMode: 240
; IeeeMode: 1
; LDSByteSize: 0 bytes/workgroup (compile time only)
; SGPRBlocks: 0
; VGPRBlocks: 0
; NumSGPRsForWavesPerEU: 1
; NumVGPRsForWavesPerEU: 1
; Occupancy: 16
; WaveLimiterHint : 0
; COMPUTE_PGM_RSRC2:SCRATCH_EN: 0
; COMPUTE_PGM_RSRC2:USER_SGPR: 15
; COMPUTE_PGM_RSRC2:TRAP_HANDLER: 0
; COMPUTE_PGM_RSRC2:TGID_X_EN: 1
; COMPUTE_PGM_RSRC2:TGID_Y_EN: 0
; COMPUTE_PGM_RSRC2:TGID_Z_EN: 0
; COMPUTE_PGM_RSRC2:TIDIG_COMP_CNT: 0
	.section	.text._ZN7rocprim17ROCPRIM_400000_NS6detail17trampoline_kernelINS0_14default_configENS1_35adjacent_difference_config_selectorILb0ElEEZNS1_24adjacent_difference_implIS3_Lb0ELb0EPlS7_N6thrust23THRUST_200600_302600_NS5minusIlEEEE10hipError_tPvRmT2_T3_mT4_P12ihipStream_tbEUlT_E_NS1_11comp_targetILNS1_3genE2ELNS1_11target_archE906ELNS1_3gpuE6ELNS1_3repE0EEENS1_30default_config_static_selectorELNS0_4arch9wavefront6targetE0EEEvT1_,"axG",@progbits,_ZN7rocprim17ROCPRIM_400000_NS6detail17trampoline_kernelINS0_14default_configENS1_35adjacent_difference_config_selectorILb0ElEEZNS1_24adjacent_difference_implIS3_Lb0ELb0EPlS7_N6thrust23THRUST_200600_302600_NS5minusIlEEEE10hipError_tPvRmT2_T3_mT4_P12ihipStream_tbEUlT_E_NS1_11comp_targetILNS1_3genE2ELNS1_11target_archE906ELNS1_3gpuE6ELNS1_3repE0EEENS1_30default_config_static_selectorELNS0_4arch9wavefront6targetE0EEEvT1_,comdat
	.protected	_ZN7rocprim17ROCPRIM_400000_NS6detail17trampoline_kernelINS0_14default_configENS1_35adjacent_difference_config_selectorILb0ElEEZNS1_24adjacent_difference_implIS3_Lb0ELb0EPlS7_N6thrust23THRUST_200600_302600_NS5minusIlEEEE10hipError_tPvRmT2_T3_mT4_P12ihipStream_tbEUlT_E_NS1_11comp_targetILNS1_3genE2ELNS1_11target_archE906ELNS1_3gpuE6ELNS1_3repE0EEENS1_30default_config_static_selectorELNS0_4arch9wavefront6targetE0EEEvT1_ ; -- Begin function _ZN7rocprim17ROCPRIM_400000_NS6detail17trampoline_kernelINS0_14default_configENS1_35adjacent_difference_config_selectorILb0ElEEZNS1_24adjacent_difference_implIS3_Lb0ELb0EPlS7_N6thrust23THRUST_200600_302600_NS5minusIlEEEE10hipError_tPvRmT2_T3_mT4_P12ihipStream_tbEUlT_E_NS1_11comp_targetILNS1_3genE2ELNS1_11target_archE906ELNS1_3gpuE6ELNS1_3repE0EEENS1_30default_config_static_selectorELNS0_4arch9wavefront6targetE0EEEvT1_
	.globl	_ZN7rocprim17ROCPRIM_400000_NS6detail17trampoline_kernelINS0_14default_configENS1_35adjacent_difference_config_selectorILb0ElEEZNS1_24adjacent_difference_implIS3_Lb0ELb0EPlS7_N6thrust23THRUST_200600_302600_NS5minusIlEEEE10hipError_tPvRmT2_T3_mT4_P12ihipStream_tbEUlT_E_NS1_11comp_targetILNS1_3genE2ELNS1_11target_archE906ELNS1_3gpuE6ELNS1_3repE0EEENS1_30default_config_static_selectorELNS0_4arch9wavefront6targetE0EEEvT1_
	.p2align	8
	.type	_ZN7rocprim17ROCPRIM_400000_NS6detail17trampoline_kernelINS0_14default_configENS1_35adjacent_difference_config_selectorILb0ElEEZNS1_24adjacent_difference_implIS3_Lb0ELb0EPlS7_N6thrust23THRUST_200600_302600_NS5minusIlEEEE10hipError_tPvRmT2_T3_mT4_P12ihipStream_tbEUlT_E_NS1_11comp_targetILNS1_3genE2ELNS1_11target_archE906ELNS1_3gpuE6ELNS1_3repE0EEENS1_30default_config_static_selectorELNS0_4arch9wavefront6targetE0EEEvT1_,@function
_ZN7rocprim17ROCPRIM_400000_NS6detail17trampoline_kernelINS0_14default_configENS1_35adjacent_difference_config_selectorILb0ElEEZNS1_24adjacent_difference_implIS3_Lb0ELb0EPlS7_N6thrust23THRUST_200600_302600_NS5minusIlEEEE10hipError_tPvRmT2_T3_mT4_P12ihipStream_tbEUlT_E_NS1_11comp_targetILNS1_3genE2ELNS1_11target_archE906ELNS1_3gpuE6ELNS1_3repE0EEENS1_30default_config_static_selectorELNS0_4arch9wavefront6targetE0EEEvT1_: ; @_ZN7rocprim17ROCPRIM_400000_NS6detail17trampoline_kernelINS0_14default_configENS1_35adjacent_difference_config_selectorILb0ElEEZNS1_24adjacent_difference_implIS3_Lb0ELb0EPlS7_N6thrust23THRUST_200600_302600_NS5minusIlEEEE10hipError_tPvRmT2_T3_mT4_P12ihipStream_tbEUlT_E_NS1_11comp_targetILNS1_3genE2ELNS1_11target_archE906ELNS1_3gpuE6ELNS1_3repE0EEENS1_30default_config_static_selectorELNS0_4arch9wavefront6targetE0EEEvT1_
; %bb.0:
	.section	.rodata,"a",@progbits
	.p2align	6, 0x0
	.amdhsa_kernel _ZN7rocprim17ROCPRIM_400000_NS6detail17trampoline_kernelINS0_14default_configENS1_35adjacent_difference_config_selectorILb0ElEEZNS1_24adjacent_difference_implIS3_Lb0ELb0EPlS7_N6thrust23THRUST_200600_302600_NS5minusIlEEEE10hipError_tPvRmT2_T3_mT4_P12ihipStream_tbEUlT_E_NS1_11comp_targetILNS1_3genE2ELNS1_11target_archE906ELNS1_3gpuE6ELNS1_3repE0EEENS1_30default_config_static_selectorELNS0_4arch9wavefront6targetE0EEEvT1_
		.amdhsa_group_segment_fixed_size 0
		.amdhsa_private_segment_fixed_size 0
		.amdhsa_kernarg_size 56
		.amdhsa_user_sgpr_count 15
		.amdhsa_user_sgpr_dispatch_ptr 0
		.amdhsa_user_sgpr_queue_ptr 0
		.amdhsa_user_sgpr_kernarg_segment_ptr 1
		.amdhsa_user_sgpr_dispatch_id 0
		.amdhsa_user_sgpr_private_segment_size 0
		.amdhsa_wavefront_size32 1
		.amdhsa_uses_dynamic_stack 0
		.amdhsa_enable_private_segment 0
		.amdhsa_system_sgpr_workgroup_id_x 1
		.amdhsa_system_sgpr_workgroup_id_y 0
		.amdhsa_system_sgpr_workgroup_id_z 0
		.amdhsa_system_sgpr_workgroup_info 0
		.amdhsa_system_vgpr_workitem_id 0
		.amdhsa_next_free_vgpr 1
		.amdhsa_next_free_sgpr 1
		.amdhsa_reserve_vcc 0
		.amdhsa_float_round_mode_32 0
		.amdhsa_float_round_mode_16_64 0
		.amdhsa_float_denorm_mode_32 3
		.amdhsa_float_denorm_mode_16_64 3
		.amdhsa_dx10_clamp 1
		.amdhsa_ieee_mode 1
		.amdhsa_fp16_overflow 0
		.amdhsa_workgroup_processor_mode 1
		.amdhsa_memory_ordered 1
		.amdhsa_forward_progress 0
		.amdhsa_shared_vgpr_count 0
		.amdhsa_exception_fp_ieee_invalid_op 0
		.amdhsa_exception_fp_denorm_src 0
		.amdhsa_exception_fp_ieee_div_zero 0
		.amdhsa_exception_fp_ieee_overflow 0
		.amdhsa_exception_fp_ieee_underflow 0
		.amdhsa_exception_fp_ieee_inexact 0
		.amdhsa_exception_int_div_zero 0
	.end_amdhsa_kernel
	.section	.text._ZN7rocprim17ROCPRIM_400000_NS6detail17trampoline_kernelINS0_14default_configENS1_35adjacent_difference_config_selectorILb0ElEEZNS1_24adjacent_difference_implIS3_Lb0ELb0EPlS7_N6thrust23THRUST_200600_302600_NS5minusIlEEEE10hipError_tPvRmT2_T3_mT4_P12ihipStream_tbEUlT_E_NS1_11comp_targetILNS1_3genE2ELNS1_11target_archE906ELNS1_3gpuE6ELNS1_3repE0EEENS1_30default_config_static_selectorELNS0_4arch9wavefront6targetE0EEEvT1_,"axG",@progbits,_ZN7rocprim17ROCPRIM_400000_NS6detail17trampoline_kernelINS0_14default_configENS1_35adjacent_difference_config_selectorILb0ElEEZNS1_24adjacent_difference_implIS3_Lb0ELb0EPlS7_N6thrust23THRUST_200600_302600_NS5minusIlEEEE10hipError_tPvRmT2_T3_mT4_P12ihipStream_tbEUlT_E_NS1_11comp_targetILNS1_3genE2ELNS1_11target_archE906ELNS1_3gpuE6ELNS1_3repE0EEENS1_30default_config_static_selectorELNS0_4arch9wavefront6targetE0EEEvT1_,comdat
.Lfunc_end241:
	.size	_ZN7rocprim17ROCPRIM_400000_NS6detail17trampoline_kernelINS0_14default_configENS1_35adjacent_difference_config_selectorILb0ElEEZNS1_24adjacent_difference_implIS3_Lb0ELb0EPlS7_N6thrust23THRUST_200600_302600_NS5minusIlEEEE10hipError_tPvRmT2_T3_mT4_P12ihipStream_tbEUlT_E_NS1_11comp_targetILNS1_3genE2ELNS1_11target_archE906ELNS1_3gpuE6ELNS1_3repE0EEENS1_30default_config_static_selectorELNS0_4arch9wavefront6targetE0EEEvT1_, .Lfunc_end241-_ZN7rocprim17ROCPRIM_400000_NS6detail17trampoline_kernelINS0_14default_configENS1_35adjacent_difference_config_selectorILb0ElEEZNS1_24adjacent_difference_implIS3_Lb0ELb0EPlS7_N6thrust23THRUST_200600_302600_NS5minusIlEEEE10hipError_tPvRmT2_T3_mT4_P12ihipStream_tbEUlT_E_NS1_11comp_targetILNS1_3genE2ELNS1_11target_archE906ELNS1_3gpuE6ELNS1_3repE0EEENS1_30default_config_static_selectorELNS0_4arch9wavefront6targetE0EEEvT1_
                                        ; -- End function
	.section	.AMDGPU.csdata,"",@progbits
; Kernel info:
; codeLenInByte = 0
; NumSgprs: 0
; NumVgprs: 0
; ScratchSize: 0
; MemoryBound: 0
; FloatMode: 240
; IeeeMode: 1
; LDSByteSize: 0 bytes/workgroup (compile time only)
; SGPRBlocks: 0
; VGPRBlocks: 0
; NumSGPRsForWavesPerEU: 1
; NumVGPRsForWavesPerEU: 1
; Occupancy: 16
; WaveLimiterHint : 0
; COMPUTE_PGM_RSRC2:SCRATCH_EN: 0
; COMPUTE_PGM_RSRC2:USER_SGPR: 15
; COMPUTE_PGM_RSRC2:TRAP_HANDLER: 0
; COMPUTE_PGM_RSRC2:TGID_X_EN: 1
; COMPUTE_PGM_RSRC2:TGID_Y_EN: 0
; COMPUTE_PGM_RSRC2:TGID_Z_EN: 0
; COMPUTE_PGM_RSRC2:TIDIG_COMP_CNT: 0
	.section	.text._ZN7rocprim17ROCPRIM_400000_NS6detail17trampoline_kernelINS0_14default_configENS1_35adjacent_difference_config_selectorILb0ElEEZNS1_24adjacent_difference_implIS3_Lb0ELb0EPlS7_N6thrust23THRUST_200600_302600_NS5minusIlEEEE10hipError_tPvRmT2_T3_mT4_P12ihipStream_tbEUlT_E_NS1_11comp_targetILNS1_3genE9ELNS1_11target_archE1100ELNS1_3gpuE3ELNS1_3repE0EEENS1_30default_config_static_selectorELNS0_4arch9wavefront6targetE0EEEvT1_,"axG",@progbits,_ZN7rocprim17ROCPRIM_400000_NS6detail17trampoline_kernelINS0_14default_configENS1_35adjacent_difference_config_selectorILb0ElEEZNS1_24adjacent_difference_implIS3_Lb0ELb0EPlS7_N6thrust23THRUST_200600_302600_NS5minusIlEEEE10hipError_tPvRmT2_T3_mT4_P12ihipStream_tbEUlT_E_NS1_11comp_targetILNS1_3genE9ELNS1_11target_archE1100ELNS1_3gpuE3ELNS1_3repE0EEENS1_30default_config_static_selectorELNS0_4arch9wavefront6targetE0EEEvT1_,comdat
	.protected	_ZN7rocprim17ROCPRIM_400000_NS6detail17trampoline_kernelINS0_14default_configENS1_35adjacent_difference_config_selectorILb0ElEEZNS1_24adjacent_difference_implIS3_Lb0ELb0EPlS7_N6thrust23THRUST_200600_302600_NS5minusIlEEEE10hipError_tPvRmT2_T3_mT4_P12ihipStream_tbEUlT_E_NS1_11comp_targetILNS1_3genE9ELNS1_11target_archE1100ELNS1_3gpuE3ELNS1_3repE0EEENS1_30default_config_static_selectorELNS0_4arch9wavefront6targetE0EEEvT1_ ; -- Begin function _ZN7rocprim17ROCPRIM_400000_NS6detail17trampoline_kernelINS0_14default_configENS1_35adjacent_difference_config_selectorILb0ElEEZNS1_24adjacent_difference_implIS3_Lb0ELb0EPlS7_N6thrust23THRUST_200600_302600_NS5minusIlEEEE10hipError_tPvRmT2_T3_mT4_P12ihipStream_tbEUlT_E_NS1_11comp_targetILNS1_3genE9ELNS1_11target_archE1100ELNS1_3gpuE3ELNS1_3repE0EEENS1_30default_config_static_selectorELNS0_4arch9wavefront6targetE0EEEvT1_
	.globl	_ZN7rocprim17ROCPRIM_400000_NS6detail17trampoline_kernelINS0_14default_configENS1_35adjacent_difference_config_selectorILb0ElEEZNS1_24adjacent_difference_implIS3_Lb0ELb0EPlS7_N6thrust23THRUST_200600_302600_NS5minusIlEEEE10hipError_tPvRmT2_T3_mT4_P12ihipStream_tbEUlT_E_NS1_11comp_targetILNS1_3genE9ELNS1_11target_archE1100ELNS1_3gpuE3ELNS1_3repE0EEENS1_30default_config_static_selectorELNS0_4arch9wavefront6targetE0EEEvT1_
	.p2align	8
	.type	_ZN7rocprim17ROCPRIM_400000_NS6detail17trampoline_kernelINS0_14default_configENS1_35adjacent_difference_config_selectorILb0ElEEZNS1_24adjacent_difference_implIS3_Lb0ELb0EPlS7_N6thrust23THRUST_200600_302600_NS5minusIlEEEE10hipError_tPvRmT2_T3_mT4_P12ihipStream_tbEUlT_E_NS1_11comp_targetILNS1_3genE9ELNS1_11target_archE1100ELNS1_3gpuE3ELNS1_3repE0EEENS1_30default_config_static_selectorELNS0_4arch9wavefront6targetE0EEEvT1_,@function
_ZN7rocprim17ROCPRIM_400000_NS6detail17trampoline_kernelINS0_14default_configENS1_35adjacent_difference_config_selectorILb0ElEEZNS1_24adjacent_difference_implIS3_Lb0ELb0EPlS7_N6thrust23THRUST_200600_302600_NS5minusIlEEEE10hipError_tPvRmT2_T3_mT4_P12ihipStream_tbEUlT_E_NS1_11comp_targetILNS1_3genE9ELNS1_11target_archE1100ELNS1_3gpuE3ELNS1_3repE0EEENS1_30default_config_static_selectorELNS0_4arch9wavefront6targetE0EEEvT1_: ; @_ZN7rocprim17ROCPRIM_400000_NS6detail17trampoline_kernelINS0_14default_configENS1_35adjacent_difference_config_selectorILb0ElEEZNS1_24adjacent_difference_implIS3_Lb0ELb0EPlS7_N6thrust23THRUST_200600_302600_NS5minusIlEEEE10hipError_tPvRmT2_T3_mT4_P12ihipStream_tbEUlT_E_NS1_11comp_targetILNS1_3genE9ELNS1_11target_archE1100ELNS1_3gpuE3ELNS1_3repE0EEENS1_30default_config_static_selectorELNS0_4arch9wavefront6targetE0EEEvT1_
; %bb.0:
	s_clause 0x1
	s_load_b256 s[4:11], s[0:1], 0x0
	s_load_b64 s[18:19], s[0:1], 0x30
	s_mov_b32 s13, 0
	s_waitcnt lgkmcnt(0)
	s_lshl_b64 s[6:7], s[6:7], 3
	s_delay_alu instid0(SALU_CYCLE_1)
	s_add_u32 s14, s4, s6
	s_addc_u32 s16, s5, s7
	s_and_b32 s12, s10, 0x1ff
	s_lshl_b32 s2, s15, 9
	s_lshr_b64 s[0:1], s[10:11], 9
	s_cmp_lg_u64 s[12:13], 0
	s_cselect_b32 s3, -1, 0
	s_delay_alu instid0(SALU_CYCLE_1) | instskip(NEXT) | instid1(VALU_DEP_1)
	v_cndmask_b32_e64 v1, 0, 1, s3
	v_readfirstlane_b32 s3, v1
	s_delay_alu instid0(VALU_DEP_1)
	s_add_u32 s0, s0, s3
	s_addc_u32 s1, s1, 0
	s_add_u32 s12, s18, s15
	s_addc_u32 s13, s19, 0
	s_add_u32 s4, s0, -1
	s_addc_u32 s5, s1, -1
	s_delay_alu instid0(SALU_CYCLE_1) | instskip(NEXT) | instid1(VALU_DEP_1)
	v_cmp_ge_u64_e64 s11, s[12:13], s[4:5]
	s_and_b32 vcc_lo, exec_lo, s11
	s_cbranch_vccz .LBB242_4
; %bb.1:
	s_lshl_b32 s3, s4, 9
	s_mov_b32 s15, exec_lo
	s_sub_i32 s3, s10, s3
                                        ; implicit-def: $vgpr1_vgpr2
	s_delay_alu instid0(SALU_CYCLE_1)
	v_cmpx_gt_u32_e64 s3, v0
	s_cbranch_execz .LBB242_3
; %bb.2:
	s_mov_b32 s3, 0
	v_lshlrev_b32_e32 v1, 3, v0
	s_lshl_b64 s[18:19], s[2:3], 3
	s_delay_alu instid0(SALU_CYCLE_1)
	s_add_u32 s18, s14, s18
	s_addc_u32 s19, s16, s19
	global_load_b64 v[1:2], v1, s[18:19]
.LBB242_3:
	s_or_b32 exec_lo, exec_lo, s15
	v_lshlrev_b32_e32 v3, 3, v0
	s_waitcnt vmcnt(0)
	ds_store_b64 v3, v[1:2]
	s_waitcnt lgkmcnt(0)
	s_barrier
	v_lshlrev_b32_e32 v5, 3, v0
	s_branch .LBB242_6
.LBB242_4:
                                        ; implicit-def: $vgpr3
	v_lshlrev_b32_e32 v5, 3, v0
	s_cbranch_execz .LBB242_6
; %bb.5:
	s_mov_b32 s3, 0
	s_delay_alu instid0(VALU_DEP_1) | instskip(SKIP_1) | instid1(SALU_CYCLE_1)
	v_mov_b32_e32 v3, v5
	s_lshl_b64 s[18:19], s[2:3], 3
	s_add_u32 s18, s14, s18
	s_addc_u32 s19, s16, s19
	global_load_b64 v[1:2], v5, s[18:19]
	s_waitcnt vmcnt(0)
	ds_store_b64 v5, v[1:2]
	s_waitcnt lgkmcnt(0)
	s_barrier
.LBB242_6:
	buffer_gl0_inv
	ds_load_b64 v[1:2], v3
	s_cmp_eq_u64 s[12:13], 0
	s_waitcnt lgkmcnt(0)
	s_barrier
	buffer_gl0_inv
	s_cbranch_scc1 .LBB242_11
; %bb.7:
	s_mov_b32 s3, 0
	s_delay_alu instid0(SALU_CYCLE_1) | instskip(NEXT) | instid1(SALU_CYCLE_1)
	s_lshl_b64 s[18:19], s[2:3], 3
	s_add_u32 s3, s14, s18
	s_addc_u32 s15, s16, s19
	s_add_u32 s14, s3, -8
	s_addc_u32 s15, s15, -1
	s_cmp_eq_u64 s[12:13], s[4:5]
	s_load_b64 s[14:15], s[14:15], 0x0
	s_cbranch_scc1 .LBB242_12
; %bb.8:
	s_waitcnt lgkmcnt(0)
	v_dual_mov_b32 v3, s14 :: v_dual_mov_b32 v4, s15
	s_mov_b32 s3, exec_lo
	ds_store_b64 v5, v[1:2]
	s_waitcnt lgkmcnt(0)
	s_barrier
	buffer_gl0_inv
	v_cmpx_ne_u32_e32 0, v0
	s_cbranch_execz .LBB242_10
; %bb.9:
	v_add_nc_u32_e32 v3, -8, v5
	ds_load_b64 v[3:4], v3
.LBB242_10:
	s_or_b32 exec_lo, exec_lo, s3
	s_waitcnt lgkmcnt(0)
	v_sub_co_u32 v3, vcc_lo, v1, v3
	v_sub_co_ci_u32_e32 v4, vcc_lo, v2, v4, vcc_lo
	s_branch .LBB242_16
.LBB242_11:
                                        ; implicit-def: $vgpr3_vgpr4
	s_branch .LBB242_17
.LBB242_12:
                                        ; implicit-def: $vgpr3_vgpr4
	s_cbranch_execz .LBB242_16
; %bb.13:
	s_waitcnt lgkmcnt(0)
	v_dual_mov_b32 v3, s14 :: v_dual_mov_b32 v4, s15
	s_mov_b32 s3, exec_lo
	ds_store_b64 v5, v[1:2]
	s_waitcnt lgkmcnt(0)
	s_barrier
	buffer_gl0_inv
	v_cmpx_ne_u32_e32 0, v0
	s_cbranch_execz .LBB242_15
; %bb.14:
	v_add_nc_u32_e32 v3, -8, v5
	ds_load_b64 v[3:4], v3
.LBB242_15:
	s_or_b32 exec_lo, exec_lo, s3
	s_lshl_b32 s3, s12, 9
	s_delay_alu instid0(SALU_CYCLE_1) | instskip(NEXT) | instid1(SALU_CYCLE_1)
	s_sub_i32 s3, s10, s3
	v_cmp_gt_u32_e32 vcc_lo, s3, v0
	s_waitcnt lgkmcnt(0)
	v_dual_cndmask_b32 v4, 0, v4 :: v_dual_cndmask_b32 v3, 0, v3
	s_delay_alu instid0(VALU_DEP_1) | instskip(NEXT) | instid1(VALU_DEP_2)
	v_sub_co_u32 v3, vcc_lo, v1, v3
	v_sub_co_ci_u32_e32 v4, vcc_lo, v2, v4, vcc_lo
.LBB242_16:
	s_cbranch_execnz .LBB242_25
.LBB242_17:
	v_cmp_ne_u32_e32 vcc_lo, 0, v0
	s_cmp_eq_u64 s[0:1], 1
	s_cbranch_scc1 .LBB242_21
; %bb.18:
	v_dual_mov_b32 v4, v2 :: v_dual_mov_b32 v3, v1
	s_mov_b32 s0, 0
	ds_store_b64 v5, v[1:2]
	s_waitcnt lgkmcnt(0)
	s_barrier
	buffer_gl0_inv
	s_and_saveexec_b32 s1, vcc_lo
	s_cbranch_execz .LBB242_20
; %bb.19:
	v_add_nc_u32_e32 v3, -8, v5
	ds_load_b64 v[3:4], v3
	s_waitcnt lgkmcnt(0)
	v_sub_co_u32 v3, vcc_lo, v1, v3
	v_sub_co_ci_u32_e32 v4, vcc_lo, v2, v4, vcc_lo
.LBB242_20:
	s_or_b32 exec_lo, exec_lo, s1
	s_delay_alu instid0(SALU_CYCLE_1)
	s_and_not1_b32 vcc_lo, exec_lo, s0
	s_cbranch_vccz .LBB242_22
	s_branch .LBB242_25
.LBB242_21:
                                        ; implicit-def: $vgpr3_vgpr4
.LBB242_22:
	v_cmp_ne_u32_e32 vcc_lo, 0, v0
	v_cmp_gt_u32_e64 s0, s10, v0
	ds_store_b64 v5, v[1:2]
	s_waitcnt lgkmcnt(0)
	s_barrier
	buffer_gl0_inv
	s_and_b32 s1, vcc_lo, s0
	s_delay_alu instid0(SALU_CYCLE_1)
	s_and_saveexec_b32 s0, s1
	s_cbranch_execz .LBB242_24
; %bb.23:
	v_add_nc_u32_e32 v3, -8, v5
	ds_load_b64 v[3:4], v3
	s_waitcnt lgkmcnt(0)
	v_sub_co_u32 v1, vcc_lo, v1, v3
	v_sub_co_ci_u32_e32 v2, vcc_lo, v2, v4, vcc_lo
.LBB242_24:
	s_or_b32 exec_lo, exec_lo, s0
	s_delay_alu instid0(VALU_DEP_1)
	v_dual_mov_b32 v4, v2 :: v_dual_mov_b32 v3, v1
.LBB242_25:
	s_add_u32 s0, s8, s6
	s_addc_u32 s1, s9, s7
	s_and_b32 vcc_lo, exec_lo, s11
	s_mov_b32 s3, -1
	s_waitcnt lgkmcnt(0)
	s_barrier
	buffer_gl0_inv
	s_cbranch_vccnz .LBB242_28
; %bb.26:
	s_and_not1_b32 vcc_lo, exec_lo, s3
	s_cbranch_vccz .LBB242_31
.LBB242_27:
	s_nop 0
	s_sendmsg sendmsg(MSG_DEALLOC_VGPRS)
	s_endpgm
.LBB242_28:
	s_lshl_b32 s3, s4, 9
	s_mov_b32 s4, exec_lo
	s_sub_i32 s3, s10, s3
	ds_store_b64 v5, v[3:4]
	s_waitcnt lgkmcnt(0)
	s_barrier
	buffer_gl0_inv
	v_cmpx_gt_u32_e64 s3, v0
	s_cbranch_execz .LBB242_30
; %bb.29:
	ds_load_b64 v[0:1], v5
	s_mov_b32 s3, 0
	s_delay_alu instid0(SALU_CYCLE_1) | instskip(NEXT) | instid1(SALU_CYCLE_1)
	s_lshl_b64 s[6:7], s[2:3], 3
	s_add_u32 s6, s0, s6
	s_addc_u32 s7, s1, s7
	s_waitcnt lgkmcnt(0)
	global_store_b64 v5, v[0:1], s[6:7]
.LBB242_30:
	s_or_b32 exec_lo, exec_lo, s4
	s_cbranch_execnz .LBB242_27
.LBB242_31:
	ds_store_b64 v5, v[3:4]
	s_waitcnt lgkmcnt(0)
	s_waitcnt_vscnt null, 0x0
	s_barrier
	buffer_gl0_inv
	ds_load_b64 v[0:1], v5
	s_mov_b32 s3, 0
	s_delay_alu instid0(SALU_CYCLE_1) | instskip(NEXT) | instid1(SALU_CYCLE_1)
	s_lshl_b64 s[2:3], s[2:3], 3
	s_add_u32 s0, s0, s2
	s_addc_u32 s1, s1, s3
	s_waitcnt lgkmcnt(0)
	global_store_b64 v5, v[0:1], s[0:1]
	s_nop 0
	s_sendmsg sendmsg(MSG_DEALLOC_VGPRS)
	s_endpgm
	.section	.rodata,"a",@progbits
	.p2align	6, 0x0
	.amdhsa_kernel _ZN7rocprim17ROCPRIM_400000_NS6detail17trampoline_kernelINS0_14default_configENS1_35adjacent_difference_config_selectorILb0ElEEZNS1_24adjacent_difference_implIS3_Lb0ELb0EPlS7_N6thrust23THRUST_200600_302600_NS5minusIlEEEE10hipError_tPvRmT2_T3_mT4_P12ihipStream_tbEUlT_E_NS1_11comp_targetILNS1_3genE9ELNS1_11target_archE1100ELNS1_3gpuE3ELNS1_3repE0EEENS1_30default_config_static_selectorELNS0_4arch9wavefront6targetE0EEEvT1_
		.amdhsa_group_segment_fixed_size 8192
		.amdhsa_private_segment_fixed_size 0
		.amdhsa_kernarg_size 56
		.amdhsa_user_sgpr_count 15
		.amdhsa_user_sgpr_dispatch_ptr 0
		.amdhsa_user_sgpr_queue_ptr 0
		.amdhsa_user_sgpr_kernarg_segment_ptr 1
		.amdhsa_user_sgpr_dispatch_id 0
		.amdhsa_user_sgpr_private_segment_size 0
		.amdhsa_wavefront_size32 1
		.amdhsa_uses_dynamic_stack 0
		.amdhsa_enable_private_segment 0
		.amdhsa_system_sgpr_workgroup_id_x 1
		.amdhsa_system_sgpr_workgroup_id_y 0
		.amdhsa_system_sgpr_workgroup_id_z 0
		.amdhsa_system_sgpr_workgroup_info 0
		.amdhsa_system_vgpr_workitem_id 0
		.amdhsa_next_free_vgpr 6
		.amdhsa_next_free_sgpr 20
		.amdhsa_reserve_vcc 1
		.amdhsa_float_round_mode_32 0
		.amdhsa_float_round_mode_16_64 0
		.amdhsa_float_denorm_mode_32 3
		.amdhsa_float_denorm_mode_16_64 3
		.amdhsa_dx10_clamp 1
		.amdhsa_ieee_mode 1
		.amdhsa_fp16_overflow 0
		.amdhsa_workgroup_processor_mode 1
		.amdhsa_memory_ordered 1
		.amdhsa_forward_progress 0
		.amdhsa_shared_vgpr_count 0
		.amdhsa_exception_fp_ieee_invalid_op 0
		.amdhsa_exception_fp_denorm_src 0
		.amdhsa_exception_fp_ieee_div_zero 0
		.amdhsa_exception_fp_ieee_overflow 0
		.amdhsa_exception_fp_ieee_underflow 0
		.amdhsa_exception_fp_ieee_inexact 0
		.amdhsa_exception_int_div_zero 0
	.end_amdhsa_kernel
	.section	.text._ZN7rocprim17ROCPRIM_400000_NS6detail17trampoline_kernelINS0_14default_configENS1_35adjacent_difference_config_selectorILb0ElEEZNS1_24adjacent_difference_implIS3_Lb0ELb0EPlS7_N6thrust23THRUST_200600_302600_NS5minusIlEEEE10hipError_tPvRmT2_T3_mT4_P12ihipStream_tbEUlT_E_NS1_11comp_targetILNS1_3genE9ELNS1_11target_archE1100ELNS1_3gpuE3ELNS1_3repE0EEENS1_30default_config_static_selectorELNS0_4arch9wavefront6targetE0EEEvT1_,"axG",@progbits,_ZN7rocprim17ROCPRIM_400000_NS6detail17trampoline_kernelINS0_14default_configENS1_35adjacent_difference_config_selectorILb0ElEEZNS1_24adjacent_difference_implIS3_Lb0ELb0EPlS7_N6thrust23THRUST_200600_302600_NS5minusIlEEEE10hipError_tPvRmT2_T3_mT4_P12ihipStream_tbEUlT_E_NS1_11comp_targetILNS1_3genE9ELNS1_11target_archE1100ELNS1_3gpuE3ELNS1_3repE0EEENS1_30default_config_static_selectorELNS0_4arch9wavefront6targetE0EEEvT1_,comdat
.Lfunc_end242:
	.size	_ZN7rocprim17ROCPRIM_400000_NS6detail17trampoline_kernelINS0_14default_configENS1_35adjacent_difference_config_selectorILb0ElEEZNS1_24adjacent_difference_implIS3_Lb0ELb0EPlS7_N6thrust23THRUST_200600_302600_NS5minusIlEEEE10hipError_tPvRmT2_T3_mT4_P12ihipStream_tbEUlT_E_NS1_11comp_targetILNS1_3genE9ELNS1_11target_archE1100ELNS1_3gpuE3ELNS1_3repE0EEENS1_30default_config_static_selectorELNS0_4arch9wavefront6targetE0EEEvT1_, .Lfunc_end242-_ZN7rocprim17ROCPRIM_400000_NS6detail17trampoline_kernelINS0_14default_configENS1_35adjacent_difference_config_selectorILb0ElEEZNS1_24adjacent_difference_implIS3_Lb0ELb0EPlS7_N6thrust23THRUST_200600_302600_NS5minusIlEEEE10hipError_tPvRmT2_T3_mT4_P12ihipStream_tbEUlT_E_NS1_11comp_targetILNS1_3genE9ELNS1_11target_archE1100ELNS1_3gpuE3ELNS1_3repE0EEENS1_30default_config_static_selectorELNS0_4arch9wavefront6targetE0EEEvT1_
                                        ; -- End function
	.section	.AMDGPU.csdata,"",@progbits
; Kernel info:
; codeLenInByte = 1008
; NumSgprs: 22
; NumVgprs: 6
; ScratchSize: 0
; MemoryBound: 0
; FloatMode: 240
; IeeeMode: 1
; LDSByteSize: 8192 bytes/workgroup (compile time only)
; SGPRBlocks: 2
; VGPRBlocks: 0
; NumSGPRsForWavesPerEU: 22
; NumVGPRsForWavesPerEU: 6
; Occupancy: 16
; WaveLimiterHint : 0
; COMPUTE_PGM_RSRC2:SCRATCH_EN: 0
; COMPUTE_PGM_RSRC2:USER_SGPR: 15
; COMPUTE_PGM_RSRC2:TRAP_HANDLER: 0
; COMPUTE_PGM_RSRC2:TGID_X_EN: 1
; COMPUTE_PGM_RSRC2:TGID_Y_EN: 0
; COMPUTE_PGM_RSRC2:TGID_Z_EN: 0
; COMPUTE_PGM_RSRC2:TIDIG_COMP_CNT: 0
	.section	.text._ZN7rocprim17ROCPRIM_400000_NS6detail17trampoline_kernelINS0_14default_configENS1_35adjacent_difference_config_selectorILb0ElEEZNS1_24adjacent_difference_implIS3_Lb0ELb0EPlS7_N6thrust23THRUST_200600_302600_NS5minusIlEEEE10hipError_tPvRmT2_T3_mT4_P12ihipStream_tbEUlT_E_NS1_11comp_targetILNS1_3genE8ELNS1_11target_archE1030ELNS1_3gpuE2ELNS1_3repE0EEENS1_30default_config_static_selectorELNS0_4arch9wavefront6targetE0EEEvT1_,"axG",@progbits,_ZN7rocprim17ROCPRIM_400000_NS6detail17trampoline_kernelINS0_14default_configENS1_35adjacent_difference_config_selectorILb0ElEEZNS1_24adjacent_difference_implIS3_Lb0ELb0EPlS7_N6thrust23THRUST_200600_302600_NS5minusIlEEEE10hipError_tPvRmT2_T3_mT4_P12ihipStream_tbEUlT_E_NS1_11comp_targetILNS1_3genE8ELNS1_11target_archE1030ELNS1_3gpuE2ELNS1_3repE0EEENS1_30default_config_static_selectorELNS0_4arch9wavefront6targetE0EEEvT1_,comdat
	.protected	_ZN7rocprim17ROCPRIM_400000_NS6detail17trampoline_kernelINS0_14default_configENS1_35adjacent_difference_config_selectorILb0ElEEZNS1_24adjacent_difference_implIS3_Lb0ELb0EPlS7_N6thrust23THRUST_200600_302600_NS5minusIlEEEE10hipError_tPvRmT2_T3_mT4_P12ihipStream_tbEUlT_E_NS1_11comp_targetILNS1_3genE8ELNS1_11target_archE1030ELNS1_3gpuE2ELNS1_3repE0EEENS1_30default_config_static_selectorELNS0_4arch9wavefront6targetE0EEEvT1_ ; -- Begin function _ZN7rocprim17ROCPRIM_400000_NS6detail17trampoline_kernelINS0_14default_configENS1_35adjacent_difference_config_selectorILb0ElEEZNS1_24adjacent_difference_implIS3_Lb0ELb0EPlS7_N6thrust23THRUST_200600_302600_NS5minusIlEEEE10hipError_tPvRmT2_T3_mT4_P12ihipStream_tbEUlT_E_NS1_11comp_targetILNS1_3genE8ELNS1_11target_archE1030ELNS1_3gpuE2ELNS1_3repE0EEENS1_30default_config_static_selectorELNS0_4arch9wavefront6targetE0EEEvT1_
	.globl	_ZN7rocprim17ROCPRIM_400000_NS6detail17trampoline_kernelINS0_14default_configENS1_35adjacent_difference_config_selectorILb0ElEEZNS1_24adjacent_difference_implIS3_Lb0ELb0EPlS7_N6thrust23THRUST_200600_302600_NS5minusIlEEEE10hipError_tPvRmT2_T3_mT4_P12ihipStream_tbEUlT_E_NS1_11comp_targetILNS1_3genE8ELNS1_11target_archE1030ELNS1_3gpuE2ELNS1_3repE0EEENS1_30default_config_static_selectorELNS0_4arch9wavefront6targetE0EEEvT1_
	.p2align	8
	.type	_ZN7rocprim17ROCPRIM_400000_NS6detail17trampoline_kernelINS0_14default_configENS1_35adjacent_difference_config_selectorILb0ElEEZNS1_24adjacent_difference_implIS3_Lb0ELb0EPlS7_N6thrust23THRUST_200600_302600_NS5minusIlEEEE10hipError_tPvRmT2_T3_mT4_P12ihipStream_tbEUlT_E_NS1_11comp_targetILNS1_3genE8ELNS1_11target_archE1030ELNS1_3gpuE2ELNS1_3repE0EEENS1_30default_config_static_selectorELNS0_4arch9wavefront6targetE0EEEvT1_,@function
_ZN7rocprim17ROCPRIM_400000_NS6detail17trampoline_kernelINS0_14default_configENS1_35adjacent_difference_config_selectorILb0ElEEZNS1_24adjacent_difference_implIS3_Lb0ELb0EPlS7_N6thrust23THRUST_200600_302600_NS5minusIlEEEE10hipError_tPvRmT2_T3_mT4_P12ihipStream_tbEUlT_E_NS1_11comp_targetILNS1_3genE8ELNS1_11target_archE1030ELNS1_3gpuE2ELNS1_3repE0EEENS1_30default_config_static_selectorELNS0_4arch9wavefront6targetE0EEEvT1_: ; @_ZN7rocprim17ROCPRIM_400000_NS6detail17trampoline_kernelINS0_14default_configENS1_35adjacent_difference_config_selectorILb0ElEEZNS1_24adjacent_difference_implIS3_Lb0ELb0EPlS7_N6thrust23THRUST_200600_302600_NS5minusIlEEEE10hipError_tPvRmT2_T3_mT4_P12ihipStream_tbEUlT_E_NS1_11comp_targetILNS1_3genE8ELNS1_11target_archE1030ELNS1_3gpuE2ELNS1_3repE0EEENS1_30default_config_static_selectorELNS0_4arch9wavefront6targetE0EEEvT1_
; %bb.0:
	.section	.rodata,"a",@progbits
	.p2align	6, 0x0
	.amdhsa_kernel _ZN7rocprim17ROCPRIM_400000_NS6detail17trampoline_kernelINS0_14default_configENS1_35adjacent_difference_config_selectorILb0ElEEZNS1_24adjacent_difference_implIS3_Lb0ELb0EPlS7_N6thrust23THRUST_200600_302600_NS5minusIlEEEE10hipError_tPvRmT2_T3_mT4_P12ihipStream_tbEUlT_E_NS1_11comp_targetILNS1_3genE8ELNS1_11target_archE1030ELNS1_3gpuE2ELNS1_3repE0EEENS1_30default_config_static_selectorELNS0_4arch9wavefront6targetE0EEEvT1_
		.amdhsa_group_segment_fixed_size 0
		.amdhsa_private_segment_fixed_size 0
		.amdhsa_kernarg_size 56
		.amdhsa_user_sgpr_count 15
		.amdhsa_user_sgpr_dispatch_ptr 0
		.amdhsa_user_sgpr_queue_ptr 0
		.amdhsa_user_sgpr_kernarg_segment_ptr 1
		.amdhsa_user_sgpr_dispatch_id 0
		.amdhsa_user_sgpr_private_segment_size 0
		.amdhsa_wavefront_size32 1
		.amdhsa_uses_dynamic_stack 0
		.amdhsa_enable_private_segment 0
		.amdhsa_system_sgpr_workgroup_id_x 1
		.amdhsa_system_sgpr_workgroup_id_y 0
		.amdhsa_system_sgpr_workgroup_id_z 0
		.amdhsa_system_sgpr_workgroup_info 0
		.amdhsa_system_vgpr_workitem_id 0
		.amdhsa_next_free_vgpr 1
		.amdhsa_next_free_sgpr 1
		.amdhsa_reserve_vcc 0
		.amdhsa_float_round_mode_32 0
		.amdhsa_float_round_mode_16_64 0
		.amdhsa_float_denorm_mode_32 3
		.amdhsa_float_denorm_mode_16_64 3
		.amdhsa_dx10_clamp 1
		.amdhsa_ieee_mode 1
		.amdhsa_fp16_overflow 0
		.amdhsa_workgroup_processor_mode 1
		.amdhsa_memory_ordered 1
		.amdhsa_forward_progress 0
		.amdhsa_shared_vgpr_count 0
		.amdhsa_exception_fp_ieee_invalid_op 0
		.amdhsa_exception_fp_denorm_src 0
		.amdhsa_exception_fp_ieee_div_zero 0
		.amdhsa_exception_fp_ieee_overflow 0
		.amdhsa_exception_fp_ieee_underflow 0
		.amdhsa_exception_fp_ieee_inexact 0
		.amdhsa_exception_int_div_zero 0
	.end_amdhsa_kernel
	.section	.text._ZN7rocprim17ROCPRIM_400000_NS6detail17trampoline_kernelINS0_14default_configENS1_35adjacent_difference_config_selectorILb0ElEEZNS1_24adjacent_difference_implIS3_Lb0ELb0EPlS7_N6thrust23THRUST_200600_302600_NS5minusIlEEEE10hipError_tPvRmT2_T3_mT4_P12ihipStream_tbEUlT_E_NS1_11comp_targetILNS1_3genE8ELNS1_11target_archE1030ELNS1_3gpuE2ELNS1_3repE0EEENS1_30default_config_static_selectorELNS0_4arch9wavefront6targetE0EEEvT1_,"axG",@progbits,_ZN7rocprim17ROCPRIM_400000_NS6detail17trampoline_kernelINS0_14default_configENS1_35adjacent_difference_config_selectorILb0ElEEZNS1_24adjacent_difference_implIS3_Lb0ELb0EPlS7_N6thrust23THRUST_200600_302600_NS5minusIlEEEE10hipError_tPvRmT2_T3_mT4_P12ihipStream_tbEUlT_E_NS1_11comp_targetILNS1_3genE8ELNS1_11target_archE1030ELNS1_3gpuE2ELNS1_3repE0EEENS1_30default_config_static_selectorELNS0_4arch9wavefront6targetE0EEEvT1_,comdat
.Lfunc_end243:
	.size	_ZN7rocprim17ROCPRIM_400000_NS6detail17trampoline_kernelINS0_14default_configENS1_35adjacent_difference_config_selectorILb0ElEEZNS1_24adjacent_difference_implIS3_Lb0ELb0EPlS7_N6thrust23THRUST_200600_302600_NS5minusIlEEEE10hipError_tPvRmT2_T3_mT4_P12ihipStream_tbEUlT_E_NS1_11comp_targetILNS1_3genE8ELNS1_11target_archE1030ELNS1_3gpuE2ELNS1_3repE0EEENS1_30default_config_static_selectorELNS0_4arch9wavefront6targetE0EEEvT1_, .Lfunc_end243-_ZN7rocprim17ROCPRIM_400000_NS6detail17trampoline_kernelINS0_14default_configENS1_35adjacent_difference_config_selectorILb0ElEEZNS1_24adjacent_difference_implIS3_Lb0ELb0EPlS7_N6thrust23THRUST_200600_302600_NS5minusIlEEEE10hipError_tPvRmT2_T3_mT4_P12ihipStream_tbEUlT_E_NS1_11comp_targetILNS1_3genE8ELNS1_11target_archE1030ELNS1_3gpuE2ELNS1_3repE0EEENS1_30default_config_static_selectorELNS0_4arch9wavefront6targetE0EEEvT1_
                                        ; -- End function
	.section	.AMDGPU.csdata,"",@progbits
; Kernel info:
; codeLenInByte = 0
; NumSgprs: 0
; NumVgprs: 0
; ScratchSize: 0
; MemoryBound: 0
; FloatMode: 240
; IeeeMode: 1
; LDSByteSize: 0 bytes/workgroup (compile time only)
; SGPRBlocks: 0
; VGPRBlocks: 0
; NumSGPRsForWavesPerEU: 1
; NumVGPRsForWavesPerEU: 1
; Occupancy: 16
; WaveLimiterHint : 0
; COMPUTE_PGM_RSRC2:SCRATCH_EN: 0
; COMPUTE_PGM_RSRC2:USER_SGPR: 15
; COMPUTE_PGM_RSRC2:TRAP_HANDLER: 0
; COMPUTE_PGM_RSRC2:TGID_X_EN: 1
; COMPUTE_PGM_RSRC2:TGID_Y_EN: 0
; COMPUTE_PGM_RSRC2:TGID_Z_EN: 0
; COMPUTE_PGM_RSRC2:TIDIG_COMP_CNT: 0
	.section	.text._ZN7rocprim17ROCPRIM_400000_NS6detail17trampoline_kernelINS0_14default_configENS1_25transform_config_selectorIlLb0EEEZNS1_14transform_implILb0ES3_S5_NS0_18transform_iteratorINS0_17counting_iteratorImlEEZNS1_24adjacent_difference_implIS3_Lb1ELb0EPlSB_N6thrust23THRUST_200600_302600_NS5minusIlEEEE10hipError_tPvRmT2_T3_mT4_P12ihipStream_tbEUlmE_lEESB_NS0_8identityIvEEEESG_SJ_SK_mSL_SN_bEUlT_E_NS1_11comp_targetILNS1_3genE0ELNS1_11target_archE4294967295ELNS1_3gpuE0ELNS1_3repE0EEENS1_30default_config_static_selectorELNS0_4arch9wavefront6targetE0EEEvT1_,"axG",@progbits,_ZN7rocprim17ROCPRIM_400000_NS6detail17trampoline_kernelINS0_14default_configENS1_25transform_config_selectorIlLb0EEEZNS1_14transform_implILb0ES3_S5_NS0_18transform_iteratorINS0_17counting_iteratorImlEEZNS1_24adjacent_difference_implIS3_Lb1ELb0EPlSB_N6thrust23THRUST_200600_302600_NS5minusIlEEEE10hipError_tPvRmT2_T3_mT4_P12ihipStream_tbEUlmE_lEESB_NS0_8identityIvEEEESG_SJ_SK_mSL_SN_bEUlT_E_NS1_11comp_targetILNS1_3genE0ELNS1_11target_archE4294967295ELNS1_3gpuE0ELNS1_3repE0EEENS1_30default_config_static_selectorELNS0_4arch9wavefront6targetE0EEEvT1_,comdat
	.protected	_ZN7rocprim17ROCPRIM_400000_NS6detail17trampoline_kernelINS0_14default_configENS1_25transform_config_selectorIlLb0EEEZNS1_14transform_implILb0ES3_S5_NS0_18transform_iteratorINS0_17counting_iteratorImlEEZNS1_24adjacent_difference_implIS3_Lb1ELb0EPlSB_N6thrust23THRUST_200600_302600_NS5minusIlEEEE10hipError_tPvRmT2_T3_mT4_P12ihipStream_tbEUlmE_lEESB_NS0_8identityIvEEEESG_SJ_SK_mSL_SN_bEUlT_E_NS1_11comp_targetILNS1_3genE0ELNS1_11target_archE4294967295ELNS1_3gpuE0ELNS1_3repE0EEENS1_30default_config_static_selectorELNS0_4arch9wavefront6targetE0EEEvT1_ ; -- Begin function _ZN7rocprim17ROCPRIM_400000_NS6detail17trampoline_kernelINS0_14default_configENS1_25transform_config_selectorIlLb0EEEZNS1_14transform_implILb0ES3_S5_NS0_18transform_iteratorINS0_17counting_iteratorImlEEZNS1_24adjacent_difference_implIS3_Lb1ELb0EPlSB_N6thrust23THRUST_200600_302600_NS5minusIlEEEE10hipError_tPvRmT2_T3_mT4_P12ihipStream_tbEUlmE_lEESB_NS0_8identityIvEEEESG_SJ_SK_mSL_SN_bEUlT_E_NS1_11comp_targetILNS1_3genE0ELNS1_11target_archE4294967295ELNS1_3gpuE0ELNS1_3repE0EEENS1_30default_config_static_selectorELNS0_4arch9wavefront6targetE0EEEvT1_
	.globl	_ZN7rocprim17ROCPRIM_400000_NS6detail17trampoline_kernelINS0_14default_configENS1_25transform_config_selectorIlLb0EEEZNS1_14transform_implILb0ES3_S5_NS0_18transform_iteratorINS0_17counting_iteratorImlEEZNS1_24adjacent_difference_implIS3_Lb1ELb0EPlSB_N6thrust23THRUST_200600_302600_NS5minusIlEEEE10hipError_tPvRmT2_T3_mT4_P12ihipStream_tbEUlmE_lEESB_NS0_8identityIvEEEESG_SJ_SK_mSL_SN_bEUlT_E_NS1_11comp_targetILNS1_3genE0ELNS1_11target_archE4294967295ELNS1_3gpuE0ELNS1_3repE0EEENS1_30default_config_static_selectorELNS0_4arch9wavefront6targetE0EEEvT1_
	.p2align	8
	.type	_ZN7rocprim17ROCPRIM_400000_NS6detail17trampoline_kernelINS0_14default_configENS1_25transform_config_selectorIlLb0EEEZNS1_14transform_implILb0ES3_S5_NS0_18transform_iteratorINS0_17counting_iteratorImlEEZNS1_24adjacent_difference_implIS3_Lb1ELb0EPlSB_N6thrust23THRUST_200600_302600_NS5minusIlEEEE10hipError_tPvRmT2_T3_mT4_P12ihipStream_tbEUlmE_lEESB_NS0_8identityIvEEEESG_SJ_SK_mSL_SN_bEUlT_E_NS1_11comp_targetILNS1_3genE0ELNS1_11target_archE4294967295ELNS1_3gpuE0ELNS1_3repE0EEENS1_30default_config_static_selectorELNS0_4arch9wavefront6targetE0EEEvT1_,@function
_ZN7rocprim17ROCPRIM_400000_NS6detail17trampoline_kernelINS0_14default_configENS1_25transform_config_selectorIlLb0EEEZNS1_14transform_implILb0ES3_S5_NS0_18transform_iteratorINS0_17counting_iteratorImlEEZNS1_24adjacent_difference_implIS3_Lb1ELb0EPlSB_N6thrust23THRUST_200600_302600_NS5minusIlEEEE10hipError_tPvRmT2_T3_mT4_P12ihipStream_tbEUlmE_lEESB_NS0_8identityIvEEEESG_SJ_SK_mSL_SN_bEUlT_E_NS1_11comp_targetILNS1_3genE0ELNS1_11target_archE4294967295ELNS1_3gpuE0ELNS1_3repE0EEENS1_30default_config_static_selectorELNS0_4arch9wavefront6targetE0EEEvT1_: ; @_ZN7rocprim17ROCPRIM_400000_NS6detail17trampoline_kernelINS0_14default_configENS1_25transform_config_selectorIlLb0EEEZNS1_14transform_implILb0ES3_S5_NS0_18transform_iteratorINS0_17counting_iteratorImlEEZNS1_24adjacent_difference_implIS3_Lb1ELb0EPlSB_N6thrust23THRUST_200600_302600_NS5minusIlEEEE10hipError_tPvRmT2_T3_mT4_P12ihipStream_tbEUlmE_lEESB_NS0_8identityIvEEEESG_SJ_SK_mSL_SN_bEUlT_E_NS1_11comp_targetILNS1_3genE0ELNS1_11target_archE4294967295ELNS1_3gpuE0ELNS1_3repE0EEENS1_30default_config_static_selectorELNS0_4arch9wavefront6targetE0EEEvT1_
; %bb.0:
	.section	.rodata,"a",@progbits
	.p2align	6, 0x0
	.amdhsa_kernel _ZN7rocprim17ROCPRIM_400000_NS6detail17trampoline_kernelINS0_14default_configENS1_25transform_config_selectorIlLb0EEEZNS1_14transform_implILb0ES3_S5_NS0_18transform_iteratorINS0_17counting_iteratorImlEEZNS1_24adjacent_difference_implIS3_Lb1ELb0EPlSB_N6thrust23THRUST_200600_302600_NS5minusIlEEEE10hipError_tPvRmT2_T3_mT4_P12ihipStream_tbEUlmE_lEESB_NS0_8identityIvEEEESG_SJ_SK_mSL_SN_bEUlT_E_NS1_11comp_targetILNS1_3genE0ELNS1_11target_archE4294967295ELNS1_3gpuE0ELNS1_3repE0EEENS1_30default_config_static_selectorELNS0_4arch9wavefront6targetE0EEEvT1_
		.amdhsa_group_segment_fixed_size 0
		.amdhsa_private_segment_fixed_size 0
		.amdhsa_kernarg_size 56
		.amdhsa_user_sgpr_count 15
		.amdhsa_user_sgpr_dispatch_ptr 0
		.amdhsa_user_sgpr_queue_ptr 0
		.amdhsa_user_sgpr_kernarg_segment_ptr 1
		.amdhsa_user_sgpr_dispatch_id 0
		.amdhsa_user_sgpr_private_segment_size 0
		.amdhsa_wavefront_size32 1
		.amdhsa_uses_dynamic_stack 0
		.amdhsa_enable_private_segment 0
		.amdhsa_system_sgpr_workgroup_id_x 1
		.amdhsa_system_sgpr_workgroup_id_y 0
		.amdhsa_system_sgpr_workgroup_id_z 0
		.amdhsa_system_sgpr_workgroup_info 0
		.amdhsa_system_vgpr_workitem_id 0
		.amdhsa_next_free_vgpr 1
		.amdhsa_next_free_sgpr 1
		.amdhsa_reserve_vcc 0
		.amdhsa_float_round_mode_32 0
		.amdhsa_float_round_mode_16_64 0
		.amdhsa_float_denorm_mode_32 3
		.amdhsa_float_denorm_mode_16_64 3
		.amdhsa_dx10_clamp 1
		.amdhsa_ieee_mode 1
		.amdhsa_fp16_overflow 0
		.amdhsa_workgroup_processor_mode 1
		.amdhsa_memory_ordered 1
		.amdhsa_forward_progress 0
		.amdhsa_shared_vgpr_count 0
		.amdhsa_exception_fp_ieee_invalid_op 0
		.amdhsa_exception_fp_denorm_src 0
		.amdhsa_exception_fp_ieee_div_zero 0
		.amdhsa_exception_fp_ieee_overflow 0
		.amdhsa_exception_fp_ieee_underflow 0
		.amdhsa_exception_fp_ieee_inexact 0
		.amdhsa_exception_int_div_zero 0
	.end_amdhsa_kernel
	.section	.text._ZN7rocprim17ROCPRIM_400000_NS6detail17trampoline_kernelINS0_14default_configENS1_25transform_config_selectorIlLb0EEEZNS1_14transform_implILb0ES3_S5_NS0_18transform_iteratorINS0_17counting_iteratorImlEEZNS1_24adjacent_difference_implIS3_Lb1ELb0EPlSB_N6thrust23THRUST_200600_302600_NS5minusIlEEEE10hipError_tPvRmT2_T3_mT4_P12ihipStream_tbEUlmE_lEESB_NS0_8identityIvEEEESG_SJ_SK_mSL_SN_bEUlT_E_NS1_11comp_targetILNS1_3genE0ELNS1_11target_archE4294967295ELNS1_3gpuE0ELNS1_3repE0EEENS1_30default_config_static_selectorELNS0_4arch9wavefront6targetE0EEEvT1_,"axG",@progbits,_ZN7rocprim17ROCPRIM_400000_NS6detail17trampoline_kernelINS0_14default_configENS1_25transform_config_selectorIlLb0EEEZNS1_14transform_implILb0ES3_S5_NS0_18transform_iteratorINS0_17counting_iteratorImlEEZNS1_24adjacent_difference_implIS3_Lb1ELb0EPlSB_N6thrust23THRUST_200600_302600_NS5minusIlEEEE10hipError_tPvRmT2_T3_mT4_P12ihipStream_tbEUlmE_lEESB_NS0_8identityIvEEEESG_SJ_SK_mSL_SN_bEUlT_E_NS1_11comp_targetILNS1_3genE0ELNS1_11target_archE4294967295ELNS1_3gpuE0ELNS1_3repE0EEENS1_30default_config_static_selectorELNS0_4arch9wavefront6targetE0EEEvT1_,comdat
.Lfunc_end244:
	.size	_ZN7rocprim17ROCPRIM_400000_NS6detail17trampoline_kernelINS0_14default_configENS1_25transform_config_selectorIlLb0EEEZNS1_14transform_implILb0ES3_S5_NS0_18transform_iteratorINS0_17counting_iteratorImlEEZNS1_24adjacent_difference_implIS3_Lb1ELb0EPlSB_N6thrust23THRUST_200600_302600_NS5minusIlEEEE10hipError_tPvRmT2_T3_mT4_P12ihipStream_tbEUlmE_lEESB_NS0_8identityIvEEEESG_SJ_SK_mSL_SN_bEUlT_E_NS1_11comp_targetILNS1_3genE0ELNS1_11target_archE4294967295ELNS1_3gpuE0ELNS1_3repE0EEENS1_30default_config_static_selectorELNS0_4arch9wavefront6targetE0EEEvT1_, .Lfunc_end244-_ZN7rocprim17ROCPRIM_400000_NS6detail17trampoline_kernelINS0_14default_configENS1_25transform_config_selectorIlLb0EEEZNS1_14transform_implILb0ES3_S5_NS0_18transform_iteratorINS0_17counting_iteratorImlEEZNS1_24adjacent_difference_implIS3_Lb1ELb0EPlSB_N6thrust23THRUST_200600_302600_NS5minusIlEEEE10hipError_tPvRmT2_T3_mT4_P12ihipStream_tbEUlmE_lEESB_NS0_8identityIvEEEESG_SJ_SK_mSL_SN_bEUlT_E_NS1_11comp_targetILNS1_3genE0ELNS1_11target_archE4294967295ELNS1_3gpuE0ELNS1_3repE0EEENS1_30default_config_static_selectorELNS0_4arch9wavefront6targetE0EEEvT1_
                                        ; -- End function
	.section	.AMDGPU.csdata,"",@progbits
; Kernel info:
; codeLenInByte = 0
; NumSgprs: 0
; NumVgprs: 0
; ScratchSize: 0
; MemoryBound: 0
; FloatMode: 240
; IeeeMode: 1
; LDSByteSize: 0 bytes/workgroup (compile time only)
; SGPRBlocks: 0
; VGPRBlocks: 0
; NumSGPRsForWavesPerEU: 1
; NumVGPRsForWavesPerEU: 1
; Occupancy: 16
; WaveLimiterHint : 0
; COMPUTE_PGM_RSRC2:SCRATCH_EN: 0
; COMPUTE_PGM_RSRC2:USER_SGPR: 15
; COMPUTE_PGM_RSRC2:TRAP_HANDLER: 0
; COMPUTE_PGM_RSRC2:TGID_X_EN: 1
; COMPUTE_PGM_RSRC2:TGID_Y_EN: 0
; COMPUTE_PGM_RSRC2:TGID_Z_EN: 0
; COMPUTE_PGM_RSRC2:TIDIG_COMP_CNT: 0
	.section	.text._ZN7rocprim17ROCPRIM_400000_NS6detail17trampoline_kernelINS0_14default_configENS1_25transform_config_selectorIlLb0EEEZNS1_14transform_implILb0ES3_S5_NS0_18transform_iteratorINS0_17counting_iteratorImlEEZNS1_24adjacent_difference_implIS3_Lb1ELb0EPlSB_N6thrust23THRUST_200600_302600_NS5minusIlEEEE10hipError_tPvRmT2_T3_mT4_P12ihipStream_tbEUlmE_lEESB_NS0_8identityIvEEEESG_SJ_SK_mSL_SN_bEUlT_E_NS1_11comp_targetILNS1_3genE5ELNS1_11target_archE942ELNS1_3gpuE9ELNS1_3repE0EEENS1_30default_config_static_selectorELNS0_4arch9wavefront6targetE0EEEvT1_,"axG",@progbits,_ZN7rocprim17ROCPRIM_400000_NS6detail17trampoline_kernelINS0_14default_configENS1_25transform_config_selectorIlLb0EEEZNS1_14transform_implILb0ES3_S5_NS0_18transform_iteratorINS0_17counting_iteratorImlEEZNS1_24adjacent_difference_implIS3_Lb1ELb0EPlSB_N6thrust23THRUST_200600_302600_NS5minusIlEEEE10hipError_tPvRmT2_T3_mT4_P12ihipStream_tbEUlmE_lEESB_NS0_8identityIvEEEESG_SJ_SK_mSL_SN_bEUlT_E_NS1_11comp_targetILNS1_3genE5ELNS1_11target_archE942ELNS1_3gpuE9ELNS1_3repE0EEENS1_30default_config_static_selectorELNS0_4arch9wavefront6targetE0EEEvT1_,comdat
	.protected	_ZN7rocprim17ROCPRIM_400000_NS6detail17trampoline_kernelINS0_14default_configENS1_25transform_config_selectorIlLb0EEEZNS1_14transform_implILb0ES3_S5_NS0_18transform_iteratorINS0_17counting_iteratorImlEEZNS1_24adjacent_difference_implIS3_Lb1ELb0EPlSB_N6thrust23THRUST_200600_302600_NS5minusIlEEEE10hipError_tPvRmT2_T3_mT4_P12ihipStream_tbEUlmE_lEESB_NS0_8identityIvEEEESG_SJ_SK_mSL_SN_bEUlT_E_NS1_11comp_targetILNS1_3genE5ELNS1_11target_archE942ELNS1_3gpuE9ELNS1_3repE0EEENS1_30default_config_static_selectorELNS0_4arch9wavefront6targetE0EEEvT1_ ; -- Begin function _ZN7rocprim17ROCPRIM_400000_NS6detail17trampoline_kernelINS0_14default_configENS1_25transform_config_selectorIlLb0EEEZNS1_14transform_implILb0ES3_S5_NS0_18transform_iteratorINS0_17counting_iteratorImlEEZNS1_24adjacent_difference_implIS3_Lb1ELb0EPlSB_N6thrust23THRUST_200600_302600_NS5minusIlEEEE10hipError_tPvRmT2_T3_mT4_P12ihipStream_tbEUlmE_lEESB_NS0_8identityIvEEEESG_SJ_SK_mSL_SN_bEUlT_E_NS1_11comp_targetILNS1_3genE5ELNS1_11target_archE942ELNS1_3gpuE9ELNS1_3repE0EEENS1_30default_config_static_selectorELNS0_4arch9wavefront6targetE0EEEvT1_
	.globl	_ZN7rocprim17ROCPRIM_400000_NS6detail17trampoline_kernelINS0_14default_configENS1_25transform_config_selectorIlLb0EEEZNS1_14transform_implILb0ES3_S5_NS0_18transform_iteratorINS0_17counting_iteratorImlEEZNS1_24adjacent_difference_implIS3_Lb1ELb0EPlSB_N6thrust23THRUST_200600_302600_NS5minusIlEEEE10hipError_tPvRmT2_T3_mT4_P12ihipStream_tbEUlmE_lEESB_NS0_8identityIvEEEESG_SJ_SK_mSL_SN_bEUlT_E_NS1_11comp_targetILNS1_3genE5ELNS1_11target_archE942ELNS1_3gpuE9ELNS1_3repE0EEENS1_30default_config_static_selectorELNS0_4arch9wavefront6targetE0EEEvT1_
	.p2align	8
	.type	_ZN7rocprim17ROCPRIM_400000_NS6detail17trampoline_kernelINS0_14default_configENS1_25transform_config_selectorIlLb0EEEZNS1_14transform_implILb0ES3_S5_NS0_18transform_iteratorINS0_17counting_iteratorImlEEZNS1_24adjacent_difference_implIS3_Lb1ELb0EPlSB_N6thrust23THRUST_200600_302600_NS5minusIlEEEE10hipError_tPvRmT2_T3_mT4_P12ihipStream_tbEUlmE_lEESB_NS0_8identityIvEEEESG_SJ_SK_mSL_SN_bEUlT_E_NS1_11comp_targetILNS1_3genE5ELNS1_11target_archE942ELNS1_3gpuE9ELNS1_3repE0EEENS1_30default_config_static_selectorELNS0_4arch9wavefront6targetE0EEEvT1_,@function
_ZN7rocprim17ROCPRIM_400000_NS6detail17trampoline_kernelINS0_14default_configENS1_25transform_config_selectorIlLb0EEEZNS1_14transform_implILb0ES3_S5_NS0_18transform_iteratorINS0_17counting_iteratorImlEEZNS1_24adjacent_difference_implIS3_Lb1ELb0EPlSB_N6thrust23THRUST_200600_302600_NS5minusIlEEEE10hipError_tPvRmT2_T3_mT4_P12ihipStream_tbEUlmE_lEESB_NS0_8identityIvEEEESG_SJ_SK_mSL_SN_bEUlT_E_NS1_11comp_targetILNS1_3genE5ELNS1_11target_archE942ELNS1_3gpuE9ELNS1_3repE0EEENS1_30default_config_static_selectorELNS0_4arch9wavefront6targetE0EEEvT1_: ; @_ZN7rocprim17ROCPRIM_400000_NS6detail17trampoline_kernelINS0_14default_configENS1_25transform_config_selectorIlLb0EEEZNS1_14transform_implILb0ES3_S5_NS0_18transform_iteratorINS0_17counting_iteratorImlEEZNS1_24adjacent_difference_implIS3_Lb1ELb0EPlSB_N6thrust23THRUST_200600_302600_NS5minusIlEEEE10hipError_tPvRmT2_T3_mT4_P12ihipStream_tbEUlmE_lEESB_NS0_8identityIvEEEESG_SJ_SK_mSL_SN_bEUlT_E_NS1_11comp_targetILNS1_3genE5ELNS1_11target_archE942ELNS1_3gpuE9ELNS1_3repE0EEENS1_30default_config_static_selectorELNS0_4arch9wavefront6targetE0EEEvT1_
; %bb.0:
	.section	.rodata,"a",@progbits
	.p2align	6, 0x0
	.amdhsa_kernel _ZN7rocprim17ROCPRIM_400000_NS6detail17trampoline_kernelINS0_14default_configENS1_25transform_config_selectorIlLb0EEEZNS1_14transform_implILb0ES3_S5_NS0_18transform_iteratorINS0_17counting_iteratorImlEEZNS1_24adjacent_difference_implIS3_Lb1ELb0EPlSB_N6thrust23THRUST_200600_302600_NS5minusIlEEEE10hipError_tPvRmT2_T3_mT4_P12ihipStream_tbEUlmE_lEESB_NS0_8identityIvEEEESG_SJ_SK_mSL_SN_bEUlT_E_NS1_11comp_targetILNS1_3genE5ELNS1_11target_archE942ELNS1_3gpuE9ELNS1_3repE0EEENS1_30default_config_static_selectorELNS0_4arch9wavefront6targetE0EEEvT1_
		.amdhsa_group_segment_fixed_size 0
		.amdhsa_private_segment_fixed_size 0
		.amdhsa_kernarg_size 56
		.amdhsa_user_sgpr_count 15
		.amdhsa_user_sgpr_dispatch_ptr 0
		.amdhsa_user_sgpr_queue_ptr 0
		.amdhsa_user_sgpr_kernarg_segment_ptr 1
		.amdhsa_user_sgpr_dispatch_id 0
		.amdhsa_user_sgpr_private_segment_size 0
		.amdhsa_wavefront_size32 1
		.amdhsa_uses_dynamic_stack 0
		.amdhsa_enable_private_segment 0
		.amdhsa_system_sgpr_workgroup_id_x 1
		.amdhsa_system_sgpr_workgroup_id_y 0
		.amdhsa_system_sgpr_workgroup_id_z 0
		.amdhsa_system_sgpr_workgroup_info 0
		.amdhsa_system_vgpr_workitem_id 0
		.amdhsa_next_free_vgpr 1
		.amdhsa_next_free_sgpr 1
		.amdhsa_reserve_vcc 0
		.amdhsa_float_round_mode_32 0
		.amdhsa_float_round_mode_16_64 0
		.amdhsa_float_denorm_mode_32 3
		.amdhsa_float_denorm_mode_16_64 3
		.amdhsa_dx10_clamp 1
		.amdhsa_ieee_mode 1
		.amdhsa_fp16_overflow 0
		.amdhsa_workgroup_processor_mode 1
		.amdhsa_memory_ordered 1
		.amdhsa_forward_progress 0
		.amdhsa_shared_vgpr_count 0
		.amdhsa_exception_fp_ieee_invalid_op 0
		.amdhsa_exception_fp_denorm_src 0
		.amdhsa_exception_fp_ieee_div_zero 0
		.amdhsa_exception_fp_ieee_overflow 0
		.amdhsa_exception_fp_ieee_underflow 0
		.amdhsa_exception_fp_ieee_inexact 0
		.amdhsa_exception_int_div_zero 0
	.end_amdhsa_kernel
	.section	.text._ZN7rocprim17ROCPRIM_400000_NS6detail17trampoline_kernelINS0_14default_configENS1_25transform_config_selectorIlLb0EEEZNS1_14transform_implILb0ES3_S5_NS0_18transform_iteratorINS0_17counting_iteratorImlEEZNS1_24adjacent_difference_implIS3_Lb1ELb0EPlSB_N6thrust23THRUST_200600_302600_NS5minusIlEEEE10hipError_tPvRmT2_T3_mT4_P12ihipStream_tbEUlmE_lEESB_NS0_8identityIvEEEESG_SJ_SK_mSL_SN_bEUlT_E_NS1_11comp_targetILNS1_3genE5ELNS1_11target_archE942ELNS1_3gpuE9ELNS1_3repE0EEENS1_30default_config_static_selectorELNS0_4arch9wavefront6targetE0EEEvT1_,"axG",@progbits,_ZN7rocprim17ROCPRIM_400000_NS6detail17trampoline_kernelINS0_14default_configENS1_25transform_config_selectorIlLb0EEEZNS1_14transform_implILb0ES3_S5_NS0_18transform_iteratorINS0_17counting_iteratorImlEEZNS1_24adjacent_difference_implIS3_Lb1ELb0EPlSB_N6thrust23THRUST_200600_302600_NS5minusIlEEEE10hipError_tPvRmT2_T3_mT4_P12ihipStream_tbEUlmE_lEESB_NS0_8identityIvEEEESG_SJ_SK_mSL_SN_bEUlT_E_NS1_11comp_targetILNS1_3genE5ELNS1_11target_archE942ELNS1_3gpuE9ELNS1_3repE0EEENS1_30default_config_static_selectorELNS0_4arch9wavefront6targetE0EEEvT1_,comdat
.Lfunc_end245:
	.size	_ZN7rocprim17ROCPRIM_400000_NS6detail17trampoline_kernelINS0_14default_configENS1_25transform_config_selectorIlLb0EEEZNS1_14transform_implILb0ES3_S5_NS0_18transform_iteratorINS0_17counting_iteratorImlEEZNS1_24adjacent_difference_implIS3_Lb1ELb0EPlSB_N6thrust23THRUST_200600_302600_NS5minusIlEEEE10hipError_tPvRmT2_T3_mT4_P12ihipStream_tbEUlmE_lEESB_NS0_8identityIvEEEESG_SJ_SK_mSL_SN_bEUlT_E_NS1_11comp_targetILNS1_3genE5ELNS1_11target_archE942ELNS1_3gpuE9ELNS1_3repE0EEENS1_30default_config_static_selectorELNS0_4arch9wavefront6targetE0EEEvT1_, .Lfunc_end245-_ZN7rocprim17ROCPRIM_400000_NS6detail17trampoline_kernelINS0_14default_configENS1_25transform_config_selectorIlLb0EEEZNS1_14transform_implILb0ES3_S5_NS0_18transform_iteratorINS0_17counting_iteratorImlEEZNS1_24adjacent_difference_implIS3_Lb1ELb0EPlSB_N6thrust23THRUST_200600_302600_NS5minusIlEEEE10hipError_tPvRmT2_T3_mT4_P12ihipStream_tbEUlmE_lEESB_NS0_8identityIvEEEESG_SJ_SK_mSL_SN_bEUlT_E_NS1_11comp_targetILNS1_3genE5ELNS1_11target_archE942ELNS1_3gpuE9ELNS1_3repE0EEENS1_30default_config_static_selectorELNS0_4arch9wavefront6targetE0EEEvT1_
                                        ; -- End function
	.section	.AMDGPU.csdata,"",@progbits
; Kernel info:
; codeLenInByte = 0
; NumSgprs: 0
; NumVgprs: 0
; ScratchSize: 0
; MemoryBound: 0
; FloatMode: 240
; IeeeMode: 1
; LDSByteSize: 0 bytes/workgroup (compile time only)
; SGPRBlocks: 0
; VGPRBlocks: 0
; NumSGPRsForWavesPerEU: 1
; NumVGPRsForWavesPerEU: 1
; Occupancy: 16
; WaveLimiterHint : 0
; COMPUTE_PGM_RSRC2:SCRATCH_EN: 0
; COMPUTE_PGM_RSRC2:USER_SGPR: 15
; COMPUTE_PGM_RSRC2:TRAP_HANDLER: 0
; COMPUTE_PGM_RSRC2:TGID_X_EN: 1
; COMPUTE_PGM_RSRC2:TGID_Y_EN: 0
; COMPUTE_PGM_RSRC2:TGID_Z_EN: 0
; COMPUTE_PGM_RSRC2:TIDIG_COMP_CNT: 0
	.section	.text._ZN7rocprim17ROCPRIM_400000_NS6detail17trampoline_kernelINS0_14default_configENS1_25transform_config_selectorIlLb0EEEZNS1_14transform_implILb0ES3_S5_NS0_18transform_iteratorINS0_17counting_iteratorImlEEZNS1_24adjacent_difference_implIS3_Lb1ELb0EPlSB_N6thrust23THRUST_200600_302600_NS5minusIlEEEE10hipError_tPvRmT2_T3_mT4_P12ihipStream_tbEUlmE_lEESB_NS0_8identityIvEEEESG_SJ_SK_mSL_SN_bEUlT_E_NS1_11comp_targetILNS1_3genE4ELNS1_11target_archE910ELNS1_3gpuE8ELNS1_3repE0EEENS1_30default_config_static_selectorELNS0_4arch9wavefront6targetE0EEEvT1_,"axG",@progbits,_ZN7rocprim17ROCPRIM_400000_NS6detail17trampoline_kernelINS0_14default_configENS1_25transform_config_selectorIlLb0EEEZNS1_14transform_implILb0ES3_S5_NS0_18transform_iteratorINS0_17counting_iteratorImlEEZNS1_24adjacent_difference_implIS3_Lb1ELb0EPlSB_N6thrust23THRUST_200600_302600_NS5minusIlEEEE10hipError_tPvRmT2_T3_mT4_P12ihipStream_tbEUlmE_lEESB_NS0_8identityIvEEEESG_SJ_SK_mSL_SN_bEUlT_E_NS1_11comp_targetILNS1_3genE4ELNS1_11target_archE910ELNS1_3gpuE8ELNS1_3repE0EEENS1_30default_config_static_selectorELNS0_4arch9wavefront6targetE0EEEvT1_,comdat
	.protected	_ZN7rocprim17ROCPRIM_400000_NS6detail17trampoline_kernelINS0_14default_configENS1_25transform_config_selectorIlLb0EEEZNS1_14transform_implILb0ES3_S5_NS0_18transform_iteratorINS0_17counting_iteratorImlEEZNS1_24adjacent_difference_implIS3_Lb1ELb0EPlSB_N6thrust23THRUST_200600_302600_NS5minusIlEEEE10hipError_tPvRmT2_T3_mT4_P12ihipStream_tbEUlmE_lEESB_NS0_8identityIvEEEESG_SJ_SK_mSL_SN_bEUlT_E_NS1_11comp_targetILNS1_3genE4ELNS1_11target_archE910ELNS1_3gpuE8ELNS1_3repE0EEENS1_30default_config_static_selectorELNS0_4arch9wavefront6targetE0EEEvT1_ ; -- Begin function _ZN7rocprim17ROCPRIM_400000_NS6detail17trampoline_kernelINS0_14default_configENS1_25transform_config_selectorIlLb0EEEZNS1_14transform_implILb0ES3_S5_NS0_18transform_iteratorINS0_17counting_iteratorImlEEZNS1_24adjacent_difference_implIS3_Lb1ELb0EPlSB_N6thrust23THRUST_200600_302600_NS5minusIlEEEE10hipError_tPvRmT2_T3_mT4_P12ihipStream_tbEUlmE_lEESB_NS0_8identityIvEEEESG_SJ_SK_mSL_SN_bEUlT_E_NS1_11comp_targetILNS1_3genE4ELNS1_11target_archE910ELNS1_3gpuE8ELNS1_3repE0EEENS1_30default_config_static_selectorELNS0_4arch9wavefront6targetE0EEEvT1_
	.globl	_ZN7rocprim17ROCPRIM_400000_NS6detail17trampoline_kernelINS0_14default_configENS1_25transform_config_selectorIlLb0EEEZNS1_14transform_implILb0ES3_S5_NS0_18transform_iteratorINS0_17counting_iteratorImlEEZNS1_24adjacent_difference_implIS3_Lb1ELb0EPlSB_N6thrust23THRUST_200600_302600_NS5minusIlEEEE10hipError_tPvRmT2_T3_mT4_P12ihipStream_tbEUlmE_lEESB_NS0_8identityIvEEEESG_SJ_SK_mSL_SN_bEUlT_E_NS1_11comp_targetILNS1_3genE4ELNS1_11target_archE910ELNS1_3gpuE8ELNS1_3repE0EEENS1_30default_config_static_selectorELNS0_4arch9wavefront6targetE0EEEvT1_
	.p2align	8
	.type	_ZN7rocprim17ROCPRIM_400000_NS6detail17trampoline_kernelINS0_14default_configENS1_25transform_config_selectorIlLb0EEEZNS1_14transform_implILb0ES3_S5_NS0_18transform_iteratorINS0_17counting_iteratorImlEEZNS1_24adjacent_difference_implIS3_Lb1ELb0EPlSB_N6thrust23THRUST_200600_302600_NS5minusIlEEEE10hipError_tPvRmT2_T3_mT4_P12ihipStream_tbEUlmE_lEESB_NS0_8identityIvEEEESG_SJ_SK_mSL_SN_bEUlT_E_NS1_11comp_targetILNS1_3genE4ELNS1_11target_archE910ELNS1_3gpuE8ELNS1_3repE0EEENS1_30default_config_static_selectorELNS0_4arch9wavefront6targetE0EEEvT1_,@function
_ZN7rocprim17ROCPRIM_400000_NS6detail17trampoline_kernelINS0_14default_configENS1_25transform_config_selectorIlLb0EEEZNS1_14transform_implILb0ES3_S5_NS0_18transform_iteratorINS0_17counting_iteratorImlEEZNS1_24adjacent_difference_implIS3_Lb1ELb0EPlSB_N6thrust23THRUST_200600_302600_NS5minusIlEEEE10hipError_tPvRmT2_T3_mT4_P12ihipStream_tbEUlmE_lEESB_NS0_8identityIvEEEESG_SJ_SK_mSL_SN_bEUlT_E_NS1_11comp_targetILNS1_3genE4ELNS1_11target_archE910ELNS1_3gpuE8ELNS1_3repE0EEENS1_30default_config_static_selectorELNS0_4arch9wavefront6targetE0EEEvT1_: ; @_ZN7rocprim17ROCPRIM_400000_NS6detail17trampoline_kernelINS0_14default_configENS1_25transform_config_selectorIlLb0EEEZNS1_14transform_implILb0ES3_S5_NS0_18transform_iteratorINS0_17counting_iteratorImlEEZNS1_24adjacent_difference_implIS3_Lb1ELb0EPlSB_N6thrust23THRUST_200600_302600_NS5minusIlEEEE10hipError_tPvRmT2_T3_mT4_P12ihipStream_tbEUlmE_lEESB_NS0_8identityIvEEEESG_SJ_SK_mSL_SN_bEUlT_E_NS1_11comp_targetILNS1_3genE4ELNS1_11target_archE910ELNS1_3gpuE8ELNS1_3repE0EEENS1_30default_config_static_selectorELNS0_4arch9wavefront6targetE0EEEvT1_
; %bb.0:
	.section	.rodata,"a",@progbits
	.p2align	6, 0x0
	.amdhsa_kernel _ZN7rocprim17ROCPRIM_400000_NS6detail17trampoline_kernelINS0_14default_configENS1_25transform_config_selectorIlLb0EEEZNS1_14transform_implILb0ES3_S5_NS0_18transform_iteratorINS0_17counting_iteratorImlEEZNS1_24adjacent_difference_implIS3_Lb1ELb0EPlSB_N6thrust23THRUST_200600_302600_NS5minusIlEEEE10hipError_tPvRmT2_T3_mT4_P12ihipStream_tbEUlmE_lEESB_NS0_8identityIvEEEESG_SJ_SK_mSL_SN_bEUlT_E_NS1_11comp_targetILNS1_3genE4ELNS1_11target_archE910ELNS1_3gpuE8ELNS1_3repE0EEENS1_30default_config_static_selectorELNS0_4arch9wavefront6targetE0EEEvT1_
		.amdhsa_group_segment_fixed_size 0
		.amdhsa_private_segment_fixed_size 0
		.amdhsa_kernarg_size 56
		.amdhsa_user_sgpr_count 15
		.amdhsa_user_sgpr_dispatch_ptr 0
		.amdhsa_user_sgpr_queue_ptr 0
		.amdhsa_user_sgpr_kernarg_segment_ptr 1
		.amdhsa_user_sgpr_dispatch_id 0
		.amdhsa_user_sgpr_private_segment_size 0
		.amdhsa_wavefront_size32 1
		.amdhsa_uses_dynamic_stack 0
		.amdhsa_enable_private_segment 0
		.amdhsa_system_sgpr_workgroup_id_x 1
		.amdhsa_system_sgpr_workgroup_id_y 0
		.amdhsa_system_sgpr_workgroup_id_z 0
		.amdhsa_system_sgpr_workgroup_info 0
		.amdhsa_system_vgpr_workitem_id 0
		.amdhsa_next_free_vgpr 1
		.amdhsa_next_free_sgpr 1
		.amdhsa_reserve_vcc 0
		.amdhsa_float_round_mode_32 0
		.amdhsa_float_round_mode_16_64 0
		.amdhsa_float_denorm_mode_32 3
		.amdhsa_float_denorm_mode_16_64 3
		.amdhsa_dx10_clamp 1
		.amdhsa_ieee_mode 1
		.amdhsa_fp16_overflow 0
		.amdhsa_workgroup_processor_mode 1
		.amdhsa_memory_ordered 1
		.amdhsa_forward_progress 0
		.amdhsa_shared_vgpr_count 0
		.amdhsa_exception_fp_ieee_invalid_op 0
		.amdhsa_exception_fp_denorm_src 0
		.amdhsa_exception_fp_ieee_div_zero 0
		.amdhsa_exception_fp_ieee_overflow 0
		.amdhsa_exception_fp_ieee_underflow 0
		.amdhsa_exception_fp_ieee_inexact 0
		.amdhsa_exception_int_div_zero 0
	.end_amdhsa_kernel
	.section	.text._ZN7rocprim17ROCPRIM_400000_NS6detail17trampoline_kernelINS0_14default_configENS1_25transform_config_selectorIlLb0EEEZNS1_14transform_implILb0ES3_S5_NS0_18transform_iteratorINS0_17counting_iteratorImlEEZNS1_24adjacent_difference_implIS3_Lb1ELb0EPlSB_N6thrust23THRUST_200600_302600_NS5minusIlEEEE10hipError_tPvRmT2_T3_mT4_P12ihipStream_tbEUlmE_lEESB_NS0_8identityIvEEEESG_SJ_SK_mSL_SN_bEUlT_E_NS1_11comp_targetILNS1_3genE4ELNS1_11target_archE910ELNS1_3gpuE8ELNS1_3repE0EEENS1_30default_config_static_selectorELNS0_4arch9wavefront6targetE0EEEvT1_,"axG",@progbits,_ZN7rocprim17ROCPRIM_400000_NS6detail17trampoline_kernelINS0_14default_configENS1_25transform_config_selectorIlLb0EEEZNS1_14transform_implILb0ES3_S5_NS0_18transform_iteratorINS0_17counting_iteratorImlEEZNS1_24adjacent_difference_implIS3_Lb1ELb0EPlSB_N6thrust23THRUST_200600_302600_NS5minusIlEEEE10hipError_tPvRmT2_T3_mT4_P12ihipStream_tbEUlmE_lEESB_NS0_8identityIvEEEESG_SJ_SK_mSL_SN_bEUlT_E_NS1_11comp_targetILNS1_3genE4ELNS1_11target_archE910ELNS1_3gpuE8ELNS1_3repE0EEENS1_30default_config_static_selectorELNS0_4arch9wavefront6targetE0EEEvT1_,comdat
.Lfunc_end246:
	.size	_ZN7rocprim17ROCPRIM_400000_NS6detail17trampoline_kernelINS0_14default_configENS1_25transform_config_selectorIlLb0EEEZNS1_14transform_implILb0ES3_S5_NS0_18transform_iteratorINS0_17counting_iteratorImlEEZNS1_24adjacent_difference_implIS3_Lb1ELb0EPlSB_N6thrust23THRUST_200600_302600_NS5minusIlEEEE10hipError_tPvRmT2_T3_mT4_P12ihipStream_tbEUlmE_lEESB_NS0_8identityIvEEEESG_SJ_SK_mSL_SN_bEUlT_E_NS1_11comp_targetILNS1_3genE4ELNS1_11target_archE910ELNS1_3gpuE8ELNS1_3repE0EEENS1_30default_config_static_selectorELNS0_4arch9wavefront6targetE0EEEvT1_, .Lfunc_end246-_ZN7rocprim17ROCPRIM_400000_NS6detail17trampoline_kernelINS0_14default_configENS1_25transform_config_selectorIlLb0EEEZNS1_14transform_implILb0ES3_S5_NS0_18transform_iteratorINS0_17counting_iteratorImlEEZNS1_24adjacent_difference_implIS3_Lb1ELb0EPlSB_N6thrust23THRUST_200600_302600_NS5minusIlEEEE10hipError_tPvRmT2_T3_mT4_P12ihipStream_tbEUlmE_lEESB_NS0_8identityIvEEEESG_SJ_SK_mSL_SN_bEUlT_E_NS1_11comp_targetILNS1_3genE4ELNS1_11target_archE910ELNS1_3gpuE8ELNS1_3repE0EEENS1_30default_config_static_selectorELNS0_4arch9wavefront6targetE0EEEvT1_
                                        ; -- End function
	.section	.AMDGPU.csdata,"",@progbits
; Kernel info:
; codeLenInByte = 0
; NumSgprs: 0
; NumVgprs: 0
; ScratchSize: 0
; MemoryBound: 0
; FloatMode: 240
; IeeeMode: 1
; LDSByteSize: 0 bytes/workgroup (compile time only)
; SGPRBlocks: 0
; VGPRBlocks: 0
; NumSGPRsForWavesPerEU: 1
; NumVGPRsForWavesPerEU: 1
; Occupancy: 16
; WaveLimiterHint : 0
; COMPUTE_PGM_RSRC2:SCRATCH_EN: 0
; COMPUTE_PGM_RSRC2:USER_SGPR: 15
; COMPUTE_PGM_RSRC2:TRAP_HANDLER: 0
; COMPUTE_PGM_RSRC2:TGID_X_EN: 1
; COMPUTE_PGM_RSRC2:TGID_Y_EN: 0
; COMPUTE_PGM_RSRC2:TGID_Z_EN: 0
; COMPUTE_PGM_RSRC2:TIDIG_COMP_CNT: 0
	.section	.text._ZN7rocprim17ROCPRIM_400000_NS6detail17trampoline_kernelINS0_14default_configENS1_25transform_config_selectorIlLb0EEEZNS1_14transform_implILb0ES3_S5_NS0_18transform_iteratorINS0_17counting_iteratorImlEEZNS1_24adjacent_difference_implIS3_Lb1ELb0EPlSB_N6thrust23THRUST_200600_302600_NS5minusIlEEEE10hipError_tPvRmT2_T3_mT4_P12ihipStream_tbEUlmE_lEESB_NS0_8identityIvEEEESG_SJ_SK_mSL_SN_bEUlT_E_NS1_11comp_targetILNS1_3genE3ELNS1_11target_archE908ELNS1_3gpuE7ELNS1_3repE0EEENS1_30default_config_static_selectorELNS0_4arch9wavefront6targetE0EEEvT1_,"axG",@progbits,_ZN7rocprim17ROCPRIM_400000_NS6detail17trampoline_kernelINS0_14default_configENS1_25transform_config_selectorIlLb0EEEZNS1_14transform_implILb0ES3_S5_NS0_18transform_iteratorINS0_17counting_iteratorImlEEZNS1_24adjacent_difference_implIS3_Lb1ELb0EPlSB_N6thrust23THRUST_200600_302600_NS5minusIlEEEE10hipError_tPvRmT2_T3_mT4_P12ihipStream_tbEUlmE_lEESB_NS0_8identityIvEEEESG_SJ_SK_mSL_SN_bEUlT_E_NS1_11comp_targetILNS1_3genE3ELNS1_11target_archE908ELNS1_3gpuE7ELNS1_3repE0EEENS1_30default_config_static_selectorELNS0_4arch9wavefront6targetE0EEEvT1_,comdat
	.protected	_ZN7rocprim17ROCPRIM_400000_NS6detail17trampoline_kernelINS0_14default_configENS1_25transform_config_selectorIlLb0EEEZNS1_14transform_implILb0ES3_S5_NS0_18transform_iteratorINS0_17counting_iteratorImlEEZNS1_24adjacent_difference_implIS3_Lb1ELb0EPlSB_N6thrust23THRUST_200600_302600_NS5minusIlEEEE10hipError_tPvRmT2_T3_mT4_P12ihipStream_tbEUlmE_lEESB_NS0_8identityIvEEEESG_SJ_SK_mSL_SN_bEUlT_E_NS1_11comp_targetILNS1_3genE3ELNS1_11target_archE908ELNS1_3gpuE7ELNS1_3repE0EEENS1_30default_config_static_selectorELNS0_4arch9wavefront6targetE0EEEvT1_ ; -- Begin function _ZN7rocprim17ROCPRIM_400000_NS6detail17trampoline_kernelINS0_14default_configENS1_25transform_config_selectorIlLb0EEEZNS1_14transform_implILb0ES3_S5_NS0_18transform_iteratorINS0_17counting_iteratorImlEEZNS1_24adjacent_difference_implIS3_Lb1ELb0EPlSB_N6thrust23THRUST_200600_302600_NS5minusIlEEEE10hipError_tPvRmT2_T3_mT4_P12ihipStream_tbEUlmE_lEESB_NS0_8identityIvEEEESG_SJ_SK_mSL_SN_bEUlT_E_NS1_11comp_targetILNS1_3genE3ELNS1_11target_archE908ELNS1_3gpuE7ELNS1_3repE0EEENS1_30default_config_static_selectorELNS0_4arch9wavefront6targetE0EEEvT1_
	.globl	_ZN7rocprim17ROCPRIM_400000_NS6detail17trampoline_kernelINS0_14default_configENS1_25transform_config_selectorIlLb0EEEZNS1_14transform_implILb0ES3_S5_NS0_18transform_iteratorINS0_17counting_iteratorImlEEZNS1_24adjacent_difference_implIS3_Lb1ELb0EPlSB_N6thrust23THRUST_200600_302600_NS5minusIlEEEE10hipError_tPvRmT2_T3_mT4_P12ihipStream_tbEUlmE_lEESB_NS0_8identityIvEEEESG_SJ_SK_mSL_SN_bEUlT_E_NS1_11comp_targetILNS1_3genE3ELNS1_11target_archE908ELNS1_3gpuE7ELNS1_3repE0EEENS1_30default_config_static_selectorELNS0_4arch9wavefront6targetE0EEEvT1_
	.p2align	8
	.type	_ZN7rocprim17ROCPRIM_400000_NS6detail17trampoline_kernelINS0_14default_configENS1_25transform_config_selectorIlLb0EEEZNS1_14transform_implILb0ES3_S5_NS0_18transform_iteratorINS0_17counting_iteratorImlEEZNS1_24adjacent_difference_implIS3_Lb1ELb0EPlSB_N6thrust23THRUST_200600_302600_NS5minusIlEEEE10hipError_tPvRmT2_T3_mT4_P12ihipStream_tbEUlmE_lEESB_NS0_8identityIvEEEESG_SJ_SK_mSL_SN_bEUlT_E_NS1_11comp_targetILNS1_3genE3ELNS1_11target_archE908ELNS1_3gpuE7ELNS1_3repE0EEENS1_30default_config_static_selectorELNS0_4arch9wavefront6targetE0EEEvT1_,@function
_ZN7rocprim17ROCPRIM_400000_NS6detail17trampoline_kernelINS0_14default_configENS1_25transform_config_selectorIlLb0EEEZNS1_14transform_implILb0ES3_S5_NS0_18transform_iteratorINS0_17counting_iteratorImlEEZNS1_24adjacent_difference_implIS3_Lb1ELb0EPlSB_N6thrust23THRUST_200600_302600_NS5minusIlEEEE10hipError_tPvRmT2_T3_mT4_P12ihipStream_tbEUlmE_lEESB_NS0_8identityIvEEEESG_SJ_SK_mSL_SN_bEUlT_E_NS1_11comp_targetILNS1_3genE3ELNS1_11target_archE908ELNS1_3gpuE7ELNS1_3repE0EEENS1_30default_config_static_selectorELNS0_4arch9wavefront6targetE0EEEvT1_: ; @_ZN7rocprim17ROCPRIM_400000_NS6detail17trampoline_kernelINS0_14default_configENS1_25transform_config_selectorIlLb0EEEZNS1_14transform_implILb0ES3_S5_NS0_18transform_iteratorINS0_17counting_iteratorImlEEZNS1_24adjacent_difference_implIS3_Lb1ELb0EPlSB_N6thrust23THRUST_200600_302600_NS5minusIlEEEE10hipError_tPvRmT2_T3_mT4_P12ihipStream_tbEUlmE_lEESB_NS0_8identityIvEEEESG_SJ_SK_mSL_SN_bEUlT_E_NS1_11comp_targetILNS1_3genE3ELNS1_11target_archE908ELNS1_3gpuE7ELNS1_3repE0EEENS1_30default_config_static_selectorELNS0_4arch9wavefront6targetE0EEEvT1_
; %bb.0:
	.section	.rodata,"a",@progbits
	.p2align	6, 0x0
	.amdhsa_kernel _ZN7rocprim17ROCPRIM_400000_NS6detail17trampoline_kernelINS0_14default_configENS1_25transform_config_selectorIlLb0EEEZNS1_14transform_implILb0ES3_S5_NS0_18transform_iteratorINS0_17counting_iteratorImlEEZNS1_24adjacent_difference_implIS3_Lb1ELb0EPlSB_N6thrust23THRUST_200600_302600_NS5minusIlEEEE10hipError_tPvRmT2_T3_mT4_P12ihipStream_tbEUlmE_lEESB_NS0_8identityIvEEEESG_SJ_SK_mSL_SN_bEUlT_E_NS1_11comp_targetILNS1_3genE3ELNS1_11target_archE908ELNS1_3gpuE7ELNS1_3repE0EEENS1_30default_config_static_selectorELNS0_4arch9wavefront6targetE0EEEvT1_
		.amdhsa_group_segment_fixed_size 0
		.amdhsa_private_segment_fixed_size 0
		.amdhsa_kernarg_size 56
		.amdhsa_user_sgpr_count 15
		.amdhsa_user_sgpr_dispatch_ptr 0
		.amdhsa_user_sgpr_queue_ptr 0
		.amdhsa_user_sgpr_kernarg_segment_ptr 1
		.amdhsa_user_sgpr_dispatch_id 0
		.amdhsa_user_sgpr_private_segment_size 0
		.amdhsa_wavefront_size32 1
		.amdhsa_uses_dynamic_stack 0
		.amdhsa_enable_private_segment 0
		.amdhsa_system_sgpr_workgroup_id_x 1
		.amdhsa_system_sgpr_workgroup_id_y 0
		.amdhsa_system_sgpr_workgroup_id_z 0
		.amdhsa_system_sgpr_workgroup_info 0
		.amdhsa_system_vgpr_workitem_id 0
		.amdhsa_next_free_vgpr 1
		.amdhsa_next_free_sgpr 1
		.amdhsa_reserve_vcc 0
		.amdhsa_float_round_mode_32 0
		.amdhsa_float_round_mode_16_64 0
		.amdhsa_float_denorm_mode_32 3
		.amdhsa_float_denorm_mode_16_64 3
		.amdhsa_dx10_clamp 1
		.amdhsa_ieee_mode 1
		.amdhsa_fp16_overflow 0
		.amdhsa_workgroup_processor_mode 1
		.amdhsa_memory_ordered 1
		.amdhsa_forward_progress 0
		.amdhsa_shared_vgpr_count 0
		.amdhsa_exception_fp_ieee_invalid_op 0
		.amdhsa_exception_fp_denorm_src 0
		.amdhsa_exception_fp_ieee_div_zero 0
		.amdhsa_exception_fp_ieee_overflow 0
		.amdhsa_exception_fp_ieee_underflow 0
		.amdhsa_exception_fp_ieee_inexact 0
		.amdhsa_exception_int_div_zero 0
	.end_amdhsa_kernel
	.section	.text._ZN7rocprim17ROCPRIM_400000_NS6detail17trampoline_kernelINS0_14default_configENS1_25transform_config_selectorIlLb0EEEZNS1_14transform_implILb0ES3_S5_NS0_18transform_iteratorINS0_17counting_iteratorImlEEZNS1_24adjacent_difference_implIS3_Lb1ELb0EPlSB_N6thrust23THRUST_200600_302600_NS5minusIlEEEE10hipError_tPvRmT2_T3_mT4_P12ihipStream_tbEUlmE_lEESB_NS0_8identityIvEEEESG_SJ_SK_mSL_SN_bEUlT_E_NS1_11comp_targetILNS1_3genE3ELNS1_11target_archE908ELNS1_3gpuE7ELNS1_3repE0EEENS1_30default_config_static_selectorELNS0_4arch9wavefront6targetE0EEEvT1_,"axG",@progbits,_ZN7rocprim17ROCPRIM_400000_NS6detail17trampoline_kernelINS0_14default_configENS1_25transform_config_selectorIlLb0EEEZNS1_14transform_implILb0ES3_S5_NS0_18transform_iteratorINS0_17counting_iteratorImlEEZNS1_24adjacent_difference_implIS3_Lb1ELb0EPlSB_N6thrust23THRUST_200600_302600_NS5minusIlEEEE10hipError_tPvRmT2_T3_mT4_P12ihipStream_tbEUlmE_lEESB_NS0_8identityIvEEEESG_SJ_SK_mSL_SN_bEUlT_E_NS1_11comp_targetILNS1_3genE3ELNS1_11target_archE908ELNS1_3gpuE7ELNS1_3repE0EEENS1_30default_config_static_selectorELNS0_4arch9wavefront6targetE0EEEvT1_,comdat
.Lfunc_end247:
	.size	_ZN7rocprim17ROCPRIM_400000_NS6detail17trampoline_kernelINS0_14default_configENS1_25transform_config_selectorIlLb0EEEZNS1_14transform_implILb0ES3_S5_NS0_18transform_iteratorINS0_17counting_iteratorImlEEZNS1_24adjacent_difference_implIS3_Lb1ELb0EPlSB_N6thrust23THRUST_200600_302600_NS5minusIlEEEE10hipError_tPvRmT2_T3_mT4_P12ihipStream_tbEUlmE_lEESB_NS0_8identityIvEEEESG_SJ_SK_mSL_SN_bEUlT_E_NS1_11comp_targetILNS1_3genE3ELNS1_11target_archE908ELNS1_3gpuE7ELNS1_3repE0EEENS1_30default_config_static_selectorELNS0_4arch9wavefront6targetE0EEEvT1_, .Lfunc_end247-_ZN7rocprim17ROCPRIM_400000_NS6detail17trampoline_kernelINS0_14default_configENS1_25transform_config_selectorIlLb0EEEZNS1_14transform_implILb0ES3_S5_NS0_18transform_iteratorINS0_17counting_iteratorImlEEZNS1_24adjacent_difference_implIS3_Lb1ELb0EPlSB_N6thrust23THRUST_200600_302600_NS5minusIlEEEE10hipError_tPvRmT2_T3_mT4_P12ihipStream_tbEUlmE_lEESB_NS0_8identityIvEEEESG_SJ_SK_mSL_SN_bEUlT_E_NS1_11comp_targetILNS1_3genE3ELNS1_11target_archE908ELNS1_3gpuE7ELNS1_3repE0EEENS1_30default_config_static_selectorELNS0_4arch9wavefront6targetE0EEEvT1_
                                        ; -- End function
	.section	.AMDGPU.csdata,"",@progbits
; Kernel info:
; codeLenInByte = 0
; NumSgprs: 0
; NumVgprs: 0
; ScratchSize: 0
; MemoryBound: 0
; FloatMode: 240
; IeeeMode: 1
; LDSByteSize: 0 bytes/workgroup (compile time only)
; SGPRBlocks: 0
; VGPRBlocks: 0
; NumSGPRsForWavesPerEU: 1
; NumVGPRsForWavesPerEU: 1
; Occupancy: 16
; WaveLimiterHint : 0
; COMPUTE_PGM_RSRC2:SCRATCH_EN: 0
; COMPUTE_PGM_RSRC2:USER_SGPR: 15
; COMPUTE_PGM_RSRC2:TRAP_HANDLER: 0
; COMPUTE_PGM_RSRC2:TGID_X_EN: 1
; COMPUTE_PGM_RSRC2:TGID_Y_EN: 0
; COMPUTE_PGM_RSRC2:TGID_Z_EN: 0
; COMPUTE_PGM_RSRC2:TIDIG_COMP_CNT: 0
	.section	.text._ZN7rocprim17ROCPRIM_400000_NS6detail17trampoline_kernelINS0_14default_configENS1_25transform_config_selectorIlLb0EEEZNS1_14transform_implILb0ES3_S5_NS0_18transform_iteratorINS0_17counting_iteratorImlEEZNS1_24adjacent_difference_implIS3_Lb1ELb0EPlSB_N6thrust23THRUST_200600_302600_NS5minusIlEEEE10hipError_tPvRmT2_T3_mT4_P12ihipStream_tbEUlmE_lEESB_NS0_8identityIvEEEESG_SJ_SK_mSL_SN_bEUlT_E_NS1_11comp_targetILNS1_3genE2ELNS1_11target_archE906ELNS1_3gpuE6ELNS1_3repE0EEENS1_30default_config_static_selectorELNS0_4arch9wavefront6targetE0EEEvT1_,"axG",@progbits,_ZN7rocprim17ROCPRIM_400000_NS6detail17trampoline_kernelINS0_14default_configENS1_25transform_config_selectorIlLb0EEEZNS1_14transform_implILb0ES3_S5_NS0_18transform_iteratorINS0_17counting_iteratorImlEEZNS1_24adjacent_difference_implIS3_Lb1ELb0EPlSB_N6thrust23THRUST_200600_302600_NS5minusIlEEEE10hipError_tPvRmT2_T3_mT4_P12ihipStream_tbEUlmE_lEESB_NS0_8identityIvEEEESG_SJ_SK_mSL_SN_bEUlT_E_NS1_11comp_targetILNS1_3genE2ELNS1_11target_archE906ELNS1_3gpuE6ELNS1_3repE0EEENS1_30default_config_static_selectorELNS0_4arch9wavefront6targetE0EEEvT1_,comdat
	.protected	_ZN7rocprim17ROCPRIM_400000_NS6detail17trampoline_kernelINS0_14default_configENS1_25transform_config_selectorIlLb0EEEZNS1_14transform_implILb0ES3_S5_NS0_18transform_iteratorINS0_17counting_iteratorImlEEZNS1_24adjacent_difference_implIS3_Lb1ELb0EPlSB_N6thrust23THRUST_200600_302600_NS5minusIlEEEE10hipError_tPvRmT2_T3_mT4_P12ihipStream_tbEUlmE_lEESB_NS0_8identityIvEEEESG_SJ_SK_mSL_SN_bEUlT_E_NS1_11comp_targetILNS1_3genE2ELNS1_11target_archE906ELNS1_3gpuE6ELNS1_3repE0EEENS1_30default_config_static_selectorELNS0_4arch9wavefront6targetE0EEEvT1_ ; -- Begin function _ZN7rocprim17ROCPRIM_400000_NS6detail17trampoline_kernelINS0_14default_configENS1_25transform_config_selectorIlLb0EEEZNS1_14transform_implILb0ES3_S5_NS0_18transform_iteratorINS0_17counting_iteratorImlEEZNS1_24adjacent_difference_implIS3_Lb1ELb0EPlSB_N6thrust23THRUST_200600_302600_NS5minusIlEEEE10hipError_tPvRmT2_T3_mT4_P12ihipStream_tbEUlmE_lEESB_NS0_8identityIvEEEESG_SJ_SK_mSL_SN_bEUlT_E_NS1_11comp_targetILNS1_3genE2ELNS1_11target_archE906ELNS1_3gpuE6ELNS1_3repE0EEENS1_30default_config_static_selectorELNS0_4arch9wavefront6targetE0EEEvT1_
	.globl	_ZN7rocprim17ROCPRIM_400000_NS6detail17trampoline_kernelINS0_14default_configENS1_25transform_config_selectorIlLb0EEEZNS1_14transform_implILb0ES3_S5_NS0_18transform_iteratorINS0_17counting_iteratorImlEEZNS1_24adjacent_difference_implIS3_Lb1ELb0EPlSB_N6thrust23THRUST_200600_302600_NS5minusIlEEEE10hipError_tPvRmT2_T3_mT4_P12ihipStream_tbEUlmE_lEESB_NS0_8identityIvEEEESG_SJ_SK_mSL_SN_bEUlT_E_NS1_11comp_targetILNS1_3genE2ELNS1_11target_archE906ELNS1_3gpuE6ELNS1_3repE0EEENS1_30default_config_static_selectorELNS0_4arch9wavefront6targetE0EEEvT1_
	.p2align	8
	.type	_ZN7rocprim17ROCPRIM_400000_NS6detail17trampoline_kernelINS0_14default_configENS1_25transform_config_selectorIlLb0EEEZNS1_14transform_implILb0ES3_S5_NS0_18transform_iteratorINS0_17counting_iteratorImlEEZNS1_24adjacent_difference_implIS3_Lb1ELb0EPlSB_N6thrust23THRUST_200600_302600_NS5minusIlEEEE10hipError_tPvRmT2_T3_mT4_P12ihipStream_tbEUlmE_lEESB_NS0_8identityIvEEEESG_SJ_SK_mSL_SN_bEUlT_E_NS1_11comp_targetILNS1_3genE2ELNS1_11target_archE906ELNS1_3gpuE6ELNS1_3repE0EEENS1_30default_config_static_selectorELNS0_4arch9wavefront6targetE0EEEvT1_,@function
_ZN7rocprim17ROCPRIM_400000_NS6detail17trampoline_kernelINS0_14default_configENS1_25transform_config_selectorIlLb0EEEZNS1_14transform_implILb0ES3_S5_NS0_18transform_iteratorINS0_17counting_iteratorImlEEZNS1_24adjacent_difference_implIS3_Lb1ELb0EPlSB_N6thrust23THRUST_200600_302600_NS5minusIlEEEE10hipError_tPvRmT2_T3_mT4_P12ihipStream_tbEUlmE_lEESB_NS0_8identityIvEEEESG_SJ_SK_mSL_SN_bEUlT_E_NS1_11comp_targetILNS1_3genE2ELNS1_11target_archE906ELNS1_3gpuE6ELNS1_3repE0EEENS1_30default_config_static_selectorELNS0_4arch9wavefront6targetE0EEEvT1_: ; @_ZN7rocprim17ROCPRIM_400000_NS6detail17trampoline_kernelINS0_14default_configENS1_25transform_config_selectorIlLb0EEEZNS1_14transform_implILb0ES3_S5_NS0_18transform_iteratorINS0_17counting_iteratorImlEEZNS1_24adjacent_difference_implIS3_Lb1ELb0EPlSB_N6thrust23THRUST_200600_302600_NS5minusIlEEEE10hipError_tPvRmT2_T3_mT4_P12ihipStream_tbEUlmE_lEESB_NS0_8identityIvEEEESG_SJ_SK_mSL_SN_bEUlT_E_NS1_11comp_targetILNS1_3genE2ELNS1_11target_archE906ELNS1_3gpuE6ELNS1_3repE0EEENS1_30default_config_static_selectorELNS0_4arch9wavefront6targetE0EEEvT1_
; %bb.0:
	.section	.rodata,"a",@progbits
	.p2align	6, 0x0
	.amdhsa_kernel _ZN7rocprim17ROCPRIM_400000_NS6detail17trampoline_kernelINS0_14default_configENS1_25transform_config_selectorIlLb0EEEZNS1_14transform_implILb0ES3_S5_NS0_18transform_iteratorINS0_17counting_iteratorImlEEZNS1_24adjacent_difference_implIS3_Lb1ELb0EPlSB_N6thrust23THRUST_200600_302600_NS5minusIlEEEE10hipError_tPvRmT2_T3_mT4_P12ihipStream_tbEUlmE_lEESB_NS0_8identityIvEEEESG_SJ_SK_mSL_SN_bEUlT_E_NS1_11comp_targetILNS1_3genE2ELNS1_11target_archE906ELNS1_3gpuE6ELNS1_3repE0EEENS1_30default_config_static_selectorELNS0_4arch9wavefront6targetE0EEEvT1_
		.amdhsa_group_segment_fixed_size 0
		.amdhsa_private_segment_fixed_size 0
		.amdhsa_kernarg_size 56
		.amdhsa_user_sgpr_count 15
		.amdhsa_user_sgpr_dispatch_ptr 0
		.amdhsa_user_sgpr_queue_ptr 0
		.amdhsa_user_sgpr_kernarg_segment_ptr 1
		.amdhsa_user_sgpr_dispatch_id 0
		.amdhsa_user_sgpr_private_segment_size 0
		.amdhsa_wavefront_size32 1
		.amdhsa_uses_dynamic_stack 0
		.amdhsa_enable_private_segment 0
		.amdhsa_system_sgpr_workgroup_id_x 1
		.amdhsa_system_sgpr_workgroup_id_y 0
		.amdhsa_system_sgpr_workgroup_id_z 0
		.amdhsa_system_sgpr_workgroup_info 0
		.amdhsa_system_vgpr_workitem_id 0
		.amdhsa_next_free_vgpr 1
		.amdhsa_next_free_sgpr 1
		.amdhsa_reserve_vcc 0
		.amdhsa_float_round_mode_32 0
		.amdhsa_float_round_mode_16_64 0
		.amdhsa_float_denorm_mode_32 3
		.amdhsa_float_denorm_mode_16_64 3
		.amdhsa_dx10_clamp 1
		.amdhsa_ieee_mode 1
		.amdhsa_fp16_overflow 0
		.amdhsa_workgroup_processor_mode 1
		.amdhsa_memory_ordered 1
		.amdhsa_forward_progress 0
		.amdhsa_shared_vgpr_count 0
		.amdhsa_exception_fp_ieee_invalid_op 0
		.amdhsa_exception_fp_denorm_src 0
		.amdhsa_exception_fp_ieee_div_zero 0
		.amdhsa_exception_fp_ieee_overflow 0
		.amdhsa_exception_fp_ieee_underflow 0
		.amdhsa_exception_fp_ieee_inexact 0
		.amdhsa_exception_int_div_zero 0
	.end_amdhsa_kernel
	.section	.text._ZN7rocprim17ROCPRIM_400000_NS6detail17trampoline_kernelINS0_14default_configENS1_25transform_config_selectorIlLb0EEEZNS1_14transform_implILb0ES3_S5_NS0_18transform_iteratorINS0_17counting_iteratorImlEEZNS1_24adjacent_difference_implIS3_Lb1ELb0EPlSB_N6thrust23THRUST_200600_302600_NS5minusIlEEEE10hipError_tPvRmT2_T3_mT4_P12ihipStream_tbEUlmE_lEESB_NS0_8identityIvEEEESG_SJ_SK_mSL_SN_bEUlT_E_NS1_11comp_targetILNS1_3genE2ELNS1_11target_archE906ELNS1_3gpuE6ELNS1_3repE0EEENS1_30default_config_static_selectorELNS0_4arch9wavefront6targetE0EEEvT1_,"axG",@progbits,_ZN7rocprim17ROCPRIM_400000_NS6detail17trampoline_kernelINS0_14default_configENS1_25transform_config_selectorIlLb0EEEZNS1_14transform_implILb0ES3_S5_NS0_18transform_iteratorINS0_17counting_iteratorImlEEZNS1_24adjacent_difference_implIS3_Lb1ELb0EPlSB_N6thrust23THRUST_200600_302600_NS5minusIlEEEE10hipError_tPvRmT2_T3_mT4_P12ihipStream_tbEUlmE_lEESB_NS0_8identityIvEEEESG_SJ_SK_mSL_SN_bEUlT_E_NS1_11comp_targetILNS1_3genE2ELNS1_11target_archE906ELNS1_3gpuE6ELNS1_3repE0EEENS1_30default_config_static_selectorELNS0_4arch9wavefront6targetE0EEEvT1_,comdat
.Lfunc_end248:
	.size	_ZN7rocprim17ROCPRIM_400000_NS6detail17trampoline_kernelINS0_14default_configENS1_25transform_config_selectorIlLb0EEEZNS1_14transform_implILb0ES3_S5_NS0_18transform_iteratorINS0_17counting_iteratorImlEEZNS1_24adjacent_difference_implIS3_Lb1ELb0EPlSB_N6thrust23THRUST_200600_302600_NS5minusIlEEEE10hipError_tPvRmT2_T3_mT4_P12ihipStream_tbEUlmE_lEESB_NS0_8identityIvEEEESG_SJ_SK_mSL_SN_bEUlT_E_NS1_11comp_targetILNS1_3genE2ELNS1_11target_archE906ELNS1_3gpuE6ELNS1_3repE0EEENS1_30default_config_static_selectorELNS0_4arch9wavefront6targetE0EEEvT1_, .Lfunc_end248-_ZN7rocprim17ROCPRIM_400000_NS6detail17trampoline_kernelINS0_14default_configENS1_25transform_config_selectorIlLb0EEEZNS1_14transform_implILb0ES3_S5_NS0_18transform_iteratorINS0_17counting_iteratorImlEEZNS1_24adjacent_difference_implIS3_Lb1ELb0EPlSB_N6thrust23THRUST_200600_302600_NS5minusIlEEEE10hipError_tPvRmT2_T3_mT4_P12ihipStream_tbEUlmE_lEESB_NS0_8identityIvEEEESG_SJ_SK_mSL_SN_bEUlT_E_NS1_11comp_targetILNS1_3genE2ELNS1_11target_archE906ELNS1_3gpuE6ELNS1_3repE0EEENS1_30default_config_static_selectorELNS0_4arch9wavefront6targetE0EEEvT1_
                                        ; -- End function
	.section	.AMDGPU.csdata,"",@progbits
; Kernel info:
; codeLenInByte = 0
; NumSgprs: 0
; NumVgprs: 0
; ScratchSize: 0
; MemoryBound: 0
; FloatMode: 240
; IeeeMode: 1
; LDSByteSize: 0 bytes/workgroup (compile time only)
; SGPRBlocks: 0
; VGPRBlocks: 0
; NumSGPRsForWavesPerEU: 1
; NumVGPRsForWavesPerEU: 1
; Occupancy: 16
; WaveLimiterHint : 0
; COMPUTE_PGM_RSRC2:SCRATCH_EN: 0
; COMPUTE_PGM_RSRC2:USER_SGPR: 15
; COMPUTE_PGM_RSRC2:TRAP_HANDLER: 0
; COMPUTE_PGM_RSRC2:TGID_X_EN: 1
; COMPUTE_PGM_RSRC2:TGID_Y_EN: 0
; COMPUTE_PGM_RSRC2:TGID_Z_EN: 0
; COMPUTE_PGM_RSRC2:TIDIG_COMP_CNT: 0
	.section	.text._ZN7rocprim17ROCPRIM_400000_NS6detail17trampoline_kernelINS0_14default_configENS1_25transform_config_selectorIlLb0EEEZNS1_14transform_implILb0ES3_S5_NS0_18transform_iteratorINS0_17counting_iteratorImlEEZNS1_24adjacent_difference_implIS3_Lb1ELb0EPlSB_N6thrust23THRUST_200600_302600_NS5minusIlEEEE10hipError_tPvRmT2_T3_mT4_P12ihipStream_tbEUlmE_lEESB_NS0_8identityIvEEEESG_SJ_SK_mSL_SN_bEUlT_E_NS1_11comp_targetILNS1_3genE10ELNS1_11target_archE1201ELNS1_3gpuE5ELNS1_3repE0EEENS1_30default_config_static_selectorELNS0_4arch9wavefront6targetE0EEEvT1_,"axG",@progbits,_ZN7rocprim17ROCPRIM_400000_NS6detail17trampoline_kernelINS0_14default_configENS1_25transform_config_selectorIlLb0EEEZNS1_14transform_implILb0ES3_S5_NS0_18transform_iteratorINS0_17counting_iteratorImlEEZNS1_24adjacent_difference_implIS3_Lb1ELb0EPlSB_N6thrust23THRUST_200600_302600_NS5minusIlEEEE10hipError_tPvRmT2_T3_mT4_P12ihipStream_tbEUlmE_lEESB_NS0_8identityIvEEEESG_SJ_SK_mSL_SN_bEUlT_E_NS1_11comp_targetILNS1_3genE10ELNS1_11target_archE1201ELNS1_3gpuE5ELNS1_3repE0EEENS1_30default_config_static_selectorELNS0_4arch9wavefront6targetE0EEEvT1_,comdat
	.protected	_ZN7rocprim17ROCPRIM_400000_NS6detail17trampoline_kernelINS0_14default_configENS1_25transform_config_selectorIlLb0EEEZNS1_14transform_implILb0ES3_S5_NS0_18transform_iteratorINS0_17counting_iteratorImlEEZNS1_24adjacent_difference_implIS3_Lb1ELb0EPlSB_N6thrust23THRUST_200600_302600_NS5minusIlEEEE10hipError_tPvRmT2_T3_mT4_P12ihipStream_tbEUlmE_lEESB_NS0_8identityIvEEEESG_SJ_SK_mSL_SN_bEUlT_E_NS1_11comp_targetILNS1_3genE10ELNS1_11target_archE1201ELNS1_3gpuE5ELNS1_3repE0EEENS1_30default_config_static_selectorELNS0_4arch9wavefront6targetE0EEEvT1_ ; -- Begin function _ZN7rocprim17ROCPRIM_400000_NS6detail17trampoline_kernelINS0_14default_configENS1_25transform_config_selectorIlLb0EEEZNS1_14transform_implILb0ES3_S5_NS0_18transform_iteratorINS0_17counting_iteratorImlEEZNS1_24adjacent_difference_implIS3_Lb1ELb0EPlSB_N6thrust23THRUST_200600_302600_NS5minusIlEEEE10hipError_tPvRmT2_T3_mT4_P12ihipStream_tbEUlmE_lEESB_NS0_8identityIvEEEESG_SJ_SK_mSL_SN_bEUlT_E_NS1_11comp_targetILNS1_3genE10ELNS1_11target_archE1201ELNS1_3gpuE5ELNS1_3repE0EEENS1_30default_config_static_selectorELNS0_4arch9wavefront6targetE0EEEvT1_
	.globl	_ZN7rocprim17ROCPRIM_400000_NS6detail17trampoline_kernelINS0_14default_configENS1_25transform_config_selectorIlLb0EEEZNS1_14transform_implILb0ES3_S5_NS0_18transform_iteratorINS0_17counting_iteratorImlEEZNS1_24adjacent_difference_implIS3_Lb1ELb0EPlSB_N6thrust23THRUST_200600_302600_NS5minusIlEEEE10hipError_tPvRmT2_T3_mT4_P12ihipStream_tbEUlmE_lEESB_NS0_8identityIvEEEESG_SJ_SK_mSL_SN_bEUlT_E_NS1_11comp_targetILNS1_3genE10ELNS1_11target_archE1201ELNS1_3gpuE5ELNS1_3repE0EEENS1_30default_config_static_selectorELNS0_4arch9wavefront6targetE0EEEvT1_
	.p2align	8
	.type	_ZN7rocprim17ROCPRIM_400000_NS6detail17trampoline_kernelINS0_14default_configENS1_25transform_config_selectorIlLb0EEEZNS1_14transform_implILb0ES3_S5_NS0_18transform_iteratorINS0_17counting_iteratorImlEEZNS1_24adjacent_difference_implIS3_Lb1ELb0EPlSB_N6thrust23THRUST_200600_302600_NS5minusIlEEEE10hipError_tPvRmT2_T3_mT4_P12ihipStream_tbEUlmE_lEESB_NS0_8identityIvEEEESG_SJ_SK_mSL_SN_bEUlT_E_NS1_11comp_targetILNS1_3genE10ELNS1_11target_archE1201ELNS1_3gpuE5ELNS1_3repE0EEENS1_30default_config_static_selectorELNS0_4arch9wavefront6targetE0EEEvT1_,@function
_ZN7rocprim17ROCPRIM_400000_NS6detail17trampoline_kernelINS0_14default_configENS1_25transform_config_selectorIlLb0EEEZNS1_14transform_implILb0ES3_S5_NS0_18transform_iteratorINS0_17counting_iteratorImlEEZNS1_24adjacent_difference_implIS3_Lb1ELb0EPlSB_N6thrust23THRUST_200600_302600_NS5minusIlEEEE10hipError_tPvRmT2_T3_mT4_P12ihipStream_tbEUlmE_lEESB_NS0_8identityIvEEEESG_SJ_SK_mSL_SN_bEUlT_E_NS1_11comp_targetILNS1_3genE10ELNS1_11target_archE1201ELNS1_3gpuE5ELNS1_3repE0EEENS1_30default_config_static_selectorELNS0_4arch9wavefront6targetE0EEEvT1_: ; @_ZN7rocprim17ROCPRIM_400000_NS6detail17trampoline_kernelINS0_14default_configENS1_25transform_config_selectorIlLb0EEEZNS1_14transform_implILb0ES3_S5_NS0_18transform_iteratorINS0_17counting_iteratorImlEEZNS1_24adjacent_difference_implIS3_Lb1ELb0EPlSB_N6thrust23THRUST_200600_302600_NS5minusIlEEEE10hipError_tPvRmT2_T3_mT4_P12ihipStream_tbEUlmE_lEESB_NS0_8identityIvEEEESG_SJ_SK_mSL_SN_bEUlT_E_NS1_11comp_targetILNS1_3genE10ELNS1_11target_archE1201ELNS1_3gpuE5ELNS1_3repE0EEENS1_30default_config_static_selectorELNS0_4arch9wavefront6targetE0EEEvT1_
; %bb.0:
	.section	.rodata,"a",@progbits
	.p2align	6, 0x0
	.amdhsa_kernel _ZN7rocprim17ROCPRIM_400000_NS6detail17trampoline_kernelINS0_14default_configENS1_25transform_config_selectorIlLb0EEEZNS1_14transform_implILb0ES3_S5_NS0_18transform_iteratorINS0_17counting_iteratorImlEEZNS1_24adjacent_difference_implIS3_Lb1ELb0EPlSB_N6thrust23THRUST_200600_302600_NS5minusIlEEEE10hipError_tPvRmT2_T3_mT4_P12ihipStream_tbEUlmE_lEESB_NS0_8identityIvEEEESG_SJ_SK_mSL_SN_bEUlT_E_NS1_11comp_targetILNS1_3genE10ELNS1_11target_archE1201ELNS1_3gpuE5ELNS1_3repE0EEENS1_30default_config_static_selectorELNS0_4arch9wavefront6targetE0EEEvT1_
		.amdhsa_group_segment_fixed_size 0
		.amdhsa_private_segment_fixed_size 0
		.amdhsa_kernarg_size 56
		.amdhsa_user_sgpr_count 15
		.amdhsa_user_sgpr_dispatch_ptr 0
		.amdhsa_user_sgpr_queue_ptr 0
		.amdhsa_user_sgpr_kernarg_segment_ptr 1
		.amdhsa_user_sgpr_dispatch_id 0
		.amdhsa_user_sgpr_private_segment_size 0
		.amdhsa_wavefront_size32 1
		.amdhsa_uses_dynamic_stack 0
		.amdhsa_enable_private_segment 0
		.amdhsa_system_sgpr_workgroup_id_x 1
		.amdhsa_system_sgpr_workgroup_id_y 0
		.amdhsa_system_sgpr_workgroup_id_z 0
		.amdhsa_system_sgpr_workgroup_info 0
		.amdhsa_system_vgpr_workitem_id 0
		.amdhsa_next_free_vgpr 1
		.amdhsa_next_free_sgpr 1
		.amdhsa_reserve_vcc 0
		.amdhsa_float_round_mode_32 0
		.amdhsa_float_round_mode_16_64 0
		.amdhsa_float_denorm_mode_32 3
		.amdhsa_float_denorm_mode_16_64 3
		.amdhsa_dx10_clamp 1
		.amdhsa_ieee_mode 1
		.amdhsa_fp16_overflow 0
		.amdhsa_workgroup_processor_mode 1
		.amdhsa_memory_ordered 1
		.amdhsa_forward_progress 0
		.amdhsa_shared_vgpr_count 0
		.amdhsa_exception_fp_ieee_invalid_op 0
		.amdhsa_exception_fp_denorm_src 0
		.amdhsa_exception_fp_ieee_div_zero 0
		.amdhsa_exception_fp_ieee_overflow 0
		.amdhsa_exception_fp_ieee_underflow 0
		.amdhsa_exception_fp_ieee_inexact 0
		.amdhsa_exception_int_div_zero 0
	.end_amdhsa_kernel
	.section	.text._ZN7rocprim17ROCPRIM_400000_NS6detail17trampoline_kernelINS0_14default_configENS1_25transform_config_selectorIlLb0EEEZNS1_14transform_implILb0ES3_S5_NS0_18transform_iteratorINS0_17counting_iteratorImlEEZNS1_24adjacent_difference_implIS3_Lb1ELb0EPlSB_N6thrust23THRUST_200600_302600_NS5minusIlEEEE10hipError_tPvRmT2_T3_mT4_P12ihipStream_tbEUlmE_lEESB_NS0_8identityIvEEEESG_SJ_SK_mSL_SN_bEUlT_E_NS1_11comp_targetILNS1_3genE10ELNS1_11target_archE1201ELNS1_3gpuE5ELNS1_3repE0EEENS1_30default_config_static_selectorELNS0_4arch9wavefront6targetE0EEEvT1_,"axG",@progbits,_ZN7rocprim17ROCPRIM_400000_NS6detail17trampoline_kernelINS0_14default_configENS1_25transform_config_selectorIlLb0EEEZNS1_14transform_implILb0ES3_S5_NS0_18transform_iteratorINS0_17counting_iteratorImlEEZNS1_24adjacent_difference_implIS3_Lb1ELb0EPlSB_N6thrust23THRUST_200600_302600_NS5minusIlEEEE10hipError_tPvRmT2_T3_mT4_P12ihipStream_tbEUlmE_lEESB_NS0_8identityIvEEEESG_SJ_SK_mSL_SN_bEUlT_E_NS1_11comp_targetILNS1_3genE10ELNS1_11target_archE1201ELNS1_3gpuE5ELNS1_3repE0EEENS1_30default_config_static_selectorELNS0_4arch9wavefront6targetE0EEEvT1_,comdat
.Lfunc_end249:
	.size	_ZN7rocprim17ROCPRIM_400000_NS6detail17trampoline_kernelINS0_14default_configENS1_25transform_config_selectorIlLb0EEEZNS1_14transform_implILb0ES3_S5_NS0_18transform_iteratorINS0_17counting_iteratorImlEEZNS1_24adjacent_difference_implIS3_Lb1ELb0EPlSB_N6thrust23THRUST_200600_302600_NS5minusIlEEEE10hipError_tPvRmT2_T3_mT4_P12ihipStream_tbEUlmE_lEESB_NS0_8identityIvEEEESG_SJ_SK_mSL_SN_bEUlT_E_NS1_11comp_targetILNS1_3genE10ELNS1_11target_archE1201ELNS1_3gpuE5ELNS1_3repE0EEENS1_30default_config_static_selectorELNS0_4arch9wavefront6targetE0EEEvT1_, .Lfunc_end249-_ZN7rocprim17ROCPRIM_400000_NS6detail17trampoline_kernelINS0_14default_configENS1_25transform_config_selectorIlLb0EEEZNS1_14transform_implILb0ES3_S5_NS0_18transform_iteratorINS0_17counting_iteratorImlEEZNS1_24adjacent_difference_implIS3_Lb1ELb0EPlSB_N6thrust23THRUST_200600_302600_NS5minusIlEEEE10hipError_tPvRmT2_T3_mT4_P12ihipStream_tbEUlmE_lEESB_NS0_8identityIvEEEESG_SJ_SK_mSL_SN_bEUlT_E_NS1_11comp_targetILNS1_3genE10ELNS1_11target_archE1201ELNS1_3gpuE5ELNS1_3repE0EEENS1_30default_config_static_selectorELNS0_4arch9wavefront6targetE0EEEvT1_
                                        ; -- End function
	.section	.AMDGPU.csdata,"",@progbits
; Kernel info:
; codeLenInByte = 0
; NumSgprs: 0
; NumVgprs: 0
; ScratchSize: 0
; MemoryBound: 0
; FloatMode: 240
; IeeeMode: 1
; LDSByteSize: 0 bytes/workgroup (compile time only)
; SGPRBlocks: 0
; VGPRBlocks: 0
; NumSGPRsForWavesPerEU: 1
; NumVGPRsForWavesPerEU: 1
; Occupancy: 16
; WaveLimiterHint : 0
; COMPUTE_PGM_RSRC2:SCRATCH_EN: 0
; COMPUTE_PGM_RSRC2:USER_SGPR: 15
; COMPUTE_PGM_RSRC2:TRAP_HANDLER: 0
; COMPUTE_PGM_RSRC2:TGID_X_EN: 1
; COMPUTE_PGM_RSRC2:TGID_Y_EN: 0
; COMPUTE_PGM_RSRC2:TGID_Z_EN: 0
; COMPUTE_PGM_RSRC2:TIDIG_COMP_CNT: 0
	.section	.text._ZN7rocprim17ROCPRIM_400000_NS6detail17trampoline_kernelINS0_14default_configENS1_25transform_config_selectorIlLb0EEEZNS1_14transform_implILb0ES3_S5_NS0_18transform_iteratorINS0_17counting_iteratorImlEEZNS1_24adjacent_difference_implIS3_Lb1ELb0EPlSB_N6thrust23THRUST_200600_302600_NS5minusIlEEEE10hipError_tPvRmT2_T3_mT4_P12ihipStream_tbEUlmE_lEESB_NS0_8identityIvEEEESG_SJ_SK_mSL_SN_bEUlT_E_NS1_11comp_targetILNS1_3genE10ELNS1_11target_archE1200ELNS1_3gpuE4ELNS1_3repE0EEENS1_30default_config_static_selectorELNS0_4arch9wavefront6targetE0EEEvT1_,"axG",@progbits,_ZN7rocprim17ROCPRIM_400000_NS6detail17trampoline_kernelINS0_14default_configENS1_25transform_config_selectorIlLb0EEEZNS1_14transform_implILb0ES3_S5_NS0_18transform_iteratorINS0_17counting_iteratorImlEEZNS1_24adjacent_difference_implIS3_Lb1ELb0EPlSB_N6thrust23THRUST_200600_302600_NS5minusIlEEEE10hipError_tPvRmT2_T3_mT4_P12ihipStream_tbEUlmE_lEESB_NS0_8identityIvEEEESG_SJ_SK_mSL_SN_bEUlT_E_NS1_11comp_targetILNS1_3genE10ELNS1_11target_archE1200ELNS1_3gpuE4ELNS1_3repE0EEENS1_30default_config_static_selectorELNS0_4arch9wavefront6targetE0EEEvT1_,comdat
	.protected	_ZN7rocprim17ROCPRIM_400000_NS6detail17trampoline_kernelINS0_14default_configENS1_25transform_config_selectorIlLb0EEEZNS1_14transform_implILb0ES3_S5_NS0_18transform_iteratorINS0_17counting_iteratorImlEEZNS1_24adjacent_difference_implIS3_Lb1ELb0EPlSB_N6thrust23THRUST_200600_302600_NS5minusIlEEEE10hipError_tPvRmT2_T3_mT4_P12ihipStream_tbEUlmE_lEESB_NS0_8identityIvEEEESG_SJ_SK_mSL_SN_bEUlT_E_NS1_11comp_targetILNS1_3genE10ELNS1_11target_archE1200ELNS1_3gpuE4ELNS1_3repE0EEENS1_30default_config_static_selectorELNS0_4arch9wavefront6targetE0EEEvT1_ ; -- Begin function _ZN7rocprim17ROCPRIM_400000_NS6detail17trampoline_kernelINS0_14default_configENS1_25transform_config_selectorIlLb0EEEZNS1_14transform_implILb0ES3_S5_NS0_18transform_iteratorINS0_17counting_iteratorImlEEZNS1_24adjacent_difference_implIS3_Lb1ELb0EPlSB_N6thrust23THRUST_200600_302600_NS5minusIlEEEE10hipError_tPvRmT2_T3_mT4_P12ihipStream_tbEUlmE_lEESB_NS0_8identityIvEEEESG_SJ_SK_mSL_SN_bEUlT_E_NS1_11comp_targetILNS1_3genE10ELNS1_11target_archE1200ELNS1_3gpuE4ELNS1_3repE0EEENS1_30default_config_static_selectorELNS0_4arch9wavefront6targetE0EEEvT1_
	.globl	_ZN7rocprim17ROCPRIM_400000_NS6detail17trampoline_kernelINS0_14default_configENS1_25transform_config_selectorIlLb0EEEZNS1_14transform_implILb0ES3_S5_NS0_18transform_iteratorINS0_17counting_iteratorImlEEZNS1_24adjacent_difference_implIS3_Lb1ELb0EPlSB_N6thrust23THRUST_200600_302600_NS5minusIlEEEE10hipError_tPvRmT2_T3_mT4_P12ihipStream_tbEUlmE_lEESB_NS0_8identityIvEEEESG_SJ_SK_mSL_SN_bEUlT_E_NS1_11comp_targetILNS1_3genE10ELNS1_11target_archE1200ELNS1_3gpuE4ELNS1_3repE0EEENS1_30default_config_static_selectorELNS0_4arch9wavefront6targetE0EEEvT1_
	.p2align	8
	.type	_ZN7rocprim17ROCPRIM_400000_NS6detail17trampoline_kernelINS0_14default_configENS1_25transform_config_selectorIlLb0EEEZNS1_14transform_implILb0ES3_S5_NS0_18transform_iteratorINS0_17counting_iteratorImlEEZNS1_24adjacent_difference_implIS3_Lb1ELb0EPlSB_N6thrust23THRUST_200600_302600_NS5minusIlEEEE10hipError_tPvRmT2_T3_mT4_P12ihipStream_tbEUlmE_lEESB_NS0_8identityIvEEEESG_SJ_SK_mSL_SN_bEUlT_E_NS1_11comp_targetILNS1_3genE10ELNS1_11target_archE1200ELNS1_3gpuE4ELNS1_3repE0EEENS1_30default_config_static_selectorELNS0_4arch9wavefront6targetE0EEEvT1_,@function
_ZN7rocprim17ROCPRIM_400000_NS6detail17trampoline_kernelINS0_14default_configENS1_25transform_config_selectorIlLb0EEEZNS1_14transform_implILb0ES3_S5_NS0_18transform_iteratorINS0_17counting_iteratorImlEEZNS1_24adjacent_difference_implIS3_Lb1ELb0EPlSB_N6thrust23THRUST_200600_302600_NS5minusIlEEEE10hipError_tPvRmT2_T3_mT4_P12ihipStream_tbEUlmE_lEESB_NS0_8identityIvEEEESG_SJ_SK_mSL_SN_bEUlT_E_NS1_11comp_targetILNS1_3genE10ELNS1_11target_archE1200ELNS1_3gpuE4ELNS1_3repE0EEENS1_30default_config_static_selectorELNS0_4arch9wavefront6targetE0EEEvT1_: ; @_ZN7rocprim17ROCPRIM_400000_NS6detail17trampoline_kernelINS0_14default_configENS1_25transform_config_selectorIlLb0EEEZNS1_14transform_implILb0ES3_S5_NS0_18transform_iteratorINS0_17counting_iteratorImlEEZNS1_24adjacent_difference_implIS3_Lb1ELb0EPlSB_N6thrust23THRUST_200600_302600_NS5minusIlEEEE10hipError_tPvRmT2_T3_mT4_P12ihipStream_tbEUlmE_lEESB_NS0_8identityIvEEEESG_SJ_SK_mSL_SN_bEUlT_E_NS1_11comp_targetILNS1_3genE10ELNS1_11target_archE1200ELNS1_3gpuE4ELNS1_3repE0EEENS1_30default_config_static_selectorELNS0_4arch9wavefront6targetE0EEEvT1_
; %bb.0:
	.section	.rodata,"a",@progbits
	.p2align	6, 0x0
	.amdhsa_kernel _ZN7rocprim17ROCPRIM_400000_NS6detail17trampoline_kernelINS0_14default_configENS1_25transform_config_selectorIlLb0EEEZNS1_14transform_implILb0ES3_S5_NS0_18transform_iteratorINS0_17counting_iteratorImlEEZNS1_24adjacent_difference_implIS3_Lb1ELb0EPlSB_N6thrust23THRUST_200600_302600_NS5minusIlEEEE10hipError_tPvRmT2_T3_mT4_P12ihipStream_tbEUlmE_lEESB_NS0_8identityIvEEEESG_SJ_SK_mSL_SN_bEUlT_E_NS1_11comp_targetILNS1_3genE10ELNS1_11target_archE1200ELNS1_3gpuE4ELNS1_3repE0EEENS1_30default_config_static_selectorELNS0_4arch9wavefront6targetE0EEEvT1_
		.amdhsa_group_segment_fixed_size 0
		.amdhsa_private_segment_fixed_size 0
		.amdhsa_kernarg_size 56
		.amdhsa_user_sgpr_count 15
		.amdhsa_user_sgpr_dispatch_ptr 0
		.amdhsa_user_sgpr_queue_ptr 0
		.amdhsa_user_sgpr_kernarg_segment_ptr 1
		.amdhsa_user_sgpr_dispatch_id 0
		.amdhsa_user_sgpr_private_segment_size 0
		.amdhsa_wavefront_size32 1
		.amdhsa_uses_dynamic_stack 0
		.amdhsa_enable_private_segment 0
		.amdhsa_system_sgpr_workgroup_id_x 1
		.amdhsa_system_sgpr_workgroup_id_y 0
		.amdhsa_system_sgpr_workgroup_id_z 0
		.amdhsa_system_sgpr_workgroup_info 0
		.amdhsa_system_vgpr_workitem_id 0
		.amdhsa_next_free_vgpr 1
		.amdhsa_next_free_sgpr 1
		.amdhsa_reserve_vcc 0
		.amdhsa_float_round_mode_32 0
		.amdhsa_float_round_mode_16_64 0
		.amdhsa_float_denorm_mode_32 3
		.amdhsa_float_denorm_mode_16_64 3
		.amdhsa_dx10_clamp 1
		.amdhsa_ieee_mode 1
		.amdhsa_fp16_overflow 0
		.amdhsa_workgroup_processor_mode 1
		.amdhsa_memory_ordered 1
		.amdhsa_forward_progress 0
		.amdhsa_shared_vgpr_count 0
		.amdhsa_exception_fp_ieee_invalid_op 0
		.amdhsa_exception_fp_denorm_src 0
		.amdhsa_exception_fp_ieee_div_zero 0
		.amdhsa_exception_fp_ieee_overflow 0
		.amdhsa_exception_fp_ieee_underflow 0
		.amdhsa_exception_fp_ieee_inexact 0
		.amdhsa_exception_int_div_zero 0
	.end_amdhsa_kernel
	.section	.text._ZN7rocprim17ROCPRIM_400000_NS6detail17trampoline_kernelINS0_14default_configENS1_25transform_config_selectorIlLb0EEEZNS1_14transform_implILb0ES3_S5_NS0_18transform_iteratorINS0_17counting_iteratorImlEEZNS1_24adjacent_difference_implIS3_Lb1ELb0EPlSB_N6thrust23THRUST_200600_302600_NS5minusIlEEEE10hipError_tPvRmT2_T3_mT4_P12ihipStream_tbEUlmE_lEESB_NS0_8identityIvEEEESG_SJ_SK_mSL_SN_bEUlT_E_NS1_11comp_targetILNS1_3genE10ELNS1_11target_archE1200ELNS1_3gpuE4ELNS1_3repE0EEENS1_30default_config_static_selectorELNS0_4arch9wavefront6targetE0EEEvT1_,"axG",@progbits,_ZN7rocprim17ROCPRIM_400000_NS6detail17trampoline_kernelINS0_14default_configENS1_25transform_config_selectorIlLb0EEEZNS1_14transform_implILb0ES3_S5_NS0_18transform_iteratorINS0_17counting_iteratorImlEEZNS1_24adjacent_difference_implIS3_Lb1ELb0EPlSB_N6thrust23THRUST_200600_302600_NS5minusIlEEEE10hipError_tPvRmT2_T3_mT4_P12ihipStream_tbEUlmE_lEESB_NS0_8identityIvEEEESG_SJ_SK_mSL_SN_bEUlT_E_NS1_11comp_targetILNS1_3genE10ELNS1_11target_archE1200ELNS1_3gpuE4ELNS1_3repE0EEENS1_30default_config_static_selectorELNS0_4arch9wavefront6targetE0EEEvT1_,comdat
.Lfunc_end250:
	.size	_ZN7rocprim17ROCPRIM_400000_NS6detail17trampoline_kernelINS0_14default_configENS1_25transform_config_selectorIlLb0EEEZNS1_14transform_implILb0ES3_S5_NS0_18transform_iteratorINS0_17counting_iteratorImlEEZNS1_24adjacent_difference_implIS3_Lb1ELb0EPlSB_N6thrust23THRUST_200600_302600_NS5minusIlEEEE10hipError_tPvRmT2_T3_mT4_P12ihipStream_tbEUlmE_lEESB_NS0_8identityIvEEEESG_SJ_SK_mSL_SN_bEUlT_E_NS1_11comp_targetILNS1_3genE10ELNS1_11target_archE1200ELNS1_3gpuE4ELNS1_3repE0EEENS1_30default_config_static_selectorELNS0_4arch9wavefront6targetE0EEEvT1_, .Lfunc_end250-_ZN7rocprim17ROCPRIM_400000_NS6detail17trampoline_kernelINS0_14default_configENS1_25transform_config_selectorIlLb0EEEZNS1_14transform_implILb0ES3_S5_NS0_18transform_iteratorINS0_17counting_iteratorImlEEZNS1_24adjacent_difference_implIS3_Lb1ELb0EPlSB_N6thrust23THRUST_200600_302600_NS5minusIlEEEE10hipError_tPvRmT2_T3_mT4_P12ihipStream_tbEUlmE_lEESB_NS0_8identityIvEEEESG_SJ_SK_mSL_SN_bEUlT_E_NS1_11comp_targetILNS1_3genE10ELNS1_11target_archE1200ELNS1_3gpuE4ELNS1_3repE0EEENS1_30default_config_static_selectorELNS0_4arch9wavefront6targetE0EEEvT1_
                                        ; -- End function
	.section	.AMDGPU.csdata,"",@progbits
; Kernel info:
; codeLenInByte = 0
; NumSgprs: 0
; NumVgprs: 0
; ScratchSize: 0
; MemoryBound: 0
; FloatMode: 240
; IeeeMode: 1
; LDSByteSize: 0 bytes/workgroup (compile time only)
; SGPRBlocks: 0
; VGPRBlocks: 0
; NumSGPRsForWavesPerEU: 1
; NumVGPRsForWavesPerEU: 1
; Occupancy: 16
; WaveLimiterHint : 0
; COMPUTE_PGM_RSRC2:SCRATCH_EN: 0
; COMPUTE_PGM_RSRC2:USER_SGPR: 15
; COMPUTE_PGM_RSRC2:TRAP_HANDLER: 0
; COMPUTE_PGM_RSRC2:TGID_X_EN: 1
; COMPUTE_PGM_RSRC2:TGID_Y_EN: 0
; COMPUTE_PGM_RSRC2:TGID_Z_EN: 0
; COMPUTE_PGM_RSRC2:TIDIG_COMP_CNT: 0
	.section	.text._ZN7rocprim17ROCPRIM_400000_NS6detail17trampoline_kernelINS0_14default_configENS1_25transform_config_selectorIlLb0EEEZNS1_14transform_implILb0ES3_S5_NS0_18transform_iteratorINS0_17counting_iteratorImlEEZNS1_24adjacent_difference_implIS3_Lb1ELb0EPlSB_N6thrust23THRUST_200600_302600_NS5minusIlEEEE10hipError_tPvRmT2_T3_mT4_P12ihipStream_tbEUlmE_lEESB_NS0_8identityIvEEEESG_SJ_SK_mSL_SN_bEUlT_E_NS1_11comp_targetILNS1_3genE9ELNS1_11target_archE1100ELNS1_3gpuE3ELNS1_3repE0EEENS1_30default_config_static_selectorELNS0_4arch9wavefront6targetE0EEEvT1_,"axG",@progbits,_ZN7rocprim17ROCPRIM_400000_NS6detail17trampoline_kernelINS0_14default_configENS1_25transform_config_selectorIlLb0EEEZNS1_14transform_implILb0ES3_S5_NS0_18transform_iteratorINS0_17counting_iteratorImlEEZNS1_24adjacent_difference_implIS3_Lb1ELb0EPlSB_N6thrust23THRUST_200600_302600_NS5minusIlEEEE10hipError_tPvRmT2_T3_mT4_P12ihipStream_tbEUlmE_lEESB_NS0_8identityIvEEEESG_SJ_SK_mSL_SN_bEUlT_E_NS1_11comp_targetILNS1_3genE9ELNS1_11target_archE1100ELNS1_3gpuE3ELNS1_3repE0EEENS1_30default_config_static_selectorELNS0_4arch9wavefront6targetE0EEEvT1_,comdat
	.protected	_ZN7rocprim17ROCPRIM_400000_NS6detail17trampoline_kernelINS0_14default_configENS1_25transform_config_selectorIlLb0EEEZNS1_14transform_implILb0ES3_S5_NS0_18transform_iteratorINS0_17counting_iteratorImlEEZNS1_24adjacent_difference_implIS3_Lb1ELb0EPlSB_N6thrust23THRUST_200600_302600_NS5minusIlEEEE10hipError_tPvRmT2_T3_mT4_P12ihipStream_tbEUlmE_lEESB_NS0_8identityIvEEEESG_SJ_SK_mSL_SN_bEUlT_E_NS1_11comp_targetILNS1_3genE9ELNS1_11target_archE1100ELNS1_3gpuE3ELNS1_3repE0EEENS1_30default_config_static_selectorELNS0_4arch9wavefront6targetE0EEEvT1_ ; -- Begin function _ZN7rocprim17ROCPRIM_400000_NS6detail17trampoline_kernelINS0_14default_configENS1_25transform_config_selectorIlLb0EEEZNS1_14transform_implILb0ES3_S5_NS0_18transform_iteratorINS0_17counting_iteratorImlEEZNS1_24adjacent_difference_implIS3_Lb1ELb0EPlSB_N6thrust23THRUST_200600_302600_NS5minusIlEEEE10hipError_tPvRmT2_T3_mT4_P12ihipStream_tbEUlmE_lEESB_NS0_8identityIvEEEESG_SJ_SK_mSL_SN_bEUlT_E_NS1_11comp_targetILNS1_3genE9ELNS1_11target_archE1100ELNS1_3gpuE3ELNS1_3repE0EEENS1_30default_config_static_selectorELNS0_4arch9wavefront6targetE0EEEvT1_
	.globl	_ZN7rocprim17ROCPRIM_400000_NS6detail17trampoline_kernelINS0_14default_configENS1_25transform_config_selectorIlLb0EEEZNS1_14transform_implILb0ES3_S5_NS0_18transform_iteratorINS0_17counting_iteratorImlEEZNS1_24adjacent_difference_implIS3_Lb1ELb0EPlSB_N6thrust23THRUST_200600_302600_NS5minusIlEEEE10hipError_tPvRmT2_T3_mT4_P12ihipStream_tbEUlmE_lEESB_NS0_8identityIvEEEESG_SJ_SK_mSL_SN_bEUlT_E_NS1_11comp_targetILNS1_3genE9ELNS1_11target_archE1100ELNS1_3gpuE3ELNS1_3repE0EEENS1_30default_config_static_selectorELNS0_4arch9wavefront6targetE0EEEvT1_
	.p2align	8
	.type	_ZN7rocprim17ROCPRIM_400000_NS6detail17trampoline_kernelINS0_14default_configENS1_25transform_config_selectorIlLb0EEEZNS1_14transform_implILb0ES3_S5_NS0_18transform_iteratorINS0_17counting_iteratorImlEEZNS1_24adjacent_difference_implIS3_Lb1ELb0EPlSB_N6thrust23THRUST_200600_302600_NS5minusIlEEEE10hipError_tPvRmT2_T3_mT4_P12ihipStream_tbEUlmE_lEESB_NS0_8identityIvEEEESG_SJ_SK_mSL_SN_bEUlT_E_NS1_11comp_targetILNS1_3genE9ELNS1_11target_archE1100ELNS1_3gpuE3ELNS1_3repE0EEENS1_30default_config_static_selectorELNS0_4arch9wavefront6targetE0EEEvT1_,@function
_ZN7rocprim17ROCPRIM_400000_NS6detail17trampoline_kernelINS0_14default_configENS1_25transform_config_selectorIlLb0EEEZNS1_14transform_implILb0ES3_S5_NS0_18transform_iteratorINS0_17counting_iteratorImlEEZNS1_24adjacent_difference_implIS3_Lb1ELb0EPlSB_N6thrust23THRUST_200600_302600_NS5minusIlEEEE10hipError_tPvRmT2_T3_mT4_P12ihipStream_tbEUlmE_lEESB_NS0_8identityIvEEEESG_SJ_SK_mSL_SN_bEUlT_E_NS1_11comp_targetILNS1_3genE9ELNS1_11target_archE1100ELNS1_3gpuE3ELNS1_3repE0EEENS1_30default_config_static_selectorELNS0_4arch9wavefront6targetE0EEEvT1_: ; @_ZN7rocprim17ROCPRIM_400000_NS6detail17trampoline_kernelINS0_14default_configENS1_25transform_config_selectorIlLb0EEEZNS1_14transform_implILb0ES3_S5_NS0_18transform_iteratorINS0_17counting_iteratorImlEEZNS1_24adjacent_difference_implIS3_Lb1ELb0EPlSB_N6thrust23THRUST_200600_302600_NS5minusIlEEEE10hipError_tPvRmT2_T3_mT4_P12ihipStream_tbEUlmE_lEESB_NS0_8identityIvEEEESG_SJ_SK_mSL_SN_bEUlT_E_NS1_11comp_targetILNS1_3genE9ELNS1_11target_archE1100ELNS1_3gpuE3ELNS1_3repE0EEENS1_30default_config_static_selectorELNS0_4arch9wavefront6targetE0EEEvT1_
; %bb.0:
	s_clause 0x4
	s_load_b128 s[4:7], s[0:1], 0x0
	s_load_b64 s[2:3], s[0:1], 0x18
	s_load_b64 s[12:13], s[0:1], 0x28
	s_load_b32 s11, s[0:1], 0x38
	s_load_b32 s8, s[0:1], 0x10
	s_waitcnt lgkmcnt(0)
	s_add_u32 s9, s2, s4
	s_addc_u32 s10, s3, s5
	s_lshl_b64 s[2:3], s[2:3], 3
	s_delay_alu instid0(SALU_CYCLE_1)
	s_add_u32 s4, s12, s2
	s_addc_u32 s5, s13, s3
	s_add_i32 s11, s11, -1
	s_lshl_b32 s2, s15, 9
	s_mov_b32 s3, 0
	s_cmp_lg_u32 s15, s11
	s_mov_b32 s11, -1
	s_cbranch_scc0 .LBB251_2
; %bb.1:
	s_add_u32 s11, s9, s2
	s_addc_u32 s12, s10, 0
	v_add_co_u32 v3, s11, s11, v0
	s_delay_alu instid0(VALU_DEP_1) | instskip(SKIP_1) | instid1(VALU_DEP_2)
	v_add_co_ci_u32_e64 v5, null, s12, 0, s11
	s_lshl_b64 s[12:13], s[2:3], 3
	v_mad_u64_u32 v[1:2], null, v3, s8, 0
	s_add_u32 s12, s4, s12
	s_addc_u32 s13, s5, s13
	s_mov_b32 s11, s3
	s_delay_alu instid0(VALU_DEP_1) | instskip(NEXT) | instid1(VALU_DEP_1)
	v_mad_u64_u32 v[3:4], null, v5, s8, v[2:3]
	v_dual_mov_b32 v2, v3 :: v_dual_lshlrev_b32 v3, 3, v0
	s_delay_alu instid0(VALU_DEP_1) | instskip(NEXT) | instid1(VALU_DEP_1)
	v_lshlrev_b64 v[1:2], 3, v[1:2]
	v_add_co_u32 v1, vcc_lo, s6, v1
	s_delay_alu instid0(VALU_DEP_2)
	v_add_co_ci_u32_e32 v2, vcc_lo, s7, v2, vcc_lo
	global_load_b64 v[1:2], v[1:2], off
	s_waitcnt vmcnt(0)
	global_store_b64 v3, v[1:2], s[12:13]
.LBB251_2:
	s_and_not1_b32 vcc_lo, exec_lo, s11
	s_cbranch_vccnz .LBB251_7
; %bb.3:
	s_load_b32 s0, s[0:1], 0x20
                                        ; implicit-def: $vgpr1_vgpr2
	s_waitcnt lgkmcnt(0)
	s_sub_i32 s0, s0, s2
	s_delay_alu instid0(SALU_CYCLE_1)
	v_cmp_gt_u32_e32 vcc_lo, s0, v0
	s_and_saveexec_b32 s1, vcc_lo
	s_cbranch_execz .LBB251_5
; %bb.4:
	s_add_u32 s0, s9, s2
	s_addc_u32 s9, s10, 0
	v_add_co_u32 v3, s0, s0, v0
	s_delay_alu instid0(VALU_DEP_1) | instskip(NEXT) | instid1(VALU_DEP_2)
	v_add_co_ci_u32_e64 v5, null, s9, 0, s0
	v_mad_u64_u32 v[1:2], null, v3, s8, 0
	s_delay_alu instid0(VALU_DEP_1) | instskip(NEXT) | instid1(VALU_DEP_1)
	v_mad_u64_u32 v[3:4], null, v5, s8, v[2:3]
	v_mov_b32_e32 v2, v3
	s_delay_alu instid0(VALU_DEP_1) | instskip(NEXT) | instid1(VALU_DEP_1)
	v_lshlrev_b64 v[1:2], 3, v[1:2]
	v_add_co_u32 v1, s0, s6, v1
	s_delay_alu instid0(VALU_DEP_1)
	v_add_co_ci_u32_e64 v2, s0, s7, v2, s0
	global_load_b64 v[1:2], v[1:2], off
.LBB251_5:
	s_or_b32 exec_lo, exec_lo, s1
	s_and_saveexec_b32 s0, vcc_lo
	s_cbranch_execz .LBB251_7
; %bb.6:
	s_lshl_b64 s[0:1], s[2:3], 3
	v_lshlrev_b32_e32 v0, 3, v0
	s_add_u32 s0, s4, s0
	s_addc_u32 s1, s5, s1
	s_waitcnt vmcnt(0)
	global_store_b64 v0, v[1:2], s[0:1]
.LBB251_7:
	s_nop 0
	s_sendmsg sendmsg(MSG_DEALLOC_VGPRS)
	s_endpgm
	.section	.rodata,"a",@progbits
	.p2align	6, 0x0
	.amdhsa_kernel _ZN7rocprim17ROCPRIM_400000_NS6detail17trampoline_kernelINS0_14default_configENS1_25transform_config_selectorIlLb0EEEZNS1_14transform_implILb0ES3_S5_NS0_18transform_iteratorINS0_17counting_iteratorImlEEZNS1_24adjacent_difference_implIS3_Lb1ELb0EPlSB_N6thrust23THRUST_200600_302600_NS5minusIlEEEE10hipError_tPvRmT2_T3_mT4_P12ihipStream_tbEUlmE_lEESB_NS0_8identityIvEEEESG_SJ_SK_mSL_SN_bEUlT_E_NS1_11comp_targetILNS1_3genE9ELNS1_11target_archE1100ELNS1_3gpuE3ELNS1_3repE0EEENS1_30default_config_static_selectorELNS0_4arch9wavefront6targetE0EEEvT1_
		.amdhsa_group_segment_fixed_size 0
		.amdhsa_private_segment_fixed_size 0
		.amdhsa_kernarg_size 312
		.amdhsa_user_sgpr_count 15
		.amdhsa_user_sgpr_dispatch_ptr 0
		.amdhsa_user_sgpr_queue_ptr 0
		.amdhsa_user_sgpr_kernarg_segment_ptr 1
		.amdhsa_user_sgpr_dispatch_id 0
		.amdhsa_user_sgpr_private_segment_size 0
		.amdhsa_wavefront_size32 1
		.amdhsa_uses_dynamic_stack 0
		.amdhsa_enable_private_segment 0
		.amdhsa_system_sgpr_workgroup_id_x 1
		.amdhsa_system_sgpr_workgroup_id_y 0
		.amdhsa_system_sgpr_workgroup_id_z 0
		.amdhsa_system_sgpr_workgroup_info 0
		.amdhsa_system_vgpr_workitem_id 0
		.amdhsa_next_free_vgpr 6
		.amdhsa_next_free_sgpr 16
		.amdhsa_reserve_vcc 1
		.amdhsa_float_round_mode_32 0
		.amdhsa_float_round_mode_16_64 0
		.amdhsa_float_denorm_mode_32 3
		.amdhsa_float_denorm_mode_16_64 3
		.amdhsa_dx10_clamp 1
		.amdhsa_ieee_mode 1
		.amdhsa_fp16_overflow 0
		.amdhsa_workgroup_processor_mode 1
		.amdhsa_memory_ordered 1
		.amdhsa_forward_progress 0
		.amdhsa_shared_vgpr_count 0
		.amdhsa_exception_fp_ieee_invalid_op 0
		.amdhsa_exception_fp_denorm_src 0
		.amdhsa_exception_fp_ieee_div_zero 0
		.amdhsa_exception_fp_ieee_overflow 0
		.amdhsa_exception_fp_ieee_underflow 0
		.amdhsa_exception_fp_ieee_inexact 0
		.amdhsa_exception_int_div_zero 0
	.end_amdhsa_kernel
	.section	.text._ZN7rocprim17ROCPRIM_400000_NS6detail17trampoline_kernelINS0_14default_configENS1_25transform_config_selectorIlLb0EEEZNS1_14transform_implILb0ES3_S5_NS0_18transform_iteratorINS0_17counting_iteratorImlEEZNS1_24adjacent_difference_implIS3_Lb1ELb0EPlSB_N6thrust23THRUST_200600_302600_NS5minusIlEEEE10hipError_tPvRmT2_T3_mT4_P12ihipStream_tbEUlmE_lEESB_NS0_8identityIvEEEESG_SJ_SK_mSL_SN_bEUlT_E_NS1_11comp_targetILNS1_3genE9ELNS1_11target_archE1100ELNS1_3gpuE3ELNS1_3repE0EEENS1_30default_config_static_selectorELNS0_4arch9wavefront6targetE0EEEvT1_,"axG",@progbits,_ZN7rocprim17ROCPRIM_400000_NS6detail17trampoline_kernelINS0_14default_configENS1_25transform_config_selectorIlLb0EEEZNS1_14transform_implILb0ES3_S5_NS0_18transform_iteratorINS0_17counting_iteratorImlEEZNS1_24adjacent_difference_implIS3_Lb1ELb0EPlSB_N6thrust23THRUST_200600_302600_NS5minusIlEEEE10hipError_tPvRmT2_T3_mT4_P12ihipStream_tbEUlmE_lEESB_NS0_8identityIvEEEESG_SJ_SK_mSL_SN_bEUlT_E_NS1_11comp_targetILNS1_3genE9ELNS1_11target_archE1100ELNS1_3gpuE3ELNS1_3repE0EEENS1_30default_config_static_selectorELNS0_4arch9wavefront6targetE0EEEvT1_,comdat
.Lfunc_end251:
	.size	_ZN7rocprim17ROCPRIM_400000_NS6detail17trampoline_kernelINS0_14default_configENS1_25transform_config_selectorIlLb0EEEZNS1_14transform_implILb0ES3_S5_NS0_18transform_iteratorINS0_17counting_iteratorImlEEZNS1_24adjacent_difference_implIS3_Lb1ELb0EPlSB_N6thrust23THRUST_200600_302600_NS5minusIlEEEE10hipError_tPvRmT2_T3_mT4_P12ihipStream_tbEUlmE_lEESB_NS0_8identityIvEEEESG_SJ_SK_mSL_SN_bEUlT_E_NS1_11comp_targetILNS1_3genE9ELNS1_11target_archE1100ELNS1_3gpuE3ELNS1_3repE0EEENS1_30default_config_static_selectorELNS0_4arch9wavefront6targetE0EEEvT1_, .Lfunc_end251-_ZN7rocprim17ROCPRIM_400000_NS6detail17trampoline_kernelINS0_14default_configENS1_25transform_config_selectorIlLb0EEEZNS1_14transform_implILb0ES3_S5_NS0_18transform_iteratorINS0_17counting_iteratorImlEEZNS1_24adjacent_difference_implIS3_Lb1ELb0EPlSB_N6thrust23THRUST_200600_302600_NS5minusIlEEEE10hipError_tPvRmT2_T3_mT4_P12ihipStream_tbEUlmE_lEESB_NS0_8identityIvEEEESG_SJ_SK_mSL_SN_bEUlT_E_NS1_11comp_targetILNS1_3genE9ELNS1_11target_archE1100ELNS1_3gpuE3ELNS1_3repE0EEENS1_30default_config_static_selectorELNS0_4arch9wavefront6targetE0EEEvT1_
                                        ; -- End function
	.section	.AMDGPU.csdata,"",@progbits
; Kernel info:
; codeLenInByte = 400
; NumSgprs: 18
; NumVgprs: 6
; ScratchSize: 0
; MemoryBound: 0
; FloatMode: 240
; IeeeMode: 1
; LDSByteSize: 0 bytes/workgroup (compile time only)
; SGPRBlocks: 2
; VGPRBlocks: 0
; NumSGPRsForWavesPerEU: 18
; NumVGPRsForWavesPerEU: 6
; Occupancy: 16
; WaveLimiterHint : 0
; COMPUTE_PGM_RSRC2:SCRATCH_EN: 0
; COMPUTE_PGM_RSRC2:USER_SGPR: 15
; COMPUTE_PGM_RSRC2:TRAP_HANDLER: 0
; COMPUTE_PGM_RSRC2:TGID_X_EN: 1
; COMPUTE_PGM_RSRC2:TGID_Y_EN: 0
; COMPUTE_PGM_RSRC2:TGID_Z_EN: 0
; COMPUTE_PGM_RSRC2:TIDIG_COMP_CNT: 0
	.section	.text._ZN7rocprim17ROCPRIM_400000_NS6detail17trampoline_kernelINS0_14default_configENS1_25transform_config_selectorIlLb0EEEZNS1_14transform_implILb0ES3_S5_NS0_18transform_iteratorINS0_17counting_iteratorImlEEZNS1_24adjacent_difference_implIS3_Lb1ELb0EPlSB_N6thrust23THRUST_200600_302600_NS5minusIlEEEE10hipError_tPvRmT2_T3_mT4_P12ihipStream_tbEUlmE_lEESB_NS0_8identityIvEEEESG_SJ_SK_mSL_SN_bEUlT_E_NS1_11comp_targetILNS1_3genE8ELNS1_11target_archE1030ELNS1_3gpuE2ELNS1_3repE0EEENS1_30default_config_static_selectorELNS0_4arch9wavefront6targetE0EEEvT1_,"axG",@progbits,_ZN7rocprim17ROCPRIM_400000_NS6detail17trampoline_kernelINS0_14default_configENS1_25transform_config_selectorIlLb0EEEZNS1_14transform_implILb0ES3_S5_NS0_18transform_iteratorINS0_17counting_iteratorImlEEZNS1_24adjacent_difference_implIS3_Lb1ELb0EPlSB_N6thrust23THRUST_200600_302600_NS5minusIlEEEE10hipError_tPvRmT2_T3_mT4_P12ihipStream_tbEUlmE_lEESB_NS0_8identityIvEEEESG_SJ_SK_mSL_SN_bEUlT_E_NS1_11comp_targetILNS1_3genE8ELNS1_11target_archE1030ELNS1_3gpuE2ELNS1_3repE0EEENS1_30default_config_static_selectorELNS0_4arch9wavefront6targetE0EEEvT1_,comdat
	.protected	_ZN7rocprim17ROCPRIM_400000_NS6detail17trampoline_kernelINS0_14default_configENS1_25transform_config_selectorIlLb0EEEZNS1_14transform_implILb0ES3_S5_NS0_18transform_iteratorINS0_17counting_iteratorImlEEZNS1_24adjacent_difference_implIS3_Lb1ELb0EPlSB_N6thrust23THRUST_200600_302600_NS5minusIlEEEE10hipError_tPvRmT2_T3_mT4_P12ihipStream_tbEUlmE_lEESB_NS0_8identityIvEEEESG_SJ_SK_mSL_SN_bEUlT_E_NS1_11comp_targetILNS1_3genE8ELNS1_11target_archE1030ELNS1_3gpuE2ELNS1_3repE0EEENS1_30default_config_static_selectorELNS0_4arch9wavefront6targetE0EEEvT1_ ; -- Begin function _ZN7rocprim17ROCPRIM_400000_NS6detail17trampoline_kernelINS0_14default_configENS1_25transform_config_selectorIlLb0EEEZNS1_14transform_implILb0ES3_S5_NS0_18transform_iteratorINS0_17counting_iteratorImlEEZNS1_24adjacent_difference_implIS3_Lb1ELb0EPlSB_N6thrust23THRUST_200600_302600_NS5minusIlEEEE10hipError_tPvRmT2_T3_mT4_P12ihipStream_tbEUlmE_lEESB_NS0_8identityIvEEEESG_SJ_SK_mSL_SN_bEUlT_E_NS1_11comp_targetILNS1_3genE8ELNS1_11target_archE1030ELNS1_3gpuE2ELNS1_3repE0EEENS1_30default_config_static_selectorELNS0_4arch9wavefront6targetE0EEEvT1_
	.globl	_ZN7rocprim17ROCPRIM_400000_NS6detail17trampoline_kernelINS0_14default_configENS1_25transform_config_selectorIlLb0EEEZNS1_14transform_implILb0ES3_S5_NS0_18transform_iteratorINS0_17counting_iteratorImlEEZNS1_24adjacent_difference_implIS3_Lb1ELb0EPlSB_N6thrust23THRUST_200600_302600_NS5minusIlEEEE10hipError_tPvRmT2_T3_mT4_P12ihipStream_tbEUlmE_lEESB_NS0_8identityIvEEEESG_SJ_SK_mSL_SN_bEUlT_E_NS1_11comp_targetILNS1_3genE8ELNS1_11target_archE1030ELNS1_3gpuE2ELNS1_3repE0EEENS1_30default_config_static_selectorELNS0_4arch9wavefront6targetE0EEEvT1_
	.p2align	8
	.type	_ZN7rocprim17ROCPRIM_400000_NS6detail17trampoline_kernelINS0_14default_configENS1_25transform_config_selectorIlLb0EEEZNS1_14transform_implILb0ES3_S5_NS0_18transform_iteratorINS0_17counting_iteratorImlEEZNS1_24adjacent_difference_implIS3_Lb1ELb0EPlSB_N6thrust23THRUST_200600_302600_NS5minusIlEEEE10hipError_tPvRmT2_T3_mT4_P12ihipStream_tbEUlmE_lEESB_NS0_8identityIvEEEESG_SJ_SK_mSL_SN_bEUlT_E_NS1_11comp_targetILNS1_3genE8ELNS1_11target_archE1030ELNS1_3gpuE2ELNS1_3repE0EEENS1_30default_config_static_selectorELNS0_4arch9wavefront6targetE0EEEvT1_,@function
_ZN7rocprim17ROCPRIM_400000_NS6detail17trampoline_kernelINS0_14default_configENS1_25transform_config_selectorIlLb0EEEZNS1_14transform_implILb0ES3_S5_NS0_18transform_iteratorINS0_17counting_iteratorImlEEZNS1_24adjacent_difference_implIS3_Lb1ELb0EPlSB_N6thrust23THRUST_200600_302600_NS5minusIlEEEE10hipError_tPvRmT2_T3_mT4_P12ihipStream_tbEUlmE_lEESB_NS0_8identityIvEEEESG_SJ_SK_mSL_SN_bEUlT_E_NS1_11comp_targetILNS1_3genE8ELNS1_11target_archE1030ELNS1_3gpuE2ELNS1_3repE0EEENS1_30default_config_static_selectorELNS0_4arch9wavefront6targetE0EEEvT1_: ; @_ZN7rocprim17ROCPRIM_400000_NS6detail17trampoline_kernelINS0_14default_configENS1_25transform_config_selectorIlLb0EEEZNS1_14transform_implILb0ES3_S5_NS0_18transform_iteratorINS0_17counting_iteratorImlEEZNS1_24adjacent_difference_implIS3_Lb1ELb0EPlSB_N6thrust23THRUST_200600_302600_NS5minusIlEEEE10hipError_tPvRmT2_T3_mT4_P12ihipStream_tbEUlmE_lEESB_NS0_8identityIvEEEESG_SJ_SK_mSL_SN_bEUlT_E_NS1_11comp_targetILNS1_3genE8ELNS1_11target_archE1030ELNS1_3gpuE2ELNS1_3repE0EEENS1_30default_config_static_selectorELNS0_4arch9wavefront6targetE0EEEvT1_
; %bb.0:
	.section	.rodata,"a",@progbits
	.p2align	6, 0x0
	.amdhsa_kernel _ZN7rocprim17ROCPRIM_400000_NS6detail17trampoline_kernelINS0_14default_configENS1_25transform_config_selectorIlLb0EEEZNS1_14transform_implILb0ES3_S5_NS0_18transform_iteratorINS0_17counting_iteratorImlEEZNS1_24adjacent_difference_implIS3_Lb1ELb0EPlSB_N6thrust23THRUST_200600_302600_NS5minusIlEEEE10hipError_tPvRmT2_T3_mT4_P12ihipStream_tbEUlmE_lEESB_NS0_8identityIvEEEESG_SJ_SK_mSL_SN_bEUlT_E_NS1_11comp_targetILNS1_3genE8ELNS1_11target_archE1030ELNS1_3gpuE2ELNS1_3repE0EEENS1_30default_config_static_selectorELNS0_4arch9wavefront6targetE0EEEvT1_
		.amdhsa_group_segment_fixed_size 0
		.amdhsa_private_segment_fixed_size 0
		.amdhsa_kernarg_size 56
		.amdhsa_user_sgpr_count 15
		.amdhsa_user_sgpr_dispatch_ptr 0
		.amdhsa_user_sgpr_queue_ptr 0
		.amdhsa_user_sgpr_kernarg_segment_ptr 1
		.amdhsa_user_sgpr_dispatch_id 0
		.amdhsa_user_sgpr_private_segment_size 0
		.amdhsa_wavefront_size32 1
		.amdhsa_uses_dynamic_stack 0
		.amdhsa_enable_private_segment 0
		.amdhsa_system_sgpr_workgroup_id_x 1
		.amdhsa_system_sgpr_workgroup_id_y 0
		.amdhsa_system_sgpr_workgroup_id_z 0
		.amdhsa_system_sgpr_workgroup_info 0
		.amdhsa_system_vgpr_workitem_id 0
		.amdhsa_next_free_vgpr 1
		.amdhsa_next_free_sgpr 1
		.amdhsa_reserve_vcc 0
		.amdhsa_float_round_mode_32 0
		.amdhsa_float_round_mode_16_64 0
		.amdhsa_float_denorm_mode_32 3
		.amdhsa_float_denorm_mode_16_64 3
		.amdhsa_dx10_clamp 1
		.amdhsa_ieee_mode 1
		.amdhsa_fp16_overflow 0
		.amdhsa_workgroup_processor_mode 1
		.amdhsa_memory_ordered 1
		.amdhsa_forward_progress 0
		.amdhsa_shared_vgpr_count 0
		.amdhsa_exception_fp_ieee_invalid_op 0
		.amdhsa_exception_fp_denorm_src 0
		.amdhsa_exception_fp_ieee_div_zero 0
		.amdhsa_exception_fp_ieee_overflow 0
		.amdhsa_exception_fp_ieee_underflow 0
		.amdhsa_exception_fp_ieee_inexact 0
		.amdhsa_exception_int_div_zero 0
	.end_amdhsa_kernel
	.section	.text._ZN7rocprim17ROCPRIM_400000_NS6detail17trampoline_kernelINS0_14default_configENS1_25transform_config_selectorIlLb0EEEZNS1_14transform_implILb0ES3_S5_NS0_18transform_iteratorINS0_17counting_iteratorImlEEZNS1_24adjacent_difference_implIS3_Lb1ELb0EPlSB_N6thrust23THRUST_200600_302600_NS5minusIlEEEE10hipError_tPvRmT2_T3_mT4_P12ihipStream_tbEUlmE_lEESB_NS0_8identityIvEEEESG_SJ_SK_mSL_SN_bEUlT_E_NS1_11comp_targetILNS1_3genE8ELNS1_11target_archE1030ELNS1_3gpuE2ELNS1_3repE0EEENS1_30default_config_static_selectorELNS0_4arch9wavefront6targetE0EEEvT1_,"axG",@progbits,_ZN7rocprim17ROCPRIM_400000_NS6detail17trampoline_kernelINS0_14default_configENS1_25transform_config_selectorIlLb0EEEZNS1_14transform_implILb0ES3_S5_NS0_18transform_iteratorINS0_17counting_iteratorImlEEZNS1_24adjacent_difference_implIS3_Lb1ELb0EPlSB_N6thrust23THRUST_200600_302600_NS5minusIlEEEE10hipError_tPvRmT2_T3_mT4_P12ihipStream_tbEUlmE_lEESB_NS0_8identityIvEEEESG_SJ_SK_mSL_SN_bEUlT_E_NS1_11comp_targetILNS1_3genE8ELNS1_11target_archE1030ELNS1_3gpuE2ELNS1_3repE0EEENS1_30default_config_static_selectorELNS0_4arch9wavefront6targetE0EEEvT1_,comdat
.Lfunc_end252:
	.size	_ZN7rocprim17ROCPRIM_400000_NS6detail17trampoline_kernelINS0_14default_configENS1_25transform_config_selectorIlLb0EEEZNS1_14transform_implILb0ES3_S5_NS0_18transform_iteratorINS0_17counting_iteratorImlEEZNS1_24adjacent_difference_implIS3_Lb1ELb0EPlSB_N6thrust23THRUST_200600_302600_NS5minusIlEEEE10hipError_tPvRmT2_T3_mT4_P12ihipStream_tbEUlmE_lEESB_NS0_8identityIvEEEESG_SJ_SK_mSL_SN_bEUlT_E_NS1_11comp_targetILNS1_3genE8ELNS1_11target_archE1030ELNS1_3gpuE2ELNS1_3repE0EEENS1_30default_config_static_selectorELNS0_4arch9wavefront6targetE0EEEvT1_, .Lfunc_end252-_ZN7rocprim17ROCPRIM_400000_NS6detail17trampoline_kernelINS0_14default_configENS1_25transform_config_selectorIlLb0EEEZNS1_14transform_implILb0ES3_S5_NS0_18transform_iteratorINS0_17counting_iteratorImlEEZNS1_24adjacent_difference_implIS3_Lb1ELb0EPlSB_N6thrust23THRUST_200600_302600_NS5minusIlEEEE10hipError_tPvRmT2_T3_mT4_P12ihipStream_tbEUlmE_lEESB_NS0_8identityIvEEEESG_SJ_SK_mSL_SN_bEUlT_E_NS1_11comp_targetILNS1_3genE8ELNS1_11target_archE1030ELNS1_3gpuE2ELNS1_3repE0EEENS1_30default_config_static_selectorELNS0_4arch9wavefront6targetE0EEEvT1_
                                        ; -- End function
	.section	.AMDGPU.csdata,"",@progbits
; Kernel info:
; codeLenInByte = 0
; NumSgprs: 0
; NumVgprs: 0
; ScratchSize: 0
; MemoryBound: 0
; FloatMode: 240
; IeeeMode: 1
; LDSByteSize: 0 bytes/workgroup (compile time only)
; SGPRBlocks: 0
; VGPRBlocks: 0
; NumSGPRsForWavesPerEU: 1
; NumVGPRsForWavesPerEU: 1
; Occupancy: 16
; WaveLimiterHint : 0
; COMPUTE_PGM_RSRC2:SCRATCH_EN: 0
; COMPUTE_PGM_RSRC2:USER_SGPR: 15
; COMPUTE_PGM_RSRC2:TRAP_HANDLER: 0
; COMPUTE_PGM_RSRC2:TGID_X_EN: 1
; COMPUTE_PGM_RSRC2:TGID_Y_EN: 0
; COMPUTE_PGM_RSRC2:TGID_Z_EN: 0
; COMPUTE_PGM_RSRC2:TIDIG_COMP_CNT: 0
	.section	.text._ZN7rocprim17ROCPRIM_400000_NS6detail17trampoline_kernelINS0_14default_configENS1_35adjacent_difference_config_selectorILb1ElEEZNS1_24adjacent_difference_implIS3_Lb1ELb0EPlS7_N6thrust23THRUST_200600_302600_NS5minusIlEEEE10hipError_tPvRmT2_T3_mT4_P12ihipStream_tbEUlT_E_NS1_11comp_targetILNS1_3genE0ELNS1_11target_archE4294967295ELNS1_3gpuE0ELNS1_3repE0EEENS1_30default_config_static_selectorELNS0_4arch9wavefront6targetE0EEEvT1_,"axG",@progbits,_ZN7rocprim17ROCPRIM_400000_NS6detail17trampoline_kernelINS0_14default_configENS1_35adjacent_difference_config_selectorILb1ElEEZNS1_24adjacent_difference_implIS3_Lb1ELb0EPlS7_N6thrust23THRUST_200600_302600_NS5minusIlEEEE10hipError_tPvRmT2_T3_mT4_P12ihipStream_tbEUlT_E_NS1_11comp_targetILNS1_3genE0ELNS1_11target_archE4294967295ELNS1_3gpuE0ELNS1_3repE0EEENS1_30default_config_static_selectorELNS0_4arch9wavefront6targetE0EEEvT1_,comdat
	.protected	_ZN7rocprim17ROCPRIM_400000_NS6detail17trampoline_kernelINS0_14default_configENS1_35adjacent_difference_config_selectorILb1ElEEZNS1_24adjacent_difference_implIS3_Lb1ELb0EPlS7_N6thrust23THRUST_200600_302600_NS5minusIlEEEE10hipError_tPvRmT2_T3_mT4_P12ihipStream_tbEUlT_E_NS1_11comp_targetILNS1_3genE0ELNS1_11target_archE4294967295ELNS1_3gpuE0ELNS1_3repE0EEENS1_30default_config_static_selectorELNS0_4arch9wavefront6targetE0EEEvT1_ ; -- Begin function _ZN7rocprim17ROCPRIM_400000_NS6detail17trampoline_kernelINS0_14default_configENS1_35adjacent_difference_config_selectorILb1ElEEZNS1_24adjacent_difference_implIS3_Lb1ELb0EPlS7_N6thrust23THRUST_200600_302600_NS5minusIlEEEE10hipError_tPvRmT2_T3_mT4_P12ihipStream_tbEUlT_E_NS1_11comp_targetILNS1_3genE0ELNS1_11target_archE4294967295ELNS1_3gpuE0ELNS1_3repE0EEENS1_30default_config_static_selectorELNS0_4arch9wavefront6targetE0EEEvT1_
	.globl	_ZN7rocprim17ROCPRIM_400000_NS6detail17trampoline_kernelINS0_14default_configENS1_35adjacent_difference_config_selectorILb1ElEEZNS1_24adjacent_difference_implIS3_Lb1ELb0EPlS7_N6thrust23THRUST_200600_302600_NS5minusIlEEEE10hipError_tPvRmT2_T3_mT4_P12ihipStream_tbEUlT_E_NS1_11comp_targetILNS1_3genE0ELNS1_11target_archE4294967295ELNS1_3gpuE0ELNS1_3repE0EEENS1_30default_config_static_selectorELNS0_4arch9wavefront6targetE0EEEvT1_
	.p2align	8
	.type	_ZN7rocprim17ROCPRIM_400000_NS6detail17trampoline_kernelINS0_14default_configENS1_35adjacent_difference_config_selectorILb1ElEEZNS1_24adjacent_difference_implIS3_Lb1ELb0EPlS7_N6thrust23THRUST_200600_302600_NS5minusIlEEEE10hipError_tPvRmT2_T3_mT4_P12ihipStream_tbEUlT_E_NS1_11comp_targetILNS1_3genE0ELNS1_11target_archE4294967295ELNS1_3gpuE0ELNS1_3repE0EEENS1_30default_config_static_selectorELNS0_4arch9wavefront6targetE0EEEvT1_,@function
_ZN7rocprim17ROCPRIM_400000_NS6detail17trampoline_kernelINS0_14default_configENS1_35adjacent_difference_config_selectorILb1ElEEZNS1_24adjacent_difference_implIS3_Lb1ELb0EPlS7_N6thrust23THRUST_200600_302600_NS5minusIlEEEE10hipError_tPvRmT2_T3_mT4_P12ihipStream_tbEUlT_E_NS1_11comp_targetILNS1_3genE0ELNS1_11target_archE4294967295ELNS1_3gpuE0ELNS1_3repE0EEENS1_30default_config_static_selectorELNS0_4arch9wavefront6targetE0EEEvT1_: ; @_ZN7rocprim17ROCPRIM_400000_NS6detail17trampoline_kernelINS0_14default_configENS1_35adjacent_difference_config_selectorILb1ElEEZNS1_24adjacent_difference_implIS3_Lb1ELb0EPlS7_N6thrust23THRUST_200600_302600_NS5minusIlEEEE10hipError_tPvRmT2_T3_mT4_P12ihipStream_tbEUlT_E_NS1_11comp_targetILNS1_3genE0ELNS1_11target_archE4294967295ELNS1_3gpuE0ELNS1_3repE0EEENS1_30default_config_static_selectorELNS0_4arch9wavefront6targetE0EEEvT1_
; %bb.0:
	.section	.rodata,"a",@progbits
	.p2align	6, 0x0
	.amdhsa_kernel _ZN7rocprim17ROCPRIM_400000_NS6detail17trampoline_kernelINS0_14default_configENS1_35adjacent_difference_config_selectorILb1ElEEZNS1_24adjacent_difference_implIS3_Lb1ELb0EPlS7_N6thrust23THRUST_200600_302600_NS5minusIlEEEE10hipError_tPvRmT2_T3_mT4_P12ihipStream_tbEUlT_E_NS1_11comp_targetILNS1_3genE0ELNS1_11target_archE4294967295ELNS1_3gpuE0ELNS1_3repE0EEENS1_30default_config_static_selectorELNS0_4arch9wavefront6targetE0EEEvT1_
		.amdhsa_group_segment_fixed_size 0
		.amdhsa_private_segment_fixed_size 0
		.amdhsa_kernarg_size 56
		.amdhsa_user_sgpr_count 15
		.amdhsa_user_sgpr_dispatch_ptr 0
		.amdhsa_user_sgpr_queue_ptr 0
		.amdhsa_user_sgpr_kernarg_segment_ptr 1
		.amdhsa_user_sgpr_dispatch_id 0
		.amdhsa_user_sgpr_private_segment_size 0
		.amdhsa_wavefront_size32 1
		.amdhsa_uses_dynamic_stack 0
		.amdhsa_enable_private_segment 0
		.amdhsa_system_sgpr_workgroup_id_x 1
		.amdhsa_system_sgpr_workgroup_id_y 0
		.amdhsa_system_sgpr_workgroup_id_z 0
		.amdhsa_system_sgpr_workgroup_info 0
		.amdhsa_system_vgpr_workitem_id 0
		.amdhsa_next_free_vgpr 1
		.amdhsa_next_free_sgpr 1
		.amdhsa_reserve_vcc 0
		.amdhsa_float_round_mode_32 0
		.amdhsa_float_round_mode_16_64 0
		.amdhsa_float_denorm_mode_32 3
		.amdhsa_float_denorm_mode_16_64 3
		.amdhsa_dx10_clamp 1
		.amdhsa_ieee_mode 1
		.amdhsa_fp16_overflow 0
		.amdhsa_workgroup_processor_mode 1
		.amdhsa_memory_ordered 1
		.amdhsa_forward_progress 0
		.amdhsa_shared_vgpr_count 0
		.amdhsa_exception_fp_ieee_invalid_op 0
		.amdhsa_exception_fp_denorm_src 0
		.amdhsa_exception_fp_ieee_div_zero 0
		.amdhsa_exception_fp_ieee_overflow 0
		.amdhsa_exception_fp_ieee_underflow 0
		.amdhsa_exception_fp_ieee_inexact 0
		.amdhsa_exception_int_div_zero 0
	.end_amdhsa_kernel
	.section	.text._ZN7rocprim17ROCPRIM_400000_NS6detail17trampoline_kernelINS0_14default_configENS1_35adjacent_difference_config_selectorILb1ElEEZNS1_24adjacent_difference_implIS3_Lb1ELb0EPlS7_N6thrust23THRUST_200600_302600_NS5minusIlEEEE10hipError_tPvRmT2_T3_mT4_P12ihipStream_tbEUlT_E_NS1_11comp_targetILNS1_3genE0ELNS1_11target_archE4294967295ELNS1_3gpuE0ELNS1_3repE0EEENS1_30default_config_static_selectorELNS0_4arch9wavefront6targetE0EEEvT1_,"axG",@progbits,_ZN7rocprim17ROCPRIM_400000_NS6detail17trampoline_kernelINS0_14default_configENS1_35adjacent_difference_config_selectorILb1ElEEZNS1_24adjacent_difference_implIS3_Lb1ELb0EPlS7_N6thrust23THRUST_200600_302600_NS5minusIlEEEE10hipError_tPvRmT2_T3_mT4_P12ihipStream_tbEUlT_E_NS1_11comp_targetILNS1_3genE0ELNS1_11target_archE4294967295ELNS1_3gpuE0ELNS1_3repE0EEENS1_30default_config_static_selectorELNS0_4arch9wavefront6targetE0EEEvT1_,comdat
.Lfunc_end253:
	.size	_ZN7rocprim17ROCPRIM_400000_NS6detail17trampoline_kernelINS0_14default_configENS1_35adjacent_difference_config_selectorILb1ElEEZNS1_24adjacent_difference_implIS3_Lb1ELb0EPlS7_N6thrust23THRUST_200600_302600_NS5minusIlEEEE10hipError_tPvRmT2_T3_mT4_P12ihipStream_tbEUlT_E_NS1_11comp_targetILNS1_3genE0ELNS1_11target_archE4294967295ELNS1_3gpuE0ELNS1_3repE0EEENS1_30default_config_static_selectorELNS0_4arch9wavefront6targetE0EEEvT1_, .Lfunc_end253-_ZN7rocprim17ROCPRIM_400000_NS6detail17trampoline_kernelINS0_14default_configENS1_35adjacent_difference_config_selectorILb1ElEEZNS1_24adjacent_difference_implIS3_Lb1ELb0EPlS7_N6thrust23THRUST_200600_302600_NS5minusIlEEEE10hipError_tPvRmT2_T3_mT4_P12ihipStream_tbEUlT_E_NS1_11comp_targetILNS1_3genE0ELNS1_11target_archE4294967295ELNS1_3gpuE0ELNS1_3repE0EEENS1_30default_config_static_selectorELNS0_4arch9wavefront6targetE0EEEvT1_
                                        ; -- End function
	.section	.AMDGPU.csdata,"",@progbits
; Kernel info:
; codeLenInByte = 0
; NumSgprs: 0
; NumVgprs: 0
; ScratchSize: 0
; MemoryBound: 0
; FloatMode: 240
; IeeeMode: 1
; LDSByteSize: 0 bytes/workgroup (compile time only)
; SGPRBlocks: 0
; VGPRBlocks: 0
; NumSGPRsForWavesPerEU: 1
; NumVGPRsForWavesPerEU: 1
; Occupancy: 16
; WaveLimiterHint : 0
; COMPUTE_PGM_RSRC2:SCRATCH_EN: 0
; COMPUTE_PGM_RSRC2:USER_SGPR: 15
; COMPUTE_PGM_RSRC2:TRAP_HANDLER: 0
; COMPUTE_PGM_RSRC2:TGID_X_EN: 1
; COMPUTE_PGM_RSRC2:TGID_Y_EN: 0
; COMPUTE_PGM_RSRC2:TGID_Z_EN: 0
; COMPUTE_PGM_RSRC2:TIDIG_COMP_CNT: 0
	.section	.text._ZN7rocprim17ROCPRIM_400000_NS6detail17trampoline_kernelINS0_14default_configENS1_35adjacent_difference_config_selectorILb1ElEEZNS1_24adjacent_difference_implIS3_Lb1ELb0EPlS7_N6thrust23THRUST_200600_302600_NS5minusIlEEEE10hipError_tPvRmT2_T3_mT4_P12ihipStream_tbEUlT_E_NS1_11comp_targetILNS1_3genE10ELNS1_11target_archE1201ELNS1_3gpuE5ELNS1_3repE0EEENS1_30default_config_static_selectorELNS0_4arch9wavefront6targetE0EEEvT1_,"axG",@progbits,_ZN7rocprim17ROCPRIM_400000_NS6detail17trampoline_kernelINS0_14default_configENS1_35adjacent_difference_config_selectorILb1ElEEZNS1_24adjacent_difference_implIS3_Lb1ELb0EPlS7_N6thrust23THRUST_200600_302600_NS5minusIlEEEE10hipError_tPvRmT2_T3_mT4_P12ihipStream_tbEUlT_E_NS1_11comp_targetILNS1_3genE10ELNS1_11target_archE1201ELNS1_3gpuE5ELNS1_3repE0EEENS1_30default_config_static_selectorELNS0_4arch9wavefront6targetE0EEEvT1_,comdat
	.protected	_ZN7rocprim17ROCPRIM_400000_NS6detail17trampoline_kernelINS0_14default_configENS1_35adjacent_difference_config_selectorILb1ElEEZNS1_24adjacent_difference_implIS3_Lb1ELb0EPlS7_N6thrust23THRUST_200600_302600_NS5minusIlEEEE10hipError_tPvRmT2_T3_mT4_P12ihipStream_tbEUlT_E_NS1_11comp_targetILNS1_3genE10ELNS1_11target_archE1201ELNS1_3gpuE5ELNS1_3repE0EEENS1_30default_config_static_selectorELNS0_4arch9wavefront6targetE0EEEvT1_ ; -- Begin function _ZN7rocprim17ROCPRIM_400000_NS6detail17trampoline_kernelINS0_14default_configENS1_35adjacent_difference_config_selectorILb1ElEEZNS1_24adjacent_difference_implIS3_Lb1ELb0EPlS7_N6thrust23THRUST_200600_302600_NS5minusIlEEEE10hipError_tPvRmT2_T3_mT4_P12ihipStream_tbEUlT_E_NS1_11comp_targetILNS1_3genE10ELNS1_11target_archE1201ELNS1_3gpuE5ELNS1_3repE0EEENS1_30default_config_static_selectorELNS0_4arch9wavefront6targetE0EEEvT1_
	.globl	_ZN7rocprim17ROCPRIM_400000_NS6detail17trampoline_kernelINS0_14default_configENS1_35adjacent_difference_config_selectorILb1ElEEZNS1_24adjacent_difference_implIS3_Lb1ELb0EPlS7_N6thrust23THRUST_200600_302600_NS5minusIlEEEE10hipError_tPvRmT2_T3_mT4_P12ihipStream_tbEUlT_E_NS1_11comp_targetILNS1_3genE10ELNS1_11target_archE1201ELNS1_3gpuE5ELNS1_3repE0EEENS1_30default_config_static_selectorELNS0_4arch9wavefront6targetE0EEEvT1_
	.p2align	8
	.type	_ZN7rocprim17ROCPRIM_400000_NS6detail17trampoline_kernelINS0_14default_configENS1_35adjacent_difference_config_selectorILb1ElEEZNS1_24adjacent_difference_implIS3_Lb1ELb0EPlS7_N6thrust23THRUST_200600_302600_NS5minusIlEEEE10hipError_tPvRmT2_T3_mT4_P12ihipStream_tbEUlT_E_NS1_11comp_targetILNS1_3genE10ELNS1_11target_archE1201ELNS1_3gpuE5ELNS1_3repE0EEENS1_30default_config_static_selectorELNS0_4arch9wavefront6targetE0EEEvT1_,@function
_ZN7rocprim17ROCPRIM_400000_NS6detail17trampoline_kernelINS0_14default_configENS1_35adjacent_difference_config_selectorILb1ElEEZNS1_24adjacent_difference_implIS3_Lb1ELb0EPlS7_N6thrust23THRUST_200600_302600_NS5minusIlEEEE10hipError_tPvRmT2_T3_mT4_P12ihipStream_tbEUlT_E_NS1_11comp_targetILNS1_3genE10ELNS1_11target_archE1201ELNS1_3gpuE5ELNS1_3repE0EEENS1_30default_config_static_selectorELNS0_4arch9wavefront6targetE0EEEvT1_: ; @_ZN7rocprim17ROCPRIM_400000_NS6detail17trampoline_kernelINS0_14default_configENS1_35adjacent_difference_config_selectorILb1ElEEZNS1_24adjacent_difference_implIS3_Lb1ELb0EPlS7_N6thrust23THRUST_200600_302600_NS5minusIlEEEE10hipError_tPvRmT2_T3_mT4_P12ihipStream_tbEUlT_E_NS1_11comp_targetILNS1_3genE10ELNS1_11target_archE1201ELNS1_3gpuE5ELNS1_3repE0EEENS1_30default_config_static_selectorELNS0_4arch9wavefront6targetE0EEEvT1_
; %bb.0:
	.section	.rodata,"a",@progbits
	.p2align	6, 0x0
	.amdhsa_kernel _ZN7rocprim17ROCPRIM_400000_NS6detail17trampoline_kernelINS0_14default_configENS1_35adjacent_difference_config_selectorILb1ElEEZNS1_24adjacent_difference_implIS3_Lb1ELb0EPlS7_N6thrust23THRUST_200600_302600_NS5minusIlEEEE10hipError_tPvRmT2_T3_mT4_P12ihipStream_tbEUlT_E_NS1_11comp_targetILNS1_3genE10ELNS1_11target_archE1201ELNS1_3gpuE5ELNS1_3repE0EEENS1_30default_config_static_selectorELNS0_4arch9wavefront6targetE0EEEvT1_
		.amdhsa_group_segment_fixed_size 0
		.amdhsa_private_segment_fixed_size 0
		.amdhsa_kernarg_size 56
		.amdhsa_user_sgpr_count 15
		.amdhsa_user_sgpr_dispatch_ptr 0
		.amdhsa_user_sgpr_queue_ptr 0
		.amdhsa_user_sgpr_kernarg_segment_ptr 1
		.amdhsa_user_sgpr_dispatch_id 0
		.amdhsa_user_sgpr_private_segment_size 0
		.amdhsa_wavefront_size32 1
		.amdhsa_uses_dynamic_stack 0
		.amdhsa_enable_private_segment 0
		.amdhsa_system_sgpr_workgroup_id_x 1
		.amdhsa_system_sgpr_workgroup_id_y 0
		.amdhsa_system_sgpr_workgroup_id_z 0
		.amdhsa_system_sgpr_workgroup_info 0
		.amdhsa_system_vgpr_workitem_id 0
		.amdhsa_next_free_vgpr 1
		.amdhsa_next_free_sgpr 1
		.amdhsa_reserve_vcc 0
		.amdhsa_float_round_mode_32 0
		.amdhsa_float_round_mode_16_64 0
		.amdhsa_float_denorm_mode_32 3
		.amdhsa_float_denorm_mode_16_64 3
		.amdhsa_dx10_clamp 1
		.amdhsa_ieee_mode 1
		.amdhsa_fp16_overflow 0
		.amdhsa_workgroup_processor_mode 1
		.amdhsa_memory_ordered 1
		.amdhsa_forward_progress 0
		.amdhsa_shared_vgpr_count 0
		.amdhsa_exception_fp_ieee_invalid_op 0
		.amdhsa_exception_fp_denorm_src 0
		.amdhsa_exception_fp_ieee_div_zero 0
		.amdhsa_exception_fp_ieee_overflow 0
		.amdhsa_exception_fp_ieee_underflow 0
		.amdhsa_exception_fp_ieee_inexact 0
		.amdhsa_exception_int_div_zero 0
	.end_amdhsa_kernel
	.section	.text._ZN7rocprim17ROCPRIM_400000_NS6detail17trampoline_kernelINS0_14default_configENS1_35adjacent_difference_config_selectorILb1ElEEZNS1_24adjacent_difference_implIS3_Lb1ELb0EPlS7_N6thrust23THRUST_200600_302600_NS5minusIlEEEE10hipError_tPvRmT2_T3_mT4_P12ihipStream_tbEUlT_E_NS1_11comp_targetILNS1_3genE10ELNS1_11target_archE1201ELNS1_3gpuE5ELNS1_3repE0EEENS1_30default_config_static_selectorELNS0_4arch9wavefront6targetE0EEEvT1_,"axG",@progbits,_ZN7rocprim17ROCPRIM_400000_NS6detail17trampoline_kernelINS0_14default_configENS1_35adjacent_difference_config_selectorILb1ElEEZNS1_24adjacent_difference_implIS3_Lb1ELb0EPlS7_N6thrust23THRUST_200600_302600_NS5minusIlEEEE10hipError_tPvRmT2_T3_mT4_P12ihipStream_tbEUlT_E_NS1_11comp_targetILNS1_3genE10ELNS1_11target_archE1201ELNS1_3gpuE5ELNS1_3repE0EEENS1_30default_config_static_selectorELNS0_4arch9wavefront6targetE0EEEvT1_,comdat
.Lfunc_end254:
	.size	_ZN7rocprim17ROCPRIM_400000_NS6detail17trampoline_kernelINS0_14default_configENS1_35adjacent_difference_config_selectorILb1ElEEZNS1_24adjacent_difference_implIS3_Lb1ELb0EPlS7_N6thrust23THRUST_200600_302600_NS5minusIlEEEE10hipError_tPvRmT2_T3_mT4_P12ihipStream_tbEUlT_E_NS1_11comp_targetILNS1_3genE10ELNS1_11target_archE1201ELNS1_3gpuE5ELNS1_3repE0EEENS1_30default_config_static_selectorELNS0_4arch9wavefront6targetE0EEEvT1_, .Lfunc_end254-_ZN7rocprim17ROCPRIM_400000_NS6detail17trampoline_kernelINS0_14default_configENS1_35adjacent_difference_config_selectorILb1ElEEZNS1_24adjacent_difference_implIS3_Lb1ELb0EPlS7_N6thrust23THRUST_200600_302600_NS5minusIlEEEE10hipError_tPvRmT2_T3_mT4_P12ihipStream_tbEUlT_E_NS1_11comp_targetILNS1_3genE10ELNS1_11target_archE1201ELNS1_3gpuE5ELNS1_3repE0EEENS1_30default_config_static_selectorELNS0_4arch9wavefront6targetE0EEEvT1_
                                        ; -- End function
	.section	.AMDGPU.csdata,"",@progbits
; Kernel info:
; codeLenInByte = 0
; NumSgprs: 0
; NumVgprs: 0
; ScratchSize: 0
; MemoryBound: 0
; FloatMode: 240
; IeeeMode: 1
; LDSByteSize: 0 bytes/workgroup (compile time only)
; SGPRBlocks: 0
; VGPRBlocks: 0
; NumSGPRsForWavesPerEU: 1
; NumVGPRsForWavesPerEU: 1
; Occupancy: 16
; WaveLimiterHint : 0
; COMPUTE_PGM_RSRC2:SCRATCH_EN: 0
; COMPUTE_PGM_RSRC2:USER_SGPR: 15
; COMPUTE_PGM_RSRC2:TRAP_HANDLER: 0
; COMPUTE_PGM_RSRC2:TGID_X_EN: 1
; COMPUTE_PGM_RSRC2:TGID_Y_EN: 0
; COMPUTE_PGM_RSRC2:TGID_Z_EN: 0
; COMPUTE_PGM_RSRC2:TIDIG_COMP_CNT: 0
	.section	.text._ZN7rocprim17ROCPRIM_400000_NS6detail17trampoline_kernelINS0_14default_configENS1_35adjacent_difference_config_selectorILb1ElEEZNS1_24adjacent_difference_implIS3_Lb1ELb0EPlS7_N6thrust23THRUST_200600_302600_NS5minusIlEEEE10hipError_tPvRmT2_T3_mT4_P12ihipStream_tbEUlT_E_NS1_11comp_targetILNS1_3genE5ELNS1_11target_archE942ELNS1_3gpuE9ELNS1_3repE0EEENS1_30default_config_static_selectorELNS0_4arch9wavefront6targetE0EEEvT1_,"axG",@progbits,_ZN7rocprim17ROCPRIM_400000_NS6detail17trampoline_kernelINS0_14default_configENS1_35adjacent_difference_config_selectorILb1ElEEZNS1_24adjacent_difference_implIS3_Lb1ELb0EPlS7_N6thrust23THRUST_200600_302600_NS5minusIlEEEE10hipError_tPvRmT2_T3_mT4_P12ihipStream_tbEUlT_E_NS1_11comp_targetILNS1_3genE5ELNS1_11target_archE942ELNS1_3gpuE9ELNS1_3repE0EEENS1_30default_config_static_selectorELNS0_4arch9wavefront6targetE0EEEvT1_,comdat
	.protected	_ZN7rocprim17ROCPRIM_400000_NS6detail17trampoline_kernelINS0_14default_configENS1_35adjacent_difference_config_selectorILb1ElEEZNS1_24adjacent_difference_implIS3_Lb1ELb0EPlS7_N6thrust23THRUST_200600_302600_NS5minusIlEEEE10hipError_tPvRmT2_T3_mT4_P12ihipStream_tbEUlT_E_NS1_11comp_targetILNS1_3genE5ELNS1_11target_archE942ELNS1_3gpuE9ELNS1_3repE0EEENS1_30default_config_static_selectorELNS0_4arch9wavefront6targetE0EEEvT1_ ; -- Begin function _ZN7rocprim17ROCPRIM_400000_NS6detail17trampoline_kernelINS0_14default_configENS1_35adjacent_difference_config_selectorILb1ElEEZNS1_24adjacent_difference_implIS3_Lb1ELb0EPlS7_N6thrust23THRUST_200600_302600_NS5minusIlEEEE10hipError_tPvRmT2_T3_mT4_P12ihipStream_tbEUlT_E_NS1_11comp_targetILNS1_3genE5ELNS1_11target_archE942ELNS1_3gpuE9ELNS1_3repE0EEENS1_30default_config_static_selectorELNS0_4arch9wavefront6targetE0EEEvT1_
	.globl	_ZN7rocprim17ROCPRIM_400000_NS6detail17trampoline_kernelINS0_14default_configENS1_35adjacent_difference_config_selectorILb1ElEEZNS1_24adjacent_difference_implIS3_Lb1ELb0EPlS7_N6thrust23THRUST_200600_302600_NS5minusIlEEEE10hipError_tPvRmT2_T3_mT4_P12ihipStream_tbEUlT_E_NS1_11comp_targetILNS1_3genE5ELNS1_11target_archE942ELNS1_3gpuE9ELNS1_3repE0EEENS1_30default_config_static_selectorELNS0_4arch9wavefront6targetE0EEEvT1_
	.p2align	8
	.type	_ZN7rocprim17ROCPRIM_400000_NS6detail17trampoline_kernelINS0_14default_configENS1_35adjacent_difference_config_selectorILb1ElEEZNS1_24adjacent_difference_implIS3_Lb1ELb0EPlS7_N6thrust23THRUST_200600_302600_NS5minusIlEEEE10hipError_tPvRmT2_T3_mT4_P12ihipStream_tbEUlT_E_NS1_11comp_targetILNS1_3genE5ELNS1_11target_archE942ELNS1_3gpuE9ELNS1_3repE0EEENS1_30default_config_static_selectorELNS0_4arch9wavefront6targetE0EEEvT1_,@function
_ZN7rocprim17ROCPRIM_400000_NS6detail17trampoline_kernelINS0_14default_configENS1_35adjacent_difference_config_selectorILb1ElEEZNS1_24adjacent_difference_implIS3_Lb1ELb0EPlS7_N6thrust23THRUST_200600_302600_NS5minusIlEEEE10hipError_tPvRmT2_T3_mT4_P12ihipStream_tbEUlT_E_NS1_11comp_targetILNS1_3genE5ELNS1_11target_archE942ELNS1_3gpuE9ELNS1_3repE0EEENS1_30default_config_static_selectorELNS0_4arch9wavefront6targetE0EEEvT1_: ; @_ZN7rocprim17ROCPRIM_400000_NS6detail17trampoline_kernelINS0_14default_configENS1_35adjacent_difference_config_selectorILb1ElEEZNS1_24adjacent_difference_implIS3_Lb1ELb0EPlS7_N6thrust23THRUST_200600_302600_NS5minusIlEEEE10hipError_tPvRmT2_T3_mT4_P12ihipStream_tbEUlT_E_NS1_11comp_targetILNS1_3genE5ELNS1_11target_archE942ELNS1_3gpuE9ELNS1_3repE0EEENS1_30default_config_static_selectorELNS0_4arch9wavefront6targetE0EEEvT1_
; %bb.0:
	.section	.rodata,"a",@progbits
	.p2align	6, 0x0
	.amdhsa_kernel _ZN7rocprim17ROCPRIM_400000_NS6detail17trampoline_kernelINS0_14default_configENS1_35adjacent_difference_config_selectorILb1ElEEZNS1_24adjacent_difference_implIS3_Lb1ELb0EPlS7_N6thrust23THRUST_200600_302600_NS5minusIlEEEE10hipError_tPvRmT2_T3_mT4_P12ihipStream_tbEUlT_E_NS1_11comp_targetILNS1_3genE5ELNS1_11target_archE942ELNS1_3gpuE9ELNS1_3repE0EEENS1_30default_config_static_selectorELNS0_4arch9wavefront6targetE0EEEvT1_
		.amdhsa_group_segment_fixed_size 0
		.amdhsa_private_segment_fixed_size 0
		.amdhsa_kernarg_size 56
		.amdhsa_user_sgpr_count 15
		.amdhsa_user_sgpr_dispatch_ptr 0
		.amdhsa_user_sgpr_queue_ptr 0
		.amdhsa_user_sgpr_kernarg_segment_ptr 1
		.amdhsa_user_sgpr_dispatch_id 0
		.amdhsa_user_sgpr_private_segment_size 0
		.amdhsa_wavefront_size32 1
		.amdhsa_uses_dynamic_stack 0
		.amdhsa_enable_private_segment 0
		.amdhsa_system_sgpr_workgroup_id_x 1
		.amdhsa_system_sgpr_workgroup_id_y 0
		.amdhsa_system_sgpr_workgroup_id_z 0
		.amdhsa_system_sgpr_workgroup_info 0
		.amdhsa_system_vgpr_workitem_id 0
		.amdhsa_next_free_vgpr 1
		.amdhsa_next_free_sgpr 1
		.amdhsa_reserve_vcc 0
		.amdhsa_float_round_mode_32 0
		.amdhsa_float_round_mode_16_64 0
		.amdhsa_float_denorm_mode_32 3
		.amdhsa_float_denorm_mode_16_64 3
		.amdhsa_dx10_clamp 1
		.amdhsa_ieee_mode 1
		.amdhsa_fp16_overflow 0
		.amdhsa_workgroup_processor_mode 1
		.amdhsa_memory_ordered 1
		.amdhsa_forward_progress 0
		.amdhsa_shared_vgpr_count 0
		.amdhsa_exception_fp_ieee_invalid_op 0
		.amdhsa_exception_fp_denorm_src 0
		.amdhsa_exception_fp_ieee_div_zero 0
		.amdhsa_exception_fp_ieee_overflow 0
		.amdhsa_exception_fp_ieee_underflow 0
		.amdhsa_exception_fp_ieee_inexact 0
		.amdhsa_exception_int_div_zero 0
	.end_amdhsa_kernel
	.section	.text._ZN7rocprim17ROCPRIM_400000_NS6detail17trampoline_kernelINS0_14default_configENS1_35adjacent_difference_config_selectorILb1ElEEZNS1_24adjacent_difference_implIS3_Lb1ELb0EPlS7_N6thrust23THRUST_200600_302600_NS5minusIlEEEE10hipError_tPvRmT2_T3_mT4_P12ihipStream_tbEUlT_E_NS1_11comp_targetILNS1_3genE5ELNS1_11target_archE942ELNS1_3gpuE9ELNS1_3repE0EEENS1_30default_config_static_selectorELNS0_4arch9wavefront6targetE0EEEvT1_,"axG",@progbits,_ZN7rocprim17ROCPRIM_400000_NS6detail17trampoline_kernelINS0_14default_configENS1_35adjacent_difference_config_selectorILb1ElEEZNS1_24adjacent_difference_implIS3_Lb1ELb0EPlS7_N6thrust23THRUST_200600_302600_NS5minusIlEEEE10hipError_tPvRmT2_T3_mT4_P12ihipStream_tbEUlT_E_NS1_11comp_targetILNS1_3genE5ELNS1_11target_archE942ELNS1_3gpuE9ELNS1_3repE0EEENS1_30default_config_static_selectorELNS0_4arch9wavefront6targetE0EEEvT1_,comdat
.Lfunc_end255:
	.size	_ZN7rocprim17ROCPRIM_400000_NS6detail17trampoline_kernelINS0_14default_configENS1_35adjacent_difference_config_selectorILb1ElEEZNS1_24adjacent_difference_implIS3_Lb1ELb0EPlS7_N6thrust23THRUST_200600_302600_NS5minusIlEEEE10hipError_tPvRmT2_T3_mT4_P12ihipStream_tbEUlT_E_NS1_11comp_targetILNS1_3genE5ELNS1_11target_archE942ELNS1_3gpuE9ELNS1_3repE0EEENS1_30default_config_static_selectorELNS0_4arch9wavefront6targetE0EEEvT1_, .Lfunc_end255-_ZN7rocprim17ROCPRIM_400000_NS6detail17trampoline_kernelINS0_14default_configENS1_35adjacent_difference_config_selectorILb1ElEEZNS1_24adjacent_difference_implIS3_Lb1ELb0EPlS7_N6thrust23THRUST_200600_302600_NS5minusIlEEEE10hipError_tPvRmT2_T3_mT4_P12ihipStream_tbEUlT_E_NS1_11comp_targetILNS1_3genE5ELNS1_11target_archE942ELNS1_3gpuE9ELNS1_3repE0EEENS1_30default_config_static_selectorELNS0_4arch9wavefront6targetE0EEEvT1_
                                        ; -- End function
	.section	.AMDGPU.csdata,"",@progbits
; Kernel info:
; codeLenInByte = 0
; NumSgprs: 0
; NumVgprs: 0
; ScratchSize: 0
; MemoryBound: 0
; FloatMode: 240
; IeeeMode: 1
; LDSByteSize: 0 bytes/workgroup (compile time only)
; SGPRBlocks: 0
; VGPRBlocks: 0
; NumSGPRsForWavesPerEU: 1
; NumVGPRsForWavesPerEU: 1
; Occupancy: 16
; WaveLimiterHint : 0
; COMPUTE_PGM_RSRC2:SCRATCH_EN: 0
; COMPUTE_PGM_RSRC2:USER_SGPR: 15
; COMPUTE_PGM_RSRC2:TRAP_HANDLER: 0
; COMPUTE_PGM_RSRC2:TGID_X_EN: 1
; COMPUTE_PGM_RSRC2:TGID_Y_EN: 0
; COMPUTE_PGM_RSRC2:TGID_Z_EN: 0
; COMPUTE_PGM_RSRC2:TIDIG_COMP_CNT: 0
	.section	.text._ZN7rocprim17ROCPRIM_400000_NS6detail17trampoline_kernelINS0_14default_configENS1_35adjacent_difference_config_selectorILb1ElEEZNS1_24adjacent_difference_implIS3_Lb1ELb0EPlS7_N6thrust23THRUST_200600_302600_NS5minusIlEEEE10hipError_tPvRmT2_T3_mT4_P12ihipStream_tbEUlT_E_NS1_11comp_targetILNS1_3genE4ELNS1_11target_archE910ELNS1_3gpuE8ELNS1_3repE0EEENS1_30default_config_static_selectorELNS0_4arch9wavefront6targetE0EEEvT1_,"axG",@progbits,_ZN7rocprim17ROCPRIM_400000_NS6detail17trampoline_kernelINS0_14default_configENS1_35adjacent_difference_config_selectorILb1ElEEZNS1_24adjacent_difference_implIS3_Lb1ELb0EPlS7_N6thrust23THRUST_200600_302600_NS5minusIlEEEE10hipError_tPvRmT2_T3_mT4_P12ihipStream_tbEUlT_E_NS1_11comp_targetILNS1_3genE4ELNS1_11target_archE910ELNS1_3gpuE8ELNS1_3repE0EEENS1_30default_config_static_selectorELNS0_4arch9wavefront6targetE0EEEvT1_,comdat
	.protected	_ZN7rocprim17ROCPRIM_400000_NS6detail17trampoline_kernelINS0_14default_configENS1_35adjacent_difference_config_selectorILb1ElEEZNS1_24adjacent_difference_implIS3_Lb1ELb0EPlS7_N6thrust23THRUST_200600_302600_NS5minusIlEEEE10hipError_tPvRmT2_T3_mT4_P12ihipStream_tbEUlT_E_NS1_11comp_targetILNS1_3genE4ELNS1_11target_archE910ELNS1_3gpuE8ELNS1_3repE0EEENS1_30default_config_static_selectorELNS0_4arch9wavefront6targetE0EEEvT1_ ; -- Begin function _ZN7rocprim17ROCPRIM_400000_NS6detail17trampoline_kernelINS0_14default_configENS1_35adjacent_difference_config_selectorILb1ElEEZNS1_24adjacent_difference_implIS3_Lb1ELb0EPlS7_N6thrust23THRUST_200600_302600_NS5minusIlEEEE10hipError_tPvRmT2_T3_mT4_P12ihipStream_tbEUlT_E_NS1_11comp_targetILNS1_3genE4ELNS1_11target_archE910ELNS1_3gpuE8ELNS1_3repE0EEENS1_30default_config_static_selectorELNS0_4arch9wavefront6targetE0EEEvT1_
	.globl	_ZN7rocprim17ROCPRIM_400000_NS6detail17trampoline_kernelINS0_14default_configENS1_35adjacent_difference_config_selectorILb1ElEEZNS1_24adjacent_difference_implIS3_Lb1ELb0EPlS7_N6thrust23THRUST_200600_302600_NS5minusIlEEEE10hipError_tPvRmT2_T3_mT4_P12ihipStream_tbEUlT_E_NS1_11comp_targetILNS1_3genE4ELNS1_11target_archE910ELNS1_3gpuE8ELNS1_3repE0EEENS1_30default_config_static_selectorELNS0_4arch9wavefront6targetE0EEEvT1_
	.p2align	8
	.type	_ZN7rocprim17ROCPRIM_400000_NS6detail17trampoline_kernelINS0_14default_configENS1_35adjacent_difference_config_selectorILb1ElEEZNS1_24adjacent_difference_implIS3_Lb1ELb0EPlS7_N6thrust23THRUST_200600_302600_NS5minusIlEEEE10hipError_tPvRmT2_T3_mT4_P12ihipStream_tbEUlT_E_NS1_11comp_targetILNS1_3genE4ELNS1_11target_archE910ELNS1_3gpuE8ELNS1_3repE0EEENS1_30default_config_static_selectorELNS0_4arch9wavefront6targetE0EEEvT1_,@function
_ZN7rocprim17ROCPRIM_400000_NS6detail17trampoline_kernelINS0_14default_configENS1_35adjacent_difference_config_selectorILb1ElEEZNS1_24adjacent_difference_implIS3_Lb1ELb0EPlS7_N6thrust23THRUST_200600_302600_NS5minusIlEEEE10hipError_tPvRmT2_T3_mT4_P12ihipStream_tbEUlT_E_NS1_11comp_targetILNS1_3genE4ELNS1_11target_archE910ELNS1_3gpuE8ELNS1_3repE0EEENS1_30default_config_static_selectorELNS0_4arch9wavefront6targetE0EEEvT1_: ; @_ZN7rocprim17ROCPRIM_400000_NS6detail17trampoline_kernelINS0_14default_configENS1_35adjacent_difference_config_selectorILb1ElEEZNS1_24adjacent_difference_implIS3_Lb1ELb0EPlS7_N6thrust23THRUST_200600_302600_NS5minusIlEEEE10hipError_tPvRmT2_T3_mT4_P12ihipStream_tbEUlT_E_NS1_11comp_targetILNS1_3genE4ELNS1_11target_archE910ELNS1_3gpuE8ELNS1_3repE0EEENS1_30default_config_static_selectorELNS0_4arch9wavefront6targetE0EEEvT1_
; %bb.0:
	.section	.rodata,"a",@progbits
	.p2align	6, 0x0
	.amdhsa_kernel _ZN7rocprim17ROCPRIM_400000_NS6detail17trampoline_kernelINS0_14default_configENS1_35adjacent_difference_config_selectorILb1ElEEZNS1_24adjacent_difference_implIS3_Lb1ELb0EPlS7_N6thrust23THRUST_200600_302600_NS5minusIlEEEE10hipError_tPvRmT2_T3_mT4_P12ihipStream_tbEUlT_E_NS1_11comp_targetILNS1_3genE4ELNS1_11target_archE910ELNS1_3gpuE8ELNS1_3repE0EEENS1_30default_config_static_selectorELNS0_4arch9wavefront6targetE0EEEvT1_
		.amdhsa_group_segment_fixed_size 0
		.amdhsa_private_segment_fixed_size 0
		.amdhsa_kernarg_size 56
		.amdhsa_user_sgpr_count 15
		.amdhsa_user_sgpr_dispatch_ptr 0
		.amdhsa_user_sgpr_queue_ptr 0
		.amdhsa_user_sgpr_kernarg_segment_ptr 1
		.amdhsa_user_sgpr_dispatch_id 0
		.amdhsa_user_sgpr_private_segment_size 0
		.amdhsa_wavefront_size32 1
		.amdhsa_uses_dynamic_stack 0
		.amdhsa_enable_private_segment 0
		.amdhsa_system_sgpr_workgroup_id_x 1
		.amdhsa_system_sgpr_workgroup_id_y 0
		.amdhsa_system_sgpr_workgroup_id_z 0
		.amdhsa_system_sgpr_workgroup_info 0
		.amdhsa_system_vgpr_workitem_id 0
		.amdhsa_next_free_vgpr 1
		.amdhsa_next_free_sgpr 1
		.amdhsa_reserve_vcc 0
		.amdhsa_float_round_mode_32 0
		.amdhsa_float_round_mode_16_64 0
		.amdhsa_float_denorm_mode_32 3
		.amdhsa_float_denorm_mode_16_64 3
		.amdhsa_dx10_clamp 1
		.amdhsa_ieee_mode 1
		.amdhsa_fp16_overflow 0
		.amdhsa_workgroup_processor_mode 1
		.amdhsa_memory_ordered 1
		.amdhsa_forward_progress 0
		.amdhsa_shared_vgpr_count 0
		.amdhsa_exception_fp_ieee_invalid_op 0
		.amdhsa_exception_fp_denorm_src 0
		.amdhsa_exception_fp_ieee_div_zero 0
		.amdhsa_exception_fp_ieee_overflow 0
		.amdhsa_exception_fp_ieee_underflow 0
		.amdhsa_exception_fp_ieee_inexact 0
		.amdhsa_exception_int_div_zero 0
	.end_amdhsa_kernel
	.section	.text._ZN7rocprim17ROCPRIM_400000_NS6detail17trampoline_kernelINS0_14default_configENS1_35adjacent_difference_config_selectorILb1ElEEZNS1_24adjacent_difference_implIS3_Lb1ELb0EPlS7_N6thrust23THRUST_200600_302600_NS5minusIlEEEE10hipError_tPvRmT2_T3_mT4_P12ihipStream_tbEUlT_E_NS1_11comp_targetILNS1_3genE4ELNS1_11target_archE910ELNS1_3gpuE8ELNS1_3repE0EEENS1_30default_config_static_selectorELNS0_4arch9wavefront6targetE0EEEvT1_,"axG",@progbits,_ZN7rocprim17ROCPRIM_400000_NS6detail17trampoline_kernelINS0_14default_configENS1_35adjacent_difference_config_selectorILb1ElEEZNS1_24adjacent_difference_implIS3_Lb1ELb0EPlS7_N6thrust23THRUST_200600_302600_NS5minusIlEEEE10hipError_tPvRmT2_T3_mT4_P12ihipStream_tbEUlT_E_NS1_11comp_targetILNS1_3genE4ELNS1_11target_archE910ELNS1_3gpuE8ELNS1_3repE0EEENS1_30default_config_static_selectorELNS0_4arch9wavefront6targetE0EEEvT1_,comdat
.Lfunc_end256:
	.size	_ZN7rocprim17ROCPRIM_400000_NS6detail17trampoline_kernelINS0_14default_configENS1_35adjacent_difference_config_selectorILb1ElEEZNS1_24adjacent_difference_implIS3_Lb1ELb0EPlS7_N6thrust23THRUST_200600_302600_NS5minusIlEEEE10hipError_tPvRmT2_T3_mT4_P12ihipStream_tbEUlT_E_NS1_11comp_targetILNS1_3genE4ELNS1_11target_archE910ELNS1_3gpuE8ELNS1_3repE0EEENS1_30default_config_static_selectorELNS0_4arch9wavefront6targetE0EEEvT1_, .Lfunc_end256-_ZN7rocprim17ROCPRIM_400000_NS6detail17trampoline_kernelINS0_14default_configENS1_35adjacent_difference_config_selectorILb1ElEEZNS1_24adjacent_difference_implIS3_Lb1ELb0EPlS7_N6thrust23THRUST_200600_302600_NS5minusIlEEEE10hipError_tPvRmT2_T3_mT4_P12ihipStream_tbEUlT_E_NS1_11comp_targetILNS1_3genE4ELNS1_11target_archE910ELNS1_3gpuE8ELNS1_3repE0EEENS1_30default_config_static_selectorELNS0_4arch9wavefront6targetE0EEEvT1_
                                        ; -- End function
	.section	.AMDGPU.csdata,"",@progbits
; Kernel info:
; codeLenInByte = 0
; NumSgprs: 0
; NumVgprs: 0
; ScratchSize: 0
; MemoryBound: 0
; FloatMode: 240
; IeeeMode: 1
; LDSByteSize: 0 bytes/workgroup (compile time only)
; SGPRBlocks: 0
; VGPRBlocks: 0
; NumSGPRsForWavesPerEU: 1
; NumVGPRsForWavesPerEU: 1
; Occupancy: 16
; WaveLimiterHint : 0
; COMPUTE_PGM_RSRC2:SCRATCH_EN: 0
; COMPUTE_PGM_RSRC2:USER_SGPR: 15
; COMPUTE_PGM_RSRC2:TRAP_HANDLER: 0
; COMPUTE_PGM_RSRC2:TGID_X_EN: 1
; COMPUTE_PGM_RSRC2:TGID_Y_EN: 0
; COMPUTE_PGM_RSRC2:TGID_Z_EN: 0
; COMPUTE_PGM_RSRC2:TIDIG_COMP_CNT: 0
	.section	.text._ZN7rocprim17ROCPRIM_400000_NS6detail17trampoline_kernelINS0_14default_configENS1_35adjacent_difference_config_selectorILb1ElEEZNS1_24adjacent_difference_implIS3_Lb1ELb0EPlS7_N6thrust23THRUST_200600_302600_NS5minusIlEEEE10hipError_tPvRmT2_T3_mT4_P12ihipStream_tbEUlT_E_NS1_11comp_targetILNS1_3genE3ELNS1_11target_archE908ELNS1_3gpuE7ELNS1_3repE0EEENS1_30default_config_static_selectorELNS0_4arch9wavefront6targetE0EEEvT1_,"axG",@progbits,_ZN7rocprim17ROCPRIM_400000_NS6detail17trampoline_kernelINS0_14default_configENS1_35adjacent_difference_config_selectorILb1ElEEZNS1_24adjacent_difference_implIS3_Lb1ELb0EPlS7_N6thrust23THRUST_200600_302600_NS5minusIlEEEE10hipError_tPvRmT2_T3_mT4_P12ihipStream_tbEUlT_E_NS1_11comp_targetILNS1_3genE3ELNS1_11target_archE908ELNS1_3gpuE7ELNS1_3repE0EEENS1_30default_config_static_selectorELNS0_4arch9wavefront6targetE0EEEvT1_,comdat
	.protected	_ZN7rocprim17ROCPRIM_400000_NS6detail17trampoline_kernelINS0_14default_configENS1_35adjacent_difference_config_selectorILb1ElEEZNS1_24adjacent_difference_implIS3_Lb1ELb0EPlS7_N6thrust23THRUST_200600_302600_NS5minusIlEEEE10hipError_tPvRmT2_T3_mT4_P12ihipStream_tbEUlT_E_NS1_11comp_targetILNS1_3genE3ELNS1_11target_archE908ELNS1_3gpuE7ELNS1_3repE0EEENS1_30default_config_static_selectorELNS0_4arch9wavefront6targetE0EEEvT1_ ; -- Begin function _ZN7rocprim17ROCPRIM_400000_NS6detail17trampoline_kernelINS0_14default_configENS1_35adjacent_difference_config_selectorILb1ElEEZNS1_24adjacent_difference_implIS3_Lb1ELb0EPlS7_N6thrust23THRUST_200600_302600_NS5minusIlEEEE10hipError_tPvRmT2_T3_mT4_P12ihipStream_tbEUlT_E_NS1_11comp_targetILNS1_3genE3ELNS1_11target_archE908ELNS1_3gpuE7ELNS1_3repE0EEENS1_30default_config_static_selectorELNS0_4arch9wavefront6targetE0EEEvT1_
	.globl	_ZN7rocprim17ROCPRIM_400000_NS6detail17trampoline_kernelINS0_14default_configENS1_35adjacent_difference_config_selectorILb1ElEEZNS1_24adjacent_difference_implIS3_Lb1ELb0EPlS7_N6thrust23THRUST_200600_302600_NS5minusIlEEEE10hipError_tPvRmT2_T3_mT4_P12ihipStream_tbEUlT_E_NS1_11comp_targetILNS1_3genE3ELNS1_11target_archE908ELNS1_3gpuE7ELNS1_3repE0EEENS1_30default_config_static_selectorELNS0_4arch9wavefront6targetE0EEEvT1_
	.p2align	8
	.type	_ZN7rocprim17ROCPRIM_400000_NS6detail17trampoline_kernelINS0_14default_configENS1_35adjacent_difference_config_selectorILb1ElEEZNS1_24adjacent_difference_implIS3_Lb1ELb0EPlS7_N6thrust23THRUST_200600_302600_NS5minusIlEEEE10hipError_tPvRmT2_T3_mT4_P12ihipStream_tbEUlT_E_NS1_11comp_targetILNS1_3genE3ELNS1_11target_archE908ELNS1_3gpuE7ELNS1_3repE0EEENS1_30default_config_static_selectorELNS0_4arch9wavefront6targetE0EEEvT1_,@function
_ZN7rocprim17ROCPRIM_400000_NS6detail17trampoline_kernelINS0_14default_configENS1_35adjacent_difference_config_selectorILb1ElEEZNS1_24adjacent_difference_implIS3_Lb1ELb0EPlS7_N6thrust23THRUST_200600_302600_NS5minusIlEEEE10hipError_tPvRmT2_T3_mT4_P12ihipStream_tbEUlT_E_NS1_11comp_targetILNS1_3genE3ELNS1_11target_archE908ELNS1_3gpuE7ELNS1_3repE0EEENS1_30default_config_static_selectorELNS0_4arch9wavefront6targetE0EEEvT1_: ; @_ZN7rocprim17ROCPRIM_400000_NS6detail17trampoline_kernelINS0_14default_configENS1_35adjacent_difference_config_selectorILb1ElEEZNS1_24adjacent_difference_implIS3_Lb1ELb0EPlS7_N6thrust23THRUST_200600_302600_NS5minusIlEEEE10hipError_tPvRmT2_T3_mT4_P12ihipStream_tbEUlT_E_NS1_11comp_targetILNS1_3genE3ELNS1_11target_archE908ELNS1_3gpuE7ELNS1_3repE0EEENS1_30default_config_static_selectorELNS0_4arch9wavefront6targetE0EEEvT1_
; %bb.0:
	.section	.rodata,"a",@progbits
	.p2align	6, 0x0
	.amdhsa_kernel _ZN7rocprim17ROCPRIM_400000_NS6detail17trampoline_kernelINS0_14default_configENS1_35adjacent_difference_config_selectorILb1ElEEZNS1_24adjacent_difference_implIS3_Lb1ELb0EPlS7_N6thrust23THRUST_200600_302600_NS5minusIlEEEE10hipError_tPvRmT2_T3_mT4_P12ihipStream_tbEUlT_E_NS1_11comp_targetILNS1_3genE3ELNS1_11target_archE908ELNS1_3gpuE7ELNS1_3repE0EEENS1_30default_config_static_selectorELNS0_4arch9wavefront6targetE0EEEvT1_
		.amdhsa_group_segment_fixed_size 0
		.amdhsa_private_segment_fixed_size 0
		.amdhsa_kernarg_size 56
		.amdhsa_user_sgpr_count 15
		.amdhsa_user_sgpr_dispatch_ptr 0
		.amdhsa_user_sgpr_queue_ptr 0
		.amdhsa_user_sgpr_kernarg_segment_ptr 1
		.amdhsa_user_sgpr_dispatch_id 0
		.amdhsa_user_sgpr_private_segment_size 0
		.amdhsa_wavefront_size32 1
		.amdhsa_uses_dynamic_stack 0
		.amdhsa_enable_private_segment 0
		.amdhsa_system_sgpr_workgroup_id_x 1
		.amdhsa_system_sgpr_workgroup_id_y 0
		.amdhsa_system_sgpr_workgroup_id_z 0
		.amdhsa_system_sgpr_workgroup_info 0
		.amdhsa_system_vgpr_workitem_id 0
		.amdhsa_next_free_vgpr 1
		.amdhsa_next_free_sgpr 1
		.amdhsa_reserve_vcc 0
		.amdhsa_float_round_mode_32 0
		.amdhsa_float_round_mode_16_64 0
		.amdhsa_float_denorm_mode_32 3
		.amdhsa_float_denorm_mode_16_64 3
		.amdhsa_dx10_clamp 1
		.amdhsa_ieee_mode 1
		.amdhsa_fp16_overflow 0
		.amdhsa_workgroup_processor_mode 1
		.amdhsa_memory_ordered 1
		.amdhsa_forward_progress 0
		.amdhsa_shared_vgpr_count 0
		.amdhsa_exception_fp_ieee_invalid_op 0
		.amdhsa_exception_fp_denorm_src 0
		.amdhsa_exception_fp_ieee_div_zero 0
		.amdhsa_exception_fp_ieee_overflow 0
		.amdhsa_exception_fp_ieee_underflow 0
		.amdhsa_exception_fp_ieee_inexact 0
		.amdhsa_exception_int_div_zero 0
	.end_amdhsa_kernel
	.section	.text._ZN7rocprim17ROCPRIM_400000_NS6detail17trampoline_kernelINS0_14default_configENS1_35adjacent_difference_config_selectorILb1ElEEZNS1_24adjacent_difference_implIS3_Lb1ELb0EPlS7_N6thrust23THRUST_200600_302600_NS5minusIlEEEE10hipError_tPvRmT2_T3_mT4_P12ihipStream_tbEUlT_E_NS1_11comp_targetILNS1_3genE3ELNS1_11target_archE908ELNS1_3gpuE7ELNS1_3repE0EEENS1_30default_config_static_selectorELNS0_4arch9wavefront6targetE0EEEvT1_,"axG",@progbits,_ZN7rocprim17ROCPRIM_400000_NS6detail17trampoline_kernelINS0_14default_configENS1_35adjacent_difference_config_selectorILb1ElEEZNS1_24adjacent_difference_implIS3_Lb1ELb0EPlS7_N6thrust23THRUST_200600_302600_NS5minusIlEEEE10hipError_tPvRmT2_T3_mT4_P12ihipStream_tbEUlT_E_NS1_11comp_targetILNS1_3genE3ELNS1_11target_archE908ELNS1_3gpuE7ELNS1_3repE0EEENS1_30default_config_static_selectorELNS0_4arch9wavefront6targetE0EEEvT1_,comdat
.Lfunc_end257:
	.size	_ZN7rocprim17ROCPRIM_400000_NS6detail17trampoline_kernelINS0_14default_configENS1_35adjacent_difference_config_selectorILb1ElEEZNS1_24adjacent_difference_implIS3_Lb1ELb0EPlS7_N6thrust23THRUST_200600_302600_NS5minusIlEEEE10hipError_tPvRmT2_T3_mT4_P12ihipStream_tbEUlT_E_NS1_11comp_targetILNS1_3genE3ELNS1_11target_archE908ELNS1_3gpuE7ELNS1_3repE0EEENS1_30default_config_static_selectorELNS0_4arch9wavefront6targetE0EEEvT1_, .Lfunc_end257-_ZN7rocprim17ROCPRIM_400000_NS6detail17trampoline_kernelINS0_14default_configENS1_35adjacent_difference_config_selectorILb1ElEEZNS1_24adjacent_difference_implIS3_Lb1ELb0EPlS7_N6thrust23THRUST_200600_302600_NS5minusIlEEEE10hipError_tPvRmT2_T3_mT4_P12ihipStream_tbEUlT_E_NS1_11comp_targetILNS1_3genE3ELNS1_11target_archE908ELNS1_3gpuE7ELNS1_3repE0EEENS1_30default_config_static_selectorELNS0_4arch9wavefront6targetE0EEEvT1_
                                        ; -- End function
	.section	.AMDGPU.csdata,"",@progbits
; Kernel info:
; codeLenInByte = 0
; NumSgprs: 0
; NumVgprs: 0
; ScratchSize: 0
; MemoryBound: 0
; FloatMode: 240
; IeeeMode: 1
; LDSByteSize: 0 bytes/workgroup (compile time only)
; SGPRBlocks: 0
; VGPRBlocks: 0
; NumSGPRsForWavesPerEU: 1
; NumVGPRsForWavesPerEU: 1
; Occupancy: 16
; WaveLimiterHint : 0
; COMPUTE_PGM_RSRC2:SCRATCH_EN: 0
; COMPUTE_PGM_RSRC2:USER_SGPR: 15
; COMPUTE_PGM_RSRC2:TRAP_HANDLER: 0
; COMPUTE_PGM_RSRC2:TGID_X_EN: 1
; COMPUTE_PGM_RSRC2:TGID_Y_EN: 0
; COMPUTE_PGM_RSRC2:TGID_Z_EN: 0
; COMPUTE_PGM_RSRC2:TIDIG_COMP_CNT: 0
	.section	.text._ZN7rocprim17ROCPRIM_400000_NS6detail17trampoline_kernelINS0_14default_configENS1_35adjacent_difference_config_selectorILb1ElEEZNS1_24adjacent_difference_implIS3_Lb1ELb0EPlS7_N6thrust23THRUST_200600_302600_NS5minusIlEEEE10hipError_tPvRmT2_T3_mT4_P12ihipStream_tbEUlT_E_NS1_11comp_targetILNS1_3genE2ELNS1_11target_archE906ELNS1_3gpuE6ELNS1_3repE0EEENS1_30default_config_static_selectorELNS0_4arch9wavefront6targetE0EEEvT1_,"axG",@progbits,_ZN7rocprim17ROCPRIM_400000_NS6detail17trampoline_kernelINS0_14default_configENS1_35adjacent_difference_config_selectorILb1ElEEZNS1_24adjacent_difference_implIS3_Lb1ELb0EPlS7_N6thrust23THRUST_200600_302600_NS5minusIlEEEE10hipError_tPvRmT2_T3_mT4_P12ihipStream_tbEUlT_E_NS1_11comp_targetILNS1_3genE2ELNS1_11target_archE906ELNS1_3gpuE6ELNS1_3repE0EEENS1_30default_config_static_selectorELNS0_4arch9wavefront6targetE0EEEvT1_,comdat
	.protected	_ZN7rocprim17ROCPRIM_400000_NS6detail17trampoline_kernelINS0_14default_configENS1_35adjacent_difference_config_selectorILb1ElEEZNS1_24adjacent_difference_implIS3_Lb1ELb0EPlS7_N6thrust23THRUST_200600_302600_NS5minusIlEEEE10hipError_tPvRmT2_T3_mT4_P12ihipStream_tbEUlT_E_NS1_11comp_targetILNS1_3genE2ELNS1_11target_archE906ELNS1_3gpuE6ELNS1_3repE0EEENS1_30default_config_static_selectorELNS0_4arch9wavefront6targetE0EEEvT1_ ; -- Begin function _ZN7rocprim17ROCPRIM_400000_NS6detail17trampoline_kernelINS0_14default_configENS1_35adjacent_difference_config_selectorILb1ElEEZNS1_24adjacent_difference_implIS3_Lb1ELb0EPlS7_N6thrust23THRUST_200600_302600_NS5minusIlEEEE10hipError_tPvRmT2_T3_mT4_P12ihipStream_tbEUlT_E_NS1_11comp_targetILNS1_3genE2ELNS1_11target_archE906ELNS1_3gpuE6ELNS1_3repE0EEENS1_30default_config_static_selectorELNS0_4arch9wavefront6targetE0EEEvT1_
	.globl	_ZN7rocprim17ROCPRIM_400000_NS6detail17trampoline_kernelINS0_14default_configENS1_35adjacent_difference_config_selectorILb1ElEEZNS1_24adjacent_difference_implIS3_Lb1ELb0EPlS7_N6thrust23THRUST_200600_302600_NS5minusIlEEEE10hipError_tPvRmT2_T3_mT4_P12ihipStream_tbEUlT_E_NS1_11comp_targetILNS1_3genE2ELNS1_11target_archE906ELNS1_3gpuE6ELNS1_3repE0EEENS1_30default_config_static_selectorELNS0_4arch9wavefront6targetE0EEEvT1_
	.p2align	8
	.type	_ZN7rocprim17ROCPRIM_400000_NS6detail17trampoline_kernelINS0_14default_configENS1_35adjacent_difference_config_selectorILb1ElEEZNS1_24adjacent_difference_implIS3_Lb1ELb0EPlS7_N6thrust23THRUST_200600_302600_NS5minusIlEEEE10hipError_tPvRmT2_T3_mT4_P12ihipStream_tbEUlT_E_NS1_11comp_targetILNS1_3genE2ELNS1_11target_archE906ELNS1_3gpuE6ELNS1_3repE0EEENS1_30default_config_static_selectorELNS0_4arch9wavefront6targetE0EEEvT1_,@function
_ZN7rocprim17ROCPRIM_400000_NS6detail17trampoline_kernelINS0_14default_configENS1_35adjacent_difference_config_selectorILb1ElEEZNS1_24adjacent_difference_implIS3_Lb1ELb0EPlS7_N6thrust23THRUST_200600_302600_NS5minusIlEEEE10hipError_tPvRmT2_T3_mT4_P12ihipStream_tbEUlT_E_NS1_11comp_targetILNS1_3genE2ELNS1_11target_archE906ELNS1_3gpuE6ELNS1_3repE0EEENS1_30default_config_static_selectorELNS0_4arch9wavefront6targetE0EEEvT1_: ; @_ZN7rocprim17ROCPRIM_400000_NS6detail17trampoline_kernelINS0_14default_configENS1_35adjacent_difference_config_selectorILb1ElEEZNS1_24adjacent_difference_implIS3_Lb1ELb0EPlS7_N6thrust23THRUST_200600_302600_NS5minusIlEEEE10hipError_tPvRmT2_T3_mT4_P12ihipStream_tbEUlT_E_NS1_11comp_targetILNS1_3genE2ELNS1_11target_archE906ELNS1_3gpuE6ELNS1_3repE0EEENS1_30default_config_static_selectorELNS0_4arch9wavefront6targetE0EEEvT1_
; %bb.0:
	.section	.rodata,"a",@progbits
	.p2align	6, 0x0
	.amdhsa_kernel _ZN7rocprim17ROCPRIM_400000_NS6detail17trampoline_kernelINS0_14default_configENS1_35adjacent_difference_config_selectorILb1ElEEZNS1_24adjacent_difference_implIS3_Lb1ELb0EPlS7_N6thrust23THRUST_200600_302600_NS5minusIlEEEE10hipError_tPvRmT2_T3_mT4_P12ihipStream_tbEUlT_E_NS1_11comp_targetILNS1_3genE2ELNS1_11target_archE906ELNS1_3gpuE6ELNS1_3repE0EEENS1_30default_config_static_selectorELNS0_4arch9wavefront6targetE0EEEvT1_
		.amdhsa_group_segment_fixed_size 0
		.amdhsa_private_segment_fixed_size 0
		.amdhsa_kernarg_size 56
		.amdhsa_user_sgpr_count 15
		.amdhsa_user_sgpr_dispatch_ptr 0
		.amdhsa_user_sgpr_queue_ptr 0
		.amdhsa_user_sgpr_kernarg_segment_ptr 1
		.amdhsa_user_sgpr_dispatch_id 0
		.amdhsa_user_sgpr_private_segment_size 0
		.amdhsa_wavefront_size32 1
		.amdhsa_uses_dynamic_stack 0
		.amdhsa_enable_private_segment 0
		.amdhsa_system_sgpr_workgroup_id_x 1
		.amdhsa_system_sgpr_workgroup_id_y 0
		.amdhsa_system_sgpr_workgroup_id_z 0
		.amdhsa_system_sgpr_workgroup_info 0
		.amdhsa_system_vgpr_workitem_id 0
		.amdhsa_next_free_vgpr 1
		.amdhsa_next_free_sgpr 1
		.amdhsa_reserve_vcc 0
		.amdhsa_float_round_mode_32 0
		.amdhsa_float_round_mode_16_64 0
		.amdhsa_float_denorm_mode_32 3
		.amdhsa_float_denorm_mode_16_64 3
		.amdhsa_dx10_clamp 1
		.amdhsa_ieee_mode 1
		.amdhsa_fp16_overflow 0
		.amdhsa_workgroup_processor_mode 1
		.amdhsa_memory_ordered 1
		.amdhsa_forward_progress 0
		.amdhsa_shared_vgpr_count 0
		.amdhsa_exception_fp_ieee_invalid_op 0
		.amdhsa_exception_fp_denorm_src 0
		.amdhsa_exception_fp_ieee_div_zero 0
		.amdhsa_exception_fp_ieee_overflow 0
		.amdhsa_exception_fp_ieee_underflow 0
		.amdhsa_exception_fp_ieee_inexact 0
		.amdhsa_exception_int_div_zero 0
	.end_amdhsa_kernel
	.section	.text._ZN7rocprim17ROCPRIM_400000_NS6detail17trampoline_kernelINS0_14default_configENS1_35adjacent_difference_config_selectorILb1ElEEZNS1_24adjacent_difference_implIS3_Lb1ELb0EPlS7_N6thrust23THRUST_200600_302600_NS5minusIlEEEE10hipError_tPvRmT2_T3_mT4_P12ihipStream_tbEUlT_E_NS1_11comp_targetILNS1_3genE2ELNS1_11target_archE906ELNS1_3gpuE6ELNS1_3repE0EEENS1_30default_config_static_selectorELNS0_4arch9wavefront6targetE0EEEvT1_,"axG",@progbits,_ZN7rocprim17ROCPRIM_400000_NS6detail17trampoline_kernelINS0_14default_configENS1_35adjacent_difference_config_selectorILb1ElEEZNS1_24adjacent_difference_implIS3_Lb1ELb0EPlS7_N6thrust23THRUST_200600_302600_NS5minusIlEEEE10hipError_tPvRmT2_T3_mT4_P12ihipStream_tbEUlT_E_NS1_11comp_targetILNS1_3genE2ELNS1_11target_archE906ELNS1_3gpuE6ELNS1_3repE0EEENS1_30default_config_static_selectorELNS0_4arch9wavefront6targetE0EEEvT1_,comdat
.Lfunc_end258:
	.size	_ZN7rocprim17ROCPRIM_400000_NS6detail17trampoline_kernelINS0_14default_configENS1_35adjacent_difference_config_selectorILb1ElEEZNS1_24adjacent_difference_implIS3_Lb1ELb0EPlS7_N6thrust23THRUST_200600_302600_NS5minusIlEEEE10hipError_tPvRmT2_T3_mT4_P12ihipStream_tbEUlT_E_NS1_11comp_targetILNS1_3genE2ELNS1_11target_archE906ELNS1_3gpuE6ELNS1_3repE0EEENS1_30default_config_static_selectorELNS0_4arch9wavefront6targetE0EEEvT1_, .Lfunc_end258-_ZN7rocprim17ROCPRIM_400000_NS6detail17trampoline_kernelINS0_14default_configENS1_35adjacent_difference_config_selectorILb1ElEEZNS1_24adjacent_difference_implIS3_Lb1ELb0EPlS7_N6thrust23THRUST_200600_302600_NS5minusIlEEEE10hipError_tPvRmT2_T3_mT4_P12ihipStream_tbEUlT_E_NS1_11comp_targetILNS1_3genE2ELNS1_11target_archE906ELNS1_3gpuE6ELNS1_3repE0EEENS1_30default_config_static_selectorELNS0_4arch9wavefront6targetE0EEEvT1_
                                        ; -- End function
	.section	.AMDGPU.csdata,"",@progbits
; Kernel info:
; codeLenInByte = 0
; NumSgprs: 0
; NumVgprs: 0
; ScratchSize: 0
; MemoryBound: 0
; FloatMode: 240
; IeeeMode: 1
; LDSByteSize: 0 bytes/workgroup (compile time only)
; SGPRBlocks: 0
; VGPRBlocks: 0
; NumSGPRsForWavesPerEU: 1
; NumVGPRsForWavesPerEU: 1
; Occupancy: 16
; WaveLimiterHint : 0
; COMPUTE_PGM_RSRC2:SCRATCH_EN: 0
; COMPUTE_PGM_RSRC2:USER_SGPR: 15
; COMPUTE_PGM_RSRC2:TRAP_HANDLER: 0
; COMPUTE_PGM_RSRC2:TGID_X_EN: 1
; COMPUTE_PGM_RSRC2:TGID_Y_EN: 0
; COMPUTE_PGM_RSRC2:TGID_Z_EN: 0
; COMPUTE_PGM_RSRC2:TIDIG_COMP_CNT: 0
	.section	.text._ZN7rocprim17ROCPRIM_400000_NS6detail17trampoline_kernelINS0_14default_configENS1_35adjacent_difference_config_selectorILb1ElEEZNS1_24adjacent_difference_implIS3_Lb1ELb0EPlS7_N6thrust23THRUST_200600_302600_NS5minusIlEEEE10hipError_tPvRmT2_T3_mT4_P12ihipStream_tbEUlT_E_NS1_11comp_targetILNS1_3genE9ELNS1_11target_archE1100ELNS1_3gpuE3ELNS1_3repE0EEENS1_30default_config_static_selectorELNS0_4arch9wavefront6targetE0EEEvT1_,"axG",@progbits,_ZN7rocprim17ROCPRIM_400000_NS6detail17trampoline_kernelINS0_14default_configENS1_35adjacent_difference_config_selectorILb1ElEEZNS1_24adjacent_difference_implIS3_Lb1ELb0EPlS7_N6thrust23THRUST_200600_302600_NS5minusIlEEEE10hipError_tPvRmT2_T3_mT4_P12ihipStream_tbEUlT_E_NS1_11comp_targetILNS1_3genE9ELNS1_11target_archE1100ELNS1_3gpuE3ELNS1_3repE0EEENS1_30default_config_static_selectorELNS0_4arch9wavefront6targetE0EEEvT1_,comdat
	.protected	_ZN7rocprim17ROCPRIM_400000_NS6detail17trampoline_kernelINS0_14default_configENS1_35adjacent_difference_config_selectorILb1ElEEZNS1_24adjacent_difference_implIS3_Lb1ELb0EPlS7_N6thrust23THRUST_200600_302600_NS5minusIlEEEE10hipError_tPvRmT2_T3_mT4_P12ihipStream_tbEUlT_E_NS1_11comp_targetILNS1_3genE9ELNS1_11target_archE1100ELNS1_3gpuE3ELNS1_3repE0EEENS1_30default_config_static_selectorELNS0_4arch9wavefront6targetE0EEEvT1_ ; -- Begin function _ZN7rocprim17ROCPRIM_400000_NS6detail17trampoline_kernelINS0_14default_configENS1_35adjacent_difference_config_selectorILb1ElEEZNS1_24adjacent_difference_implIS3_Lb1ELb0EPlS7_N6thrust23THRUST_200600_302600_NS5minusIlEEEE10hipError_tPvRmT2_T3_mT4_P12ihipStream_tbEUlT_E_NS1_11comp_targetILNS1_3genE9ELNS1_11target_archE1100ELNS1_3gpuE3ELNS1_3repE0EEENS1_30default_config_static_selectorELNS0_4arch9wavefront6targetE0EEEvT1_
	.globl	_ZN7rocprim17ROCPRIM_400000_NS6detail17trampoline_kernelINS0_14default_configENS1_35adjacent_difference_config_selectorILb1ElEEZNS1_24adjacent_difference_implIS3_Lb1ELb0EPlS7_N6thrust23THRUST_200600_302600_NS5minusIlEEEE10hipError_tPvRmT2_T3_mT4_P12ihipStream_tbEUlT_E_NS1_11comp_targetILNS1_3genE9ELNS1_11target_archE1100ELNS1_3gpuE3ELNS1_3repE0EEENS1_30default_config_static_selectorELNS0_4arch9wavefront6targetE0EEEvT1_
	.p2align	8
	.type	_ZN7rocprim17ROCPRIM_400000_NS6detail17trampoline_kernelINS0_14default_configENS1_35adjacent_difference_config_selectorILb1ElEEZNS1_24adjacent_difference_implIS3_Lb1ELb0EPlS7_N6thrust23THRUST_200600_302600_NS5minusIlEEEE10hipError_tPvRmT2_T3_mT4_P12ihipStream_tbEUlT_E_NS1_11comp_targetILNS1_3genE9ELNS1_11target_archE1100ELNS1_3gpuE3ELNS1_3repE0EEENS1_30default_config_static_selectorELNS0_4arch9wavefront6targetE0EEEvT1_,@function
_ZN7rocprim17ROCPRIM_400000_NS6detail17trampoline_kernelINS0_14default_configENS1_35adjacent_difference_config_selectorILb1ElEEZNS1_24adjacent_difference_implIS3_Lb1ELb0EPlS7_N6thrust23THRUST_200600_302600_NS5minusIlEEEE10hipError_tPvRmT2_T3_mT4_P12ihipStream_tbEUlT_E_NS1_11comp_targetILNS1_3genE9ELNS1_11target_archE1100ELNS1_3gpuE3ELNS1_3repE0EEENS1_30default_config_static_selectorELNS0_4arch9wavefront6targetE0EEEvT1_: ; @_ZN7rocprim17ROCPRIM_400000_NS6detail17trampoline_kernelINS0_14default_configENS1_35adjacent_difference_config_selectorILb1ElEEZNS1_24adjacent_difference_implIS3_Lb1ELb0EPlS7_N6thrust23THRUST_200600_302600_NS5minusIlEEEE10hipError_tPvRmT2_T3_mT4_P12ihipStream_tbEUlT_E_NS1_11comp_targetILNS1_3genE9ELNS1_11target_archE1100ELNS1_3gpuE3ELNS1_3repE0EEENS1_30default_config_static_selectorELNS0_4arch9wavefront6targetE0EEEvT1_
; %bb.0:
	s_load_b256 s[4:11], s[0:1], 0x0
	s_mov_b32 s2, 0x411a7a30
	s_mov_b32 s16, s15
	s_waitcnt lgkmcnt(0)
	s_lshl_b64 s[6:7], s[6:7], 3
	s_delay_alu instid0(SALU_CYCLE_1) | instskip(SKIP_4) | instid1(VALU_DEP_1)
	s_add_u32 s23, s4, s6
	s_addc_u32 s24, s5, s7
	s_add_u32 s2, 0x76, s2
	s_addc_u32 s3, 0, 0
	v_add_co_u32 v1, s2, 0x20000000, s2
	s_cmp_lg_u32 s2, 0
	s_addc_u32 s3, s3, 0x11a7b9
	s_delay_alu instid0(VALU_DEP_1) | instskip(SKIP_1) | instid1(VALU_DEP_1)
	v_readfirstlane_b32 s2, v1
	s_mul_i32 s4, s3, 0xfffff180
	s_mul_hi_u32 s5, s2, 0xfffff180
	s_mul_i32 s12, s2, 0xfffff180
	s_sub_i32 s5, s5, s2
	s_mul_hi_u32 s13, s2, s12
	s_add_i32 s5, s5, s4
	s_mul_hi_u32 s14, s3, s12
	s_mul_i32 s4, s3, s12
	s_mul_hi_u32 s12, s2, s5
	s_mul_i32 s2, s2, s5
	s_mul_hi_u32 s15, s3, s5
	s_add_u32 s2, s13, s2
	s_addc_u32 s12, 0, s12
	s_add_u32 s2, s2, s4
	s_mul_i32 s5, s3, s5
	s_addc_u32 s2, s12, s14
	s_addc_u32 s4, s15, 0
	s_add_u32 s2, s2, s5
	s_addc_u32 s4, 0, s4
	v_add_co_u32 v1, s2, v1, s2
	s_delay_alu instid0(VALU_DEP_1) | instskip(SKIP_1) | instid1(VALU_DEP_1)
	s_cmp_lg_u32 s2, 0
	s_addc_u32 s2, s3, s4
	v_readfirstlane_b32 s3, v1
	s_mul_i32 s5, s10, s2
	s_mul_hi_u32 s4, s10, s2
	s_mul_hi_u32 s12, s11, s2
	s_mul_i32 s2, s11, s2
	s_mul_hi_u32 s13, s10, s3
	s_mul_hi_u32 s14, s11, s3
	s_mul_i32 s3, s11, s3
	s_add_u32 s5, s13, s5
	s_addc_u32 s4, 0, s4
	s_add_u32 s3, s5, s3
	s_addc_u32 s3, s4, s14
	s_addc_u32 s4, s12, 0
	s_add_u32 s5, s3, s2
	s_addc_u32 s4, 0, s4
	s_mul_i32 s3, s5, 0xe80
	s_add_u32 s2, s5, 1
	v_sub_co_u32 v1, s3, s10, s3
	s_mul_hi_u32 s12, s5, 0xe80
	s_addc_u32 s13, s4, 0
	s_mul_i32 s14, s4, 0xe80
	s_delay_alu instid0(VALU_DEP_1)
	v_subrev_co_u32 v2, s15, 0xe80, v1
	s_add_u32 s17, s5, 2
	s_addc_u32 s18, s4, 0
	s_add_i32 s12, s12, s14
	s_cmp_lg_u32 s3, 0
	v_readfirstlane_b32 s3, v2
	s_subb_u32 s12, s11, s12
	s_cmp_lg_u32 s15, 0
	s_subb_u32 s14, s12, 0
	s_delay_alu instid0(VALU_DEP_1) | instskip(SKIP_4) | instid1(SALU_CYCLE_1)
	s_cmpk_gt_u32 s3, 0xe7f
	s_cselect_b32 s3, -1, 0
	s_cmp_eq_u32 s14, 0
	v_readfirstlane_b32 s14, v1
	s_cselect_b32 s3, s3, -1
	s_cmp_lg_u32 s3, 0
	s_cselect_b32 s15, s17, s2
	s_cselect_b32 s13, s18, s13
	s_cmpk_gt_u32 s14, 0xe7f
	s_mov_b32 s17, 0
	s_cselect_b32 s2, -1, 0
	s_cmp_eq_u32 s12, 0
	s_cselect_b32 s2, s2, -1
	s_delay_alu instid0(SALU_CYCLE_1)
	s_cmp_lg_u32 s2, 0
	s_load_b128 s[0:3], s[0:1], 0x28
	s_cselect_b32 s13, s13, s4
	s_cselect_b32 s12, s15, s5
	s_mul_i32 s4, s13, 0xe80
	s_mul_hi_u32 s5, s12, 0xe80
	s_mul_i32 s14, s12, 0xe80
	s_add_i32 s5, s5, s4
	s_sub_u32 s4, s10, s14
	s_subb_u32 s5, s11, s5
	s_delay_alu instid0(SALU_CYCLE_1) | instskip(SKIP_2) | instid1(SALU_CYCLE_1)
	s_cmp_lg_u64 s[4:5], 0
	s_mov_b32 s5, -1
	s_cselect_b32 s4, -1, 0
	v_cndmask_b32_e64 v1, 0, 1, s4
	s_delay_alu instid0(VALU_DEP_1) | instskip(NEXT) | instid1(VALU_DEP_1)
	v_readfirstlane_b32 s4, v1
	s_add_u32 s12, s12, s4
	s_addc_u32 s13, s13, 0
	s_waitcnt lgkmcnt(0)
	s_add_u32 s14, s2, s16
	s_addc_u32 s15, s3, 0
	s_add_u32 s18, s12, -1
	s_addc_u32 s19, s13, -1
	s_mul_i32 s4, s16, 0xe80
	v_cmp_ge_u64_e64 s22, s[14:15], s[18:19]
	s_mul_i32 s11, s18, 0xfffff180
	s_delay_alu instid0(VALU_DEP_1)
	s_and_b32 vcc_lo, exec_lo, s22
	s_cbranch_vccz .LBB259_60
; %bb.1:
	s_mov_b32 s5, s17
	s_add_i32 s25, s11, s10
	s_lshl_b64 s[20:21], s[4:5], 3
	s_mov_b32 s5, exec_lo
	s_add_u32 s20, s23, s20
	s_addc_u32 s21, s24, s21
                                        ; implicit-def: $vgpr1_vgpr2
	v_cmpx_gt_u32_e64 s25, v0
	s_cbranch_execz .LBB259_3
; %bb.2:
	v_lshlrev_b32_e32 v1, 3, v0
	global_load_b64 v[1:2], v1, s[20:21]
.LBB259_3:
	s_or_b32 exec_lo, exec_lo, s5
	v_or_b32_e32 v3, 0x80, v0
	s_delay_alu instid0(VALU_DEP_1)
	v_cmp_gt_u32_e32 vcc_lo, s25, v3
                                        ; implicit-def: $vgpr3_vgpr4
	s_and_saveexec_b32 s5, vcc_lo
	s_cbranch_execz .LBB259_5
; %bb.4:
	v_lshlrev_b32_e32 v3, 3, v0
	global_load_b64 v[3:4], v3, s[20:21] offset:1024
.LBB259_5:
	s_or_b32 exec_lo, exec_lo, s5
	v_or_b32_e32 v5, 0x100, v0
	s_delay_alu instid0(VALU_DEP_1)
	v_cmp_gt_u32_e32 vcc_lo, s25, v5
                                        ; implicit-def: $vgpr5_vgpr6
	s_and_saveexec_b32 s5, vcc_lo
	s_cbranch_execz .LBB259_7
; %bb.6:
	v_lshlrev_b32_e32 v5, 3, v0
	global_load_b64 v[5:6], v5, s[20:21] offset:2048
.LBB259_7:
	s_or_b32 exec_lo, exec_lo, s5
	v_or_b32_e32 v7, 0x180, v0
	s_delay_alu instid0(VALU_DEP_1)
	v_cmp_gt_u32_e32 vcc_lo, s25, v7
                                        ; implicit-def: $vgpr7_vgpr8
	s_and_saveexec_b32 s5, vcc_lo
	s_cbranch_execz .LBB259_9
; %bb.8:
	v_lshlrev_b32_e32 v7, 3, v0
	global_load_b64 v[7:8], v7, s[20:21] offset:3072
.LBB259_9:
	s_or_b32 exec_lo, exec_lo, s5
	v_or_b32_e32 v11, 0x200, v0
	s_mov_b32 s5, exec_lo
                                        ; implicit-def: $vgpr9_vgpr10
	s_delay_alu instid0(VALU_DEP_1)
	v_cmpx_gt_u32_e64 s25, v11
	s_cbranch_execz .LBB259_11
; %bb.10:
	v_lshlrev_b32_e32 v9, 3, v11
	global_load_b64 v[9:10], v9, s[20:21]
.LBB259_11:
	s_or_b32 exec_lo, exec_lo, s5
	v_or_b32_e32 v13, 0x280, v0
	s_mov_b32 s5, exec_lo
                                        ; implicit-def: $vgpr11_vgpr12
	s_delay_alu instid0(VALU_DEP_1)
	v_cmpx_gt_u32_e64 s25, v13
	s_cbranch_execz .LBB259_13
; %bb.12:
	v_lshlrev_b32_e32 v11, 3, v13
	global_load_b64 v[11:12], v11, s[20:21]
.LBB259_13:
	s_or_b32 exec_lo, exec_lo, s5
	v_or_b32_e32 v15, 0x300, v0
	s_mov_b32 s5, exec_lo
                                        ; implicit-def: $vgpr13_vgpr14
	s_delay_alu instid0(VALU_DEP_1)
	v_cmpx_gt_u32_e64 s25, v15
	s_cbranch_execz .LBB259_15
; %bb.14:
	v_lshlrev_b32_e32 v13, 3, v15
	global_load_b64 v[13:14], v13, s[20:21]
.LBB259_15:
	s_or_b32 exec_lo, exec_lo, s5
	v_or_b32_e32 v17, 0x380, v0
	s_mov_b32 s5, exec_lo
                                        ; implicit-def: $vgpr15_vgpr16
	s_delay_alu instid0(VALU_DEP_1)
	v_cmpx_gt_u32_e64 s25, v17
	s_cbranch_execz .LBB259_17
; %bb.16:
	v_lshlrev_b32_e32 v15, 3, v17
	global_load_b64 v[15:16], v15, s[20:21]
.LBB259_17:
	s_or_b32 exec_lo, exec_lo, s5
	v_or_b32_e32 v19, 0x400, v0
	s_mov_b32 s5, exec_lo
                                        ; implicit-def: $vgpr17_vgpr18
	s_delay_alu instid0(VALU_DEP_1)
	v_cmpx_gt_u32_e64 s25, v19
	s_cbranch_execz .LBB259_19
; %bb.18:
	v_lshlrev_b32_e32 v17, 3, v19
	global_load_b64 v[17:18], v17, s[20:21]
.LBB259_19:
	s_or_b32 exec_lo, exec_lo, s5
	v_or_b32_e32 v21, 0x480, v0
	s_mov_b32 s5, exec_lo
                                        ; implicit-def: $vgpr19_vgpr20
	s_delay_alu instid0(VALU_DEP_1)
	v_cmpx_gt_u32_e64 s25, v21
	s_cbranch_execz .LBB259_21
; %bb.20:
	v_lshlrev_b32_e32 v19, 3, v21
	global_load_b64 v[19:20], v19, s[20:21]
.LBB259_21:
	s_or_b32 exec_lo, exec_lo, s5
	v_or_b32_e32 v23, 0x500, v0
	s_mov_b32 s5, exec_lo
                                        ; implicit-def: $vgpr21_vgpr22
	s_delay_alu instid0(VALU_DEP_1)
	v_cmpx_gt_u32_e64 s25, v23
	s_cbranch_execz .LBB259_23
; %bb.22:
	v_lshlrev_b32_e32 v21, 3, v23
	global_load_b64 v[21:22], v21, s[20:21]
.LBB259_23:
	s_or_b32 exec_lo, exec_lo, s5
	v_or_b32_e32 v25, 0x580, v0
	s_mov_b32 s5, exec_lo
                                        ; implicit-def: $vgpr23_vgpr24
	s_delay_alu instid0(VALU_DEP_1)
	v_cmpx_gt_u32_e64 s25, v25
	s_cbranch_execz .LBB259_25
; %bb.24:
	v_lshlrev_b32_e32 v23, 3, v25
	global_load_b64 v[23:24], v23, s[20:21]
.LBB259_25:
	s_or_b32 exec_lo, exec_lo, s5
	v_or_b32_e32 v27, 0x600, v0
	s_mov_b32 s5, exec_lo
                                        ; implicit-def: $vgpr25_vgpr26
	s_delay_alu instid0(VALU_DEP_1)
	v_cmpx_gt_u32_e64 s25, v27
	s_cbranch_execz .LBB259_27
; %bb.26:
	v_lshlrev_b32_e32 v25, 3, v27
	global_load_b64 v[25:26], v25, s[20:21]
.LBB259_27:
	s_or_b32 exec_lo, exec_lo, s5
	v_or_b32_e32 v29, 0x680, v0
	s_mov_b32 s5, exec_lo
                                        ; implicit-def: $vgpr27_vgpr28
	s_delay_alu instid0(VALU_DEP_1)
	v_cmpx_gt_u32_e64 s25, v29
	s_cbranch_execz .LBB259_29
; %bb.28:
	v_lshlrev_b32_e32 v27, 3, v29
	global_load_b64 v[27:28], v27, s[20:21]
.LBB259_29:
	s_or_b32 exec_lo, exec_lo, s5
	v_or_b32_e32 v31, 0x700, v0
	s_mov_b32 s5, exec_lo
                                        ; implicit-def: $vgpr29_vgpr30
	s_delay_alu instid0(VALU_DEP_1)
	v_cmpx_gt_u32_e64 s25, v31
	s_cbranch_execz .LBB259_31
; %bb.30:
	v_lshlrev_b32_e32 v29, 3, v31
	global_load_b64 v[29:30], v29, s[20:21]
.LBB259_31:
	s_or_b32 exec_lo, exec_lo, s5
	v_or_b32_e32 v33, 0x780, v0
	s_mov_b32 s5, exec_lo
                                        ; implicit-def: $vgpr31_vgpr32
	s_delay_alu instid0(VALU_DEP_1)
	v_cmpx_gt_u32_e64 s25, v33
	s_cbranch_execz .LBB259_33
; %bb.32:
	v_lshlrev_b32_e32 v31, 3, v33
	global_load_b64 v[31:32], v31, s[20:21]
.LBB259_33:
	s_or_b32 exec_lo, exec_lo, s5
	v_or_b32_e32 v35, 0x800, v0
	s_mov_b32 s5, exec_lo
                                        ; implicit-def: $vgpr33_vgpr34
	s_delay_alu instid0(VALU_DEP_1)
	v_cmpx_gt_u32_e64 s25, v35
	s_cbranch_execz .LBB259_35
; %bb.34:
	v_lshlrev_b32_e32 v33, 3, v35
	global_load_b64 v[33:34], v33, s[20:21]
.LBB259_35:
	s_or_b32 exec_lo, exec_lo, s5
	v_or_b32_e32 v37, 0x880, v0
	s_mov_b32 s5, exec_lo
                                        ; implicit-def: $vgpr35_vgpr36
	s_delay_alu instid0(VALU_DEP_1)
	v_cmpx_gt_u32_e64 s25, v37
	s_cbranch_execz .LBB259_37
; %bb.36:
	v_lshlrev_b32_e32 v35, 3, v37
	global_load_b64 v[35:36], v35, s[20:21]
.LBB259_37:
	s_or_b32 exec_lo, exec_lo, s5
	v_or_b32_e32 v39, 0x900, v0
	s_mov_b32 s5, exec_lo
                                        ; implicit-def: $vgpr37_vgpr38
	s_delay_alu instid0(VALU_DEP_1)
	v_cmpx_gt_u32_e64 s25, v39
	s_cbranch_execz .LBB259_39
; %bb.38:
	v_lshlrev_b32_e32 v37, 3, v39
	global_load_b64 v[37:38], v37, s[20:21]
.LBB259_39:
	s_or_b32 exec_lo, exec_lo, s5
	v_or_b32_e32 v41, 0x980, v0
	s_mov_b32 s5, exec_lo
                                        ; implicit-def: $vgpr39_vgpr40
	s_delay_alu instid0(VALU_DEP_1)
	v_cmpx_gt_u32_e64 s25, v41
	s_cbranch_execz .LBB259_41
; %bb.40:
	v_lshlrev_b32_e32 v39, 3, v41
	global_load_b64 v[39:40], v39, s[20:21]
.LBB259_41:
	s_or_b32 exec_lo, exec_lo, s5
	v_or_b32_e32 v43, 0xa00, v0
	s_mov_b32 s5, exec_lo
                                        ; implicit-def: $vgpr41_vgpr42
	s_delay_alu instid0(VALU_DEP_1)
	v_cmpx_gt_u32_e64 s25, v43
	s_cbranch_execz .LBB259_43
; %bb.42:
	v_lshlrev_b32_e32 v41, 3, v43
	global_load_b64 v[41:42], v41, s[20:21]
.LBB259_43:
	s_or_b32 exec_lo, exec_lo, s5
	v_or_b32_e32 v45, 0xa80, v0
	s_mov_b32 s5, exec_lo
                                        ; implicit-def: $vgpr43_vgpr44
	s_delay_alu instid0(VALU_DEP_1)
	v_cmpx_gt_u32_e64 s25, v45
	s_cbranch_execz .LBB259_45
; %bb.44:
	v_lshlrev_b32_e32 v43, 3, v45
	global_load_b64 v[43:44], v43, s[20:21]
.LBB259_45:
	s_or_b32 exec_lo, exec_lo, s5
	v_or_b32_e32 v47, 0xb00, v0
	s_mov_b32 s5, exec_lo
                                        ; implicit-def: $vgpr45_vgpr46
	s_delay_alu instid0(VALU_DEP_1)
	v_cmpx_gt_u32_e64 s25, v47
	s_cbranch_execz .LBB259_47
; %bb.46:
	v_lshlrev_b32_e32 v45, 3, v47
	global_load_b64 v[45:46], v45, s[20:21]
.LBB259_47:
	s_or_b32 exec_lo, exec_lo, s5
	v_or_b32_e32 v49, 0xb80, v0
	s_mov_b32 s5, exec_lo
                                        ; implicit-def: $vgpr47_vgpr48
	s_delay_alu instid0(VALU_DEP_1)
	v_cmpx_gt_u32_e64 s25, v49
	s_cbranch_execz .LBB259_49
; %bb.48:
	v_lshlrev_b32_e32 v47, 3, v49
	global_load_b64 v[47:48], v47, s[20:21]
.LBB259_49:
	s_or_b32 exec_lo, exec_lo, s5
	v_or_b32_e32 v51, 0xc00, v0
	s_mov_b32 s5, exec_lo
                                        ; implicit-def: $vgpr49_vgpr50
	s_delay_alu instid0(VALU_DEP_1)
	v_cmpx_gt_u32_e64 s25, v51
	s_cbranch_execz .LBB259_51
; %bb.50:
	v_lshlrev_b32_e32 v49, 3, v51
	global_load_b64 v[49:50], v49, s[20:21]
.LBB259_51:
	s_or_b32 exec_lo, exec_lo, s5
	v_or_b32_e32 v53, 0xc80, v0
	s_mov_b32 s5, exec_lo
                                        ; implicit-def: $vgpr51_vgpr52
	s_delay_alu instid0(VALU_DEP_1)
	v_cmpx_gt_u32_e64 s25, v53
	s_cbranch_execz .LBB259_53
; %bb.52:
	v_lshlrev_b32_e32 v51, 3, v53
	global_load_b64 v[51:52], v51, s[20:21]
.LBB259_53:
	s_or_b32 exec_lo, exec_lo, s5
	v_or_b32_e32 v55, 0xd00, v0
	s_mov_b32 s5, exec_lo
                                        ; implicit-def: $vgpr53_vgpr54
	s_delay_alu instid0(VALU_DEP_1)
	v_cmpx_gt_u32_e64 s25, v55
	s_cbranch_execz .LBB259_55
; %bb.54:
	v_lshlrev_b32_e32 v53, 3, v55
	global_load_b64 v[53:54], v53, s[20:21]
.LBB259_55:
	s_or_b32 exec_lo, exec_lo, s5
	v_or_b32_e32 v57, 0xd80, v0
	s_mov_b32 s5, exec_lo
                                        ; implicit-def: $vgpr55_vgpr56
	s_delay_alu instid0(VALU_DEP_1)
	v_cmpx_gt_u32_e64 s25, v57
	s_cbranch_execz .LBB259_57
; %bb.56:
	v_lshlrev_b32_e32 v55, 3, v57
	global_load_b64 v[55:56], v55, s[20:21]
.LBB259_57:
	s_or_b32 exec_lo, exec_lo, s5
	v_or_b32_e32 v59, 0xe00, v0
	s_mov_b32 s5, exec_lo
                                        ; implicit-def: $vgpr57_vgpr58
	s_delay_alu instid0(VALU_DEP_1)
	v_cmpx_gt_u32_e64 s25, v59
	s_cbranch_execz .LBB259_59
; %bb.58:
	v_lshlrev_b32_e32 v57, 3, v59
	global_load_b64 v[57:58], v57, s[20:21]
.LBB259_59:
	s_or_b32 exec_lo, exec_lo, s5
	v_lshlrev_b32_e32 v59, 3, v0
	s_mov_b32 s5, 0
	s_waitcnt vmcnt(0)
	ds_store_2addr_stride64_b64 v59, v[1:2], v[3:4] offset1:2
	ds_store_2addr_stride64_b64 v59, v[5:6], v[7:8] offset0:4 offset1:6
	ds_store_2addr_stride64_b64 v59, v[9:10], v[11:12] offset0:8 offset1:10
	;; [unrolled: 1-line block ×13, first 2 shown]
	ds_store_b64 v59, v[57:58] offset:28672
	s_waitcnt lgkmcnt(0)
	s_barrier
.LBB259_60:
	v_lshlrev_b32_e32 v117, 3, v0
	s_and_b32 vcc_lo, exec_lo, s5
	s_cbranch_vccz .LBB259_62
; %bb.61:
	s_mov_b32 s5, 0
	s_delay_alu instid0(SALU_CYCLE_1) | instskip(NEXT) | instid1(SALU_CYCLE_1)
	s_lshl_b64 s[20:21], s[4:5], 3
	s_add_u32 s20, s23, s20
	s_addc_u32 s21, s24, s21
	v_add_co_u32 v49, s5, s20, v117
	s_delay_alu instid0(VALU_DEP_1)
	v_add_co_ci_u32_e64 v50, null, s21, 0, s5
	s_clause 0x3
	global_load_b64 v[1:2], v117, s[20:21]
	global_load_b64 v[3:4], v117, s[20:21] offset:1024
	global_load_b64 v[5:6], v117, s[20:21] offset:2048
	;; [unrolled: 1-line block ×3, first 2 shown]
	v_add_co_u32 v9, vcc_lo, 0x1000, v49
	v_add_co_ci_u32_e32 v10, vcc_lo, 0, v50, vcc_lo
	v_add_co_u32 v11, vcc_lo, v49, 0x2000
	v_add_co_ci_u32_e32 v12, vcc_lo, 0, v50, vcc_lo
	v_add_co_u32 v13, vcc_lo, 0x2000, v49
	v_add_co_ci_u32_e32 v14, vcc_lo, 0, v50, vcc_lo
	v_add_co_u32 v23, vcc_lo, 0x3000, v49
	v_add_co_ci_u32_e32 v24, vcc_lo, 0, v50, vcc_lo
	v_add_co_u32 v25, vcc_lo, v49, 0x4000
	v_add_co_ci_u32_e32 v26, vcc_lo, 0, v50, vcc_lo
	v_add_co_u32 v27, vcc_lo, 0x4000, v49
	v_add_co_ci_u32_e32 v28, vcc_lo, 0, v50, vcc_lo
	v_add_co_u32 v39, vcc_lo, v49, 0x6000
	v_add_co_ci_u32_e32 v40, vcc_lo, 0, v50, vcc_lo
	v_add_co_u32 v41, vcc_lo, 0x5000, v49
	v_add_co_ci_u32_e32 v42, vcc_lo, 0, v50, vcc_lo
	v_add_co_u32 v47, vcc_lo, 0x6000, v49
	v_add_co_ci_u32_e32 v48, vcc_lo, 0, v50, vcc_lo
	v_add_co_u32 v49, vcc_lo, 0x7000, v49
	v_add_co_ci_u32_e32 v50, vcc_lo, 0, v50, vcc_lo
	s_clause 0x18
	global_load_b64 v[15:16], v[11:12], off offset:-4096
	global_load_b64 v[17:18], v[9:10], off offset:1024
	global_load_b64 v[19:20], v[9:10], off offset:2048
	;; [unrolled: 1-line block ×12, first 2 shown]
	global_load_b64 v[11:12], v[11:12], off
	global_load_b64 v[43:44], v[25:26], off offset:-4096
	global_load_b64 v[25:26], v[25:26], off
	global_load_b64 v[45:46], v[39:40], off offset:-4096
	global_load_b64 v[39:40], v[39:40], off
	global_load_b64 v[51:52], v[41:42], off offset:1024
	global_load_b64 v[53:54], v[41:42], off offset:2048
	;; [unrolled: 1-line block ×6, first 2 shown]
	global_load_b64 v[49:50], v[49:50], off
	s_waitcnt vmcnt(27)
	ds_store_2addr_stride64_b64 v117, v[1:2], v[3:4] offset1:2
	s_waitcnt vmcnt(25)
	ds_store_2addr_stride64_b64 v117, v[5:6], v[7:8] offset0:4 offset1:6
	s_waitcnt vmcnt(23)
	ds_store_2addr_stride64_b64 v117, v[15:16], v[17:18] offset0:8 offset1:10
	;; [unrolled: 2-line block ×4, first 2 shown]
	ds_store_2addr_stride64_b64 v117, v[29:30], v[13:14] offset0:20 offset1:22
	s_waitcnt vmcnt(10)
	ds_store_2addr_stride64_b64 v117, v[43:44], v[31:32] offset0:24 offset1:26
	ds_store_2addr_stride64_b64 v117, v[33:34], v[23:24] offset0:28 offset1:30
	s_waitcnt vmcnt(9)
	ds_store_2addr_stride64_b64 v117, v[25:26], v[35:36] offset0:32 offset1:34
	;; [unrolled: 3-line block ×3, first 2 shown]
	s_waitcnt vmcnt(4)
	ds_store_2addr_stride64_b64 v117, v[53:54], v[41:42] offset0:44 offset1:46
	s_waitcnt vmcnt(3)
	ds_store_2addr_stride64_b64 v117, v[39:40], v[55:56] offset0:48 offset1:50
	;; [unrolled: 2-line block ×3, first 2 shown]
	s_waitcnt vmcnt(0)
	ds_store_b64 v117, v[49:50] offset:28672
	s_waitcnt lgkmcnt(0)
	s_barrier
.LBB259_62:
	v_mul_u32_u24_e32 v1, 29, v0
	buffer_gl0_inv
	s_cmp_eq_u64 s[14:15], 0
	v_lshlrev_b32_e32 v53, 3, v1
	ds_load_b64 v[57:58], v53 offset:224
	ds_load_2addr_b64 v[1:4], v53 offset0:26 offset1:27
	ds_load_2addr_b64 v[5:8], v53 offset0:24 offset1:25
	ds_load_2addr_b64 v[9:12], v53 offset1:1
	ds_load_2addr_b64 v[13:16], v53 offset0:2 offset1:3
	ds_load_2addr_b64 v[17:20], v53 offset0:4 offset1:5
	;; [unrolled: 1-line block ×11, first 2 shown]
	s_waitcnt lgkmcnt(0)
	s_barrier
	buffer_gl0_inv
	s_cbranch_scc1 .LBB259_67
; %bb.63:
	s_lshl_b64 s[2:3], s[2:3], 3
	s_delay_alu instid0(SALU_CYCLE_1) | instskip(SKIP_2) | instid1(SALU_CYCLE_1)
	s_add_u32 s2, s0, s2
	s_addc_u32 s3, s1, s3
	s_lshl_b64 s[0:1], s[16:17], 3
	s_add_u32 s0, s2, s0
	s_addc_u32 s1, s3, s1
	s_add_u32 s0, s0, -8
	s_addc_u32 s1, s1, -1
	s_cmp_eq_u64 s[14:15], s[18:19]
	s_load_b64 s[0:1], s[0:1], 0x0
	s_cbranch_scc1 .LBB259_68
; %bb.64:
	s_waitcnt lgkmcnt(0)
	v_dual_mov_b32 v60, s1 :: v_dual_mov_b32 v59, s0
	s_mov_b32 s2, 0
	s_mov_b32 s3, exec_lo
	ds_store_b64 v117, v[57:58]
	s_waitcnt lgkmcnt(0)
	s_barrier
	buffer_gl0_inv
	v_cmpx_ne_u32_e32 0, v0
	s_cbranch_execz .LBB259_66
; %bb.65:
	v_add_nc_u32_e32 v59, -8, v117
	ds_load_b64 v[59:60], v59
.LBB259_66:
	s_or_b32 exec_lo, exec_lo, s3
	s_waitcnt lgkmcnt(0)
	v_sub_co_u32 v59, vcc_lo, v9, v59
	v_sub_co_ci_u32_e32 v60, vcc_lo, v10, v60, vcc_lo
	s_branch .LBB259_69
.LBB259_67:
                                        ; implicit-def: $vgpr59_vgpr60
                                        ; implicit-def: $vgpr115_vgpr116
                                        ; implicit-def: $vgpr109_vgpr110
                                        ; implicit-def: $vgpr113_vgpr114
                                        ; implicit-def: $vgpr103_vgpr104
                                        ; implicit-def: $vgpr111_vgpr112
                                        ; implicit-def: $vgpr99_vgpr100
                                        ; implicit-def: $vgpr107_vgpr108
                                        ; implicit-def: $vgpr97_vgpr98
                                        ; implicit-def: $vgpr105_vgpr106
                                        ; implicit-def: $vgpr95_vgpr96
                                        ; implicit-def: $vgpr101_vgpr102
                                        ; implicit-def: $vgpr93_vgpr94
                                        ; implicit-def: $vgpr91_vgpr92
                                        ; implicit-def: $vgpr89_vgpr90
                                        ; implicit-def: $vgpr87_vgpr88
                                        ; implicit-def: $vgpr85_vgpr86
                                        ; implicit-def: $vgpr83_vgpr84
                                        ; implicit-def: $vgpr81_vgpr82
                                        ; implicit-def: $vgpr79_vgpr80
                                        ; implicit-def: $vgpr77_vgpr78
                                        ; implicit-def: $vgpr75_vgpr76
                                        ; implicit-def: $vgpr73_vgpr74
                                        ; implicit-def: $vgpr71_vgpr72
                                        ; implicit-def: $vgpr69_vgpr70
                                        ; implicit-def: $vgpr67_vgpr68
                                        ; implicit-def: $vgpr65_vgpr66
                                        ; implicit-def: $vgpr63_vgpr64
                                        ; implicit-def: $vgpr61_vgpr62
	s_branch .LBB259_74
.LBB259_68:
	s_mov_b32 s2, -1
                                        ; implicit-def: $vgpr59_vgpr60
.LBB259_69:
	v_dual_mov_b32 v116, v10 :: v_dual_mov_b32 v115, v9
	v_dual_mov_b32 v110, v12 :: v_dual_mov_b32 v109, v11
	;; [unrolled: 1-line block ×28, first 2 shown]
	s_and_b32 vcc_lo, exec_lo, s2
	s_cbranch_vccz .LBB259_73
; %bb.70:
	v_mul_u32_u24_e32 v109, 29, v0
	s_waitcnt lgkmcnt(0)
	v_dual_mov_b32 v60, s1 :: v_dual_mov_b32 v59, s0
	s_mov_b32 s0, exec_lo
	ds_store_b64 v117, v[57:58]
	s_waitcnt lgkmcnt(0)
	s_barrier
	buffer_gl0_inv
	v_cmpx_ne_u32_e32 0, v0
	s_cbranch_execz .LBB259_72
; %bb.71:
	v_add_nc_u32_e32 v59, -8, v117
	ds_load_b64 v[59:60], v59
.LBB259_72:
	s_or_b32 exec_lo, exec_lo, s0
	v_add_nc_u32_e32 v61, 28, v109
	s_mul_i32 s1, s14, 0xfffff180
	v_add_nc_u32_e32 v63, 26, v109
	s_add_i32 s1, s1, s10
	v_add_nc_u32_e32 v65, 25, v109
	v_cmp_gt_u32_e32 vcc_lo, s1, v61
	v_add_nc_u32_e32 v62, 27, v109
	v_add_nc_u32_e32 v67, 24, v109
	;; [unrolled: 1-line block ×4, first 2 shown]
	v_cndmask_b32_e32 v61, 0, v3, vcc_lo
	v_cmp_gt_u32_e64 s0, s1, v62
	v_cndmask_b32_e32 v62, 0, v4, vcc_lo
	v_cmp_gt_u32_e32 vcc_lo, s1, v63
	v_add_nc_u32_e32 v73, 21, v109
	v_add_nc_u32_e32 v75, 20, v109
	v_cndmask_b32_e64 v64, 0, v2, s0
	v_cndmask_b32_e64 v63, 0, v1, s0
	v_cndmask_b32_e32 v66, 0, v8, vcc_lo
	v_cmp_gt_u32_e64 s0, s1, v65
	v_cndmask_b32_e32 v65, 0, v7, vcc_lo
	v_cmp_gt_u32_e32 vcc_lo, s1, v67
	v_add_nc_u32_e32 v77, 19, v109
	v_add_nc_u32_e32 v79, 18, v109
	v_cndmask_b32_e64 v68, 0, v6, s0
	v_cndmask_b32_e64 v67, 0, v5, s0
	;; [unrolled: 8-line block ×3, first 2 shown]
	v_cndmask_b32_e32 v74, 0, v52, vcc_lo
	v_cmp_gt_u32_e64 s0, s1, v73
	v_dual_cndmask_b32 v73, 0, v51 :: v_dual_add_nc_u32 v98, 8, v109
	v_cmp_gt_u32_e32 vcc_lo, s1, v75
	v_add_nc_u32_e32 v85, 15, v109
	s_delay_alu instid0(VALU_DEP_4)
	v_cndmask_b32_e64 v76, 0, v50, s0
	v_cndmask_b32_e64 v75, 0, v49, s0
	v_cmp_gt_u32_e64 s0, s1, v77
	v_dual_cndmask_b32 v78, 0, v48 :: v_dual_cndmask_b32 v77, 0, v47
	v_add_nc_u32_e32 v104, 4, v109
	v_cmp_gt_u32_e32 vcc_lo, s1, v79
	s_delay_alu instid0(VALU_DEP_4)
	v_cndmask_b32_e64 v80, 0, v46, s0
	v_cndmask_b32_e64 v79, 0, v45, s0
	v_cmp_gt_u32_e64 s0, s1, v81
	v_dual_cndmask_b32 v82, 0, v44 :: v_dual_add_nc_u32 v87, 14, v109
	v_dual_cndmask_b32 v81, 0, v43 :: v_dual_add_nc_u32 v110, 2, v109
	v_cmp_gt_u32_e32 vcc_lo, s1, v83
	s_delay_alu instid0(VALU_DEP_4)
	v_cndmask_b32_e64 v84, 0, v42, s0
	v_cndmask_b32_e64 v83, 0, v41, s0
	v_cmp_gt_u32_e64 s0, s1, v85
	v_dual_cndmask_b32 v86, 0, v40 :: v_dual_add_nc_u32 v89, 13, v109
	v_cndmask_b32_e32 v85, 0, v39, vcc_lo
	v_cmp_gt_u32_e32 vcc_lo, s1, v87
	v_add_nc_u32_e32 v91, 12, v109
	v_cndmask_b32_e64 v88, 0, v38, s0
	v_cndmask_b32_e64 v87, 0, v37, s0
	v_cmp_gt_u32_e64 s0, s1, v89
	v_dual_cndmask_b32 v90, 0, v36 :: v_dual_cndmask_b32 v89, 0, v35
	v_add_nc_u32_e32 v93, 11, v109
	v_cmp_gt_u32_e32 vcc_lo, s1, v91
	v_add_nc_u32_e32 v95, 10, v109
	v_cndmask_b32_e64 v92, 0, v34, s0
	v_cndmask_b32_e64 v91, 0, v33, s0
	v_cmp_gt_u32_e64 s0, s1, v93
	v_dual_cndmask_b32 v94, 0, v32 :: v_dual_cndmask_b32 v93, 0, v31
	v_add_nc_u32_e32 v97, 9, v109
	v_cmp_gt_u32_e32 vcc_lo, s1, v95
	s_delay_alu instid0(VALU_DEP_4)
	v_cndmask_b32_e64 v102, 0, v30, s0
	v_cndmask_b32_e64 v101, 0, v29, s0
	v_add_nc_u32_e32 v99, 6, v109
	v_cmp_gt_u32_e64 s0, s1, v97
	v_dual_cndmask_b32 v96, 0, v28 :: v_dual_cndmask_b32 v95, 0, v27
	v_add_nc_u32_e32 v97, 7, v109
	v_cmp_gt_u32_e32 vcc_lo, s1, v98
	s_delay_alu instid0(VALU_DEP_4)
	v_cndmask_b32_e64 v106, 0, v26, s0
	v_cndmask_b32_e64 v105, 0, v25, s0
	v_add_nc_u32_e32 v103, 5, v109
	v_cmp_gt_u32_e64 s0, s1, v97
	v_dual_cndmask_b32 v98, 0, v24 :: v_dual_cndmask_b32 v97, 0, v23
	v_cmp_gt_u32_e32 vcc_lo, s1, v99
	v_add_nc_u32_e32 v115, 1, v109
	s_delay_alu instid0(VALU_DEP_4)
	v_cndmask_b32_e64 v108, 0, v22, s0
	v_cndmask_b32_e64 v107, 0, v21, s0
	v_cmp_gt_u32_e64 s0, s1, v103
	v_dual_cndmask_b32 v100, 0, v20 :: v_dual_cndmask_b32 v99, 0, v19
	v_add_nc_u32_e32 v103, 3, v109
	v_cmp_gt_u32_e32 vcc_lo, s1, v104
	s_delay_alu instid0(VALU_DEP_4) | instskip(SKIP_1) | instid1(VALU_DEP_4)
	v_cndmask_b32_e64 v112, 0, v18, s0
	v_cndmask_b32_e64 v111, 0, v17, s0
	v_cmp_gt_u32_e64 s0, s1, v103
	v_dual_cndmask_b32 v104, 0, v16 :: v_dual_cndmask_b32 v103, 0, v15
	v_cmp_gt_u32_e32 vcc_lo, s1, v109
	s_delay_alu instid0(VALU_DEP_3)
	v_cndmask_b32_e64 v114, 0, v14, s0
	v_cndmask_b32_e64 v113, 0, v13, s0
	v_cmp_gt_u32_e64 s0, s1, v110
	s_waitcnt lgkmcnt(0)
	v_cndmask_b32_e32 v59, 0, v59, vcc_lo
	v_cmp_gt_u32_e64 s1, s1, v115
	v_cndmask_b32_e32 v60, 0, v60, vcc_lo
	v_cndmask_b32_e64 v110, 0, v12, s0
	s_delay_alu instid0(VALU_DEP_4)
	v_sub_co_u32 v59, vcc_lo, v9, v59
	v_cndmask_b32_e64 v109, 0, v11, s0
	v_cndmask_b32_e64 v116, 0, v10, s1
	;; [unrolled: 1-line block ×3, first 2 shown]
	v_sub_co_ci_u32_e32 v60, vcc_lo, v10, v60, vcc_lo
.LBB259_73:
	s_waitcnt lgkmcnt(0)
	s_cbranch_execnz .LBB259_84
.LBB259_74:
	v_cmp_ne_u32_e32 vcc_lo, 0, v0
	s_cmp_eq_u64 s[12:13], 1
	s_cbranch_scc1 .LBB259_78
; %bb.75:
	v_dual_mov_b32 v60, v10 :: v_dual_mov_b32 v59, v9
	s_mov_b32 s0, 0
	ds_store_b64 v117, v[57:58]
	s_waitcnt lgkmcnt(0)
	s_barrier
	buffer_gl0_inv
	s_and_saveexec_b32 s1, vcc_lo
	s_cbranch_execz .LBB259_77
; %bb.76:
	v_add_nc_u32_e32 v59, -8, v117
	ds_load_b64 v[59:60], v59
	s_waitcnt lgkmcnt(0)
	v_sub_co_u32 v59, vcc_lo, v9, v59
	v_sub_co_ci_u32_e32 v60, vcc_lo, v10, v60, vcc_lo
.LBB259_77:
	s_or_b32 exec_lo, exec_lo, s1
	s_branch .LBB259_79
.LBB259_78:
	s_mov_b32 s0, -1
                                        ; implicit-def: $vgpr59_vgpr60
.LBB259_79:
	v_dual_mov_b32 v110, v12 :: v_dual_mov_b32 v109, v11
	v_dual_mov_b32 v114, v14 :: v_dual_mov_b32 v113, v13
	;; [unrolled: 1-line block ×27, first 2 shown]
	s_and_not1_b32 vcc_lo, exec_lo, s0
	s_cbranch_vccnz .LBB259_83
; %bb.80:
	v_mad_u32_u24 v59, v0, 29, 28
	v_mad_u32_u24 v60, v0, 29, 27
	;; [unrolled: 1-line block ×3, first 2 shown]
	v_mul_u32_u24_e32 v115, 29, v0
	ds_store_b64 v117, v[57:58]
	v_cmp_gt_u32_e32 vcc_lo, s10, v59
	v_mad_u32_u24 v59, v0, 29, 25
	v_cmp_gt_u32_e64 s0, s10, v60
	v_mad_u32_u24 v60, v0, 29, 24
	v_cmp_gt_u32_e64 s1, s10, v115
	v_dual_cndmask_b32 v62, 0, v4 :: v_dual_cndmask_b32 v61, 0, v3
	v_cmp_gt_u32_e32 vcc_lo, s10, v63
	v_cndmask_b32_e64 v64, 0, v2, s0
	v_cndmask_b32_e64 v63, 0, v1, s0
	v_cmp_gt_u32_e64 s0, s10, v59
	v_mad_u32_u24 v59, v0, 29, 23
	v_dual_cndmask_b32 v66, 0, v8 :: v_dual_cndmask_b32 v65, 0, v7
	v_cmp_gt_u32_e32 vcc_lo, s10, v60
	v_mad_u32_u24 v60, v0, 29, 22
	v_cndmask_b32_e64 v68, 0, v6, s0
	v_cndmask_b32_e64 v67, 0, v5, s0
	v_cmp_gt_u32_e64 s0, s10, v59
	v_mad_u32_u24 v59, v0, 29, 21
	v_dual_cndmask_b32 v70, 0, v56 :: v_dual_cndmask_b32 v69, 0, v55
	v_cmp_gt_u32_e32 vcc_lo, s10, v60
	v_mad_u32_u24 v60, v0, 29, 20
	;; [unrolled: 7-line block ×11, first 2 shown]
	v_cndmask_b32_e64 v112, 0, v18, s0
	v_cndmask_b32_e64 v111, 0, v17, s0
	v_cmp_gt_u32_e64 s0, s10, v59
	v_mad_u32_u24 v59, v0, 29, 1
	v_dual_cndmask_b32 v104, 0, v16 :: v_dual_cndmask_b32 v103, 0, v15
	v_cmp_gt_u32_e32 vcc_lo, s10, v60
	s_delay_alu instid0(VALU_DEP_4)
	v_cndmask_b32_e64 v114, 0, v14, s0
	v_cndmask_b32_e64 v113, 0, v13, s0
	v_cmp_gt_u32_e64 s0, s10, v59
	s_waitcnt lgkmcnt(0)
	v_dual_cndmask_b32 v110, 0, v12 :: v_dual_cndmask_b32 v109, 0, v11
	v_cmp_ne_u32_e32 vcc_lo, 0, v0
	s_delay_alu instid0(VALU_DEP_3) | instskip(SKIP_4) | instid1(SALU_CYCLE_1)
	v_cndmask_b32_e64 v116, 0, v10, s0
	v_cndmask_b32_e64 v115, 0, v9, s0
	s_barrier
	buffer_gl0_inv
	s_and_b32 s1, vcc_lo, s1
	s_and_saveexec_b32 s0, s1
	s_cbranch_execz .LBB259_82
; %bb.81:
	v_add_nc_u32_e32 v59, -8, v117
	ds_load_b64 v[59:60], v59
	s_waitcnt lgkmcnt(0)
	v_sub_co_u32 v9, vcc_lo, v9, v59
	v_sub_co_ci_u32_e32 v10, vcc_lo, v10, v60, vcc_lo
.LBB259_82:
	s_or_b32 exec_lo, exec_lo, s0
	s_delay_alu instid0(VALU_DEP_1)
	v_dual_mov_b32 v60, v10 :: v_dual_mov_b32 v59, v9
	v_dual_mov_b32 v9, v115 :: v_dual_mov_b32 v10, v116
.LBB259_83:
	s_delay_alu instid0(VALU_DEP_1)
	v_dual_mov_b32 v116, v10 :: v_dual_mov_b32 v115, v9
.LBB259_84:
	s_delay_alu instid0(VALU_DEP_1) | instskip(NEXT) | instid1(VALU_DEP_2)
	v_sub_co_u32 v115, vcc_lo, v11, v115
	v_sub_co_ci_u32_e32 v116, vcc_lo, v12, v116, vcc_lo
	v_sub_co_u32 v109, vcc_lo, v13, v109
	v_sub_co_ci_u32_e32 v110, vcc_lo, v14, v110, vcc_lo
	;; [unrolled: 2-line block ×28, first 2 shown]
	v_mul_u32_u24_e32 v118, 0xe8, v0
	v_mul_i32_i24_e32 v119, 0xffffff20, v0
	s_add_u32 s1, s8, s6
	s_addc_u32 s0, s9, s7
	s_and_b32 vcc_lo, exec_lo, s22
	s_barrier
	buffer_gl0_inv
	s_cbranch_vccz .LBB259_142
; %bb.85:
	v_mad_u32_u24 v1, 0xe8, v0, v119
	ds_store_2addr_b64 v118, v[59:60], v[115:116] offset1:1
	ds_store_2addr_b64 v118, v[109:110], v[113:114] offset0:2 offset1:3
	ds_store_2addr_b64 v118, v[103:104], v[111:112] offset0:4 offset1:5
	;; [unrolled: 1-line block ×13, first 2 shown]
	ds_store_b64 v118, v[57:58] offset:224
	s_waitcnt lgkmcnt(0)
	s_barrier
	buffer_gl0_inv
	ds_load_2addr_stride64_b64 v[53:56], v1 offset0:2 offset1:4
	ds_load_2addr_stride64_b64 v[49:52], v1 offset0:6 offset1:8
	;; [unrolled: 1-line block ×14, first 2 shown]
	s_mov_b32 s5, 0
	s_add_i32 s11, s11, s10
	s_lshl_b64 s[2:3], s[4:5], 3
	s_delay_alu instid0(SALU_CYCLE_1) | instskip(SKIP_2) | instid1(VALU_DEP_1)
	s_add_u32 s2, s1, s2
	s_addc_u32 s3, s0, s3
	v_add_co_u32 v61, s2, s2, v117
	v_add_co_ci_u32_e64 v62, null, s3, 0, s2
	s_mov_b32 s2, exec_lo
	v_cmpx_gt_u32_e64 s11, v0
	s_cbranch_execz .LBB259_87
; %bb.86:
	v_add_nc_u32_e32 v120, v118, v119
	ds_load_b64 v[120:121], v120
	s_waitcnt lgkmcnt(0)
	global_store_b64 v[61:62], v[120:121], off
.LBB259_87:
	s_or_b32 exec_lo, exec_lo, s2
	v_or_b32_e32 v120, 0x80, v0
	s_mov_b32 s2, exec_lo
	s_delay_alu instid0(VALU_DEP_1)
	v_cmpx_gt_u32_e64 s11, v120
	s_cbranch_execz .LBB259_89
; %bb.88:
	s_waitcnt lgkmcnt(13)
	global_store_b64 v[61:62], v[53:54], off offset:1024
.LBB259_89:
	s_or_b32 exec_lo, exec_lo, s2
	s_waitcnt lgkmcnt(13)
	v_or_b32_e32 v53, 0x100, v0
	s_mov_b32 s2, exec_lo
	s_delay_alu instid0(VALU_DEP_1)
	v_cmpx_gt_u32_e64 s11, v53
	s_cbranch_execz .LBB259_91
; %bb.90:
	global_store_b64 v[61:62], v[55:56], off offset:2048
.LBB259_91:
	s_or_b32 exec_lo, exec_lo, s2
	v_or_b32_e32 v53, 0x180, v0
	s_mov_b32 s2, exec_lo
	s_delay_alu instid0(VALU_DEP_1)
	v_cmpx_gt_u32_e64 s11, v53
	s_cbranch_execz .LBB259_93
; %bb.92:
	s_waitcnt lgkmcnt(12)
	global_store_b64 v[61:62], v[49:50], off offset:3072
.LBB259_93:
	s_or_b32 exec_lo, exec_lo, s2
	s_waitcnt lgkmcnt(12)
	v_or_b32_e32 v49, 0x200, v0
	s_mov_b32 s2, exec_lo
	s_delay_alu instid0(VALU_DEP_1)
	v_cmpx_gt_u32_e64 s11, v49
	s_cbranch_execz .LBB259_95
; %bb.94:
	v_add_co_u32 v49, vcc_lo, 0x1000, v61
	v_add_co_ci_u32_e32 v50, vcc_lo, 0, v62, vcc_lo
	global_store_b64 v[49:50], v[51:52], off
.LBB259_95:
	s_or_b32 exec_lo, exec_lo, s2
	v_or_b32_e32 v49, 0x280, v0
	s_mov_b32 s2, exec_lo
	s_delay_alu instid0(VALU_DEP_1)
	v_cmpx_gt_u32_e64 s11, v49
	s_cbranch_execz .LBB259_97
; %bb.96:
	v_add_co_u32 v49, vcc_lo, 0x1000, v61
	v_add_co_ci_u32_e32 v50, vcc_lo, 0, v62, vcc_lo
	s_waitcnt lgkmcnt(11)
	global_store_b64 v[49:50], v[45:46], off offset:1024
.LBB259_97:
	s_or_b32 exec_lo, exec_lo, s2
	s_waitcnt lgkmcnt(11)
	v_or_b32_e32 v45, 0x300, v0
	s_mov_b32 s2, exec_lo
	s_delay_alu instid0(VALU_DEP_1)
	v_cmpx_gt_u32_e64 s11, v45
	s_cbranch_execz .LBB259_99
; %bb.98:
	v_add_co_u32 v45, vcc_lo, 0x1000, v61
	v_add_co_ci_u32_e32 v46, vcc_lo, 0, v62, vcc_lo
	global_store_b64 v[45:46], v[47:48], off offset:2048
.LBB259_99:
	s_or_b32 exec_lo, exec_lo, s2
	v_or_b32_e32 v45, 0x380, v0
	s_mov_b32 s2, exec_lo
	s_delay_alu instid0(VALU_DEP_1)
	v_cmpx_gt_u32_e64 s11, v45
	s_cbranch_execz .LBB259_101
; %bb.100:
	v_add_co_u32 v45, vcc_lo, 0x1000, v61
	v_add_co_ci_u32_e32 v46, vcc_lo, 0, v62, vcc_lo
	s_waitcnt lgkmcnt(10)
	global_store_b64 v[45:46], v[41:42], off offset:3072
.LBB259_101:
	s_or_b32 exec_lo, exec_lo, s2
	s_waitcnt lgkmcnt(10)
	v_or_b32_e32 v41, 0x400, v0
	s_mov_b32 s2, exec_lo
	s_delay_alu instid0(VALU_DEP_1)
	v_cmpx_gt_u32_e64 s11, v41
	s_cbranch_execz .LBB259_103
; %bb.102:
	v_add_co_u32 v41, vcc_lo, 0x2000, v61
	v_add_co_ci_u32_e32 v42, vcc_lo, 0, v62, vcc_lo
	global_store_b64 v[41:42], v[43:44], off
.LBB259_103:
	s_or_b32 exec_lo, exec_lo, s2
	v_or_b32_e32 v41, 0x480, v0
	s_mov_b32 s2, exec_lo
	s_delay_alu instid0(VALU_DEP_1)
	v_cmpx_gt_u32_e64 s11, v41
	s_cbranch_execz .LBB259_105
; %bb.104:
	v_add_co_u32 v41, vcc_lo, 0x2000, v61
	v_add_co_ci_u32_e32 v42, vcc_lo, 0, v62, vcc_lo
	s_waitcnt lgkmcnt(9)
	global_store_b64 v[41:42], v[37:38], off offset:1024
.LBB259_105:
	s_or_b32 exec_lo, exec_lo, s2
	s_waitcnt lgkmcnt(9)
	v_or_b32_e32 v37, 0x500, v0
	s_mov_b32 s2, exec_lo
	s_delay_alu instid0(VALU_DEP_1)
	v_cmpx_gt_u32_e64 s11, v37
	s_cbranch_execz .LBB259_107
; %bb.106:
	v_add_co_u32 v37, vcc_lo, 0x2000, v61
	v_add_co_ci_u32_e32 v38, vcc_lo, 0, v62, vcc_lo
	global_store_b64 v[37:38], v[39:40], off offset:2048
.LBB259_107:
	s_or_b32 exec_lo, exec_lo, s2
	v_or_b32_e32 v37, 0x580, v0
	s_mov_b32 s2, exec_lo
	s_delay_alu instid0(VALU_DEP_1)
	v_cmpx_gt_u32_e64 s11, v37
	s_cbranch_execz .LBB259_109
; %bb.108:
	v_add_co_u32 v37, vcc_lo, 0x2000, v61
	v_add_co_ci_u32_e32 v38, vcc_lo, 0, v62, vcc_lo
	s_waitcnt lgkmcnt(8)
	global_store_b64 v[37:38], v[33:34], off offset:3072
.LBB259_109:
	;; [unrolled: 48-line block ×6, first 2 shown]
	s_or_b32 exec_lo, exec_lo, s2
	s_waitcnt lgkmcnt(0)
	v_or_b32_e32 v1, 0xe00, v0
	s_delay_alu instid0(VALU_DEP_1)
	v_cmp_gt_u32_e64 s2, s11, v1
	s_branch .LBB259_144
.LBB259_142:
	s_mov_b32 s2, 0
                                        ; implicit-def: $vgpr3_vgpr4
                                        ; implicit-def: $vgpr61_vgpr62
	s_cbranch_execz .LBB259_144
; %bb.143:
	v_mad_u32_u24 v0, 0xe8, v0, v119
	ds_store_2addr_b64 v118, v[59:60], v[115:116] offset1:1
	ds_store_2addr_b64 v118, v[109:110], v[113:114] offset0:2 offset1:3
	ds_store_2addr_b64 v118, v[103:104], v[111:112] offset0:4 offset1:5
	;; [unrolled: 1-line block ×13, first 2 shown]
	ds_store_b64 v118, v[57:58] offset:224
	s_waitcnt lgkmcnt(0)
	s_waitcnt_vscnt null, 0x0
	s_barrier
	buffer_gl0_inv
	ds_load_2addr_stride64_b64 v[5:8], v0 offset1:2
	s_mov_b32 s5, 0
	ds_load_2addr_stride64_b64 v[9:12], v0 offset0:4 offset1:6
	ds_load_2addr_stride64_b64 v[13:16], v0 offset0:8 offset1:10
	;; [unrolled: 1-line block ×13, first 2 shown]
	ds_load_b64 v[3:4], v0 offset:28672
	s_lshl_b64 s[4:5], s[4:5], 3
	s_delay_alu instid0(SALU_CYCLE_1) | instskip(SKIP_2) | instid1(VALU_DEP_1)
	s_add_u32 s4, s1, s4
	s_addc_u32 s5, s0, s5
	v_add_co_u32 v61, s0, s4, v117
	v_add_co_ci_u32_e64 v62, null, s5, 0, s0
	s_or_b32 s2, s2, exec_lo
	s_delay_alu instid0(VALU_DEP_2) | instskip(NEXT) | instid1(VALU_DEP_2)
	v_add_co_u32 v0, vcc_lo, 0x1000, v61
	v_add_co_ci_u32_e32 v1, vcc_lo, 0, v62, vcc_lo
	s_waitcnt lgkmcnt(14)
	s_clause 0x1
	global_store_b64 v117, v[5:6], s[4:5]
	global_store_b64 v117, v[7:8], s[4:5] offset:1024
	s_waitcnt lgkmcnt(13)
	s_clause 0x1
	global_store_b64 v117, v[9:10], s[4:5] offset:2048
	global_store_b64 v117, v[11:12], s[4:5] offset:3072
	v_add_co_u32 v5, vcc_lo, v61, 0x2000
	v_add_co_ci_u32_e32 v6, vcc_lo, 0, v62, vcc_lo
	v_add_co_u32 v7, vcc_lo, 0x2000, v61
	v_add_co_ci_u32_e32 v8, vcc_lo, 0, v62, vcc_lo
	s_waitcnt lgkmcnt(10)
	s_clause 0x4
	global_store_b64 v[5:6], v[21:22], off
	global_store_b64 v[0:1], v[15:16], off offset:1024
	global_store_b64 v[0:1], v[17:18], off offset:2048
	;; [unrolled: 1-line block ×4, first 2 shown]
	v_add_co_u32 v0, vcc_lo, 0x3000, v61
	v_add_co_ci_u32_e32 v1, vcc_lo, 0, v62, vcc_lo
	v_add_co_u32 v9, vcc_lo, v61, 0x4000
	v_add_co_ci_u32_e32 v10, vcc_lo, 0, v62, vcc_lo
	;; [unrolled: 2-line block ×3, first 2 shown]
	s_waitcnt lgkmcnt(9)
	s_clause 0x1
	global_store_b64 v[7:8], v[25:26], off offset:2048
	global_store_b64 v[7:8], v[27:28], off offset:3072
	s_waitcnt lgkmcnt(8)
	global_store_b64 v[0:1], v[31:32], off offset:1024
	s_waitcnt lgkmcnt(7)
	s_clause 0x1
	global_store_b64 v[0:1], v[33:34], off offset:2048
	global_store_b64 v[0:1], v[35:36], off offset:3072
	s_waitcnt lgkmcnt(6)
	global_store_b64 v[11:12], v[39:40], off offset:1024
	s_waitcnt lgkmcnt(5)
	s_clause 0x1
	global_store_b64 v[11:12], v[41:42], off offset:2048
	global_store_b64 v[11:12], v[43:44], off offset:3072
	v_add_co_u32 v0, vcc_lo, 0x5000, v61
	v_add_co_ci_u32_e32 v1, vcc_lo, 0, v62, vcc_lo
	v_add_co_u32 v7, vcc_lo, v61, 0x6000
	v_add_co_ci_u32_e32 v8, vcc_lo, 0, v62, vcc_lo
	;; [unrolled: 2-line block ×3, first 2 shown]
	s_clause 0x1
	global_store_b64 v[9:10], v[29:30], off offset:-4096
	global_store_b64 v[9:10], v[37:38], off
	s_waitcnt lgkmcnt(4)
	global_store_b64 v[7:8], v[45:46], off offset:-4096
	s_waitcnt lgkmcnt(2)
	s_clause 0x4
	global_store_b64 v[7:8], v[53:54], off
	global_store_b64 v[0:1], v[47:48], off offset:1024
	global_store_b64 v[0:1], v[49:50], off offset:2048
	;; [unrolled: 1-line block ×4, first 2 shown]
	s_waitcnt lgkmcnt(1)
	s_clause 0x2
	global_store_b64 v[11:12], v[57:58], off offset:2048
	global_store_b64 v[5:6], v[13:14], off offset:-4096
	global_store_b64 v[11:12], v[59:60], off offset:3072
.LBB259_144:
	s_delay_alu instid0(VALU_DEP_1)
	s_and_saveexec_b32 s0, s2
	s_cbranch_execnz .LBB259_146
; %bb.145:
	s_nop 0
	s_sendmsg sendmsg(MSG_DEALLOC_VGPRS)
	s_endpgm
.LBB259_146:
	v_add_co_u32 v0, vcc_lo, 0x7000, v61
	v_add_co_ci_u32_e32 v1, vcc_lo, 0, v62, vcc_lo
	s_waitcnt lgkmcnt(0)
	global_store_b64 v[0:1], v[3:4], off
	s_nop 0
	s_sendmsg sendmsg(MSG_DEALLOC_VGPRS)
	s_endpgm
	.section	.rodata,"a",@progbits
	.p2align	6, 0x0
	.amdhsa_kernel _ZN7rocprim17ROCPRIM_400000_NS6detail17trampoline_kernelINS0_14default_configENS1_35adjacent_difference_config_selectorILb1ElEEZNS1_24adjacent_difference_implIS3_Lb1ELb0EPlS7_N6thrust23THRUST_200600_302600_NS5minusIlEEEE10hipError_tPvRmT2_T3_mT4_P12ihipStream_tbEUlT_E_NS1_11comp_targetILNS1_3genE9ELNS1_11target_archE1100ELNS1_3gpuE3ELNS1_3repE0EEENS1_30default_config_static_selectorELNS0_4arch9wavefront6targetE0EEEvT1_
		.amdhsa_group_segment_fixed_size 29696
		.amdhsa_private_segment_fixed_size 0
		.amdhsa_kernarg_size 56
		.amdhsa_user_sgpr_count 15
		.amdhsa_user_sgpr_dispatch_ptr 0
		.amdhsa_user_sgpr_queue_ptr 0
		.amdhsa_user_sgpr_kernarg_segment_ptr 1
		.amdhsa_user_sgpr_dispatch_id 0
		.amdhsa_user_sgpr_private_segment_size 0
		.amdhsa_wavefront_size32 1
		.amdhsa_uses_dynamic_stack 0
		.amdhsa_enable_private_segment 0
		.amdhsa_system_sgpr_workgroup_id_x 1
		.amdhsa_system_sgpr_workgroup_id_y 0
		.amdhsa_system_sgpr_workgroup_id_z 0
		.amdhsa_system_sgpr_workgroup_info 0
		.amdhsa_system_vgpr_workitem_id 0
		.amdhsa_next_free_vgpr 122
		.amdhsa_next_free_sgpr 26
		.amdhsa_reserve_vcc 1
		.amdhsa_float_round_mode_32 0
		.amdhsa_float_round_mode_16_64 0
		.amdhsa_float_denorm_mode_32 3
		.amdhsa_float_denorm_mode_16_64 3
		.amdhsa_dx10_clamp 1
		.amdhsa_ieee_mode 1
		.amdhsa_fp16_overflow 0
		.amdhsa_workgroup_processor_mode 1
		.amdhsa_memory_ordered 1
		.amdhsa_forward_progress 0
		.amdhsa_shared_vgpr_count 0
		.amdhsa_exception_fp_ieee_invalid_op 0
		.amdhsa_exception_fp_denorm_src 0
		.amdhsa_exception_fp_ieee_div_zero 0
		.amdhsa_exception_fp_ieee_overflow 0
		.amdhsa_exception_fp_ieee_underflow 0
		.amdhsa_exception_fp_ieee_inexact 0
		.amdhsa_exception_int_div_zero 0
	.end_amdhsa_kernel
	.section	.text._ZN7rocprim17ROCPRIM_400000_NS6detail17trampoline_kernelINS0_14default_configENS1_35adjacent_difference_config_selectorILb1ElEEZNS1_24adjacent_difference_implIS3_Lb1ELb0EPlS7_N6thrust23THRUST_200600_302600_NS5minusIlEEEE10hipError_tPvRmT2_T3_mT4_P12ihipStream_tbEUlT_E_NS1_11comp_targetILNS1_3genE9ELNS1_11target_archE1100ELNS1_3gpuE3ELNS1_3repE0EEENS1_30default_config_static_selectorELNS0_4arch9wavefront6targetE0EEEvT1_,"axG",@progbits,_ZN7rocprim17ROCPRIM_400000_NS6detail17trampoline_kernelINS0_14default_configENS1_35adjacent_difference_config_selectorILb1ElEEZNS1_24adjacent_difference_implIS3_Lb1ELb0EPlS7_N6thrust23THRUST_200600_302600_NS5minusIlEEEE10hipError_tPvRmT2_T3_mT4_P12ihipStream_tbEUlT_E_NS1_11comp_targetILNS1_3genE9ELNS1_11target_archE1100ELNS1_3gpuE3ELNS1_3repE0EEENS1_30default_config_static_selectorELNS0_4arch9wavefront6targetE0EEEvT1_,comdat
.Lfunc_end259:
	.size	_ZN7rocprim17ROCPRIM_400000_NS6detail17trampoline_kernelINS0_14default_configENS1_35adjacent_difference_config_selectorILb1ElEEZNS1_24adjacent_difference_implIS3_Lb1ELb0EPlS7_N6thrust23THRUST_200600_302600_NS5minusIlEEEE10hipError_tPvRmT2_T3_mT4_P12ihipStream_tbEUlT_E_NS1_11comp_targetILNS1_3genE9ELNS1_11target_archE1100ELNS1_3gpuE3ELNS1_3repE0EEENS1_30default_config_static_selectorELNS0_4arch9wavefront6targetE0EEEvT1_, .Lfunc_end259-_ZN7rocprim17ROCPRIM_400000_NS6detail17trampoline_kernelINS0_14default_configENS1_35adjacent_difference_config_selectorILb1ElEEZNS1_24adjacent_difference_implIS3_Lb1ELb0EPlS7_N6thrust23THRUST_200600_302600_NS5minusIlEEEE10hipError_tPvRmT2_T3_mT4_P12ihipStream_tbEUlT_E_NS1_11comp_targetILNS1_3genE9ELNS1_11target_archE1100ELNS1_3gpuE3ELNS1_3repE0EEENS1_30default_config_static_selectorELNS0_4arch9wavefront6targetE0EEEvT1_
                                        ; -- End function
	.section	.AMDGPU.csdata,"",@progbits
; Kernel info:
; codeLenInByte = 8248
; NumSgprs: 28
; NumVgprs: 122
; ScratchSize: 0
; MemoryBound: 0
; FloatMode: 240
; IeeeMode: 1
; LDSByteSize: 29696 bytes/workgroup (compile time only)
; SGPRBlocks: 3
; VGPRBlocks: 15
; NumSGPRsForWavesPerEU: 28
; NumVGPRsForWavesPerEU: 122
; Occupancy: 4
; WaveLimiterHint : 1
; COMPUTE_PGM_RSRC2:SCRATCH_EN: 0
; COMPUTE_PGM_RSRC2:USER_SGPR: 15
; COMPUTE_PGM_RSRC2:TRAP_HANDLER: 0
; COMPUTE_PGM_RSRC2:TGID_X_EN: 1
; COMPUTE_PGM_RSRC2:TGID_Y_EN: 0
; COMPUTE_PGM_RSRC2:TGID_Z_EN: 0
; COMPUTE_PGM_RSRC2:TIDIG_COMP_CNT: 0
	.section	.text._ZN7rocprim17ROCPRIM_400000_NS6detail17trampoline_kernelINS0_14default_configENS1_35adjacent_difference_config_selectorILb1ElEEZNS1_24adjacent_difference_implIS3_Lb1ELb0EPlS7_N6thrust23THRUST_200600_302600_NS5minusIlEEEE10hipError_tPvRmT2_T3_mT4_P12ihipStream_tbEUlT_E_NS1_11comp_targetILNS1_3genE8ELNS1_11target_archE1030ELNS1_3gpuE2ELNS1_3repE0EEENS1_30default_config_static_selectorELNS0_4arch9wavefront6targetE0EEEvT1_,"axG",@progbits,_ZN7rocprim17ROCPRIM_400000_NS6detail17trampoline_kernelINS0_14default_configENS1_35adjacent_difference_config_selectorILb1ElEEZNS1_24adjacent_difference_implIS3_Lb1ELb0EPlS7_N6thrust23THRUST_200600_302600_NS5minusIlEEEE10hipError_tPvRmT2_T3_mT4_P12ihipStream_tbEUlT_E_NS1_11comp_targetILNS1_3genE8ELNS1_11target_archE1030ELNS1_3gpuE2ELNS1_3repE0EEENS1_30default_config_static_selectorELNS0_4arch9wavefront6targetE0EEEvT1_,comdat
	.protected	_ZN7rocprim17ROCPRIM_400000_NS6detail17trampoline_kernelINS0_14default_configENS1_35adjacent_difference_config_selectorILb1ElEEZNS1_24adjacent_difference_implIS3_Lb1ELb0EPlS7_N6thrust23THRUST_200600_302600_NS5minusIlEEEE10hipError_tPvRmT2_T3_mT4_P12ihipStream_tbEUlT_E_NS1_11comp_targetILNS1_3genE8ELNS1_11target_archE1030ELNS1_3gpuE2ELNS1_3repE0EEENS1_30default_config_static_selectorELNS0_4arch9wavefront6targetE0EEEvT1_ ; -- Begin function _ZN7rocprim17ROCPRIM_400000_NS6detail17trampoline_kernelINS0_14default_configENS1_35adjacent_difference_config_selectorILb1ElEEZNS1_24adjacent_difference_implIS3_Lb1ELb0EPlS7_N6thrust23THRUST_200600_302600_NS5minusIlEEEE10hipError_tPvRmT2_T3_mT4_P12ihipStream_tbEUlT_E_NS1_11comp_targetILNS1_3genE8ELNS1_11target_archE1030ELNS1_3gpuE2ELNS1_3repE0EEENS1_30default_config_static_selectorELNS0_4arch9wavefront6targetE0EEEvT1_
	.globl	_ZN7rocprim17ROCPRIM_400000_NS6detail17trampoline_kernelINS0_14default_configENS1_35adjacent_difference_config_selectorILb1ElEEZNS1_24adjacent_difference_implIS3_Lb1ELb0EPlS7_N6thrust23THRUST_200600_302600_NS5minusIlEEEE10hipError_tPvRmT2_T3_mT4_P12ihipStream_tbEUlT_E_NS1_11comp_targetILNS1_3genE8ELNS1_11target_archE1030ELNS1_3gpuE2ELNS1_3repE0EEENS1_30default_config_static_selectorELNS0_4arch9wavefront6targetE0EEEvT1_
	.p2align	8
	.type	_ZN7rocprim17ROCPRIM_400000_NS6detail17trampoline_kernelINS0_14default_configENS1_35adjacent_difference_config_selectorILb1ElEEZNS1_24adjacent_difference_implIS3_Lb1ELb0EPlS7_N6thrust23THRUST_200600_302600_NS5minusIlEEEE10hipError_tPvRmT2_T3_mT4_P12ihipStream_tbEUlT_E_NS1_11comp_targetILNS1_3genE8ELNS1_11target_archE1030ELNS1_3gpuE2ELNS1_3repE0EEENS1_30default_config_static_selectorELNS0_4arch9wavefront6targetE0EEEvT1_,@function
_ZN7rocprim17ROCPRIM_400000_NS6detail17trampoline_kernelINS0_14default_configENS1_35adjacent_difference_config_selectorILb1ElEEZNS1_24adjacent_difference_implIS3_Lb1ELb0EPlS7_N6thrust23THRUST_200600_302600_NS5minusIlEEEE10hipError_tPvRmT2_T3_mT4_P12ihipStream_tbEUlT_E_NS1_11comp_targetILNS1_3genE8ELNS1_11target_archE1030ELNS1_3gpuE2ELNS1_3repE0EEENS1_30default_config_static_selectorELNS0_4arch9wavefront6targetE0EEEvT1_: ; @_ZN7rocprim17ROCPRIM_400000_NS6detail17trampoline_kernelINS0_14default_configENS1_35adjacent_difference_config_selectorILb1ElEEZNS1_24adjacent_difference_implIS3_Lb1ELb0EPlS7_N6thrust23THRUST_200600_302600_NS5minusIlEEEE10hipError_tPvRmT2_T3_mT4_P12ihipStream_tbEUlT_E_NS1_11comp_targetILNS1_3genE8ELNS1_11target_archE1030ELNS1_3gpuE2ELNS1_3repE0EEENS1_30default_config_static_selectorELNS0_4arch9wavefront6targetE0EEEvT1_
; %bb.0:
	.section	.rodata,"a",@progbits
	.p2align	6, 0x0
	.amdhsa_kernel _ZN7rocprim17ROCPRIM_400000_NS6detail17trampoline_kernelINS0_14default_configENS1_35adjacent_difference_config_selectorILb1ElEEZNS1_24adjacent_difference_implIS3_Lb1ELb0EPlS7_N6thrust23THRUST_200600_302600_NS5minusIlEEEE10hipError_tPvRmT2_T3_mT4_P12ihipStream_tbEUlT_E_NS1_11comp_targetILNS1_3genE8ELNS1_11target_archE1030ELNS1_3gpuE2ELNS1_3repE0EEENS1_30default_config_static_selectorELNS0_4arch9wavefront6targetE0EEEvT1_
		.amdhsa_group_segment_fixed_size 0
		.amdhsa_private_segment_fixed_size 0
		.amdhsa_kernarg_size 56
		.amdhsa_user_sgpr_count 15
		.amdhsa_user_sgpr_dispatch_ptr 0
		.amdhsa_user_sgpr_queue_ptr 0
		.amdhsa_user_sgpr_kernarg_segment_ptr 1
		.amdhsa_user_sgpr_dispatch_id 0
		.amdhsa_user_sgpr_private_segment_size 0
		.amdhsa_wavefront_size32 1
		.amdhsa_uses_dynamic_stack 0
		.amdhsa_enable_private_segment 0
		.amdhsa_system_sgpr_workgroup_id_x 1
		.amdhsa_system_sgpr_workgroup_id_y 0
		.amdhsa_system_sgpr_workgroup_id_z 0
		.amdhsa_system_sgpr_workgroup_info 0
		.amdhsa_system_vgpr_workitem_id 0
		.amdhsa_next_free_vgpr 1
		.amdhsa_next_free_sgpr 1
		.amdhsa_reserve_vcc 0
		.amdhsa_float_round_mode_32 0
		.amdhsa_float_round_mode_16_64 0
		.amdhsa_float_denorm_mode_32 3
		.amdhsa_float_denorm_mode_16_64 3
		.amdhsa_dx10_clamp 1
		.amdhsa_ieee_mode 1
		.amdhsa_fp16_overflow 0
		.amdhsa_workgroup_processor_mode 1
		.amdhsa_memory_ordered 1
		.amdhsa_forward_progress 0
		.amdhsa_shared_vgpr_count 0
		.amdhsa_exception_fp_ieee_invalid_op 0
		.amdhsa_exception_fp_denorm_src 0
		.amdhsa_exception_fp_ieee_div_zero 0
		.amdhsa_exception_fp_ieee_overflow 0
		.amdhsa_exception_fp_ieee_underflow 0
		.amdhsa_exception_fp_ieee_inexact 0
		.amdhsa_exception_int_div_zero 0
	.end_amdhsa_kernel
	.section	.text._ZN7rocprim17ROCPRIM_400000_NS6detail17trampoline_kernelINS0_14default_configENS1_35adjacent_difference_config_selectorILb1ElEEZNS1_24adjacent_difference_implIS3_Lb1ELb0EPlS7_N6thrust23THRUST_200600_302600_NS5minusIlEEEE10hipError_tPvRmT2_T3_mT4_P12ihipStream_tbEUlT_E_NS1_11comp_targetILNS1_3genE8ELNS1_11target_archE1030ELNS1_3gpuE2ELNS1_3repE0EEENS1_30default_config_static_selectorELNS0_4arch9wavefront6targetE0EEEvT1_,"axG",@progbits,_ZN7rocprim17ROCPRIM_400000_NS6detail17trampoline_kernelINS0_14default_configENS1_35adjacent_difference_config_selectorILb1ElEEZNS1_24adjacent_difference_implIS3_Lb1ELb0EPlS7_N6thrust23THRUST_200600_302600_NS5minusIlEEEE10hipError_tPvRmT2_T3_mT4_P12ihipStream_tbEUlT_E_NS1_11comp_targetILNS1_3genE8ELNS1_11target_archE1030ELNS1_3gpuE2ELNS1_3repE0EEENS1_30default_config_static_selectorELNS0_4arch9wavefront6targetE0EEEvT1_,comdat
.Lfunc_end260:
	.size	_ZN7rocprim17ROCPRIM_400000_NS6detail17trampoline_kernelINS0_14default_configENS1_35adjacent_difference_config_selectorILb1ElEEZNS1_24adjacent_difference_implIS3_Lb1ELb0EPlS7_N6thrust23THRUST_200600_302600_NS5minusIlEEEE10hipError_tPvRmT2_T3_mT4_P12ihipStream_tbEUlT_E_NS1_11comp_targetILNS1_3genE8ELNS1_11target_archE1030ELNS1_3gpuE2ELNS1_3repE0EEENS1_30default_config_static_selectorELNS0_4arch9wavefront6targetE0EEEvT1_, .Lfunc_end260-_ZN7rocprim17ROCPRIM_400000_NS6detail17trampoline_kernelINS0_14default_configENS1_35adjacent_difference_config_selectorILb1ElEEZNS1_24adjacent_difference_implIS3_Lb1ELb0EPlS7_N6thrust23THRUST_200600_302600_NS5minusIlEEEE10hipError_tPvRmT2_T3_mT4_P12ihipStream_tbEUlT_E_NS1_11comp_targetILNS1_3genE8ELNS1_11target_archE1030ELNS1_3gpuE2ELNS1_3repE0EEENS1_30default_config_static_selectorELNS0_4arch9wavefront6targetE0EEEvT1_
                                        ; -- End function
	.section	.AMDGPU.csdata,"",@progbits
; Kernel info:
; codeLenInByte = 0
; NumSgprs: 0
; NumVgprs: 0
; ScratchSize: 0
; MemoryBound: 0
; FloatMode: 240
; IeeeMode: 1
; LDSByteSize: 0 bytes/workgroup (compile time only)
; SGPRBlocks: 0
; VGPRBlocks: 0
; NumSGPRsForWavesPerEU: 1
; NumVGPRsForWavesPerEU: 1
; Occupancy: 16
; WaveLimiterHint : 0
; COMPUTE_PGM_RSRC2:SCRATCH_EN: 0
; COMPUTE_PGM_RSRC2:USER_SGPR: 15
; COMPUTE_PGM_RSRC2:TRAP_HANDLER: 0
; COMPUTE_PGM_RSRC2:TGID_X_EN: 1
; COMPUTE_PGM_RSRC2:TGID_Y_EN: 0
; COMPUTE_PGM_RSRC2:TGID_Z_EN: 0
; COMPUTE_PGM_RSRC2:TIDIG_COMP_CNT: 0
	.section	.text._ZN7rocprim17ROCPRIM_400000_NS6detail17trampoline_kernelINS0_14default_configENS1_37merge_sort_block_sort_config_selectorIlNS0_10empty_typeEEEZNS1_21merge_sort_block_sortIS3_PlS8_PS5_S9_ZN2at6native12_GLOBAL__N_124unique_dim_cuda_templateIaEESt5tupleIJNSA_6TensorESF_SF_EERKSF_lbbbEUlllE_EE10hipError_tT0_T1_T2_T3_mRjT4_P12ihipStream_tbNS1_7vsmem_tEEUlT_E_NS1_11comp_targetILNS1_3genE0ELNS1_11target_archE4294967295ELNS1_3gpuE0ELNS1_3repE0EEENS1_30default_config_static_selectorELNS0_4arch9wavefront6targetE0EEEvSM_,"axG",@progbits,_ZN7rocprim17ROCPRIM_400000_NS6detail17trampoline_kernelINS0_14default_configENS1_37merge_sort_block_sort_config_selectorIlNS0_10empty_typeEEEZNS1_21merge_sort_block_sortIS3_PlS8_PS5_S9_ZN2at6native12_GLOBAL__N_124unique_dim_cuda_templateIaEESt5tupleIJNSA_6TensorESF_SF_EERKSF_lbbbEUlllE_EE10hipError_tT0_T1_T2_T3_mRjT4_P12ihipStream_tbNS1_7vsmem_tEEUlT_E_NS1_11comp_targetILNS1_3genE0ELNS1_11target_archE4294967295ELNS1_3gpuE0ELNS1_3repE0EEENS1_30default_config_static_selectorELNS0_4arch9wavefront6targetE0EEEvSM_,comdat
	.globl	_ZN7rocprim17ROCPRIM_400000_NS6detail17trampoline_kernelINS0_14default_configENS1_37merge_sort_block_sort_config_selectorIlNS0_10empty_typeEEEZNS1_21merge_sort_block_sortIS3_PlS8_PS5_S9_ZN2at6native12_GLOBAL__N_124unique_dim_cuda_templateIaEESt5tupleIJNSA_6TensorESF_SF_EERKSF_lbbbEUlllE_EE10hipError_tT0_T1_T2_T3_mRjT4_P12ihipStream_tbNS1_7vsmem_tEEUlT_E_NS1_11comp_targetILNS1_3genE0ELNS1_11target_archE4294967295ELNS1_3gpuE0ELNS1_3repE0EEENS1_30default_config_static_selectorELNS0_4arch9wavefront6targetE0EEEvSM_ ; -- Begin function _ZN7rocprim17ROCPRIM_400000_NS6detail17trampoline_kernelINS0_14default_configENS1_37merge_sort_block_sort_config_selectorIlNS0_10empty_typeEEEZNS1_21merge_sort_block_sortIS3_PlS8_PS5_S9_ZN2at6native12_GLOBAL__N_124unique_dim_cuda_templateIaEESt5tupleIJNSA_6TensorESF_SF_EERKSF_lbbbEUlllE_EE10hipError_tT0_T1_T2_T3_mRjT4_P12ihipStream_tbNS1_7vsmem_tEEUlT_E_NS1_11comp_targetILNS1_3genE0ELNS1_11target_archE4294967295ELNS1_3gpuE0ELNS1_3repE0EEENS1_30default_config_static_selectorELNS0_4arch9wavefront6targetE0EEEvSM_
	.p2align	8
	.type	_ZN7rocprim17ROCPRIM_400000_NS6detail17trampoline_kernelINS0_14default_configENS1_37merge_sort_block_sort_config_selectorIlNS0_10empty_typeEEEZNS1_21merge_sort_block_sortIS3_PlS8_PS5_S9_ZN2at6native12_GLOBAL__N_124unique_dim_cuda_templateIaEESt5tupleIJNSA_6TensorESF_SF_EERKSF_lbbbEUlllE_EE10hipError_tT0_T1_T2_T3_mRjT4_P12ihipStream_tbNS1_7vsmem_tEEUlT_E_NS1_11comp_targetILNS1_3genE0ELNS1_11target_archE4294967295ELNS1_3gpuE0ELNS1_3repE0EEENS1_30default_config_static_selectorELNS0_4arch9wavefront6targetE0EEEvSM_,@function
_ZN7rocprim17ROCPRIM_400000_NS6detail17trampoline_kernelINS0_14default_configENS1_37merge_sort_block_sort_config_selectorIlNS0_10empty_typeEEEZNS1_21merge_sort_block_sortIS3_PlS8_PS5_S9_ZN2at6native12_GLOBAL__N_124unique_dim_cuda_templateIaEESt5tupleIJNSA_6TensorESF_SF_EERKSF_lbbbEUlllE_EE10hipError_tT0_T1_T2_T3_mRjT4_P12ihipStream_tbNS1_7vsmem_tEEUlT_E_NS1_11comp_targetILNS1_3genE0ELNS1_11target_archE4294967295ELNS1_3gpuE0ELNS1_3repE0EEENS1_30default_config_static_selectorELNS0_4arch9wavefront6targetE0EEEvSM_: ; @_ZN7rocprim17ROCPRIM_400000_NS6detail17trampoline_kernelINS0_14default_configENS1_37merge_sort_block_sort_config_selectorIlNS0_10empty_typeEEEZNS1_21merge_sort_block_sortIS3_PlS8_PS5_S9_ZN2at6native12_GLOBAL__N_124unique_dim_cuda_templateIaEESt5tupleIJNSA_6TensorESF_SF_EERKSF_lbbbEUlllE_EE10hipError_tT0_T1_T2_T3_mRjT4_P12ihipStream_tbNS1_7vsmem_tEEUlT_E_NS1_11comp_targetILNS1_3genE0ELNS1_11target_archE4294967295ELNS1_3gpuE0ELNS1_3repE0EEENS1_30default_config_static_selectorELNS0_4arch9wavefront6targetE0EEEvSM_
; %bb.0:
	.section	.rodata,"a",@progbits
	.p2align	6, 0x0
	.amdhsa_kernel _ZN7rocprim17ROCPRIM_400000_NS6detail17trampoline_kernelINS0_14default_configENS1_37merge_sort_block_sort_config_selectorIlNS0_10empty_typeEEEZNS1_21merge_sort_block_sortIS3_PlS8_PS5_S9_ZN2at6native12_GLOBAL__N_124unique_dim_cuda_templateIaEESt5tupleIJNSA_6TensorESF_SF_EERKSF_lbbbEUlllE_EE10hipError_tT0_T1_T2_T3_mRjT4_P12ihipStream_tbNS1_7vsmem_tEEUlT_E_NS1_11comp_targetILNS1_3genE0ELNS1_11target_archE4294967295ELNS1_3gpuE0ELNS1_3repE0EEENS1_30default_config_static_selectorELNS0_4arch9wavefront6targetE0EEEvSM_
		.amdhsa_group_segment_fixed_size 0
		.amdhsa_private_segment_fixed_size 0
		.amdhsa_kernarg_size 72
		.amdhsa_user_sgpr_count 15
		.amdhsa_user_sgpr_dispatch_ptr 0
		.amdhsa_user_sgpr_queue_ptr 0
		.amdhsa_user_sgpr_kernarg_segment_ptr 1
		.amdhsa_user_sgpr_dispatch_id 0
		.amdhsa_user_sgpr_private_segment_size 0
		.amdhsa_wavefront_size32 1
		.amdhsa_uses_dynamic_stack 0
		.amdhsa_enable_private_segment 0
		.amdhsa_system_sgpr_workgroup_id_x 1
		.amdhsa_system_sgpr_workgroup_id_y 0
		.amdhsa_system_sgpr_workgroup_id_z 0
		.amdhsa_system_sgpr_workgroup_info 0
		.amdhsa_system_vgpr_workitem_id 0
		.amdhsa_next_free_vgpr 1
		.amdhsa_next_free_sgpr 1
		.amdhsa_reserve_vcc 0
		.amdhsa_float_round_mode_32 0
		.amdhsa_float_round_mode_16_64 0
		.amdhsa_float_denorm_mode_32 3
		.amdhsa_float_denorm_mode_16_64 3
		.amdhsa_dx10_clamp 1
		.amdhsa_ieee_mode 1
		.amdhsa_fp16_overflow 0
		.amdhsa_workgroup_processor_mode 1
		.amdhsa_memory_ordered 1
		.amdhsa_forward_progress 0
		.amdhsa_shared_vgpr_count 0
		.amdhsa_exception_fp_ieee_invalid_op 0
		.amdhsa_exception_fp_denorm_src 0
		.amdhsa_exception_fp_ieee_div_zero 0
		.amdhsa_exception_fp_ieee_overflow 0
		.amdhsa_exception_fp_ieee_underflow 0
		.amdhsa_exception_fp_ieee_inexact 0
		.amdhsa_exception_int_div_zero 0
	.end_amdhsa_kernel
	.section	.text._ZN7rocprim17ROCPRIM_400000_NS6detail17trampoline_kernelINS0_14default_configENS1_37merge_sort_block_sort_config_selectorIlNS0_10empty_typeEEEZNS1_21merge_sort_block_sortIS3_PlS8_PS5_S9_ZN2at6native12_GLOBAL__N_124unique_dim_cuda_templateIaEESt5tupleIJNSA_6TensorESF_SF_EERKSF_lbbbEUlllE_EE10hipError_tT0_T1_T2_T3_mRjT4_P12ihipStream_tbNS1_7vsmem_tEEUlT_E_NS1_11comp_targetILNS1_3genE0ELNS1_11target_archE4294967295ELNS1_3gpuE0ELNS1_3repE0EEENS1_30default_config_static_selectorELNS0_4arch9wavefront6targetE0EEEvSM_,"axG",@progbits,_ZN7rocprim17ROCPRIM_400000_NS6detail17trampoline_kernelINS0_14default_configENS1_37merge_sort_block_sort_config_selectorIlNS0_10empty_typeEEEZNS1_21merge_sort_block_sortIS3_PlS8_PS5_S9_ZN2at6native12_GLOBAL__N_124unique_dim_cuda_templateIaEESt5tupleIJNSA_6TensorESF_SF_EERKSF_lbbbEUlllE_EE10hipError_tT0_T1_T2_T3_mRjT4_P12ihipStream_tbNS1_7vsmem_tEEUlT_E_NS1_11comp_targetILNS1_3genE0ELNS1_11target_archE4294967295ELNS1_3gpuE0ELNS1_3repE0EEENS1_30default_config_static_selectorELNS0_4arch9wavefront6targetE0EEEvSM_,comdat
.Lfunc_end261:
	.size	_ZN7rocprim17ROCPRIM_400000_NS6detail17trampoline_kernelINS0_14default_configENS1_37merge_sort_block_sort_config_selectorIlNS0_10empty_typeEEEZNS1_21merge_sort_block_sortIS3_PlS8_PS5_S9_ZN2at6native12_GLOBAL__N_124unique_dim_cuda_templateIaEESt5tupleIJNSA_6TensorESF_SF_EERKSF_lbbbEUlllE_EE10hipError_tT0_T1_T2_T3_mRjT4_P12ihipStream_tbNS1_7vsmem_tEEUlT_E_NS1_11comp_targetILNS1_3genE0ELNS1_11target_archE4294967295ELNS1_3gpuE0ELNS1_3repE0EEENS1_30default_config_static_selectorELNS0_4arch9wavefront6targetE0EEEvSM_, .Lfunc_end261-_ZN7rocprim17ROCPRIM_400000_NS6detail17trampoline_kernelINS0_14default_configENS1_37merge_sort_block_sort_config_selectorIlNS0_10empty_typeEEEZNS1_21merge_sort_block_sortIS3_PlS8_PS5_S9_ZN2at6native12_GLOBAL__N_124unique_dim_cuda_templateIaEESt5tupleIJNSA_6TensorESF_SF_EERKSF_lbbbEUlllE_EE10hipError_tT0_T1_T2_T3_mRjT4_P12ihipStream_tbNS1_7vsmem_tEEUlT_E_NS1_11comp_targetILNS1_3genE0ELNS1_11target_archE4294967295ELNS1_3gpuE0ELNS1_3repE0EEENS1_30default_config_static_selectorELNS0_4arch9wavefront6targetE0EEEvSM_
                                        ; -- End function
	.section	.AMDGPU.csdata,"",@progbits
; Kernel info:
; codeLenInByte = 0
; NumSgprs: 0
; NumVgprs: 0
; ScratchSize: 0
; MemoryBound: 0
; FloatMode: 240
; IeeeMode: 1
; LDSByteSize: 0 bytes/workgroup (compile time only)
; SGPRBlocks: 0
; VGPRBlocks: 0
; NumSGPRsForWavesPerEU: 1
; NumVGPRsForWavesPerEU: 1
; Occupancy: 16
; WaveLimiterHint : 0
; COMPUTE_PGM_RSRC2:SCRATCH_EN: 0
; COMPUTE_PGM_RSRC2:USER_SGPR: 15
; COMPUTE_PGM_RSRC2:TRAP_HANDLER: 0
; COMPUTE_PGM_RSRC2:TGID_X_EN: 1
; COMPUTE_PGM_RSRC2:TGID_Y_EN: 0
; COMPUTE_PGM_RSRC2:TGID_Z_EN: 0
; COMPUTE_PGM_RSRC2:TIDIG_COMP_CNT: 0
	.section	.text._ZN7rocprim17ROCPRIM_400000_NS6detail17trampoline_kernelINS0_14default_configENS1_37merge_sort_block_sort_config_selectorIlNS0_10empty_typeEEEZNS1_21merge_sort_block_sortIS3_PlS8_PS5_S9_ZN2at6native12_GLOBAL__N_124unique_dim_cuda_templateIaEESt5tupleIJNSA_6TensorESF_SF_EERKSF_lbbbEUlllE_EE10hipError_tT0_T1_T2_T3_mRjT4_P12ihipStream_tbNS1_7vsmem_tEEUlT_E_NS1_11comp_targetILNS1_3genE5ELNS1_11target_archE942ELNS1_3gpuE9ELNS1_3repE0EEENS1_30default_config_static_selectorELNS0_4arch9wavefront6targetE0EEEvSM_,"axG",@progbits,_ZN7rocprim17ROCPRIM_400000_NS6detail17trampoline_kernelINS0_14default_configENS1_37merge_sort_block_sort_config_selectorIlNS0_10empty_typeEEEZNS1_21merge_sort_block_sortIS3_PlS8_PS5_S9_ZN2at6native12_GLOBAL__N_124unique_dim_cuda_templateIaEESt5tupleIJNSA_6TensorESF_SF_EERKSF_lbbbEUlllE_EE10hipError_tT0_T1_T2_T3_mRjT4_P12ihipStream_tbNS1_7vsmem_tEEUlT_E_NS1_11comp_targetILNS1_3genE5ELNS1_11target_archE942ELNS1_3gpuE9ELNS1_3repE0EEENS1_30default_config_static_selectorELNS0_4arch9wavefront6targetE0EEEvSM_,comdat
	.globl	_ZN7rocprim17ROCPRIM_400000_NS6detail17trampoline_kernelINS0_14default_configENS1_37merge_sort_block_sort_config_selectorIlNS0_10empty_typeEEEZNS1_21merge_sort_block_sortIS3_PlS8_PS5_S9_ZN2at6native12_GLOBAL__N_124unique_dim_cuda_templateIaEESt5tupleIJNSA_6TensorESF_SF_EERKSF_lbbbEUlllE_EE10hipError_tT0_T1_T2_T3_mRjT4_P12ihipStream_tbNS1_7vsmem_tEEUlT_E_NS1_11comp_targetILNS1_3genE5ELNS1_11target_archE942ELNS1_3gpuE9ELNS1_3repE0EEENS1_30default_config_static_selectorELNS0_4arch9wavefront6targetE0EEEvSM_ ; -- Begin function _ZN7rocprim17ROCPRIM_400000_NS6detail17trampoline_kernelINS0_14default_configENS1_37merge_sort_block_sort_config_selectorIlNS0_10empty_typeEEEZNS1_21merge_sort_block_sortIS3_PlS8_PS5_S9_ZN2at6native12_GLOBAL__N_124unique_dim_cuda_templateIaEESt5tupleIJNSA_6TensorESF_SF_EERKSF_lbbbEUlllE_EE10hipError_tT0_T1_T2_T3_mRjT4_P12ihipStream_tbNS1_7vsmem_tEEUlT_E_NS1_11comp_targetILNS1_3genE5ELNS1_11target_archE942ELNS1_3gpuE9ELNS1_3repE0EEENS1_30default_config_static_selectorELNS0_4arch9wavefront6targetE0EEEvSM_
	.p2align	8
	.type	_ZN7rocprim17ROCPRIM_400000_NS6detail17trampoline_kernelINS0_14default_configENS1_37merge_sort_block_sort_config_selectorIlNS0_10empty_typeEEEZNS1_21merge_sort_block_sortIS3_PlS8_PS5_S9_ZN2at6native12_GLOBAL__N_124unique_dim_cuda_templateIaEESt5tupleIJNSA_6TensorESF_SF_EERKSF_lbbbEUlllE_EE10hipError_tT0_T1_T2_T3_mRjT4_P12ihipStream_tbNS1_7vsmem_tEEUlT_E_NS1_11comp_targetILNS1_3genE5ELNS1_11target_archE942ELNS1_3gpuE9ELNS1_3repE0EEENS1_30default_config_static_selectorELNS0_4arch9wavefront6targetE0EEEvSM_,@function
_ZN7rocprim17ROCPRIM_400000_NS6detail17trampoline_kernelINS0_14default_configENS1_37merge_sort_block_sort_config_selectorIlNS0_10empty_typeEEEZNS1_21merge_sort_block_sortIS3_PlS8_PS5_S9_ZN2at6native12_GLOBAL__N_124unique_dim_cuda_templateIaEESt5tupleIJNSA_6TensorESF_SF_EERKSF_lbbbEUlllE_EE10hipError_tT0_T1_T2_T3_mRjT4_P12ihipStream_tbNS1_7vsmem_tEEUlT_E_NS1_11comp_targetILNS1_3genE5ELNS1_11target_archE942ELNS1_3gpuE9ELNS1_3repE0EEENS1_30default_config_static_selectorELNS0_4arch9wavefront6targetE0EEEvSM_: ; @_ZN7rocprim17ROCPRIM_400000_NS6detail17trampoline_kernelINS0_14default_configENS1_37merge_sort_block_sort_config_selectorIlNS0_10empty_typeEEEZNS1_21merge_sort_block_sortIS3_PlS8_PS5_S9_ZN2at6native12_GLOBAL__N_124unique_dim_cuda_templateIaEESt5tupleIJNSA_6TensorESF_SF_EERKSF_lbbbEUlllE_EE10hipError_tT0_T1_T2_T3_mRjT4_P12ihipStream_tbNS1_7vsmem_tEEUlT_E_NS1_11comp_targetILNS1_3genE5ELNS1_11target_archE942ELNS1_3gpuE9ELNS1_3repE0EEENS1_30default_config_static_selectorELNS0_4arch9wavefront6targetE0EEEvSM_
; %bb.0:
	.section	.rodata,"a",@progbits
	.p2align	6, 0x0
	.amdhsa_kernel _ZN7rocprim17ROCPRIM_400000_NS6detail17trampoline_kernelINS0_14default_configENS1_37merge_sort_block_sort_config_selectorIlNS0_10empty_typeEEEZNS1_21merge_sort_block_sortIS3_PlS8_PS5_S9_ZN2at6native12_GLOBAL__N_124unique_dim_cuda_templateIaEESt5tupleIJNSA_6TensorESF_SF_EERKSF_lbbbEUlllE_EE10hipError_tT0_T1_T2_T3_mRjT4_P12ihipStream_tbNS1_7vsmem_tEEUlT_E_NS1_11comp_targetILNS1_3genE5ELNS1_11target_archE942ELNS1_3gpuE9ELNS1_3repE0EEENS1_30default_config_static_selectorELNS0_4arch9wavefront6targetE0EEEvSM_
		.amdhsa_group_segment_fixed_size 0
		.amdhsa_private_segment_fixed_size 0
		.amdhsa_kernarg_size 72
		.amdhsa_user_sgpr_count 15
		.amdhsa_user_sgpr_dispatch_ptr 0
		.amdhsa_user_sgpr_queue_ptr 0
		.amdhsa_user_sgpr_kernarg_segment_ptr 1
		.amdhsa_user_sgpr_dispatch_id 0
		.amdhsa_user_sgpr_private_segment_size 0
		.amdhsa_wavefront_size32 1
		.amdhsa_uses_dynamic_stack 0
		.amdhsa_enable_private_segment 0
		.amdhsa_system_sgpr_workgroup_id_x 1
		.amdhsa_system_sgpr_workgroup_id_y 0
		.amdhsa_system_sgpr_workgroup_id_z 0
		.amdhsa_system_sgpr_workgroup_info 0
		.amdhsa_system_vgpr_workitem_id 0
		.amdhsa_next_free_vgpr 1
		.amdhsa_next_free_sgpr 1
		.amdhsa_reserve_vcc 0
		.amdhsa_float_round_mode_32 0
		.amdhsa_float_round_mode_16_64 0
		.amdhsa_float_denorm_mode_32 3
		.amdhsa_float_denorm_mode_16_64 3
		.amdhsa_dx10_clamp 1
		.amdhsa_ieee_mode 1
		.amdhsa_fp16_overflow 0
		.amdhsa_workgroup_processor_mode 1
		.amdhsa_memory_ordered 1
		.amdhsa_forward_progress 0
		.amdhsa_shared_vgpr_count 0
		.amdhsa_exception_fp_ieee_invalid_op 0
		.amdhsa_exception_fp_denorm_src 0
		.amdhsa_exception_fp_ieee_div_zero 0
		.amdhsa_exception_fp_ieee_overflow 0
		.amdhsa_exception_fp_ieee_underflow 0
		.amdhsa_exception_fp_ieee_inexact 0
		.amdhsa_exception_int_div_zero 0
	.end_amdhsa_kernel
	.section	.text._ZN7rocprim17ROCPRIM_400000_NS6detail17trampoline_kernelINS0_14default_configENS1_37merge_sort_block_sort_config_selectorIlNS0_10empty_typeEEEZNS1_21merge_sort_block_sortIS3_PlS8_PS5_S9_ZN2at6native12_GLOBAL__N_124unique_dim_cuda_templateIaEESt5tupleIJNSA_6TensorESF_SF_EERKSF_lbbbEUlllE_EE10hipError_tT0_T1_T2_T3_mRjT4_P12ihipStream_tbNS1_7vsmem_tEEUlT_E_NS1_11comp_targetILNS1_3genE5ELNS1_11target_archE942ELNS1_3gpuE9ELNS1_3repE0EEENS1_30default_config_static_selectorELNS0_4arch9wavefront6targetE0EEEvSM_,"axG",@progbits,_ZN7rocprim17ROCPRIM_400000_NS6detail17trampoline_kernelINS0_14default_configENS1_37merge_sort_block_sort_config_selectorIlNS0_10empty_typeEEEZNS1_21merge_sort_block_sortIS3_PlS8_PS5_S9_ZN2at6native12_GLOBAL__N_124unique_dim_cuda_templateIaEESt5tupleIJNSA_6TensorESF_SF_EERKSF_lbbbEUlllE_EE10hipError_tT0_T1_T2_T3_mRjT4_P12ihipStream_tbNS1_7vsmem_tEEUlT_E_NS1_11comp_targetILNS1_3genE5ELNS1_11target_archE942ELNS1_3gpuE9ELNS1_3repE0EEENS1_30default_config_static_selectorELNS0_4arch9wavefront6targetE0EEEvSM_,comdat
.Lfunc_end262:
	.size	_ZN7rocprim17ROCPRIM_400000_NS6detail17trampoline_kernelINS0_14default_configENS1_37merge_sort_block_sort_config_selectorIlNS0_10empty_typeEEEZNS1_21merge_sort_block_sortIS3_PlS8_PS5_S9_ZN2at6native12_GLOBAL__N_124unique_dim_cuda_templateIaEESt5tupleIJNSA_6TensorESF_SF_EERKSF_lbbbEUlllE_EE10hipError_tT0_T1_T2_T3_mRjT4_P12ihipStream_tbNS1_7vsmem_tEEUlT_E_NS1_11comp_targetILNS1_3genE5ELNS1_11target_archE942ELNS1_3gpuE9ELNS1_3repE0EEENS1_30default_config_static_selectorELNS0_4arch9wavefront6targetE0EEEvSM_, .Lfunc_end262-_ZN7rocprim17ROCPRIM_400000_NS6detail17trampoline_kernelINS0_14default_configENS1_37merge_sort_block_sort_config_selectorIlNS0_10empty_typeEEEZNS1_21merge_sort_block_sortIS3_PlS8_PS5_S9_ZN2at6native12_GLOBAL__N_124unique_dim_cuda_templateIaEESt5tupleIJNSA_6TensorESF_SF_EERKSF_lbbbEUlllE_EE10hipError_tT0_T1_T2_T3_mRjT4_P12ihipStream_tbNS1_7vsmem_tEEUlT_E_NS1_11comp_targetILNS1_3genE5ELNS1_11target_archE942ELNS1_3gpuE9ELNS1_3repE0EEENS1_30default_config_static_selectorELNS0_4arch9wavefront6targetE0EEEvSM_
                                        ; -- End function
	.section	.AMDGPU.csdata,"",@progbits
; Kernel info:
; codeLenInByte = 0
; NumSgprs: 0
; NumVgprs: 0
; ScratchSize: 0
; MemoryBound: 0
; FloatMode: 240
; IeeeMode: 1
; LDSByteSize: 0 bytes/workgroup (compile time only)
; SGPRBlocks: 0
; VGPRBlocks: 0
; NumSGPRsForWavesPerEU: 1
; NumVGPRsForWavesPerEU: 1
; Occupancy: 16
; WaveLimiterHint : 0
; COMPUTE_PGM_RSRC2:SCRATCH_EN: 0
; COMPUTE_PGM_RSRC2:USER_SGPR: 15
; COMPUTE_PGM_RSRC2:TRAP_HANDLER: 0
; COMPUTE_PGM_RSRC2:TGID_X_EN: 1
; COMPUTE_PGM_RSRC2:TGID_Y_EN: 0
; COMPUTE_PGM_RSRC2:TGID_Z_EN: 0
; COMPUTE_PGM_RSRC2:TIDIG_COMP_CNT: 0
	.section	.text._ZN7rocprim17ROCPRIM_400000_NS6detail17trampoline_kernelINS0_14default_configENS1_37merge_sort_block_sort_config_selectorIlNS0_10empty_typeEEEZNS1_21merge_sort_block_sortIS3_PlS8_PS5_S9_ZN2at6native12_GLOBAL__N_124unique_dim_cuda_templateIaEESt5tupleIJNSA_6TensorESF_SF_EERKSF_lbbbEUlllE_EE10hipError_tT0_T1_T2_T3_mRjT4_P12ihipStream_tbNS1_7vsmem_tEEUlT_E_NS1_11comp_targetILNS1_3genE4ELNS1_11target_archE910ELNS1_3gpuE8ELNS1_3repE0EEENS1_30default_config_static_selectorELNS0_4arch9wavefront6targetE0EEEvSM_,"axG",@progbits,_ZN7rocprim17ROCPRIM_400000_NS6detail17trampoline_kernelINS0_14default_configENS1_37merge_sort_block_sort_config_selectorIlNS0_10empty_typeEEEZNS1_21merge_sort_block_sortIS3_PlS8_PS5_S9_ZN2at6native12_GLOBAL__N_124unique_dim_cuda_templateIaEESt5tupleIJNSA_6TensorESF_SF_EERKSF_lbbbEUlllE_EE10hipError_tT0_T1_T2_T3_mRjT4_P12ihipStream_tbNS1_7vsmem_tEEUlT_E_NS1_11comp_targetILNS1_3genE4ELNS1_11target_archE910ELNS1_3gpuE8ELNS1_3repE0EEENS1_30default_config_static_selectorELNS0_4arch9wavefront6targetE0EEEvSM_,comdat
	.globl	_ZN7rocprim17ROCPRIM_400000_NS6detail17trampoline_kernelINS0_14default_configENS1_37merge_sort_block_sort_config_selectorIlNS0_10empty_typeEEEZNS1_21merge_sort_block_sortIS3_PlS8_PS5_S9_ZN2at6native12_GLOBAL__N_124unique_dim_cuda_templateIaEESt5tupleIJNSA_6TensorESF_SF_EERKSF_lbbbEUlllE_EE10hipError_tT0_T1_T2_T3_mRjT4_P12ihipStream_tbNS1_7vsmem_tEEUlT_E_NS1_11comp_targetILNS1_3genE4ELNS1_11target_archE910ELNS1_3gpuE8ELNS1_3repE0EEENS1_30default_config_static_selectorELNS0_4arch9wavefront6targetE0EEEvSM_ ; -- Begin function _ZN7rocprim17ROCPRIM_400000_NS6detail17trampoline_kernelINS0_14default_configENS1_37merge_sort_block_sort_config_selectorIlNS0_10empty_typeEEEZNS1_21merge_sort_block_sortIS3_PlS8_PS5_S9_ZN2at6native12_GLOBAL__N_124unique_dim_cuda_templateIaEESt5tupleIJNSA_6TensorESF_SF_EERKSF_lbbbEUlllE_EE10hipError_tT0_T1_T2_T3_mRjT4_P12ihipStream_tbNS1_7vsmem_tEEUlT_E_NS1_11comp_targetILNS1_3genE4ELNS1_11target_archE910ELNS1_3gpuE8ELNS1_3repE0EEENS1_30default_config_static_selectorELNS0_4arch9wavefront6targetE0EEEvSM_
	.p2align	8
	.type	_ZN7rocprim17ROCPRIM_400000_NS6detail17trampoline_kernelINS0_14default_configENS1_37merge_sort_block_sort_config_selectorIlNS0_10empty_typeEEEZNS1_21merge_sort_block_sortIS3_PlS8_PS5_S9_ZN2at6native12_GLOBAL__N_124unique_dim_cuda_templateIaEESt5tupleIJNSA_6TensorESF_SF_EERKSF_lbbbEUlllE_EE10hipError_tT0_T1_T2_T3_mRjT4_P12ihipStream_tbNS1_7vsmem_tEEUlT_E_NS1_11comp_targetILNS1_3genE4ELNS1_11target_archE910ELNS1_3gpuE8ELNS1_3repE0EEENS1_30default_config_static_selectorELNS0_4arch9wavefront6targetE0EEEvSM_,@function
_ZN7rocprim17ROCPRIM_400000_NS6detail17trampoline_kernelINS0_14default_configENS1_37merge_sort_block_sort_config_selectorIlNS0_10empty_typeEEEZNS1_21merge_sort_block_sortIS3_PlS8_PS5_S9_ZN2at6native12_GLOBAL__N_124unique_dim_cuda_templateIaEESt5tupleIJNSA_6TensorESF_SF_EERKSF_lbbbEUlllE_EE10hipError_tT0_T1_T2_T3_mRjT4_P12ihipStream_tbNS1_7vsmem_tEEUlT_E_NS1_11comp_targetILNS1_3genE4ELNS1_11target_archE910ELNS1_3gpuE8ELNS1_3repE0EEENS1_30default_config_static_selectorELNS0_4arch9wavefront6targetE0EEEvSM_: ; @_ZN7rocprim17ROCPRIM_400000_NS6detail17trampoline_kernelINS0_14default_configENS1_37merge_sort_block_sort_config_selectorIlNS0_10empty_typeEEEZNS1_21merge_sort_block_sortIS3_PlS8_PS5_S9_ZN2at6native12_GLOBAL__N_124unique_dim_cuda_templateIaEESt5tupleIJNSA_6TensorESF_SF_EERKSF_lbbbEUlllE_EE10hipError_tT0_T1_T2_T3_mRjT4_P12ihipStream_tbNS1_7vsmem_tEEUlT_E_NS1_11comp_targetILNS1_3genE4ELNS1_11target_archE910ELNS1_3gpuE8ELNS1_3repE0EEENS1_30default_config_static_selectorELNS0_4arch9wavefront6targetE0EEEvSM_
; %bb.0:
	.section	.rodata,"a",@progbits
	.p2align	6, 0x0
	.amdhsa_kernel _ZN7rocprim17ROCPRIM_400000_NS6detail17trampoline_kernelINS0_14default_configENS1_37merge_sort_block_sort_config_selectorIlNS0_10empty_typeEEEZNS1_21merge_sort_block_sortIS3_PlS8_PS5_S9_ZN2at6native12_GLOBAL__N_124unique_dim_cuda_templateIaEESt5tupleIJNSA_6TensorESF_SF_EERKSF_lbbbEUlllE_EE10hipError_tT0_T1_T2_T3_mRjT4_P12ihipStream_tbNS1_7vsmem_tEEUlT_E_NS1_11comp_targetILNS1_3genE4ELNS1_11target_archE910ELNS1_3gpuE8ELNS1_3repE0EEENS1_30default_config_static_selectorELNS0_4arch9wavefront6targetE0EEEvSM_
		.amdhsa_group_segment_fixed_size 0
		.amdhsa_private_segment_fixed_size 0
		.amdhsa_kernarg_size 72
		.amdhsa_user_sgpr_count 15
		.amdhsa_user_sgpr_dispatch_ptr 0
		.amdhsa_user_sgpr_queue_ptr 0
		.amdhsa_user_sgpr_kernarg_segment_ptr 1
		.amdhsa_user_sgpr_dispatch_id 0
		.amdhsa_user_sgpr_private_segment_size 0
		.amdhsa_wavefront_size32 1
		.amdhsa_uses_dynamic_stack 0
		.amdhsa_enable_private_segment 0
		.amdhsa_system_sgpr_workgroup_id_x 1
		.amdhsa_system_sgpr_workgroup_id_y 0
		.amdhsa_system_sgpr_workgroup_id_z 0
		.amdhsa_system_sgpr_workgroup_info 0
		.amdhsa_system_vgpr_workitem_id 0
		.amdhsa_next_free_vgpr 1
		.amdhsa_next_free_sgpr 1
		.amdhsa_reserve_vcc 0
		.amdhsa_float_round_mode_32 0
		.amdhsa_float_round_mode_16_64 0
		.amdhsa_float_denorm_mode_32 3
		.amdhsa_float_denorm_mode_16_64 3
		.amdhsa_dx10_clamp 1
		.amdhsa_ieee_mode 1
		.amdhsa_fp16_overflow 0
		.amdhsa_workgroup_processor_mode 1
		.amdhsa_memory_ordered 1
		.amdhsa_forward_progress 0
		.amdhsa_shared_vgpr_count 0
		.amdhsa_exception_fp_ieee_invalid_op 0
		.amdhsa_exception_fp_denorm_src 0
		.amdhsa_exception_fp_ieee_div_zero 0
		.amdhsa_exception_fp_ieee_overflow 0
		.amdhsa_exception_fp_ieee_underflow 0
		.amdhsa_exception_fp_ieee_inexact 0
		.amdhsa_exception_int_div_zero 0
	.end_amdhsa_kernel
	.section	.text._ZN7rocprim17ROCPRIM_400000_NS6detail17trampoline_kernelINS0_14default_configENS1_37merge_sort_block_sort_config_selectorIlNS0_10empty_typeEEEZNS1_21merge_sort_block_sortIS3_PlS8_PS5_S9_ZN2at6native12_GLOBAL__N_124unique_dim_cuda_templateIaEESt5tupleIJNSA_6TensorESF_SF_EERKSF_lbbbEUlllE_EE10hipError_tT0_T1_T2_T3_mRjT4_P12ihipStream_tbNS1_7vsmem_tEEUlT_E_NS1_11comp_targetILNS1_3genE4ELNS1_11target_archE910ELNS1_3gpuE8ELNS1_3repE0EEENS1_30default_config_static_selectorELNS0_4arch9wavefront6targetE0EEEvSM_,"axG",@progbits,_ZN7rocprim17ROCPRIM_400000_NS6detail17trampoline_kernelINS0_14default_configENS1_37merge_sort_block_sort_config_selectorIlNS0_10empty_typeEEEZNS1_21merge_sort_block_sortIS3_PlS8_PS5_S9_ZN2at6native12_GLOBAL__N_124unique_dim_cuda_templateIaEESt5tupleIJNSA_6TensorESF_SF_EERKSF_lbbbEUlllE_EE10hipError_tT0_T1_T2_T3_mRjT4_P12ihipStream_tbNS1_7vsmem_tEEUlT_E_NS1_11comp_targetILNS1_3genE4ELNS1_11target_archE910ELNS1_3gpuE8ELNS1_3repE0EEENS1_30default_config_static_selectorELNS0_4arch9wavefront6targetE0EEEvSM_,comdat
.Lfunc_end263:
	.size	_ZN7rocprim17ROCPRIM_400000_NS6detail17trampoline_kernelINS0_14default_configENS1_37merge_sort_block_sort_config_selectorIlNS0_10empty_typeEEEZNS1_21merge_sort_block_sortIS3_PlS8_PS5_S9_ZN2at6native12_GLOBAL__N_124unique_dim_cuda_templateIaEESt5tupleIJNSA_6TensorESF_SF_EERKSF_lbbbEUlllE_EE10hipError_tT0_T1_T2_T3_mRjT4_P12ihipStream_tbNS1_7vsmem_tEEUlT_E_NS1_11comp_targetILNS1_3genE4ELNS1_11target_archE910ELNS1_3gpuE8ELNS1_3repE0EEENS1_30default_config_static_selectorELNS0_4arch9wavefront6targetE0EEEvSM_, .Lfunc_end263-_ZN7rocprim17ROCPRIM_400000_NS6detail17trampoline_kernelINS0_14default_configENS1_37merge_sort_block_sort_config_selectorIlNS0_10empty_typeEEEZNS1_21merge_sort_block_sortIS3_PlS8_PS5_S9_ZN2at6native12_GLOBAL__N_124unique_dim_cuda_templateIaEESt5tupleIJNSA_6TensorESF_SF_EERKSF_lbbbEUlllE_EE10hipError_tT0_T1_T2_T3_mRjT4_P12ihipStream_tbNS1_7vsmem_tEEUlT_E_NS1_11comp_targetILNS1_3genE4ELNS1_11target_archE910ELNS1_3gpuE8ELNS1_3repE0EEENS1_30default_config_static_selectorELNS0_4arch9wavefront6targetE0EEEvSM_
                                        ; -- End function
	.section	.AMDGPU.csdata,"",@progbits
; Kernel info:
; codeLenInByte = 0
; NumSgprs: 0
; NumVgprs: 0
; ScratchSize: 0
; MemoryBound: 0
; FloatMode: 240
; IeeeMode: 1
; LDSByteSize: 0 bytes/workgroup (compile time only)
; SGPRBlocks: 0
; VGPRBlocks: 0
; NumSGPRsForWavesPerEU: 1
; NumVGPRsForWavesPerEU: 1
; Occupancy: 16
; WaveLimiterHint : 0
; COMPUTE_PGM_RSRC2:SCRATCH_EN: 0
; COMPUTE_PGM_RSRC2:USER_SGPR: 15
; COMPUTE_PGM_RSRC2:TRAP_HANDLER: 0
; COMPUTE_PGM_RSRC2:TGID_X_EN: 1
; COMPUTE_PGM_RSRC2:TGID_Y_EN: 0
; COMPUTE_PGM_RSRC2:TGID_Z_EN: 0
; COMPUTE_PGM_RSRC2:TIDIG_COMP_CNT: 0
	.section	.text._ZN7rocprim17ROCPRIM_400000_NS6detail17trampoline_kernelINS0_14default_configENS1_37merge_sort_block_sort_config_selectorIlNS0_10empty_typeEEEZNS1_21merge_sort_block_sortIS3_PlS8_PS5_S9_ZN2at6native12_GLOBAL__N_124unique_dim_cuda_templateIaEESt5tupleIJNSA_6TensorESF_SF_EERKSF_lbbbEUlllE_EE10hipError_tT0_T1_T2_T3_mRjT4_P12ihipStream_tbNS1_7vsmem_tEEUlT_E_NS1_11comp_targetILNS1_3genE3ELNS1_11target_archE908ELNS1_3gpuE7ELNS1_3repE0EEENS1_30default_config_static_selectorELNS0_4arch9wavefront6targetE0EEEvSM_,"axG",@progbits,_ZN7rocprim17ROCPRIM_400000_NS6detail17trampoline_kernelINS0_14default_configENS1_37merge_sort_block_sort_config_selectorIlNS0_10empty_typeEEEZNS1_21merge_sort_block_sortIS3_PlS8_PS5_S9_ZN2at6native12_GLOBAL__N_124unique_dim_cuda_templateIaEESt5tupleIJNSA_6TensorESF_SF_EERKSF_lbbbEUlllE_EE10hipError_tT0_T1_T2_T3_mRjT4_P12ihipStream_tbNS1_7vsmem_tEEUlT_E_NS1_11comp_targetILNS1_3genE3ELNS1_11target_archE908ELNS1_3gpuE7ELNS1_3repE0EEENS1_30default_config_static_selectorELNS0_4arch9wavefront6targetE0EEEvSM_,comdat
	.globl	_ZN7rocprim17ROCPRIM_400000_NS6detail17trampoline_kernelINS0_14default_configENS1_37merge_sort_block_sort_config_selectorIlNS0_10empty_typeEEEZNS1_21merge_sort_block_sortIS3_PlS8_PS5_S9_ZN2at6native12_GLOBAL__N_124unique_dim_cuda_templateIaEESt5tupleIJNSA_6TensorESF_SF_EERKSF_lbbbEUlllE_EE10hipError_tT0_T1_T2_T3_mRjT4_P12ihipStream_tbNS1_7vsmem_tEEUlT_E_NS1_11comp_targetILNS1_3genE3ELNS1_11target_archE908ELNS1_3gpuE7ELNS1_3repE0EEENS1_30default_config_static_selectorELNS0_4arch9wavefront6targetE0EEEvSM_ ; -- Begin function _ZN7rocprim17ROCPRIM_400000_NS6detail17trampoline_kernelINS0_14default_configENS1_37merge_sort_block_sort_config_selectorIlNS0_10empty_typeEEEZNS1_21merge_sort_block_sortIS3_PlS8_PS5_S9_ZN2at6native12_GLOBAL__N_124unique_dim_cuda_templateIaEESt5tupleIJNSA_6TensorESF_SF_EERKSF_lbbbEUlllE_EE10hipError_tT0_T1_T2_T3_mRjT4_P12ihipStream_tbNS1_7vsmem_tEEUlT_E_NS1_11comp_targetILNS1_3genE3ELNS1_11target_archE908ELNS1_3gpuE7ELNS1_3repE0EEENS1_30default_config_static_selectorELNS0_4arch9wavefront6targetE0EEEvSM_
	.p2align	8
	.type	_ZN7rocprim17ROCPRIM_400000_NS6detail17trampoline_kernelINS0_14default_configENS1_37merge_sort_block_sort_config_selectorIlNS0_10empty_typeEEEZNS1_21merge_sort_block_sortIS3_PlS8_PS5_S9_ZN2at6native12_GLOBAL__N_124unique_dim_cuda_templateIaEESt5tupleIJNSA_6TensorESF_SF_EERKSF_lbbbEUlllE_EE10hipError_tT0_T1_T2_T3_mRjT4_P12ihipStream_tbNS1_7vsmem_tEEUlT_E_NS1_11comp_targetILNS1_3genE3ELNS1_11target_archE908ELNS1_3gpuE7ELNS1_3repE0EEENS1_30default_config_static_selectorELNS0_4arch9wavefront6targetE0EEEvSM_,@function
_ZN7rocprim17ROCPRIM_400000_NS6detail17trampoline_kernelINS0_14default_configENS1_37merge_sort_block_sort_config_selectorIlNS0_10empty_typeEEEZNS1_21merge_sort_block_sortIS3_PlS8_PS5_S9_ZN2at6native12_GLOBAL__N_124unique_dim_cuda_templateIaEESt5tupleIJNSA_6TensorESF_SF_EERKSF_lbbbEUlllE_EE10hipError_tT0_T1_T2_T3_mRjT4_P12ihipStream_tbNS1_7vsmem_tEEUlT_E_NS1_11comp_targetILNS1_3genE3ELNS1_11target_archE908ELNS1_3gpuE7ELNS1_3repE0EEENS1_30default_config_static_selectorELNS0_4arch9wavefront6targetE0EEEvSM_: ; @_ZN7rocprim17ROCPRIM_400000_NS6detail17trampoline_kernelINS0_14default_configENS1_37merge_sort_block_sort_config_selectorIlNS0_10empty_typeEEEZNS1_21merge_sort_block_sortIS3_PlS8_PS5_S9_ZN2at6native12_GLOBAL__N_124unique_dim_cuda_templateIaEESt5tupleIJNSA_6TensorESF_SF_EERKSF_lbbbEUlllE_EE10hipError_tT0_T1_T2_T3_mRjT4_P12ihipStream_tbNS1_7vsmem_tEEUlT_E_NS1_11comp_targetILNS1_3genE3ELNS1_11target_archE908ELNS1_3gpuE7ELNS1_3repE0EEENS1_30default_config_static_selectorELNS0_4arch9wavefront6targetE0EEEvSM_
; %bb.0:
	.section	.rodata,"a",@progbits
	.p2align	6, 0x0
	.amdhsa_kernel _ZN7rocprim17ROCPRIM_400000_NS6detail17trampoline_kernelINS0_14default_configENS1_37merge_sort_block_sort_config_selectorIlNS0_10empty_typeEEEZNS1_21merge_sort_block_sortIS3_PlS8_PS5_S9_ZN2at6native12_GLOBAL__N_124unique_dim_cuda_templateIaEESt5tupleIJNSA_6TensorESF_SF_EERKSF_lbbbEUlllE_EE10hipError_tT0_T1_T2_T3_mRjT4_P12ihipStream_tbNS1_7vsmem_tEEUlT_E_NS1_11comp_targetILNS1_3genE3ELNS1_11target_archE908ELNS1_3gpuE7ELNS1_3repE0EEENS1_30default_config_static_selectorELNS0_4arch9wavefront6targetE0EEEvSM_
		.amdhsa_group_segment_fixed_size 0
		.amdhsa_private_segment_fixed_size 0
		.amdhsa_kernarg_size 72
		.amdhsa_user_sgpr_count 15
		.amdhsa_user_sgpr_dispatch_ptr 0
		.amdhsa_user_sgpr_queue_ptr 0
		.amdhsa_user_sgpr_kernarg_segment_ptr 1
		.amdhsa_user_sgpr_dispatch_id 0
		.amdhsa_user_sgpr_private_segment_size 0
		.amdhsa_wavefront_size32 1
		.amdhsa_uses_dynamic_stack 0
		.amdhsa_enable_private_segment 0
		.amdhsa_system_sgpr_workgroup_id_x 1
		.amdhsa_system_sgpr_workgroup_id_y 0
		.amdhsa_system_sgpr_workgroup_id_z 0
		.amdhsa_system_sgpr_workgroup_info 0
		.amdhsa_system_vgpr_workitem_id 0
		.amdhsa_next_free_vgpr 1
		.amdhsa_next_free_sgpr 1
		.amdhsa_reserve_vcc 0
		.amdhsa_float_round_mode_32 0
		.amdhsa_float_round_mode_16_64 0
		.amdhsa_float_denorm_mode_32 3
		.amdhsa_float_denorm_mode_16_64 3
		.amdhsa_dx10_clamp 1
		.amdhsa_ieee_mode 1
		.amdhsa_fp16_overflow 0
		.amdhsa_workgroup_processor_mode 1
		.amdhsa_memory_ordered 1
		.amdhsa_forward_progress 0
		.amdhsa_shared_vgpr_count 0
		.amdhsa_exception_fp_ieee_invalid_op 0
		.amdhsa_exception_fp_denorm_src 0
		.amdhsa_exception_fp_ieee_div_zero 0
		.amdhsa_exception_fp_ieee_overflow 0
		.amdhsa_exception_fp_ieee_underflow 0
		.amdhsa_exception_fp_ieee_inexact 0
		.amdhsa_exception_int_div_zero 0
	.end_amdhsa_kernel
	.section	.text._ZN7rocprim17ROCPRIM_400000_NS6detail17trampoline_kernelINS0_14default_configENS1_37merge_sort_block_sort_config_selectorIlNS0_10empty_typeEEEZNS1_21merge_sort_block_sortIS3_PlS8_PS5_S9_ZN2at6native12_GLOBAL__N_124unique_dim_cuda_templateIaEESt5tupleIJNSA_6TensorESF_SF_EERKSF_lbbbEUlllE_EE10hipError_tT0_T1_T2_T3_mRjT4_P12ihipStream_tbNS1_7vsmem_tEEUlT_E_NS1_11comp_targetILNS1_3genE3ELNS1_11target_archE908ELNS1_3gpuE7ELNS1_3repE0EEENS1_30default_config_static_selectorELNS0_4arch9wavefront6targetE0EEEvSM_,"axG",@progbits,_ZN7rocprim17ROCPRIM_400000_NS6detail17trampoline_kernelINS0_14default_configENS1_37merge_sort_block_sort_config_selectorIlNS0_10empty_typeEEEZNS1_21merge_sort_block_sortIS3_PlS8_PS5_S9_ZN2at6native12_GLOBAL__N_124unique_dim_cuda_templateIaEESt5tupleIJNSA_6TensorESF_SF_EERKSF_lbbbEUlllE_EE10hipError_tT0_T1_T2_T3_mRjT4_P12ihipStream_tbNS1_7vsmem_tEEUlT_E_NS1_11comp_targetILNS1_3genE3ELNS1_11target_archE908ELNS1_3gpuE7ELNS1_3repE0EEENS1_30default_config_static_selectorELNS0_4arch9wavefront6targetE0EEEvSM_,comdat
.Lfunc_end264:
	.size	_ZN7rocprim17ROCPRIM_400000_NS6detail17trampoline_kernelINS0_14default_configENS1_37merge_sort_block_sort_config_selectorIlNS0_10empty_typeEEEZNS1_21merge_sort_block_sortIS3_PlS8_PS5_S9_ZN2at6native12_GLOBAL__N_124unique_dim_cuda_templateIaEESt5tupleIJNSA_6TensorESF_SF_EERKSF_lbbbEUlllE_EE10hipError_tT0_T1_T2_T3_mRjT4_P12ihipStream_tbNS1_7vsmem_tEEUlT_E_NS1_11comp_targetILNS1_3genE3ELNS1_11target_archE908ELNS1_3gpuE7ELNS1_3repE0EEENS1_30default_config_static_selectorELNS0_4arch9wavefront6targetE0EEEvSM_, .Lfunc_end264-_ZN7rocprim17ROCPRIM_400000_NS6detail17trampoline_kernelINS0_14default_configENS1_37merge_sort_block_sort_config_selectorIlNS0_10empty_typeEEEZNS1_21merge_sort_block_sortIS3_PlS8_PS5_S9_ZN2at6native12_GLOBAL__N_124unique_dim_cuda_templateIaEESt5tupleIJNSA_6TensorESF_SF_EERKSF_lbbbEUlllE_EE10hipError_tT0_T1_T2_T3_mRjT4_P12ihipStream_tbNS1_7vsmem_tEEUlT_E_NS1_11comp_targetILNS1_3genE3ELNS1_11target_archE908ELNS1_3gpuE7ELNS1_3repE0EEENS1_30default_config_static_selectorELNS0_4arch9wavefront6targetE0EEEvSM_
                                        ; -- End function
	.section	.AMDGPU.csdata,"",@progbits
; Kernel info:
; codeLenInByte = 0
; NumSgprs: 0
; NumVgprs: 0
; ScratchSize: 0
; MemoryBound: 0
; FloatMode: 240
; IeeeMode: 1
; LDSByteSize: 0 bytes/workgroup (compile time only)
; SGPRBlocks: 0
; VGPRBlocks: 0
; NumSGPRsForWavesPerEU: 1
; NumVGPRsForWavesPerEU: 1
; Occupancy: 16
; WaveLimiterHint : 0
; COMPUTE_PGM_RSRC2:SCRATCH_EN: 0
; COMPUTE_PGM_RSRC2:USER_SGPR: 15
; COMPUTE_PGM_RSRC2:TRAP_HANDLER: 0
; COMPUTE_PGM_RSRC2:TGID_X_EN: 1
; COMPUTE_PGM_RSRC2:TGID_Y_EN: 0
; COMPUTE_PGM_RSRC2:TGID_Z_EN: 0
; COMPUTE_PGM_RSRC2:TIDIG_COMP_CNT: 0
	.section	.text._ZN7rocprim17ROCPRIM_400000_NS6detail17trampoline_kernelINS0_14default_configENS1_37merge_sort_block_sort_config_selectorIlNS0_10empty_typeEEEZNS1_21merge_sort_block_sortIS3_PlS8_PS5_S9_ZN2at6native12_GLOBAL__N_124unique_dim_cuda_templateIaEESt5tupleIJNSA_6TensorESF_SF_EERKSF_lbbbEUlllE_EE10hipError_tT0_T1_T2_T3_mRjT4_P12ihipStream_tbNS1_7vsmem_tEEUlT_E_NS1_11comp_targetILNS1_3genE2ELNS1_11target_archE906ELNS1_3gpuE6ELNS1_3repE0EEENS1_30default_config_static_selectorELNS0_4arch9wavefront6targetE0EEEvSM_,"axG",@progbits,_ZN7rocprim17ROCPRIM_400000_NS6detail17trampoline_kernelINS0_14default_configENS1_37merge_sort_block_sort_config_selectorIlNS0_10empty_typeEEEZNS1_21merge_sort_block_sortIS3_PlS8_PS5_S9_ZN2at6native12_GLOBAL__N_124unique_dim_cuda_templateIaEESt5tupleIJNSA_6TensorESF_SF_EERKSF_lbbbEUlllE_EE10hipError_tT0_T1_T2_T3_mRjT4_P12ihipStream_tbNS1_7vsmem_tEEUlT_E_NS1_11comp_targetILNS1_3genE2ELNS1_11target_archE906ELNS1_3gpuE6ELNS1_3repE0EEENS1_30default_config_static_selectorELNS0_4arch9wavefront6targetE0EEEvSM_,comdat
	.globl	_ZN7rocprim17ROCPRIM_400000_NS6detail17trampoline_kernelINS0_14default_configENS1_37merge_sort_block_sort_config_selectorIlNS0_10empty_typeEEEZNS1_21merge_sort_block_sortIS3_PlS8_PS5_S9_ZN2at6native12_GLOBAL__N_124unique_dim_cuda_templateIaEESt5tupleIJNSA_6TensorESF_SF_EERKSF_lbbbEUlllE_EE10hipError_tT0_T1_T2_T3_mRjT4_P12ihipStream_tbNS1_7vsmem_tEEUlT_E_NS1_11comp_targetILNS1_3genE2ELNS1_11target_archE906ELNS1_3gpuE6ELNS1_3repE0EEENS1_30default_config_static_selectorELNS0_4arch9wavefront6targetE0EEEvSM_ ; -- Begin function _ZN7rocprim17ROCPRIM_400000_NS6detail17trampoline_kernelINS0_14default_configENS1_37merge_sort_block_sort_config_selectorIlNS0_10empty_typeEEEZNS1_21merge_sort_block_sortIS3_PlS8_PS5_S9_ZN2at6native12_GLOBAL__N_124unique_dim_cuda_templateIaEESt5tupleIJNSA_6TensorESF_SF_EERKSF_lbbbEUlllE_EE10hipError_tT0_T1_T2_T3_mRjT4_P12ihipStream_tbNS1_7vsmem_tEEUlT_E_NS1_11comp_targetILNS1_3genE2ELNS1_11target_archE906ELNS1_3gpuE6ELNS1_3repE0EEENS1_30default_config_static_selectorELNS0_4arch9wavefront6targetE0EEEvSM_
	.p2align	8
	.type	_ZN7rocprim17ROCPRIM_400000_NS6detail17trampoline_kernelINS0_14default_configENS1_37merge_sort_block_sort_config_selectorIlNS0_10empty_typeEEEZNS1_21merge_sort_block_sortIS3_PlS8_PS5_S9_ZN2at6native12_GLOBAL__N_124unique_dim_cuda_templateIaEESt5tupleIJNSA_6TensorESF_SF_EERKSF_lbbbEUlllE_EE10hipError_tT0_T1_T2_T3_mRjT4_P12ihipStream_tbNS1_7vsmem_tEEUlT_E_NS1_11comp_targetILNS1_3genE2ELNS1_11target_archE906ELNS1_3gpuE6ELNS1_3repE0EEENS1_30default_config_static_selectorELNS0_4arch9wavefront6targetE0EEEvSM_,@function
_ZN7rocprim17ROCPRIM_400000_NS6detail17trampoline_kernelINS0_14default_configENS1_37merge_sort_block_sort_config_selectorIlNS0_10empty_typeEEEZNS1_21merge_sort_block_sortIS3_PlS8_PS5_S9_ZN2at6native12_GLOBAL__N_124unique_dim_cuda_templateIaEESt5tupleIJNSA_6TensorESF_SF_EERKSF_lbbbEUlllE_EE10hipError_tT0_T1_T2_T3_mRjT4_P12ihipStream_tbNS1_7vsmem_tEEUlT_E_NS1_11comp_targetILNS1_3genE2ELNS1_11target_archE906ELNS1_3gpuE6ELNS1_3repE0EEENS1_30default_config_static_selectorELNS0_4arch9wavefront6targetE0EEEvSM_: ; @_ZN7rocprim17ROCPRIM_400000_NS6detail17trampoline_kernelINS0_14default_configENS1_37merge_sort_block_sort_config_selectorIlNS0_10empty_typeEEEZNS1_21merge_sort_block_sortIS3_PlS8_PS5_S9_ZN2at6native12_GLOBAL__N_124unique_dim_cuda_templateIaEESt5tupleIJNSA_6TensorESF_SF_EERKSF_lbbbEUlllE_EE10hipError_tT0_T1_T2_T3_mRjT4_P12ihipStream_tbNS1_7vsmem_tEEUlT_E_NS1_11comp_targetILNS1_3genE2ELNS1_11target_archE906ELNS1_3gpuE6ELNS1_3repE0EEENS1_30default_config_static_selectorELNS0_4arch9wavefront6targetE0EEEvSM_
; %bb.0:
	.section	.rodata,"a",@progbits
	.p2align	6, 0x0
	.amdhsa_kernel _ZN7rocprim17ROCPRIM_400000_NS6detail17trampoline_kernelINS0_14default_configENS1_37merge_sort_block_sort_config_selectorIlNS0_10empty_typeEEEZNS1_21merge_sort_block_sortIS3_PlS8_PS5_S9_ZN2at6native12_GLOBAL__N_124unique_dim_cuda_templateIaEESt5tupleIJNSA_6TensorESF_SF_EERKSF_lbbbEUlllE_EE10hipError_tT0_T1_T2_T3_mRjT4_P12ihipStream_tbNS1_7vsmem_tEEUlT_E_NS1_11comp_targetILNS1_3genE2ELNS1_11target_archE906ELNS1_3gpuE6ELNS1_3repE0EEENS1_30default_config_static_selectorELNS0_4arch9wavefront6targetE0EEEvSM_
		.amdhsa_group_segment_fixed_size 0
		.amdhsa_private_segment_fixed_size 0
		.amdhsa_kernarg_size 72
		.amdhsa_user_sgpr_count 15
		.amdhsa_user_sgpr_dispatch_ptr 0
		.amdhsa_user_sgpr_queue_ptr 0
		.amdhsa_user_sgpr_kernarg_segment_ptr 1
		.amdhsa_user_sgpr_dispatch_id 0
		.amdhsa_user_sgpr_private_segment_size 0
		.amdhsa_wavefront_size32 1
		.amdhsa_uses_dynamic_stack 0
		.amdhsa_enable_private_segment 0
		.amdhsa_system_sgpr_workgroup_id_x 1
		.amdhsa_system_sgpr_workgroup_id_y 0
		.amdhsa_system_sgpr_workgroup_id_z 0
		.amdhsa_system_sgpr_workgroup_info 0
		.amdhsa_system_vgpr_workitem_id 0
		.amdhsa_next_free_vgpr 1
		.amdhsa_next_free_sgpr 1
		.amdhsa_reserve_vcc 0
		.amdhsa_float_round_mode_32 0
		.amdhsa_float_round_mode_16_64 0
		.amdhsa_float_denorm_mode_32 3
		.amdhsa_float_denorm_mode_16_64 3
		.amdhsa_dx10_clamp 1
		.amdhsa_ieee_mode 1
		.amdhsa_fp16_overflow 0
		.amdhsa_workgroup_processor_mode 1
		.amdhsa_memory_ordered 1
		.amdhsa_forward_progress 0
		.amdhsa_shared_vgpr_count 0
		.amdhsa_exception_fp_ieee_invalid_op 0
		.amdhsa_exception_fp_denorm_src 0
		.amdhsa_exception_fp_ieee_div_zero 0
		.amdhsa_exception_fp_ieee_overflow 0
		.amdhsa_exception_fp_ieee_underflow 0
		.amdhsa_exception_fp_ieee_inexact 0
		.amdhsa_exception_int_div_zero 0
	.end_amdhsa_kernel
	.section	.text._ZN7rocprim17ROCPRIM_400000_NS6detail17trampoline_kernelINS0_14default_configENS1_37merge_sort_block_sort_config_selectorIlNS0_10empty_typeEEEZNS1_21merge_sort_block_sortIS3_PlS8_PS5_S9_ZN2at6native12_GLOBAL__N_124unique_dim_cuda_templateIaEESt5tupleIJNSA_6TensorESF_SF_EERKSF_lbbbEUlllE_EE10hipError_tT0_T1_T2_T3_mRjT4_P12ihipStream_tbNS1_7vsmem_tEEUlT_E_NS1_11comp_targetILNS1_3genE2ELNS1_11target_archE906ELNS1_3gpuE6ELNS1_3repE0EEENS1_30default_config_static_selectorELNS0_4arch9wavefront6targetE0EEEvSM_,"axG",@progbits,_ZN7rocprim17ROCPRIM_400000_NS6detail17trampoline_kernelINS0_14default_configENS1_37merge_sort_block_sort_config_selectorIlNS0_10empty_typeEEEZNS1_21merge_sort_block_sortIS3_PlS8_PS5_S9_ZN2at6native12_GLOBAL__N_124unique_dim_cuda_templateIaEESt5tupleIJNSA_6TensorESF_SF_EERKSF_lbbbEUlllE_EE10hipError_tT0_T1_T2_T3_mRjT4_P12ihipStream_tbNS1_7vsmem_tEEUlT_E_NS1_11comp_targetILNS1_3genE2ELNS1_11target_archE906ELNS1_3gpuE6ELNS1_3repE0EEENS1_30default_config_static_selectorELNS0_4arch9wavefront6targetE0EEEvSM_,comdat
.Lfunc_end265:
	.size	_ZN7rocprim17ROCPRIM_400000_NS6detail17trampoline_kernelINS0_14default_configENS1_37merge_sort_block_sort_config_selectorIlNS0_10empty_typeEEEZNS1_21merge_sort_block_sortIS3_PlS8_PS5_S9_ZN2at6native12_GLOBAL__N_124unique_dim_cuda_templateIaEESt5tupleIJNSA_6TensorESF_SF_EERKSF_lbbbEUlllE_EE10hipError_tT0_T1_T2_T3_mRjT4_P12ihipStream_tbNS1_7vsmem_tEEUlT_E_NS1_11comp_targetILNS1_3genE2ELNS1_11target_archE906ELNS1_3gpuE6ELNS1_3repE0EEENS1_30default_config_static_selectorELNS0_4arch9wavefront6targetE0EEEvSM_, .Lfunc_end265-_ZN7rocprim17ROCPRIM_400000_NS6detail17trampoline_kernelINS0_14default_configENS1_37merge_sort_block_sort_config_selectorIlNS0_10empty_typeEEEZNS1_21merge_sort_block_sortIS3_PlS8_PS5_S9_ZN2at6native12_GLOBAL__N_124unique_dim_cuda_templateIaEESt5tupleIJNSA_6TensorESF_SF_EERKSF_lbbbEUlllE_EE10hipError_tT0_T1_T2_T3_mRjT4_P12ihipStream_tbNS1_7vsmem_tEEUlT_E_NS1_11comp_targetILNS1_3genE2ELNS1_11target_archE906ELNS1_3gpuE6ELNS1_3repE0EEENS1_30default_config_static_selectorELNS0_4arch9wavefront6targetE0EEEvSM_
                                        ; -- End function
	.section	.AMDGPU.csdata,"",@progbits
; Kernel info:
; codeLenInByte = 0
; NumSgprs: 0
; NumVgprs: 0
; ScratchSize: 0
; MemoryBound: 0
; FloatMode: 240
; IeeeMode: 1
; LDSByteSize: 0 bytes/workgroup (compile time only)
; SGPRBlocks: 0
; VGPRBlocks: 0
; NumSGPRsForWavesPerEU: 1
; NumVGPRsForWavesPerEU: 1
; Occupancy: 16
; WaveLimiterHint : 0
; COMPUTE_PGM_RSRC2:SCRATCH_EN: 0
; COMPUTE_PGM_RSRC2:USER_SGPR: 15
; COMPUTE_PGM_RSRC2:TRAP_HANDLER: 0
; COMPUTE_PGM_RSRC2:TGID_X_EN: 1
; COMPUTE_PGM_RSRC2:TGID_Y_EN: 0
; COMPUTE_PGM_RSRC2:TGID_Z_EN: 0
; COMPUTE_PGM_RSRC2:TIDIG_COMP_CNT: 0
	.section	.text._ZN7rocprim17ROCPRIM_400000_NS6detail17trampoline_kernelINS0_14default_configENS1_37merge_sort_block_sort_config_selectorIlNS0_10empty_typeEEEZNS1_21merge_sort_block_sortIS3_PlS8_PS5_S9_ZN2at6native12_GLOBAL__N_124unique_dim_cuda_templateIaEESt5tupleIJNSA_6TensorESF_SF_EERKSF_lbbbEUlllE_EE10hipError_tT0_T1_T2_T3_mRjT4_P12ihipStream_tbNS1_7vsmem_tEEUlT_E_NS1_11comp_targetILNS1_3genE10ELNS1_11target_archE1201ELNS1_3gpuE5ELNS1_3repE0EEENS1_30default_config_static_selectorELNS0_4arch9wavefront6targetE0EEEvSM_,"axG",@progbits,_ZN7rocprim17ROCPRIM_400000_NS6detail17trampoline_kernelINS0_14default_configENS1_37merge_sort_block_sort_config_selectorIlNS0_10empty_typeEEEZNS1_21merge_sort_block_sortIS3_PlS8_PS5_S9_ZN2at6native12_GLOBAL__N_124unique_dim_cuda_templateIaEESt5tupleIJNSA_6TensorESF_SF_EERKSF_lbbbEUlllE_EE10hipError_tT0_T1_T2_T3_mRjT4_P12ihipStream_tbNS1_7vsmem_tEEUlT_E_NS1_11comp_targetILNS1_3genE10ELNS1_11target_archE1201ELNS1_3gpuE5ELNS1_3repE0EEENS1_30default_config_static_selectorELNS0_4arch9wavefront6targetE0EEEvSM_,comdat
	.globl	_ZN7rocprim17ROCPRIM_400000_NS6detail17trampoline_kernelINS0_14default_configENS1_37merge_sort_block_sort_config_selectorIlNS0_10empty_typeEEEZNS1_21merge_sort_block_sortIS3_PlS8_PS5_S9_ZN2at6native12_GLOBAL__N_124unique_dim_cuda_templateIaEESt5tupleIJNSA_6TensorESF_SF_EERKSF_lbbbEUlllE_EE10hipError_tT0_T1_T2_T3_mRjT4_P12ihipStream_tbNS1_7vsmem_tEEUlT_E_NS1_11comp_targetILNS1_3genE10ELNS1_11target_archE1201ELNS1_3gpuE5ELNS1_3repE0EEENS1_30default_config_static_selectorELNS0_4arch9wavefront6targetE0EEEvSM_ ; -- Begin function _ZN7rocprim17ROCPRIM_400000_NS6detail17trampoline_kernelINS0_14default_configENS1_37merge_sort_block_sort_config_selectorIlNS0_10empty_typeEEEZNS1_21merge_sort_block_sortIS3_PlS8_PS5_S9_ZN2at6native12_GLOBAL__N_124unique_dim_cuda_templateIaEESt5tupleIJNSA_6TensorESF_SF_EERKSF_lbbbEUlllE_EE10hipError_tT0_T1_T2_T3_mRjT4_P12ihipStream_tbNS1_7vsmem_tEEUlT_E_NS1_11comp_targetILNS1_3genE10ELNS1_11target_archE1201ELNS1_3gpuE5ELNS1_3repE0EEENS1_30default_config_static_selectorELNS0_4arch9wavefront6targetE0EEEvSM_
	.p2align	8
	.type	_ZN7rocprim17ROCPRIM_400000_NS6detail17trampoline_kernelINS0_14default_configENS1_37merge_sort_block_sort_config_selectorIlNS0_10empty_typeEEEZNS1_21merge_sort_block_sortIS3_PlS8_PS5_S9_ZN2at6native12_GLOBAL__N_124unique_dim_cuda_templateIaEESt5tupleIJNSA_6TensorESF_SF_EERKSF_lbbbEUlllE_EE10hipError_tT0_T1_T2_T3_mRjT4_P12ihipStream_tbNS1_7vsmem_tEEUlT_E_NS1_11comp_targetILNS1_3genE10ELNS1_11target_archE1201ELNS1_3gpuE5ELNS1_3repE0EEENS1_30default_config_static_selectorELNS0_4arch9wavefront6targetE0EEEvSM_,@function
_ZN7rocprim17ROCPRIM_400000_NS6detail17trampoline_kernelINS0_14default_configENS1_37merge_sort_block_sort_config_selectorIlNS0_10empty_typeEEEZNS1_21merge_sort_block_sortIS3_PlS8_PS5_S9_ZN2at6native12_GLOBAL__N_124unique_dim_cuda_templateIaEESt5tupleIJNSA_6TensorESF_SF_EERKSF_lbbbEUlllE_EE10hipError_tT0_T1_T2_T3_mRjT4_P12ihipStream_tbNS1_7vsmem_tEEUlT_E_NS1_11comp_targetILNS1_3genE10ELNS1_11target_archE1201ELNS1_3gpuE5ELNS1_3repE0EEENS1_30default_config_static_selectorELNS0_4arch9wavefront6targetE0EEEvSM_: ; @_ZN7rocprim17ROCPRIM_400000_NS6detail17trampoline_kernelINS0_14default_configENS1_37merge_sort_block_sort_config_selectorIlNS0_10empty_typeEEEZNS1_21merge_sort_block_sortIS3_PlS8_PS5_S9_ZN2at6native12_GLOBAL__N_124unique_dim_cuda_templateIaEESt5tupleIJNSA_6TensorESF_SF_EERKSF_lbbbEUlllE_EE10hipError_tT0_T1_T2_T3_mRjT4_P12ihipStream_tbNS1_7vsmem_tEEUlT_E_NS1_11comp_targetILNS1_3genE10ELNS1_11target_archE1201ELNS1_3gpuE5ELNS1_3repE0EEENS1_30default_config_static_selectorELNS0_4arch9wavefront6targetE0EEEvSM_
; %bb.0:
	.section	.rodata,"a",@progbits
	.p2align	6, 0x0
	.amdhsa_kernel _ZN7rocprim17ROCPRIM_400000_NS6detail17trampoline_kernelINS0_14default_configENS1_37merge_sort_block_sort_config_selectorIlNS0_10empty_typeEEEZNS1_21merge_sort_block_sortIS3_PlS8_PS5_S9_ZN2at6native12_GLOBAL__N_124unique_dim_cuda_templateIaEESt5tupleIJNSA_6TensorESF_SF_EERKSF_lbbbEUlllE_EE10hipError_tT0_T1_T2_T3_mRjT4_P12ihipStream_tbNS1_7vsmem_tEEUlT_E_NS1_11comp_targetILNS1_3genE10ELNS1_11target_archE1201ELNS1_3gpuE5ELNS1_3repE0EEENS1_30default_config_static_selectorELNS0_4arch9wavefront6targetE0EEEvSM_
		.amdhsa_group_segment_fixed_size 0
		.amdhsa_private_segment_fixed_size 0
		.amdhsa_kernarg_size 72
		.amdhsa_user_sgpr_count 15
		.amdhsa_user_sgpr_dispatch_ptr 0
		.amdhsa_user_sgpr_queue_ptr 0
		.amdhsa_user_sgpr_kernarg_segment_ptr 1
		.amdhsa_user_sgpr_dispatch_id 0
		.amdhsa_user_sgpr_private_segment_size 0
		.amdhsa_wavefront_size32 1
		.amdhsa_uses_dynamic_stack 0
		.amdhsa_enable_private_segment 0
		.amdhsa_system_sgpr_workgroup_id_x 1
		.amdhsa_system_sgpr_workgroup_id_y 0
		.amdhsa_system_sgpr_workgroup_id_z 0
		.amdhsa_system_sgpr_workgroup_info 0
		.amdhsa_system_vgpr_workitem_id 0
		.amdhsa_next_free_vgpr 1
		.amdhsa_next_free_sgpr 1
		.amdhsa_reserve_vcc 0
		.amdhsa_float_round_mode_32 0
		.amdhsa_float_round_mode_16_64 0
		.amdhsa_float_denorm_mode_32 3
		.amdhsa_float_denorm_mode_16_64 3
		.amdhsa_dx10_clamp 1
		.amdhsa_ieee_mode 1
		.amdhsa_fp16_overflow 0
		.amdhsa_workgroup_processor_mode 1
		.amdhsa_memory_ordered 1
		.amdhsa_forward_progress 0
		.amdhsa_shared_vgpr_count 0
		.amdhsa_exception_fp_ieee_invalid_op 0
		.amdhsa_exception_fp_denorm_src 0
		.amdhsa_exception_fp_ieee_div_zero 0
		.amdhsa_exception_fp_ieee_overflow 0
		.amdhsa_exception_fp_ieee_underflow 0
		.amdhsa_exception_fp_ieee_inexact 0
		.amdhsa_exception_int_div_zero 0
	.end_amdhsa_kernel
	.section	.text._ZN7rocprim17ROCPRIM_400000_NS6detail17trampoline_kernelINS0_14default_configENS1_37merge_sort_block_sort_config_selectorIlNS0_10empty_typeEEEZNS1_21merge_sort_block_sortIS3_PlS8_PS5_S9_ZN2at6native12_GLOBAL__N_124unique_dim_cuda_templateIaEESt5tupleIJNSA_6TensorESF_SF_EERKSF_lbbbEUlllE_EE10hipError_tT0_T1_T2_T3_mRjT4_P12ihipStream_tbNS1_7vsmem_tEEUlT_E_NS1_11comp_targetILNS1_3genE10ELNS1_11target_archE1201ELNS1_3gpuE5ELNS1_3repE0EEENS1_30default_config_static_selectorELNS0_4arch9wavefront6targetE0EEEvSM_,"axG",@progbits,_ZN7rocprim17ROCPRIM_400000_NS6detail17trampoline_kernelINS0_14default_configENS1_37merge_sort_block_sort_config_selectorIlNS0_10empty_typeEEEZNS1_21merge_sort_block_sortIS3_PlS8_PS5_S9_ZN2at6native12_GLOBAL__N_124unique_dim_cuda_templateIaEESt5tupleIJNSA_6TensorESF_SF_EERKSF_lbbbEUlllE_EE10hipError_tT0_T1_T2_T3_mRjT4_P12ihipStream_tbNS1_7vsmem_tEEUlT_E_NS1_11comp_targetILNS1_3genE10ELNS1_11target_archE1201ELNS1_3gpuE5ELNS1_3repE0EEENS1_30default_config_static_selectorELNS0_4arch9wavefront6targetE0EEEvSM_,comdat
.Lfunc_end266:
	.size	_ZN7rocprim17ROCPRIM_400000_NS6detail17trampoline_kernelINS0_14default_configENS1_37merge_sort_block_sort_config_selectorIlNS0_10empty_typeEEEZNS1_21merge_sort_block_sortIS3_PlS8_PS5_S9_ZN2at6native12_GLOBAL__N_124unique_dim_cuda_templateIaEESt5tupleIJNSA_6TensorESF_SF_EERKSF_lbbbEUlllE_EE10hipError_tT0_T1_T2_T3_mRjT4_P12ihipStream_tbNS1_7vsmem_tEEUlT_E_NS1_11comp_targetILNS1_3genE10ELNS1_11target_archE1201ELNS1_3gpuE5ELNS1_3repE0EEENS1_30default_config_static_selectorELNS0_4arch9wavefront6targetE0EEEvSM_, .Lfunc_end266-_ZN7rocprim17ROCPRIM_400000_NS6detail17trampoline_kernelINS0_14default_configENS1_37merge_sort_block_sort_config_selectorIlNS0_10empty_typeEEEZNS1_21merge_sort_block_sortIS3_PlS8_PS5_S9_ZN2at6native12_GLOBAL__N_124unique_dim_cuda_templateIaEESt5tupleIJNSA_6TensorESF_SF_EERKSF_lbbbEUlllE_EE10hipError_tT0_T1_T2_T3_mRjT4_P12ihipStream_tbNS1_7vsmem_tEEUlT_E_NS1_11comp_targetILNS1_3genE10ELNS1_11target_archE1201ELNS1_3gpuE5ELNS1_3repE0EEENS1_30default_config_static_selectorELNS0_4arch9wavefront6targetE0EEEvSM_
                                        ; -- End function
	.section	.AMDGPU.csdata,"",@progbits
; Kernel info:
; codeLenInByte = 0
; NumSgprs: 0
; NumVgprs: 0
; ScratchSize: 0
; MemoryBound: 0
; FloatMode: 240
; IeeeMode: 1
; LDSByteSize: 0 bytes/workgroup (compile time only)
; SGPRBlocks: 0
; VGPRBlocks: 0
; NumSGPRsForWavesPerEU: 1
; NumVGPRsForWavesPerEU: 1
; Occupancy: 16
; WaveLimiterHint : 0
; COMPUTE_PGM_RSRC2:SCRATCH_EN: 0
; COMPUTE_PGM_RSRC2:USER_SGPR: 15
; COMPUTE_PGM_RSRC2:TRAP_HANDLER: 0
; COMPUTE_PGM_RSRC2:TGID_X_EN: 1
; COMPUTE_PGM_RSRC2:TGID_Y_EN: 0
; COMPUTE_PGM_RSRC2:TGID_Z_EN: 0
; COMPUTE_PGM_RSRC2:TIDIG_COMP_CNT: 0
	.section	.text._ZN7rocprim17ROCPRIM_400000_NS6detail17trampoline_kernelINS0_14default_configENS1_37merge_sort_block_sort_config_selectorIlNS0_10empty_typeEEEZNS1_21merge_sort_block_sortIS3_PlS8_PS5_S9_ZN2at6native12_GLOBAL__N_124unique_dim_cuda_templateIaEESt5tupleIJNSA_6TensorESF_SF_EERKSF_lbbbEUlllE_EE10hipError_tT0_T1_T2_T3_mRjT4_P12ihipStream_tbNS1_7vsmem_tEEUlT_E_NS1_11comp_targetILNS1_3genE10ELNS1_11target_archE1200ELNS1_3gpuE4ELNS1_3repE0EEENS1_30default_config_static_selectorELNS0_4arch9wavefront6targetE0EEEvSM_,"axG",@progbits,_ZN7rocprim17ROCPRIM_400000_NS6detail17trampoline_kernelINS0_14default_configENS1_37merge_sort_block_sort_config_selectorIlNS0_10empty_typeEEEZNS1_21merge_sort_block_sortIS3_PlS8_PS5_S9_ZN2at6native12_GLOBAL__N_124unique_dim_cuda_templateIaEESt5tupleIJNSA_6TensorESF_SF_EERKSF_lbbbEUlllE_EE10hipError_tT0_T1_T2_T3_mRjT4_P12ihipStream_tbNS1_7vsmem_tEEUlT_E_NS1_11comp_targetILNS1_3genE10ELNS1_11target_archE1200ELNS1_3gpuE4ELNS1_3repE0EEENS1_30default_config_static_selectorELNS0_4arch9wavefront6targetE0EEEvSM_,comdat
	.globl	_ZN7rocprim17ROCPRIM_400000_NS6detail17trampoline_kernelINS0_14default_configENS1_37merge_sort_block_sort_config_selectorIlNS0_10empty_typeEEEZNS1_21merge_sort_block_sortIS3_PlS8_PS5_S9_ZN2at6native12_GLOBAL__N_124unique_dim_cuda_templateIaEESt5tupleIJNSA_6TensorESF_SF_EERKSF_lbbbEUlllE_EE10hipError_tT0_T1_T2_T3_mRjT4_P12ihipStream_tbNS1_7vsmem_tEEUlT_E_NS1_11comp_targetILNS1_3genE10ELNS1_11target_archE1200ELNS1_3gpuE4ELNS1_3repE0EEENS1_30default_config_static_selectorELNS0_4arch9wavefront6targetE0EEEvSM_ ; -- Begin function _ZN7rocprim17ROCPRIM_400000_NS6detail17trampoline_kernelINS0_14default_configENS1_37merge_sort_block_sort_config_selectorIlNS0_10empty_typeEEEZNS1_21merge_sort_block_sortIS3_PlS8_PS5_S9_ZN2at6native12_GLOBAL__N_124unique_dim_cuda_templateIaEESt5tupleIJNSA_6TensorESF_SF_EERKSF_lbbbEUlllE_EE10hipError_tT0_T1_T2_T3_mRjT4_P12ihipStream_tbNS1_7vsmem_tEEUlT_E_NS1_11comp_targetILNS1_3genE10ELNS1_11target_archE1200ELNS1_3gpuE4ELNS1_3repE0EEENS1_30default_config_static_selectorELNS0_4arch9wavefront6targetE0EEEvSM_
	.p2align	8
	.type	_ZN7rocprim17ROCPRIM_400000_NS6detail17trampoline_kernelINS0_14default_configENS1_37merge_sort_block_sort_config_selectorIlNS0_10empty_typeEEEZNS1_21merge_sort_block_sortIS3_PlS8_PS5_S9_ZN2at6native12_GLOBAL__N_124unique_dim_cuda_templateIaEESt5tupleIJNSA_6TensorESF_SF_EERKSF_lbbbEUlllE_EE10hipError_tT0_T1_T2_T3_mRjT4_P12ihipStream_tbNS1_7vsmem_tEEUlT_E_NS1_11comp_targetILNS1_3genE10ELNS1_11target_archE1200ELNS1_3gpuE4ELNS1_3repE0EEENS1_30default_config_static_selectorELNS0_4arch9wavefront6targetE0EEEvSM_,@function
_ZN7rocprim17ROCPRIM_400000_NS6detail17trampoline_kernelINS0_14default_configENS1_37merge_sort_block_sort_config_selectorIlNS0_10empty_typeEEEZNS1_21merge_sort_block_sortIS3_PlS8_PS5_S9_ZN2at6native12_GLOBAL__N_124unique_dim_cuda_templateIaEESt5tupleIJNSA_6TensorESF_SF_EERKSF_lbbbEUlllE_EE10hipError_tT0_T1_T2_T3_mRjT4_P12ihipStream_tbNS1_7vsmem_tEEUlT_E_NS1_11comp_targetILNS1_3genE10ELNS1_11target_archE1200ELNS1_3gpuE4ELNS1_3repE0EEENS1_30default_config_static_selectorELNS0_4arch9wavefront6targetE0EEEvSM_: ; @_ZN7rocprim17ROCPRIM_400000_NS6detail17trampoline_kernelINS0_14default_configENS1_37merge_sort_block_sort_config_selectorIlNS0_10empty_typeEEEZNS1_21merge_sort_block_sortIS3_PlS8_PS5_S9_ZN2at6native12_GLOBAL__N_124unique_dim_cuda_templateIaEESt5tupleIJNSA_6TensorESF_SF_EERKSF_lbbbEUlllE_EE10hipError_tT0_T1_T2_T3_mRjT4_P12ihipStream_tbNS1_7vsmem_tEEUlT_E_NS1_11comp_targetILNS1_3genE10ELNS1_11target_archE1200ELNS1_3gpuE4ELNS1_3repE0EEENS1_30default_config_static_selectorELNS0_4arch9wavefront6targetE0EEEvSM_
; %bb.0:
	.section	.rodata,"a",@progbits
	.p2align	6, 0x0
	.amdhsa_kernel _ZN7rocprim17ROCPRIM_400000_NS6detail17trampoline_kernelINS0_14default_configENS1_37merge_sort_block_sort_config_selectorIlNS0_10empty_typeEEEZNS1_21merge_sort_block_sortIS3_PlS8_PS5_S9_ZN2at6native12_GLOBAL__N_124unique_dim_cuda_templateIaEESt5tupleIJNSA_6TensorESF_SF_EERKSF_lbbbEUlllE_EE10hipError_tT0_T1_T2_T3_mRjT4_P12ihipStream_tbNS1_7vsmem_tEEUlT_E_NS1_11comp_targetILNS1_3genE10ELNS1_11target_archE1200ELNS1_3gpuE4ELNS1_3repE0EEENS1_30default_config_static_selectorELNS0_4arch9wavefront6targetE0EEEvSM_
		.amdhsa_group_segment_fixed_size 0
		.amdhsa_private_segment_fixed_size 0
		.amdhsa_kernarg_size 72
		.amdhsa_user_sgpr_count 15
		.amdhsa_user_sgpr_dispatch_ptr 0
		.amdhsa_user_sgpr_queue_ptr 0
		.amdhsa_user_sgpr_kernarg_segment_ptr 1
		.amdhsa_user_sgpr_dispatch_id 0
		.amdhsa_user_sgpr_private_segment_size 0
		.amdhsa_wavefront_size32 1
		.amdhsa_uses_dynamic_stack 0
		.amdhsa_enable_private_segment 0
		.amdhsa_system_sgpr_workgroup_id_x 1
		.amdhsa_system_sgpr_workgroup_id_y 0
		.amdhsa_system_sgpr_workgroup_id_z 0
		.amdhsa_system_sgpr_workgroup_info 0
		.amdhsa_system_vgpr_workitem_id 0
		.amdhsa_next_free_vgpr 1
		.amdhsa_next_free_sgpr 1
		.amdhsa_reserve_vcc 0
		.amdhsa_float_round_mode_32 0
		.amdhsa_float_round_mode_16_64 0
		.amdhsa_float_denorm_mode_32 3
		.amdhsa_float_denorm_mode_16_64 3
		.amdhsa_dx10_clamp 1
		.amdhsa_ieee_mode 1
		.amdhsa_fp16_overflow 0
		.amdhsa_workgroup_processor_mode 1
		.amdhsa_memory_ordered 1
		.amdhsa_forward_progress 0
		.amdhsa_shared_vgpr_count 0
		.amdhsa_exception_fp_ieee_invalid_op 0
		.amdhsa_exception_fp_denorm_src 0
		.amdhsa_exception_fp_ieee_div_zero 0
		.amdhsa_exception_fp_ieee_overflow 0
		.amdhsa_exception_fp_ieee_underflow 0
		.amdhsa_exception_fp_ieee_inexact 0
		.amdhsa_exception_int_div_zero 0
	.end_amdhsa_kernel
	.section	.text._ZN7rocprim17ROCPRIM_400000_NS6detail17trampoline_kernelINS0_14default_configENS1_37merge_sort_block_sort_config_selectorIlNS0_10empty_typeEEEZNS1_21merge_sort_block_sortIS3_PlS8_PS5_S9_ZN2at6native12_GLOBAL__N_124unique_dim_cuda_templateIaEESt5tupleIJNSA_6TensorESF_SF_EERKSF_lbbbEUlllE_EE10hipError_tT0_T1_T2_T3_mRjT4_P12ihipStream_tbNS1_7vsmem_tEEUlT_E_NS1_11comp_targetILNS1_3genE10ELNS1_11target_archE1200ELNS1_3gpuE4ELNS1_3repE0EEENS1_30default_config_static_selectorELNS0_4arch9wavefront6targetE0EEEvSM_,"axG",@progbits,_ZN7rocprim17ROCPRIM_400000_NS6detail17trampoline_kernelINS0_14default_configENS1_37merge_sort_block_sort_config_selectorIlNS0_10empty_typeEEEZNS1_21merge_sort_block_sortIS3_PlS8_PS5_S9_ZN2at6native12_GLOBAL__N_124unique_dim_cuda_templateIaEESt5tupleIJNSA_6TensorESF_SF_EERKSF_lbbbEUlllE_EE10hipError_tT0_T1_T2_T3_mRjT4_P12ihipStream_tbNS1_7vsmem_tEEUlT_E_NS1_11comp_targetILNS1_3genE10ELNS1_11target_archE1200ELNS1_3gpuE4ELNS1_3repE0EEENS1_30default_config_static_selectorELNS0_4arch9wavefront6targetE0EEEvSM_,comdat
.Lfunc_end267:
	.size	_ZN7rocprim17ROCPRIM_400000_NS6detail17trampoline_kernelINS0_14default_configENS1_37merge_sort_block_sort_config_selectorIlNS0_10empty_typeEEEZNS1_21merge_sort_block_sortIS3_PlS8_PS5_S9_ZN2at6native12_GLOBAL__N_124unique_dim_cuda_templateIaEESt5tupleIJNSA_6TensorESF_SF_EERKSF_lbbbEUlllE_EE10hipError_tT0_T1_T2_T3_mRjT4_P12ihipStream_tbNS1_7vsmem_tEEUlT_E_NS1_11comp_targetILNS1_3genE10ELNS1_11target_archE1200ELNS1_3gpuE4ELNS1_3repE0EEENS1_30default_config_static_selectorELNS0_4arch9wavefront6targetE0EEEvSM_, .Lfunc_end267-_ZN7rocprim17ROCPRIM_400000_NS6detail17trampoline_kernelINS0_14default_configENS1_37merge_sort_block_sort_config_selectorIlNS0_10empty_typeEEEZNS1_21merge_sort_block_sortIS3_PlS8_PS5_S9_ZN2at6native12_GLOBAL__N_124unique_dim_cuda_templateIaEESt5tupleIJNSA_6TensorESF_SF_EERKSF_lbbbEUlllE_EE10hipError_tT0_T1_T2_T3_mRjT4_P12ihipStream_tbNS1_7vsmem_tEEUlT_E_NS1_11comp_targetILNS1_3genE10ELNS1_11target_archE1200ELNS1_3gpuE4ELNS1_3repE0EEENS1_30default_config_static_selectorELNS0_4arch9wavefront6targetE0EEEvSM_
                                        ; -- End function
	.section	.AMDGPU.csdata,"",@progbits
; Kernel info:
; codeLenInByte = 0
; NumSgprs: 0
; NumVgprs: 0
; ScratchSize: 0
; MemoryBound: 0
; FloatMode: 240
; IeeeMode: 1
; LDSByteSize: 0 bytes/workgroup (compile time only)
; SGPRBlocks: 0
; VGPRBlocks: 0
; NumSGPRsForWavesPerEU: 1
; NumVGPRsForWavesPerEU: 1
; Occupancy: 16
; WaveLimiterHint : 0
; COMPUTE_PGM_RSRC2:SCRATCH_EN: 0
; COMPUTE_PGM_RSRC2:USER_SGPR: 15
; COMPUTE_PGM_RSRC2:TRAP_HANDLER: 0
; COMPUTE_PGM_RSRC2:TGID_X_EN: 1
; COMPUTE_PGM_RSRC2:TGID_Y_EN: 0
; COMPUTE_PGM_RSRC2:TGID_Z_EN: 0
; COMPUTE_PGM_RSRC2:TIDIG_COMP_CNT: 0
	.section	.text._ZN7rocprim17ROCPRIM_400000_NS6detail17trampoline_kernelINS0_14default_configENS1_37merge_sort_block_sort_config_selectorIlNS0_10empty_typeEEEZNS1_21merge_sort_block_sortIS3_PlS8_PS5_S9_ZN2at6native12_GLOBAL__N_124unique_dim_cuda_templateIaEESt5tupleIJNSA_6TensorESF_SF_EERKSF_lbbbEUlllE_EE10hipError_tT0_T1_T2_T3_mRjT4_P12ihipStream_tbNS1_7vsmem_tEEUlT_E_NS1_11comp_targetILNS1_3genE9ELNS1_11target_archE1100ELNS1_3gpuE3ELNS1_3repE0EEENS1_30default_config_static_selectorELNS0_4arch9wavefront6targetE0EEEvSM_,"axG",@progbits,_ZN7rocprim17ROCPRIM_400000_NS6detail17trampoline_kernelINS0_14default_configENS1_37merge_sort_block_sort_config_selectorIlNS0_10empty_typeEEEZNS1_21merge_sort_block_sortIS3_PlS8_PS5_S9_ZN2at6native12_GLOBAL__N_124unique_dim_cuda_templateIaEESt5tupleIJNSA_6TensorESF_SF_EERKSF_lbbbEUlllE_EE10hipError_tT0_T1_T2_T3_mRjT4_P12ihipStream_tbNS1_7vsmem_tEEUlT_E_NS1_11comp_targetILNS1_3genE9ELNS1_11target_archE1100ELNS1_3gpuE3ELNS1_3repE0EEENS1_30default_config_static_selectorELNS0_4arch9wavefront6targetE0EEEvSM_,comdat
	.globl	_ZN7rocprim17ROCPRIM_400000_NS6detail17trampoline_kernelINS0_14default_configENS1_37merge_sort_block_sort_config_selectorIlNS0_10empty_typeEEEZNS1_21merge_sort_block_sortIS3_PlS8_PS5_S9_ZN2at6native12_GLOBAL__N_124unique_dim_cuda_templateIaEESt5tupleIJNSA_6TensorESF_SF_EERKSF_lbbbEUlllE_EE10hipError_tT0_T1_T2_T3_mRjT4_P12ihipStream_tbNS1_7vsmem_tEEUlT_E_NS1_11comp_targetILNS1_3genE9ELNS1_11target_archE1100ELNS1_3gpuE3ELNS1_3repE0EEENS1_30default_config_static_selectorELNS0_4arch9wavefront6targetE0EEEvSM_ ; -- Begin function _ZN7rocprim17ROCPRIM_400000_NS6detail17trampoline_kernelINS0_14default_configENS1_37merge_sort_block_sort_config_selectorIlNS0_10empty_typeEEEZNS1_21merge_sort_block_sortIS3_PlS8_PS5_S9_ZN2at6native12_GLOBAL__N_124unique_dim_cuda_templateIaEESt5tupleIJNSA_6TensorESF_SF_EERKSF_lbbbEUlllE_EE10hipError_tT0_T1_T2_T3_mRjT4_P12ihipStream_tbNS1_7vsmem_tEEUlT_E_NS1_11comp_targetILNS1_3genE9ELNS1_11target_archE1100ELNS1_3gpuE3ELNS1_3repE0EEENS1_30default_config_static_selectorELNS0_4arch9wavefront6targetE0EEEvSM_
	.p2align	8
	.type	_ZN7rocprim17ROCPRIM_400000_NS6detail17trampoline_kernelINS0_14default_configENS1_37merge_sort_block_sort_config_selectorIlNS0_10empty_typeEEEZNS1_21merge_sort_block_sortIS3_PlS8_PS5_S9_ZN2at6native12_GLOBAL__N_124unique_dim_cuda_templateIaEESt5tupleIJNSA_6TensorESF_SF_EERKSF_lbbbEUlllE_EE10hipError_tT0_T1_T2_T3_mRjT4_P12ihipStream_tbNS1_7vsmem_tEEUlT_E_NS1_11comp_targetILNS1_3genE9ELNS1_11target_archE1100ELNS1_3gpuE3ELNS1_3repE0EEENS1_30default_config_static_selectorELNS0_4arch9wavefront6targetE0EEEvSM_,@function
_ZN7rocprim17ROCPRIM_400000_NS6detail17trampoline_kernelINS0_14default_configENS1_37merge_sort_block_sort_config_selectorIlNS0_10empty_typeEEEZNS1_21merge_sort_block_sortIS3_PlS8_PS5_S9_ZN2at6native12_GLOBAL__N_124unique_dim_cuda_templateIaEESt5tupleIJNSA_6TensorESF_SF_EERKSF_lbbbEUlllE_EE10hipError_tT0_T1_T2_T3_mRjT4_P12ihipStream_tbNS1_7vsmem_tEEUlT_E_NS1_11comp_targetILNS1_3genE9ELNS1_11target_archE1100ELNS1_3gpuE3ELNS1_3repE0EEENS1_30default_config_static_selectorELNS0_4arch9wavefront6targetE0EEEvSM_: ; @_ZN7rocprim17ROCPRIM_400000_NS6detail17trampoline_kernelINS0_14default_configENS1_37merge_sort_block_sort_config_selectorIlNS0_10empty_typeEEEZNS1_21merge_sort_block_sortIS3_PlS8_PS5_S9_ZN2at6native12_GLOBAL__N_124unique_dim_cuda_templateIaEESt5tupleIJNSA_6TensorESF_SF_EERKSF_lbbbEUlllE_EE10hipError_tT0_T1_T2_T3_mRjT4_P12ihipStream_tbNS1_7vsmem_tEEUlT_E_NS1_11comp_targetILNS1_3genE9ELNS1_11target_archE1100ELNS1_3gpuE3ELNS1_3repE0EEENS1_30default_config_static_selectorELNS0_4arch9wavefront6targetE0EEEvSM_
; %bb.0:
	s_clause 0x1
	s_load_b64 s[6:7], s[0:1], 0x48
	s_load_b32 s3, s[0:1], 0x0
	s_add_u32 s4, s0, 0x48
	s_addc_u32 s5, s1, 0
	s_waitcnt lgkmcnt(0)
	s_mul_i32 s2, s7, s15
	s_delay_alu instid0(SALU_CYCLE_1) | instskip(NEXT) | instid1(SALU_CYCLE_1)
	s_add_i32 s2, s2, s14
	s_mul_i32 s2, s2, s6
	s_delay_alu instid0(SALU_CYCLE_1) | instskip(NEXT) | instid1(SALU_CYCLE_1)
	s_add_i32 s2, s2, s13
	s_cmp_ge_u32 s2, s3
	s_cbranch_scc1 .LBB268_878
; %bb.1:
	s_clause 0x2
	s_load_b64 s[18:19], s[0:1], 0x8
	s_load_b128 s[8:11], s[0:1], 0x38
	s_load_b128 s[20:23], s[0:1], 0x18
	v_and_b32_e32 v12, 0x3ff, v0
	s_mov_b32 s3, 0
	v_bfe_u32 v28, v0, 10, 10
	s_lshl_b64 s[0:1], s[2:3], 13
	v_bfe_u32 v29, v0, 20, 10
	v_lshlrev_b32_e32 v26, 3, v12
	v_lshrrev_b32_e32 v31, 2, v12
	v_add_nc_u32_e32 v34, 0x100, v12
	v_add_nc_u32_e32 v33, 0x200, v12
	;; [unrolled: 1-line block ×3, first 2 shown]
	v_lshlrev_b32_e32 v27, 2, v12
	v_lshrrev_b32_e32 v30, 3, v12
	s_waitcnt lgkmcnt(0)
	s_lshr_b64 s[24:25], s[18:19], 10
	v_cmp_gt_i64_e64 s7, s[8:9], 0
	s_add_u32 s16, s20, s0
	s_addc_u32 s17, s21, s1
	s_add_u32 s14, s22, s0
	s_addc_u32 s15, s23, s1
	s_cmp_lg_u64 s[24:25], s[2:3]
	s_cbranch_scc0 .LBB268_8
; %bb.2:
	v_add_co_u32 v0, s0, s16, v26
	s_delay_alu instid0(VALU_DEP_1) | instskip(SKIP_1) | instid1(VALU_DEP_3)
	v_add_co_ci_u32_e64 v1, null, s17, 0, s0
	v_lshrrev_b32_e32 v8, 2, v34
	v_add_co_u32 v0, vcc_lo, 0x1000, v0
	s_delay_alu instid0(VALU_DEP_3)
	v_add_co_ci_u32_e32 v1, vcc_lo, 0, v1, vcc_lo
	v_lshrrev_b32_e32 v9, 2, v33
	s_clause 0x3
	global_load_b64 v[2:3], v26, s[16:17]
	global_load_b64 v[4:5], v26, s[16:17] offset:2048
	global_load_b64 v[6:7], v[0:1], off
	global_load_b64 v[0:1], v[0:1], off offset:2048
	v_lshrrev_b32_e32 v10, 2, v32
	v_and_b32_e32 v11, 0xf8, v31
	v_dual_mov_b32 v13, 0 :: v_dual_and_b32 v8, 0x1f8, v8
	v_and_b32_e32 v9, 0x1f8, v9
	s_delay_alu instid0(VALU_DEP_4) | instskip(NEXT) | instid1(VALU_DEP_4)
	v_and_b32_e32 v10, 0x1f8, v10
	v_add_nc_u32_e32 v35, v11, v26
	v_add_lshl_u32 v39, v30, v27, 3
	v_add_nc_u32_e32 v38, v8, v26
	v_add_nc_u32_e32 v36, v9, v26
	;; [unrolled: 1-line block ×3, first 2 shown]
	s_waitcnt vmcnt(3)
	ds_store_b64 v35, v[2:3]
	s_waitcnt vmcnt(2)
	ds_store_b64 v38, v[4:5] offset:2048
	s_waitcnt vmcnt(1)
	ds_store_b64 v36, v[6:7] offset:4096
	;; [unrolled: 2-line block ×3, first 2 shown]
	s_waitcnt lgkmcnt(0)
	s_barrier
	buffer_gl0_inv
	ds_load_2addr_b64 v[8:11], v39 offset1:1
	ds_load_2addr_b64 v[4:7], v39 offset0:2 offset1:3
	s_waitcnt lgkmcnt(0)
	s_barrier
	buffer_gl0_inv
	s_load_b32 s0, s[4:5], 0xc
	v_dual_mov_b32 v3, v11 :: v_dual_mov_b32 v2, v10
	s_waitcnt lgkmcnt(0)
	s_lshr_b32 s12, s0, 16
	s_cmp_lt_u32 s13, s6
	v_mad_u32_u24 v1, v29, s12, v28
	s_cselect_b32 s0, 12, 18
	s_mov_b32 s12, exec_lo
	s_add_u32 s0, s4, s0
	s_addc_u32 s1, s5, 0
	global_load_u16 v0, v13, s[0:1]
	s_waitcnt vmcnt(0)
	v_mul_lo_u32 v0, v1, v0
	v_mov_b32_e32 v1, v9
	s_delay_alu instid0(VALU_DEP_2) | instskip(SKIP_1) | instid1(VALU_DEP_2)
	v_add_lshl_u32 v40, v0, v12, 2
	v_mov_b32_e32 v0, v8
	v_cmpx_gt_u32_e32 0x400, v40
	s_cbranch_execz .LBB268_62
; %bb.3:
	s_and_not1_b32 vcc_lo, exec_lo, s7
	s_cbranch_vccnz .LBB268_14
; %bb.4:
	v_mad_u64_u32 v[14:15], null, v10, s8, s[10:11]
	v_mul_lo_u32 v18, v10, s9
	v_mul_lo_u32 v19, v11, s8
	v_mad_u64_u32 v[16:17], null, v8, s8, s[10:11]
	v_mul_lo_u32 v20, v8, s9
	v_mul_lo_u32 v21, v9, s8
	s_mov_b32 s22, 0
	s_mov_b64 s[20:21], s[8:9]
                                        ; implicit-def: $sgpr19
                                        ; implicit-def: $sgpr23
                                        ; implicit-def: $sgpr25
                                        ; implicit-def: $sgpr24
                                        ; implicit-def: $sgpr26
                                        ; implicit-def: $sgpr27
	s_delay_alu instid0(VALU_DEP_4) | instskip(NEXT) | instid1(VALU_DEP_2)
	v_add3_u32 v15, v19, v15, v18
	v_add3_u32 v17, v21, v17, v20
	s_branch .LBB268_6
.LBB268_5:                              ;   in Loop: Header=BB268_6 Depth=1
	s_or_b32 exec_lo, exec_lo, s28
	s_delay_alu instid0(SALU_CYCLE_1) | instskip(NEXT) | instid1(SALU_CYCLE_1)
	s_and_b32 s1, exec_lo, s25
	s_or_b32 s22, s1, s22
	s_and_not1_b32 s1, s27, exec_lo
	s_and_b32 s27, s26, exec_lo
	s_and_not1_b32 s23, s23, exec_lo
	s_or_b32 s27, s1, s27
	s_and_b32 s1, s24, exec_lo
	s_and_not1_b32 s19, s19, exec_lo
	s_and_b32 s0, s0, exec_lo
	s_or_b32 s23, s23, s1
	s_or_b32 s19, s19, s0
	s_and_not1_b32 exec_lo, exec_lo, s22
	s_cbranch_execz .LBB268_9
.LBB268_6:                              ; =>This Inner Loop Header: Depth=1
	global_load_u8 v18, v[14:15], off
	global_load_u8 v19, v[16:17], off
	s_and_not1_b32 s26, s26, exec_lo
	s_or_b32 s24, s24, exec_lo
	s_or_b32 s25, s25, exec_lo
	s_waitcnt vmcnt(1)
	v_bfe_i32 v20, v18, 0, 8
	s_waitcnt vmcnt(0)
	v_bfe_i32 v21, v19, 0, 8
	v_and_b32_e32 v18, 0xff, v18
	v_and_b32_e32 v19, 0xff, v19
	s_delay_alu instid0(VALU_DEP_3)
	v_cmp_le_i16_e32 vcc_lo, v20, v21
	v_cmp_lt_i16_e64 s0, v20, v21
	s_and_b32 s28, vcc_lo, s27
	s_delay_alu instid0(VALU_DEP_1) | instid1(SALU_CYCLE_1)
	s_or_b32 s0, s0, s28
	s_mov_b32 s28, exec_lo
	v_cmpx_eq_u16_e64 v18, v19
	s_cbranch_execz .LBB268_5
; %bb.7:                                ;   in Loop: Header=BB268_6 Depth=1
	s_add_u32 s20, s20, -1
	s_addc_u32 s21, s21, -1
	v_add_co_u32 v14, vcc_lo, v14, 1
	s_cmp_eq_u64 s[20:21], 0
	v_add_co_ci_u32_e32 v15, vcc_lo, 0, v15, vcc_lo
	v_add_co_u32 v16, vcc_lo, v16, 1
	s_cselect_b32 s1, -1, 0
	v_add_co_ci_u32_e32 v17, vcc_lo, 0, v17, vcc_lo
	s_and_not1_b32 s26, s26, exec_lo
	s_and_b32 s27, s0, exec_lo
	s_and_not1_b32 s25, s25, exec_lo
	s_and_b32 s1, s1, exec_lo
	s_or_b32 s26, s26, s27
	s_and_not1_b32 s24, s24, exec_lo
	s_or_b32 s25, s25, s1
                                        ; implicit-def: $sgpr27
	s_branch .LBB268_5
.LBB268_8:
	s_mov_b32 s19, s3
                                        ; implicit-def: $vgpr0_vgpr1
	s_cbranch_execnz .LBB268_520
	s_branch .LBB268_876
.LBB268_9:
	s_or_b32 exec_lo, exec_lo, s22
	s_and_saveexec_b32 s0, s23
	s_delay_alu instid0(SALU_CYCLE_1)
	s_xor_b32 s0, exec_lo, s0
	s_cbranch_execz .LBB268_13
; %bb.10:
	v_dual_mov_b32 v15, v11 :: v_dual_mov_b32 v14, v10
	s_and_saveexec_b32 s1, s19
; %bb.11:
	v_dual_mov_b32 v0, v10 :: v_dual_mov_b32 v1, v11
	v_dual_mov_b32 v2, v8 :: v_dual_mov_b32 v3, v9
	;; [unrolled: 1-line block ×4, first 2 shown]
; %bb.12:
	s_or_b32 exec_lo, exec_lo, s1
	s_delay_alu instid0(VALU_DEP_2)
	v_dual_mov_b32 v10, v14 :: v_dual_mov_b32 v11, v15
.LBB268_13:
	s_or_b32 exec_lo, exec_lo, s0
.LBB268_14:
	v_mul_lo_u32 v20, v5, s8
	v_mul_lo_u32 v21, v4, s9
	v_mad_u64_u32 v[18:19], null, v4, s8, 0
	v_dual_mov_b32 v16, v6 :: v_dual_mov_b32 v17, v7
	v_dual_mov_b32 v14, v4 :: v_dual_mov_b32 v15, v5
	s_and_not1_b32 vcc_lo, exec_lo, s7
	s_delay_alu instid0(VALU_DEP_3)
	v_add3_u32 v19, v19, v21, v20
	s_cbranch_vccnz .LBB268_24
; %bb.15:
	v_mul_lo_u32 v22, v7, s8
	v_mul_lo_u32 v23, v6, s9
	v_mad_u64_u32 v[20:21], null, v6, s8, 0
	s_mov_b32 s22, 0
	s_mov_b64 s[20:21], s[8:9]
                                        ; implicit-def: $sgpr19
                                        ; implicit-def: $sgpr23
                                        ; implicit-def: $sgpr25
                                        ; implicit-def: $sgpr24
                                        ; implicit-def: $sgpr26
                                        ; implicit-def: $sgpr27
	s_delay_alu instid0(VALU_DEP_1) | instskip(NEXT) | instid1(VALU_DEP_2)
	v_add3_u32 v21, v21, v23, v22
	v_add_co_u32 v22, vcc_lo, s10, v20
	s_delay_alu instid0(VALU_DEP_2)
	v_add_co_ci_u32_e32 v23, vcc_lo, s11, v21, vcc_lo
	v_add_co_u32 v24, vcc_lo, s10, v18
	v_add_co_ci_u32_e32 v25, vcc_lo, s11, v19, vcc_lo
	s_branch .LBB268_17
.LBB268_16:                             ;   in Loop: Header=BB268_17 Depth=1
	s_or_b32 exec_lo, exec_lo, s28
	s_delay_alu instid0(SALU_CYCLE_1) | instskip(NEXT) | instid1(SALU_CYCLE_1)
	s_and_b32 s1, exec_lo, s25
	s_or_b32 s22, s1, s22
	s_and_not1_b32 s1, s27, exec_lo
	s_and_b32 s27, s26, exec_lo
	s_and_not1_b32 s23, s23, exec_lo
	s_or_b32 s27, s1, s27
	s_and_b32 s1, s24, exec_lo
	s_and_not1_b32 s19, s19, exec_lo
	s_and_b32 s0, s0, exec_lo
	s_or_b32 s23, s23, s1
	s_or_b32 s19, s19, s0
	s_and_not1_b32 exec_lo, exec_lo, s22
	s_cbranch_execz .LBB268_19
.LBB268_17:                             ; =>This Inner Loop Header: Depth=1
	global_load_u8 v41, v[22:23], off
	global_load_u8 v42, v[24:25], off
	s_and_not1_b32 s26, s26, exec_lo
	s_or_b32 s24, s24, exec_lo
	s_or_b32 s25, s25, exec_lo
	s_waitcnt vmcnt(1)
	v_bfe_i32 v43, v41, 0, 8
	s_waitcnt vmcnt(0)
	v_bfe_i32 v44, v42, 0, 8
	v_and_b32_e32 v41, 0xff, v41
	v_and_b32_e32 v42, 0xff, v42
	s_delay_alu instid0(VALU_DEP_3)
	v_cmp_le_i16_e32 vcc_lo, v43, v44
	v_cmp_lt_i16_e64 s0, v43, v44
	s_and_b32 s28, vcc_lo, s27
	s_delay_alu instid0(VALU_DEP_1) | instid1(SALU_CYCLE_1)
	s_or_b32 s0, s0, s28
	s_mov_b32 s28, exec_lo
	v_cmpx_eq_u16_e64 v41, v42
	s_cbranch_execz .LBB268_16
; %bb.18:                               ;   in Loop: Header=BB268_17 Depth=1
	s_add_u32 s20, s20, -1
	s_addc_u32 s21, s21, -1
	v_add_co_u32 v22, vcc_lo, v22, 1
	s_cmp_eq_u64 s[20:21], 0
	v_add_co_ci_u32_e32 v23, vcc_lo, 0, v23, vcc_lo
	v_add_co_u32 v24, vcc_lo, v24, 1
	s_cselect_b32 s1, -1, 0
	v_add_co_ci_u32_e32 v25, vcc_lo, 0, v25, vcc_lo
	s_and_not1_b32 s26, s26, exec_lo
	s_and_b32 s27, s0, exec_lo
	s_and_not1_b32 s25, s25, exec_lo
	s_and_b32 s1, s1, exec_lo
	s_or_b32 s26, s26, s27
	s_and_not1_b32 s24, s24, exec_lo
	s_or_b32 s25, s25, s1
                                        ; implicit-def: $sgpr27
	s_branch .LBB268_16
.LBB268_19:
	s_or_b32 exec_lo, exec_lo, s22
	s_and_saveexec_b32 s0, s23
	s_delay_alu instid0(SALU_CYCLE_1)
	s_xor_b32 s0, exec_lo, s0
	s_cbranch_execz .LBB268_23
; %bb.20:
	s_and_saveexec_b32 s1, s19
	s_cbranch_execz .LBB268_22
; %bb.21:
	v_dual_mov_b32 v41, v0 :: v_dual_mov_b32 v42, v1
	v_dual_mov_b32 v43, v2 :: v_dual_mov_b32 v44, v3
	;; [unrolled: 1-line block ×12, first 2 shown]
.LBB268_22:
	s_or_b32 exec_lo, exec_lo, s1
.LBB268_23:
	s_delay_alu instid0(SALU_CYCLE_1)
	s_or_b32 exec_lo, exec_lo, s0
.LBB268_24:
	v_mul_lo_u32 v22, v11, s8
	v_mul_lo_u32 v23, v10, s9
	v_mad_u64_u32 v[20:21], null, v10, s8, 0
	s_and_not1_b32 vcc_lo, exec_lo, s7
	s_delay_alu instid0(VALU_DEP_1)
	v_add3_u32 v21, v21, v23, v22
	s_cbranch_vccnz .LBB268_34
; %bb.25:
	s_mov_b32 s24, 0
	s_mov_b64 s[20:21], s[8:9]
	s_mov_b64 s[22:23], s[10:11]
                                        ; implicit-def: $sgpr19
                                        ; implicit-def: $sgpr25
                                        ; implicit-def: $sgpr27
                                        ; implicit-def: $sgpr26
                                        ; implicit-def: $sgpr28
                                        ; implicit-def: $sgpr29
	s_branch .LBB268_27
.LBB268_26:                             ;   in Loop: Header=BB268_27 Depth=1
	s_or_b32 exec_lo, exec_lo, s30
	s_delay_alu instid0(SALU_CYCLE_1) | instskip(NEXT) | instid1(SALU_CYCLE_1)
	s_and_b32 s1, exec_lo, s27
	s_or_b32 s24, s1, s24
	s_and_not1_b32 s1, s29, exec_lo
	s_and_b32 s29, s28, exec_lo
	s_and_not1_b32 s25, s25, exec_lo
	s_or_b32 s29, s1, s29
	s_and_b32 s1, s26, exec_lo
	s_and_not1_b32 s19, s19, exec_lo
	s_and_b32 s0, s0, exec_lo
	s_or_b32 s25, s25, s1
	s_or_b32 s19, s19, s0
	s_and_not1_b32 exec_lo, exec_lo, s24
	s_cbranch_execz .LBB268_29
.LBB268_27:                             ; =>This Inner Loop Header: Depth=1
	v_add_co_u32 v22, vcc_lo, s22, v18
	v_add_co_ci_u32_e32 v23, vcc_lo, s23, v19, vcc_lo
	v_add_co_u32 v24, vcc_lo, s22, v20
	v_add_co_ci_u32_e32 v25, vcc_lo, s23, v21, vcc_lo
	s_and_not1_b32 s28, s28, exec_lo
	s_clause 0x1
	global_load_u8 v22, v[22:23], off
	global_load_u8 v23, v[24:25], off
	s_or_b32 s26, s26, exec_lo
	s_or_b32 s27, s27, exec_lo
	s_waitcnt vmcnt(1)
	v_bfe_i32 v24, v22, 0, 8
	s_waitcnt vmcnt(0)
	v_bfe_i32 v25, v23, 0, 8
	v_and_b32_e32 v22, 0xff, v22
	v_and_b32_e32 v23, 0xff, v23
	s_delay_alu instid0(VALU_DEP_3)
	v_cmp_le_i16_e32 vcc_lo, v24, v25
	v_cmp_lt_i16_e64 s0, v24, v25
	s_and_b32 s30, vcc_lo, s29
	s_delay_alu instid0(VALU_DEP_1) | instid1(SALU_CYCLE_1)
	s_or_b32 s0, s0, s30
	s_mov_b32 s30, exec_lo
	v_cmpx_eq_u16_e64 v22, v23
	s_cbranch_execz .LBB268_26
; %bb.28:                               ;   in Loop: Header=BB268_27 Depth=1
	s_add_u32 s22, s22, 1
	s_addc_u32 s23, s23, 0
	s_add_u32 s20, s20, -1
	s_addc_u32 s21, s21, -1
	s_delay_alu instid0(SALU_CYCLE_1)
	s_cmp_eq_u64 s[20:21], 0
	s_cselect_b32 s1, -1, 0
	s_and_not1_b32 s28, s28, exec_lo
	s_and_b32 s29, s0, exec_lo
	s_and_not1_b32 s27, s27, exec_lo
	s_and_b32 s1, s1, exec_lo
	s_or_b32 s28, s28, s29
	s_and_not1_b32 s26, s26, exec_lo
	s_or_b32 s27, s27, s1
                                        ; implicit-def: $sgpr29
	s_branch .LBB268_26
.LBB268_29:
	s_or_b32 exec_lo, exec_lo, s24
	s_and_saveexec_b32 s0, s25
	s_delay_alu instid0(SALU_CYCLE_1)
	s_xor_b32 s0, exec_lo, s0
	s_cbranch_execz .LBB268_33
; %bb.30:
	v_dual_mov_b32 v23, v11 :: v_dual_mov_b32 v22, v10
	s_and_saveexec_b32 s1, s19
; %bb.31:
	v_dual_mov_b32 v2, v14 :: v_dual_mov_b32 v3, v15
	v_dual_mov_b32 v4, v10 :: v_dual_mov_b32 v5, v11
	;; [unrolled: 1-line block ×5, first 2 shown]
; %bb.32:
	s_or_b32 exec_lo, exec_lo, s1
	s_delay_alu instid0(VALU_DEP_3)
	v_dual_mov_b32 v10, v22 :: v_dual_mov_b32 v11, v23
.LBB268_33:
	s_or_b32 exec_lo, exec_lo, s0
.LBB268_34:
	s_delay_alu instid0(SALU_CYCLE_1)
	s_and_not1_b32 vcc_lo, exec_lo, s7
	s_cbranch_vccnz .LBB268_44
; %bb.35:
	v_mad_u64_u32 v[18:19], null, v8, s8, s[10:11]
	v_mul_lo_u32 v22, v8, s9
	v_mul_lo_u32 v23, v9, s8
	v_add_co_u32 v20, vcc_lo, s10, v20
	v_add_co_ci_u32_e32 v21, vcc_lo, s11, v21, vcc_lo
	s_mov_b32 s22, 0
	s_mov_b64 s[20:21], s[8:9]
                                        ; implicit-def: $sgpr19
                                        ; implicit-def: $sgpr23
                                        ; implicit-def: $sgpr25
                                        ; implicit-def: $sgpr24
                                        ; implicit-def: $sgpr26
                                        ; implicit-def: $sgpr27
	s_delay_alu instid0(VALU_DEP_3)
	v_add3_u32 v19, v23, v19, v22
	s_branch .LBB268_37
.LBB268_36:                             ;   in Loop: Header=BB268_37 Depth=1
	s_or_b32 exec_lo, exec_lo, s28
	s_delay_alu instid0(SALU_CYCLE_1) | instskip(NEXT) | instid1(SALU_CYCLE_1)
	s_and_b32 s1, exec_lo, s25
	s_or_b32 s22, s1, s22
	s_and_not1_b32 s1, s27, exec_lo
	s_and_b32 s27, s26, exec_lo
	s_and_not1_b32 s23, s23, exec_lo
	s_or_b32 s27, s1, s27
	s_and_b32 s1, s24, exec_lo
	s_and_not1_b32 s19, s19, exec_lo
	s_and_b32 s0, s0, exec_lo
	s_or_b32 s23, s23, s1
	s_or_b32 s19, s19, s0
	s_and_not1_b32 exec_lo, exec_lo, s22
	s_cbranch_execz .LBB268_39
.LBB268_37:                             ; =>This Inner Loop Header: Depth=1
	global_load_u8 v22, v[20:21], off
	global_load_u8 v23, v[18:19], off
	s_and_not1_b32 s26, s26, exec_lo
	s_or_b32 s24, s24, exec_lo
	s_or_b32 s25, s25, exec_lo
	s_waitcnt vmcnt(1)
	v_bfe_i32 v24, v22, 0, 8
	s_waitcnt vmcnt(0)
	v_bfe_i32 v25, v23, 0, 8
	v_and_b32_e32 v22, 0xff, v22
	v_and_b32_e32 v23, 0xff, v23
	s_delay_alu instid0(VALU_DEP_3)
	v_cmp_le_i16_e32 vcc_lo, v24, v25
	v_cmp_lt_i16_e64 s0, v24, v25
	s_and_b32 s28, vcc_lo, s27
	s_delay_alu instid0(VALU_DEP_1) | instid1(SALU_CYCLE_1)
	s_or_b32 s0, s0, s28
	s_mov_b32 s28, exec_lo
	v_cmpx_eq_u16_e64 v22, v23
	s_cbranch_execz .LBB268_36
; %bb.38:                               ;   in Loop: Header=BB268_37 Depth=1
	s_add_u32 s20, s20, -1
	s_addc_u32 s21, s21, -1
	v_add_co_u32 v20, vcc_lo, v20, 1
	s_cmp_eq_u64 s[20:21], 0
	v_add_co_ci_u32_e32 v21, vcc_lo, 0, v21, vcc_lo
	v_add_co_u32 v18, vcc_lo, v18, 1
	s_cselect_b32 s1, -1, 0
	v_add_co_ci_u32_e32 v19, vcc_lo, 0, v19, vcc_lo
	s_and_not1_b32 s26, s26, exec_lo
	s_and_b32 s27, s0, exec_lo
	s_and_not1_b32 s25, s25, exec_lo
	s_and_b32 s1, s1, exec_lo
	s_or_b32 s26, s26, s27
	s_and_not1_b32 s24, s24, exec_lo
	s_or_b32 s25, s25, s1
                                        ; implicit-def: $sgpr27
	s_branch .LBB268_36
.LBB268_39:
	s_or_b32 exec_lo, exec_lo, s22
	s_and_saveexec_b32 s0, s23
	s_delay_alu instid0(SALU_CYCLE_1)
	s_xor_b32 s0, exec_lo, s0
	s_cbranch_execz .LBB268_43
; %bb.40:
	v_dual_mov_b32 v19, v11 :: v_dual_mov_b32 v18, v10
	s_and_saveexec_b32 s1, s19
; %bb.41:
	v_dual_mov_b32 v0, v10 :: v_dual_mov_b32 v1, v11
	v_dual_mov_b32 v2, v8 :: v_dual_mov_b32 v3, v9
	;; [unrolled: 1-line block ×4, first 2 shown]
; %bb.42:
	s_or_b32 exec_lo, exec_lo, s1
	s_delay_alu instid0(VALU_DEP_2)
	v_dual_mov_b32 v10, v18 :: v_dual_mov_b32 v11, v19
.LBB268_43:
	s_or_b32 exec_lo, exec_lo, s0
.LBB268_44:
	v_mul_lo_u32 v20, v15, s8
	v_mul_lo_u32 v21, v14, s9
	v_mad_u64_u32 v[18:19], null, v14, s8, 0
	s_and_not1_b32 vcc_lo, exec_lo, s7
	s_delay_alu instid0(VALU_DEP_1)
	v_add3_u32 v19, v19, v21, v20
	s_cbranch_vccnz .LBB268_54
; %bb.45:
	v_mul_lo_u32 v22, v17, s8
	v_mul_lo_u32 v23, v16, s9
	v_mad_u64_u32 v[20:21], null, v16, s8, 0
	s_mov_b32 s22, 0
	s_mov_b64 s[20:21], s[8:9]
                                        ; implicit-def: $sgpr19
                                        ; implicit-def: $sgpr23
                                        ; implicit-def: $sgpr25
                                        ; implicit-def: $sgpr24
                                        ; implicit-def: $sgpr26
                                        ; implicit-def: $sgpr27
	s_delay_alu instid0(VALU_DEP_1) | instskip(NEXT) | instid1(VALU_DEP_2)
	v_add3_u32 v21, v21, v23, v22
	v_add_co_u32 v22, vcc_lo, s10, v20
	s_delay_alu instid0(VALU_DEP_2)
	v_add_co_ci_u32_e32 v23, vcc_lo, s11, v21, vcc_lo
	v_add_co_u32 v24, vcc_lo, s10, v18
	v_add_co_ci_u32_e32 v25, vcc_lo, s11, v19, vcc_lo
	s_branch .LBB268_47
.LBB268_46:                             ;   in Loop: Header=BB268_47 Depth=1
	s_or_b32 exec_lo, exec_lo, s28
	s_delay_alu instid0(SALU_CYCLE_1) | instskip(NEXT) | instid1(SALU_CYCLE_1)
	s_and_b32 s1, exec_lo, s25
	s_or_b32 s22, s1, s22
	s_and_not1_b32 s1, s27, exec_lo
	s_and_b32 s27, s26, exec_lo
	s_and_not1_b32 s23, s23, exec_lo
	s_or_b32 s27, s1, s27
	s_and_b32 s1, s24, exec_lo
	s_and_not1_b32 s19, s19, exec_lo
	s_and_b32 s0, s0, exec_lo
	s_or_b32 s23, s23, s1
	s_or_b32 s19, s19, s0
	s_and_not1_b32 exec_lo, exec_lo, s22
	s_cbranch_execz .LBB268_49
.LBB268_47:                             ; =>This Inner Loop Header: Depth=1
	global_load_u8 v41, v[22:23], off
	global_load_u8 v42, v[24:25], off
	s_and_not1_b32 s26, s26, exec_lo
	s_or_b32 s24, s24, exec_lo
	s_or_b32 s25, s25, exec_lo
	s_waitcnt vmcnt(1)
	v_bfe_i32 v43, v41, 0, 8
	s_waitcnt vmcnt(0)
	v_bfe_i32 v44, v42, 0, 8
	v_and_b32_e32 v41, 0xff, v41
	v_and_b32_e32 v42, 0xff, v42
	s_delay_alu instid0(VALU_DEP_3)
	v_cmp_le_i16_e32 vcc_lo, v43, v44
	v_cmp_lt_i16_e64 s0, v43, v44
	s_and_b32 s28, vcc_lo, s27
	s_delay_alu instid0(VALU_DEP_1) | instid1(SALU_CYCLE_1)
	s_or_b32 s0, s0, s28
	s_mov_b32 s28, exec_lo
	v_cmpx_eq_u16_e64 v41, v42
	s_cbranch_execz .LBB268_46
; %bb.48:                               ;   in Loop: Header=BB268_47 Depth=1
	s_add_u32 s20, s20, -1
	s_addc_u32 s21, s21, -1
	v_add_co_u32 v22, vcc_lo, v22, 1
	s_cmp_eq_u64 s[20:21], 0
	v_add_co_ci_u32_e32 v23, vcc_lo, 0, v23, vcc_lo
	v_add_co_u32 v24, vcc_lo, v24, 1
	s_cselect_b32 s1, -1, 0
	v_add_co_ci_u32_e32 v25, vcc_lo, 0, v25, vcc_lo
	s_and_not1_b32 s26, s26, exec_lo
	s_and_b32 s27, s0, exec_lo
	s_and_not1_b32 s25, s25, exec_lo
	s_and_b32 s1, s1, exec_lo
	s_or_b32 s26, s26, s27
	s_and_not1_b32 s24, s24, exec_lo
	s_or_b32 s25, s25, s1
                                        ; implicit-def: $sgpr27
	s_branch .LBB268_46
.LBB268_49:
	s_or_b32 exec_lo, exec_lo, s22
	s_and_saveexec_b32 s0, s23
	s_delay_alu instid0(SALU_CYCLE_1)
	s_xor_b32 s0, exec_lo, s0
	s_cbranch_execz .LBB268_53
; %bb.50:
	s_and_saveexec_b32 s1, s19
; %bb.51:
	v_dual_mov_b32 v4, v16 :: v_dual_mov_b32 v5, v17
	v_dual_mov_b32 v6, v14 :: v_dual_mov_b32 v7, v15
	;; [unrolled: 1-line block ×4, first 2 shown]
; %bb.52:
	s_or_b32 exec_lo, exec_lo, s1
.LBB268_53:
	s_delay_alu instid0(SALU_CYCLE_1)
	s_or_b32 exec_lo, exec_lo, s0
.LBB268_54:
	s_delay_alu instid0(SALU_CYCLE_1)
	s_and_not1_b32 vcc_lo, exec_lo, s7
	s_cbranch_vccnz .LBB268_62
; %bb.55:
	v_mad_u64_u32 v[16:17], null, v10, s8, s[10:11]
	v_mul_lo_u32 v20, v10, s9
	v_mul_lo_u32 v21, v11, s8
	v_add_co_u32 v18, vcc_lo, s10, v18
	v_add_co_ci_u32_e32 v19, vcc_lo, s11, v19, vcc_lo
	s_mov_b32 s19, 0
	s_mov_b64 s[20:21], s[8:9]
                                        ; implicit-def: $sgpr22
                                        ; implicit-def: $sgpr23
                                        ; implicit-def: $sgpr25
                                        ; implicit-def: $sgpr24
                                        ; implicit-def: $sgpr26
                                        ; implicit-def: $sgpr27
	s_delay_alu instid0(VALU_DEP_3)
	v_add3_u32 v17, v21, v17, v20
	s_branch .LBB268_57
.LBB268_56:                             ;   in Loop: Header=BB268_57 Depth=1
	s_or_b32 exec_lo, exec_lo, s28
	s_delay_alu instid0(SALU_CYCLE_1) | instskip(NEXT) | instid1(SALU_CYCLE_1)
	s_and_b32 s1, exec_lo, s25
	s_or_b32 s19, s1, s19
	s_and_not1_b32 s1, s27, exec_lo
	s_and_b32 s27, s26, exec_lo
	s_and_not1_b32 s23, s23, exec_lo
	s_or_b32 s27, s1, s27
	s_and_b32 s1, s24, exec_lo
	s_and_not1_b32 s22, s22, exec_lo
	s_and_b32 s0, s0, exec_lo
	s_or_b32 s23, s23, s1
	s_or_b32 s22, s22, s0
	s_and_not1_b32 exec_lo, exec_lo, s19
	s_cbranch_execz .LBB268_59
.LBB268_57:                             ; =>This Inner Loop Header: Depth=1
	global_load_u8 v20, v[18:19], off
	global_load_u8 v21, v[16:17], off
	s_and_not1_b32 s26, s26, exec_lo
	s_or_b32 s24, s24, exec_lo
	s_or_b32 s25, s25, exec_lo
	s_waitcnt vmcnt(1)
	v_bfe_i32 v22, v20, 0, 8
	s_waitcnt vmcnt(0)
	v_bfe_i32 v23, v21, 0, 8
	v_and_b32_e32 v20, 0xff, v20
	v_and_b32_e32 v21, 0xff, v21
	s_delay_alu instid0(VALU_DEP_3)
	v_cmp_le_i16_e32 vcc_lo, v22, v23
	v_cmp_lt_i16_e64 s0, v22, v23
	s_and_b32 s28, vcc_lo, s27
	s_delay_alu instid0(VALU_DEP_1) | instid1(SALU_CYCLE_1)
	s_or_b32 s0, s0, s28
	s_mov_b32 s28, exec_lo
	v_cmpx_eq_u16_e64 v20, v21
	s_cbranch_execz .LBB268_56
; %bb.58:                               ;   in Loop: Header=BB268_57 Depth=1
	s_add_u32 s20, s20, -1
	s_addc_u32 s21, s21, -1
	v_add_co_u32 v18, vcc_lo, v18, 1
	s_cmp_eq_u64 s[20:21], 0
	v_add_co_ci_u32_e32 v19, vcc_lo, 0, v19, vcc_lo
	v_add_co_u32 v16, vcc_lo, v16, 1
	s_cselect_b32 s1, -1, 0
	v_add_co_ci_u32_e32 v17, vcc_lo, 0, v17, vcc_lo
	s_and_not1_b32 s26, s26, exec_lo
	s_and_b32 s27, s0, exec_lo
	s_and_not1_b32 s25, s25, exec_lo
	s_and_b32 s1, s1, exec_lo
	s_or_b32 s26, s26, s27
	s_and_not1_b32 s24, s24, exec_lo
	s_or_b32 s25, s25, s1
                                        ; implicit-def: $sgpr27
	s_branch .LBB268_56
.LBB268_59:
	s_or_b32 exec_lo, exec_lo, s19
	s_and_saveexec_b32 s0, s23
	s_delay_alu instid0(SALU_CYCLE_1)
	s_xor_b32 s0, exec_lo, s0
; %bb.60:
	v_cndmask_b32_e64 v5, v5, v11, s22
	v_cndmask_b32_e64 v4, v4, v10, s22
	;; [unrolled: 1-line block ×4, first 2 shown]
; %bb.61:
	s_or_b32 exec_lo, exec_lo, s0
.LBB268_62:
	s_delay_alu instid0(SALU_CYCLE_1) | instskip(SKIP_4) | instid1(VALU_DEP_2)
	s_or_b32 exec_lo, exec_lo, s12
	v_mbcnt_lo_u32_b32 v11, -1, 0
	v_and_b32_e32 v10, 0xffffff80, v40
	s_mov_b32 s1, 0
	s_mov_b32 s12, exec_lo
	v_lshlrev_b32_e32 v18, 2, v11
	s_delay_alu instid0(VALU_DEP_2) | instskip(SKIP_2) | instid1(VALU_DEP_4)
	v_sub_nc_u32_e64 v17, 0x400, v10 clamp
	v_lshlrev_b32_e32 v16, 3, v10
	v_mov_b32_e32 v10, v2
	v_or_b32_e32 v14, 4, v18
	v_and_b32_e32 v19, 4, v18
	v_and_b32_e32 v22, 0x78, v18
	s_delay_alu instid0(VALU_DEP_3) | instskip(NEXT) | instid1(VALU_DEP_3)
	v_min_u32_e32 v14, v17, v14
	v_min_u32_e32 v23, v17, v19
	v_lshl_or_b32 v19, v11, 5, v16
	v_mov_b32_e32 v11, v3
	ds_store_b128 v19, v[8:11]
	ds_store_b128 v19, v[4:7] offset:16
	v_add_nc_u32_e32 v15, 4, v14
	v_sub_nc_u32_e32 v21, v14, v22
	; wave barrier
	s_delay_alu instid0(VALU_DEP_2) | instskip(NEXT) | instid1(VALU_DEP_2)
	v_min_u32_e32 v15, v17, v15
	v_min_u32_e32 v24, v23, v21
	v_lshl_or_b32 v21, v22, 3, v16
	s_delay_alu instid0(VALU_DEP_3) | instskip(NEXT) | instid1(VALU_DEP_1)
	v_sub_nc_u32_e32 v20, v15, v14
	v_sub_nc_u32_e64 v20, v23, v20 clamp
	s_delay_alu instid0(VALU_DEP_1)
	v_cmpx_lt_u32_e64 v20, v24
	s_cbranch_execz .LBB268_73
; %bb.63:
	v_lshlrev_b32_e32 v8, 3, v14
	v_lshlrev_b32_e32 v9, 3, v23
	s_delay_alu instid0(VALU_DEP_1)
	v_add3_u32 v25, v16, v8, v9
	s_branch .LBB268_66
.LBB268_64:                             ;   in Loop: Header=BB268_66 Depth=1
	s_or_b32 exec_lo, exec_lo, s19
.LBB268_65:                             ;   in Loop: Header=BB268_66 Depth=1
	s_delay_alu instid0(VALU_DEP_1) | instskip(SKIP_1) | instid1(VALU_DEP_2)
	v_add_nc_u32_e32 v8, 1, v40
	v_cndmask_b32_e64 v24, v24, v40, s22
	v_cndmask_b32_e64 v20, v8, v20, s22
	s_delay_alu instid0(VALU_DEP_1) | instskip(SKIP_1) | instid1(SALU_CYCLE_1)
	v_cmp_ge_u32_e32 vcc_lo, v20, v24
	s_or_b32 s1, vcc_lo, s1
	s_and_not1_b32 exec_lo, exec_lo, s1
	s_cbranch_execz .LBB268_72
.LBB268_66:                             ; =>This Loop Header: Depth=1
                                        ;     Child Loop BB268_69 Depth 2
	v_add_nc_u32_e32 v8, v24, v20
	s_and_not1_b32 vcc_lo, exec_lo, s7
	s_delay_alu instid0(VALU_DEP_1)
	v_lshrrev_b32_e32 v40, 1, v8
	s_cbranch_vccnz .LBB268_71
; %bb.67:                               ;   in Loop: Header=BB268_66 Depth=1
	s_delay_alu instid0(VALU_DEP_1) | instskip(SKIP_3) | instid1(VALU_DEP_2)
	v_not_b32_e32 v8, v40
	v_lshl_add_u32 v9, v40, 3, v21
	s_mov_b32 s19, 0
	s_mov_b64 s[20:21], s[8:9]
                                        ; implicit-def: $sgpr22
                                        ; implicit-def: $sgpr23
                                        ; implicit-def: $sgpr24
                                        ; implicit-def: $sgpr25
                                        ; implicit-def: $sgpr26
	v_lshl_add_u32 v8, v8, 3, v25
	ds_load_b64 v[10:11], v8
	ds_load_b64 v[41:42], v9
	s_waitcnt lgkmcnt(1)
	v_mul_lo_u32 v43, v10, s9
	v_mul_lo_u32 v44, v11, s8
	v_mad_u64_u32 v[8:9], null, v10, s8, s[10:11]
	s_waitcnt lgkmcnt(0)
	v_mul_lo_u32 v45, v41, s9
	v_mul_lo_u32 v42, v42, s8
	v_mad_u64_u32 v[10:11], null, v41, s8, s[10:11]
	s_delay_alu instid0(VALU_DEP_4) | instskip(NEXT) | instid1(VALU_DEP_2)
	v_add3_u32 v9, v44, v9, v43
	v_add3_u32 v11, v42, v11, v45
	s_branch .LBB268_69
.LBB268_68:                             ;   in Loop: Header=BB268_69 Depth=2
	s_or_b32 exec_lo, exec_lo, s0
	s_delay_alu instid0(SALU_CYCLE_1) | instskip(NEXT) | instid1(SALU_CYCLE_1)
	s_and_b32 s0, exec_lo, s23
	s_or_b32 s19, s0, s19
	s_and_not1_b32 s0, s26, exec_lo
	s_and_b32 s26, s24, exec_lo
	s_and_not1_b32 s22, s22, exec_lo
	s_and_b32 s27, s25, exec_lo
	s_or_b32 s26, s0, s26
	s_or_b32 s22, s22, s27
	s_and_not1_b32 exec_lo, exec_lo, s19
	s_cbranch_execz .LBB268_64
.LBB268_69:                             ;   Parent Loop BB268_66 Depth=1
                                        ; =>  This Inner Loop Header: Depth=2
	global_load_u8 v41, v[8:9], off
	global_load_u8 v42, v[10:11], off
	s_and_not1_b32 s25, s25, exec_lo
	s_and_not1_b32 s24, s24, exec_lo
	s_or_b32 s23, s23, exec_lo
	s_waitcnt vmcnt(1)
	v_bfe_i32 v43, v41, 0, 8
	s_waitcnt vmcnt(0)
	v_bfe_i32 v44, v42, 0, 8
	v_and_b32_e32 v41, 0xff, v41
	v_and_b32_e32 v42, 0xff, v42
	s_delay_alu instid0(VALU_DEP_3)
	v_cmp_le_i16_e32 vcc_lo, v43, v44
	v_cmp_lt_i16_e64 s0, v43, v44
	s_and_b32 s27, vcc_lo, s26
	s_delay_alu instid0(VALU_DEP_1) | instid1(SALU_CYCLE_1)
	s_or_b32 s27, s0, s27
	s_delay_alu instid0(SALU_CYCLE_1) | instskip(NEXT) | instid1(SALU_CYCLE_1)
	s_and_b32 s0, s27, exec_lo
	s_or_b32 s25, s25, s0
	s_mov_b32 s0, exec_lo
	v_cmpx_eq_u16_e64 v41, v42
	s_cbranch_execz .LBB268_68
; %bb.70:                               ;   in Loop: Header=BB268_69 Depth=2
	s_add_u32 s20, s20, -1
	s_addc_u32 s21, s21, -1
	v_add_co_u32 v8, vcc_lo, v8, 1
	s_cmp_eq_u64 s[20:21], 0
	v_add_co_ci_u32_e32 v9, vcc_lo, 0, v9, vcc_lo
	s_cselect_b32 s26, -1, 0
	v_add_co_u32 v10, vcc_lo, v10, 1
	s_and_not1_b32 s24, s24, exec_lo
	s_and_b32 s27, s27, exec_lo
	s_and_not1_b32 s23, s23, exec_lo
	s_and_b32 s26, s26, exec_lo
	v_add_co_ci_u32_e32 v11, vcc_lo, 0, v11, vcc_lo
	s_and_not1_b32 s25, s25, exec_lo
	s_or_b32 s24, s24, s27
	s_or_b32 s23, s23, s26
                                        ; implicit-def: $sgpr26
	s_branch .LBB268_68
.LBB268_71:                             ;   in Loop: Header=BB268_66 Depth=1
	s_mov_b32 s22, 0
	s_branch .LBB268_65
.LBB268_72:
	s_or_b32 exec_lo, exec_lo, s1
.LBB268_73:
	s_delay_alu instid0(SALU_CYCLE_1) | instskip(SKIP_2) | instid1(VALU_DEP_2)
	s_or_b32 exec_lo, exec_lo, s12
	v_add_nc_u32_e32 v9, v14, v23
	v_add_nc_u32_e32 v8, v20, v22
	v_sub_nc_u32_e32 v9, v9, v20
	s_delay_alu instid0(VALU_DEP_2) | instskip(NEXT) | instid1(VALU_DEP_2)
	v_cmp_le_u32_e32 vcc_lo, v8, v14
	v_cmp_le_u32_e64 s0, v9, v15
	s_delay_alu instid0(VALU_DEP_1) | instskip(NEXT) | instid1(SALU_CYCLE_1)
	s_or_b32 s0, vcc_lo, s0
	s_and_saveexec_b32 s1, s0
	s_cbranch_execz .LBB268_120
; %bb.74:
	v_cmp_ge_u32_e32 vcc_lo, v8, v14
	s_mov_b32 s12, exec_lo
                                        ; implicit-def: $vgpr0_vgpr1
	v_cmpx_lt_u32_e64 v8, v14
	s_cbranch_execz .LBB268_76
; %bb.75:
	v_lshl_add_u32 v0, v20, 3, v21
	ds_load_b64 v[0:1], v0
.LBB268_76:
	s_or_b32 exec_lo, exec_lo, s12
	v_cmp_ge_u32_e64 s12, v9, v15
	s_mov_b32 s19, exec_lo
                                        ; implicit-def: $vgpr2_vgpr3
	v_cmpx_lt_u32_e64 v9, v15
	s_cbranch_execz .LBB268_78
; %bb.77:
	v_lshl_add_u32 v2, v9, 3, v16
	ds_load_b64 v[2:3], v2
.LBB268_78:
	s_or_b32 exec_lo, exec_lo, s19
	s_or_b32 s0, vcc_lo, s12
	s_mov_b32 s19, -1
	s_xor_b32 s0, s0, -1
	s_delay_alu instid0(SALU_CYCLE_1)
	s_and_saveexec_b32 s22, s0
	s_cbranch_execz .LBB268_87
; %bb.79:
	s_and_not1_b32 vcc_lo, exec_lo, s7
	s_cbranch_vccnz .LBB268_85
; %bb.80:
	s_waitcnt lgkmcnt(0)
	v_mad_u64_u32 v[4:5], null, v2, s8, s[10:11]
	v_mul_lo_u32 v10, v2, s9
	v_mul_lo_u32 v11, v3, s8
	v_mad_u64_u32 v[6:7], null, v0, s8, s[10:11]
	v_mul_lo_u32 v20, v0, s9
	v_mul_lo_u32 v21, v1, s8
	s_mov_b32 s23, 0
	s_mov_b64 s[20:21], s[8:9]
                                        ; implicit-def: $sgpr24
                                        ; implicit-def: $sgpr25
                                        ; implicit-def: $sgpr26
                                        ; implicit-def: $sgpr27
                                        ; implicit-def: $sgpr28
	s_delay_alu instid0(VALU_DEP_4) | instskip(NEXT) | instid1(VALU_DEP_2)
	v_add3_u32 v5, v11, v5, v10
	v_add3_u32 v7, v21, v7, v20
	s_branch .LBB268_82
.LBB268_81:                             ;   in Loop: Header=BB268_82 Depth=1
	s_or_b32 exec_lo, exec_lo, s0
	s_delay_alu instid0(SALU_CYCLE_1) | instskip(NEXT) | instid1(SALU_CYCLE_1)
	s_and_b32 s0, exec_lo, s25
	s_or_b32 s23, s0, s23
	s_and_not1_b32 s0, s28, exec_lo
	s_and_b32 s28, s27, exec_lo
	s_and_not1_b32 s24, s24, exec_lo
	s_and_b32 s29, s26, exec_lo
	s_or_b32 s28, s0, s28
	s_or_b32 s24, s24, s29
	s_and_not1_b32 exec_lo, exec_lo, s23
	s_cbranch_execz .LBB268_84
.LBB268_82:                             ; =>This Inner Loop Header: Depth=1
	global_load_u8 v10, v[4:5], off
	global_load_u8 v11, v[6:7], off
	s_and_not1_b32 s26, s26, exec_lo
	s_and_not1_b32 s27, s27, exec_lo
	s_or_b32 s25, s25, exec_lo
	s_waitcnt vmcnt(1)
	v_bfe_i32 v20, v10, 0, 8
	s_waitcnt vmcnt(0)
	v_bfe_i32 v21, v11, 0, 8
	v_and_b32_e32 v10, 0xff, v10
	v_and_b32_e32 v11, 0xff, v11
	s_delay_alu instid0(VALU_DEP_3)
	v_cmp_le_i16_e32 vcc_lo, v20, v21
	v_cmp_lt_i16_e64 s0, v20, v21
	s_and_b32 s29, vcc_lo, s28
	s_delay_alu instid0(VALU_DEP_1) | instid1(SALU_CYCLE_1)
	s_or_b32 s29, s0, s29
	s_delay_alu instid0(SALU_CYCLE_1) | instskip(NEXT) | instid1(SALU_CYCLE_1)
	s_and_b32 s0, s29, exec_lo
	s_or_b32 s26, s26, s0
	s_mov_b32 s0, exec_lo
	v_cmpx_eq_u16_e64 v10, v11
	s_cbranch_execz .LBB268_81
; %bb.83:                               ;   in Loop: Header=BB268_82 Depth=1
	s_add_u32 s20, s20, -1
	s_addc_u32 s21, s21, -1
	v_add_co_u32 v4, vcc_lo, v4, 1
	s_cmp_eq_u64 s[20:21], 0
	v_add_co_ci_u32_e32 v5, vcc_lo, 0, v5, vcc_lo
	s_cselect_b32 s28, -1, 0
	s_and_not1_b32 s27, s27, exec_lo
	s_and_b32 s29, s29, exec_lo
	v_add_co_u32 v6, vcc_lo, v6, 1
	s_and_not1_b32 s25, s25, exec_lo
	s_and_b32 s28, s28, exec_lo
	v_add_co_ci_u32_e32 v7, vcc_lo, 0, v7, vcc_lo
	s_or_b32 s27, s27, s29
	s_and_not1_b32 s26, s26, exec_lo
	s_or_b32 s25, s25, s28
                                        ; implicit-def: $sgpr28
	s_branch .LBB268_81
.LBB268_84:
	s_or_b32 exec_lo, exec_lo, s23
	s_xor_b32 s0, s24, -1
	s_branch .LBB268_86
.LBB268_85:
	s_mov_b32 s0, -1
.LBB268_86:
	s_and_not1_b32 s12, s12, exec_lo
	s_and_b32 s0, s0, exec_lo
	s_delay_alu instid0(SALU_CYCLE_1)
	s_or_b32 s12, s12, s0
.LBB268_87:
	s_or_b32 exec_lo, exec_lo, s22
	v_cndmask_b32_e64 v4, v9, v8, s12
	v_cndmask_b32_e64 v5, v15, v14, s12
	s_mov_b32 s22, exec_lo
	s_delay_alu instid0(VALU_DEP_2) | instskip(NEXT) | instid1(VALU_DEP_2)
	v_add_nc_u32_e32 v6, 1, v4
	v_add_nc_u32_e32 v4, -1, v5
	s_delay_alu instid0(VALU_DEP_2) | instskip(NEXT) | instid1(VALU_DEP_2)
	v_cndmask_b32_e64 v9, v6, v9, s12
	v_min_u32_e32 v4, v6, v4
	v_cndmask_b32_e64 v8, v8, v6, s12
	s_delay_alu instid0(VALU_DEP_2)
	v_lshl_add_u32 v4, v4, 3, v16
	ds_load_b64 v[4:5], v4
	s_waitcnt lgkmcnt(0)
	v_cndmask_b32_e64 v20, v5, v3, s12
	v_cndmask_b32_e64 v21, v4, v2, s12
	;; [unrolled: 1-line block ×4, first 2 shown]
	v_cmpx_lt_u32_e64 v9, v15
	s_cbranch_execz .LBB268_98
; %bb.88:
	s_mov_b32 s0, 0
	s_mov_b32 s19, exec_lo
	v_cmpx_lt_u32_e64 v8, v14
	s_cbranch_execz .LBB268_97
; %bb.89:
	s_and_not1_b32 vcc_lo, exec_lo, s7
	s_cbranch_vccnz .LBB268_95
; %bb.90:
	v_mad_u64_u32 v[4:5], null, v21, s8, s[10:11]
	v_mul_lo_u32 v10, v21, s9
	v_mul_lo_u32 v11, v20, s8
	v_mad_u64_u32 v[6:7], null, v23, s8, s[10:11]
	v_mul_lo_u32 v24, v23, s9
	v_mul_lo_u32 v25, v22, s8
	s_mov_b32 s23, 0
	s_mov_b64 s[20:21], s[8:9]
                                        ; implicit-def: $sgpr24
                                        ; implicit-def: $sgpr25
                                        ; implicit-def: $sgpr26
                                        ; implicit-def: $sgpr27
                                        ; implicit-def: $sgpr28
	s_delay_alu instid0(VALU_DEP_4) | instskip(NEXT) | instid1(VALU_DEP_2)
	v_add3_u32 v5, v11, v5, v10
	v_add3_u32 v7, v25, v7, v24
	s_branch .LBB268_92
.LBB268_91:                             ;   in Loop: Header=BB268_92 Depth=1
	s_or_b32 exec_lo, exec_lo, s0
	s_delay_alu instid0(SALU_CYCLE_1) | instskip(NEXT) | instid1(SALU_CYCLE_1)
	s_and_b32 s0, exec_lo, s25
	s_or_b32 s23, s0, s23
	s_and_not1_b32 s0, s28, exec_lo
	s_and_b32 s28, s27, exec_lo
	s_and_not1_b32 s24, s24, exec_lo
	s_and_b32 s29, s26, exec_lo
	s_or_b32 s28, s0, s28
	s_or_b32 s24, s24, s29
	s_and_not1_b32 exec_lo, exec_lo, s23
	s_cbranch_execz .LBB268_94
.LBB268_92:                             ; =>This Inner Loop Header: Depth=1
	global_load_u8 v10, v[4:5], off
	global_load_u8 v11, v[6:7], off
	s_and_not1_b32 s26, s26, exec_lo
	s_and_not1_b32 s27, s27, exec_lo
	s_or_b32 s25, s25, exec_lo
	s_waitcnt vmcnt(1)
	v_bfe_i32 v24, v10, 0, 8
	s_waitcnt vmcnt(0)
	v_bfe_i32 v25, v11, 0, 8
	v_and_b32_e32 v10, 0xff, v10
	v_and_b32_e32 v11, 0xff, v11
	s_delay_alu instid0(VALU_DEP_3)
	v_cmp_le_i16_e32 vcc_lo, v24, v25
	v_cmp_lt_i16_e64 s0, v24, v25
	s_and_b32 s29, vcc_lo, s28
	s_delay_alu instid0(VALU_DEP_1) | instid1(SALU_CYCLE_1)
	s_or_b32 s29, s0, s29
	s_delay_alu instid0(SALU_CYCLE_1) | instskip(NEXT) | instid1(SALU_CYCLE_1)
	s_and_b32 s0, s29, exec_lo
	s_or_b32 s26, s26, s0
	s_mov_b32 s0, exec_lo
	v_cmpx_eq_u16_e64 v10, v11
	s_cbranch_execz .LBB268_91
; %bb.93:                               ;   in Loop: Header=BB268_92 Depth=1
	s_add_u32 s20, s20, -1
	s_addc_u32 s21, s21, -1
	v_add_co_u32 v4, vcc_lo, v4, 1
	s_cmp_eq_u64 s[20:21], 0
	v_add_co_ci_u32_e32 v5, vcc_lo, 0, v5, vcc_lo
	v_add_co_u32 v6, vcc_lo, v6, 1
	s_cselect_b32 s28, -1, 0
	v_add_co_ci_u32_e32 v7, vcc_lo, 0, v7, vcc_lo
	s_and_not1_b32 s27, s27, exec_lo
	s_and_b32 s29, s29, exec_lo
	s_and_not1_b32 s25, s25, exec_lo
	s_and_b32 s28, s28, exec_lo
	s_or_b32 s27, s27, s29
	s_and_not1_b32 s26, s26, exec_lo
	s_or_b32 s25, s25, s28
                                        ; implicit-def: $sgpr28
	s_branch .LBB268_91
.LBB268_94:
	s_or_b32 exec_lo, exec_lo, s23
	s_xor_b32 s0, s24, -1
	s_branch .LBB268_96
.LBB268_95:
	s_mov_b32 s0, -1
.LBB268_96:
	s_delay_alu instid0(SALU_CYCLE_1)
	s_and_b32 s0, s0, exec_lo
.LBB268_97:
	s_or_b32 exec_lo, exec_lo, s19
	s_delay_alu instid0(SALU_CYCLE_1)
	s_or_not1_b32 s19, s0, exec_lo
.LBB268_98:
	s_or_b32 exec_lo, exec_lo, s22
	v_cndmask_b32_e64 v4, v9, v8, s19
	v_cndmask_b32_e64 v5, v15, v14, s19
	s_mov_b32 s22, -1
	s_mov_b32 s23, exec_lo
	s_delay_alu instid0(VALU_DEP_2) | instskip(NEXT) | instid1(VALU_DEP_2)
	v_add_nc_u32_e32 v6, 1, v4
	v_add_nc_u32_e32 v4, -1, v5
	s_delay_alu instid0(VALU_DEP_2) | instskip(NEXT) | instid1(VALU_DEP_2)
	v_cndmask_b32_e64 v9, v6, v9, s19
	v_min_u32_e32 v4, v6, v4
	v_cndmask_b32_e64 v8, v8, v6, s19
	s_delay_alu instid0(VALU_DEP_2)
	v_lshl_add_u32 v4, v4, 3, v16
	ds_load_b64 v[4:5], v4
	s_waitcnt lgkmcnt(0)
	v_cndmask_b32_e64 v24, v5, v20, s19
	v_cndmask_b32_e64 v25, v4, v21, s19
	;; [unrolled: 1-line block ×4, first 2 shown]
	v_cmpx_lt_u32_e64 v9, v15
	s_cbranch_execz .LBB268_109
; %bb.99:
	s_mov_b32 s0, 0
	s_mov_b32 s22, exec_lo
	v_cmpx_lt_u32_e64 v8, v14
	s_cbranch_execz .LBB268_108
; %bb.100:
	s_and_not1_b32 vcc_lo, exec_lo, s7
	s_cbranch_vccnz .LBB268_106
; %bb.101:
	v_mad_u64_u32 v[4:5], null, v25, s8, s[10:11]
	v_mul_lo_u32 v10, v25, s9
	v_mul_lo_u32 v11, v24, s8
	v_mad_u64_u32 v[6:7], null, v41, s8, s[10:11]
	v_mul_lo_u32 v42, v41, s9
	v_mul_lo_u32 v43, v40, s8
	s_mov_b32 s24, 0
	s_mov_b64 s[20:21], s[8:9]
                                        ; implicit-def: $sgpr25
                                        ; implicit-def: $sgpr26
                                        ; implicit-def: $sgpr27
                                        ; implicit-def: $sgpr28
                                        ; implicit-def: $sgpr29
	s_delay_alu instid0(VALU_DEP_4) | instskip(NEXT) | instid1(VALU_DEP_2)
	v_add3_u32 v5, v11, v5, v10
	v_add3_u32 v7, v43, v7, v42
	s_branch .LBB268_103
.LBB268_102:                            ;   in Loop: Header=BB268_103 Depth=1
	s_or_b32 exec_lo, exec_lo, s0
	s_delay_alu instid0(SALU_CYCLE_1) | instskip(NEXT) | instid1(SALU_CYCLE_1)
	s_and_b32 s0, exec_lo, s26
	s_or_b32 s24, s0, s24
	s_and_not1_b32 s0, s29, exec_lo
	s_and_b32 s29, s28, exec_lo
	s_and_not1_b32 s25, s25, exec_lo
	s_and_b32 s30, s27, exec_lo
	s_or_b32 s29, s0, s29
	s_or_b32 s25, s25, s30
	s_and_not1_b32 exec_lo, exec_lo, s24
	s_cbranch_execz .LBB268_105
.LBB268_103:                            ; =>This Inner Loop Header: Depth=1
	global_load_u8 v10, v[4:5], off
	global_load_u8 v11, v[6:7], off
	s_and_not1_b32 s27, s27, exec_lo
	s_and_not1_b32 s28, s28, exec_lo
	s_or_b32 s26, s26, exec_lo
	s_waitcnt vmcnt(1)
	v_bfe_i32 v42, v10, 0, 8
	s_waitcnt vmcnt(0)
	v_bfe_i32 v43, v11, 0, 8
	v_and_b32_e32 v10, 0xff, v10
	v_and_b32_e32 v11, 0xff, v11
	s_delay_alu instid0(VALU_DEP_3)
	v_cmp_le_i16_e32 vcc_lo, v42, v43
	v_cmp_lt_i16_e64 s0, v42, v43
	s_and_b32 s30, vcc_lo, s29
	s_delay_alu instid0(VALU_DEP_1) | instid1(SALU_CYCLE_1)
	s_or_b32 s30, s0, s30
	s_delay_alu instid0(SALU_CYCLE_1) | instskip(NEXT) | instid1(SALU_CYCLE_1)
	s_and_b32 s0, s30, exec_lo
	s_or_b32 s27, s27, s0
	s_mov_b32 s0, exec_lo
	v_cmpx_eq_u16_e64 v10, v11
	s_cbranch_execz .LBB268_102
; %bb.104:                              ;   in Loop: Header=BB268_103 Depth=1
	s_add_u32 s20, s20, -1
	s_addc_u32 s21, s21, -1
	v_add_co_u32 v4, vcc_lo, v4, 1
	s_cmp_eq_u64 s[20:21], 0
	v_add_co_ci_u32_e32 v5, vcc_lo, 0, v5, vcc_lo
	v_add_co_u32 v6, vcc_lo, v6, 1
	s_cselect_b32 s29, -1, 0
	v_add_co_ci_u32_e32 v7, vcc_lo, 0, v7, vcc_lo
	s_and_not1_b32 s28, s28, exec_lo
	s_and_b32 s30, s30, exec_lo
	s_and_not1_b32 s26, s26, exec_lo
	s_and_b32 s29, s29, exec_lo
	s_or_b32 s28, s28, s30
	s_and_not1_b32 s27, s27, exec_lo
	s_or_b32 s26, s26, s29
                                        ; implicit-def: $sgpr29
	s_branch .LBB268_102
.LBB268_105:
	s_or_b32 exec_lo, exec_lo, s24
	s_xor_b32 s0, s25, -1
	s_branch .LBB268_107
.LBB268_106:
	s_mov_b32 s0, -1
.LBB268_107:
	s_delay_alu instid0(SALU_CYCLE_1)
	s_and_b32 s0, s0, exec_lo
.LBB268_108:
	s_or_b32 exec_lo, exec_lo, s22
	s_delay_alu instid0(SALU_CYCLE_1)
	s_or_not1_b32 s22, s0, exec_lo
.LBB268_109:
	s_or_b32 exec_lo, exec_lo, s23
	v_cndmask_b32_e64 v4, v9, v8, s22
	v_cndmask_b32_e64 v5, v15, v14, s22
	s_mov_b32 s23, exec_lo
	s_delay_alu instid0(VALU_DEP_2) | instskip(NEXT) | instid1(VALU_DEP_2)
	v_add_nc_u32_e32 v10, 1, v4
	v_add_nc_u32_e32 v4, -1, v5
	s_delay_alu instid0(VALU_DEP_2) | instskip(NEXT) | instid1(VALU_DEP_2)
	v_cndmask_b32_e64 v9, v10, v9, s22
	v_min_u32_e32 v4, v10, v4
	s_delay_alu instid0(VALU_DEP_1)
	v_lshl_add_u32 v4, v4, 3, v16
	ds_load_b64 v[4:5], v4
	s_waitcnt lgkmcnt(0)
	v_cndmask_b32_e64 v7, v40, v5, s22
	v_cndmask_b32_e64 v6, v41, v4, s22
	v_cmpx_lt_u32_e64 v9, v15
	s_cbranch_execz .LBB268_119
; %bb.110:
	v_cndmask_b32_e64 v8, v8, v10, s22
	v_cndmask_b32_e64 v5, v5, v24, s22
	;; [unrolled: 1-line block ×3, first 2 shown]
	s_mov_b32 s24, exec_lo
	s_delay_alu instid0(VALU_DEP_3)
	v_cmpx_lt_u32_e64 v8, v14
	s_cbranch_execz .LBB268_118
; %bb.111:
	s_and_not1_b32 vcc_lo, exec_lo, s7
	s_cbranch_vccnz .LBB268_117
; %bb.112:
	v_mad_u64_u32 v[8:9], null, v4, s8, s[10:11]
	v_mul_lo_u32 v14, v4, s9
	v_mul_lo_u32 v15, v5, s8
	v_mad_u64_u32 v[10:11], null, v6, s8, s[10:11]
	v_mul_lo_u32 v42, v6, s9
	v_mul_lo_u32 v43, v7, s8
	s_mov_b32 s25, 0
	s_mov_b64 s[20:21], s[8:9]
                                        ; implicit-def: $sgpr26
                                        ; implicit-def: $sgpr27
                                        ; implicit-def: $sgpr28
                                        ; implicit-def: $sgpr29
                                        ; implicit-def: $sgpr30
	s_delay_alu instid0(VALU_DEP_4) | instskip(NEXT) | instid1(VALU_DEP_2)
	v_add3_u32 v9, v15, v9, v14
	v_add3_u32 v11, v43, v11, v42
	s_branch .LBB268_114
.LBB268_113:                            ;   in Loop: Header=BB268_114 Depth=1
	s_or_b32 exec_lo, exec_lo, s0
	s_delay_alu instid0(SALU_CYCLE_1) | instskip(NEXT) | instid1(SALU_CYCLE_1)
	s_and_b32 s0, exec_lo, s27
	s_or_b32 s25, s0, s25
	s_and_not1_b32 s0, s30, exec_lo
	s_and_b32 s30, s29, exec_lo
	s_and_not1_b32 s26, s26, exec_lo
	s_and_b32 s31, s28, exec_lo
	s_or_b32 s30, s0, s30
	s_or_b32 s26, s26, s31
	s_and_not1_b32 exec_lo, exec_lo, s25
	s_cbranch_execz .LBB268_116
.LBB268_114:                            ; =>This Inner Loop Header: Depth=1
	global_load_u8 v14, v[8:9], off
	global_load_u8 v15, v[10:11], off
	s_and_not1_b32 s28, s28, exec_lo
	s_and_not1_b32 s29, s29, exec_lo
	s_or_b32 s27, s27, exec_lo
	s_waitcnt vmcnt(1)
	v_bfe_i32 v42, v14, 0, 8
	s_waitcnt vmcnt(0)
	v_bfe_i32 v43, v15, 0, 8
	v_and_b32_e32 v14, 0xff, v14
	v_and_b32_e32 v15, 0xff, v15
	s_delay_alu instid0(VALU_DEP_3)
	v_cmp_le_i16_e32 vcc_lo, v42, v43
	v_cmp_lt_i16_e64 s0, v42, v43
	s_and_b32 s31, vcc_lo, s30
	s_delay_alu instid0(VALU_DEP_1) | instid1(SALU_CYCLE_1)
	s_or_b32 s31, s0, s31
	s_delay_alu instid0(SALU_CYCLE_1) | instskip(NEXT) | instid1(SALU_CYCLE_1)
	s_and_b32 s0, s31, exec_lo
	s_or_b32 s28, s28, s0
	s_mov_b32 s0, exec_lo
	v_cmpx_eq_u16_e64 v14, v15
	s_cbranch_execz .LBB268_113
; %bb.115:                              ;   in Loop: Header=BB268_114 Depth=1
	s_add_u32 s20, s20, -1
	s_addc_u32 s21, s21, -1
	v_add_co_u32 v8, vcc_lo, v8, 1
	s_cmp_eq_u64 s[20:21], 0
	v_add_co_ci_u32_e32 v9, vcc_lo, 0, v9, vcc_lo
	v_add_co_u32 v10, vcc_lo, v10, 1
	s_cselect_b32 s30, -1, 0
	v_add_co_ci_u32_e32 v11, vcc_lo, 0, v11, vcc_lo
	s_and_not1_b32 s29, s29, exec_lo
	s_and_b32 s31, s31, exec_lo
	s_and_not1_b32 s27, s27, exec_lo
	s_and_b32 s30, s30, exec_lo
	s_or_b32 s29, s29, s31
	s_and_not1_b32 s28, s28, exec_lo
	s_or_b32 s27, s27, s30
                                        ; implicit-def: $sgpr30
	s_branch .LBB268_113
.LBB268_116:
	s_or_b32 exec_lo, exec_lo, s25
	v_cndmask_b32_e64 v7, v7, v5, s26
	v_cndmask_b32_e64 v6, v6, v4, s26
.LBB268_117:
	s_delay_alu instid0(VALU_DEP_1)
	v_dual_mov_b32 v4, v6 :: v_dual_mov_b32 v5, v7
.LBB268_118:
	s_or_b32 exec_lo, exec_lo, s24
	s_delay_alu instid0(VALU_DEP_1)
	v_dual_mov_b32 v7, v5 :: v_dual_mov_b32 v6, v4
.LBB268_119:
	s_or_b32 exec_lo, exec_lo, s23
	v_cndmask_b32_e64 v1, v3, v1, s12
	v_cndmask_b32_e64 v0, v2, v0, s12
	v_cndmask_b32_e64 v3, v20, v22, s19
	v_cndmask_b32_e64 v2, v21, v23, s19
	v_cndmask_b32_e64 v5, v24, v40, s22
	v_cndmask_b32_e64 v4, v25, v41, s22
.LBB268_120:
	s_or_b32 exec_lo, exec_lo, s1
	v_and_b32_e32 v22, 0x70, v18
	v_and_b32_e32 v9, 12, v18
	s_mov_b32 s1, exec_lo
	; wave barrier
	s_delay_alu instid0(VALU_DEP_2) | instskip(NEXT) | instid1(VALU_DEP_2)
	v_or_b32_e32 v8, 8, v22
	v_min_u32_e32 v23, v17, v9
	v_lshl_add_u32 v21, v22, 3, v16
	ds_store_b128 v19, v[0:3]
	ds_store_b128 v19, v[4:7] offset:16
	v_min_u32_e32 v14, v17, v8
	; wave barrier
	s_delay_alu instid0(VALU_DEP_1) | instskip(SKIP_1) | instid1(VALU_DEP_2)
	v_add_nc_u32_e32 v8, 8, v14
	v_sub_nc_u32_e32 v9, v14, v22
	v_min_u32_e32 v15, v17, v8
	s_delay_alu instid0(VALU_DEP_2) | instskip(NEXT) | instid1(VALU_DEP_2)
	v_min_u32_e32 v24, v23, v9
	v_sub_nc_u32_e32 v8, v15, v14
	s_delay_alu instid0(VALU_DEP_1) | instskip(NEXT) | instid1(VALU_DEP_1)
	v_sub_nc_u32_e64 v20, v23, v8 clamp
	v_cmpx_lt_u32_e64 v20, v24
	s_cbranch_execz .LBB268_130
; %bb.121:
	v_lshlrev_b32_e32 v8, 3, v14
	v_lshlrev_b32_e32 v9, 3, v23
	s_mov_b32 s12, 0
	s_delay_alu instid0(VALU_DEP_1)
	v_add3_u32 v25, v16, v8, v9
	s_branch .LBB268_124
.LBB268_122:                            ;   in Loop: Header=BB268_124 Depth=1
	s_or_b32 exec_lo, exec_lo, s19
.LBB268_123:                            ;   in Loop: Header=BB268_124 Depth=1
	s_delay_alu instid0(VALU_DEP_1) | instskip(SKIP_1) | instid1(VALU_DEP_2)
	v_add_nc_u32_e32 v8, 1, v40
	v_cndmask_b32_e64 v24, v24, v40, s22
	v_cndmask_b32_e64 v20, v8, v20, s22
	s_delay_alu instid0(VALU_DEP_1) | instskip(SKIP_1) | instid1(SALU_CYCLE_1)
	v_cmp_ge_u32_e32 vcc_lo, v20, v24
	s_or_b32 s12, vcc_lo, s12
	s_and_not1_b32 exec_lo, exec_lo, s12
	s_cbranch_execz .LBB268_129
.LBB268_124:                            ; =>This Loop Header: Depth=1
                                        ;     Child Loop BB268_127 Depth 2
	v_add_nc_u32_e32 v8, v24, v20
	s_and_not1_b32 vcc_lo, exec_lo, s7
	s_mov_b32 s22, 0
	s_delay_alu instid0(VALU_DEP_1)
	v_lshrrev_b32_e32 v40, 1, v8
	s_cbranch_vccnz .LBB268_123
; %bb.125:                              ;   in Loop: Header=BB268_124 Depth=1
	s_delay_alu instid0(VALU_DEP_1) | instskip(SKIP_3) | instid1(VALU_DEP_2)
	v_not_b32_e32 v8, v40
	v_lshl_add_u32 v9, v40, 3, v21
	s_mov_b32 s19, 0
	s_mov_b64 s[20:21], s[8:9]
                                        ; implicit-def: $sgpr22
                                        ; implicit-def: $sgpr23
                                        ; implicit-def: $sgpr24
                                        ; implicit-def: $sgpr25
                                        ; implicit-def: $sgpr26
	v_lshl_add_u32 v8, v8, 3, v25
	ds_load_b64 v[10:11], v8
	ds_load_b64 v[41:42], v9
	s_waitcnt lgkmcnt(1)
	v_mul_lo_u32 v43, v10, s9
	v_mul_lo_u32 v44, v11, s8
	v_mad_u64_u32 v[8:9], null, v10, s8, s[10:11]
	s_waitcnt lgkmcnt(0)
	v_mul_lo_u32 v45, v41, s9
	v_mul_lo_u32 v42, v42, s8
	v_mad_u64_u32 v[10:11], null, v41, s8, s[10:11]
	s_delay_alu instid0(VALU_DEP_4) | instskip(NEXT) | instid1(VALU_DEP_2)
	v_add3_u32 v9, v44, v9, v43
	v_add3_u32 v11, v42, v11, v45
	s_branch .LBB268_127
.LBB268_126:                            ;   in Loop: Header=BB268_127 Depth=2
	s_or_b32 exec_lo, exec_lo, s27
	s_delay_alu instid0(SALU_CYCLE_1) | instskip(NEXT) | instid1(SALU_CYCLE_1)
	s_and_b32 s0, exec_lo, s23
	s_or_b32 s19, s0, s19
	s_and_not1_b32 s0, s26, exec_lo
	s_and_b32 s26, s24, exec_lo
	s_and_not1_b32 s22, s22, exec_lo
	s_and_b32 s27, s25, exec_lo
	s_or_b32 s26, s0, s26
	s_or_b32 s22, s22, s27
	s_and_not1_b32 exec_lo, exec_lo, s19
	s_cbranch_execz .LBB268_122
.LBB268_127:                            ;   Parent Loop BB268_124 Depth=1
                                        ; =>  This Inner Loop Header: Depth=2
	global_load_u8 v41, v[8:9], off
	global_load_u8 v42, v[10:11], off
	s_and_not1_b32 s25, s25, exec_lo
	s_and_not1_b32 s24, s24, exec_lo
	s_or_b32 s23, s23, exec_lo
	s_waitcnt vmcnt(1)
	v_bfe_i32 v43, v41, 0, 8
	s_waitcnt vmcnt(0)
	v_bfe_i32 v44, v42, 0, 8
	v_and_b32_e32 v41, 0xff, v41
	v_and_b32_e32 v42, 0xff, v42
	s_delay_alu instid0(VALU_DEP_3)
	v_cmp_le_i16_e32 vcc_lo, v43, v44
	v_cmp_lt_i16_e64 s0, v43, v44
	s_and_b32 s27, vcc_lo, s26
	s_delay_alu instid0(VALU_DEP_1) | instid1(SALU_CYCLE_1)
	s_or_b32 s0, s0, s27
	s_delay_alu instid0(SALU_CYCLE_1) | instskip(NEXT) | instid1(SALU_CYCLE_1)
	s_and_b32 s27, s0, exec_lo
	s_or_b32 s25, s25, s27
	s_mov_b32 s27, exec_lo
	v_cmpx_eq_u16_e64 v41, v42
	s_cbranch_execz .LBB268_126
; %bb.128:                              ;   in Loop: Header=BB268_127 Depth=2
	s_add_u32 s20, s20, -1
	s_addc_u32 s21, s21, -1
	v_add_co_u32 v8, vcc_lo, v8, 1
	v_add_co_ci_u32_e32 v9, vcc_lo, 0, v9, vcc_lo
	s_cmp_eq_u64 s[20:21], 0
	v_add_co_u32 v10, vcc_lo, v10, 1
	s_cselect_b32 s26, -1, 0
	v_add_co_ci_u32_e32 v11, vcc_lo, 0, v11, vcc_lo
	s_and_not1_b32 s24, s24, exec_lo
	s_and_b32 s0, s0, exec_lo
	s_and_not1_b32 s23, s23, exec_lo
	s_and_b32 s26, s26, exec_lo
	s_and_not1_b32 s25, s25, exec_lo
	s_or_b32 s24, s24, s0
	s_or_b32 s23, s23, s26
                                        ; implicit-def: $sgpr26
	s_branch .LBB268_126
.LBB268_129:
	s_or_b32 exec_lo, exec_lo, s12
.LBB268_130:
	s_delay_alu instid0(SALU_CYCLE_1) | instskip(SKIP_2) | instid1(VALU_DEP_2)
	s_or_b32 exec_lo, exec_lo, s1
	v_add_nc_u32_e32 v9, v14, v23
	v_add_nc_u32_e32 v8, v20, v22
	v_sub_nc_u32_e32 v9, v9, v20
	s_delay_alu instid0(VALU_DEP_2) | instskip(NEXT) | instid1(VALU_DEP_2)
	v_cmp_le_u32_e32 vcc_lo, v8, v14
	v_cmp_le_u32_e64 s0, v9, v15
	s_delay_alu instid0(VALU_DEP_1) | instskip(NEXT) | instid1(SALU_CYCLE_1)
	s_or_b32 s0, vcc_lo, s0
	s_and_saveexec_b32 s1, s0
	s_cbranch_execz .LBB268_177
; %bb.131:
	v_cmp_ge_u32_e32 vcc_lo, v8, v14
	s_mov_b32 s12, exec_lo
                                        ; implicit-def: $vgpr0_vgpr1
	v_cmpx_lt_u32_e64 v8, v14
	s_cbranch_execz .LBB268_133
; %bb.132:
	v_lshl_add_u32 v0, v20, 3, v21
	ds_load_b64 v[0:1], v0
.LBB268_133:
	s_or_b32 exec_lo, exec_lo, s12
	v_cmp_ge_u32_e64 s12, v9, v15
	s_mov_b32 s19, exec_lo
                                        ; implicit-def: $vgpr4_vgpr5
	v_cmpx_lt_u32_e64 v9, v15
	s_cbranch_execz .LBB268_135
; %bb.134:
	v_lshl_add_u32 v2, v9, 3, v16
	ds_load_b64 v[4:5], v2
.LBB268_135:
	s_or_b32 exec_lo, exec_lo, s19
	s_or_b32 s0, vcc_lo, s12
	s_mov_b32 s19, -1
	s_xor_b32 s0, s0, -1
	s_delay_alu instid0(SALU_CYCLE_1)
	s_and_saveexec_b32 s22, s0
	s_cbranch_execz .LBB268_144
; %bb.136:
	s_and_not1_b32 vcc_lo, exec_lo, s7
	s_cbranch_vccnz .LBB268_142
; %bb.137:
	s_waitcnt lgkmcnt(0)
	v_mad_u64_u32 v[2:3], null, v4, s8, s[10:11]
	v_mul_lo_u32 v10, v4, s9
	v_mul_lo_u32 v11, v5, s8
	v_mad_u64_u32 v[6:7], null, v0, s8, s[10:11]
	v_mul_lo_u32 v20, v0, s9
	v_mul_lo_u32 v21, v1, s8
	s_mov_b32 s23, 0
	s_mov_b64 s[20:21], s[8:9]
                                        ; implicit-def: $sgpr24
                                        ; implicit-def: $sgpr25
                                        ; implicit-def: $sgpr26
                                        ; implicit-def: $sgpr27
                                        ; implicit-def: $sgpr28
	s_delay_alu instid0(VALU_DEP_4) | instskip(NEXT) | instid1(VALU_DEP_2)
	v_add3_u32 v3, v11, v3, v10
	v_add3_u32 v7, v21, v7, v20
	s_branch .LBB268_139
.LBB268_138:                            ;   in Loop: Header=BB268_139 Depth=1
	s_or_b32 exec_lo, exec_lo, s0
	s_delay_alu instid0(SALU_CYCLE_1) | instskip(NEXT) | instid1(SALU_CYCLE_1)
	s_and_b32 s0, exec_lo, s25
	s_or_b32 s23, s0, s23
	s_and_not1_b32 s0, s28, exec_lo
	s_and_b32 s28, s27, exec_lo
	s_and_not1_b32 s24, s24, exec_lo
	s_and_b32 s29, s26, exec_lo
	s_or_b32 s28, s0, s28
	s_or_b32 s24, s24, s29
	s_and_not1_b32 exec_lo, exec_lo, s23
	s_cbranch_execz .LBB268_141
.LBB268_139:                            ; =>This Inner Loop Header: Depth=1
	global_load_u8 v10, v[2:3], off
	global_load_u8 v11, v[6:7], off
	s_and_not1_b32 s26, s26, exec_lo
	s_and_not1_b32 s27, s27, exec_lo
	s_or_b32 s25, s25, exec_lo
	s_waitcnt vmcnt(1)
	v_bfe_i32 v20, v10, 0, 8
	s_waitcnt vmcnt(0)
	v_bfe_i32 v21, v11, 0, 8
	v_and_b32_e32 v10, 0xff, v10
	v_and_b32_e32 v11, 0xff, v11
	s_delay_alu instid0(VALU_DEP_3)
	v_cmp_le_i16_e32 vcc_lo, v20, v21
	v_cmp_lt_i16_e64 s0, v20, v21
	s_and_b32 s29, vcc_lo, s28
	s_delay_alu instid0(VALU_DEP_1) | instid1(SALU_CYCLE_1)
	s_or_b32 s29, s0, s29
	s_delay_alu instid0(SALU_CYCLE_1) | instskip(NEXT) | instid1(SALU_CYCLE_1)
	s_and_b32 s0, s29, exec_lo
	s_or_b32 s26, s26, s0
	s_mov_b32 s0, exec_lo
	v_cmpx_eq_u16_e64 v10, v11
	s_cbranch_execz .LBB268_138
; %bb.140:                              ;   in Loop: Header=BB268_139 Depth=1
	s_add_u32 s20, s20, -1
	s_addc_u32 s21, s21, -1
	v_add_co_u32 v2, vcc_lo, v2, 1
	s_cmp_eq_u64 s[20:21], 0
	v_add_co_ci_u32_e32 v3, vcc_lo, 0, v3, vcc_lo
	v_add_co_u32 v6, vcc_lo, v6, 1
	s_cselect_b32 s28, -1, 0
	v_add_co_ci_u32_e32 v7, vcc_lo, 0, v7, vcc_lo
	s_and_not1_b32 s27, s27, exec_lo
	s_and_b32 s29, s29, exec_lo
	s_and_not1_b32 s25, s25, exec_lo
	s_and_b32 s28, s28, exec_lo
	s_or_b32 s27, s27, s29
	s_and_not1_b32 s26, s26, exec_lo
	s_or_b32 s25, s25, s28
                                        ; implicit-def: $sgpr28
	s_branch .LBB268_138
.LBB268_141:
	s_or_b32 exec_lo, exec_lo, s23
	s_xor_b32 s0, s24, -1
	s_branch .LBB268_143
.LBB268_142:
	s_mov_b32 s0, -1
.LBB268_143:
	s_and_not1_b32 s12, s12, exec_lo
	s_and_b32 s0, s0, exec_lo
	s_delay_alu instid0(SALU_CYCLE_1)
	s_or_b32 s12, s12, s0
.LBB268_144:
	s_or_b32 exec_lo, exec_lo, s22
	v_cndmask_b32_e64 v2, v9, v8, s12
	v_cndmask_b32_e64 v3, v15, v14, s12
	s_mov_b32 s22, exec_lo
	s_delay_alu instid0(VALU_DEP_2) | instskip(NEXT) | instid1(VALU_DEP_2)
	v_add_nc_u32_e32 v6, 1, v2
	v_add_nc_u32_e32 v2, -1, v3
	s_delay_alu instid0(VALU_DEP_2) | instskip(NEXT) | instid1(VALU_DEP_2)
	v_cndmask_b32_e64 v9, v6, v9, s12
	v_min_u32_e32 v2, v6, v2
	v_cndmask_b32_e64 v8, v8, v6, s12
	s_delay_alu instid0(VALU_DEP_2)
	v_lshl_add_u32 v2, v2, 3, v16
	ds_load_b64 v[2:3], v2
	s_waitcnt lgkmcnt(0)
	v_cndmask_b32_e64 v10, v3, v5, s12
	v_cndmask_b32_e64 v11, v2, v4, s12
	;; [unrolled: 1-line block ×4, first 2 shown]
	v_cmpx_lt_u32_e64 v9, v15
	s_cbranch_execz .LBB268_155
; %bb.145:
	s_mov_b32 s0, 0
	s_mov_b32 s19, exec_lo
	v_cmpx_lt_u32_e64 v8, v14
	s_cbranch_execz .LBB268_154
; %bb.146:
	s_and_not1_b32 vcc_lo, exec_lo, s7
	s_cbranch_vccnz .LBB268_152
; %bb.147:
	v_mad_u64_u32 v[2:3], null, v11, s8, s[10:11]
	v_mul_lo_u32 v22, v11, s9
	v_mul_lo_u32 v23, v10, s8
	v_mad_u64_u32 v[6:7], null, v21, s8, s[10:11]
	v_mul_lo_u32 v24, v21, s9
	v_mul_lo_u32 v25, v20, s8
	s_mov_b32 s23, 0
	s_mov_b64 s[20:21], s[8:9]
                                        ; implicit-def: $sgpr24
                                        ; implicit-def: $sgpr25
                                        ; implicit-def: $sgpr26
                                        ; implicit-def: $sgpr27
                                        ; implicit-def: $sgpr28
	s_delay_alu instid0(VALU_DEP_4) | instskip(NEXT) | instid1(VALU_DEP_2)
	v_add3_u32 v3, v23, v3, v22
	v_add3_u32 v7, v25, v7, v24
	s_branch .LBB268_149
.LBB268_148:                            ;   in Loop: Header=BB268_149 Depth=1
	s_or_b32 exec_lo, exec_lo, s0
	s_delay_alu instid0(SALU_CYCLE_1) | instskip(NEXT) | instid1(SALU_CYCLE_1)
	s_and_b32 s0, exec_lo, s25
	s_or_b32 s23, s0, s23
	s_and_not1_b32 s0, s28, exec_lo
	s_and_b32 s28, s27, exec_lo
	s_and_not1_b32 s24, s24, exec_lo
	s_and_b32 s29, s26, exec_lo
	s_or_b32 s28, s0, s28
	s_or_b32 s24, s24, s29
	s_and_not1_b32 exec_lo, exec_lo, s23
	s_cbranch_execz .LBB268_151
.LBB268_149:                            ; =>This Inner Loop Header: Depth=1
	global_load_u8 v22, v[2:3], off
	global_load_u8 v23, v[6:7], off
	s_and_not1_b32 s26, s26, exec_lo
	s_and_not1_b32 s27, s27, exec_lo
	s_or_b32 s25, s25, exec_lo
	s_waitcnt vmcnt(1)
	v_bfe_i32 v24, v22, 0, 8
	s_waitcnt vmcnt(0)
	v_bfe_i32 v25, v23, 0, 8
	v_and_b32_e32 v22, 0xff, v22
	v_and_b32_e32 v23, 0xff, v23
	s_delay_alu instid0(VALU_DEP_3)
	v_cmp_le_i16_e32 vcc_lo, v24, v25
	v_cmp_lt_i16_e64 s0, v24, v25
	s_and_b32 s29, vcc_lo, s28
	s_delay_alu instid0(VALU_DEP_1) | instid1(SALU_CYCLE_1)
	s_or_b32 s29, s0, s29
	s_delay_alu instid0(SALU_CYCLE_1) | instskip(NEXT) | instid1(SALU_CYCLE_1)
	s_and_b32 s0, s29, exec_lo
	s_or_b32 s26, s26, s0
	s_mov_b32 s0, exec_lo
	v_cmpx_eq_u16_e64 v22, v23
	s_cbranch_execz .LBB268_148
; %bb.150:                              ;   in Loop: Header=BB268_149 Depth=1
	s_add_u32 s20, s20, -1
	s_addc_u32 s21, s21, -1
	v_add_co_u32 v2, vcc_lo, v2, 1
	s_cmp_eq_u64 s[20:21], 0
	v_add_co_ci_u32_e32 v3, vcc_lo, 0, v3, vcc_lo
	v_add_co_u32 v6, vcc_lo, v6, 1
	s_cselect_b32 s28, -1, 0
	v_add_co_ci_u32_e32 v7, vcc_lo, 0, v7, vcc_lo
	s_and_not1_b32 s27, s27, exec_lo
	s_and_b32 s29, s29, exec_lo
	s_and_not1_b32 s25, s25, exec_lo
	s_and_b32 s28, s28, exec_lo
	s_or_b32 s27, s27, s29
	s_and_not1_b32 s26, s26, exec_lo
	s_or_b32 s25, s25, s28
                                        ; implicit-def: $sgpr28
	s_branch .LBB268_148
.LBB268_151:
	s_or_b32 exec_lo, exec_lo, s23
	s_xor_b32 s0, s24, -1
	s_branch .LBB268_153
.LBB268_152:
	s_mov_b32 s0, -1
.LBB268_153:
	s_delay_alu instid0(SALU_CYCLE_1)
	s_and_b32 s0, s0, exec_lo
.LBB268_154:
	s_or_b32 exec_lo, exec_lo, s19
	s_delay_alu instid0(SALU_CYCLE_1)
	s_or_not1_b32 s19, s0, exec_lo
.LBB268_155:
	s_or_b32 exec_lo, exec_lo, s22
	v_cndmask_b32_e64 v2, v9, v8, s19
	v_cndmask_b32_e64 v3, v15, v14, s19
	s_mov_b32 s0, -1
	s_mov_b32 s22, exec_lo
	s_delay_alu instid0(VALU_DEP_2) | instskip(NEXT) | instid1(VALU_DEP_2)
	v_add_nc_u32_e32 v6, 1, v2
	v_add_nc_u32_e32 v2, -1, v3
	s_delay_alu instid0(VALU_DEP_2) | instskip(NEXT) | instid1(VALU_DEP_2)
	v_cndmask_b32_e64 v25, v6, v9, s19
	v_min_u32_e32 v2, v6, v2
	v_cndmask_b32_e64 v22, v8, v6, s19
	s_delay_alu instid0(VALU_DEP_2)
	v_lshl_add_u32 v2, v2, 3, v16
	ds_load_b64 v[2:3], v2
	s_waitcnt lgkmcnt(0)
	v_cndmask_b32_e64 v23, v3, v10, s19
	v_cndmask_b32_e64 v24, v2, v11, s19
	;; [unrolled: 1-line block ×4, first 2 shown]
	v_cmpx_lt_u32_e64 v25, v15
	s_cbranch_execz .LBB268_166
; %bb.156:
	s_mov_b32 s0, 0
	s_mov_b32 s23, exec_lo
	v_cmpx_lt_u32_e64 v22, v14
	s_cbranch_execz .LBB268_165
; %bb.157:
	s_and_not1_b32 vcc_lo, exec_lo, s7
	s_cbranch_vccnz .LBB268_163
; %bb.158:
	v_mad_u64_u32 v[2:3], null, v24, s8, s[10:11]
	v_mul_lo_u32 v8, v24, s9
	v_mul_lo_u32 v9, v23, s8
	v_mad_u64_u32 v[6:7], null, v41, s8, s[10:11]
	v_mul_lo_u32 v42, v41, s9
	v_mul_lo_u32 v43, v40, s8
	s_mov_b32 s24, 0
	s_mov_b64 s[20:21], s[8:9]
                                        ; implicit-def: $sgpr25
                                        ; implicit-def: $sgpr26
                                        ; implicit-def: $sgpr27
                                        ; implicit-def: $sgpr28
                                        ; implicit-def: $sgpr29
	s_delay_alu instid0(VALU_DEP_4) | instskip(NEXT) | instid1(VALU_DEP_2)
	v_add3_u32 v3, v9, v3, v8
	v_add3_u32 v7, v43, v7, v42
	s_branch .LBB268_160
.LBB268_159:                            ;   in Loop: Header=BB268_160 Depth=1
	s_or_b32 exec_lo, exec_lo, s0
	s_delay_alu instid0(SALU_CYCLE_1) | instskip(NEXT) | instid1(SALU_CYCLE_1)
	s_and_b32 s0, exec_lo, s26
	s_or_b32 s24, s0, s24
	s_and_not1_b32 s0, s29, exec_lo
	s_and_b32 s29, s28, exec_lo
	s_and_not1_b32 s25, s25, exec_lo
	s_and_b32 s30, s27, exec_lo
	s_or_b32 s29, s0, s29
	s_or_b32 s25, s25, s30
	s_and_not1_b32 exec_lo, exec_lo, s24
	s_cbranch_execz .LBB268_162
.LBB268_160:                            ; =>This Inner Loop Header: Depth=1
	global_load_u8 v8, v[2:3], off
	global_load_u8 v9, v[6:7], off
	s_and_not1_b32 s27, s27, exec_lo
	s_and_not1_b32 s28, s28, exec_lo
	s_or_b32 s26, s26, exec_lo
	s_waitcnt vmcnt(1)
	v_bfe_i32 v42, v8, 0, 8
	s_waitcnt vmcnt(0)
	v_bfe_i32 v43, v9, 0, 8
	v_and_b32_e32 v8, 0xff, v8
	v_and_b32_e32 v9, 0xff, v9
	s_delay_alu instid0(VALU_DEP_3)
	v_cmp_le_i16_e32 vcc_lo, v42, v43
	v_cmp_lt_i16_e64 s0, v42, v43
	s_and_b32 s30, vcc_lo, s29
	s_delay_alu instid0(VALU_DEP_1) | instid1(SALU_CYCLE_1)
	s_or_b32 s30, s0, s30
	s_delay_alu instid0(SALU_CYCLE_1) | instskip(NEXT) | instid1(SALU_CYCLE_1)
	s_and_b32 s0, s30, exec_lo
	s_or_b32 s27, s27, s0
	s_mov_b32 s0, exec_lo
	v_cmpx_eq_u16_e64 v8, v9
	s_cbranch_execz .LBB268_159
; %bb.161:                              ;   in Loop: Header=BB268_160 Depth=1
	s_add_u32 s20, s20, -1
	s_addc_u32 s21, s21, -1
	v_add_co_u32 v2, vcc_lo, v2, 1
	s_cmp_eq_u64 s[20:21], 0
	v_add_co_ci_u32_e32 v3, vcc_lo, 0, v3, vcc_lo
	v_add_co_u32 v6, vcc_lo, v6, 1
	s_cselect_b32 s29, -1, 0
	v_add_co_ci_u32_e32 v7, vcc_lo, 0, v7, vcc_lo
	s_and_not1_b32 s28, s28, exec_lo
	s_and_b32 s30, s30, exec_lo
	s_and_not1_b32 s26, s26, exec_lo
	s_and_b32 s29, s29, exec_lo
	s_or_b32 s28, s28, s30
	s_and_not1_b32 s27, s27, exec_lo
	s_or_b32 s26, s26, s29
                                        ; implicit-def: $sgpr29
	s_branch .LBB268_159
.LBB268_162:
	s_or_b32 exec_lo, exec_lo, s24
	s_xor_b32 s0, s25, -1
	s_branch .LBB268_164
.LBB268_163:
	s_mov_b32 s0, -1
.LBB268_164:
	s_delay_alu instid0(SALU_CYCLE_1)
	s_and_b32 s0, s0, exec_lo
.LBB268_165:
	s_or_b32 exec_lo, exec_lo, s23
	s_delay_alu instid0(SALU_CYCLE_1)
	s_or_not1_b32 s0, s0, exec_lo
.LBB268_166:
	s_or_b32 exec_lo, exec_lo, s22
	v_cndmask_b32_e64 v2, v25, v22, s0
	v_cndmask_b32_e64 v3, v15, v14, s0
	;; [unrolled: 1-line block ×5, first 2 shown]
	v_add_nc_u32_e32 v42, 1, v2
	v_add_nc_u32_e32 v2, -1, v3
	v_cndmask_b32_e64 v3, v10, v20, s19
	v_cndmask_b32_e64 v4, v24, v41, s0
	s_mov_b32 s12, exec_lo
	v_cndmask_b32_e64 v10, v42, v25, s0
	v_min_u32_e32 v2, v42, v2
	s_delay_alu instid0(VALU_DEP_1)
	v_lshl_add_u32 v2, v2, 3, v16
	ds_load_b64 v[8:9], v2
	v_cndmask_b32_e64 v2, v11, v21, s19
	s_waitcnt lgkmcnt(0)
	v_cndmask_b32_e64 v7, v40, v9, s0
	v_cndmask_b32_e64 v6, v41, v8, s0
	v_cmpx_lt_u32_e64 v10, v15
	s_cbranch_execz .LBB268_176
; %bb.167:
	v_cndmask_b32_e64 v10, v22, v42, s0
	v_cndmask_b32_e64 v9, v9, v23, s0
	;; [unrolled: 1-line block ×3, first 2 shown]
	s_mov_b32 s19, exec_lo
	s_delay_alu instid0(VALU_DEP_3)
	v_cmpx_lt_u32_e64 v10, v14
	s_cbranch_execz .LBB268_175
; %bb.168:
	s_and_not1_b32 vcc_lo, exec_lo, s7
	s_cbranch_vccnz .LBB268_174
; %bb.169:
	v_mad_u64_u32 v[10:11], null, v8, s8, s[10:11]
	v_mul_lo_u32 v20, v8, s9
	v_mul_lo_u32 v21, v9, s8
	v_mad_u64_u32 v[14:15], null, v6, s8, s[10:11]
	v_mul_lo_u32 v22, v6, s9
	v_mul_lo_u32 v23, v7, s8
	s_mov_b32 s22, 0
	s_mov_b64 s[20:21], s[8:9]
                                        ; implicit-def: $sgpr23
                                        ; implicit-def: $sgpr24
                                        ; implicit-def: $sgpr25
                                        ; implicit-def: $sgpr26
                                        ; implicit-def: $sgpr27
	s_delay_alu instid0(VALU_DEP_4) | instskip(NEXT) | instid1(VALU_DEP_2)
	v_add3_u32 v11, v21, v11, v20
	v_add3_u32 v15, v23, v15, v22
	s_branch .LBB268_171
.LBB268_170:                            ;   in Loop: Header=BB268_171 Depth=1
	s_or_b32 exec_lo, exec_lo, s0
	s_delay_alu instid0(SALU_CYCLE_1) | instskip(NEXT) | instid1(SALU_CYCLE_1)
	s_and_b32 s0, exec_lo, s24
	s_or_b32 s22, s0, s22
	s_and_not1_b32 s0, s27, exec_lo
	s_and_b32 s27, s26, exec_lo
	s_and_not1_b32 s23, s23, exec_lo
	s_and_b32 s28, s25, exec_lo
	s_or_b32 s27, s0, s27
	s_or_b32 s23, s23, s28
	s_and_not1_b32 exec_lo, exec_lo, s22
	s_cbranch_execz .LBB268_173
.LBB268_171:                            ; =>This Inner Loop Header: Depth=1
	global_load_u8 v20, v[10:11], off
	global_load_u8 v21, v[14:15], off
	s_and_not1_b32 s25, s25, exec_lo
	s_and_not1_b32 s26, s26, exec_lo
	s_or_b32 s24, s24, exec_lo
	s_waitcnt vmcnt(1)
	v_bfe_i32 v22, v20, 0, 8
	s_waitcnt vmcnt(0)
	v_bfe_i32 v23, v21, 0, 8
	v_and_b32_e32 v20, 0xff, v20
	v_and_b32_e32 v21, 0xff, v21
	s_delay_alu instid0(VALU_DEP_3)
	v_cmp_le_i16_e32 vcc_lo, v22, v23
	v_cmp_lt_i16_e64 s0, v22, v23
	s_and_b32 s28, vcc_lo, s27
	s_delay_alu instid0(VALU_DEP_1) | instid1(SALU_CYCLE_1)
	s_or_b32 s28, s0, s28
	s_delay_alu instid0(SALU_CYCLE_1) | instskip(NEXT) | instid1(SALU_CYCLE_1)
	s_and_b32 s0, s28, exec_lo
	s_or_b32 s25, s25, s0
	s_mov_b32 s0, exec_lo
	v_cmpx_eq_u16_e64 v20, v21
	s_cbranch_execz .LBB268_170
; %bb.172:                              ;   in Loop: Header=BB268_171 Depth=1
	s_add_u32 s20, s20, -1
	s_addc_u32 s21, s21, -1
	v_add_co_u32 v10, vcc_lo, v10, 1
	s_cmp_eq_u64 s[20:21], 0
	v_add_co_ci_u32_e32 v11, vcc_lo, 0, v11, vcc_lo
	v_add_co_u32 v14, vcc_lo, v14, 1
	s_cselect_b32 s27, -1, 0
	v_add_co_ci_u32_e32 v15, vcc_lo, 0, v15, vcc_lo
	s_and_not1_b32 s26, s26, exec_lo
	s_and_b32 s28, s28, exec_lo
	s_and_not1_b32 s24, s24, exec_lo
	s_and_b32 s27, s27, exec_lo
	s_or_b32 s26, s26, s28
	s_and_not1_b32 s25, s25, exec_lo
	s_or_b32 s24, s24, s27
                                        ; implicit-def: $sgpr27
	s_branch .LBB268_170
.LBB268_173:
	s_or_b32 exec_lo, exec_lo, s22
	v_cndmask_b32_e64 v7, v7, v9, s23
	v_cndmask_b32_e64 v6, v6, v8, s23
.LBB268_174:
	s_delay_alu instid0(VALU_DEP_1)
	v_dual_mov_b32 v9, v7 :: v_dual_mov_b32 v8, v6
.LBB268_175:
	s_or_b32 exec_lo, exec_lo, s19
	s_delay_alu instid0(VALU_DEP_1)
	v_dual_mov_b32 v6, v8 :: v_dual_mov_b32 v7, v9
.LBB268_176:
	s_or_b32 exec_lo, exec_lo, s12
.LBB268_177:
	s_delay_alu instid0(SALU_CYCLE_1) | instskip(SKIP_3) | instid1(VALU_DEP_2)
	s_or_b32 exec_lo, exec_lo, s1
	v_and_b32_e32 v22, 0x60, v18
	v_and_b32_e32 v9, 28, v18
	s_mov_b32 s1, exec_lo
	; wave barrier
	v_or_b32_e32 v8, 16, v22
	s_delay_alu instid0(VALU_DEP_2) | instskip(SKIP_4) | instid1(VALU_DEP_1)
	v_min_u32_e32 v23, v17, v9
	v_lshl_add_u32 v21, v22, 3, v16
	ds_store_b128 v19, v[0:3]
	ds_store_b128 v19, v[4:7] offset:16
	v_min_u32_e32 v14, v17, v8
	; wave barrier
	v_add_nc_u32_e32 v8, 16, v14
	v_sub_nc_u32_e32 v9, v14, v22
	s_delay_alu instid0(VALU_DEP_2) | instskip(NEXT) | instid1(VALU_DEP_2)
	v_min_u32_e32 v15, v17, v8
	v_min_u32_e32 v24, v23, v9
	s_delay_alu instid0(VALU_DEP_2) | instskip(NEXT) | instid1(VALU_DEP_1)
	v_sub_nc_u32_e32 v8, v15, v14
	v_sub_nc_u32_e64 v20, v23, v8 clamp
	s_delay_alu instid0(VALU_DEP_1)
	v_cmpx_lt_u32_e64 v20, v24
	s_cbranch_execz .LBB268_187
; %bb.178:
	v_lshlrev_b32_e32 v8, 3, v14
	v_lshlrev_b32_e32 v9, 3, v23
	s_mov_b32 s12, 0
	s_delay_alu instid0(VALU_DEP_1)
	v_add3_u32 v25, v16, v8, v9
	s_branch .LBB268_181
.LBB268_179:                            ;   in Loop: Header=BB268_181 Depth=1
	s_or_b32 exec_lo, exec_lo, s19
.LBB268_180:                            ;   in Loop: Header=BB268_181 Depth=1
	s_delay_alu instid0(VALU_DEP_1) | instskip(SKIP_1) | instid1(VALU_DEP_2)
	v_add_nc_u32_e32 v8, 1, v40
	v_cndmask_b32_e64 v24, v24, v40, s22
	v_cndmask_b32_e64 v20, v8, v20, s22
	s_delay_alu instid0(VALU_DEP_1) | instskip(SKIP_1) | instid1(SALU_CYCLE_1)
	v_cmp_ge_u32_e32 vcc_lo, v20, v24
	s_or_b32 s12, vcc_lo, s12
	s_and_not1_b32 exec_lo, exec_lo, s12
	s_cbranch_execz .LBB268_186
.LBB268_181:                            ; =>This Loop Header: Depth=1
                                        ;     Child Loop BB268_184 Depth 2
	v_add_nc_u32_e32 v8, v24, v20
	s_and_not1_b32 vcc_lo, exec_lo, s7
	s_mov_b32 s22, 0
	s_delay_alu instid0(VALU_DEP_1)
	v_lshrrev_b32_e32 v40, 1, v8
	s_cbranch_vccnz .LBB268_180
; %bb.182:                              ;   in Loop: Header=BB268_181 Depth=1
	s_delay_alu instid0(VALU_DEP_1) | instskip(SKIP_3) | instid1(VALU_DEP_2)
	v_not_b32_e32 v8, v40
	v_lshl_add_u32 v9, v40, 3, v21
	s_mov_b32 s19, 0
	s_mov_b64 s[20:21], s[8:9]
                                        ; implicit-def: $sgpr22
                                        ; implicit-def: $sgpr23
                                        ; implicit-def: $sgpr24
                                        ; implicit-def: $sgpr25
                                        ; implicit-def: $sgpr26
	v_lshl_add_u32 v8, v8, 3, v25
	ds_load_b64 v[10:11], v8
	ds_load_b64 v[41:42], v9
	s_waitcnt lgkmcnt(1)
	v_mul_lo_u32 v43, v10, s9
	v_mul_lo_u32 v44, v11, s8
	v_mad_u64_u32 v[8:9], null, v10, s8, s[10:11]
	s_waitcnt lgkmcnt(0)
	v_mul_lo_u32 v45, v41, s9
	v_mul_lo_u32 v42, v42, s8
	v_mad_u64_u32 v[10:11], null, v41, s8, s[10:11]
	s_delay_alu instid0(VALU_DEP_4) | instskip(NEXT) | instid1(VALU_DEP_2)
	v_add3_u32 v9, v44, v9, v43
	v_add3_u32 v11, v42, v11, v45
	s_branch .LBB268_184
.LBB268_183:                            ;   in Loop: Header=BB268_184 Depth=2
	s_or_b32 exec_lo, exec_lo, s27
	s_delay_alu instid0(SALU_CYCLE_1) | instskip(NEXT) | instid1(SALU_CYCLE_1)
	s_and_b32 s0, exec_lo, s23
	s_or_b32 s19, s0, s19
	s_and_not1_b32 s0, s26, exec_lo
	s_and_b32 s26, s24, exec_lo
	s_and_not1_b32 s22, s22, exec_lo
	s_and_b32 s27, s25, exec_lo
	s_or_b32 s26, s0, s26
	s_or_b32 s22, s22, s27
	s_and_not1_b32 exec_lo, exec_lo, s19
	s_cbranch_execz .LBB268_179
.LBB268_184:                            ;   Parent Loop BB268_181 Depth=1
                                        ; =>  This Inner Loop Header: Depth=2
	global_load_u8 v41, v[8:9], off
	global_load_u8 v42, v[10:11], off
	s_and_not1_b32 s25, s25, exec_lo
	s_and_not1_b32 s24, s24, exec_lo
	s_or_b32 s23, s23, exec_lo
	s_waitcnt vmcnt(1)
	v_bfe_i32 v43, v41, 0, 8
	s_waitcnt vmcnt(0)
	v_bfe_i32 v44, v42, 0, 8
	v_and_b32_e32 v41, 0xff, v41
	v_and_b32_e32 v42, 0xff, v42
	s_delay_alu instid0(VALU_DEP_3)
	v_cmp_le_i16_e32 vcc_lo, v43, v44
	v_cmp_lt_i16_e64 s0, v43, v44
	s_and_b32 s27, vcc_lo, s26
	s_delay_alu instid0(VALU_DEP_1) | instid1(SALU_CYCLE_1)
	s_or_b32 s0, s0, s27
	s_delay_alu instid0(SALU_CYCLE_1) | instskip(NEXT) | instid1(SALU_CYCLE_1)
	s_and_b32 s27, s0, exec_lo
	s_or_b32 s25, s25, s27
	s_mov_b32 s27, exec_lo
	v_cmpx_eq_u16_e64 v41, v42
	s_cbranch_execz .LBB268_183
; %bb.185:                              ;   in Loop: Header=BB268_184 Depth=2
	s_add_u32 s20, s20, -1
	s_addc_u32 s21, s21, -1
	v_add_co_u32 v8, vcc_lo, v8, 1
	v_add_co_ci_u32_e32 v9, vcc_lo, 0, v9, vcc_lo
	s_cmp_eq_u64 s[20:21], 0
	v_add_co_u32 v10, vcc_lo, v10, 1
	s_cselect_b32 s26, -1, 0
	v_add_co_ci_u32_e32 v11, vcc_lo, 0, v11, vcc_lo
	s_and_not1_b32 s24, s24, exec_lo
	s_and_b32 s0, s0, exec_lo
	s_and_not1_b32 s23, s23, exec_lo
	s_and_b32 s26, s26, exec_lo
	s_and_not1_b32 s25, s25, exec_lo
	s_or_b32 s24, s24, s0
	s_or_b32 s23, s23, s26
                                        ; implicit-def: $sgpr26
	s_branch .LBB268_183
.LBB268_186:
	s_or_b32 exec_lo, exec_lo, s12
.LBB268_187:
	s_delay_alu instid0(SALU_CYCLE_1) | instskip(SKIP_2) | instid1(VALU_DEP_2)
	s_or_b32 exec_lo, exec_lo, s1
	v_add_nc_u32_e32 v9, v14, v23
	v_add_nc_u32_e32 v8, v20, v22
	v_sub_nc_u32_e32 v9, v9, v20
	s_delay_alu instid0(VALU_DEP_2) | instskip(NEXT) | instid1(VALU_DEP_2)
	v_cmp_le_u32_e32 vcc_lo, v8, v14
	v_cmp_le_u32_e64 s0, v9, v15
	s_delay_alu instid0(VALU_DEP_1) | instskip(NEXT) | instid1(SALU_CYCLE_1)
	s_or_b32 s0, vcc_lo, s0
	s_and_saveexec_b32 s1, s0
	s_cbranch_execz .LBB268_234
; %bb.188:
	v_cmp_ge_u32_e32 vcc_lo, v8, v14
	s_mov_b32 s12, exec_lo
                                        ; implicit-def: $vgpr0_vgpr1
	v_cmpx_lt_u32_e64 v8, v14
	s_cbranch_execz .LBB268_190
; %bb.189:
	v_lshl_add_u32 v0, v20, 3, v21
	ds_load_b64 v[0:1], v0
.LBB268_190:
	s_or_b32 exec_lo, exec_lo, s12
	v_cmp_ge_u32_e64 s12, v9, v15
	s_mov_b32 s19, exec_lo
                                        ; implicit-def: $vgpr4_vgpr5
	v_cmpx_lt_u32_e64 v9, v15
	s_cbranch_execz .LBB268_192
; %bb.191:
	v_lshl_add_u32 v2, v9, 3, v16
	ds_load_b64 v[4:5], v2
.LBB268_192:
	s_or_b32 exec_lo, exec_lo, s19
	s_or_b32 s0, vcc_lo, s12
	s_mov_b32 s19, -1
	s_xor_b32 s0, s0, -1
	s_delay_alu instid0(SALU_CYCLE_1)
	s_and_saveexec_b32 s22, s0
	s_cbranch_execz .LBB268_201
; %bb.193:
	s_and_not1_b32 vcc_lo, exec_lo, s7
	s_cbranch_vccnz .LBB268_199
; %bb.194:
	s_waitcnt lgkmcnt(0)
	v_mad_u64_u32 v[2:3], null, v4, s8, s[10:11]
	v_mul_lo_u32 v10, v4, s9
	v_mul_lo_u32 v11, v5, s8
	v_mad_u64_u32 v[6:7], null, v0, s8, s[10:11]
	v_mul_lo_u32 v20, v0, s9
	v_mul_lo_u32 v21, v1, s8
	s_mov_b32 s23, 0
	s_mov_b64 s[20:21], s[8:9]
                                        ; implicit-def: $sgpr24
                                        ; implicit-def: $sgpr25
                                        ; implicit-def: $sgpr26
                                        ; implicit-def: $sgpr27
                                        ; implicit-def: $sgpr28
	s_delay_alu instid0(VALU_DEP_4) | instskip(NEXT) | instid1(VALU_DEP_2)
	v_add3_u32 v3, v11, v3, v10
	v_add3_u32 v7, v21, v7, v20
	s_branch .LBB268_196
.LBB268_195:                            ;   in Loop: Header=BB268_196 Depth=1
	s_or_b32 exec_lo, exec_lo, s0
	s_delay_alu instid0(SALU_CYCLE_1) | instskip(NEXT) | instid1(SALU_CYCLE_1)
	s_and_b32 s0, exec_lo, s25
	s_or_b32 s23, s0, s23
	s_and_not1_b32 s0, s28, exec_lo
	s_and_b32 s28, s27, exec_lo
	s_and_not1_b32 s24, s24, exec_lo
	s_and_b32 s29, s26, exec_lo
	s_or_b32 s28, s0, s28
	s_or_b32 s24, s24, s29
	s_and_not1_b32 exec_lo, exec_lo, s23
	s_cbranch_execz .LBB268_198
.LBB268_196:                            ; =>This Inner Loop Header: Depth=1
	global_load_u8 v10, v[2:3], off
	global_load_u8 v11, v[6:7], off
	s_and_not1_b32 s26, s26, exec_lo
	s_and_not1_b32 s27, s27, exec_lo
	s_or_b32 s25, s25, exec_lo
	s_waitcnt vmcnt(1)
	v_bfe_i32 v20, v10, 0, 8
	s_waitcnt vmcnt(0)
	v_bfe_i32 v21, v11, 0, 8
	v_and_b32_e32 v10, 0xff, v10
	v_and_b32_e32 v11, 0xff, v11
	s_delay_alu instid0(VALU_DEP_3)
	v_cmp_le_i16_e32 vcc_lo, v20, v21
	v_cmp_lt_i16_e64 s0, v20, v21
	s_and_b32 s29, vcc_lo, s28
	s_delay_alu instid0(VALU_DEP_1) | instid1(SALU_CYCLE_1)
	s_or_b32 s29, s0, s29
	s_delay_alu instid0(SALU_CYCLE_1) | instskip(NEXT) | instid1(SALU_CYCLE_1)
	s_and_b32 s0, s29, exec_lo
	s_or_b32 s26, s26, s0
	s_mov_b32 s0, exec_lo
	v_cmpx_eq_u16_e64 v10, v11
	s_cbranch_execz .LBB268_195
; %bb.197:                              ;   in Loop: Header=BB268_196 Depth=1
	s_add_u32 s20, s20, -1
	s_addc_u32 s21, s21, -1
	v_add_co_u32 v2, vcc_lo, v2, 1
	s_cmp_eq_u64 s[20:21], 0
	v_add_co_ci_u32_e32 v3, vcc_lo, 0, v3, vcc_lo
	v_add_co_u32 v6, vcc_lo, v6, 1
	s_cselect_b32 s28, -1, 0
	v_add_co_ci_u32_e32 v7, vcc_lo, 0, v7, vcc_lo
	s_and_not1_b32 s27, s27, exec_lo
	s_and_b32 s29, s29, exec_lo
	s_and_not1_b32 s25, s25, exec_lo
	s_and_b32 s28, s28, exec_lo
	s_or_b32 s27, s27, s29
	s_and_not1_b32 s26, s26, exec_lo
	s_or_b32 s25, s25, s28
                                        ; implicit-def: $sgpr28
	s_branch .LBB268_195
.LBB268_198:
	s_or_b32 exec_lo, exec_lo, s23
	s_xor_b32 s0, s24, -1
	s_branch .LBB268_200
.LBB268_199:
	s_mov_b32 s0, -1
.LBB268_200:
	s_and_not1_b32 s12, s12, exec_lo
	s_and_b32 s0, s0, exec_lo
	s_delay_alu instid0(SALU_CYCLE_1)
	s_or_b32 s12, s12, s0
.LBB268_201:
	s_or_b32 exec_lo, exec_lo, s22
	v_cndmask_b32_e64 v2, v9, v8, s12
	v_cndmask_b32_e64 v3, v15, v14, s12
	s_mov_b32 s22, exec_lo
	s_delay_alu instid0(VALU_DEP_2) | instskip(NEXT) | instid1(VALU_DEP_2)
	v_add_nc_u32_e32 v6, 1, v2
	v_add_nc_u32_e32 v2, -1, v3
	s_delay_alu instid0(VALU_DEP_2) | instskip(NEXT) | instid1(VALU_DEP_2)
	v_cndmask_b32_e64 v9, v6, v9, s12
	v_min_u32_e32 v2, v6, v2
	v_cndmask_b32_e64 v8, v8, v6, s12
	s_delay_alu instid0(VALU_DEP_2)
	v_lshl_add_u32 v2, v2, 3, v16
	ds_load_b64 v[2:3], v2
	s_waitcnt lgkmcnt(0)
	v_cndmask_b32_e64 v10, v3, v5, s12
	v_cndmask_b32_e64 v11, v2, v4, s12
	;; [unrolled: 1-line block ×4, first 2 shown]
	v_cmpx_lt_u32_e64 v9, v15
	s_cbranch_execz .LBB268_212
; %bb.202:
	s_mov_b32 s0, 0
	s_mov_b32 s19, exec_lo
	v_cmpx_lt_u32_e64 v8, v14
	s_cbranch_execz .LBB268_211
; %bb.203:
	s_and_not1_b32 vcc_lo, exec_lo, s7
	s_cbranch_vccnz .LBB268_209
; %bb.204:
	v_mad_u64_u32 v[2:3], null, v11, s8, s[10:11]
	v_mul_lo_u32 v22, v11, s9
	v_mul_lo_u32 v23, v10, s8
	v_mad_u64_u32 v[6:7], null, v21, s8, s[10:11]
	v_mul_lo_u32 v24, v21, s9
	v_mul_lo_u32 v25, v20, s8
	s_mov_b32 s23, 0
	s_mov_b64 s[20:21], s[8:9]
                                        ; implicit-def: $sgpr24
                                        ; implicit-def: $sgpr25
                                        ; implicit-def: $sgpr26
                                        ; implicit-def: $sgpr27
                                        ; implicit-def: $sgpr28
	s_delay_alu instid0(VALU_DEP_4) | instskip(NEXT) | instid1(VALU_DEP_2)
	v_add3_u32 v3, v23, v3, v22
	v_add3_u32 v7, v25, v7, v24
	s_branch .LBB268_206
.LBB268_205:                            ;   in Loop: Header=BB268_206 Depth=1
	s_or_b32 exec_lo, exec_lo, s0
	s_delay_alu instid0(SALU_CYCLE_1) | instskip(NEXT) | instid1(SALU_CYCLE_1)
	s_and_b32 s0, exec_lo, s25
	s_or_b32 s23, s0, s23
	s_and_not1_b32 s0, s28, exec_lo
	s_and_b32 s28, s27, exec_lo
	s_and_not1_b32 s24, s24, exec_lo
	s_and_b32 s29, s26, exec_lo
	s_or_b32 s28, s0, s28
	s_or_b32 s24, s24, s29
	s_and_not1_b32 exec_lo, exec_lo, s23
	s_cbranch_execz .LBB268_208
.LBB268_206:                            ; =>This Inner Loop Header: Depth=1
	global_load_u8 v22, v[2:3], off
	global_load_u8 v23, v[6:7], off
	s_and_not1_b32 s26, s26, exec_lo
	s_and_not1_b32 s27, s27, exec_lo
	s_or_b32 s25, s25, exec_lo
	s_waitcnt vmcnt(1)
	v_bfe_i32 v24, v22, 0, 8
	s_waitcnt vmcnt(0)
	v_bfe_i32 v25, v23, 0, 8
	v_and_b32_e32 v22, 0xff, v22
	v_and_b32_e32 v23, 0xff, v23
	s_delay_alu instid0(VALU_DEP_3)
	v_cmp_le_i16_e32 vcc_lo, v24, v25
	v_cmp_lt_i16_e64 s0, v24, v25
	s_and_b32 s29, vcc_lo, s28
	s_delay_alu instid0(VALU_DEP_1) | instid1(SALU_CYCLE_1)
	s_or_b32 s29, s0, s29
	s_delay_alu instid0(SALU_CYCLE_1) | instskip(NEXT) | instid1(SALU_CYCLE_1)
	s_and_b32 s0, s29, exec_lo
	s_or_b32 s26, s26, s0
	s_mov_b32 s0, exec_lo
	v_cmpx_eq_u16_e64 v22, v23
	s_cbranch_execz .LBB268_205
; %bb.207:                              ;   in Loop: Header=BB268_206 Depth=1
	s_add_u32 s20, s20, -1
	s_addc_u32 s21, s21, -1
	v_add_co_u32 v2, vcc_lo, v2, 1
	s_cmp_eq_u64 s[20:21], 0
	v_add_co_ci_u32_e32 v3, vcc_lo, 0, v3, vcc_lo
	v_add_co_u32 v6, vcc_lo, v6, 1
	s_cselect_b32 s28, -1, 0
	v_add_co_ci_u32_e32 v7, vcc_lo, 0, v7, vcc_lo
	s_and_not1_b32 s27, s27, exec_lo
	s_and_b32 s29, s29, exec_lo
	s_and_not1_b32 s25, s25, exec_lo
	s_and_b32 s28, s28, exec_lo
	s_or_b32 s27, s27, s29
	s_and_not1_b32 s26, s26, exec_lo
	s_or_b32 s25, s25, s28
                                        ; implicit-def: $sgpr28
	s_branch .LBB268_205
.LBB268_208:
	s_or_b32 exec_lo, exec_lo, s23
	s_xor_b32 s0, s24, -1
	s_branch .LBB268_210
.LBB268_209:
	s_mov_b32 s0, -1
.LBB268_210:
	s_delay_alu instid0(SALU_CYCLE_1)
	s_and_b32 s0, s0, exec_lo
.LBB268_211:
	s_or_b32 exec_lo, exec_lo, s19
	s_delay_alu instid0(SALU_CYCLE_1)
	s_or_not1_b32 s19, s0, exec_lo
.LBB268_212:
	s_or_b32 exec_lo, exec_lo, s22
	v_cndmask_b32_e64 v2, v9, v8, s19
	v_cndmask_b32_e64 v3, v15, v14, s19
	s_mov_b32 s0, -1
	s_mov_b32 s22, exec_lo
	s_delay_alu instid0(VALU_DEP_2) | instskip(NEXT) | instid1(VALU_DEP_2)
	v_add_nc_u32_e32 v6, 1, v2
	v_add_nc_u32_e32 v2, -1, v3
	s_delay_alu instid0(VALU_DEP_2) | instskip(NEXT) | instid1(VALU_DEP_2)
	v_cndmask_b32_e64 v25, v6, v9, s19
	v_min_u32_e32 v2, v6, v2
	v_cndmask_b32_e64 v22, v8, v6, s19
	s_delay_alu instid0(VALU_DEP_2)
	v_lshl_add_u32 v2, v2, 3, v16
	ds_load_b64 v[2:3], v2
	s_waitcnt lgkmcnt(0)
	v_cndmask_b32_e64 v23, v3, v10, s19
	v_cndmask_b32_e64 v24, v2, v11, s19
	;; [unrolled: 1-line block ×4, first 2 shown]
	v_cmpx_lt_u32_e64 v25, v15
	s_cbranch_execz .LBB268_223
; %bb.213:
	s_mov_b32 s0, 0
	s_mov_b32 s23, exec_lo
	v_cmpx_lt_u32_e64 v22, v14
	s_cbranch_execz .LBB268_222
; %bb.214:
	s_and_not1_b32 vcc_lo, exec_lo, s7
	s_cbranch_vccnz .LBB268_220
; %bb.215:
	v_mad_u64_u32 v[2:3], null, v24, s8, s[10:11]
	v_mul_lo_u32 v8, v24, s9
	v_mul_lo_u32 v9, v23, s8
	v_mad_u64_u32 v[6:7], null, v41, s8, s[10:11]
	v_mul_lo_u32 v42, v41, s9
	v_mul_lo_u32 v43, v40, s8
	s_mov_b32 s24, 0
	s_mov_b64 s[20:21], s[8:9]
                                        ; implicit-def: $sgpr25
                                        ; implicit-def: $sgpr26
                                        ; implicit-def: $sgpr27
                                        ; implicit-def: $sgpr28
                                        ; implicit-def: $sgpr29
	s_delay_alu instid0(VALU_DEP_4) | instskip(NEXT) | instid1(VALU_DEP_2)
	v_add3_u32 v3, v9, v3, v8
	v_add3_u32 v7, v43, v7, v42
	s_branch .LBB268_217
.LBB268_216:                            ;   in Loop: Header=BB268_217 Depth=1
	s_or_b32 exec_lo, exec_lo, s0
	s_delay_alu instid0(SALU_CYCLE_1) | instskip(NEXT) | instid1(SALU_CYCLE_1)
	s_and_b32 s0, exec_lo, s26
	s_or_b32 s24, s0, s24
	s_and_not1_b32 s0, s29, exec_lo
	s_and_b32 s29, s28, exec_lo
	s_and_not1_b32 s25, s25, exec_lo
	s_and_b32 s30, s27, exec_lo
	s_or_b32 s29, s0, s29
	s_or_b32 s25, s25, s30
	s_and_not1_b32 exec_lo, exec_lo, s24
	s_cbranch_execz .LBB268_219
.LBB268_217:                            ; =>This Inner Loop Header: Depth=1
	global_load_u8 v8, v[2:3], off
	global_load_u8 v9, v[6:7], off
	s_and_not1_b32 s27, s27, exec_lo
	s_and_not1_b32 s28, s28, exec_lo
	s_or_b32 s26, s26, exec_lo
	s_waitcnt vmcnt(1)
	v_bfe_i32 v42, v8, 0, 8
	s_waitcnt vmcnt(0)
	v_bfe_i32 v43, v9, 0, 8
	v_and_b32_e32 v8, 0xff, v8
	v_and_b32_e32 v9, 0xff, v9
	s_delay_alu instid0(VALU_DEP_3)
	v_cmp_le_i16_e32 vcc_lo, v42, v43
	v_cmp_lt_i16_e64 s0, v42, v43
	s_and_b32 s30, vcc_lo, s29
	s_delay_alu instid0(VALU_DEP_1) | instid1(SALU_CYCLE_1)
	s_or_b32 s30, s0, s30
	s_delay_alu instid0(SALU_CYCLE_1) | instskip(NEXT) | instid1(SALU_CYCLE_1)
	s_and_b32 s0, s30, exec_lo
	s_or_b32 s27, s27, s0
	s_mov_b32 s0, exec_lo
	v_cmpx_eq_u16_e64 v8, v9
	s_cbranch_execz .LBB268_216
; %bb.218:                              ;   in Loop: Header=BB268_217 Depth=1
	s_add_u32 s20, s20, -1
	s_addc_u32 s21, s21, -1
	v_add_co_u32 v2, vcc_lo, v2, 1
	s_cmp_eq_u64 s[20:21], 0
	v_add_co_ci_u32_e32 v3, vcc_lo, 0, v3, vcc_lo
	v_add_co_u32 v6, vcc_lo, v6, 1
	s_cselect_b32 s29, -1, 0
	v_add_co_ci_u32_e32 v7, vcc_lo, 0, v7, vcc_lo
	s_and_not1_b32 s28, s28, exec_lo
	s_and_b32 s30, s30, exec_lo
	s_and_not1_b32 s26, s26, exec_lo
	s_and_b32 s29, s29, exec_lo
	s_or_b32 s28, s28, s30
	s_and_not1_b32 s27, s27, exec_lo
	s_or_b32 s26, s26, s29
                                        ; implicit-def: $sgpr29
	s_branch .LBB268_216
.LBB268_219:
	s_or_b32 exec_lo, exec_lo, s24
	s_xor_b32 s0, s25, -1
	s_branch .LBB268_221
.LBB268_220:
	s_mov_b32 s0, -1
.LBB268_221:
	s_delay_alu instid0(SALU_CYCLE_1)
	s_and_b32 s0, s0, exec_lo
.LBB268_222:
	s_or_b32 exec_lo, exec_lo, s23
	s_delay_alu instid0(SALU_CYCLE_1)
	s_or_not1_b32 s0, s0, exec_lo
.LBB268_223:
	s_or_b32 exec_lo, exec_lo, s22
	v_cndmask_b32_e64 v2, v25, v22, s0
	v_cndmask_b32_e64 v3, v15, v14, s0
	;; [unrolled: 1-line block ×5, first 2 shown]
	v_add_nc_u32_e32 v42, 1, v2
	v_add_nc_u32_e32 v2, -1, v3
	v_cndmask_b32_e64 v3, v10, v20, s19
	v_cndmask_b32_e64 v4, v24, v41, s0
	s_mov_b32 s12, exec_lo
	v_cndmask_b32_e64 v10, v42, v25, s0
	v_min_u32_e32 v2, v42, v2
	s_delay_alu instid0(VALU_DEP_1)
	v_lshl_add_u32 v2, v2, 3, v16
	ds_load_b64 v[8:9], v2
	v_cndmask_b32_e64 v2, v11, v21, s19
	s_waitcnt lgkmcnt(0)
	v_cndmask_b32_e64 v7, v40, v9, s0
	v_cndmask_b32_e64 v6, v41, v8, s0
	v_cmpx_lt_u32_e64 v10, v15
	s_cbranch_execz .LBB268_233
; %bb.224:
	v_cndmask_b32_e64 v10, v22, v42, s0
	v_cndmask_b32_e64 v9, v9, v23, s0
	;; [unrolled: 1-line block ×3, first 2 shown]
	s_mov_b32 s19, exec_lo
	s_delay_alu instid0(VALU_DEP_3)
	v_cmpx_lt_u32_e64 v10, v14
	s_cbranch_execz .LBB268_232
; %bb.225:
	s_and_not1_b32 vcc_lo, exec_lo, s7
	s_cbranch_vccnz .LBB268_231
; %bb.226:
	v_mad_u64_u32 v[10:11], null, v8, s8, s[10:11]
	v_mul_lo_u32 v20, v8, s9
	v_mul_lo_u32 v21, v9, s8
	v_mad_u64_u32 v[14:15], null, v6, s8, s[10:11]
	v_mul_lo_u32 v22, v6, s9
	v_mul_lo_u32 v23, v7, s8
	s_mov_b32 s22, 0
	s_mov_b64 s[20:21], s[8:9]
                                        ; implicit-def: $sgpr23
                                        ; implicit-def: $sgpr24
                                        ; implicit-def: $sgpr25
                                        ; implicit-def: $sgpr26
                                        ; implicit-def: $sgpr27
	s_delay_alu instid0(VALU_DEP_4) | instskip(NEXT) | instid1(VALU_DEP_2)
	v_add3_u32 v11, v21, v11, v20
	v_add3_u32 v15, v23, v15, v22
	s_branch .LBB268_228
.LBB268_227:                            ;   in Loop: Header=BB268_228 Depth=1
	s_or_b32 exec_lo, exec_lo, s0
	s_delay_alu instid0(SALU_CYCLE_1) | instskip(NEXT) | instid1(SALU_CYCLE_1)
	s_and_b32 s0, exec_lo, s24
	s_or_b32 s22, s0, s22
	s_and_not1_b32 s0, s27, exec_lo
	s_and_b32 s27, s26, exec_lo
	s_and_not1_b32 s23, s23, exec_lo
	s_and_b32 s28, s25, exec_lo
	s_or_b32 s27, s0, s27
	s_or_b32 s23, s23, s28
	s_and_not1_b32 exec_lo, exec_lo, s22
	s_cbranch_execz .LBB268_230
.LBB268_228:                            ; =>This Inner Loop Header: Depth=1
	global_load_u8 v20, v[10:11], off
	global_load_u8 v21, v[14:15], off
	s_and_not1_b32 s25, s25, exec_lo
	s_and_not1_b32 s26, s26, exec_lo
	s_or_b32 s24, s24, exec_lo
	s_waitcnt vmcnt(1)
	v_bfe_i32 v22, v20, 0, 8
	s_waitcnt vmcnt(0)
	v_bfe_i32 v23, v21, 0, 8
	v_and_b32_e32 v20, 0xff, v20
	v_and_b32_e32 v21, 0xff, v21
	s_delay_alu instid0(VALU_DEP_3)
	v_cmp_le_i16_e32 vcc_lo, v22, v23
	v_cmp_lt_i16_e64 s0, v22, v23
	s_and_b32 s28, vcc_lo, s27
	s_delay_alu instid0(VALU_DEP_1) | instid1(SALU_CYCLE_1)
	s_or_b32 s28, s0, s28
	s_delay_alu instid0(SALU_CYCLE_1) | instskip(NEXT) | instid1(SALU_CYCLE_1)
	s_and_b32 s0, s28, exec_lo
	s_or_b32 s25, s25, s0
	s_mov_b32 s0, exec_lo
	v_cmpx_eq_u16_e64 v20, v21
	s_cbranch_execz .LBB268_227
; %bb.229:                              ;   in Loop: Header=BB268_228 Depth=1
	s_add_u32 s20, s20, -1
	s_addc_u32 s21, s21, -1
	v_add_co_u32 v10, vcc_lo, v10, 1
	s_cmp_eq_u64 s[20:21], 0
	v_add_co_ci_u32_e32 v11, vcc_lo, 0, v11, vcc_lo
	v_add_co_u32 v14, vcc_lo, v14, 1
	s_cselect_b32 s27, -1, 0
	v_add_co_ci_u32_e32 v15, vcc_lo, 0, v15, vcc_lo
	s_and_not1_b32 s26, s26, exec_lo
	s_and_b32 s28, s28, exec_lo
	s_and_not1_b32 s24, s24, exec_lo
	s_and_b32 s27, s27, exec_lo
	s_or_b32 s26, s26, s28
	s_and_not1_b32 s25, s25, exec_lo
	s_or_b32 s24, s24, s27
                                        ; implicit-def: $sgpr27
	s_branch .LBB268_227
.LBB268_230:
	s_or_b32 exec_lo, exec_lo, s22
	v_cndmask_b32_e64 v7, v7, v9, s23
	v_cndmask_b32_e64 v6, v6, v8, s23
.LBB268_231:
	s_delay_alu instid0(VALU_DEP_1)
	v_dual_mov_b32 v9, v7 :: v_dual_mov_b32 v8, v6
.LBB268_232:
	s_or_b32 exec_lo, exec_lo, s19
	s_delay_alu instid0(VALU_DEP_1)
	v_dual_mov_b32 v6, v8 :: v_dual_mov_b32 v7, v9
.LBB268_233:
	s_or_b32 exec_lo, exec_lo, s12
.LBB268_234:
	s_delay_alu instid0(SALU_CYCLE_1) | instskip(SKIP_3) | instid1(VALU_DEP_2)
	s_or_b32 exec_lo, exec_lo, s1
	v_and_b32_e32 v20, 64, v18
	v_and_b32_e32 v9, 60, v18
	s_mov_b32 s1, exec_lo
	; wave barrier
	v_or_b32_e32 v8, 32, v20
	s_delay_alu instid0(VALU_DEP_2) | instskip(SKIP_4) | instid1(VALU_DEP_1)
	v_min_u32_e32 v21, v17, v9
	v_lshl_add_u32 v18, v20, 3, v16
	ds_store_b128 v19, v[0:3]
	ds_store_b128 v19, v[4:7] offset:16
	v_min_u32_e32 v14, v17, v8
	; wave barrier
	v_add_nc_u32_e32 v8, 32, v14
	v_sub_nc_u32_e32 v9, v14, v20
	s_delay_alu instid0(VALU_DEP_2) | instskip(NEXT) | instid1(VALU_DEP_2)
	v_min_u32_e32 v15, v17, v8
	v_min_u32_e32 v22, v21, v9
	s_delay_alu instid0(VALU_DEP_2) | instskip(NEXT) | instid1(VALU_DEP_1)
	v_sub_nc_u32_e32 v8, v15, v14
	v_sub_nc_u32_e64 v17, v21, v8 clamp
	s_delay_alu instid0(VALU_DEP_1)
	v_cmpx_lt_u32_e64 v17, v22
	s_cbranch_execz .LBB268_244
; %bb.235:
	v_lshlrev_b32_e32 v8, 3, v14
	v_lshlrev_b32_e32 v9, 3, v21
	s_mov_b32 s12, 0
	s_delay_alu instid0(VALU_DEP_1)
	v_add3_u32 v19, v16, v8, v9
	s_branch .LBB268_238
.LBB268_236:                            ;   in Loop: Header=BB268_238 Depth=1
	s_or_b32 exec_lo, exec_lo, s19
.LBB268_237:                            ;   in Loop: Header=BB268_238 Depth=1
	s_delay_alu instid0(VALU_DEP_1) | instskip(SKIP_1) | instid1(VALU_DEP_2)
	v_add_nc_u32_e32 v8, 1, v23
	v_cndmask_b32_e64 v22, v22, v23, s22
	v_cndmask_b32_e64 v17, v8, v17, s22
	s_delay_alu instid0(VALU_DEP_1) | instskip(SKIP_1) | instid1(SALU_CYCLE_1)
	v_cmp_ge_u32_e32 vcc_lo, v17, v22
	s_or_b32 s12, vcc_lo, s12
	s_and_not1_b32 exec_lo, exec_lo, s12
	s_cbranch_execz .LBB268_243
.LBB268_238:                            ; =>This Loop Header: Depth=1
                                        ;     Child Loop BB268_241 Depth 2
	v_add_nc_u32_e32 v8, v22, v17
	s_and_not1_b32 vcc_lo, exec_lo, s7
	s_mov_b32 s22, 0
	s_delay_alu instid0(VALU_DEP_1)
	v_lshrrev_b32_e32 v23, 1, v8
	s_cbranch_vccnz .LBB268_237
; %bb.239:                              ;   in Loop: Header=BB268_238 Depth=1
	s_delay_alu instid0(VALU_DEP_1) | instskip(SKIP_3) | instid1(VALU_DEP_2)
	v_not_b32_e32 v8, v23
	v_lshl_add_u32 v9, v23, 3, v18
	s_mov_b32 s19, 0
	s_mov_b64 s[20:21], s[8:9]
                                        ; implicit-def: $sgpr22
                                        ; implicit-def: $sgpr23
                                        ; implicit-def: $sgpr24
                                        ; implicit-def: $sgpr25
                                        ; implicit-def: $sgpr26
	v_lshl_add_u32 v8, v8, 3, v19
	ds_load_b64 v[10:11], v8
	ds_load_b64 v[24:25], v9
	s_waitcnt lgkmcnt(1)
	v_mul_lo_u32 v40, v10, s9
	v_mul_lo_u32 v41, v11, s8
	v_mad_u64_u32 v[8:9], null, v10, s8, s[10:11]
	s_waitcnt lgkmcnt(0)
	v_mul_lo_u32 v42, v24, s9
	v_mul_lo_u32 v25, v25, s8
	v_mad_u64_u32 v[10:11], null, v24, s8, s[10:11]
	s_delay_alu instid0(VALU_DEP_4) | instskip(NEXT) | instid1(VALU_DEP_2)
	v_add3_u32 v9, v41, v9, v40
	v_add3_u32 v11, v25, v11, v42
	s_branch .LBB268_241
.LBB268_240:                            ;   in Loop: Header=BB268_241 Depth=2
	s_or_b32 exec_lo, exec_lo, s27
	s_delay_alu instid0(SALU_CYCLE_1) | instskip(NEXT) | instid1(SALU_CYCLE_1)
	s_and_b32 s0, exec_lo, s23
	s_or_b32 s19, s0, s19
	s_and_not1_b32 s0, s26, exec_lo
	s_and_b32 s26, s24, exec_lo
	s_and_not1_b32 s22, s22, exec_lo
	s_and_b32 s27, s25, exec_lo
	s_or_b32 s26, s0, s26
	s_or_b32 s22, s22, s27
	s_and_not1_b32 exec_lo, exec_lo, s19
	s_cbranch_execz .LBB268_236
.LBB268_241:                            ;   Parent Loop BB268_238 Depth=1
                                        ; =>  This Inner Loop Header: Depth=2
	global_load_u8 v24, v[8:9], off
	global_load_u8 v25, v[10:11], off
	s_and_not1_b32 s25, s25, exec_lo
	s_and_not1_b32 s24, s24, exec_lo
	s_or_b32 s23, s23, exec_lo
	s_waitcnt vmcnt(1)
	v_bfe_i32 v40, v24, 0, 8
	s_waitcnt vmcnt(0)
	v_bfe_i32 v41, v25, 0, 8
	v_and_b32_e32 v24, 0xff, v24
	v_and_b32_e32 v25, 0xff, v25
	s_delay_alu instid0(VALU_DEP_3)
	v_cmp_le_i16_e32 vcc_lo, v40, v41
	v_cmp_lt_i16_e64 s0, v40, v41
	s_and_b32 s27, vcc_lo, s26
	s_delay_alu instid0(VALU_DEP_1) | instid1(SALU_CYCLE_1)
	s_or_b32 s0, s0, s27
	s_delay_alu instid0(SALU_CYCLE_1) | instskip(NEXT) | instid1(SALU_CYCLE_1)
	s_and_b32 s27, s0, exec_lo
	s_or_b32 s25, s25, s27
	s_mov_b32 s27, exec_lo
	v_cmpx_eq_u16_e64 v24, v25
	s_cbranch_execz .LBB268_240
; %bb.242:                              ;   in Loop: Header=BB268_241 Depth=2
	s_add_u32 s20, s20, -1
	s_addc_u32 s21, s21, -1
	v_add_co_u32 v8, vcc_lo, v8, 1
	v_add_co_ci_u32_e32 v9, vcc_lo, 0, v9, vcc_lo
	s_cmp_eq_u64 s[20:21], 0
	v_add_co_u32 v10, vcc_lo, v10, 1
	s_cselect_b32 s26, -1, 0
	v_add_co_ci_u32_e32 v11, vcc_lo, 0, v11, vcc_lo
	s_and_not1_b32 s24, s24, exec_lo
	s_and_b32 s0, s0, exec_lo
	s_and_not1_b32 s23, s23, exec_lo
	s_and_b32 s26, s26, exec_lo
	s_and_not1_b32 s25, s25, exec_lo
	s_or_b32 s24, s24, s0
	s_or_b32 s23, s23, s26
                                        ; implicit-def: $sgpr26
	s_branch .LBB268_240
.LBB268_243:
	s_or_b32 exec_lo, exec_lo, s12
.LBB268_244:
	s_delay_alu instid0(SALU_CYCLE_1) | instskip(SKIP_2) | instid1(VALU_DEP_2)
	s_or_b32 exec_lo, exec_lo, s1
	v_add_nc_u32_e32 v9, v14, v21
	v_add_nc_u32_e32 v8, v17, v20
	v_sub_nc_u32_e32 v9, v9, v17
	s_delay_alu instid0(VALU_DEP_2) | instskip(NEXT) | instid1(VALU_DEP_2)
	v_cmp_le_u32_e32 vcc_lo, v8, v14
	v_cmp_le_u32_e64 s0, v9, v15
	s_delay_alu instid0(VALU_DEP_1) | instskip(NEXT) | instid1(SALU_CYCLE_1)
	s_or_b32 s0, vcc_lo, s0
	s_and_saveexec_b32 s1, s0
	s_cbranch_execz .LBB268_291
; %bb.245:
	v_cmp_ge_u32_e32 vcc_lo, v8, v14
	s_mov_b32 s12, exec_lo
                                        ; implicit-def: $vgpr0_vgpr1
	v_cmpx_lt_u32_e64 v8, v14
	s_cbranch_execz .LBB268_247
; %bb.246:
	v_lshl_add_u32 v0, v17, 3, v18
	ds_load_b64 v[0:1], v0
.LBB268_247:
	s_or_b32 exec_lo, exec_lo, s12
	v_cmp_ge_u32_e64 s12, v9, v15
	s_mov_b32 s19, exec_lo
                                        ; implicit-def: $vgpr4_vgpr5
	v_cmpx_lt_u32_e64 v9, v15
	s_cbranch_execz .LBB268_249
; %bb.248:
	v_lshl_add_u32 v2, v9, 3, v16
	ds_load_b64 v[4:5], v2
.LBB268_249:
	s_or_b32 exec_lo, exec_lo, s19
	s_or_b32 s0, vcc_lo, s12
	s_mov_b32 s19, -1
	s_xor_b32 s0, s0, -1
	s_delay_alu instid0(SALU_CYCLE_1)
	s_and_saveexec_b32 s22, s0
	s_cbranch_execz .LBB268_258
; %bb.250:
	s_and_not1_b32 vcc_lo, exec_lo, s7
	s_cbranch_vccnz .LBB268_256
; %bb.251:
	s_waitcnt lgkmcnt(0)
	v_mad_u64_u32 v[2:3], null, v4, s8, s[10:11]
	v_mul_lo_u32 v10, v4, s9
	v_mul_lo_u32 v11, v5, s8
	v_mad_u64_u32 v[6:7], null, v0, s8, s[10:11]
	v_mul_lo_u32 v17, v0, s9
	v_mul_lo_u32 v18, v1, s8
	s_mov_b32 s23, 0
	s_mov_b64 s[20:21], s[8:9]
                                        ; implicit-def: $sgpr24
                                        ; implicit-def: $sgpr25
                                        ; implicit-def: $sgpr26
                                        ; implicit-def: $sgpr27
                                        ; implicit-def: $sgpr28
	s_delay_alu instid0(VALU_DEP_4) | instskip(NEXT) | instid1(VALU_DEP_2)
	v_add3_u32 v3, v11, v3, v10
	v_add3_u32 v7, v18, v7, v17
	s_branch .LBB268_253
.LBB268_252:                            ;   in Loop: Header=BB268_253 Depth=1
	s_or_b32 exec_lo, exec_lo, s0
	s_delay_alu instid0(SALU_CYCLE_1) | instskip(NEXT) | instid1(SALU_CYCLE_1)
	s_and_b32 s0, exec_lo, s25
	s_or_b32 s23, s0, s23
	s_and_not1_b32 s0, s28, exec_lo
	s_and_b32 s28, s27, exec_lo
	s_and_not1_b32 s24, s24, exec_lo
	s_and_b32 s29, s26, exec_lo
	s_or_b32 s28, s0, s28
	s_or_b32 s24, s24, s29
	s_and_not1_b32 exec_lo, exec_lo, s23
	s_cbranch_execz .LBB268_255
.LBB268_253:                            ; =>This Inner Loop Header: Depth=1
	global_load_u8 v10, v[2:3], off
	global_load_u8 v11, v[6:7], off
	s_and_not1_b32 s26, s26, exec_lo
	s_and_not1_b32 s27, s27, exec_lo
	s_or_b32 s25, s25, exec_lo
	s_waitcnt vmcnt(1)
	v_bfe_i32 v17, v10, 0, 8
	s_waitcnt vmcnt(0)
	v_bfe_i32 v18, v11, 0, 8
	v_and_b32_e32 v10, 0xff, v10
	v_and_b32_e32 v11, 0xff, v11
	s_delay_alu instid0(VALU_DEP_3)
	v_cmp_le_i16_e32 vcc_lo, v17, v18
	v_cmp_lt_i16_e64 s0, v17, v18
	s_and_b32 s29, vcc_lo, s28
	s_delay_alu instid0(VALU_DEP_1) | instid1(SALU_CYCLE_1)
	s_or_b32 s29, s0, s29
	s_delay_alu instid0(SALU_CYCLE_1) | instskip(NEXT) | instid1(SALU_CYCLE_1)
	s_and_b32 s0, s29, exec_lo
	s_or_b32 s26, s26, s0
	s_mov_b32 s0, exec_lo
	v_cmpx_eq_u16_e64 v10, v11
	s_cbranch_execz .LBB268_252
; %bb.254:                              ;   in Loop: Header=BB268_253 Depth=1
	s_add_u32 s20, s20, -1
	s_addc_u32 s21, s21, -1
	v_add_co_u32 v2, vcc_lo, v2, 1
	s_cmp_eq_u64 s[20:21], 0
	v_add_co_ci_u32_e32 v3, vcc_lo, 0, v3, vcc_lo
	v_add_co_u32 v6, vcc_lo, v6, 1
	s_cselect_b32 s28, -1, 0
	v_add_co_ci_u32_e32 v7, vcc_lo, 0, v7, vcc_lo
	s_and_not1_b32 s27, s27, exec_lo
	s_and_b32 s29, s29, exec_lo
	s_and_not1_b32 s25, s25, exec_lo
	s_and_b32 s28, s28, exec_lo
	s_or_b32 s27, s27, s29
	s_and_not1_b32 s26, s26, exec_lo
	s_or_b32 s25, s25, s28
                                        ; implicit-def: $sgpr28
	s_branch .LBB268_252
.LBB268_255:
	s_or_b32 exec_lo, exec_lo, s23
	s_xor_b32 s0, s24, -1
	s_branch .LBB268_257
.LBB268_256:
	s_mov_b32 s0, -1
.LBB268_257:
	s_and_not1_b32 s12, s12, exec_lo
	s_and_b32 s0, s0, exec_lo
	s_delay_alu instid0(SALU_CYCLE_1)
	s_or_b32 s12, s12, s0
.LBB268_258:
	s_or_b32 exec_lo, exec_lo, s22
	v_cndmask_b32_e64 v2, v9, v8, s12
	v_cndmask_b32_e64 v3, v15, v14, s12
	s_mov_b32 s22, exec_lo
	s_delay_alu instid0(VALU_DEP_2) | instskip(NEXT) | instid1(VALU_DEP_2)
	v_add_nc_u32_e32 v6, 1, v2
	v_add_nc_u32_e32 v2, -1, v3
	s_delay_alu instid0(VALU_DEP_2) | instskip(NEXT) | instid1(VALU_DEP_2)
	v_cndmask_b32_e64 v9, v6, v9, s12
	v_min_u32_e32 v2, v6, v2
	v_cndmask_b32_e64 v8, v8, v6, s12
	s_delay_alu instid0(VALU_DEP_2)
	v_lshl_add_u32 v2, v2, 3, v16
	ds_load_b64 v[2:3], v2
	s_waitcnt lgkmcnt(0)
	v_cndmask_b32_e64 v10, v3, v5, s12
	v_cndmask_b32_e64 v11, v2, v4, s12
	;; [unrolled: 1-line block ×4, first 2 shown]
	v_cmpx_lt_u32_e64 v9, v15
	s_cbranch_execz .LBB268_269
; %bb.259:
	s_mov_b32 s0, 0
	s_mov_b32 s19, exec_lo
	v_cmpx_lt_u32_e64 v8, v14
	s_cbranch_execz .LBB268_268
; %bb.260:
	s_and_not1_b32 vcc_lo, exec_lo, s7
	s_cbranch_vccnz .LBB268_266
; %bb.261:
	v_mad_u64_u32 v[2:3], null, v11, s8, s[10:11]
	v_mul_lo_u32 v19, v11, s9
	v_mul_lo_u32 v20, v10, s8
	v_mad_u64_u32 v[6:7], null, v18, s8, s[10:11]
	v_mul_lo_u32 v21, v18, s9
	v_mul_lo_u32 v22, v17, s8
	s_mov_b32 s23, 0
	s_mov_b64 s[20:21], s[8:9]
                                        ; implicit-def: $sgpr24
                                        ; implicit-def: $sgpr25
                                        ; implicit-def: $sgpr26
                                        ; implicit-def: $sgpr27
                                        ; implicit-def: $sgpr28
	s_delay_alu instid0(VALU_DEP_4) | instskip(NEXT) | instid1(VALU_DEP_2)
	v_add3_u32 v3, v20, v3, v19
	v_add3_u32 v7, v22, v7, v21
	s_branch .LBB268_263
.LBB268_262:                            ;   in Loop: Header=BB268_263 Depth=1
	s_or_b32 exec_lo, exec_lo, s0
	s_delay_alu instid0(SALU_CYCLE_1) | instskip(NEXT) | instid1(SALU_CYCLE_1)
	s_and_b32 s0, exec_lo, s25
	s_or_b32 s23, s0, s23
	s_and_not1_b32 s0, s28, exec_lo
	s_and_b32 s28, s27, exec_lo
	s_and_not1_b32 s24, s24, exec_lo
	s_and_b32 s29, s26, exec_lo
	s_or_b32 s28, s0, s28
	s_or_b32 s24, s24, s29
	s_and_not1_b32 exec_lo, exec_lo, s23
	s_cbranch_execz .LBB268_265
.LBB268_263:                            ; =>This Inner Loop Header: Depth=1
	global_load_u8 v19, v[2:3], off
	global_load_u8 v20, v[6:7], off
	s_and_not1_b32 s26, s26, exec_lo
	s_and_not1_b32 s27, s27, exec_lo
	s_or_b32 s25, s25, exec_lo
	s_waitcnt vmcnt(1)
	v_bfe_i32 v21, v19, 0, 8
	s_waitcnt vmcnt(0)
	v_bfe_i32 v22, v20, 0, 8
	v_and_b32_e32 v19, 0xff, v19
	v_and_b32_e32 v20, 0xff, v20
	s_delay_alu instid0(VALU_DEP_3)
	v_cmp_le_i16_e32 vcc_lo, v21, v22
	v_cmp_lt_i16_e64 s0, v21, v22
	s_and_b32 s29, vcc_lo, s28
	s_delay_alu instid0(VALU_DEP_1) | instid1(SALU_CYCLE_1)
	s_or_b32 s29, s0, s29
	s_delay_alu instid0(SALU_CYCLE_1) | instskip(NEXT) | instid1(SALU_CYCLE_1)
	s_and_b32 s0, s29, exec_lo
	s_or_b32 s26, s26, s0
	s_mov_b32 s0, exec_lo
	v_cmpx_eq_u16_e64 v19, v20
	s_cbranch_execz .LBB268_262
; %bb.264:                              ;   in Loop: Header=BB268_263 Depth=1
	s_add_u32 s20, s20, -1
	s_addc_u32 s21, s21, -1
	v_add_co_u32 v2, vcc_lo, v2, 1
	s_cmp_eq_u64 s[20:21], 0
	v_add_co_ci_u32_e32 v3, vcc_lo, 0, v3, vcc_lo
	v_add_co_u32 v6, vcc_lo, v6, 1
	s_cselect_b32 s28, -1, 0
	v_add_co_ci_u32_e32 v7, vcc_lo, 0, v7, vcc_lo
	s_and_not1_b32 s27, s27, exec_lo
	s_and_b32 s29, s29, exec_lo
	s_and_not1_b32 s25, s25, exec_lo
	s_and_b32 s28, s28, exec_lo
	s_or_b32 s27, s27, s29
	s_and_not1_b32 s26, s26, exec_lo
	s_or_b32 s25, s25, s28
                                        ; implicit-def: $sgpr28
	s_branch .LBB268_262
.LBB268_265:
	s_or_b32 exec_lo, exec_lo, s23
	s_xor_b32 s0, s24, -1
	s_branch .LBB268_267
.LBB268_266:
	s_mov_b32 s0, -1
.LBB268_267:
	s_delay_alu instid0(SALU_CYCLE_1)
	s_and_b32 s0, s0, exec_lo
.LBB268_268:
	s_or_b32 exec_lo, exec_lo, s19
	s_delay_alu instid0(SALU_CYCLE_1)
	s_or_not1_b32 s19, s0, exec_lo
.LBB268_269:
	s_or_b32 exec_lo, exec_lo, s22
	v_cndmask_b32_e64 v2, v9, v8, s19
	v_cndmask_b32_e64 v3, v15, v14, s19
	s_mov_b32 s0, -1
	s_mov_b32 s22, exec_lo
	s_delay_alu instid0(VALU_DEP_2) | instskip(NEXT) | instid1(VALU_DEP_2)
	v_add_nc_u32_e32 v6, 1, v2
	v_add_nc_u32_e32 v2, -1, v3
	s_delay_alu instid0(VALU_DEP_2) | instskip(NEXT) | instid1(VALU_DEP_2)
	v_cndmask_b32_e64 v22, v6, v9, s19
	v_min_u32_e32 v2, v6, v2
	v_cndmask_b32_e64 v19, v8, v6, s19
	s_delay_alu instid0(VALU_DEP_2)
	v_lshl_add_u32 v2, v2, 3, v16
	ds_load_b64 v[2:3], v2
	s_waitcnt lgkmcnt(0)
	v_cndmask_b32_e64 v20, v3, v10, s19
	v_cndmask_b32_e64 v21, v2, v11, s19
	;; [unrolled: 1-line block ×4, first 2 shown]
	v_cmpx_lt_u32_e64 v22, v15
	s_cbranch_execz .LBB268_280
; %bb.270:
	s_mov_b32 s0, 0
	s_mov_b32 s23, exec_lo
	v_cmpx_lt_u32_e64 v19, v14
	s_cbranch_execz .LBB268_279
; %bb.271:
	s_and_not1_b32 vcc_lo, exec_lo, s7
	s_cbranch_vccnz .LBB268_277
; %bb.272:
	v_mad_u64_u32 v[2:3], null, v21, s8, s[10:11]
	v_mul_lo_u32 v8, v21, s9
	v_mul_lo_u32 v9, v20, s8
	v_mad_u64_u32 v[6:7], null, v24, s8, s[10:11]
	v_mul_lo_u32 v25, v24, s9
	v_mul_lo_u32 v40, v23, s8
	s_mov_b32 s24, 0
	s_mov_b64 s[20:21], s[8:9]
                                        ; implicit-def: $sgpr25
                                        ; implicit-def: $sgpr26
                                        ; implicit-def: $sgpr27
                                        ; implicit-def: $sgpr28
                                        ; implicit-def: $sgpr29
	s_delay_alu instid0(VALU_DEP_4) | instskip(NEXT) | instid1(VALU_DEP_2)
	v_add3_u32 v3, v9, v3, v8
	v_add3_u32 v7, v40, v7, v25
	s_branch .LBB268_274
.LBB268_273:                            ;   in Loop: Header=BB268_274 Depth=1
	s_or_b32 exec_lo, exec_lo, s0
	s_delay_alu instid0(SALU_CYCLE_1) | instskip(NEXT) | instid1(SALU_CYCLE_1)
	s_and_b32 s0, exec_lo, s26
	s_or_b32 s24, s0, s24
	s_and_not1_b32 s0, s29, exec_lo
	s_and_b32 s29, s28, exec_lo
	s_and_not1_b32 s25, s25, exec_lo
	s_and_b32 s30, s27, exec_lo
	s_or_b32 s29, s0, s29
	s_or_b32 s25, s25, s30
	s_and_not1_b32 exec_lo, exec_lo, s24
	s_cbranch_execz .LBB268_276
.LBB268_274:                            ; =>This Inner Loop Header: Depth=1
	global_load_u8 v8, v[2:3], off
	global_load_u8 v9, v[6:7], off
	s_and_not1_b32 s27, s27, exec_lo
	s_and_not1_b32 s28, s28, exec_lo
	s_or_b32 s26, s26, exec_lo
	s_waitcnt vmcnt(1)
	v_bfe_i32 v25, v8, 0, 8
	s_waitcnt vmcnt(0)
	v_bfe_i32 v40, v9, 0, 8
	v_and_b32_e32 v8, 0xff, v8
	v_and_b32_e32 v9, 0xff, v9
	s_delay_alu instid0(VALU_DEP_3)
	v_cmp_le_i16_e32 vcc_lo, v25, v40
	v_cmp_lt_i16_e64 s0, v25, v40
	s_and_b32 s30, vcc_lo, s29
	s_delay_alu instid0(VALU_DEP_1) | instid1(SALU_CYCLE_1)
	s_or_b32 s30, s0, s30
	s_delay_alu instid0(SALU_CYCLE_1) | instskip(NEXT) | instid1(SALU_CYCLE_1)
	s_and_b32 s0, s30, exec_lo
	s_or_b32 s27, s27, s0
	s_mov_b32 s0, exec_lo
	v_cmpx_eq_u16_e64 v8, v9
	s_cbranch_execz .LBB268_273
; %bb.275:                              ;   in Loop: Header=BB268_274 Depth=1
	s_add_u32 s20, s20, -1
	s_addc_u32 s21, s21, -1
	v_add_co_u32 v2, vcc_lo, v2, 1
	s_cmp_eq_u64 s[20:21], 0
	v_add_co_ci_u32_e32 v3, vcc_lo, 0, v3, vcc_lo
	v_add_co_u32 v6, vcc_lo, v6, 1
	s_cselect_b32 s29, -1, 0
	v_add_co_ci_u32_e32 v7, vcc_lo, 0, v7, vcc_lo
	s_and_not1_b32 s28, s28, exec_lo
	s_and_b32 s30, s30, exec_lo
	s_and_not1_b32 s26, s26, exec_lo
	s_and_b32 s29, s29, exec_lo
	s_or_b32 s28, s28, s30
	s_and_not1_b32 s27, s27, exec_lo
	s_or_b32 s26, s26, s29
                                        ; implicit-def: $sgpr29
	s_branch .LBB268_273
.LBB268_276:
	s_or_b32 exec_lo, exec_lo, s24
	s_xor_b32 s0, s25, -1
	s_branch .LBB268_278
.LBB268_277:
	s_mov_b32 s0, -1
.LBB268_278:
	s_delay_alu instid0(SALU_CYCLE_1)
	s_and_b32 s0, s0, exec_lo
.LBB268_279:
	s_or_b32 exec_lo, exec_lo, s23
	s_delay_alu instid0(SALU_CYCLE_1)
	s_or_not1_b32 s0, s0, exec_lo
.LBB268_280:
	s_or_b32 exec_lo, exec_lo, s22
	v_cndmask_b32_e64 v2, v22, v19, s0
	v_cndmask_b32_e64 v3, v15, v14, s0
	;; [unrolled: 1-line block ×5, first 2 shown]
	v_add_nc_u32_e32 v25, 1, v2
	v_add_nc_u32_e32 v2, -1, v3
	v_cndmask_b32_e64 v3, v10, v17, s19
	v_cndmask_b32_e64 v4, v21, v24, s0
	s_mov_b32 s12, exec_lo
	v_cndmask_b32_e64 v10, v25, v22, s0
	v_min_u32_e32 v2, v25, v2
	s_delay_alu instid0(VALU_DEP_1)
	v_lshl_add_u32 v2, v2, 3, v16
	ds_load_b64 v[8:9], v2
	v_cndmask_b32_e64 v2, v11, v18, s19
	s_waitcnt lgkmcnt(0)
	v_cndmask_b32_e64 v7, v23, v9, s0
	v_cndmask_b32_e64 v6, v24, v8, s0
	v_cmpx_lt_u32_e64 v10, v15
	s_cbranch_execz .LBB268_290
; %bb.281:
	v_cndmask_b32_e64 v10, v19, v25, s0
	v_cndmask_b32_e64 v9, v9, v20, s0
	;; [unrolled: 1-line block ×3, first 2 shown]
	s_mov_b32 s19, exec_lo
	s_delay_alu instid0(VALU_DEP_3)
	v_cmpx_lt_u32_e64 v10, v14
	s_cbranch_execz .LBB268_289
; %bb.282:
	s_and_not1_b32 vcc_lo, exec_lo, s7
	s_cbranch_vccnz .LBB268_288
; %bb.283:
	v_mad_u64_u32 v[10:11], null, v8, s8, s[10:11]
	v_mul_lo_u32 v16, v8, s9
	v_mul_lo_u32 v17, v9, s8
	v_mad_u64_u32 v[14:15], null, v6, s8, s[10:11]
	v_mul_lo_u32 v18, v6, s9
	v_mul_lo_u32 v19, v7, s8
	s_mov_b32 s22, 0
	s_mov_b64 s[20:21], s[8:9]
                                        ; implicit-def: $sgpr23
                                        ; implicit-def: $sgpr24
                                        ; implicit-def: $sgpr25
                                        ; implicit-def: $sgpr26
                                        ; implicit-def: $sgpr27
	s_delay_alu instid0(VALU_DEP_4) | instskip(NEXT) | instid1(VALU_DEP_2)
	v_add3_u32 v11, v17, v11, v16
	v_add3_u32 v15, v19, v15, v18
	s_branch .LBB268_285
.LBB268_284:                            ;   in Loop: Header=BB268_285 Depth=1
	s_or_b32 exec_lo, exec_lo, s0
	s_delay_alu instid0(SALU_CYCLE_1) | instskip(NEXT) | instid1(SALU_CYCLE_1)
	s_and_b32 s0, exec_lo, s24
	s_or_b32 s22, s0, s22
	s_and_not1_b32 s0, s27, exec_lo
	s_and_b32 s27, s26, exec_lo
	s_and_not1_b32 s23, s23, exec_lo
	s_and_b32 s28, s25, exec_lo
	s_or_b32 s27, s0, s27
	s_or_b32 s23, s23, s28
	s_and_not1_b32 exec_lo, exec_lo, s22
	s_cbranch_execz .LBB268_287
.LBB268_285:                            ; =>This Inner Loop Header: Depth=1
	global_load_u8 v16, v[10:11], off
	global_load_u8 v17, v[14:15], off
	s_and_not1_b32 s25, s25, exec_lo
	s_and_not1_b32 s26, s26, exec_lo
	s_or_b32 s24, s24, exec_lo
	s_waitcnt vmcnt(1)
	v_bfe_i32 v18, v16, 0, 8
	s_waitcnt vmcnt(0)
	v_bfe_i32 v19, v17, 0, 8
	v_and_b32_e32 v16, 0xff, v16
	v_and_b32_e32 v17, 0xff, v17
	s_delay_alu instid0(VALU_DEP_3)
	v_cmp_le_i16_e32 vcc_lo, v18, v19
	v_cmp_lt_i16_e64 s0, v18, v19
	s_and_b32 s28, vcc_lo, s27
	s_delay_alu instid0(VALU_DEP_1) | instid1(SALU_CYCLE_1)
	s_or_b32 s28, s0, s28
	s_delay_alu instid0(SALU_CYCLE_1) | instskip(NEXT) | instid1(SALU_CYCLE_1)
	s_and_b32 s0, s28, exec_lo
	s_or_b32 s25, s25, s0
	s_mov_b32 s0, exec_lo
	v_cmpx_eq_u16_e64 v16, v17
	s_cbranch_execz .LBB268_284
; %bb.286:                              ;   in Loop: Header=BB268_285 Depth=1
	s_add_u32 s20, s20, -1
	s_addc_u32 s21, s21, -1
	v_add_co_u32 v10, vcc_lo, v10, 1
	s_cmp_eq_u64 s[20:21], 0
	v_add_co_ci_u32_e32 v11, vcc_lo, 0, v11, vcc_lo
	v_add_co_u32 v14, vcc_lo, v14, 1
	s_cselect_b32 s27, -1, 0
	v_add_co_ci_u32_e32 v15, vcc_lo, 0, v15, vcc_lo
	s_and_not1_b32 s26, s26, exec_lo
	s_and_b32 s28, s28, exec_lo
	s_and_not1_b32 s24, s24, exec_lo
	s_and_b32 s27, s27, exec_lo
	s_or_b32 s26, s26, s28
	s_and_not1_b32 s25, s25, exec_lo
	s_or_b32 s24, s24, s27
                                        ; implicit-def: $sgpr27
	s_branch .LBB268_284
.LBB268_287:
	s_or_b32 exec_lo, exec_lo, s22
	v_cndmask_b32_e64 v7, v7, v9, s23
	v_cndmask_b32_e64 v6, v6, v8, s23
.LBB268_288:
	s_delay_alu instid0(VALU_DEP_1)
	v_dual_mov_b32 v9, v7 :: v_dual_mov_b32 v8, v6
.LBB268_289:
	s_or_b32 exec_lo, exec_lo, s19
	s_delay_alu instid0(VALU_DEP_1)
	v_dual_mov_b32 v6, v8 :: v_dual_mov_b32 v7, v9
.LBB268_290:
	s_or_b32 exec_lo, exec_lo, s12
.LBB268_291:
	s_delay_alu instid0(SALU_CYCLE_1) | instskip(SKIP_4) | instid1(VALU_DEP_3)
	s_or_b32 exec_lo, exec_lo, s1
	v_and_b32_e32 v19, 0xf80, v27
	v_and_b32_e32 v20, 0x7c, v27
	v_lshlrev_b32_e32 v16, 3, v27
	s_mov_b32 s1, exec_lo
	v_or_b32_e32 v8, 64, v19
	v_lshlrev_b32_e32 v18, 3, v19
	; wave barrier
	s_waitcnt lgkmcnt(0)
	s_barrier
	s_delay_alu instid0(VALU_DEP_2)
	v_min_u32_e32 v9, 0x3c0, v8
	v_min_u32_e32 v14, 0x400, v8
	buffer_gl0_inv
	ds_store_b128 v16, v[0:3]
	ds_store_b128 v16, v[4:7] offset:16
	s_waitcnt lgkmcnt(0)
	v_add_nc_u32_e32 v15, 64, v9
	v_sub_nc_u32_e32 v8, v14, v19
	s_barrier
	buffer_gl0_inv
	v_sub_nc_u32_e32 v9, v15, v14
	v_min_u32_e32 v21, v20, v8
	s_delay_alu instid0(VALU_DEP_2) | instskip(NEXT) | instid1(VALU_DEP_1)
	v_sub_nc_u32_e64 v17, v20, v9 clamp
	v_cmpx_lt_u32_e64 v17, v21
	s_cbranch_execz .LBB268_301
; %bb.292:
	v_lshlrev_b32_e32 v8, 3, v20
	s_mov_b32 s12, 0
	s_delay_alu instid0(VALU_DEP_1)
	v_lshl_add_u32 v22, v14, 3, v8
	s_branch .LBB268_295
.LBB268_293:                            ;   in Loop: Header=BB268_295 Depth=1
	s_or_b32 exec_lo, exec_lo, s19
.LBB268_294:                            ;   in Loop: Header=BB268_295 Depth=1
	s_delay_alu instid0(VALU_DEP_1) | instskip(SKIP_1) | instid1(VALU_DEP_2)
	v_add_nc_u32_e32 v8, 1, v23
	v_cndmask_b32_e64 v21, v21, v23, s22
	v_cndmask_b32_e64 v17, v8, v17, s22
	s_delay_alu instid0(VALU_DEP_1) | instskip(SKIP_1) | instid1(SALU_CYCLE_1)
	v_cmp_ge_u32_e32 vcc_lo, v17, v21
	s_or_b32 s12, vcc_lo, s12
	s_and_not1_b32 exec_lo, exec_lo, s12
	s_cbranch_execz .LBB268_300
.LBB268_295:                            ; =>This Loop Header: Depth=1
                                        ;     Child Loop BB268_298 Depth 2
	v_add_nc_u32_e32 v8, v21, v17
	s_and_not1_b32 vcc_lo, exec_lo, s7
	s_mov_b32 s22, 0
	s_delay_alu instid0(VALU_DEP_1)
	v_lshrrev_b32_e32 v23, 1, v8
	s_cbranch_vccnz .LBB268_294
; %bb.296:                              ;   in Loop: Header=BB268_295 Depth=1
	s_delay_alu instid0(VALU_DEP_1) | instskip(SKIP_3) | instid1(VALU_DEP_2)
	v_not_b32_e32 v8, v23
	v_lshl_add_u32 v9, v23, 3, v18
	s_mov_b32 s19, 0
	s_mov_b64 s[20:21], s[8:9]
                                        ; implicit-def: $sgpr22
                                        ; implicit-def: $sgpr23
                                        ; implicit-def: $sgpr24
                                        ; implicit-def: $sgpr25
                                        ; implicit-def: $sgpr26
	v_lshl_add_u32 v8, v8, 3, v22
	ds_load_b64 v[10:11], v8
	ds_load_b64 v[24:25], v9
	s_waitcnt lgkmcnt(1)
	v_mul_lo_u32 v40, v10, s9
	v_mul_lo_u32 v41, v11, s8
	v_mad_u64_u32 v[8:9], null, v10, s8, s[10:11]
	s_waitcnt lgkmcnt(0)
	v_mul_lo_u32 v42, v24, s9
	v_mul_lo_u32 v25, v25, s8
	v_mad_u64_u32 v[10:11], null, v24, s8, s[10:11]
	s_delay_alu instid0(VALU_DEP_4) | instskip(NEXT) | instid1(VALU_DEP_2)
	v_add3_u32 v9, v41, v9, v40
	v_add3_u32 v11, v25, v11, v42
	s_branch .LBB268_298
.LBB268_297:                            ;   in Loop: Header=BB268_298 Depth=2
	s_or_b32 exec_lo, exec_lo, s0
	s_delay_alu instid0(SALU_CYCLE_1) | instskip(NEXT) | instid1(SALU_CYCLE_1)
	s_and_b32 s0, exec_lo, s23
	s_or_b32 s19, s0, s19
	s_and_not1_b32 s0, s26, exec_lo
	s_and_b32 s26, s24, exec_lo
	s_and_not1_b32 s22, s22, exec_lo
	s_and_b32 s27, s25, exec_lo
	s_or_b32 s26, s0, s26
	s_or_b32 s22, s22, s27
	s_and_not1_b32 exec_lo, exec_lo, s19
	s_cbranch_execz .LBB268_293
.LBB268_298:                            ;   Parent Loop BB268_295 Depth=1
                                        ; =>  This Inner Loop Header: Depth=2
	global_load_u8 v24, v[8:9], off
	global_load_u8 v25, v[10:11], off
	s_and_not1_b32 s25, s25, exec_lo
	s_and_not1_b32 s24, s24, exec_lo
	s_or_b32 s23, s23, exec_lo
	s_waitcnt vmcnt(1)
	v_bfe_i32 v40, v24, 0, 8
	s_waitcnt vmcnt(0)
	v_bfe_i32 v41, v25, 0, 8
	v_and_b32_e32 v24, 0xff, v24
	v_and_b32_e32 v25, 0xff, v25
	s_delay_alu instid0(VALU_DEP_3)
	v_cmp_le_i16_e32 vcc_lo, v40, v41
	v_cmp_lt_i16_e64 s0, v40, v41
	s_and_b32 s27, vcc_lo, s26
	s_delay_alu instid0(VALU_DEP_1) | instid1(SALU_CYCLE_1)
	s_or_b32 s27, s0, s27
	s_delay_alu instid0(SALU_CYCLE_1) | instskip(NEXT) | instid1(SALU_CYCLE_1)
	s_and_b32 s0, s27, exec_lo
	s_or_b32 s25, s25, s0
	s_mov_b32 s0, exec_lo
	v_cmpx_eq_u16_e64 v24, v25
	s_cbranch_execz .LBB268_297
; %bb.299:                              ;   in Loop: Header=BB268_298 Depth=2
	s_add_u32 s20, s20, -1
	s_addc_u32 s21, s21, -1
	v_add_co_u32 v8, vcc_lo, v8, 1
	v_add_co_ci_u32_e32 v9, vcc_lo, 0, v9, vcc_lo
	s_cmp_eq_u64 s[20:21], 0
	v_add_co_u32 v10, vcc_lo, v10, 1
	s_cselect_b32 s26, -1, 0
	v_add_co_ci_u32_e32 v11, vcc_lo, 0, v11, vcc_lo
	s_and_not1_b32 s24, s24, exec_lo
	s_and_b32 s27, s27, exec_lo
	s_and_not1_b32 s23, s23, exec_lo
	s_and_b32 s26, s26, exec_lo
	s_and_not1_b32 s25, s25, exec_lo
	s_or_b32 s24, s24, s27
	s_or_b32 s23, s23, s26
                                        ; implicit-def: $sgpr26
	s_branch .LBB268_297
.LBB268_300:
	s_or_b32 exec_lo, exec_lo, s12
.LBB268_301:
	s_delay_alu instid0(SALU_CYCLE_1) | instskip(SKIP_2) | instid1(VALU_DEP_2)
	s_or_b32 exec_lo, exec_lo, s1
	v_sub_nc_u32_e32 v9, v20, v17
	v_add_nc_u32_e32 v8, v17, v19
	v_add_nc_u32_e32 v9, v9, v14
	s_delay_alu instid0(VALU_DEP_2) | instskip(NEXT) | instid1(VALU_DEP_2)
	v_cmp_le_u32_e32 vcc_lo, v8, v14
	v_cmp_le_u32_e64 s0, v9, v15
	s_delay_alu instid0(VALU_DEP_1) | instskip(NEXT) | instid1(SALU_CYCLE_1)
	s_or_b32 s0, vcc_lo, s0
	s_and_saveexec_b32 s1, s0
	s_cbranch_execz .LBB268_348
; %bb.302:
	v_cmp_ge_u32_e32 vcc_lo, v8, v14
	s_mov_b32 s12, exec_lo
                                        ; implicit-def: $vgpr0_vgpr1
	v_cmpx_lt_u32_e64 v8, v14
	s_cbranch_execz .LBB268_304
; %bb.303:
	v_lshl_add_u32 v0, v17, 3, v18
	ds_load_b64 v[0:1], v0
.LBB268_304:
	s_or_b32 exec_lo, exec_lo, s12
	v_cmp_ge_u32_e64 s12, v9, v15
	s_mov_b32 s19, exec_lo
                                        ; implicit-def: $vgpr4_vgpr5
	v_cmpx_lt_u32_e64 v9, v15
	s_cbranch_execz .LBB268_306
; %bb.305:
	v_lshlrev_b32_e32 v2, 3, v9
	ds_load_b64 v[4:5], v2
.LBB268_306:
	s_or_b32 exec_lo, exec_lo, s19
	s_or_b32 s0, vcc_lo, s12
	s_mov_b32 s19, -1
	s_xor_b32 s0, s0, -1
	s_delay_alu instid0(SALU_CYCLE_1)
	s_and_saveexec_b32 s22, s0
	s_cbranch_execz .LBB268_315
; %bb.307:
	s_and_not1_b32 vcc_lo, exec_lo, s7
	s_cbranch_vccnz .LBB268_313
; %bb.308:
	s_waitcnt lgkmcnt(0)
	v_mad_u64_u32 v[2:3], null, v4, s8, s[10:11]
	v_mul_lo_u32 v10, v4, s9
	v_mul_lo_u32 v11, v5, s8
	v_mad_u64_u32 v[6:7], null, v0, s8, s[10:11]
	v_mul_lo_u32 v17, v0, s9
	v_mul_lo_u32 v18, v1, s8
	s_mov_b32 s23, 0
	s_mov_b64 s[20:21], s[8:9]
                                        ; implicit-def: $sgpr24
                                        ; implicit-def: $sgpr25
                                        ; implicit-def: $sgpr26
                                        ; implicit-def: $sgpr27
                                        ; implicit-def: $sgpr28
	s_delay_alu instid0(VALU_DEP_4) | instskip(NEXT) | instid1(VALU_DEP_2)
	v_add3_u32 v3, v11, v3, v10
	v_add3_u32 v7, v18, v7, v17
	s_branch .LBB268_310
.LBB268_309:                            ;   in Loop: Header=BB268_310 Depth=1
	s_or_b32 exec_lo, exec_lo, s0
	s_delay_alu instid0(SALU_CYCLE_1) | instskip(NEXT) | instid1(SALU_CYCLE_1)
	s_and_b32 s0, exec_lo, s25
	s_or_b32 s23, s0, s23
	s_and_not1_b32 s0, s28, exec_lo
	s_and_b32 s28, s27, exec_lo
	s_and_not1_b32 s24, s24, exec_lo
	s_and_b32 s29, s26, exec_lo
	s_or_b32 s28, s0, s28
	s_or_b32 s24, s24, s29
	s_and_not1_b32 exec_lo, exec_lo, s23
	s_cbranch_execz .LBB268_312
.LBB268_310:                            ; =>This Inner Loop Header: Depth=1
	global_load_u8 v10, v[2:3], off
	global_load_u8 v11, v[6:7], off
	s_and_not1_b32 s26, s26, exec_lo
	s_and_not1_b32 s27, s27, exec_lo
	s_or_b32 s25, s25, exec_lo
	s_waitcnt vmcnt(1)
	v_bfe_i32 v17, v10, 0, 8
	s_waitcnt vmcnt(0)
	v_bfe_i32 v18, v11, 0, 8
	v_and_b32_e32 v10, 0xff, v10
	v_and_b32_e32 v11, 0xff, v11
	s_delay_alu instid0(VALU_DEP_3)
	v_cmp_le_i16_e32 vcc_lo, v17, v18
	v_cmp_lt_i16_e64 s0, v17, v18
	s_and_b32 s29, vcc_lo, s28
	s_delay_alu instid0(VALU_DEP_1) | instid1(SALU_CYCLE_1)
	s_or_b32 s29, s0, s29
	s_delay_alu instid0(SALU_CYCLE_1) | instskip(NEXT) | instid1(SALU_CYCLE_1)
	s_and_b32 s0, s29, exec_lo
	s_or_b32 s26, s26, s0
	s_mov_b32 s0, exec_lo
	v_cmpx_eq_u16_e64 v10, v11
	s_cbranch_execz .LBB268_309
; %bb.311:                              ;   in Loop: Header=BB268_310 Depth=1
	s_add_u32 s20, s20, -1
	s_addc_u32 s21, s21, -1
	v_add_co_u32 v2, vcc_lo, v2, 1
	s_cmp_eq_u64 s[20:21], 0
	v_add_co_ci_u32_e32 v3, vcc_lo, 0, v3, vcc_lo
	s_cselect_b32 s28, -1, 0
	s_and_not1_b32 s27, s27, exec_lo
	s_and_b32 s29, s29, exec_lo
	v_add_co_u32 v6, vcc_lo, v6, 1
	s_and_not1_b32 s25, s25, exec_lo
	s_and_b32 s28, s28, exec_lo
	v_add_co_ci_u32_e32 v7, vcc_lo, 0, v7, vcc_lo
	s_or_b32 s27, s27, s29
	s_and_not1_b32 s26, s26, exec_lo
	s_or_b32 s25, s25, s28
                                        ; implicit-def: $sgpr28
	s_branch .LBB268_309
.LBB268_312:
	s_or_b32 exec_lo, exec_lo, s23
	s_xor_b32 s0, s24, -1
	s_branch .LBB268_314
.LBB268_313:
	s_mov_b32 s0, -1
.LBB268_314:
	s_and_not1_b32 s12, s12, exec_lo
	s_and_b32 s0, s0, exec_lo
	s_delay_alu instid0(SALU_CYCLE_1)
	s_or_b32 s12, s12, s0
.LBB268_315:
	s_or_b32 exec_lo, exec_lo, s22
	v_cndmask_b32_e64 v2, v9, v8, s12
	v_cndmask_b32_e64 v3, v15, v14, s12
	s_mov_b32 s22, exec_lo
	s_delay_alu instid0(VALU_DEP_2) | instskip(NEXT) | instid1(VALU_DEP_2)
	v_add_nc_u32_e32 v6, 1, v2
	v_add_nc_u32_e32 v2, -1, v3
	s_delay_alu instid0(VALU_DEP_2) | instskip(NEXT) | instid1(VALU_DEP_2)
	v_cndmask_b32_e64 v9, v6, v9, s12
	v_min_u32_e32 v2, v6, v2
	v_cndmask_b32_e64 v8, v8, v6, s12
	s_delay_alu instid0(VALU_DEP_2)
	v_lshlrev_b32_e32 v2, 3, v2
	ds_load_b64 v[2:3], v2
	s_waitcnt lgkmcnt(0)
	v_cndmask_b32_e64 v10, v3, v5, s12
	v_cndmask_b32_e64 v11, v2, v4, s12
	;; [unrolled: 1-line block ×4, first 2 shown]
	v_cmpx_lt_u32_e64 v9, v15
	s_cbranch_execz .LBB268_326
; %bb.316:
	s_mov_b32 s0, 0
	s_mov_b32 s19, exec_lo
	v_cmpx_lt_u32_e64 v8, v14
	s_cbranch_execz .LBB268_325
; %bb.317:
	s_and_not1_b32 vcc_lo, exec_lo, s7
	s_cbranch_vccnz .LBB268_323
; %bb.318:
	v_mad_u64_u32 v[2:3], null, v11, s8, s[10:11]
	v_mul_lo_u32 v19, v11, s9
	v_mul_lo_u32 v20, v10, s8
	v_mad_u64_u32 v[6:7], null, v18, s8, s[10:11]
	v_mul_lo_u32 v21, v18, s9
	v_mul_lo_u32 v22, v17, s8
	s_mov_b32 s23, 0
	s_mov_b64 s[20:21], s[8:9]
                                        ; implicit-def: $sgpr24
                                        ; implicit-def: $sgpr25
                                        ; implicit-def: $sgpr26
                                        ; implicit-def: $sgpr27
                                        ; implicit-def: $sgpr28
	s_delay_alu instid0(VALU_DEP_4) | instskip(NEXT) | instid1(VALU_DEP_2)
	v_add3_u32 v3, v20, v3, v19
	v_add3_u32 v7, v22, v7, v21
	s_branch .LBB268_320
.LBB268_319:                            ;   in Loop: Header=BB268_320 Depth=1
	s_or_b32 exec_lo, exec_lo, s0
	s_delay_alu instid0(SALU_CYCLE_1) | instskip(NEXT) | instid1(SALU_CYCLE_1)
	s_and_b32 s0, exec_lo, s25
	s_or_b32 s23, s0, s23
	s_and_not1_b32 s0, s28, exec_lo
	s_and_b32 s28, s27, exec_lo
	s_and_not1_b32 s24, s24, exec_lo
	s_and_b32 s29, s26, exec_lo
	s_or_b32 s28, s0, s28
	s_or_b32 s24, s24, s29
	s_and_not1_b32 exec_lo, exec_lo, s23
	s_cbranch_execz .LBB268_322
.LBB268_320:                            ; =>This Inner Loop Header: Depth=1
	global_load_u8 v19, v[2:3], off
	global_load_u8 v20, v[6:7], off
	s_and_not1_b32 s26, s26, exec_lo
	s_and_not1_b32 s27, s27, exec_lo
	s_or_b32 s25, s25, exec_lo
	s_waitcnt vmcnt(1)
	v_bfe_i32 v21, v19, 0, 8
	s_waitcnt vmcnt(0)
	v_bfe_i32 v22, v20, 0, 8
	v_and_b32_e32 v19, 0xff, v19
	v_and_b32_e32 v20, 0xff, v20
	s_delay_alu instid0(VALU_DEP_3)
	v_cmp_le_i16_e32 vcc_lo, v21, v22
	v_cmp_lt_i16_e64 s0, v21, v22
	s_and_b32 s29, vcc_lo, s28
	s_delay_alu instid0(VALU_DEP_1) | instid1(SALU_CYCLE_1)
	s_or_b32 s29, s0, s29
	s_delay_alu instid0(SALU_CYCLE_1) | instskip(NEXT) | instid1(SALU_CYCLE_1)
	s_and_b32 s0, s29, exec_lo
	s_or_b32 s26, s26, s0
	s_mov_b32 s0, exec_lo
	v_cmpx_eq_u16_e64 v19, v20
	s_cbranch_execz .LBB268_319
; %bb.321:                              ;   in Loop: Header=BB268_320 Depth=1
	s_add_u32 s20, s20, -1
	s_addc_u32 s21, s21, -1
	v_add_co_u32 v2, vcc_lo, v2, 1
	s_cmp_eq_u64 s[20:21], 0
	v_add_co_ci_u32_e32 v3, vcc_lo, 0, v3, vcc_lo
	v_add_co_u32 v6, vcc_lo, v6, 1
	s_cselect_b32 s28, -1, 0
	v_add_co_ci_u32_e32 v7, vcc_lo, 0, v7, vcc_lo
	s_and_not1_b32 s27, s27, exec_lo
	s_and_b32 s29, s29, exec_lo
	s_and_not1_b32 s25, s25, exec_lo
	s_and_b32 s28, s28, exec_lo
	s_or_b32 s27, s27, s29
	s_and_not1_b32 s26, s26, exec_lo
	s_or_b32 s25, s25, s28
                                        ; implicit-def: $sgpr28
	s_branch .LBB268_319
.LBB268_322:
	s_or_b32 exec_lo, exec_lo, s23
	s_xor_b32 s0, s24, -1
	s_branch .LBB268_324
.LBB268_323:
	s_mov_b32 s0, -1
.LBB268_324:
	s_delay_alu instid0(SALU_CYCLE_1)
	s_and_b32 s0, s0, exec_lo
.LBB268_325:
	s_or_b32 exec_lo, exec_lo, s19
	s_delay_alu instid0(SALU_CYCLE_1)
	s_or_not1_b32 s19, s0, exec_lo
.LBB268_326:
	s_or_b32 exec_lo, exec_lo, s22
	v_cndmask_b32_e64 v2, v9, v8, s19
	v_cndmask_b32_e64 v3, v15, v14, s19
	s_mov_b32 s0, -1
	s_mov_b32 s22, exec_lo
	s_delay_alu instid0(VALU_DEP_2) | instskip(NEXT) | instid1(VALU_DEP_2)
	v_add_nc_u32_e32 v6, 1, v2
	v_add_nc_u32_e32 v2, -1, v3
	s_delay_alu instid0(VALU_DEP_2) | instskip(NEXT) | instid1(VALU_DEP_2)
	v_cndmask_b32_e64 v22, v6, v9, s19
	v_min_u32_e32 v2, v6, v2
	v_cndmask_b32_e64 v19, v8, v6, s19
	s_delay_alu instid0(VALU_DEP_2)
	v_lshlrev_b32_e32 v2, 3, v2
	ds_load_b64 v[2:3], v2
	s_waitcnt lgkmcnt(0)
	v_cndmask_b32_e64 v20, v3, v10, s19
	v_cndmask_b32_e64 v21, v2, v11, s19
	;; [unrolled: 1-line block ×4, first 2 shown]
	v_cmpx_lt_u32_e64 v22, v15
	s_cbranch_execz .LBB268_337
; %bb.327:
	s_mov_b32 s0, 0
	s_mov_b32 s23, exec_lo
	v_cmpx_lt_u32_e64 v19, v14
	s_cbranch_execz .LBB268_336
; %bb.328:
	s_and_not1_b32 vcc_lo, exec_lo, s7
	s_cbranch_vccnz .LBB268_334
; %bb.329:
	v_mad_u64_u32 v[2:3], null, v21, s8, s[10:11]
	v_mul_lo_u32 v8, v21, s9
	v_mul_lo_u32 v9, v20, s8
	v_mad_u64_u32 v[6:7], null, v24, s8, s[10:11]
	v_mul_lo_u32 v25, v24, s9
	v_mul_lo_u32 v40, v23, s8
	s_mov_b32 s24, 0
	s_mov_b64 s[20:21], s[8:9]
                                        ; implicit-def: $sgpr25
                                        ; implicit-def: $sgpr26
                                        ; implicit-def: $sgpr27
                                        ; implicit-def: $sgpr28
                                        ; implicit-def: $sgpr29
	s_delay_alu instid0(VALU_DEP_4) | instskip(NEXT) | instid1(VALU_DEP_2)
	v_add3_u32 v3, v9, v3, v8
	v_add3_u32 v7, v40, v7, v25
	s_branch .LBB268_331
.LBB268_330:                            ;   in Loop: Header=BB268_331 Depth=1
	s_or_b32 exec_lo, exec_lo, s0
	s_delay_alu instid0(SALU_CYCLE_1) | instskip(NEXT) | instid1(SALU_CYCLE_1)
	s_and_b32 s0, exec_lo, s26
	s_or_b32 s24, s0, s24
	s_and_not1_b32 s0, s29, exec_lo
	s_and_b32 s29, s28, exec_lo
	s_and_not1_b32 s25, s25, exec_lo
	s_and_b32 s30, s27, exec_lo
	s_or_b32 s29, s0, s29
	s_or_b32 s25, s25, s30
	s_and_not1_b32 exec_lo, exec_lo, s24
	s_cbranch_execz .LBB268_333
.LBB268_331:                            ; =>This Inner Loop Header: Depth=1
	global_load_u8 v8, v[2:3], off
	global_load_u8 v9, v[6:7], off
	s_and_not1_b32 s27, s27, exec_lo
	s_and_not1_b32 s28, s28, exec_lo
	s_or_b32 s26, s26, exec_lo
	s_waitcnt vmcnt(1)
	v_bfe_i32 v25, v8, 0, 8
	s_waitcnt vmcnt(0)
	v_bfe_i32 v40, v9, 0, 8
	v_and_b32_e32 v8, 0xff, v8
	v_and_b32_e32 v9, 0xff, v9
	s_delay_alu instid0(VALU_DEP_3)
	v_cmp_le_i16_e32 vcc_lo, v25, v40
	v_cmp_lt_i16_e64 s0, v25, v40
	s_and_b32 s30, vcc_lo, s29
	s_delay_alu instid0(VALU_DEP_1) | instid1(SALU_CYCLE_1)
	s_or_b32 s30, s0, s30
	s_delay_alu instid0(SALU_CYCLE_1) | instskip(NEXT) | instid1(SALU_CYCLE_1)
	s_and_b32 s0, s30, exec_lo
	s_or_b32 s27, s27, s0
	s_mov_b32 s0, exec_lo
	v_cmpx_eq_u16_e64 v8, v9
	s_cbranch_execz .LBB268_330
; %bb.332:                              ;   in Loop: Header=BB268_331 Depth=1
	s_add_u32 s20, s20, -1
	s_addc_u32 s21, s21, -1
	v_add_co_u32 v2, vcc_lo, v2, 1
	s_cmp_eq_u64 s[20:21], 0
	v_add_co_ci_u32_e32 v3, vcc_lo, 0, v3, vcc_lo
	v_add_co_u32 v6, vcc_lo, v6, 1
	s_cselect_b32 s29, -1, 0
	v_add_co_ci_u32_e32 v7, vcc_lo, 0, v7, vcc_lo
	s_and_not1_b32 s28, s28, exec_lo
	s_and_b32 s30, s30, exec_lo
	s_and_not1_b32 s26, s26, exec_lo
	s_and_b32 s29, s29, exec_lo
	s_or_b32 s28, s28, s30
	s_and_not1_b32 s27, s27, exec_lo
	s_or_b32 s26, s26, s29
                                        ; implicit-def: $sgpr29
	s_branch .LBB268_330
.LBB268_333:
	s_or_b32 exec_lo, exec_lo, s24
	s_xor_b32 s0, s25, -1
	s_branch .LBB268_335
.LBB268_334:
	s_mov_b32 s0, -1
.LBB268_335:
	s_delay_alu instid0(SALU_CYCLE_1)
	s_and_b32 s0, s0, exec_lo
.LBB268_336:
	s_or_b32 exec_lo, exec_lo, s23
	s_delay_alu instid0(SALU_CYCLE_1)
	s_or_not1_b32 s0, s0, exec_lo
.LBB268_337:
	s_or_b32 exec_lo, exec_lo, s22
	v_cndmask_b32_e64 v2, v22, v19, s0
	v_cndmask_b32_e64 v3, v15, v14, s0
	;; [unrolled: 1-line block ×5, first 2 shown]
	v_add_nc_u32_e32 v25, 1, v2
	v_add_nc_u32_e32 v2, -1, v3
	v_cndmask_b32_e64 v3, v10, v17, s19
	v_cndmask_b32_e64 v4, v21, v24, s0
	s_mov_b32 s12, exec_lo
	v_cndmask_b32_e64 v10, v25, v22, s0
	v_min_u32_e32 v2, v25, v2
	s_delay_alu instid0(VALU_DEP_1)
	v_lshlrev_b32_e32 v2, 3, v2
	ds_load_b64 v[8:9], v2
	v_cndmask_b32_e64 v2, v11, v18, s19
	s_waitcnt lgkmcnt(0)
	v_cndmask_b32_e64 v7, v23, v9, s0
	v_cndmask_b32_e64 v6, v24, v8, s0
	v_cmpx_lt_u32_e64 v10, v15
	s_cbranch_execz .LBB268_347
; %bb.338:
	v_cndmask_b32_e64 v10, v19, v25, s0
	v_cndmask_b32_e64 v9, v9, v20, s0
	;; [unrolled: 1-line block ×3, first 2 shown]
	s_mov_b32 s19, exec_lo
	s_delay_alu instid0(VALU_DEP_3)
	v_cmpx_lt_u32_e64 v10, v14
	s_cbranch_execz .LBB268_346
; %bb.339:
	s_and_not1_b32 vcc_lo, exec_lo, s7
	s_cbranch_vccnz .LBB268_345
; %bb.340:
	v_mad_u64_u32 v[10:11], null, v8, s8, s[10:11]
	v_mul_lo_u32 v17, v8, s9
	v_mul_lo_u32 v18, v9, s8
	v_mad_u64_u32 v[14:15], null, v6, s8, s[10:11]
	v_mul_lo_u32 v19, v6, s9
	v_mul_lo_u32 v20, v7, s8
	s_mov_b32 s22, 0
	s_mov_b64 s[20:21], s[8:9]
                                        ; implicit-def: $sgpr23
                                        ; implicit-def: $sgpr24
                                        ; implicit-def: $sgpr25
                                        ; implicit-def: $sgpr26
                                        ; implicit-def: $sgpr27
	s_delay_alu instid0(VALU_DEP_4) | instskip(NEXT) | instid1(VALU_DEP_2)
	v_add3_u32 v11, v18, v11, v17
	v_add3_u32 v15, v20, v15, v19
	s_branch .LBB268_342
.LBB268_341:                            ;   in Loop: Header=BB268_342 Depth=1
	s_or_b32 exec_lo, exec_lo, s0
	s_delay_alu instid0(SALU_CYCLE_1) | instskip(NEXT) | instid1(SALU_CYCLE_1)
	s_and_b32 s0, exec_lo, s24
	s_or_b32 s22, s0, s22
	s_and_not1_b32 s0, s27, exec_lo
	s_and_b32 s27, s26, exec_lo
	s_and_not1_b32 s23, s23, exec_lo
	s_and_b32 s28, s25, exec_lo
	s_or_b32 s27, s0, s27
	s_or_b32 s23, s23, s28
	s_and_not1_b32 exec_lo, exec_lo, s22
	s_cbranch_execz .LBB268_344
.LBB268_342:                            ; =>This Inner Loop Header: Depth=1
	global_load_u8 v17, v[10:11], off
	global_load_u8 v18, v[14:15], off
	s_and_not1_b32 s25, s25, exec_lo
	s_and_not1_b32 s26, s26, exec_lo
	s_or_b32 s24, s24, exec_lo
	s_waitcnt vmcnt(1)
	v_bfe_i32 v19, v17, 0, 8
	s_waitcnt vmcnt(0)
	v_bfe_i32 v20, v18, 0, 8
	v_and_b32_e32 v17, 0xff, v17
	v_and_b32_e32 v18, 0xff, v18
	s_delay_alu instid0(VALU_DEP_3)
	v_cmp_le_i16_e32 vcc_lo, v19, v20
	v_cmp_lt_i16_e64 s0, v19, v20
	s_and_b32 s28, vcc_lo, s27
	s_delay_alu instid0(VALU_DEP_1) | instid1(SALU_CYCLE_1)
	s_or_b32 s28, s0, s28
	s_delay_alu instid0(SALU_CYCLE_1) | instskip(NEXT) | instid1(SALU_CYCLE_1)
	s_and_b32 s0, s28, exec_lo
	s_or_b32 s25, s25, s0
	s_mov_b32 s0, exec_lo
	v_cmpx_eq_u16_e64 v17, v18
	s_cbranch_execz .LBB268_341
; %bb.343:                              ;   in Loop: Header=BB268_342 Depth=1
	s_add_u32 s20, s20, -1
	s_addc_u32 s21, s21, -1
	v_add_co_u32 v10, vcc_lo, v10, 1
	s_cmp_eq_u64 s[20:21], 0
	v_add_co_ci_u32_e32 v11, vcc_lo, 0, v11, vcc_lo
	v_add_co_u32 v14, vcc_lo, v14, 1
	s_cselect_b32 s27, -1, 0
	v_add_co_ci_u32_e32 v15, vcc_lo, 0, v15, vcc_lo
	s_and_not1_b32 s26, s26, exec_lo
	s_and_b32 s28, s28, exec_lo
	s_and_not1_b32 s24, s24, exec_lo
	s_and_b32 s27, s27, exec_lo
	s_or_b32 s26, s26, s28
	s_and_not1_b32 s25, s25, exec_lo
	s_or_b32 s24, s24, s27
                                        ; implicit-def: $sgpr27
	s_branch .LBB268_341
.LBB268_344:
	s_or_b32 exec_lo, exec_lo, s22
	v_cndmask_b32_e64 v7, v7, v9, s23
	v_cndmask_b32_e64 v6, v6, v8, s23
.LBB268_345:
	s_delay_alu instid0(VALU_DEP_1)
	v_dual_mov_b32 v9, v7 :: v_dual_mov_b32 v8, v6
.LBB268_346:
	s_or_b32 exec_lo, exec_lo, s19
	s_delay_alu instid0(VALU_DEP_1)
	v_dual_mov_b32 v6, v8 :: v_dual_mov_b32 v7, v9
.LBB268_347:
	s_or_b32 exec_lo, exec_lo, s12
.LBB268_348:
	s_delay_alu instid0(SALU_CYCLE_1) | instskip(SKIP_4) | instid1(VALU_DEP_2)
	s_or_b32 exec_lo, exec_lo, s1
	v_and_b32_e32 v19, 0xf00, v27
	v_and_b32_e32 v20, 0xfc, v27
	s_mov_b32 s1, exec_lo
	s_barrier
	v_or_b32_e32 v8, 0x80, v19
	v_lshlrev_b32_e32 v18, 3, v19
	buffer_gl0_inv
	ds_store_b128 v16, v[0:3]
	ds_store_b128 v16, v[4:7] offset:16
	s_waitcnt lgkmcnt(0)
	v_min_u32_e32 v9, 0x380, v8
	v_min_u32_e32 v14, 0x400, v8
	s_barrier
	buffer_gl0_inv
	v_add_nc_u32_e32 v15, 0x80, v9
	v_sub_nc_u32_e32 v8, v14, v19
	s_delay_alu instid0(VALU_DEP_2) | instskip(NEXT) | instid1(VALU_DEP_2)
	v_sub_nc_u32_e32 v9, v15, v14
	v_min_u32_e32 v21, v20, v8
	s_delay_alu instid0(VALU_DEP_2) | instskip(NEXT) | instid1(VALU_DEP_1)
	v_sub_nc_u32_e64 v17, v20, v9 clamp
	v_cmpx_lt_u32_e64 v17, v21
	s_cbranch_execz .LBB268_358
; %bb.349:
	v_lshlrev_b32_e32 v8, 3, v20
	s_mov_b32 s12, 0
	s_delay_alu instid0(VALU_DEP_1)
	v_lshl_add_u32 v22, v14, 3, v8
	s_branch .LBB268_352
.LBB268_350:                            ;   in Loop: Header=BB268_352 Depth=1
	s_or_b32 exec_lo, exec_lo, s19
.LBB268_351:                            ;   in Loop: Header=BB268_352 Depth=1
	s_delay_alu instid0(VALU_DEP_1) | instskip(SKIP_1) | instid1(VALU_DEP_2)
	v_add_nc_u32_e32 v8, 1, v23
	v_cndmask_b32_e64 v21, v21, v23, s22
	v_cndmask_b32_e64 v17, v8, v17, s22
	s_delay_alu instid0(VALU_DEP_1) | instskip(SKIP_1) | instid1(SALU_CYCLE_1)
	v_cmp_ge_u32_e32 vcc_lo, v17, v21
	s_or_b32 s12, vcc_lo, s12
	s_and_not1_b32 exec_lo, exec_lo, s12
	s_cbranch_execz .LBB268_357
.LBB268_352:                            ; =>This Loop Header: Depth=1
                                        ;     Child Loop BB268_355 Depth 2
	v_add_nc_u32_e32 v8, v21, v17
	s_and_not1_b32 vcc_lo, exec_lo, s7
	s_mov_b32 s22, 0
	s_delay_alu instid0(VALU_DEP_1)
	v_lshrrev_b32_e32 v23, 1, v8
	s_cbranch_vccnz .LBB268_351
; %bb.353:                              ;   in Loop: Header=BB268_352 Depth=1
	s_delay_alu instid0(VALU_DEP_1) | instskip(SKIP_3) | instid1(VALU_DEP_2)
	v_not_b32_e32 v8, v23
	v_lshl_add_u32 v9, v23, 3, v18
	s_mov_b32 s19, 0
	s_mov_b64 s[20:21], s[8:9]
                                        ; implicit-def: $sgpr22
                                        ; implicit-def: $sgpr23
                                        ; implicit-def: $sgpr24
                                        ; implicit-def: $sgpr25
                                        ; implicit-def: $sgpr26
	v_lshl_add_u32 v8, v8, 3, v22
	ds_load_b64 v[10:11], v8
	ds_load_b64 v[24:25], v9
	s_waitcnt lgkmcnt(1)
	v_mul_lo_u32 v40, v10, s9
	v_mul_lo_u32 v41, v11, s8
	v_mad_u64_u32 v[8:9], null, v10, s8, s[10:11]
	s_waitcnt lgkmcnt(0)
	v_mul_lo_u32 v42, v24, s9
	v_mul_lo_u32 v25, v25, s8
	v_mad_u64_u32 v[10:11], null, v24, s8, s[10:11]
	s_delay_alu instid0(VALU_DEP_4) | instskip(NEXT) | instid1(VALU_DEP_2)
	v_add3_u32 v9, v41, v9, v40
	v_add3_u32 v11, v25, v11, v42
	s_branch .LBB268_355
.LBB268_354:                            ;   in Loop: Header=BB268_355 Depth=2
	s_or_b32 exec_lo, exec_lo, s27
	s_delay_alu instid0(SALU_CYCLE_1) | instskip(NEXT) | instid1(SALU_CYCLE_1)
	s_and_b32 s0, exec_lo, s23
	s_or_b32 s19, s0, s19
	s_and_not1_b32 s0, s26, exec_lo
	s_and_b32 s26, s24, exec_lo
	s_and_not1_b32 s22, s22, exec_lo
	s_and_b32 s27, s25, exec_lo
	s_or_b32 s26, s0, s26
	s_or_b32 s22, s22, s27
	s_and_not1_b32 exec_lo, exec_lo, s19
	s_cbranch_execz .LBB268_350
.LBB268_355:                            ;   Parent Loop BB268_352 Depth=1
                                        ; =>  This Inner Loop Header: Depth=2
	global_load_u8 v24, v[8:9], off
	global_load_u8 v25, v[10:11], off
	s_and_not1_b32 s25, s25, exec_lo
	s_and_not1_b32 s24, s24, exec_lo
	s_or_b32 s23, s23, exec_lo
	s_waitcnt vmcnt(1)
	v_bfe_i32 v40, v24, 0, 8
	s_waitcnt vmcnt(0)
	v_bfe_i32 v41, v25, 0, 8
	v_and_b32_e32 v24, 0xff, v24
	v_and_b32_e32 v25, 0xff, v25
	s_delay_alu instid0(VALU_DEP_3)
	v_cmp_le_i16_e32 vcc_lo, v40, v41
	v_cmp_lt_i16_e64 s0, v40, v41
	s_and_b32 s27, vcc_lo, s26
	s_delay_alu instid0(VALU_DEP_1) | instid1(SALU_CYCLE_1)
	s_or_b32 s0, s0, s27
	s_delay_alu instid0(SALU_CYCLE_1) | instskip(NEXT) | instid1(SALU_CYCLE_1)
	s_and_b32 s27, s0, exec_lo
	s_or_b32 s25, s25, s27
	s_mov_b32 s27, exec_lo
	v_cmpx_eq_u16_e64 v24, v25
	s_cbranch_execz .LBB268_354
; %bb.356:                              ;   in Loop: Header=BB268_355 Depth=2
	s_add_u32 s20, s20, -1
	s_addc_u32 s21, s21, -1
	v_add_co_u32 v8, vcc_lo, v8, 1
	v_add_co_ci_u32_e32 v9, vcc_lo, 0, v9, vcc_lo
	s_cmp_eq_u64 s[20:21], 0
	v_add_co_u32 v10, vcc_lo, v10, 1
	s_cselect_b32 s26, -1, 0
	v_add_co_ci_u32_e32 v11, vcc_lo, 0, v11, vcc_lo
	s_and_not1_b32 s24, s24, exec_lo
	s_and_b32 s0, s0, exec_lo
	s_and_not1_b32 s23, s23, exec_lo
	s_and_b32 s26, s26, exec_lo
	s_and_not1_b32 s25, s25, exec_lo
	s_or_b32 s24, s24, s0
	s_or_b32 s23, s23, s26
                                        ; implicit-def: $sgpr26
	s_branch .LBB268_354
.LBB268_357:
	s_or_b32 exec_lo, exec_lo, s12
.LBB268_358:
	s_delay_alu instid0(SALU_CYCLE_1) | instskip(SKIP_2) | instid1(VALU_DEP_2)
	s_or_b32 exec_lo, exec_lo, s1
	v_sub_nc_u32_e32 v9, v20, v17
	v_add_nc_u32_e32 v8, v17, v19
	v_add_nc_u32_e32 v9, v9, v14
	s_delay_alu instid0(VALU_DEP_2) | instskip(NEXT) | instid1(VALU_DEP_2)
	v_cmp_le_u32_e32 vcc_lo, v8, v14
	v_cmp_le_u32_e64 s0, v9, v15
	s_delay_alu instid0(VALU_DEP_1) | instskip(NEXT) | instid1(SALU_CYCLE_1)
	s_or_b32 s0, vcc_lo, s0
	s_and_saveexec_b32 s1, s0
	s_cbranch_execz .LBB268_405
; %bb.359:
	v_cmp_ge_u32_e32 vcc_lo, v8, v14
	s_mov_b32 s12, exec_lo
                                        ; implicit-def: $vgpr0_vgpr1
	v_cmpx_lt_u32_e64 v8, v14
	s_cbranch_execz .LBB268_361
; %bb.360:
	v_lshl_add_u32 v0, v17, 3, v18
	ds_load_b64 v[0:1], v0
.LBB268_361:
	s_or_b32 exec_lo, exec_lo, s12
	v_cmp_ge_u32_e64 s12, v9, v15
	s_mov_b32 s19, exec_lo
                                        ; implicit-def: $vgpr4_vgpr5
	v_cmpx_lt_u32_e64 v9, v15
	s_cbranch_execz .LBB268_363
; %bb.362:
	v_lshlrev_b32_e32 v2, 3, v9
	ds_load_b64 v[4:5], v2
.LBB268_363:
	s_or_b32 exec_lo, exec_lo, s19
	s_or_b32 s0, vcc_lo, s12
	s_mov_b32 s19, -1
	s_xor_b32 s0, s0, -1
	s_delay_alu instid0(SALU_CYCLE_1)
	s_and_saveexec_b32 s22, s0
	s_cbranch_execz .LBB268_372
; %bb.364:
	s_and_not1_b32 vcc_lo, exec_lo, s7
	s_cbranch_vccnz .LBB268_370
; %bb.365:
	s_waitcnt lgkmcnt(0)
	v_mad_u64_u32 v[2:3], null, v4, s8, s[10:11]
	v_mul_lo_u32 v10, v4, s9
	v_mul_lo_u32 v11, v5, s8
	v_mad_u64_u32 v[6:7], null, v0, s8, s[10:11]
	v_mul_lo_u32 v17, v0, s9
	v_mul_lo_u32 v18, v1, s8
	s_mov_b32 s23, 0
	s_mov_b64 s[20:21], s[8:9]
                                        ; implicit-def: $sgpr24
                                        ; implicit-def: $sgpr25
                                        ; implicit-def: $sgpr26
                                        ; implicit-def: $sgpr27
                                        ; implicit-def: $sgpr28
	s_delay_alu instid0(VALU_DEP_4) | instskip(NEXT) | instid1(VALU_DEP_2)
	v_add3_u32 v3, v11, v3, v10
	v_add3_u32 v7, v18, v7, v17
	s_branch .LBB268_367
.LBB268_366:                            ;   in Loop: Header=BB268_367 Depth=1
	s_or_b32 exec_lo, exec_lo, s0
	s_delay_alu instid0(SALU_CYCLE_1) | instskip(NEXT) | instid1(SALU_CYCLE_1)
	s_and_b32 s0, exec_lo, s25
	s_or_b32 s23, s0, s23
	s_and_not1_b32 s0, s28, exec_lo
	s_and_b32 s28, s27, exec_lo
	s_and_not1_b32 s24, s24, exec_lo
	s_and_b32 s29, s26, exec_lo
	s_or_b32 s28, s0, s28
	s_or_b32 s24, s24, s29
	s_and_not1_b32 exec_lo, exec_lo, s23
	s_cbranch_execz .LBB268_369
.LBB268_367:                            ; =>This Inner Loop Header: Depth=1
	global_load_u8 v10, v[2:3], off
	global_load_u8 v11, v[6:7], off
	s_and_not1_b32 s26, s26, exec_lo
	s_and_not1_b32 s27, s27, exec_lo
	s_or_b32 s25, s25, exec_lo
	s_waitcnt vmcnt(1)
	v_bfe_i32 v17, v10, 0, 8
	s_waitcnt vmcnt(0)
	v_bfe_i32 v18, v11, 0, 8
	v_and_b32_e32 v10, 0xff, v10
	v_and_b32_e32 v11, 0xff, v11
	s_delay_alu instid0(VALU_DEP_3)
	v_cmp_le_i16_e32 vcc_lo, v17, v18
	v_cmp_lt_i16_e64 s0, v17, v18
	s_and_b32 s29, vcc_lo, s28
	s_delay_alu instid0(VALU_DEP_1) | instid1(SALU_CYCLE_1)
	s_or_b32 s29, s0, s29
	s_delay_alu instid0(SALU_CYCLE_1) | instskip(NEXT) | instid1(SALU_CYCLE_1)
	s_and_b32 s0, s29, exec_lo
	s_or_b32 s26, s26, s0
	s_mov_b32 s0, exec_lo
	v_cmpx_eq_u16_e64 v10, v11
	s_cbranch_execz .LBB268_366
; %bb.368:                              ;   in Loop: Header=BB268_367 Depth=1
	s_add_u32 s20, s20, -1
	s_addc_u32 s21, s21, -1
	v_add_co_u32 v2, vcc_lo, v2, 1
	s_cmp_eq_u64 s[20:21], 0
	v_add_co_ci_u32_e32 v3, vcc_lo, 0, v3, vcc_lo
	v_add_co_u32 v6, vcc_lo, v6, 1
	s_cselect_b32 s28, -1, 0
	v_add_co_ci_u32_e32 v7, vcc_lo, 0, v7, vcc_lo
	s_and_not1_b32 s27, s27, exec_lo
	s_and_b32 s29, s29, exec_lo
	s_and_not1_b32 s25, s25, exec_lo
	s_and_b32 s28, s28, exec_lo
	s_or_b32 s27, s27, s29
	s_and_not1_b32 s26, s26, exec_lo
	s_or_b32 s25, s25, s28
                                        ; implicit-def: $sgpr28
	s_branch .LBB268_366
.LBB268_369:
	s_or_b32 exec_lo, exec_lo, s23
	s_xor_b32 s0, s24, -1
	s_branch .LBB268_371
.LBB268_370:
	s_mov_b32 s0, -1
.LBB268_371:
	s_and_not1_b32 s12, s12, exec_lo
	s_and_b32 s0, s0, exec_lo
	s_delay_alu instid0(SALU_CYCLE_1)
	s_or_b32 s12, s12, s0
.LBB268_372:
	s_or_b32 exec_lo, exec_lo, s22
	v_cndmask_b32_e64 v2, v9, v8, s12
	v_cndmask_b32_e64 v3, v15, v14, s12
	s_mov_b32 s22, exec_lo
	s_delay_alu instid0(VALU_DEP_2) | instskip(NEXT) | instid1(VALU_DEP_2)
	v_add_nc_u32_e32 v6, 1, v2
	v_add_nc_u32_e32 v2, -1, v3
	s_delay_alu instid0(VALU_DEP_2) | instskip(NEXT) | instid1(VALU_DEP_2)
	v_cndmask_b32_e64 v9, v6, v9, s12
	v_min_u32_e32 v2, v6, v2
	v_cndmask_b32_e64 v8, v8, v6, s12
	s_delay_alu instid0(VALU_DEP_2)
	v_lshlrev_b32_e32 v2, 3, v2
	ds_load_b64 v[2:3], v2
	s_waitcnt lgkmcnt(0)
	v_cndmask_b32_e64 v10, v3, v5, s12
	v_cndmask_b32_e64 v11, v2, v4, s12
	v_cndmask_b32_e64 v17, v1, v3, s12
	v_cndmask_b32_e64 v18, v0, v2, s12
	v_cmpx_lt_u32_e64 v9, v15
	s_cbranch_execz .LBB268_383
; %bb.373:
	s_mov_b32 s0, 0
	s_mov_b32 s19, exec_lo
	v_cmpx_lt_u32_e64 v8, v14
	s_cbranch_execz .LBB268_382
; %bb.374:
	s_and_not1_b32 vcc_lo, exec_lo, s7
	s_cbranch_vccnz .LBB268_380
; %bb.375:
	v_mad_u64_u32 v[2:3], null, v11, s8, s[10:11]
	v_mul_lo_u32 v19, v11, s9
	v_mul_lo_u32 v20, v10, s8
	v_mad_u64_u32 v[6:7], null, v18, s8, s[10:11]
	v_mul_lo_u32 v21, v18, s9
	v_mul_lo_u32 v22, v17, s8
	s_mov_b32 s23, 0
	s_mov_b64 s[20:21], s[8:9]
                                        ; implicit-def: $sgpr24
                                        ; implicit-def: $sgpr25
                                        ; implicit-def: $sgpr26
                                        ; implicit-def: $sgpr27
                                        ; implicit-def: $sgpr28
	s_delay_alu instid0(VALU_DEP_4) | instskip(NEXT) | instid1(VALU_DEP_2)
	v_add3_u32 v3, v20, v3, v19
	v_add3_u32 v7, v22, v7, v21
	s_branch .LBB268_377
.LBB268_376:                            ;   in Loop: Header=BB268_377 Depth=1
	s_or_b32 exec_lo, exec_lo, s0
	s_delay_alu instid0(SALU_CYCLE_1) | instskip(NEXT) | instid1(SALU_CYCLE_1)
	s_and_b32 s0, exec_lo, s25
	s_or_b32 s23, s0, s23
	s_and_not1_b32 s0, s28, exec_lo
	s_and_b32 s28, s27, exec_lo
	s_and_not1_b32 s24, s24, exec_lo
	s_and_b32 s29, s26, exec_lo
	s_or_b32 s28, s0, s28
	s_or_b32 s24, s24, s29
	s_and_not1_b32 exec_lo, exec_lo, s23
	s_cbranch_execz .LBB268_379
.LBB268_377:                            ; =>This Inner Loop Header: Depth=1
	global_load_u8 v19, v[2:3], off
	global_load_u8 v20, v[6:7], off
	s_and_not1_b32 s26, s26, exec_lo
	s_and_not1_b32 s27, s27, exec_lo
	s_or_b32 s25, s25, exec_lo
	s_waitcnt vmcnt(1)
	v_bfe_i32 v21, v19, 0, 8
	s_waitcnt vmcnt(0)
	v_bfe_i32 v22, v20, 0, 8
	v_and_b32_e32 v19, 0xff, v19
	v_and_b32_e32 v20, 0xff, v20
	s_delay_alu instid0(VALU_DEP_3)
	v_cmp_le_i16_e32 vcc_lo, v21, v22
	v_cmp_lt_i16_e64 s0, v21, v22
	s_and_b32 s29, vcc_lo, s28
	s_delay_alu instid0(VALU_DEP_1) | instid1(SALU_CYCLE_1)
	s_or_b32 s29, s0, s29
	s_delay_alu instid0(SALU_CYCLE_1) | instskip(NEXT) | instid1(SALU_CYCLE_1)
	s_and_b32 s0, s29, exec_lo
	s_or_b32 s26, s26, s0
	s_mov_b32 s0, exec_lo
	v_cmpx_eq_u16_e64 v19, v20
	s_cbranch_execz .LBB268_376
; %bb.378:                              ;   in Loop: Header=BB268_377 Depth=1
	s_add_u32 s20, s20, -1
	s_addc_u32 s21, s21, -1
	v_add_co_u32 v2, vcc_lo, v2, 1
	s_cmp_eq_u64 s[20:21], 0
	v_add_co_ci_u32_e32 v3, vcc_lo, 0, v3, vcc_lo
	v_add_co_u32 v6, vcc_lo, v6, 1
	s_cselect_b32 s28, -1, 0
	v_add_co_ci_u32_e32 v7, vcc_lo, 0, v7, vcc_lo
	s_and_not1_b32 s27, s27, exec_lo
	s_and_b32 s29, s29, exec_lo
	s_and_not1_b32 s25, s25, exec_lo
	s_and_b32 s28, s28, exec_lo
	s_or_b32 s27, s27, s29
	s_and_not1_b32 s26, s26, exec_lo
	s_or_b32 s25, s25, s28
                                        ; implicit-def: $sgpr28
	s_branch .LBB268_376
.LBB268_379:
	s_or_b32 exec_lo, exec_lo, s23
	s_xor_b32 s0, s24, -1
	s_branch .LBB268_381
.LBB268_380:
	s_mov_b32 s0, -1
.LBB268_381:
	s_delay_alu instid0(SALU_CYCLE_1)
	s_and_b32 s0, s0, exec_lo
.LBB268_382:
	s_or_b32 exec_lo, exec_lo, s19
	s_delay_alu instid0(SALU_CYCLE_1)
	s_or_not1_b32 s19, s0, exec_lo
.LBB268_383:
	s_or_b32 exec_lo, exec_lo, s22
	v_cndmask_b32_e64 v2, v9, v8, s19
	v_cndmask_b32_e64 v3, v15, v14, s19
	s_mov_b32 s0, -1
	s_mov_b32 s22, exec_lo
	s_delay_alu instid0(VALU_DEP_2) | instskip(NEXT) | instid1(VALU_DEP_2)
	v_add_nc_u32_e32 v6, 1, v2
	v_add_nc_u32_e32 v2, -1, v3
	s_delay_alu instid0(VALU_DEP_2) | instskip(NEXT) | instid1(VALU_DEP_2)
	v_cndmask_b32_e64 v22, v6, v9, s19
	v_min_u32_e32 v2, v6, v2
	v_cndmask_b32_e64 v19, v8, v6, s19
	s_delay_alu instid0(VALU_DEP_2)
	v_lshlrev_b32_e32 v2, 3, v2
	ds_load_b64 v[2:3], v2
	s_waitcnt lgkmcnt(0)
	v_cndmask_b32_e64 v20, v3, v10, s19
	v_cndmask_b32_e64 v21, v2, v11, s19
	;; [unrolled: 1-line block ×4, first 2 shown]
	v_cmpx_lt_u32_e64 v22, v15
	s_cbranch_execz .LBB268_394
; %bb.384:
	s_mov_b32 s0, 0
	s_mov_b32 s23, exec_lo
	v_cmpx_lt_u32_e64 v19, v14
	s_cbranch_execz .LBB268_393
; %bb.385:
	s_and_not1_b32 vcc_lo, exec_lo, s7
	s_cbranch_vccnz .LBB268_391
; %bb.386:
	v_mad_u64_u32 v[2:3], null, v21, s8, s[10:11]
	v_mul_lo_u32 v8, v21, s9
	v_mul_lo_u32 v9, v20, s8
	v_mad_u64_u32 v[6:7], null, v24, s8, s[10:11]
	v_mul_lo_u32 v25, v24, s9
	v_mul_lo_u32 v40, v23, s8
	s_mov_b32 s24, 0
	s_mov_b64 s[20:21], s[8:9]
                                        ; implicit-def: $sgpr25
                                        ; implicit-def: $sgpr26
                                        ; implicit-def: $sgpr27
                                        ; implicit-def: $sgpr28
                                        ; implicit-def: $sgpr29
	s_delay_alu instid0(VALU_DEP_4) | instskip(NEXT) | instid1(VALU_DEP_2)
	v_add3_u32 v3, v9, v3, v8
	v_add3_u32 v7, v40, v7, v25
	s_branch .LBB268_388
.LBB268_387:                            ;   in Loop: Header=BB268_388 Depth=1
	s_or_b32 exec_lo, exec_lo, s0
	s_delay_alu instid0(SALU_CYCLE_1) | instskip(NEXT) | instid1(SALU_CYCLE_1)
	s_and_b32 s0, exec_lo, s26
	s_or_b32 s24, s0, s24
	s_and_not1_b32 s0, s29, exec_lo
	s_and_b32 s29, s28, exec_lo
	s_and_not1_b32 s25, s25, exec_lo
	s_and_b32 s30, s27, exec_lo
	s_or_b32 s29, s0, s29
	s_or_b32 s25, s25, s30
	s_and_not1_b32 exec_lo, exec_lo, s24
	s_cbranch_execz .LBB268_390
.LBB268_388:                            ; =>This Inner Loop Header: Depth=1
	global_load_u8 v8, v[2:3], off
	global_load_u8 v9, v[6:7], off
	s_and_not1_b32 s27, s27, exec_lo
	s_and_not1_b32 s28, s28, exec_lo
	s_or_b32 s26, s26, exec_lo
	s_waitcnt vmcnt(1)
	v_bfe_i32 v25, v8, 0, 8
	s_waitcnt vmcnt(0)
	v_bfe_i32 v40, v9, 0, 8
	v_and_b32_e32 v8, 0xff, v8
	v_and_b32_e32 v9, 0xff, v9
	s_delay_alu instid0(VALU_DEP_3)
	v_cmp_le_i16_e32 vcc_lo, v25, v40
	v_cmp_lt_i16_e64 s0, v25, v40
	s_and_b32 s30, vcc_lo, s29
	s_delay_alu instid0(VALU_DEP_1) | instid1(SALU_CYCLE_1)
	s_or_b32 s30, s0, s30
	s_delay_alu instid0(SALU_CYCLE_1) | instskip(NEXT) | instid1(SALU_CYCLE_1)
	s_and_b32 s0, s30, exec_lo
	s_or_b32 s27, s27, s0
	s_mov_b32 s0, exec_lo
	v_cmpx_eq_u16_e64 v8, v9
	s_cbranch_execz .LBB268_387
; %bb.389:                              ;   in Loop: Header=BB268_388 Depth=1
	s_add_u32 s20, s20, -1
	s_addc_u32 s21, s21, -1
	v_add_co_u32 v2, vcc_lo, v2, 1
	s_cmp_eq_u64 s[20:21], 0
	v_add_co_ci_u32_e32 v3, vcc_lo, 0, v3, vcc_lo
	v_add_co_u32 v6, vcc_lo, v6, 1
	s_cselect_b32 s29, -1, 0
	v_add_co_ci_u32_e32 v7, vcc_lo, 0, v7, vcc_lo
	s_and_not1_b32 s28, s28, exec_lo
	s_and_b32 s30, s30, exec_lo
	s_and_not1_b32 s26, s26, exec_lo
	s_and_b32 s29, s29, exec_lo
	s_or_b32 s28, s28, s30
	s_and_not1_b32 s27, s27, exec_lo
	s_or_b32 s26, s26, s29
                                        ; implicit-def: $sgpr29
	s_branch .LBB268_387
.LBB268_390:
	s_or_b32 exec_lo, exec_lo, s24
	s_xor_b32 s0, s25, -1
	s_branch .LBB268_392
.LBB268_391:
	s_mov_b32 s0, -1
.LBB268_392:
	s_delay_alu instid0(SALU_CYCLE_1)
	s_and_b32 s0, s0, exec_lo
.LBB268_393:
	s_or_b32 exec_lo, exec_lo, s23
	s_delay_alu instid0(SALU_CYCLE_1)
	s_or_not1_b32 s0, s0, exec_lo
.LBB268_394:
	s_or_b32 exec_lo, exec_lo, s22
	v_cndmask_b32_e64 v2, v22, v19, s0
	v_cndmask_b32_e64 v3, v15, v14, s0
	v_cndmask_b32_e64 v1, v5, v1, s12
	v_cndmask_b32_e64 v0, v4, v0, s12
	v_cndmask_b32_e64 v5, v20, v23, s0
	v_add_nc_u32_e32 v25, 1, v2
	v_add_nc_u32_e32 v2, -1, v3
	v_cndmask_b32_e64 v3, v10, v17, s19
	v_cndmask_b32_e64 v4, v21, v24, s0
	s_mov_b32 s12, exec_lo
	v_cndmask_b32_e64 v10, v25, v22, s0
	v_min_u32_e32 v2, v25, v2
	s_delay_alu instid0(VALU_DEP_1)
	v_lshlrev_b32_e32 v2, 3, v2
	ds_load_b64 v[8:9], v2
	v_cndmask_b32_e64 v2, v11, v18, s19
	s_waitcnt lgkmcnt(0)
	v_cndmask_b32_e64 v7, v23, v9, s0
	v_cndmask_b32_e64 v6, v24, v8, s0
	v_cmpx_lt_u32_e64 v10, v15
	s_cbranch_execz .LBB268_404
; %bb.395:
	v_cndmask_b32_e64 v10, v19, v25, s0
	v_cndmask_b32_e64 v9, v9, v20, s0
	v_cndmask_b32_e64 v8, v8, v21, s0
	s_mov_b32 s19, exec_lo
	s_delay_alu instid0(VALU_DEP_3)
	v_cmpx_lt_u32_e64 v10, v14
	s_cbranch_execz .LBB268_403
; %bb.396:
	s_and_not1_b32 vcc_lo, exec_lo, s7
	s_cbranch_vccnz .LBB268_402
; %bb.397:
	v_mad_u64_u32 v[10:11], null, v8, s8, s[10:11]
	v_mul_lo_u32 v17, v8, s9
	v_mul_lo_u32 v18, v9, s8
	v_mad_u64_u32 v[14:15], null, v6, s8, s[10:11]
	v_mul_lo_u32 v19, v6, s9
	v_mul_lo_u32 v20, v7, s8
	s_mov_b32 s22, 0
	s_mov_b64 s[20:21], s[8:9]
                                        ; implicit-def: $sgpr23
                                        ; implicit-def: $sgpr24
                                        ; implicit-def: $sgpr25
                                        ; implicit-def: $sgpr26
                                        ; implicit-def: $sgpr27
	s_delay_alu instid0(VALU_DEP_4) | instskip(NEXT) | instid1(VALU_DEP_2)
	v_add3_u32 v11, v18, v11, v17
	v_add3_u32 v15, v20, v15, v19
	s_branch .LBB268_399
.LBB268_398:                            ;   in Loop: Header=BB268_399 Depth=1
	s_or_b32 exec_lo, exec_lo, s0
	s_delay_alu instid0(SALU_CYCLE_1) | instskip(NEXT) | instid1(SALU_CYCLE_1)
	s_and_b32 s0, exec_lo, s24
	s_or_b32 s22, s0, s22
	s_and_not1_b32 s0, s27, exec_lo
	s_and_b32 s27, s26, exec_lo
	s_and_not1_b32 s23, s23, exec_lo
	s_and_b32 s28, s25, exec_lo
	s_or_b32 s27, s0, s27
	s_or_b32 s23, s23, s28
	s_and_not1_b32 exec_lo, exec_lo, s22
	s_cbranch_execz .LBB268_401
.LBB268_399:                            ; =>This Inner Loop Header: Depth=1
	global_load_u8 v17, v[10:11], off
	global_load_u8 v18, v[14:15], off
	s_and_not1_b32 s25, s25, exec_lo
	s_and_not1_b32 s26, s26, exec_lo
	s_or_b32 s24, s24, exec_lo
	s_waitcnt vmcnt(1)
	v_bfe_i32 v19, v17, 0, 8
	s_waitcnt vmcnt(0)
	v_bfe_i32 v20, v18, 0, 8
	v_and_b32_e32 v17, 0xff, v17
	v_and_b32_e32 v18, 0xff, v18
	s_delay_alu instid0(VALU_DEP_3)
	v_cmp_le_i16_e32 vcc_lo, v19, v20
	v_cmp_lt_i16_e64 s0, v19, v20
	s_and_b32 s28, vcc_lo, s27
	s_delay_alu instid0(VALU_DEP_1) | instid1(SALU_CYCLE_1)
	s_or_b32 s28, s0, s28
	s_delay_alu instid0(SALU_CYCLE_1) | instskip(NEXT) | instid1(SALU_CYCLE_1)
	s_and_b32 s0, s28, exec_lo
	s_or_b32 s25, s25, s0
	s_mov_b32 s0, exec_lo
	v_cmpx_eq_u16_e64 v17, v18
	s_cbranch_execz .LBB268_398
; %bb.400:                              ;   in Loop: Header=BB268_399 Depth=1
	s_add_u32 s20, s20, -1
	s_addc_u32 s21, s21, -1
	v_add_co_u32 v10, vcc_lo, v10, 1
	s_cmp_eq_u64 s[20:21], 0
	v_add_co_ci_u32_e32 v11, vcc_lo, 0, v11, vcc_lo
	v_add_co_u32 v14, vcc_lo, v14, 1
	s_cselect_b32 s27, -1, 0
	v_add_co_ci_u32_e32 v15, vcc_lo, 0, v15, vcc_lo
	s_and_not1_b32 s26, s26, exec_lo
	s_and_b32 s28, s28, exec_lo
	s_and_not1_b32 s24, s24, exec_lo
	s_and_b32 s27, s27, exec_lo
	s_or_b32 s26, s26, s28
	s_and_not1_b32 s25, s25, exec_lo
	s_or_b32 s24, s24, s27
                                        ; implicit-def: $sgpr27
	s_branch .LBB268_398
.LBB268_401:
	s_or_b32 exec_lo, exec_lo, s22
	v_cndmask_b32_e64 v7, v7, v9, s23
	v_cndmask_b32_e64 v6, v6, v8, s23
.LBB268_402:
	s_delay_alu instid0(VALU_DEP_1)
	v_dual_mov_b32 v9, v7 :: v_dual_mov_b32 v8, v6
.LBB268_403:
	s_or_b32 exec_lo, exec_lo, s19
	s_delay_alu instid0(VALU_DEP_1)
	v_dual_mov_b32 v6, v8 :: v_dual_mov_b32 v7, v9
.LBB268_404:
	s_or_b32 exec_lo, exec_lo, s12
.LBB268_405:
	s_delay_alu instid0(SALU_CYCLE_1) | instskip(SKIP_4) | instid1(VALU_DEP_2)
	s_or_b32 exec_lo, exec_lo, s1
	v_and_b32_e32 v19, 0xe00, v27
	v_and_b32_e32 v20, 0x1fc, v27
	s_mov_b32 s1, exec_lo
	s_barrier
	v_or_b32_e32 v8, 0x100, v19
	v_lshlrev_b32_e32 v18, 3, v19
	buffer_gl0_inv
	ds_store_b128 v16, v[0:3]
	ds_store_b128 v16, v[4:7] offset:16
	s_waitcnt lgkmcnt(0)
	v_min_u32_e32 v9, 0x300, v8
	v_min_u32_e32 v14, 0x400, v8
	s_barrier
	buffer_gl0_inv
	v_add_nc_u32_e32 v15, 0x100, v9
	v_sub_nc_u32_e32 v8, v14, v19
	s_delay_alu instid0(VALU_DEP_2) | instskip(NEXT) | instid1(VALU_DEP_2)
	v_sub_nc_u32_e32 v9, v15, v14
	v_min_u32_e32 v21, v20, v8
	s_delay_alu instid0(VALU_DEP_2) | instskip(NEXT) | instid1(VALU_DEP_1)
	v_sub_nc_u32_e64 v17, v20, v9 clamp
	v_cmpx_lt_u32_e64 v17, v21
	s_cbranch_execz .LBB268_415
; %bb.406:
	v_lshlrev_b32_e32 v8, 3, v20
	s_mov_b32 s12, 0
	s_delay_alu instid0(VALU_DEP_1)
	v_lshl_add_u32 v22, v14, 3, v8
	s_branch .LBB268_409
.LBB268_407:                            ;   in Loop: Header=BB268_409 Depth=1
	s_or_b32 exec_lo, exec_lo, s19
.LBB268_408:                            ;   in Loop: Header=BB268_409 Depth=1
	s_delay_alu instid0(VALU_DEP_1) | instskip(SKIP_1) | instid1(VALU_DEP_2)
	v_add_nc_u32_e32 v8, 1, v23
	v_cndmask_b32_e64 v21, v21, v23, s22
	v_cndmask_b32_e64 v17, v8, v17, s22
	s_delay_alu instid0(VALU_DEP_1) | instskip(SKIP_1) | instid1(SALU_CYCLE_1)
	v_cmp_ge_u32_e32 vcc_lo, v17, v21
	s_or_b32 s12, vcc_lo, s12
	s_and_not1_b32 exec_lo, exec_lo, s12
	s_cbranch_execz .LBB268_414
.LBB268_409:                            ; =>This Loop Header: Depth=1
                                        ;     Child Loop BB268_412 Depth 2
	v_add_nc_u32_e32 v8, v21, v17
	s_and_not1_b32 vcc_lo, exec_lo, s7
	s_mov_b32 s22, 0
	s_delay_alu instid0(VALU_DEP_1)
	v_lshrrev_b32_e32 v23, 1, v8
	s_cbranch_vccnz .LBB268_408
; %bb.410:                              ;   in Loop: Header=BB268_409 Depth=1
	s_delay_alu instid0(VALU_DEP_1) | instskip(SKIP_3) | instid1(VALU_DEP_2)
	v_not_b32_e32 v8, v23
	v_lshl_add_u32 v9, v23, 3, v18
	s_mov_b32 s19, 0
	s_mov_b64 s[20:21], s[8:9]
                                        ; implicit-def: $sgpr22
                                        ; implicit-def: $sgpr23
                                        ; implicit-def: $sgpr24
                                        ; implicit-def: $sgpr25
                                        ; implicit-def: $sgpr26
	v_lshl_add_u32 v8, v8, 3, v22
	ds_load_b64 v[10:11], v8
	ds_load_b64 v[24:25], v9
	s_waitcnt lgkmcnt(1)
	v_mul_lo_u32 v40, v10, s9
	v_mul_lo_u32 v41, v11, s8
	v_mad_u64_u32 v[8:9], null, v10, s8, s[10:11]
	s_waitcnt lgkmcnt(0)
	v_mul_lo_u32 v42, v24, s9
	v_mul_lo_u32 v25, v25, s8
	v_mad_u64_u32 v[10:11], null, v24, s8, s[10:11]
	s_delay_alu instid0(VALU_DEP_4) | instskip(NEXT) | instid1(VALU_DEP_2)
	v_add3_u32 v9, v41, v9, v40
	v_add3_u32 v11, v25, v11, v42
	s_branch .LBB268_412
.LBB268_411:                            ;   in Loop: Header=BB268_412 Depth=2
	s_or_b32 exec_lo, exec_lo, s27
	s_delay_alu instid0(SALU_CYCLE_1) | instskip(NEXT) | instid1(SALU_CYCLE_1)
	s_and_b32 s0, exec_lo, s23
	s_or_b32 s19, s0, s19
	s_and_not1_b32 s0, s26, exec_lo
	s_and_b32 s26, s24, exec_lo
	s_and_not1_b32 s22, s22, exec_lo
	s_and_b32 s27, s25, exec_lo
	s_or_b32 s26, s0, s26
	s_or_b32 s22, s22, s27
	s_and_not1_b32 exec_lo, exec_lo, s19
	s_cbranch_execz .LBB268_407
.LBB268_412:                            ;   Parent Loop BB268_409 Depth=1
                                        ; =>  This Inner Loop Header: Depth=2
	global_load_u8 v24, v[8:9], off
	global_load_u8 v25, v[10:11], off
	s_and_not1_b32 s25, s25, exec_lo
	s_and_not1_b32 s24, s24, exec_lo
	s_or_b32 s23, s23, exec_lo
	s_waitcnt vmcnt(1)
	v_bfe_i32 v40, v24, 0, 8
	s_waitcnt vmcnt(0)
	v_bfe_i32 v41, v25, 0, 8
	v_and_b32_e32 v24, 0xff, v24
	v_and_b32_e32 v25, 0xff, v25
	s_delay_alu instid0(VALU_DEP_3)
	v_cmp_le_i16_e32 vcc_lo, v40, v41
	v_cmp_lt_i16_e64 s0, v40, v41
	s_and_b32 s27, vcc_lo, s26
	s_delay_alu instid0(VALU_DEP_1) | instid1(SALU_CYCLE_1)
	s_or_b32 s0, s0, s27
	s_delay_alu instid0(SALU_CYCLE_1) | instskip(NEXT) | instid1(SALU_CYCLE_1)
	s_and_b32 s27, s0, exec_lo
	s_or_b32 s25, s25, s27
	s_mov_b32 s27, exec_lo
	v_cmpx_eq_u16_e64 v24, v25
	s_cbranch_execz .LBB268_411
; %bb.413:                              ;   in Loop: Header=BB268_412 Depth=2
	s_add_u32 s20, s20, -1
	s_addc_u32 s21, s21, -1
	v_add_co_u32 v8, vcc_lo, v8, 1
	v_add_co_ci_u32_e32 v9, vcc_lo, 0, v9, vcc_lo
	s_cmp_eq_u64 s[20:21], 0
	v_add_co_u32 v10, vcc_lo, v10, 1
	s_cselect_b32 s26, -1, 0
	v_add_co_ci_u32_e32 v11, vcc_lo, 0, v11, vcc_lo
	s_and_not1_b32 s24, s24, exec_lo
	s_and_b32 s0, s0, exec_lo
	s_and_not1_b32 s23, s23, exec_lo
	s_and_b32 s26, s26, exec_lo
	s_and_not1_b32 s25, s25, exec_lo
	s_or_b32 s24, s24, s0
	s_or_b32 s23, s23, s26
                                        ; implicit-def: $sgpr26
	s_branch .LBB268_411
.LBB268_414:
	s_or_b32 exec_lo, exec_lo, s12
.LBB268_415:
	s_delay_alu instid0(SALU_CYCLE_1) | instskip(SKIP_2) | instid1(VALU_DEP_2)
	s_or_b32 exec_lo, exec_lo, s1
	v_sub_nc_u32_e32 v9, v20, v17
	v_add_nc_u32_e32 v8, v17, v19
	v_add_nc_u32_e32 v9, v9, v14
	s_delay_alu instid0(VALU_DEP_2) | instskip(NEXT) | instid1(VALU_DEP_2)
	v_cmp_le_u32_e32 vcc_lo, v8, v14
	v_cmp_le_u32_e64 s0, v9, v15
	s_delay_alu instid0(VALU_DEP_1) | instskip(NEXT) | instid1(SALU_CYCLE_1)
	s_or_b32 s0, vcc_lo, s0
	s_and_saveexec_b32 s1, s0
	s_cbranch_execz .LBB268_462
; %bb.416:
	v_cmp_ge_u32_e32 vcc_lo, v8, v14
	s_mov_b32 s12, exec_lo
                                        ; implicit-def: $vgpr0_vgpr1
	v_cmpx_lt_u32_e64 v8, v14
	s_cbranch_execz .LBB268_418
; %bb.417:
	v_lshl_add_u32 v0, v17, 3, v18
	ds_load_b64 v[0:1], v0
.LBB268_418:
	s_or_b32 exec_lo, exec_lo, s12
	v_cmp_ge_u32_e64 s12, v9, v15
	s_mov_b32 s19, exec_lo
                                        ; implicit-def: $vgpr4_vgpr5
	v_cmpx_lt_u32_e64 v9, v15
	s_cbranch_execz .LBB268_420
; %bb.419:
	v_lshlrev_b32_e32 v2, 3, v9
	ds_load_b64 v[4:5], v2
.LBB268_420:
	s_or_b32 exec_lo, exec_lo, s19
	s_or_b32 s0, vcc_lo, s12
	s_mov_b32 s19, -1
	s_xor_b32 s0, s0, -1
	s_delay_alu instid0(SALU_CYCLE_1)
	s_and_saveexec_b32 s22, s0
	s_cbranch_execz .LBB268_429
; %bb.421:
	s_and_not1_b32 vcc_lo, exec_lo, s7
	s_cbranch_vccnz .LBB268_427
; %bb.422:
	s_waitcnt lgkmcnt(0)
	v_mad_u64_u32 v[2:3], null, v4, s8, s[10:11]
	v_mul_lo_u32 v10, v4, s9
	v_mul_lo_u32 v11, v5, s8
	v_mad_u64_u32 v[6:7], null, v0, s8, s[10:11]
	v_mul_lo_u32 v17, v0, s9
	v_mul_lo_u32 v18, v1, s8
	s_mov_b32 s23, 0
	s_mov_b64 s[20:21], s[8:9]
                                        ; implicit-def: $sgpr24
                                        ; implicit-def: $sgpr25
                                        ; implicit-def: $sgpr26
                                        ; implicit-def: $sgpr27
                                        ; implicit-def: $sgpr28
	s_delay_alu instid0(VALU_DEP_4) | instskip(NEXT) | instid1(VALU_DEP_2)
	v_add3_u32 v3, v11, v3, v10
	v_add3_u32 v7, v18, v7, v17
	s_branch .LBB268_424
.LBB268_423:                            ;   in Loop: Header=BB268_424 Depth=1
	s_or_b32 exec_lo, exec_lo, s0
	s_delay_alu instid0(SALU_CYCLE_1) | instskip(NEXT) | instid1(SALU_CYCLE_1)
	s_and_b32 s0, exec_lo, s25
	s_or_b32 s23, s0, s23
	s_and_not1_b32 s0, s28, exec_lo
	s_and_b32 s28, s27, exec_lo
	s_and_not1_b32 s24, s24, exec_lo
	s_and_b32 s29, s26, exec_lo
	s_or_b32 s28, s0, s28
	s_or_b32 s24, s24, s29
	s_and_not1_b32 exec_lo, exec_lo, s23
	s_cbranch_execz .LBB268_426
.LBB268_424:                            ; =>This Inner Loop Header: Depth=1
	global_load_u8 v10, v[2:3], off
	global_load_u8 v11, v[6:7], off
	s_and_not1_b32 s26, s26, exec_lo
	s_and_not1_b32 s27, s27, exec_lo
	s_or_b32 s25, s25, exec_lo
	s_waitcnt vmcnt(1)
	v_bfe_i32 v17, v10, 0, 8
	s_waitcnt vmcnt(0)
	v_bfe_i32 v18, v11, 0, 8
	v_and_b32_e32 v10, 0xff, v10
	v_and_b32_e32 v11, 0xff, v11
	s_delay_alu instid0(VALU_DEP_3)
	v_cmp_le_i16_e32 vcc_lo, v17, v18
	v_cmp_lt_i16_e64 s0, v17, v18
	s_and_b32 s29, vcc_lo, s28
	s_delay_alu instid0(VALU_DEP_1) | instid1(SALU_CYCLE_1)
	s_or_b32 s29, s0, s29
	s_delay_alu instid0(SALU_CYCLE_1) | instskip(NEXT) | instid1(SALU_CYCLE_1)
	s_and_b32 s0, s29, exec_lo
	s_or_b32 s26, s26, s0
	s_mov_b32 s0, exec_lo
	v_cmpx_eq_u16_e64 v10, v11
	s_cbranch_execz .LBB268_423
; %bb.425:                              ;   in Loop: Header=BB268_424 Depth=1
	s_add_u32 s20, s20, -1
	s_addc_u32 s21, s21, -1
	v_add_co_u32 v2, vcc_lo, v2, 1
	s_cmp_eq_u64 s[20:21], 0
	v_add_co_ci_u32_e32 v3, vcc_lo, 0, v3, vcc_lo
	v_add_co_u32 v6, vcc_lo, v6, 1
	s_cselect_b32 s28, -1, 0
	v_add_co_ci_u32_e32 v7, vcc_lo, 0, v7, vcc_lo
	s_and_not1_b32 s27, s27, exec_lo
	s_and_b32 s29, s29, exec_lo
	s_and_not1_b32 s25, s25, exec_lo
	s_and_b32 s28, s28, exec_lo
	s_or_b32 s27, s27, s29
	s_and_not1_b32 s26, s26, exec_lo
	s_or_b32 s25, s25, s28
                                        ; implicit-def: $sgpr28
	s_branch .LBB268_423
.LBB268_426:
	s_or_b32 exec_lo, exec_lo, s23
	s_xor_b32 s0, s24, -1
	s_branch .LBB268_428
.LBB268_427:
	s_mov_b32 s0, -1
.LBB268_428:
	s_and_not1_b32 s12, s12, exec_lo
	s_and_b32 s0, s0, exec_lo
	s_delay_alu instid0(SALU_CYCLE_1)
	s_or_b32 s12, s12, s0
.LBB268_429:
	s_or_b32 exec_lo, exec_lo, s22
	v_cndmask_b32_e64 v2, v9, v8, s12
	v_cndmask_b32_e64 v3, v15, v14, s12
	s_mov_b32 s22, exec_lo
	s_delay_alu instid0(VALU_DEP_2) | instskip(NEXT) | instid1(VALU_DEP_2)
	v_add_nc_u32_e32 v6, 1, v2
	v_add_nc_u32_e32 v2, -1, v3
	s_delay_alu instid0(VALU_DEP_2) | instskip(NEXT) | instid1(VALU_DEP_2)
	v_cndmask_b32_e64 v9, v6, v9, s12
	v_min_u32_e32 v2, v6, v2
	v_cndmask_b32_e64 v8, v8, v6, s12
	s_delay_alu instid0(VALU_DEP_2)
	v_lshlrev_b32_e32 v2, 3, v2
	ds_load_b64 v[2:3], v2
	s_waitcnt lgkmcnt(0)
	v_cndmask_b32_e64 v10, v3, v5, s12
	v_cndmask_b32_e64 v11, v2, v4, s12
	;; [unrolled: 1-line block ×4, first 2 shown]
	v_cmpx_lt_u32_e64 v9, v15
	s_cbranch_execz .LBB268_440
; %bb.430:
	s_mov_b32 s0, 0
	s_mov_b32 s19, exec_lo
	v_cmpx_lt_u32_e64 v8, v14
	s_cbranch_execz .LBB268_439
; %bb.431:
	s_and_not1_b32 vcc_lo, exec_lo, s7
	s_cbranch_vccnz .LBB268_437
; %bb.432:
	v_mad_u64_u32 v[2:3], null, v11, s8, s[10:11]
	v_mul_lo_u32 v19, v11, s9
	v_mul_lo_u32 v20, v10, s8
	v_mad_u64_u32 v[6:7], null, v18, s8, s[10:11]
	v_mul_lo_u32 v21, v18, s9
	v_mul_lo_u32 v22, v17, s8
	s_mov_b32 s23, 0
	s_mov_b64 s[20:21], s[8:9]
                                        ; implicit-def: $sgpr24
                                        ; implicit-def: $sgpr25
                                        ; implicit-def: $sgpr26
                                        ; implicit-def: $sgpr27
                                        ; implicit-def: $sgpr28
	s_delay_alu instid0(VALU_DEP_4) | instskip(NEXT) | instid1(VALU_DEP_2)
	v_add3_u32 v3, v20, v3, v19
	v_add3_u32 v7, v22, v7, v21
	s_branch .LBB268_434
.LBB268_433:                            ;   in Loop: Header=BB268_434 Depth=1
	s_or_b32 exec_lo, exec_lo, s0
	s_delay_alu instid0(SALU_CYCLE_1) | instskip(NEXT) | instid1(SALU_CYCLE_1)
	s_and_b32 s0, exec_lo, s25
	s_or_b32 s23, s0, s23
	s_and_not1_b32 s0, s28, exec_lo
	s_and_b32 s28, s27, exec_lo
	s_and_not1_b32 s24, s24, exec_lo
	s_and_b32 s29, s26, exec_lo
	s_or_b32 s28, s0, s28
	s_or_b32 s24, s24, s29
	s_and_not1_b32 exec_lo, exec_lo, s23
	s_cbranch_execz .LBB268_436
.LBB268_434:                            ; =>This Inner Loop Header: Depth=1
	global_load_u8 v19, v[2:3], off
	global_load_u8 v20, v[6:7], off
	s_and_not1_b32 s26, s26, exec_lo
	s_and_not1_b32 s27, s27, exec_lo
	s_or_b32 s25, s25, exec_lo
	s_waitcnt vmcnt(1)
	v_bfe_i32 v21, v19, 0, 8
	s_waitcnt vmcnt(0)
	v_bfe_i32 v22, v20, 0, 8
	v_and_b32_e32 v19, 0xff, v19
	v_and_b32_e32 v20, 0xff, v20
	s_delay_alu instid0(VALU_DEP_3)
	v_cmp_le_i16_e32 vcc_lo, v21, v22
	v_cmp_lt_i16_e64 s0, v21, v22
	s_and_b32 s29, vcc_lo, s28
	s_delay_alu instid0(VALU_DEP_1) | instid1(SALU_CYCLE_1)
	s_or_b32 s29, s0, s29
	s_delay_alu instid0(SALU_CYCLE_1) | instskip(NEXT) | instid1(SALU_CYCLE_1)
	s_and_b32 s0, s29, exec_lo
	s_or_b32 s26, s26, s0
	s_mov_b32 s0, exec_lo
	v_cmpx_eq_u16_e64 v19, v20
	s_cbranch_execz .LBB268_433
; %bb.435:                              ;   in Loop: Header=BB268_434 Depth=1
	s_add_u32 s20, s20, -1
	s_addc_u32 s21, s21, -1
	v_add_co_u32 v2, vcc_lo, v2, 1
	s_cmp_eq_u64 s[20:21], 0
	v_add_co_ci_u32_e32 v3, vcc_lo, 0, v3, vcc_lo
	v_add_co_u32 v6, vcc_lo, v6, 1
	s_cselect_b32 s28, -1, 0
	v_add_co_ci_u32_e32 v7, vcc_lo, 0, v7, vcc_lo
	s_and_not1_b32 s27, s27, exec_lo
	s_and_b32 s29, s29, exec_lo
	s_and_not1_b32 s25, s25, exec_lo
	s_and_b32 s28, s28, exec_lo
	s_or_b32 s27, s27, s29
	s_and_not1_b32 s26, s26, exec_lo
	s_or_b32 s25, s25, s28
                                        ; implicit-def: $sgpr28
	s_branch .LBB268_433
.LBB268_436:
	s_or_b32 exec_lo, exec_lo, s23
	s_xor_b32 s0, s24, -1
	s_branch .LBB268_438
.LBB268_437:
	s_mov_b32 s0, -1
.LBB268_438:
	s_delay_alu instid0(SALU_CYCLE_1)
	s_and_b32 s0, s0, exec_lo
.LBB268_439:
	s_or_b32 exec_lo, exec_lo, s19
	s_delay_alu instid0(SALU_CYCLE_1)
	s_or_not1_b32 s19, s0, exec_lo
.LBB268_440:
	s_or_b32 exec_lo, exec_lo, s22
	v_cndmask_b32_e64 v2, v9, v8, s19
	v_cndmask_b32_e64 v3, v15, v14, s19
	s_mov_b32 s0, -1
	s_mov_b32 s22, exec_lo
	s_delay_alu instid0(VALU_DEP_2) | instskip(NEXT) | instid1(VALU_DEP_2)
	v_add_nc_u32_e32 v6, 1, v2
	v_add_nc_u32_e32 v2, -1, v3
	s_delay_alu instid0(VALU_DEP_2) | instskip(NEXT) | instid1(VALU_DEP_2)
	v_cndmask_b32_e64 v22, v6, v9, s19
	v_min_u32_e32 v2, v6, v2
	v_cndmask_b32_e64 v19, v8, v6, s19
	s_delay_alu instid0(VALU_DEP_2)
	v_lshlrev_b32_e32 v2, 3, v2
	ds_load_b64 v[2:3], v2
	s_waitcnt lgkmcnt(0)
	v_cndmask_b32_e64 v20, v3, v10, s19
	v_cndmask_b32_e64 v21, v2, v11, s19
	;; [unrolled: 1-line block ×4, first 2 shown]
	v_cmpx_lt_u32_e64 v22, v15
	s_cbranch_execz .LBB268_451
; %bb.441:
	s_mov_b32 s0, 0
	s_mov_b32 s23, exec_lo
	v_cmpx_lt_u32_e64 v19, v14
	s_cbranch_execz .LBB268_450
; %bb.442:
	s_and_not1_b32 vcc_lo, exec_lo, s7
	s_cbranch_vccnz .LBB268_448
; %bb.443:
	v_mad_u64_u32 v[2:3], null, v21, s8, s[10:11]
	v_mul_lo_u32 v8, v21, s9
	v_mul_lo_u32 v9, v20, s8
	v_mad_u64_u32 v[6:7], null, v24, s8, s[10:11]
	v_mul_lo_u32 v25, v24, s9
	v_mul_lo_u32 v40, v23, s8
	s_mov_b32 s24, 0
	s_mov_b64 s[20:21], s[8:9]
                                        ; implicit-def: $sgpr25
                                        ; implicit-def: $sgpr26
                                        ; implicit-def: $sgpr27
                                        ; implicit-def: $sgpr28
                                        ; implicit-def: $sgpr29
	s_delay_alu instid0(VALU_DEP_4) | instskip(NEXT) | instid1(VALU_DEP_2)
	v_add3_u32 v3, v9, v3, v8
	v_add3_u32 v7, v40, v7, v25
	s_branch .LBB268_445
.LBB268_444:                            ;   in Loop: Header=BB268_445 Depth=1
	s_or_b32 exec_lo, exec_lo, s0
	s_delay_alu instid0(SALU_CYCLE_1) | instskip(NEXT) | instid1(SALU_CYCLE_1)
	s_and_b32 s0, exec_lo, s26
	s_or_b32 s24, s0, s24
	s_and_not1_b32 s0, s29, exec_lo
	s_and_b32 s29, s28, exec_lo
	s_and_not1_b32 s25, s25, exec_lo
	s_and_b32 s30, s27, exec_lo
	s_or_b32 s29, s0, s29
	s_or_b32 s25, s25, s30
	s_and_not1_b32 exec_lo, exec_lo, s24
	s_cbranch_execz .LBB268_447
.LBB268_445:                            ; =>This Inner Loop Header: Depth=1
	global_load_u8 v8, v[2:3], off
	global_load_u8 v9, v[6:7], off
	s_and_not1_b32 s27, s27, exec_lo
	s_and_not1_b32 s28, s28, exec_lo
	s_or_b32 s26, s26, exec_lo
	s_waitcnt vmcnt(1)
	v_bfe_i32 v25, v8, 0, 8
	s_waitcnt vmcnt(0)
	v_bfe_i32 v40, v9, 0, 8
	v_and_b32_e32 v8, 0xff, v8
	v_and_b32_e32 v9, 0xff, v9
	s_delay_alu instid0(VALU_DEP_3)
	v_cmp_le_i16_e32 vcc_lo, v25, v40
	v_cmp_lt_i16_e64 s0, v25, v40
	s_and_b32 s30, vcc_lo, s29
	s_delay_alu instid0(VALU_DEP_1) | instid1(SALU_CYCLE_1)
	s_or_b32 s30, s0, s30
	s_delay_alu instid0(SALU_CYCLE_1) | instskip(NEXT) | instid1(SALU_CYCLE_1)
	s_and_b32 s0, s30, exec_lo
	s_or_b32 s27, s27, s0
	s_mov_b32 s0, exec_lo
	v_cmpx_eq_u16_e64 v8, v9
	s_cbranch_execz .LBB268_444
; %bb.446:                              ;   in Loop: Header=BB268_445 Depth=1
	s_add_u32 s20, s20, -1
	s_addc_u32 s21, s21, -1
	v_add_co_u32 v2, vcc_lo, v2, 1
	s_cmp_eq_u64 s[20:21], 0
	v_add_co_ci_u32_e32 v3, vcc_lo, 0, v3, vcc_lo
	v_add_co_u32 v6, vcc_lo, v6, 1
	s_cselect_b32 s29, -1, 0
	v_add_co_ci_u32_e32 v7, vcc_lo, 0, v7, vcc_lo
	s_and_not1_b32 s28, s28, exec_lo
	s_and_b32 s30, s30, exec_lo
	s_and_not1_b32 s26, s26, exec_lo
	s_and_b32 s29, s29, exec_lo
	s_or_b32 s28, s28, s30
	s_and_not1_b32 s27, s27, exec_lo
	s_or_b32 s26, s26, s29
                                        ; implicit-def: $sgpr29
	s_branch .LBB268_444
.LBB268_447:
	s_or_b32 exec_lo, exec_lo, s24
	s_xor_b32 s0, s25, -1
	s_branch .LBB268_449
.LBB268_448:
	s_mov_b32 s0, -1
.LBB268_449:
	s_delay_alu instid0(SALU_CYCLE_1)
	s_and_b32 s0, s0, exec_lo
.LBB268_450:
	s_or_b32 exec_lo, exec_lo, s23
	s_delay_alu instid0(SALU_CYCLE_1)
	s_or_not1_b32 s0, s0, exec_lo
.LBB268_451:
	s_or_b32 exec_lo, exec_lo, s22
	v_cndmask_b32_e64 v2, v22, v19, s0
	v_cndmask_b32_e64 v3, v15, v14, s0
	;; [unrolled: 1-line block ×5, first 2 shown]
	v_add_nc_u32_e32 v25, 1, v2
	v_add_nc_u32_e32 v2, -1, v3
	v_cndmask_b32_e64 v3, v10, v17, s19
	v_cndmask_b32_e64 v4, v21, v24, s0
	s_mov_b32 s12, exec_lo
	v_cndmask_b32_e64 v10, v25, v22, s0
	v_min_u32_e32 v2, v25, v2
	s_delay_alu instid0(VALU_DEP_1)
	v_lshlrev_b32_e32 v2, 3, v2
	ds_load_b64 v[8:9], v2
	v_cndmask_b32_e64 v2, v11, v18, s19
	s_waitcnt lgkmcnt(0)
	v_cndmask_b32_e64 v7, v23, v9, s0
	v_cndmask_b32_e64 v6, v24, v8, s0
	v_cmpx_lt_u32_e64 v10, v15
	s_cbranch_execz .LBB268_461
; %bb.452:
	v_cndmask_b32_e64 v10, v19, v25, s0
	v_cndmask_b32_e64 v9, v9, v20, s0
	;; [unrolled: 1-line block ×3, first 2 shown]
	s_mov_b32 s19, exec_lo
	s_delay_alu instid0(VALU_DEP_3)
	v_cmpx_lt_u32_e64 v10, v14
	s_cbranch_execz .LBB268_460
; %bb.453:
	s_and_not1_b32 vcc_lo, exec_lo, s7
	s_cbranch_vccnz .LBB268_459
; %bb.454:
	v_mad_u64_u32 v[10:11], null, v8, s8, s[10:11]
	v_mul_lo_u32 v17, v8, s9
	v_mul_lo_u32 v18, v9, s8
	v_mad_u64_u32 v[14:15], null, v6, s8, s[10:11]
	v_mul_lo_u32 v19, v6, s9
	v_mul_lo_u32 v20, v7, s8
	s_mov_b32 s22, 0
	s_mov_b64 s[20:21], s[8:9]
                                        ; implicit-def: $sgpr23
                                        ; implicit-def: $sgpr24
                                        ; implicit-def: $sgpr25
                                        ; implicit-def: $sgpr26
                                        ; implicit-def: $sgpr27
	s_delay_alu instid0(VALU_DEP_4) | instskip(NEXT) | instid1(VALU_DEP_2)
	v_add3_u32 v11, v18, v11, v17
	v_add3_u32 v15, v20, v15, v19
	s_branch .LBB268_456
.LBB268_455:                            ;   in Loop: Header=BB268_456 Depth=1
	s_or_b32 exec_lo, exec_lo, s0
	s_delay_alu instid0(SALU_CYCLE_1) | instskip(NEXT) | instid1(SALU_CYCLE_1)
	s_and_b32 s0, exec_lo, s24
	s_or_b32 s22, s0, s22
	s_and_not1_b32 s0, s27, exec_lo
	s_and_b32 s27, s26, exec_lo
	s_and_not1_b32 s23, s23, exec_lo
	s_and_b32 s28, s25, exec_lo
	s_or_b32 s27, s0, s27
	s_or_b32 s23, s23, s28
	s_and_not1_b32 exec_lo, exec_lo, s22
	s_cbranch_execz .LBB268_458
.LBB268_456:                            ; =>This Inner Loop Header: Depth=1
	global_load_u8 v17, v[10:11], off
	global_load_u8 v18, v[14:15], off
	s_and_not1_b32 s25, s25, exec_lo
	s_and_not1_b32 s26, s26, exec_lo
	s_or_b32 s24, s24, exec_lo
	s_waitcnt vmcnt(1)
	v_bfe_i32 v19, v17, 0, 8
	s_waitcnt vmcnt(0)
	v_bfe_i32 v20, v18, 0, 8
	v_and_b32_e32 v17, 0xff, v17
	v_and_b32_e32 v18, 0xff, v18
	s_delay_alu instid0(VALU_DEP_3)
	v_cmp_le_i16_e32 vcc_lo, v19, v20
	v_cmp_lt_i16_e64 s0, v19, v20
	s_and_b32 s28, vcc_lo, s27
	s_delay_alu instid0(VALU_DEP_1) | instid1(SALU_CYCLE_1)
	s_or_b32 s28, s0, s28
	s_delay_alu instid0(SALU_CYCLE_1) | instskip(NEXT) | instid1(SALU_CYCLE_1)
	s_and_b32 s0, s28, exec_lo
	s_or_b32 s25, s25, s0
	s_mov_b32 s0, exec_lo
	v_cmpx_eq_u16_e64 v17, v18
	s_cbranch_execz .LBB268_455
; %bb.457:                              ;   in Loop: Header=BB268_456 Depth=1
	s_add_u32 s20, s20, -1
	s_addc_u32 s21, s21, -1
	v_add_co_u32 v10, vcc_lo, v10, 1
	s_cmp_eq_u64 s[20:21], 0
	v_add_co_ci_u32_e32 v11, vcc_lo, 0, v11, vcc_lo
	v_add_co_u32 v14, vcc_lo, v14, 1
	s_cselect_b32 s27, -1, 0
	v_add_co_ci_u32_e32 v15, vcc_lo, 0, v15, vcc_lo
	s_and_not1_b32 s26, s26, exec_lo
	s_and_b32 s28, s28, exec_lo
	s_and_not1_b32 s24, s24, exec_lo
	s_and_b32 s27, s27, exec_lo
	s_or_b32 s26, s26, s28
	s_and_not1_b32 s25, s25, exec_lo
	s_or_b32 s24, s24, s27
                                        ; implicit-def: $sgpr27
	s_branch .LBB268_455
.LBB268_458:
	s_or_b32 exec_lo, exec_lo, s22
	v_cndmask_b32_e64 v7, v7, v9, s23
	v_cndmask_b32_e64 v6, v6, v8, s23
.LBB268_459:
	s_delay_alu instid0(VALU_DEP_1)
	v_dual_mov_b32 v9, v7 :: v_dual_mov_b32 v8, v6
.LBB268_460:
	s_or_b32 exec_lo, exec_lo, s19
	s_delay_alu instid0(VALU_DEP_1)
	v_dual_mov_b32 v6, v8 :: v_dual_mov_b32 v7, v9
.LBB268_461:
	s_or_b32 exec_lo, exec_lo, s12
.LBB268_462:
	s_delay_alu instid0(SALU_CYCLE_1) | instskip(SKIP_4) | instid1(VALU_DEP_2)
	s_or_b32 exec_lo, exec_lo, s1
	v_and_b32_e32 v18, 0xc00, v27
	v_and_b32_e32 v19, 0x3fc, v27
	s_mov_b32 s1, exec_lo
	s_barrier
	v_or_b32_e32 v8, 0x200, v18
	v_lshlrev_b32_e32 v17, 3, v18
	buffer_gl0_inv
	ds_store_b128 v16, v[0:3]
	ds_store_b128 v16, v[4:7] offset:16
	s_waitcnt lgkmcnt(0)
	v_min_u32_e32 v14, 0x400, v8
	s_barrier
	buffer_gl0_inv
	v_sub_nc_u32_e32 v8, 0x400, v14
	v_sub_nc_u32_e32 v9, v14, v18
	s_delay_alu instid0(VALU_DEP_2) | instskip(NEXT) | instid1(VALU_DEP_2)
	v_sub_nc_u32_e64 v15, v19, v8 clamp
	v_min_u32_e32 v20, v19, v9
	s_delay_alu instid0(VALU_DEP_1)
	v_cmpx_lt_u32_e64 v15, v20
	s_cbranch_execz .LBB268_472
; %bb.463:
	v_lshlrev_b32_e32 v8, 3, v19
	s_mov_b32 s12, 0
	s_delay_alu instid0(VALU_DEP_1)
	v_lshl_add_u32 v16, v14, 3, v8
	s_branch .LBB268_466
.LBB268_464:                            ;   in Loop: Header=BB268_466 Depth=1
	s_or_b32 exec_lo, exec_lo, s19
.LBB268_465:                            ;   in Loop: Header=BB268_466 Depth=1
	s_delay_alu instid0(VALU_DEP_1) | instskip(SKIP_1) | instid1(VALU_DEP_2)
	v_add_nc_u32_e32 v8, 1, v21
	v_cndmask_b32_e64 v20, v20, v21, s22
	v_cndmask_b32_e64 v15, v8, v15, s22
	s_delay_alu instid0(VALU_DEP_1) | instskip(SKIP_1) | instid1(SALU_CYCLE_1)
	v_cmp_ge_u32_e32 vcc_lo, v15, v20
	s_or_b32 s12, vcc_lo, s12
	s_and_not1_b32 exec_lo, exec_lo, s12
	s_cbranch_execz .LBB268_471
.LBB268_466:                            ; =>This Loop Header: Depth=1
                                        ;     Child Loop BB268_469 Depth 2
	v_add_nc_u32_e32 v8, v20, v15
	s_and_not1_b32 vcc_lo, exec_lo, s7
	s_mov_b32 s22, 0
	s_delay_alu instid0(VALU_DEP_1)
	v_lshrrev_b32_e32 v21, 1, v8
	s_cbranch_vccnz .LBB268_465
; %bb.467:                              ;   in Loop: Header=BB268_466 Depth=1
	s_delay_alu instid0(VALU_DEP_1) | instskip(SKIP_3) | instid1(VALU_DEP_2)
	v_not_b32_e32 v8, v21
	v_lshl_add_u32 v9, v21, 3, v17
	s_mov_b32 s19, 0
	s_mov_b64 s[20:21], s[8:9]
                                        ; implicit-def: $sgpr22
                                        ; implicit-def: $sgpr23
                                        ; implicit-def: $sgpr24
                                        ; implicit-def: $sgpr25
                                        ; implicit-def: $sgpr26
	v_lshl_add_u32 v8, v8, 3, v16
	ds_load_b64 v[10:11], v8
	ds_load_b64 v[22:23], v9
	s_waitcnt lgkmcnt(1)
	v_mul_lo_u32 v24, v10, s9
	v_mul_lo_u32 v25, v11, s8
	v_mad_u64_u32 v[8:9], null, v10, s8, s[10:11]
	s_waitcnt lgkmcnt(0)
	v_mul_lo_u32 v40, v22, s9
	v_mul_lo_u32 v23, v23, s8
	v_mad_u64_u32 v[10:11], null, v22, s8, s[10:11]
	s_delay_alu instid0(VALU_DEP_4) | instskip(NEXT) | instid1(VALU_DEP_2)
	v_add3_u32 v9, v25, v9, v24
	v_add3_u32 v11, v23, v11, v40
	s_branch .LBB268_469
.LBB268_468:                            ;   in Loop: Header=BB268_469 Depth=2
	s_or_b32 exec_lo, exec_lo, s27
	s_delay_alu instid0(SALU_CYCLE_1) | instskip(NEXT) | instid1(SALU_CYCLE_1)
	s_and_b32 s0, exec_lo, s23
	s_or_b32 s19, s0, s19
	s_and_not1_b32 s0, s26, exec_lo
	s_and_b32 s26, s24, exec_lo
	s_and_not1_b32 s22, s22, exec_lo
	s_and_b32 s27, s25, exec_lo
	s_or_b32 s26, s0, s26
	s_or_b32 s22, s22, s27
	s_and_not1_b32 exec_lo, exec_lo, s19
	s_cbranch_execz .LBB268_464
.LBB268_469:                            ;   Parent Loop BB268_466 Depth=1
                                        ; =>  This Inner Loop Header: Depth=2
	global_load_u8 v22, v[8:9], off
	global_load_u8 v23, v[10:11], off
	s_and_not1_b32 s25, s25, exec_lo
	s_and_not1_b32 s24, s24, exec_lo
	s_or_b32 s23, s23, exec_lo
	s_waitcnt vmcnt(1)
	v_bfe_i32 v24, v22, 0, 8
	s_waitcnt vmcnt(0)
	v_bfe_i32 v25, v23, 0, 8
	v_and_b32_e32 v22, 0xff, v22
	v_and_b32_e32 v23, 0xff, v23
	s_delay_alu instid0(VALU_DEP_3)
	v_cmp_le_i16_e32 vcc_lo, v24, v25
	v_cmp_lt_i16_e64 s0, v24, v25
	s_and_b32 s27, vcc_lo, s26
	s_delay_alu instid0(VALU_DEP_1) | instid1(SALU_CYCLE_1)
	s_or_b32 s0, s0, s27
	s_delay_alu instid0(SALU_CYCLE_1) | instskip(NEXT) | instid1(SALU_CYCLE_1)
	s_and_b32 s27, s0, exec_lo
	s_or_b32 s25, s25, s27
	s_mov_b32 s27, exec_lo
	v_cmpx_eq_u16_e64 v22, v23
	s_cbranch_execz .LBB268_468
; %bb.470:                              ;   in Loop: Header=BB268_469 Depth=2
	s_add_u32 s20, s20, -1
	s_addc_u32 s21, s21, -1
	v_add_co_u32 v8, vcc_lo, v8, 1
	v_add_co_ci_u32_e32 v9, vcc_lo, 0, v9, vcc_lo
	s_cmp_eq_u64 s[20:21], 0
	v_add_co_u32 v10, vcc_lo, v10, 1
	s_cselect_b32 s26, -1, 0
	v_add_co_ci_u32_e32 v11, vcc_lo, 0, v11, vcc_lo
	s_and_not1_b32 s24, s24, exec_lo
	s_and_b32 s0, s0, exec_lo
	s_and_not1_b32 s23, s23, exec_lo
	s_and_b32 s26, s26, exec_lo
	s_and_not1_b32 s25, s25, exec_lo
	s_or_b32 s24, s24, s0
	s_or_b32 s23, s23, s26
                                        ; implicit-def: $sgpr26
	s_branch .LBB268_468
.LBB268_471:
	s_or_b32 exec_lo, exec_lo, s12
.LBB268_472:
	s_delay_alu instid0(SALU_CYCLE_1) | instskip(SKIP_2) | instid1(VALU_DEP_2)
	s_or_b32 exec_lo, exec_lo, s1
	v_sub_nc_u32_e32 v8, v19, v15
	v_add_nc_u32_e32 v9, v15, v18
	v_add_nc_u32_e32 v10, v8, v14
	s_delay_alu instid0(VALU_DEP_2) | instskip(NEXT) | instid1(VALU_DEP_2)
	v_cmp_le_u32_e32 vcc_lo, v9, v14
	v_cmp_gt_u32_e64 s0, 0x401, v10
	s_delay_alu instid0(VALU_DEP_1) | instskip(NEXT) | instid1(SALU_CYCLE_1)
	s_or_b32 s0, vcc_lo, s0
	s_and_saveexec_b32 s1, s0
	s_cbranch_execz .LBB268_519
; %bb.473:
	v_cmp_ge_u32_e32 vcc_lo, v9, v14
	s_mov_b32 s12, exec_lo
                                        ; implicit-def: $vgpr0_vgpr1
	v_cmpx_lt_u32_e64 v9, v14
	s_cbranch_execz .LBB268_475
; %bb.474:
	v_lshl_add_u32 v0, v15, 3, v17
	ds_load_b64 v[0:1], v0
.LBB268_475:
	s_or_b32 exec_lo, exec_lo, s12
	v_cmp_lt_u32_e64 s12, 0x3ff, v10
	s_mov_b32 s19, exec_lo
                                        ; implicit-def: $vgpr4_vgpr5
	v_cmpx_gt_u32_e32 0x400, v10
	s_cbranch_execz .LBB268_477
; %bb.476:
	v_lshlrev_b32_e32 v2, 3, v10
	ds_load_b64 v[4:5], v2
.LBB268_477:
	s_or_b32 exec_lo, exec_lo, s19
	s_or_b32 s0, vcc_lo, s12
	s_mov_b32 s19, -1
	s_xor_b32 s0, s0, -1
	s_delay_alu instid0(SALU_CYCLE_1)
	s_and_saveexec_b32 s22, s0
	s_cbranch_execz .LBB268_486
; %bb.478:
	s_and_not1_b32 vcc_lo, exec_lo, s7
	s_cbranch_vccnz .LBB268_484
; %bb.479:
	s_waitcnt lgkmcnt(0)
	v_mad_u64_u32 v[2:3], null, v4, s8, s[10:11]
	v_mul_lo_u32 v8, v4, s9
	v_mul_lo_u32 v11, v5, s8
	v_mad_u64_u32 v[6:7], null, v0, s8, s[10:11]
	v_mul_lo_u32 v15, v0, s9
	v_mul_lo_u32 v16, v1, s8
	s_mov_b32 s23, 0
	s_mov_b64 s[20:21], s[8:9]
                                        ; implicit-def: $sgpr24
                                        ; implicit-def: $sgpr25
                                        ; implicit-def: $sgpr26
                                        ; implicit-def: $sgpr27
                                        ; implicit-def: $sgpr28
	s_delay_alu instid0(VALU_DEP_4) | instskip(NEXT) | instid1(VALU_DEP_2)
	v_add3_u32 v3, v11, v3, v8
	v_add3_u32 v7, v16, v7, v15
	s_branch .LBB268_481
.LBB268_480:                            ;   in Loop: Header=BB268_481 Depth=1
	s_or_b32 exec_lo, exec_lo, s0
	s_delay_alu instid0(SALU_CYCLE_1) | instskip(NEXT) | instid1(SALU_CYCLE_1)
	s_and_b32 s0, exec_lo, s25
	s_or_b32 s23, s0, s23
	s_and_not1_b32 s0, s28, exec_lo
	s_and_b32 s28, s27, exec_lo
	s_and_not1_b32 s24, s24, exec_lo
	s_and_b32 s29, s26, exec_lo
	s_or_b32 s28, s0, s28
	s_or_b32 s24, s24, s29
	s_and_not1_b32 exec_lo, exec_lo, s23
	s_cbranch_execz .LBB268_483
.LBB268_481:                            ; =>This Inner Loop Header: Depth=1
	global_load_u8 v8, v[2:3], off
	global_load_u8 v11, v[6:7], off
	s_and_not1_b32 s26, s26, exec_lo
	s_and_not1_b32 s27, s27, exec_lo
	s_or_b32 s25, s25, exec_lo
	s_waitcnt vmcnt(1)
	v_bfe_i32 v15, v8, 0, 8
	s_waitcnt vmcnt(0)
	v_bfe_i32 v16, v11, 0, 8
	v_and_b32_e32 v8, 0xff, v8
	v_and_b32_e32 v11, 0xff, v11
	s_delay_alu instid0(VALU_DEP_3)
	v_cmp_le_i16_e32 vcc_lo, v15, v16
	v_cmp_lt_i16_e64 s0, v15, v16
	s_and_b32 s29, vcc_lo, s28
	s_delay_alu instid0(VALU_DEP_1) | instid1(SALU_CYCLE_1)
	s_or_b32 s29, s0, s29
	s_delay_alu instid0(SALU_CYCLE_1) | instskip(NEXT) | instid1(SALU_CYCLE_1)
	s_and_b32 s0, s29, exec_lo
	s_or_b32 s26, s26, s0
	s_mov_b32 s0, exec_lo
	v_cmpx_eq_u16_e64 v8, v11
	s_cbranch_execz .LBB268_480
; %bb.482:                              ;   in Loop: Header=BB268_481 Depth=1
	s_add_u32 s20, s20, -1
	s_addc_u32 s21, s21, -1
	v_add_co_u32 v2, vcc_lo, v2, 1
	s_cmp_eq_u64 s[20:21], 0
	v_add_co_ci_u32_e32 v3, vcc_lo, 0, v3, vcc_lo
	v_add_co_u32 v6, vcc_lo, v6, 1
	s_cselect_b32 s28, -1, 0
	v_add_co_ci_u32_e32 v7, vcc_lo, 0, v7, vcc_lo
	s_and_not1_b32 s27, s27, exec_lo
	s_and_b32 s29, s29, exec_lo
	s_and_not1_b32 s25, s25, exec_lo
	s_and_b32 s28, s28, exec_lo
	s_or_b32 s27, s27, s29
	s_and_not1_b32 s26, s26, exec_lo
	s_or_b32 s25, s25, s28
                                        ; implicit-def: $sgpr28
	s_branch .LBB268_480
.LBB268_483:
	s_or_b32 exec_lo, exec_lo, s23
	s_xor_b32 s0, s24, -1
	s_branch .LBB268_485
.LBB268_484:
	s_mov_b32 s0, -1
.LBB268_485:
	s_and_not1_b32 s12, s12, exec_lo
	s_and_b32 s0, s0, exec_lo
	s_delay_alu instid0(SALU_CYCLE_1)
	s_or_b32 s12, s12, s0
.LBB268_486:
	s_or_b32 exec_lo, exec_lo, s22
	v_cndmask_b32_e64 v2, v10, v9, s12
	v_add_nc_u32_e32 v8, -1, v14
	s_mov_b32 s22, exec_lo
	s_delay_alu instid0(VALU_DEP_2) | instskip(NEXT) | instid1(VALU_DEP_2)
	v_add_nc_u32_e32 v6, 1, v2
	v_cndmask_b32_e64 v2, 0x3ff, v8, s12
	s_delay_alu instid0(VALU_DEP_2) | instskip(NEXT) | instid1(VALU_DEP_2)
	v_cndmask_b32_e64 v17, v6, v10, s12
	v_min_u32_e32 v2, v6, v2
	v_cndmask_b32_e64 v9, v9, v6, s12
	s_delay_alu instid0(VALU_DEP_2)
	v_lshlrev_b32_e32 v2, 3, v2
	ds_load_b64 v[2:3], v2
	s_waitcnt lgkmcnt(0)
	v_cndmask_b32_e64 v10, v3, v5, s12
	v_cndmask_b32_e64 v11, v2, v4, s12
	;; [unrolled: 1-line block ×4, first 2 shown]
	v_cmpx_gt_u32_e32 0x400, v17
	s_cbranch_execz .LBB268_497
; %bb.487:
	s_mov_b32 s0, 0
	s_mov_b32 s19, exec_lo
	v_cmpx_lt_u32_e64 v9, v14
	s_cbranch_execz .LBB268_496
; %bb.488:
	s_and_not1_b32 vcc_lo, exec_lo, s7
	s_cbranch_vccnz .LBB268_494
; %bb.489:
	v_mad_u64_u32 v[2:3], null, v11, s8, s[10:11]
	v_mul_lo_u32 v18, v11, s9
	v_mul_lo_u32 v19, v10, s8
	v_mad_u64_u32 v[6:7], null, v16, s8, s[10:11]
	v_mul_lo_u32 v20, v16, s9
	v_mul_lo_u32 v21, v15, s8
	s_mov_b32 s23, 0
	s_mov_b64 s[20:21], s[8:9]
                                        ; implicit-def: $sgpr24
                                        ; implicit-def: $sgpr25
                                        ; implicit-def: $sgpr26
                                        ; implicit-def: $sgpr27
                                        ; implicit-def: $sgpr28
	s_delay_alu instid0(VALU_DEP_4) | instskip(NEXT) | instid1(VALU_DEP_2)
	v_add3_u32 v3, v19, v3, v18
	v_add3_u32 v7, v21, v7, v20
	s_branch .LBB268_491
.LBB268_490:                            ;   in Loop: Header=BB268_491 Depth=1
	s_or_b32 exec_lo, exec_lo, s0
	s_delay_alu instid0(SALU_CYCLE_1) | instskip(NEXT) | instid1(SALU_CYCLE_1)
	s_and_b32 s0, exec_lo, s25
	s_or_b32 s23, s0, s23
	s_and_not1_b32 s0, s28, exec_lo
	s_and_b32 s28, s27, exec_lo
	s_and_not1_b32 s24, s24, exec_lo
	s_and_b32 s29, s26, exec_lo
	s_or_b32 s28, s0, s28
	s_or_b32 s24, s24, s29
	s_and_not1_b32 exec_lo, exec_lo, s23
	s_cbranch_execz .LBB268_493
.LBB268_491:                            ; =>This Inner Loop Header: Depth=1
	global_load_u8 v18, v[2:3], off
	global_load_u8 v19, v[6:7], off
	s_and_not1_b32 s26, s26, exec_lo
	s_and_not1_b32 s27, s27, exec_lo
	s_or_b32 s25, s25, exec_lo
	s_waitcnt vmcnt(1)
	v_bfe_i32 v20, v18, 0, 8
	s_waitcnt vmcnt(0)
	v_bfe_i32 v21, v19, 0, 8
	v_and_b32_e32 v18, 0xff, v18
	v_and_b32_e32 v19, 0xff, v19
	s_delay_alu instid0(VALU_DEP_3)
	v_cmp_le_i16_e32 vcc_lo, v20, v21
	v_cmp_lt_i16_e64 s0, v20, v21
	s_and_b32 s29, vcc_lo, s28
	s_delay_alu instid0(VALU_DEP_1) | instid1(SALU_CYCLE_1)
	s_or_b32 s29, s0, s29
	s_delay_alu instid0(SALU_CYCLE_1) | instskip(NEXT) | instid1(SALU_CYCLE_1)
	s_and_b32 s0, s29, exec_lo
	s_or_b32 s26, s26, s0
	s_mov_b32 s0, exec_lo
	v_cmpx_eq_u16_e64 v18, v19
	s_cbranch_execz .LBB268_490
; %bb.492:                              ;   in Loop: Header=BB268_491 Depth=1
	s_add_u32 s20, s20, -1
	s_addc_u32 s21, s21, -1
	v_add_co_u32 v2, vcc_lo, v2, 1
	s_cmp_eq_u64 s[20:21], 0
	v_add_co_ci_u32_e32 v3, vcc_lo, 0, v3, vcc_lo
	v_add_co_u32 v6, vcc_lo, v6, 1
	s_cselect_b32 s28, -1, 0
	v_add_co_ci_u32_e32 v7, vcc_lo, 0, v7, vcc_lo
	s_and_not1_b32 s27, s27, exec_lo
	s_and_b32 s29, s29, exec_lo
	s_and_not1_b32 s25, s25, exec_lo
	s_and_b32 s28, s28, exec_lo
	s_or_b32 s27, s27, s29
	s_and_not1_b32 s26, s26, exec_lo
	s_or_b32 s25, s25, s28
                                        ; implicit-def: $sgpr28
	s_branch .LBB268_490
.LBB268_493:
	s_or_b32 exec_lo, exec_lo, s23
	s_xor_b32 s0, s24, -1
	s_branch .LBB268_495
.LBB268_494:
	s_mov_b32 s0, -1
.LBB268_495:
	s_delay_alu instid0(SALU_CYCLE_1)
	s_and_b32 s0, s0, exec_lo
.LBB268_496:
	s_or_b32 exec_lo, exec_lo, s19
	s_delay_alu instid0(SALU_CYCLE_1)
	s_or_not1_b32 s19, s0, exec_lo
.LBB268_497:
	s_or_b32 exec_lo, exec_lo, s22
	v_cndmask_b32_e64 v2, v17, v9, s19
	v_cndmask_b32_e64 v3, 0x3ff, v8, s19
	s_mov_b32 s0, -1
	s_mov_b32 s22, exec_lo
	s_delay_alu instid0(VALU_DEP_2) | instskip(NEXT) | instid1(VALU_DEP_1)
	v_add_nc_u32_e32 v6, 1, v2
	v_min_u32_e32 v2, v6, v3
	v_cndmask_b32_e64 v20, v6, v17, s19
	v_cndmask_b32_e64 v17, v9, v6, s19
	s_delay_alu instid0(VALU_DEP_3)
	v_lshlrev_b32_e32 v2, 3, v2
	ds_load_b64 v[2:3], v2
	s_waitcnt lgkmcnt(0)
	v_cndmask_b32_e64 v18, v3, v10, s19
	v_cndmask_b32_e64 v19, v2, v11, s19
	;; [unrolled: 1-line block ×4, first 2 shown]
	v_cmpx_gt_u32_e32 0x400, v20
	s_cbranch_execz .LBB268_508
; %bb.498:
	s_mov_b32 s0, 0
	s_mov_b32 s23, exec_lo
	v_cmpx_lt_u32_e64 v17, v14
	s_cbranch_execz .LBB268_507
; %bb.499:
	s_and_not1_b32 vcc_lo, exec_lo, s7
	s_cbranch_vccnz .LBB268_505
; %bb.500:
	v_mad_u64_u32 v[2:3], null, v19, s8, s[10:11]
	v_mul_lo_u32 v9, v19, s9
	v_mul_lo_u32 v23, v18, s8
	v_mad_u64_u32 v[6:7], null, v22, s8, s[10:11]
	v_mul_lo_u32 v24, v22, s9
	v_mul_lo_u32 v25, v21, s8
	s_mov_b32 s24, 0
	s_mov_b64 s[20:21], s[8:9]
                                        ; implicit-def: $sgpr25
                                        ; implicit-def: $sgpr26
                                        ; implicit-def: $sgpr27
                                        ; implicit-def: $sgpr28
                                        ; implicit-def: $sgpr29
	s_delay_alu instid0(VALU_DEP_4) | instskip(NEXT) | instid1(VALU_DEP_2)
	v_add3_u32 v3, v23, v3, v9
	v_add3_u32 v7, v25, v7, v24
	s_branch .LBB268_502
.LBB268_501:                            ;   in Loop: Header=BB268_502 Depth=1
	s_or_b32 exec_lo, exec_lo, s0
	s_delay_alu instid0(SALU_CYCLE_1) | instskip(NEXT) | instid1(SALU_CYCLE_1)
	s_and_b32 s0, exec_lo, s26
	s_or_b32 s24, s0, s24
	s_and_not1_b32 s0, s29, exec_lo
	s_and_b32 s29, s28, exec_lo
	s_and_not1_b32 s25, s25, exec_lo
	s_and_b32 s30, s27, exec_lo
	s_or_b32 s29, s0, s29
	s_or_b32 s25, s25, s30
	s_and_not1_b32 exec_lo, exec_lo, s24
	s_cbranch_execz .LBB268_504
.LBB268_502:                            ; =>This Inner Loop Header: Depth=1
	global_load_u8 v9, v[2:3], off
	global_load_u8 v23, v[6:7], off
	s_and_not1_b32 s27, s27, exec_lo
	s_and_not1_b32 s28, s28, exec_lo
	s_or_b32 s26, s26, exec_lo
	s_waitcnt vmcnt(1)
	v_bfe_i32 v24, v9, 0, 8
	s_waitcnt vmcnt(0)
	v_bfe_i32 v25, v23, 0, 8
	v_and_b32_e32 v9, 0xff, v9
	v_and_b32_e32 v23, 0xff, v23
	s_delay_alu instid0(VALU_DEP_3)
	v_cmp_le_i16_e32 vcc_lo, v24, v25
	v_cmp_lt_i16_e64 s0, v24, v25
	s_and_b32 s30, vcc_lo, s29
	s_delay_alu instid0(VALU_DEP_1) | instid1(SALU_CYCLE_1)
	s_or_b32 s30, s0, s30
	s_delay_alu instid0(SALU_CYCLE_1) | instskip(NEXT) | instid1(SALU_CYCLE_1)
	s_and_b32 s0, s30, exec_lo
	s_or_b32 s27, s27, s0
	s_mov_b32 s0, exec_lo
	v_cmpx_eq_u16_e64 v9, v23
	s_cbranch_execz .LBB268_501
; %bb.503:                              ;   in Loop: Header=BB268_502 Depth=1
	s_add_u32 s20, s20, -1
	s_addc_u32 s21, s21, -1
	v_add_co_u32 v2, vcc_lo, v2, 1
	s_cmp_eq_u64 s[20:21], 0
	v_add_co_ci_u32_e32 v3, vcc_lo, 0, v3, vcc_lo
	v_add_co_u32 v6, vcc_lo, v6, 1
	s_cselect_b32 s29, -1, 0
	v_add_co_ci_u32_e32 v7, vcc_lo, 0, v7, vcc_lo
	s_and_not1_b32 s28, s28, exec_lo
	s_and_b32 s30, s30, exec_lo
	s_and_not1_b32 s26, s26, exec_lo
	s_and_b32 s29, s29, exec_lo
	s_or_b32 s28, s28, s30
	s_and_not1_b32 s27, s27, exec_lo
	s_or_b32 s26, s26, s29
                                        ; implicit-def: $sgpr29
	s_branch .LBB268_501
.LBB268_504:
	s_or_b32 exec_lo, exec_lo, s24
	s_xor_b32 s0, s25, -1
	s_branch .LBB268_506
.LBB268_505:
	s_mov_b32 s0, -1
.LBB268_506:
	s_delay_alu instid0(SALU_CYCLE_1)
	s_and_b32 s0, s0, exec_lo
.LBB268_507:
	s_or_b32 exec_lo, exec_lo, s23
	s_delay_alu instid0(SALU_CYCLE_1)
	s_or_not1_b32 s0, s0, exec_lo
.LBB268_508:
	s_or_b32 exec_lo, exec_lo, s22
	v_cndmask_b32_e64 v2, v20, v17, s0
	v_cndmask_b32_e64 v3, 0x3ff, v8, s0
	;; [unrolled: 1-line block ×5, first 2 shown]
	v_add_nc_u32_e32 v23, 1, v2
	v_cndmask_b32_e64 v4, v19, v22, s0
	s_mov_b32 s12, exec_lo
	s_delay_alu instid0(VALU_DEP_2) | instskip(SKIP_2) | instid1(VALU_DEP_3)
	v_min_u32_e32 v2, v23, v3
	v_cndmask_b32_e64 v3, v10, v15, s19
	v_cndmask_b32_e64 v10, v23, v20, s0
	v_lshlrev_b32_e32 v2, 3, v2
	ds_load_b64 v[8:9], v2
	v_cndmask_b32_e64 v2, v11, v16, s19
	s_waitcnt lgkmcnt(0)
	v_cndmask_b32_e64 v7, v21, v9, s0
	v_cndmask_b32_e64 v6, v22, v8, s0
	v_cmpx_gt_u32_e32 0x400, v10
	s_cbranch_execz .LBB268_518
; %bb.509:
	v_cndmask_b32_e64 v10, v17, v23, s0
	v_cndmask_b32_e64 v9, v9, v18, s0
	;; [unrolled: 1-line block ×3, first 2 shown]
	s_mov_b32 s19, exec_lo
	s_delay_alu instid0(VALU_DEP_3)
	v_cmpx_lt_u32_e64 v10, v14
	s_cbranch_execz .LBB268_517
; %bb.510:
	s_and_not1_b32 vcc_lo, exec_lo, s7
	s_cbranch_vccnz .LBB268_516
; %bb.511:
	v_mad_u64_u32 v[10:11], null, v8, s8, s[10:11]
	v_mul_lo_u32 v16, v8, s9
	v_mul_lo_u32 v17, v9, s8
	v_mad_u64_u32 v[14:15], null, v6, s8, s[10:11]
	v_mul_lo_u32 v18, v6, s9
	v_mul_lo_u32 v19, v7, s8
	s_mov_b32 s7, 0
	s_mov_b64 s[20:21], s[8:9]
                                        ; implicit-def: $sgpr22
                                        ; implicit-def: $sgpr23
                                        ; implicit-def: $sgpr24
                                        ; implicit-def: $sgpr25
                                        ; implicit-def: $sgpr26
	s_delay_alu instid0(VALU_DEP_4) | instskip(NEXT) | instid1(VALU_DEP_2)
	v_add3_u32 v11, v17, v11, v16
	v_add3_u32 v15, v19, v15, v18
	s_branch .LBB268_513
.LBB268_512:                            ;   in Loop: Header=BB268_513 Depth=1
	s_or_b32 exec_lo, exec_lo, s0
	s_delay_alu instid0(SALU_CYCLE_1) | instskip(NEXT) | instid1(SALU_CYCLE_1)
	s_and_b32 s0, exec_lo, s23
	s_or_b32 s7, s0, s7
	s_and_not1_b32 s0, s26, exec_lo
	s_and_b32 s26, s25, exec_lo
	s_and_not1_b32 s22, s22, exec_lo
	s_and_b32 s27, s24, exec_lo
	s_or_b32 s26, s0, s26
	s_or_b32 s22, s22, s27
	s_and_not1_b32 exec_lo, exec_lo, s7
	s_cbranch_execz .LBB268_515
.LBB268_513:                            ; =>This Inner Loop Header: Depth=1
	global_load_u8 v16, v[10:11], off
	global_load_u8 v17, v[14:15], off
	s_and_not1_b32 s24, s24, exec_lo
	s_and_not1_b32 s25, s25, exec_lo
	s_or_b32 s23, s23, exec_lo
	s_waitcnt vmcnt(1)
	v_bfe_i32 v18, v16, 0, 8
	s_waitcnt vmcnt(0)
	v_bfe_i32 v19, v17, 0, 8
	v_and_b32_e32 v16, 0xff, v16
	v_and_b32_e32 v17, 0xff, v17
	s_delay_alu instid0(VALU_DEP_3)
	v_cmp_le_i16_e32 vcc_lo, v18, v19
	v_cmp_lt_i16_e64 s0, v18, v19
	s_and_b32 s27, vcc_lo, s26
	s_delay_alu instid0(VALU_DEP_1) | instid1(SALU_CYCLE_1)
	s_or_b32 s27, s0, s27
	s_delay_alu instid0(SALU_CYCLE_1) | instskip(NEXT) | instid1(SALU_CYCLE_1)
	s_and_b32 s0, s27, exec_lo
	s_or_b32 s24, s24, s0
	s_mov_b32 s0, exec_lo
	v_cmpx_eq_u16_e64 v16, v17
	s_cbranch_execz .LBB268_512
; %bb.514:                              ;   in Loop: Header=BB268_513 Depth=1
	s_add_u32 s20, s20, -1
	s_addc_u32 s21, s21, -1
	v_add_co_u32 v10, vcc_lo, v10, 1
	s_cmp_eq_u64 s[20:21], 0
	v_add_co_ci_u32_e32 v11, vcc_lo, 0, v11, vcc_lo
	v_add_co_u32 v14, vcc_lo, v14, 1
	s_cselect_b32 s26, -1, 0
	v_add_co_ci_u32_e32 v15, vcc_lo, 0, v15, vcc_lo
	s_and_not1_b32 s25, s25, exec_lo
	s_and_b32 s27, s27, exec_lo
	s_and_not1_b32 s23, s23, exec_lo
	s_and_b32 s26, s26, exec_lo
	s_or_b32 s25, s25, s27
	s_and_not1_b32 s24, s24, exec_lo
	s_or_b32 s23, s23, s26
                                        ; implicit-def: $sgpr26
	s_branch .LBB268_512
.LBB268_515:
	s_or_b32 exec_lo, exec_lo, s7
	v_cndmask_b32_e64 v7, v7, v9, s22
	v_cndmask_b32_e64 v6, v6, v8, s22
.LBB268_516:
	s_delay_alu instid0(VALU_DEP_1)
	v_dual_mov_b32 v9, v7 :: v_dual_mov_b32 v8, v6
.LBB268_517:
	s_or_b32 exec_lo, exec_lo, s19
	s_delay_alu instid0(VALU_DEP_1)
	v_dual_mov_b32 v6, v8 :: v_dual_mov_b32 v7, v9
.LBB268_518:
	s_or_b32 exec_lo, exec_lo, s12
.LBB268_519:
	s_delay_alu instid0(SALU_CYCLE_1)
	s_or_b32 exec_lo, exec_lo, s1
	s_barrier
	buffer_gl0_inv
	s_barrier
	buffer_gl0_inv
	ds_store_2addr_b64 v39, v[0:1], v[2:3] offset1:1
	ds_store_2addr_b64 v39, v[4:5], v[6:7] offset0:2 offset1:3
	s_waitcnt lgkmcnt(0)
	s_barrier
	buffer_gl0_inv
	ds_load_b64 v[2:3], v38 offset:2048
	ds_load_b64 v[4:5], v35
	ds_load_b64 v[6:7], v36 offset:4096
	ds_load_b64 v[0:1], v37 offset:6144
	v_add_co_u32 v8, s0, s14, v26
	s_delay_alu instid0(VALU_DEP_1) | instskip(NEXT) | instid1(VALU_DEP_2)
	v_add_co_ci_u32_e64 v9, null, s15, 0, s0
	v_add_co_u32 v8, vcc_lo, 0x1000, v8
	s_delay_alu instid0(VALU_DEP_2)
	v_add_co_ci_u32_e32 v9, vcc_lo, 0, v9, vcc_lo
	s_mov_b32 s19, -1
	s_waitcnt lgkmcnt(3)
	global_store_b64 v26, v[2:3], s[14:15] offset:2048
	s_waitcnt lgkmcnt(2)
	global_store_b64 v26, v[4:5], s[14:15]
	s_waitcnt lgkmcnt(1)
	global_store_b64 v[8:9], v[6:7], off
	s_branch .LBB268_876
.LBB268_520:
	s_lshl_b64 s[0:1], s[2:3], 10
                                        ; implicit-def: $vgpr0_vgpr1_vgpr2_vgpr3_vgpr4_vgpr5_vgpr6_vgpr7
	s_delay_alu instid0(SALU_CYCLE_1) | instskip(NEXT) | instid1(SALU_CYCLE_1)
	s_sub_i32 s18, s18, s0
	v_cmp_gt_u32_e64 s0, s18, v12
	s_delay_alu instid0(VALU_DEP_1)
	s_and_saveexec_b32 s1, s0
	s_cbranch_execnz .LBB268_531
; %bb.521:
	s_or_b32 exec_lo, exec_lo, s1
	v_cmp_gt_u32_e64 s1, s18, v34
	s_delay_alu instid0(VALU_DEP_1)
	s_and_saveexec_b32 s2, s1
	s_cbranch_execnz .LBB268_532
.LBB268_522:
	s_or_b32 exec_lo, exec_lo, s2
	v_cmp_gt_u32_e64 s2, s18, v33
	s_delay_alu instid0(VALU_DEP_1)
	s_and_saveexec_b32 s3, s2
	s_cbranch_execnz .LBB268_533
.LBB268_523:
	s_or_b32 exec_lo, exec_lo, s3
	v_cmp_gt_u32_e64 s19, s18, v32
	s_delay_alu instid0(VALU_DEP_1)
	s_and_saveexec_b32 s3, s19
	s_cbranch_execz .LBB268_525
.LBB268_524:
	v_lshlrev_b32_e32 v6, 3, v32
	global_load_b64 v[6:7], v6, s[16:17]
.LBB268_525:
	s_or_b32 exec_lo, exec_lo, s3
	v_lshrrev_b32_e32 v8, 2, v34
	v_lshrrev_b32_e32 v9, 2, v33
	;; [unrolled: 1-line block ×3, first 2 shown]
	v_and_b32_e32 v11, 0xf8, v31
	v_add_lshl_u32 v17, v30, v27, 3
	v_and_b32_e32 v8, 0x1f8, v8
	v_and_b32_e32 v9, 0x1f8, v9
	;; [unrolled: 1-line block ×3, first 2 shown]
	v_cmp_gt_i64_e64 s16, s[8:9], 0
	s_delay_alu instid0(VALU_DEP_4)
	v_dual_mov_b32 v8, 0 :: v_dual_add_nc_u32 v13, v8, v26
	v_add_nc_u32_e32 v14, v11, v26
	v_add_nc_u32_e32 v15, v9, v26
	;; [unrolled: 1-line block ×3, first 2 shown]
	s_waitcnt vmcnt(0) lgkmcnt(0)
	ds_store_b64 v14, v[0:1]
	ds_store_b64 v13, v[2:3] offset:2048
	ds_store_b64 v15, v[4:5] offset:4096
	;; [unrolled: 1-line block ×3, first 2 shown]
	s_waitcnt lgkmcnt(0)
	s_waitcnt_vscnt null, 0x0
	s_barrier
	buffer_gl0_inv
	ds_load_2addr_b64 v[0:3], v17 offset1:1
	ds_load_2addr_b64 v[4:7], v17 offset0:2 offset1:3
	s_waitcnt lgkmcnt(0)
	s_barrier
	buffer_gl0_inv
	s_load_b32 s3, s[4:5], 0xc
	s_waitcnt lgkmcnt(0)
	s_lshr_b32 s3, s3, 16
	s_cmp_lt_u32 s13, s6
	v_mad_u32_u24 v9, v29, s3, v28
	s_cselect_b32 s6, 12, 18
	s_delay_alu instid0(SALU_CYCLE_1) | instskip(SKIP_4) | instid1(VALU_DEP_1)
	s_add_u32 s4, s4, s6
	s_addc_u32 s5, s5, 0
	global_load_u16 v8, v8, s[4:5]
	s_waitcnt vmcnt(0)
	v_mul_lo_u32 v8, v9, v8
	v_add_lshl_u32 v18, v8, v12, 2
	s_delay_alu instid0(VALU_DEP_1) | instskip(NEXT) | instid1(VALU_DEP_1)
	v_sub_nc_u32_e64 v19, s18, v18 clamp
	v_cmp_lt_u32_e64 s3, 1, v19
	s_delay_alu instid0(VALU_DEP_1)
	s_and_saveexec_b32 s12, s3
	s_cbranch_execz .LBB268_537
; %bb.526:
	s_and_not1_b32 vcc_lo, exec_lo, s16
	s_cbranch_vccnz .LBB268_537
; %bb.527:
	v_mad_u64_u32 v[8:9], null, v2, s8, s[10:11]
	v_mul_lo_u32 v20, v2, s9
	v_mul_lo_u32 v21, v3, s8
	v_mad_u64_u32 v[10:11], null, v0, s8, s[10:11]
	v_mul_lo_u32 v22, v0, s9
	v_mul_lo_u32 v23, v1, s8
	s_mov_b32 s13, 0
	s_mov_b64 s[6:7], s[8:9]
                                        ; implicit-def: $sgpr17
                                        ; implicit-def: $sgpr20
                                        ; implicit-def: $sgpr22
                                        ; implicit-def: $sgpr21
                                        ; implicit-def: $sgpr23
                                        ; implicit-def: $sgpr24
	s_delay_alu instid0(VALU_DEP_4) | instskip(NEXT) | instid1(VALU_DEP_2)
	v_add3_u32 v9, v21, v9, v20
	v_add3_u32 v11, v23, v11, v22
	s_branch .LBB268_529
.LBB268_528:                            ;   in Loop: Header=BB268_529 Depth=1
	s_or_b32 exec_lo, exec_lo, s25
	s_delay_alu instid0(SALU_CYCLE_1) | instskip(NEXT) | instid1(SALU_CYCLE_1)
	s_and_b32 s5, exec_lo, s22
	s_or_b32 s13, s5, s13
	s_and_not1_b32 s5, s24, exec_lo
	s_and_b32 s24, s23, exec_lo
	s_and_not1_b32 s20, s20, exec_lo
	s_or_b32 s24, s5, s24
	s_and_b32 s5, s21, exec_lo
	s_and_not1_b32 s17, s17, exec_lo
	s_and_b32 s4, s4, exec_lo
	s_or_b32 s20, s20, s5
	s_or_b32 s17, s17, s4
	s_and_not1_b32 exec_lo, exec_lo, s13
	s_cbranch_execz .LBB268_534
.LBB268_529:                            ; =>This Inner Loop Header: Depth=1
	global_load_u8 v20, v[8:9], off
	global_load_u8 v21, v[10:11], off
	s_and_not1_b32 s23, s23, exec_lo
	s_or_b32 s21, s21, exec_lo
	s_or_b32 s22, s22, exec_lo
	s_waitcnt vmcnt(1)
	v_bfe_i32 v22, v20, 0, 8
	s_waitcnt vmcnt(0)
	v_bfe_i32 v23, v21, 0, 8
	v_and_b32_e32 v20, 0xff, v20
	v_and_b32_e32 v21, 0xff, v21
	s_delay_alu instid0(VALU_DEP_3)
	v_cmp_le_i16_e32 vcc_lo, v22, v23
	v_cmp_lt_i16_e64 s4, v22, v23
	s_and_b32 s25, vcc_lo, s24
	s_delay_alu instid0(VALU_DEP_1) | instid1(SALU_CYCLE_1)
	s_or_b32 s4, s4, s25
	s_mov_b32 s25, exec_lo
	v_cmpx_eq_u16_e64 v20, v21
	s_cbranch_execz .LBB268_528
; %bb.530:                              ;   in Loop: Header=BB268_529 Depth=1
	s_add_u32 s6, s6, -1
	s_addc_u32 s7, s7, -1
	v_add_co_u32 v8, vcc_lo, v8, 1
	s_cmp_eq_u64 s[6:7], 0
	v_add_co_ci_u32_e32 v9, vcc_lo, 0, v9, vcc_lo
	v_add_co_u32 v10, vcc_lo, v10, 1
	s_cselect_b32 s5, -1, 0
	v_add_co_ci_u32_e32 v11, vcc_lo, 0, v11, vcc_lo
	s_and_not1_b32 s23, s23, exec_lo
	s_and_b32 s24, s4, exec_lo
	s_and_not1_b32 s22, s22, exec_lo
	s_and_b32 s5, s5, exec_lo
	s_or_b32 s23, s23, s24
	s_and_not1_b32 s21, s21, exec_lo
	s_or_b32 s22, s22, s5
                                        ; implicit-def: $sgpr24
	s_branch .LBB268_528
.LBB268_531:
	s_waitcnt lgkmcnt(0)
	global_load_b64 v[0:1], v26, s[16:17]
	s_or_b32 exec_lo, exec_lo, s1
	v_cmp_gt_u32_e64 s1, s18, v34
	s_delay_alu instid0(VALU_DEP_1)
	s_and_saveexec_b32 s2, s1
	s_cbranch_execz .LBB268_522
.LBB268_532:
	global_load_b64 v[2:3], v26, s[16:17] offset:2048
	s_or_b32 exec_lo, exec_lo, s2
	v_cmp_gt_u32_e64 s2, s18, v33
	s_delay_alu instid0(VALU_DEP_1)
	s_and_saveexec_b32 s3, s2
	s_cbranch_execz .LBB268_523
.LBB268_533:
	v_lshlrev_b32_e32 v4, 3, v33
	global_load_b64 v[4:5], v4, s[16:17]
	s_or_b32 exec_lo, exec_lo, s3
	v_cmp_gt_u32_e64 s19, s18, v32
	s_delay_alu instid0(VALU_DEP_1)
	s_and_saveexec_b32 s3, s19
	s_cbranch_execnz .LBB268_524
	s_branch .LBB268_525
.LBB268_534:
	s_or_b32 exec_lo, exec_lo, s13
	s_and_saveexec_b32 s4, s20
	s_delay_alu instid0(SALU_CYCLE_1)
	s_xor_b32 s4, exec_lo, s4
; %bb.535:
	v_cndmask_b32_e64 v28, v0, v2, s17
	v_cndmask_b32_e64 v31, v3, v1, s17
	;; [unrolled: 1-line block ×4, first 2 shown]
	v_dual_mov_b32 v32, v4 :: v_dual_mov_b32 v33, v5
	v_dual_mov_b32 v34, v6 :: v_dual_mov_b32 v35, v7
	s_delay_alu instid0(VALU_DEP_3) | instskip(SKIP_1) | instid1(VALU_DEP_4)
	v_dual_mov_b32 v0, v28 :: v_dual_mov_b32 v1, v29
	v_dual_mov_b32 v2, v30 :: v_dual_mov_b32 v3, v31
	;; [unrolled: 1-line block ×3, first 2 shown]
	s_delay_alu instid0(VALU_DEP_4)
	v_dual_mov_b32 v6, v34 :: v_dual_mov_b32 v7, v35
; %bb.536:
	s_or_b32 exec_lo, exec_lo, s4
.LBB268_537:
	s_delay_alu instid0(SALU_CYCLE_1) | instskip(SKIP_1) | instid1(VALU_DEP_1)
	s_or_b32 exec_lo, exec_lo, s12
	v_cmp_lt_u32_e64 s4, 3, v19
	s_and_saveexec_b32 s7, s4
	s_cbranch_execz .LBB268_546
; %bb.538:
	s_and_not1_b32 vcc_lo, exec_lo, s16
	s_cbranch_vccnz .LBB268_546
; %bb.539:
	v_mad_u64_u32 v[8:9], null, v6, s8, s[10:11]
	v_mul_lo_u32 v20, v6, s9
	v_mul_lo_u32 v21, v7, s8
	v_mad_u64_u32 v[10:11], null, v4, s8, s[10:11]
	v_mul_lo_u32 v22, v4, s9
	v_mul_lo_u32 v23, v5, s8
	s_mov_b32 s17, 0
	s_mov_b64 s[12:13], s[8:9]
                                        ; implicit-def: $sgpr20
                                        ; implicit-def: $sgpr21
                                        ; implicit-def: $sgpr23
                                        ; implicit-def: $sgpr22
                                        ; implicit-def: $sgpr24
                                        ; implicit-def: $sgpr25
	s_delay_alu instid0(VALU_DEP_4) | instskip(NEXT) | instid1(VALU_DEP_2)
	v_add3_u32 v9, v21, v9, v20
	v_add3_u32 v11, v23, v11, v22
	s_branch .LBB268_541
.LBB268_540:                            ;   in Loop: Header=BB268_541 Depth=1
	s_or_b32 exec_lo, exec_lo, s26
	s_delay_alu instid0(SALU_CYCLE_1) | instskip(NEXT) | instid1(SALU_CYCLE_1)
	s_and_b32 s6, exec_lo, s23
	s_or_b32 s17, s6, s17
	s_and_not1_b32 s6, s25, exec_lo
	s_and_b32 s25, s24, exec_lo
	s_and_not1_b32 s21, s21, exec_lo
	s_or_b32 s25, s6, s25
	s_and_b32 s6, s22, exec_lo
	s_and_not1_b32 s20, s20, exec_lo
	s_and_b32 s5, s5, exec_lo
	s_or_b32 s21, s21, s6
	s_or_b32 s20, s20, s5
	s_and_not1_b32 exec_lo, exec_lo, s17
	s_cbranch_execz .LBB268_543
.LBB268_541:                            ; =>This Inner Loop Header: Depth=1
	global_load_u8 v20, v[8:9], off
	global_load_u8 v21, v[10:11], off
	s_and_not1_b32 s24, s24, exec_lo
	s_or_b32 s22, s22, exec_lo
	s_or_b32 s23, s23, exec_lo
	s_waitcnt vmcnt(1)
	v_bfe_i32 v22, v20, 0, 8
	s_waitcnt vmcnt(0)
	v_bfe_i32 v23, v21, 0, 8
	v_and_b32_e32 v20, 0xff, v20
	v_and_b32_e32 v21, 0xff, v21
	s_delay_alu instid0(VALU_DEP_3)
	v_cmp_le_i16_e32 vcc_lo, v22, v23
	v_cmp_lt_i16_e64 s5, v22, v23
	s_and_b32 s26, vcc_lo, s25
	s_delay_alu instid0(VALU_DEP_1) | instid1(SALU_CYCLE_1)
	s_or_b32 s5, s5, s26
	s_mov_b32 s26, exec_lo
	v_cmpx_eq_u16_e64 v20, v21
	s_cbranch_execz .LBB268_540
; %bb.542:                              ;   in Loop: Header=BB268_541 Depth=1
	s_add_u32 s12, s12, -1
	s_addc_u32 s13, s13, -1
	v_add_co_u32 v8, vcc_lo, v8, 1
	s_cmp_eq_u64 s[12:13], 0
	v_add_co_ci_u32_e32 v9, vcc_lo, 0, v9, vcc_lo
	v_add_co_u32 v10, vcc_lo, v10, 1
	s_cselect_b32 s6, -1, 0
	v_add_co_ci_u32_e32 v11, vcc_lo, 0, v11, vcc_lo
	s_and_not1_b32 s24, s24, exec_lo
	s_and_b32 s25, s5, exec_lo
	s_and_not1_b32 s23, s23, exec_lo
	s_and_b32 s6, s6, exec_lo
	s_or_b32 s24, s24, s25
	s_and_not1_b32 s22, s22, exec_lo
	s_or_b32 s23, s23, s6
                                        ; implicit-def: $sgpr25
	s_branch .LBB268_540
.LBB268_543:
	s_or_b32 exec_lo, exec_lo, s17
	s_and_saveexec_b32 s5, s21
	s_delay_alu instid0(SALU_CYCLE_1)
	s_xor_b32 s5, exec_lo, s5
; %bb.544:
	v_cndmask_b32_e64 v8, v6, v4, s20
	v_cndmask_b32_e64 v9, v7, v5, s20
	;; [unrolled: 1-line block ×4, first 2 shown]
	s_delay_alu instid0(VALU_DEP_3)
	v_dual_mov_b32 v6, v8 :: v_dual_mov_b32 v7, v9
; %bb.545:
	s_or_b32 exec_lo, exec_lo, s5
.LBB268_546:
	s_delay_alu instid0(SALU_CYCLE_1) | instskip(SKIP_1) | instid1(VALU_DEP_1)
	s_or_b32 exec_lo, exec_lo, s7
	v_cmp_lt_u32_e64 s5, 2, v19
	s_and_saveexec_b32 s6, s5
	s_delay_alu instid0(SALU_CYCLE_1)
	s_xor_b32 s17, exec_lo, s6
	s_cbranch_execz .LBB268_555
; %bb.547:
	s_and_not1_b32 vcc_lo, exec_lo, s16
	s_cbranch_vccnz .LBB268_555
; %bb.548:
	v_mad_u64_u32 v[8:9], null, v4, s8, s[10:11]
	v_mul_lo_u32 v19, v4, s9
	v_mul_lo_u32 v20, v5, s8
	v_mad_u64_u32 v[10:11], null, v2, s8, s[10:11]
	v_mul_lo_u32 v21, v2, s9
	v_mul_lo_u32 v22, v3, s8
	s_mov_b32 s20, 0
	s_mov_b64 s[12:13], s[8:9]
                                        ; implicit-def: $sgpr21
                                        ; implicit-def: $sgpr22
                                        ; implicit-def: $sgpr24
                                        ; implicit-def: $sgpr23
                                        ; implicit-def: $sgpr25
                                        ; implicit-def: $sgpr26
	s_delay_alu instid0(VALU_DEP_4) | instskip(NEXT) | instid1(VALU_DEP_2)
	v_add3_u32 v9, v20, v9, v19
	v_add3_u32 v11, v22, v11, v21
	s_branch .LBB268_550
.LBB268_549:                            ;   in Loop: Header=BB268_550 Depth=1
	s_or_b32 exec_lo, exec_lo, s27
	s_delay_alu instid0(SALU_CYCLE_1) | instskip(NEXT) | instid1(SALU_CYCLE_1)
	s_and_b32 s7, exec_lo, s24
	s_or_b32 s20, s7, s20
	s_and_not1_b32 s7, s26, exec_lo
	s_and_b32 s26, s25, exec_lo
	s_and_not1_b32 s22, s22, exec_lo
	s_or_b32 s26, s7, s26
	s_and_b32 s7, s23, exec_lo
	s_and_not1_b32 s21, s21, exec_lo
	s_and_b32 s6, s6, exec_lo
	s_or_b32 s22, s22, s7
	s_or_b32 s21, s21, s6
	s_and_not1_b32 exec_lo, exec_lo, s20
	s_cbranch_execz .LBB268_552
.LBB268_550:                            ; =>This Inner Loop Header: Depth=1
	global_load_u8 v19, v[8:9], off
	global_load_u8 v20, v[10:11], off
	s_and_not1_b32 s25, s25, exec_lo
	s_or_b32 s23, s23, exec_lo
	s_or_b32 s24, s24, exec_lo
	s_waitcnt vmcnt(1)
	v_bfe_i32 v21, v19, 0, 8
	s_waitcnt vmcnt(0)
	v_bfe_i32 v22, v20, 0, 8
	v_and_b32_e32 v19, 0xff, v19
	v_and_b32_e32 v20, 0xff, v20
	s_delay_alu instid0(VALU_DEP_3)
	v_cmp_le_i16_e32 vcc_lo, v21, v22
	v_cmp_lt_i16_e64 s6, v21, v22
	s_and_b32 s27, vcc_lo, s26
	s_delay_alu instid0(VALU_DEP_1) | instid1(SALU_CYCLE_1)
	s_or_b32 s6, s6, s27
	s_mov_b32 s27, exec_lo
	v_cmpx_eq_u16_e64 v19, v20
	s_cbranch_execz .LBB268_549
; %bb.551:                              ;   in Loop: Header=BB268_550 Depth=1
	s_add_u32 s12, s12, -1
	s_addc_u32 s13, s13, -1
	v_add_co_u32 v8, vcc_lo, v8, 1
	s_cmp_eq_u64 s[12:13], 0
	v_add_co_ci_u32_e32 v9, vcc_lo, 0, v9, vcc_lo
	v_add_co_u32 v10, vcc_lo, v10, 1
	s_cselect_b32 s7, -1, 0
	v_add_co_ci_u32_e32 v11, vcc_lo, 0, v11, vcc_lo
	s_and_not1_b32 s25, s25, exec_lo
	s_and_b32 s26, s6, exec_lo
	s_and_not1_b32 s24, s24, exec_lo
	s_and_b32 s7, s7, exec_lo
	s_or_b32 s25, s25, s26
	s_and_not1_b32 s23, s23, exec_lo
	s_or_b32 s24, s24, s7
                                        ; implicit-def: $sgpr26
	s_branch .LBB268_549
.LBB268_552:
	s_or_b32 exec_lo, exec_lo, s20
	s_and_saveexec_b32 s6, s22
	s_delay_alu instid0(SALU_CYCLE_1)
	s_xor_b32 s6, exec_lo, s6
; %bb.553:
	v_cndmask_b32_e64 v8, v4, v2, s21
	v_cndmask_b32_e64 v9, v5, v3, s21
	;; [unrolled: 1-line block ×4, first 2 shown]
	s_delay_alu instid0(VALU_DEP_3)
	v_dual_mov_b32 v4, v8 :: v_dual_mov_b32 v5, v9
; %bb.554:
	s_or_b32 exec_lo, exec_lo, s6
.LBB268_555:
	s_delay_alu instid0(SALU_CYCLE_1)
	s_or_b32 exec_lo, exec_lo, s17
	s_and_saveexec_b32 s7, s3
	s_cbranch_execz .LBB268_564
; %bb.556:
	s_and_not1_b32 vcc_lo, exec_lo, s16
	s_cbranch_vccnz .LBB268_564
; %bb.557:
	v_mad_u64_u32 v[8:9], null, v2, s8, s[10:11]
	v_mul_lo_u32 v19, v2, s9
	v_mul_lo_u32 v20, v3, s8
	v_mad_u64_u32 v[10:11], null, v0, s8, s[10:11]
	v_mul_lo_u32 v21, v0, s9
	v_mul_lo_u32 v22, v1, s8
	s_mov_b32 s17, 0
	s_mov_b64 s[12:13], s[8:9]
                                        ; implicit-def: $sgpr20
                                        ; implicit-def: $sgpr21
                                        ; implicit-def: $sgpr23
                                        ; implicit-def: $sgpr22
                                        ; implicit-def: $sgpr24
                                        ; implicit-def: $sgpr25
	s_delay_alu instid0(VALU_DEP_4) | instskip(NEXT) | instid1(VALU_DEP_2)
	v_add3_u32 v9, v20, v9, v19
	v_add3_u32 v11, v22, v11, v21
	s_branch .LBB268_559
.LBB268_558:                            ;   in Loop: Header=BB268_559 Depth=1
	s_or_b32 exec_lo, exec_lo, s26
	s_delay_alu instid0(SALU_CYCLE_1) | instskip(NEXT) | instid1(SALU_CYCLE_1)
	s_and_b32 s6, exec_lo, s23
	s_or_b32 s17, s6, s17
	s_and_not1_b32 s6, s25, exec_lo
	s_and_b32 s25, s24, exec_lo
	s_and_not1_b32 s21, s21, exec_lo
	s_or_b32 s25, s6, s25
	s_and_b32 s6, s22, exec_lo
	s_and_not1_b32 s20, s20, exec_lo
	s_and_b32 s3, s3, exec_lo
	s_or_b32 s21, s21, s6
	s_or_b32 s20, s20, s3
	s_and_not1_b32 exec_lo, exec_lo, s17
	s_cbranch_execz .LBB268_561
.LBB268_559:                            ; =>This Inner Loop Header: Depth=1
	global_load_u8 v19, v[8:9], off
	global_load_u8 v20, v[10:11], off
	s_and_not1_b32 s24, s24, exec_lo
	s_or_b32 s22, s22, exec_lo
	s_or_b32 s23, s23, exec_lo
	s_waitcnt vmcnt(1)
	v_bfe_i32 v21, v19, 0, 8
	s_waitcnt vmcnt(0)
	v_bfe_i32 v22, v20, 0, 8
	v_and_b32_e32 v19, 0xff, v19
	v_and_b32_e32 v20, 0xff, v20
	s_delay_alu instid0(VALU_DEP_3)
	v_cmp_le_i16_e32 vcc_lo, v21, v22
	v_cmp_lt_i16_e64 s3, v21, v22
	s_and_b32 s26, vcc_lo, s25
	s_delay_alu instid0(VALU_DEP_1) | instid1(SALU_CYCLE_1)
	s_or_b32 s3, s3, s26
	s_mov_b32 s26, exec_lo
	v_cmpx_eq_u16_e64 v19, v20
	s_cbranch_execz .LBB268_558
; %bb.560:                              ;   in Loop: Header=BB268_559 Depth=1
	s_add_u32 s12, s12, -1
	s_addc_u32 s13, s13, -1
	v_add_co_u32 v8, vcc_lo, v8, 1
	s_cmp_eq_u64 s[12:13], 0
	v_add_co_ci_u32_e32 v9, vcc_lo, 0, v9, vcc_lo
	v_add_co_u32 v10, vcc_lo, v10, 1
	s_cselect_b32 s6, -1, 0
	v_add_co_ci_u32_e32 v11, vcc_lo, 0, v11, vcc_lo
	s_and_not1_b32 s24, s24, exec_lo
	s_and_b32 s25, s3, exec_lo
	s_and_not1_b32 s23, s23, exec_lo
	s_and_b32 s6, s6, exec_lo
	s_or_b32 s24, s24, s25
	s_and_not1_b32 s22, s22, exec_lo
	s_or_b32 s23, s23, s6
                                        ; implicit-def: $sgpr25
	s_branch .LBB268_558
.LBB268_561:
	s_or_b32 exec_lo, exec_lo, s17
	s_and_saveexec_b32 s3, s21
	s_delay_alu instid0(SALU_CYCLE_1)
	s_xor_b32 s3, exec_lo, s3
; %bb.562:
	v_cndmask_b32_e64 v28, v0, v2, s20
	v_cndmask_b32_e64 v31, v3, v1, s20
	v_cndmask_b32_e64 v30, v2, v0, s20
	v_cndmask_b32_e64 v29, v1, v3, s20
	v_dual_mov_b32 v32, v4 :: v_dual_mov_b32 v33, v5
	v_dual_mov_b32 v34, v6 :: v_dual_mov_b32 v35, v7
	s_delay_alu instid0(VALU_DEP_3) | instskip(SKIP_1) | instid1(VALU_DEP_4)
	v_dual_mov_b32 v0, v28 :: v_dual_mov_b32 v1, v29
	v_dual_mov_b32 v2, v30 :: v_dual_mov_b32 v3, v31
	;; [unrolled: 1-line block ×3, first 2 shown]
	s_delay_alu instid0(VALU_DEP_4)
	v_dual_mov_b32 v6, v34 :: v_dual_mov_b32 v7, v35
; %bb.563:
	s_or_b32 exec_lo, exec_lo, s3
.LBB268_564:
	s_delay_alu instid0(SALU_CYCLE_1)
	s_or_b32 exec_lo, exec_lo, s7
	s_and_saveexec_b32 s12, s4
	s_cbranch_execz .LBB268_573
; %bb.565:
	s_and_not1_b32 vcc_lo, exec_lo, s16
	s_cbranch_vccnz .LBB268_573
; %bb.566:
	v_mad_u64_u32 v[8:9], null, v6, s8, s[10:11]
	v_mul_lo_u32 v19, v6, s9
	v_mul_lo_u32 v20, v7, s8
	v_mad_u64_u32 v[10:11], null, v4, s8, s[10:11]
	v_mul_lo_u32 v21, v4, s9
	v_mul_lo_u32 v22, v5, s8
	s_mov_b32 s13, 0
	s_mov_b64 s[6:7], s[8:9]
                                        ; implicit-def: $sgpr17
                                        ; implicit-def: $sgpr20
                                        ; implicit-def: $sgpr22
                                        ; implicit-def: $sgpr21
                                        ; implicit-def: $sgpr23
                                        ; implicit-def: $sgpr24
	s_delay_alu instid0(VALU_DEP_4) | instskip(NEXT) | instid1(VALU_DEP_2)
	v_add3_u32 v9, v20, v9, v19
	v_add3_u32 v11, v22, v11, v21
	s_branch .LBB268_568
.LBB268_567:                            ;   in Loop: Header=BB268_568 Depth=1
	s_or_b32 exec_lo, exec_lo, s25
	s_delay_alu instid0(SALU_CYCLE_1) | instskip(NEXT) | instid1(SALU_CYCLE_1)
	s_and_b32 s4, exec_lo, s22
	s_or_b32 s13, s4, s13
	s_and_not1_b32 s4, s24, exec_lo
	s_and_b32 s24, s23, exec_lo
	s_and_not1_b32 s20, s20, exec_lo
	s_or_b32 s24, s4, s24
	s_and_b32 s4, s21, exec_lo
	s_and_not1_b32 s17, s17, exec_lo
	s_and_b32 s3, s3, exec_lo
	s_or_b32 s20, s20, s4
	s_or_b32 s17, s17, s3
	s_and_not1_b32 exec_lo, exec_lo, s13
	s_cbranch_execz .LBB268_570
.LBB268_568:                            ; =>This Inner Loop Header: Depth=1
	global_load_u8 v19, v[8:9], off
	global_load_u8 v20, v[10:11], off
	s_and_not1_b32 s23, s23, exec_lo
	s_or_b32 s21, s21, exec_lo
	s_or_b32 s22, s22, exec_lo
	s_waitcnt vmcnt(1)
	v_bfe_i32 v21, v19, 0, 8
	s_waitcnt vmcnt(0)
	v_bfe_i32 v22, v20, 0, 8
	v_and_b32_e32 v19, 0xff, v19
	v_and_b32_e32 v20, 0xff, v20
	s_delay_alu instid0(VALU_DEP_3)
	v_cmp_le_i16_e32 vcc_lo, v21, v22
	v_cmp_lt_i16_e64 s3, v21, v22
	s_and_b32 s25, vcc_lo, s24
	s_delay_alu instid0(VALU_DEP_1) | instid1(SALU_CYCLE_1)
	s_or_b32 s3, s3, s25
	s_mov_b32 s25, exec_lo
	v_cmpx_eq_u16_e64 v19, v20
	s_cbranch_execz .LBB268_567
; %bb.569:                              ;   in Loop: Header=BB268_568 Depth=1
	s_add_u32 s6, s6, -1
	s_addc_u32 s7, s7, -1
	v_add_co_u32 v8, vcc_lo, v8, 1
	s_cmp_eq_u64 s[6:7], 0
	v_add_co_ci_u32_e32 v9, vcc_lo, 0, v9, vcc_lo
	v_add_co_u32 v10, vcc_lo, v10, 1
	s_cselect_b32 s4, -1, 0
	v_add_co_ci_u32_e32 v11, vcc_lo, 0, v11, vcc_lo
	s_and_not1_b32 s23, s23, exec_lo
	s_and_b32 s24, s3, exec_lo
	s_and_not1_b32 s22, s22, exec_lo
	s_and_b32 s4, s4, exec_lo
	s_or_b32 s23, s23, s24
	s_and_not1_b32 s21, s21, exec_lo
	s_or_b32 s22, s22, s4
                                        ; implicit-def: $sgpr24
	s_branch .LBB268_567
.LBB268_570:
	s_or_b32 exec_lo, exec_lo, s13
	s_and_saveexec_b32 s3, s20
	s_delay_alu instid0(SALU_CYCLE_1)
	s_xor_b32 s3, exec_lo, s3
; %bb.571:
	v_cndmask_b32_e64 v8, v6, v4, s17
	v_cndmask_b32_e64 v9, v7, v5, s17
	;; [unrolled: 1-line block ×4, first 2 shown]
	s_delay_alu instid0(VALU_DEP_3)
	v_dual_mov_b32 v6, v8 :: v_dual_mov_b32 v7, v9
; %bb.572:
	s_or_b32 exec_lo, exec_lo, s3
.LBB268_573:
	s_delay_alu instid0(SALU_CYCLE_1)
	s_or_b32 exec_lo, exec_lo, s12
	s_and_saveexec_b32 s12, s5
	s_cbranch_execz .LBB268_582
; %bb.574:
	s_and_not1_b32 vcc_lo, exec_lo, s16
	s_cbranch_vccnz .LBB268_582
; %bb.575:
	v_mad_u64_u32 v[8:9], null, v4, s8, s[10:11]
	v_mul_lo_u32 v19, v4, s9
	v_mul_lo_u32 v20, v5, s8
	v_mad_u64_u32 v[10:11], null, v2, s8, s[10:11]
	v_mul_lo_u32 v21, v2, s9
	v_mul_lo_u32 v22, v3, s8
	s_mov_b32 s5, 0
	s_mov_b64 s[6:7], s[8:9]
                                        ; implicit-def: $sgpr13
                                        ; implicit-def: $sgpr17
                                        ; implicit-def: $sgpr21
                                        ; implicit-def: $sgpr20
                                        ; implicit-def: $sgpr22
                                        ; implicit-def: $sgpr23
	s_delay_alu instid0(VALU_DEP_4) | instskip(NEXT) | instid1(VALU_DEP_2)
	v_add3_u32 v9, v20, v9, v19
	v_add3_u32 v11, v22, v11, v21
	s_branch .LBB268_577
.LBB268_576:                            ;   in Loop: Header=BB268_577 Depth=1
	s_or_b32 exec_lo, exec_lo, s24
	s_delay_alu instid0(SALU_CYCLE_1) | instskip(NEXT) | instid1(SALU_CYCLE_1)
	s_and_b32 s4, exec_lo, s21
	s_or_b32 s5, s4, s5
	s_and_not1_b32 s4, s23, exec_lo
	s_and_b32 s23, s22, exec_lo
	s_and_not1_b32 s17, s17, exec_lo
	s_or_b32 s23, s4, s23
	s_and_b32 s4, s20, exec_lo
	s_and_not1_b32 s13, s13, exec_lo
	s_and_b32 s3, s3, exec_lo
	s_or_b32 s17, s17, s4
	s_or_b32 s13, s13, s3
	s_and_not1_b32 exec_lo, exec_lo, s5
	s_cbranch_execz .LBB268_579
.LBB268_577:                            ; =>This Inner Loop Header: Depth=1
	global_load_u8 v19, v[8:9], off
	global_load_u8 v20, v[10:11], off
	s_and_not1_b32 s22, s22, exec_lo
	s_or_b32 s20, s20, exec_lo
	s_or_b32 s21, s21, exec_lo
	s_waitcnt vmcnt(1)
	v_bfe_i32 v21, v19, 0, 8
	s_waitcnt vmcnt(0)
	v_bfe_i32 v22, v20, 0, 8
	v_and_b32_e32 v19, 0xff, v19
	v_and_b32_e32 v20, 0xff, v20
	s_delay_alu instid0(VALU_DEP_3)
	v_cmp_le_i16_e32 vcc_lo, v21, v22
	v_cmp_lt_i16_e64 s3, v21, v22
	s_and_b32 s24, vcc_lo, s23
	s_delay_alu instid0(VALU_DEP_1) | instid1(SALU_CYCLE_1)
	s_or_b32 s3, s3, s24
	s_mov_b32 s24, exec_lo
	v_cmpx_eq_u16_e64 v19, v20
	s_cbranch_execz .LBB268_576
; %bb.578:                              ;   in Loop: Header=BB268_577 Depth=1
	s_add_u32 s6, s6, -1
	s_addc_u32 s7, s7, -1
	v_add_co_u32 v8, vcc_lo, v8, 1
	s_cmp_eq_u64 s[6:7], 0
	v_add_co_ci_u32_e32 v9, vcc_lo, 0, v9, vcc_lo
	v_add_co_u32 v10, vcc_lo, v10, 1
	s_cselect_b32 s4, -1, 0
	v_add_co_ci_u32_e32 v11, vcc_lo, 0, v11, vcc_lo
	s_and_not1_b32 s22, s22, exec_lo
	s_and_b32 s23, s3, exec_lo
	s_and_not1_b32 s21, s21, exec_lo
	s_and_b32 s4, s4, exec_lo
	s_or_b32 s22, s22, s23
	s_and_not1_b32 s20, s20, exec_lo
	s_or_b32 s21, s21, s4
                                        ; implicit-def: $sgpr23
	s_branch .LBB268_576
.LBB268_579:
	s_or_b32 exec_lo, exec_lo, s5
	s_and_saveexec_b32 s3, s17
	s_delay_alu instid0(SALU_CYCLE_1)
	s_xor_b32 s3, exec_lo, s3
; %bb.580:
	v_cndmask_b32_e64 v8, v4, v2, s13
	v_cndmask_b32_e64 v9, v5, v3, s13
	;; [unrolled: 1-line block ×4, first 2 shown]
	s_delay_alu instid0(VALU_DEP_3)
	v_dual_mov_b32 v4, v8 :: v_dual_mov_b32 v5, v9
; %bb.581:
	s_or_b32 exec_lo, exec_lo, s3
.LBB268_582:
	s_delay_alu instid0(SALU_CYCLE_1) | instskip(SKIP_4) | instid1(VALU_DEP_2)
	s_or_b32 exec_lo, exec_lo, s12
	v_mbcnt_lo_u32_b32 v8, -1, 0
	v_and_b32_e32 v9, 0xffffff80, v18
	s_mov_b32 s6, 0
	s_mov_b32 s7, exec_lo
	v_lshlrev_b32_e32 v20, 2, v8
	s_delay_alu instid0(VALU_DEP_2) | instskip(SKIP_1) | instid1(VALU_DEP_3)
	v_sub_nc_u32_e64 v19, s18, v9 clamp
	v_lshlrev_b32_e32 v18, 3, v9
	v_or_b32_e32 v10, 4, v20
	v_and_b32_e32 v11, 4, v20
	v_and_b32_e32 v28, 0x78, v20
	s_delay_alu instid0(VALU_DEP_4)
	v_lshl_or_b32 v21, v8, 5, v18
	ds_store_b128 v21, v[0:3]
	ds_store_b128 v21, v[4:7] offset:16
	v_min_u32_e32 v22, v19, v10
	v_min_u32_e32 v29, v19, v11
	v_lshl_or_b32 v25, v28, 3, v18
	; wave barrier
	s_delay_alu instid0(VALU_DEP_3) | instskip(SKIP_1) | instid1(VALU_DEP_2)
	v_add_nc_u32_e32 v10, 4, v22
	v_sub_nc_u32_e32 v11, v22, v28
	v_min_u32_e32 v23, v19, v10
	s_delay_alu instid0(VALU_DEP_2) | instskip(NEXT) | instid1(VALU_DEP_2)
	v_min_u32_e32 v30, v29, v11
	v_sub_nc_u32_e32 v10, v23, v22
	s_delay_alu instid0(VALU_DEP_1) | instskip(NEXT) | instid1(VALU_DEP_1)
	v_sub_nc_u32_e64 v24, v29, v10 clamp
	v_cmpx_lt_u32_e64 v24, v30
	s_cbranch_execz .LBB268_593
; %bb.583:
	v_lshlrev_b32_e32 v8, 3, v22
	v_lshlrev_b32_e32 v9, 3, v29
	s_delay_alu instid0(VALU_DEP_1)
	v_add3_u32 v31, v18, v8, v9
	s_branch .LBB268_586
.LBB268_584:                            ;   in Loop: Header=BB268_586 Depth=1
	s_or_b32 exec_lo, exec_lo, s12
.LBB268_585:                            ;   in Loop: Header=BB268_586 Depth=1
	s_delay_alu instid0(VALU_DEP_1) | instskip(SKIP_1) | instid1(VALU_DEP_2)
	v_add_nc_u32_e32 v8, 1, v32
	v_cndmask_b32_e64 v30, v30, v32, s13
	v_cndmask_b32_e64 v24, v8, v24, s13
	s_delay_alu instid0(VALU_DEP_1) | instskip(SKIP_1) | instid1(SALU_CYCLE_1)
	v_cmp_ge_u32_e32 vcc_lo, v24, v30
	s_or_b32 s6, vcc_lo, s6
	s_and_not1_b32 exec_lo, exec_lo, s6
	s_cbranch_execz .LBB268_592
.LBB268_586:                            ; =>This Loop Header: Depth=1
                                        ;     Child Loop BB268_589 Depth 2
	v_add_nc_u32_e32 v8, v30, v24
	s_and_not1_b32 vcc_lo, exec_lo, s16
	s_delay_alu instid0(VALU_DEP_1)
	v_lshrrev_b32_e32 v32, 1, v8
	s_cbranch_vccnz .LBB268_591
; %bb.587:                              ;   in Loop: Header=BB268_586 Depth=1
	s_delay_alu instid0(VALU_DEP_1) | instskip(SKIP_3) | instid1(VALU_DEP_2)
	v_not_b32_e32 v8, v32
	v_lshl_add_u32 v9, v32, 3, v25
	s_mov_b32 s12, 0
	s_mov_b64 s[4:5], s[8:9]
                                        ; implicit-def: $sgpr13
                                        ; implicit-def: $sgpr17
                                        ; implicit-def: $sgpr20
                                        ; implicit-def: $sgpr21
                                        ; implicit-def: $sgpr22
	v_lshl_add_u32 v8, v8, 3, v31
	ds_load_b64 v[10:11], v8
	ds_load_b64 v[33:34], v9
	s_waitcnt lgkmcnt(1)
	v_mul_lo_u32 v35, v10, s9
	v_mul_lo_u32 v36, v11, s8
	v_mad_u64_u32 v[8:9], null, v10, s8, s[10:11]
	s_waitcnt lgkmcnt(0)
	v_mul_lo_u32 v37, v33, s9
	v_mul_lo_u32 v34, v34, s8
	v_mad_u64_u32 v[10:11], null, v33, s8, s[10:11]
	s_delay_alu instid0(VALU_DEP_4) | instskip(NEXT) | instid1(VALU_DEP_2)
	v_add3_u32 v9, v36, v9, v35
	v_add3_u32 v11, v34, v11, v37
	s_branch .LBB268_589
.LBB268_588:                            ;   in Loop: Header=BB268_589 Depth=2
	s_or_b32 exec_lo, exec_lo, s3
	s_delay_alu instid0(SALU_CYCLE_1) | instskip(NEXT) | instid1(SALU_CYCLE_1)
	s_and_b32 s3, exec_lo, s17
	s_or_b32 s12, s3, s12
	s_and_not1_b32 s3, s22, exec_lo
	s_and_b32 s22, s20, exec_lo
	s_and_not1_b32 s13, s13, exec_lo
	s_and_b32 s23, s21, exec_lo
	s_or_b32 s22, s3, s22
	s_or_b32 s13, s13, s23
	s_and_not1_b32 exec_lo, exec_lo, s12
	s_cbranch_execz .LBB268_584
.LBB268_589:                            ;   Parent Loop BB268_586 Depth=1
                                        ; =>  This Inner Loop Header: Depth=2
	global_load_u8 v33, v[8:9], off
	global_load_u8 v34, v[10:11], off
	s_and_not1_b32 s21, s21, exec_lo
	s_and_not1_b32 s20, s20, exec_lo
	s_or_b32 s17, s17, exec_lo
	s_waitcnt vmcnt(1)
	v_bfe_i32 v35, v33, 0, 8
	s_waitcnt vmcnt(0)
	v_bfe_i32 v36, v34, 0, 8
	v_and_b32_e32 v33, 0xff, v33
	v_and_b32_e32 v34, 0xff, v34
	s_delay_alu instid0(VALU_DEP_3)
	v_cmp_le_i16_e32 vcc_lo, v35, v36
	v_cmp_lt_i16_e64 s3, v35, v36
	s_and_b32 s23, vcc_lo, s22
	s_delay_alu instid0(VALU_DEP_1) | instid1(SALU_CYCLE_1)
	s_or_b32 s23, s3, s23
	s_delay_alu instid0(SALU_CYCLE_1) | instskip(NEXT) | instid1(SALU_CYCLE_1)
	s_and_b32 s3, s23, exec_lo
	s_or_b32 s21, s21, s3
	s_mov_b32 s3, exec_lo
	v_cmpx_eq_u16_e64 v33, v34
	s_cbranch_execz .LBB268_588
; %bb.590:                              ;   in Loop: Header=BB268_589 Depth=2
	s_add_u32 s4, s4, -1
	s_addc_u32 s5, s5, -1
	v_add_co_u32 v8, vcc_lo, v8, 1
	s_cmp_eq_u64 s[4:5], 0
	v_add_co_ci_u32_e32 v9, vcc_lo, 0, v9, vcc_lo
	s_cselect_b32 s22, -1, 0
	v_add_co_u32 v10, vcc_lo, v10, 1
	s_and_not1_b32 s20, s20, exec_lo
	s_and_b32 s23, s23, exec_lo
	s_and_not1_b32 s17, s17, exec_lo
	s_and_b32 s22, s22, exec_lo
	v_add_co_ci_u32_e32 v11, vcc_lo, 0, v11, vcc_lo
	s_and_not1_b32 s21, s21, exec_lo
	s_or_b32 s20, s20, s23
	s_or_b32 s17, s17, s22
                                        ; implicit-def: $sgpr22
	s_branch .LBB268_588
.LBB268_591:                            ;   in Loop: Header=BB268_586 Depth=1
	s_mov_b32 s13, 0
	s_branch .LBB268_585
.LBB268_592:
	s_or_b32 exec_lo, exec_lo, s6
.LBB268_593:
	s_delay_alu instid0(SALU_CYCLE_1) | instskip(SKIP_2) | instid1(VALU_DEP_2)
	s_or_b32 exec_lo, exec_lo, s7
	v_add_nc_u32_e32 v9, v22, v29
	v_add_nc_u32_e32 v8, v24, v28
	v_sub_nc_u32_e32 v9, v9, v24
	s_delay_alu instid0(VALU_DEP_2) | instskip(NEXT) | instid1(VALU_DEP_2)
	v_cmp_le_u32_e32 vcc_lo, v8, v22
	v_cmp_le_u32_e64 s3, v9, v23
	s_delay_alu instid0(VALU_DEP_1) | instskip(NEXT) | instid1(SALU_CYCLE_1)
	s_or_b32 s3, vcc_lo, s3
	s_and_saveexec_b32 s6, s3
	s_cbranch_execz .LBB268_640
; %bb.594:
	v_cmp_ge_u32_e32 vcc_lo, v8, v22
	s_mov_b32 s4, exec_lo
                                        ; implicit-def: $vgpr0_vgpr1
	v_cmpx_lt_u32_e64 v8, v22
	s_cbranch_execz .LBB268_596
; %bb.595:
	v_lshl_add_u32 v0, v24, 3, v25
	ds_load_b64 v[0:1], v0
.LBB268_596:
	s_or_b32 exec_lo, exec_lo, s4
	v_cmp_ge_u32_e64 s7, v9, v23
	s_mov_b32 s4, exec_lo
                                        ; implicit-def: $vgpr2_vgpr3
	v_cmpx_lt_u32_e64 v9, v23
	s_cbranch_execz .LBB268_598
; %bb.597:
	v_lshl_add_u32 v2, v9, 3, v18
	ds_load_b64 v[2:3], v2
.LBB268_598:
	s_or_b32 exec_lo, exec_lo, s4
	s_or_b32 s3, vcc_lo, s7
	s_mov_b32 s12, -1
	s_xor_b32 s3, s3, -1
	s_delay_alu instid0(SALU_CYCLE_1)
	s_and_saveexec_b32 s13, s3
	s_cbranch_execz .LBB268_607
; %bb.599:
	s_and_not1_b32 vcc_lo, exec_lo, s16
	s_cbranch_vccnz .LBB268_605
; %bb.600:
	s_waitcnt lgkmcnt(0)
	v_mad_u64_u32 v[4:5], null, v2, s8, s[10:11]
	v_mul_lo_u32 v10, v2, s9
	v_mul_lo_u32 v11, v3, s8
	v_mad_u64_u32 v[6:7], null, v0, s8, s[10:11]
	v_mul_lo_u32 v24, v0, s9
	v_mul_lo_u32 v25, v1, s8
	s_mov_b32 s17, 0
	s_mov_b64 s[4:5], s[8:9]
                                        ; implicit-def: $sgpr20
                                        ; implicit-def: $sgpr21
                                        ; implicit-def: $sgpr22
                                        ; implicit-def: $sgpr23
                                        ; implicit-def: $sgpr24
	s_delay_alu instid0(VALU_DEP_4) | instskip(NEXT) | instid1(VALU_DEP_2)
	v_add3_u32 v5, v11, v5, v10
	v_add3_u32 v7, v25, v7, v24
	s_branch .LBB268_602
.LBB268_601:                            ;   in Loop: Header=BB268_602 Depth=1
	s_or_b32 exec_lo, exec_lo, s3
	s_delay_alu instid0(SALU_CYCLE_1) | instskip(NEXT) | instid1(SALU_CYCLE_1)
	s_and_b32 s3, exec_lo, s21
	s_or_b32 s17, s3, s17
	s_and_not1_b32 s3, s24, exec_lo
	s_and_b32 s24, s23, exec_lo
	s_and_not1_b32 s20, s20, exec_lo
	s_and_b32 s25, s22, exec_lo
	s_or_b32 s24, s3, s24
	s_or_b32 s20, s20, s25
	s_and_not1_b32 exec_lo, exec_lo, s17
	s_cbranch_execz .LBB268_604
.LBB268_602:                            ; =>This Inner Loop Header: Depth=1
	global_load_u8 v10, v[4:5], off
	global_load_u8 v11, v[6:7], off
	s_and_not1_b32 s22, s22, exec_lo
	s_and_not1_b32 s23, s23, exec_lo
	s_or_b32 s21, s21, exec_lo
	s_waitcnt vmcnt(1)
	v_bfe_i32 v24, v10, 0, 8
	s_waitcnt vmcnt(0)
	v_bfe_i32 v25, v11, 0, 8
	v_and_b32_e32 v10, 0xff, v10
	v_and_b32_e32 v11, 0xff, v11
	s_delay_alu instid0(VALU_DEP_3)
	v_cmp_le_i16_e32 vcc_lo, v24, v25
	v_cmp_lt_i16_e64 s3, v24, v25
	s_and_b32 s25, vcc_lo, s24
	s_delay_alu instid0(VALU_DEP_1) | instid1(SALU_CYCLE_1)
	s_or_b32 s25, s3, s25
	s_delay_alu instid0(SALU_CYCLE_1) | instskip(NEXT) | instid1(SALU_CYCLE_1)
	s_and_b32 s3, s25, exec_lo
	s_or_b32 s22, s22, s3
	s_mov_b32 s3, exec_lo
	v_cmpx_eq_u16_e64 v10, v11
	s_cbranch_execz .LBB268_601
; %bb.603:                              ;   in Loop: Header=BB268_602 Depth=1
	s_add_u32 s4, s4, -1
	s_addc_u32 s5, s5, -1
	v_add_co_u32 v4, vcc_lo, v4, 1
	s_cmp_eq_u64 s[4:5], 0
	v_add_co_ci_u32_e32 v5, vcc_lo, 0, v5, vcc_lo
	s_cselect_b32 s24, -1, 0
	s_and_not1_b32 s23, s23, exec_lo
	s_and_b32 s25, s25, exec_lo
	v_add_co_u32 v6, vcc_lo, v6, 1
	s_and_not1_b32 s21, s21, exec_lo
	s_and_b32 s24, s24, exec_lo
	v_add_co_ci_u32_e32 v7, vcc_lo, 0, v7, vcc_lo
	s_or_b32 s23, s23, s25
	s_and_not1_b32 s22, s22, exec_lo
	s_or_b32 s21, s21, s24
                                        ; implicit-def: $sgpr24
	s_branch .LBB268_601
.LBB268_604:
	s_or_b32 exec_lo, exec_lo, s17
	s_xor_b32 s3, s20, -1
	s_branch .LBB268_606
.LBB268_605:
	s_mov_b32 s3, -1
.LBB268_606:
	s_and_not1_b32 s4, s7, exec_lo
	s_and_b32 s3, s3, exec_lo
	s_delay_alu instid0(SALU_CYCLE_1)
	s_or_b32 s7, s4, s3
.LBB268_607:
	s_or_b32 exec_lo, exec_lo, s13
	v_cndmask_b32_e64 v4, v9, v8, s7
	v_cndmask_b32_e64 v5, v23, v22, s7
	s_mov_b32 s13, exec_lo
	s_delay_alu instid0(VALU_DEP_2) | instskip(NEXT) | instid1(VALU_DEP_2)
	v_add_nc_u32_e32 v6, 1, v4
	v_add_nc_u32_e32 v4, -1, v5
	s_delay_alu instid0(VALU_DEP_2) | instskip(NEXT) | instid1(VALU_DEP_2)
	v_cndmask_b32_e64 v9, v6, v9, s7
	v_min_u32_e32 v4, v6, v4
	v_cndmask_b32_e64 v8, v8, v6, s7
	s_delay_alu instid0(VALU_DEP_2)
	v_lshl_add_u32 v4, v4, 3, v18
	ds_load_b64 v[4:5], v4
	s_waitcnt lgkmcnt(0)
	v_cndmask_b32_e64 v24, v5, v3, s7
	v_cndmask_b32_e64 v25, v4, v2, s7
	;; [unrolled: 1-line block ×4, first 2 shown]
	v_cmpx_lt_u32_e64 v9, v23
	s_cbranch_execz .LBB268_618
; %bb.608:
	s_mov_b32 s3, 0
	s_mov_b32 s12, exec_lo
	v_cmpx_lt_u32_e64 v8, v22
	s_cbranch_execz .LBB268_617
; %bb.609:
	s_and_not1_b32 vcc_lo, exec_lo, s16
	s_cbranch_vccnz .LBB268_615
; %bb.610:
	v_mad_u64_u32 v[4:5], null, v25, s8, s[10:11]
	v_mul_lo_u32 v10, v25, s9
	v_mul_lo_u32 v11, v24, s8
	v_mad_u64_u32 v[6:7], null, v29, s8, s[10:11]
	v_mul_lo_u32 v30, v29, s9
	v_mul_lo_u32 v31, v28, s8
	s_mov_b32 s17, 0
	s_mov_b64 s[4:5], s[8:9]
                                        ; implicit-def: $sgpr20
                                        ; implicit-def: $sgpr21
                                        ; implicit-def: $sgpr22
                                        ; implicit-def: $sgpr23
                                        ; implicit-def: $sgpr24
	s_delay_alu instid0(VALU_DEP_4) | instskip(NEXT) | instid1(VALU_DEP_2)
	v_add3_u32 v5, v11, v5, v10
	v_add3_u32 v7, v31, v7, v30
	s_branch .LBB268_612
.LBB268_611:                            ;   in Loop: Header=BB268_612 Depth=1
	s_or_b32 exec_lo, exec_lo, s3
	s_delay_alu instid0(SALU_CYCLE_1) | instskip(NEXT) | instid1(SALU_CYCLE_1)
	s_and_b32 s3, exec_lo, s21
	s_or_b32 s17, s3, s17
	s_and_not1_b32 s3, s24, exec_lo
	s_and_b32 s24, s23, exec_lo
	s_and_not1_b32 s20, s20, exec_lo
	s_and_b32 s25, s22, exec_lo
	s_or_b32 s24, s3, s24
	s_or_b32 s20, s20, s25
	s_and_not1_b32 exec_lo, exec_lo, s17
	s_cbranch_execz .LBB268_614
.LBB268_612:                            ; =>This Inner Loop Header: Depth=1
	global_load_u8 v10, v[4:5], off
	global_load_u8 v11, v[6:7], off
	s_and_not1_b32 s22, s22, exec_lo
	s_and_not1_b32 s23, s23, exec_lo
	s_or_b32 s21, s21, exec_lo
	s_waitcnt vmcnt(1)
	v_bfe_i32 v30, v10, 0, 8
	s_waitcnt vmcnt(0)
	v_bfe_i32 v31, v11, 0, 8
	v_and_b32_e32 v10, 0xff, v10
	v_and_b32_e32 v11, 0xff, v11
	s_delay_alu instid0(VALU_DEP_3)
	v_cmp_le_i16_e32 vcc_lo, v30, v31
	v_cmp_lt_i16_e64 s3, v30, v31
	s_and_b32 s25, vcc_lo, s24
	s_delay_alu instid0(VALU_DEP_1) | instid1(SALU_CYCLE_1)
	s_or_b32 s25, s3, s25
	s_delay_alu instid0(SALU_CYCLE_1) | instskip(NEXT) | instid1(SALU_CYCLE_1)
	s_and_b32 s3, s25, exec_lo
	s_or_b32 s22, s22, s3
	s_mov_b32 s3, exec_lo
	v_cmpx_eq_u16_e64 v10, v11
	s_cbranch_execz .LBB268_611
; %bb.613:                              ;   in Loop: Header=BB268_612 Depth=1
	s_add_u32 s4, s4, -1
	s_addc_u32 s5, s5, -1
	v_add_co_u32 v4, vcc_lo, v4, 1
	s_cmp_eq_u64 s[4:5], 0
	v_add_co_ci_u32_e32 v5, vcc_lo, 0, v5, vcc_lo
	v_add_co_u32 v6, vcc_lo, v6, 1
	s_cselect_b32 s24, -1, 0
	v_add_co_ci_u32_e32 v7, vcc_lo, 0, v7, vcc_lo
	s_and_not1_b32 s23, s23, exec_lo
	s_and_b32 s25, s25, exec_lo
	s_and_not1_b32 s21, s21, exec_lo
	s_and_b32 s24, s24, exec_lo
	s_or_b32 s23, s23, s25
	s_and_not1_b32 s22, s22, exec_lo
	s_or_b32 s21, s21, s24
                                        ; implicit-def: $sgpr24
	s_branch .LBB268_611
.LBB268_614:
	s_or_b32 exec_lo, exec_lo, s17
	s_xor_b32 s3, s20, -1
	s_branch .LBB268_616
.LBB268_615:
	s_mov_b32 s3, -1
.LBB268_616:
	s_delay_alu instid0(SALU_CYCLE_1)
	s_and_b32 s3, s3, exec_lo
.LBB268_617:
	s_or_b32 exec_lo, exec_lo, s12
	s_delay_alu instid0(SALU_CYCLE_1)
	s_or_not1_b32 s12, s3, exec_lo
.LBB268_618:
	s_or_b32 exec_lo, exec_lo, s13
	v_cndmask_b32_e64 v4, v9, v8, s12
	v_cndmask_b32_e64 v5, v23, v22, s12
	s_mov_b32 s13, -1
	s_mov_b32 s17, exec_lo
	s_delay_alu instid0(VALU_DEP_2) | instskip(NEXT) | instid1(VALU_DEP_2)
	v_add_nc_u32_e32 v6, 1, v4
	v_add_nc_u32_e32 v4, -1, v5
	s_delay_alu instid0(VALU_DEP_2) | instskip(NEXT) | instid1(VALU_DEP_2)
	v_cndmask_b32_e64 v9, v6, v9, s12
	v_min_u32_e32 v4, v6, v4
	v_cndmask_b32_e64 v8, v8, v6, s12
	s_delay_alu instid0(VALU_DEP_2)
	v_lshl_add_u32 v4, v4, 3, v18
	ds_load_b64 v[4:5], v4
	s_waitcnt lgkmcnt(0)
	v_cndmask_b32_e64 v30, v5, v24, s12
	v_cndmask_b32_e64 v31, v4, v25, s12
	;; [unrolled: 1-line block ×4, first 2 shown]
	v_cmpx_lt_u32_e64 v9, v23
	s_cbranch_execz .LBB268_629
; %bb.619:
	s_mov_b32 s3, 0
	s_mov_b32 s13, exec_lo
	v_cmpx_lt_u32_e64 v8, v22
	s_cbranch_execz .LBB268_628
; %bb.620:
	s_and_not1_b32 vcc_lo, exec_lo, s16
	s_cbranch_vccnz .LBB268_626
; %bb.621:
	v_mad_u64_u32 v[4:5], null, v31, s8, s[10:11]
	v_mul_lo_u32 v10, v31, s9
	v_mul_lo_u32 v11, v30, s8
	v_mad_u64_u32 v[6:7], null, v33, s8, s[10:11]
	v_mul_lo_u32 v34, v33, s9
	v_mul_lo_u32 v35, v32, s8
	s_mov_b32 s20, 0
	s_mov_b64 s[4:5], s[8:9]
                                        ; implicit-def: $sgpr21
                                        ; implicit-def: $sgpr22
                                        ; implicit-def: $sgpr23
                                        ; implicit-def: $sgpr24
                                        ; implicit-def: $sgpr25
	s_delay_alu instid0(VALU_DEP_4) | instskip(NEXT) | instid1(VALU_DEP_2)
	v_add3_u32 v5, v11, v5, v10
	v_add3_u32 v7, v35, v7, v34
	s_branch .LBB268_623
.LBB268_622:                            ;   in Loop: Header=BB268_623 Depth=1
	s_or_b32 exec_lo, exec_lo, s3
	s_delay_alu instid0(SALU_CYCLE_1) | instskip(NEXT) | instid1(SALU_CYCLE_1)
	s_and_b32 s3, exec_lo, s22
	s_or_b32 s20, s3, s20
	s_and_not1_b32 s3, s25, exec_lo
	s_and_b32 s25, s24, exec_lo
	s_and_not1_b32 s21, s21, exec_lo
	s_and_b32 s26, s23, exec_lo
	s_or_b32 s25, s3, s25
	s_or_b32 s21, s21, s26
	s_and_not1_b32 exec_lo, exec_lo, s20
	s_cbranch_execz .LBB268_625
.LBB268_623:                            ; =>This Inner Loop Header: Depth=1
	global_load_u8 v10, v[4:5], off
	global_load_u8 v11, v[6:7], off
	s_and_not1_b32 s23, s23, exec_lo
	s_and_not1_b32 s24, s24, exec_lo
	s_or_b32 s22, s22, exec_lo
	s_waitcnt vmcnt(1)
	v_bfe_i32 v34, v10, 0, 8
	s_waitcnt vmcnt(0)
	v_bfe_i32 v35, v11, 0, 8
	v_and_b32_e32 v10, 0xff, v10
	v_and_b32_e32 v11, 0xff, v11
	s_delay_alu instid0(VALU_DEP_3)
	v_cmp_le_i16_e32 vcc_lo, v34, v35
	v_cmp_lt_i16_e64 s3, v34, v35
	s_and_b32 s26, vcc_lo, s25
	s_delay_alu instid0(VALU_DEP_1) | instid1(SALU_CYCLE_1)
	s_or_b32 s26, s3, s26
	s_delay_alu instid0(SALU_CYCLE_1) | instskip(NEXT) | instid1(SALU_CYCLE_1)
	s_and_b32 s3, s26, exec_lo
	s_or_b32 s23, s23, s3
	s_mov_b32 s3, exec_lo
	v_cmpx_eq_u16_e64 v10, v11
	s_cbranch_execz .LBB268_622
; %bb.624:                              ;   in Loop: Header=BB268_623 Depth=1
	s_add_u32 s4, s4, -1
	s_addc_u32 s5, s5, -1
	v_add_co_u32 v4, vcc_lo, v4, 1
	s_cmp_eq_u64 s[4:5], 0
	v_add_co_ci_u32_e32 v5, vcc_lo, 0, v5, vcc_lo
	v_add_co_u32 v6, vcc_lo, v6, 1
	s_cselect_b32 s25, -1, 0
	v_add_co_ci_u32_e32 v7, vcc_lo, 0, v7, vcc_lo
	s_and_not1_b32 s24, s24, exec_lo
	s_and_b32 s26, s26, exec_lo
	s_and_not1_b32 s22, s22, exec_lo
	s_and_b32 s25, s25, exec_lo
	s_or_b32 s24, s24, s26
	s_and_not1_b32 s23, s23, exec_lo
	s_or_b32 s22, s22, s25
                                        ; implicit-def: $sgpr25
	s_branch .LBB268_622
.LBB268_625:
	s_or_b32 exec_lo, exec_lo, s20
	s_xor_b32 s3, s21, -1
	s_branch .LBB268_627
.LBB268_626:
	s_mov_b32 s3, -1
.LBB268_627:
	s_delay_alu instid0(SALU_CYCLE_1)
	s_and_b32 s3, s3, exec_lo
.LBB268_628:
	s_or_b32 exec_lo, exec_lo, s13
	s_delay_alu instid0(SALU_CYCLE_1)
	s_or_not1_b32 s13, s3, exec_lo
.LBB268_629:
	s_or_b32 exec_lo, exec_lo, s17
	v_cndmask_b32_e64 v4, v9, v8, s13
	v_cndmask_b32_e64 v5, v23, v22, s13
	s_mov_b32 s17, exec_lo
	s_delay_alu instid0(VALU_DEP_2) | instskip(NEXT) | instid1(VALU_DEP_2)
	v_add_nc_u32_e32 v10, 1, v4
	v_add_nc_u32_e32 v4, -1, v5
	s_delay_alu instid0(VALU_DEP_2) | instskip(NEXT) | instid1(VALU_DEP_2)
	v_cndmask_b32_e64 v9, v10, v9, s13
	v_min_u32_e32 v4, v10, v4
	s_delay_alu instid0(VALU_DEP_1)
	v_lshl_add_u32 v4, v4, 3, v18
	ds_load_b64 v[4:5], v4
	s_waitcnt lgkmcnt(0)
	v_cndmask_b32_e64 v7, v32, v5, s13
	v_cndmask_b32_e64 v6, v33, v4, s13
	v_cmpx_lt_u32_e64 v9, v23
	s_cbranch_execz .LBB268_639
; %bb.630:
	v_cndmask_b32_e64 v8, v8, v10, s13
	v_cndmask_b32_e64 v5, v5, v30, s13
	;; [unrolled: 1-line block ×3, first 2 shown]
	s_mov_b32 s20, exec_lo
	s_delay_alu instid0(VALU_DEP_3)
	v_cmpx_lt_u32_e64 v8, v22
	s_cbranch_execz .LBB268_638
; %bb.631:
	s_and_not1_b32 vcc_lo, exec_lo, s16
	s_cbranch_vccnz .LBB268_637
; %bb.632:
	v_mad_u64_u32 v[8:9], null, v4, s8, s[10:11]
	v_mul_lo_u32 v22, v4, s9
	v_mul_lo_u32 v23, v5, s8
	v_mad_u64_u32 v[10:11], null, v6, s8, s[10:11]
	v_mul_lo_u32 v34, v6, s9
	v_mul_lo_u32 v35, v7, s8
	s_mov_b32 s21, 0
	s_mov_b64 s[4:5], s[8:9]
                                        ; implicit-def: $sgpr22
                                        ; implicit-def: $sgpr23
                                        ; implicit-def: $sgpr24
                                        ; implicit-def: $sgpr25
                                        ; implicit-def: $sgpr26
	s_delay_alu instid0(VALU_DEP_4) | instskip(NEXT) | instid1(VALU_DEP_2)
	v_add3_u32 v9, v23, v9, v22
	v_add3_u32 v11, v35, v11, v34
	s_branch .LBB268_634
.LBB268_633:                            ;   in Loop: Header=BB268_634 Depth=1
	s_or_b32 exec_lo, exec_lo, s3
	s_delay_alu instid0(SALU_CYCLE_1) | instskip(NEXT) | instid1(SALU_CYCLE_1)
	s_and_b32 s3, exec_lo, s23
	s_or_b32 s21, s3, s21
	s_and_not1_b32 s3, s26, exec_lo
	s_and_b32 s26, s25, exec_lo
	s_and_not1_b32 s22, s22, exec_lo
	s_and_b32 s27, s24, exec_lo
	s_or_b32 s26, s3, s26
	s_or_b32 s22, s22, s27
	s_and_not1_b32 exec_lo, exec_lo, s21
	s_cbranch_execz .LBB268_636
.LBB268_634:                            ; =>This Inner Loop Header: Depth=1
	global_load_u8 v22, v[8:9], off
	global_load_u8 v23, v[10:11], off
	s_and_not1_b32 s24, s24, exec_lo
	s_and_not1_b32 s25, s25, exec_lo
	s_or_b32 s23, s23, exec_lo
	s_waitcnt vmcnt(1)
	v_bfe_i32 v34, v22, 0, 8
	s_waitcnt vmcnt(0)
	v_bfe_i32 v35, v23, 0, 8
	v_and_b32_e32 v22, 0xff, v22
	v_and_b32_e32 v23, 0xff, v23
	s_delay_alu instid0(VALU_DEP_3)
	v_cmp_le_i16_e32 vcc_lo, v34, v35
	v_cmp_lt_i16_e64 s3, v34, v35
	s_and_b32 s27, vcc_lo, s26
	s_delay_alu instid0(VALU_DEP_1) | instid1(SALU_CYCLE_1)
	s_or_b32 s27, s3, s27
	s_delay_alu instid0(SALU_CYCLE_1) | instskip(NEXT) | instid1(SALU_CYCLE_1)
	s_and_b32 s3, s27, exec_lo
	s_or_b32 s24, s24, s3
	s_mov_b32 s3, exec_lo
	v_cmpx_eq_u16_e64 v22, v23
	s_cbranch_execz .LBB268_633
; %bb.635:                              ;   in Loop: Header=BB268_634 Depth=1
	s_add_u32 s4, s4, -1
	s_addc_u32 s5, s5, -1
	v_add_co_u32 v8, vcc_lo, v8, 1
	s_cmp_eq_u64 s[4:5], 0
	v_add_co_ci_u32_e32 v9, vcc_lo, 0, v9, vcc_lo
	v_add_co_u32 v10, vcc_lo, v10, 1
	s_cselect_b32 s26, -1, 0
	v_add_co_ci_u32_e32 v11, vcc_lo, 0, v11, vcc_lo
	s_and_not1_b32 s25, s25, exec_lo
	s_and_b32 s27, s27, exec_lo
	s_and_not1_b32 s23, s23, exec_lo
	s_and_b32 s26, s26, exec_lo
	s_or_b32 s25, s25, s27
	s_and_not1_b32 s24, s24, exec_lo
	s_or_b32 s23, s23, s26
                                        ; implicit-def: $sgpr26
	s_branch .LBB268_633
.LBB268_636:
	s_or_b32 exec_lo, exec_lo, s21
	v_cndmask_b32_e64 v7, v7, v5, s22
	v_cndmask_b32_e64 v6, v6, v4, s22
.LBB268_637:
	s_delay_alu instid0(VALU_DEP_1)
	v_dual_mov_b32 v4, v6 :: v_dual_mov_b32 v5, v7
.LBB268_638:
	s_or_b32 exec_lo, exec_lo, s20
	s_delay_alu instid0(VALU_DEP_1)
	v_dual_mov_b32 v7, v5 :: v_dual_mov_b32 v6, v4
.LBB268_639:
	s_or_b32 exec_lo, exec_lo, s17
	v_cndmask_b32_e64 v1, v3, v1, s7
	v_cndmask_b32_e64 v0, v2, v0, s7
	;; [unrolled: 1-line block ×6, first 2 shown]
.LBB268_640:
	s_or_b32 exec_lo, exec_lo, s6
	v_and_b32_e32 v28, 0x70, v20
	v_and_b32_e32 v9, 12, v20
	s_mov_b32 s6, exec_lo
	; wave barrier
	s_delay_alu instid0(VALU_DEP_2) | instskip(NEXT) | instid1(VALU_DEP_2)
	v_or_b32_e32 v8, 8, v28
	v_min_u32_e32 v29, v19, v9
	v_lshl_add_u32 v25, v28, 3, v18
	ds_store_b128 v21, v[0:3]
	ds_store_b128 v21, v[4:7] offset:16
	v_min_u32_e32 v22, v19, v8
	; wave barrier
	s_delay_alu instid0(VALU_DEP_1) | instskip(SKIP_1) | instid1(VALU_DEP_2)
	v_add_nc_u32_e32 v8, 8, v22
	v_sub_nc_u32_e32 v9, v22, v28
	v_min_u32_e32 v23, v19, v8
	s_delay_alu instid0(VALU_DEP_2) | instskip(NEXT) | instid1(VALU_DEP_2)
	v_min_u32_e32 v30, v29, v9
	v_sub_nc_u32_e32 v8, v23, v22
	s_delay_alu instid0(VALU_DEP_1) | instskip(NEXT) | instid1(VALU_DEP_1)
	v_sub_nc_u32_e64 v24, v29, v8 clamp
	v_cmpx_lt_u32_e64 v24, v30
	s_cbranch_execz .LBB268_650
; %bb.641:
	v_lshlrev_b32_e32 v8, 3, v22
	v_lshlrev_b32_e32 v9, 3, v29
	s_mov_b32 s7, 0
	s_delay_alu instid0(VALU_DEP_1)
	v_add3_u32 v31, v18, v8, v9
	s_branch .LBB268_644
.LBB268_642:                            ;   in Loop: Header=BB268_644 Depth=1
	s_or_b32 exec_lo, exec_lo, s12
.LBB268_643:                            ;   in Loop: Header=BB268_644 Depth=1
	s_delay_alu instid0(VALU_DEP_1) | instskip(SKIP_1) | instid1(VALU_DEP_2)
	v_add_nc_u32_e32 v8, 1, v32
	v_cndmask_b32_e64 v30, v30, v32, s13
	v_cndmask_b32_e64 v24, v8, v24, s13
	s_delay_alu instid0(VALU_DEP_1) | instskip(SKIP_1) | instid1(SALU_CYCLE_1)
	v_cmp_ge_u32_e32 vcc_lo, v24, v30
	s_or_b32 s7, vcc_lo, s7
	s_and_not1_b32 exec_lo, exec_lo, s7
	s_cbranch_execz .LBB268_649
.LBB268_644:                            ; =>This Loop Header: Depth=1
                                        ;     Child Loop BB268_647 Depth 2
	v_add_nc_u32_e32 v8, v30, v24
	s_and_not1_b32 vcc_lo, exec_lo, s16
	s_mov_b32 s13, 0
	s_delay_alu instid0(VALU_DEP_1)
	v_lshrrev_b32_e32 v32, 1, v8
	s_cbranch_vccnz .LBB268_643
; %bb.645:                              ;   in Loop: Header=BB268_644 Depth=1
	s_delay_alu instid0(VALU_DEP_1) | instskip(SKIP_3) | instid1(VALU_DEP_2)
	v_not_b32_e32 v8, v32
	v_lshl_add_u32 v9, v32, 3, v25
	s_mov_b32 s12, 0
	s_mov_b64 s[4:5], s[8:9]
                                        ; implicit-def: $sgpr13
                                        ; implicit-def: $sgpr17
                                        ; implicit-def: $sgpr20
                                        ; implicit-def: $sgpr21
                                        ; implicit-def: $sgpr22
	v_lshl_add_u32 v8, v8, 3, v31
	ds_load_b64 v[10:11], v8
	ds_load_b64 v[33:34], v9
	s_waitcnt lgkmcnt(1)
	v_mul_lo_u32 v35, v10, s9
	v_mul_lo_u32 v36, v11, s8
	v_mad_u64_u32 v[8:9], null, v10, s8, s[10:11]
	s_waitcnt lgkmcnt(0)
	v_mul_lo_u32 v37, v33, s9
	v_mul_lo_u32 v34, v34, s8
	v_mad_u64_u32 v[10:11], null, v33, s8, s[10:11]
	s_delay_alu instid0(VALU_DEP_4) | instskip(NEXT) | instid1(VALU_DEP_2)
	v_add3_u32 v9, v36, v9, v35
	v_add3_u32 v11, v34, v11, v37
	s_branch .LBB268_647
.LBB268_646:                            ;   in Loop: Header=BB268_647 Depth=2
	s_or_b32 exec_lo, exec_lo, s23
	s_delay_alu instid0(SALU_CYCLE_1) | instskip(NEXT) | instid1(SALU_CYCLE_1)
	s_and_b32 s3, exec_lo, s17
	s_or_b32 s12, s3, s12
	s_and_not1_b32 s3, s22, exec_lo
	s_and_b32 s22, s20, exec_lo
	s_and_not1_b32 s13, s13, exec_lo
	s_and_b32 s23, s21, exec_lo
	s_or_b32 s22, s3, s22
	s_or_b32 s13, s13, s23
	s_and_not1_b32 exec_lo, exec_lo, s12
	s_cbranch_execz .LBB268_642
.LBB268_647:                            ;   Parent Loop BB268_644 Depth=1
                                        ; =>  This Inner Loop Header: Depth=2
	global_load_u8 v33, v[8:9], off
	global_load_u8 v34, v[10:11], off
	s_and_not1_b32 s21, s21, exec_lo
	s_and_not1_b32 s20, s20, exec_lo
	s_or_b32 s17, s17, exec_lo
	s_waitcnt vmcnt(1)
	v_bfe_i32 v35, v33, 0, 8
	s_waitcnt vmcnt(0)
	v_bfe_i32 v36, v34, 0, 8
	v_and_b32_e32 v33, 0xff, v33
	v_and_b32_e32 v34, 0xff, v34
	s_delay_alu instid0(VALU_DEP_3)
	v_cmp_le_i16_e32 vcc_lo, v35, v36
	v_cmp_lt_i16_e64 s3, v35, v36
	s_and_b32 s23, vcc_lo, s22
	s_delay_alu instid0(VALU_DEP_1) | instid1(SALU_CYCLE_1)
	s_or_b32 s3, s3, s23
	s_delay_alu instid0(SALU_CYCLE_1) | instskip(NEXT) | instid1(SALU_CYCLE_1)
	s_and_b32 s23, s3, exec_lo
	s_or_b32 s21, s21, s23
	s_mov_b32 s23, exec_lo
	v_cmpx_eq_u16_e64 v33, v34
	s_cbranch_execz .LBB268_646
; %bb.648:                              ;   in Loop: Header=BB268_647 Depth=2
	s_add_u32 s4, s4, -1
	s_addc_u32 s5, s5, -1
	v_add_co_u32 v8, vcc_lo, v8, 1
	v_add_co_ci_u32_e32 v9, vcc_lo, 0, v9, vcc_lo
	s_cmp_eq_u64 s[4:5], 0
	v_add_co_u32 v10, vcc_lo, v10, 1
	s_cselect_b32 s22, -1, 0
	v_add_co_ci_u32_e32 v11, vcc_lo, 0, v11, vcc_lo
	s_and_not1_b32 s20, s20, exec_lo
	s_and_b32 s3, s3, exec_lo
	s_and_not1_b32 s17, s17, exec_lo
	s_and_b32 s22, s22, exec_lo
	s_and_not1_b32 s21, s21, exec_lo
	s_or_b32 s20, s20, s3
	s_or_b32 s17, s17, s22
                                        ; implicit-def: $sgpr22
	s_branch .LBB268_646
.LBB268_649:
	s_or_b32 exec_lo, exec_lo, s7
.LBB268_650:
	s_delay_alu instid0(SALU_CYCLE_1) | instskip(SKIP_2) | instid1(VALU_DEP_2)
	s_or_b32 exec_lo, exec_lo, s6
	v_add_nc_u32_e32 v9, v22, v29
	v_add_nc_u32_e32 v8, v24, v28
	v_sub_nc_u32_e32 v9, v9, v24
	s_delay_alu instid0(VALU_DEP_2) | instskip(NEXT) | instid1(VALU_DEP_2)
	v_cmp_le_u32_e32 vcc_lo, v8, v22
	v_cmp_le_u32_e64 s3, v9, v23
	s_delay_alu instid0(VALU_DEP_1) | instskip(NEXT) | instid1(SALU_CYCLE_1)
	s_or_b32 s3, vcc_lo, s3
	s_and_saveexec_b32 s6, s3
	s_cbranch_execz .LBB268_697
; %bb.651:
	v_cmp_ge_u32_e32 vcc_lo, v8, v22
	s_mov_b32 s4, exec_lo
                                        ; implicit-def: $vgpr0_vgpr1
	v_cmpx_lt_u32_e64 v8, v22
	s_cbranch_execz .LBB268_653
; %bb.652:
	v_lshl_add_u32 v0, v24, 3, v25
	ds_load_b64 v[0:1], v0
.LBB268_653:
	s_or_b32 exec_lo, exec_lo, s4
	v_cmp_ge_u32_e64 s7, v9, v23
	s_mov_b32 s4, exec_lo
                                        ; implicit-def: $vgpr2_vgpr3
	v_cmpx_lt_u32_e64 v9, v23
	s_cbranch_execz .LBB268_655
; %bb.654:
	v_lshl_add_u32 v2, v9, 3, v18
	ds_load_b64 v[2:3], v2
.LBB268_655:
	s_or_b32 exec_lo, exec_lo, s4
	s_or_b32 s3, vcc_lo, s7
	s_mov_b32 s12, -1
	s_xor_b32 s3, s3, -1
	s_delay_alu instid0(SALU_CYCLE_1)
	s_and_saveexec_b32 s13, s3
	s_cbranch_execz .LBB268_664
; %bb.656:
	s_and_not1_b32 vcc_lo, exec_lo, s16
	s_cbranch_vccnz .LBB268_662
; %bb.657:
	s_waitcnt lgkmcnt(0)
	v_mad_u64_u32 v[4:5], null, v2, s8, s[10:11]
	v_mul_lo_u32 v10, v2, s9
	v_mul_lo_u32 v11, v3, s8
	v_mad_u64_u32 v[6:7], null, v0, s8, s[10:11]
	v_mul_lo_u32 v24, v0, s9
	v_mul_lo_u32 v25, v1, s8
	s_mov_b32 s17, 0
	s_mov_b64 s[4:5], s[8:9]
                                        ; implicit-def: $sgpr20
                                        ; implicit-def: $sgpr21
                                        ; implicit-def: $sgpr22
                                        ; implicit-def: $sgpr23
                                        ; implicit-def: $sgpr24
	s_delay_alu instid0(VALU_DEP_4) | instskip(NEXT) | instid1(VALU_DEP_2)
	v_add3_u32 v5, v11, v5, v10
	v_add3_u32 v7, v25, v7, v24
	s_branch .LBB268_659
.LBB268_658:                            ;   in Loop: Header=BB268_659 Depth=1
	s_or_b32 exec_lo, exec_lo, s3
	s_delay_alu instid0(SALU_CYCLE_1) | instskip(NEXT) | instid1(SALU_CYCLE_1)
	s_and_b32 s3, exec_lo, s21
	s_or_b32 s17, s3, s17
	s_and_not1_b32 s3, s24, exec_lo
	s_and_b32 s24, s23, exec_lo
	s_and_not1_b32 s20, s20, exec_lo
	s_and_b32 s25, s22, exec_lo
	s_or_b32 s24, s3, s24
	s_or_b32 s20, s20, s25
	s_and_not1_b32 exec_lo, exec_lo, s17
	s_cbranch_execz .LBB268_661
.LBB268_659:                            ; =>This Inner Loop Header: Depth=1
	global_load_u8 v10, v[4:5], off
	global_load_u8 v11, v[6:7], off
	s_and_not1_b32 s22, s22, exec_lo
	s_and_not1_b32 s23, s23, exec_lo
	s_or_b32 s21, s21, exec_lo
	s_waitcnt vmcnt(1)
	v_bfe_i32 v24, v10, 0, 8
	s_waitcnt vmcnt(0)
	v_bfe_i32 v25, v11, 0, 8
	v_and_b32_e32 v10, 0xff, v10
	v_and_b32_e32 v11, 0xff, v11
	s_delay_alu instid0(VALU_DEP_3)
	v_cmp_le_i16_e32 vcc_lo, v24, v25
	v_cmp_lt_i16_e64 s3, v24, v25
	s_and_b32 s25, vcc_lo, s24
	s_delay_alu instid0(VALU_DEP_1) | instid1(SALU_CYCLE_1)
	s_or_b32 s25, s3, s25
	s_delay_alu instid0(SALU_CYCLE_1) | instskip(NEXT) | instid1(SALU_CYCLE_1)
	s_and_b32 s3, s25, exec_lo
	s_or_b32 s22, s22, s3
	s_mov_b32 s3, exec_lo
	v_cmpx_eq_u16_e64 v10, v11
	s_cbranch_execz .LBB268_658
; %bb.660:                              ;   in Loop: Header=BB268_659 Depth=1
	s_add_u32 s4, s4, -1
	s_addc_u32 s5, s5, -1
	v_add_co_u32 v4, vcc_lo, v4, 1
	s_cmp_eq_u64 s[4:5], 0
	v_add_co_ci_u32_e32 v5, vcc_lo, 0, v5, vcc_lo
	v_add_co_u32 v6, vcc_lo, v6, 1
	s_cselect_b32 s24, -1, 0
	v_add_co_ci_u32_e32 v7, vcc_lo, 0, v7, vcc_lo
	s_and_not1_b32 s23, s23, exec_lo
	s_and_b32 s25, s25, exec_lo
	s_and_not1_b32 s21, s21, exec_lo
	s_and_b32 s24, s24, exec_lo
	s_or_b32 s23, s23, s25
	s_and_not1_b32 s22, s22, exec_lo
	s_or_b32 s21, s21, s24
                                        ; implicit-def: $sgpr24
	s_branch .LBB268_658
.LBB268_661:
	s_or_b32 exec_lo, exec_lo, s17
	s_xor_b32 s3, s20, -1
	s_branch .LBB268_663
.LBB268_662:
	s_mov_b32 s3, -1
.LBB268_663:
	s_and_not1_b32 s4, s7, exec_lo
	s_and_b32 s3, s3, exec_lo
	s_delay_alu instid0(SALU_CYCLE_1)
	s_or_b32 s7, s4, s3
.LBB268_664:
	s_or_b32 exec_lo, exec_lo, s13
	v_cndmask_b32_e64 v4, v9, v8, s7
	v_cndmask_b32_e64 v5, v23, v22, s7
	s_mov_b32 s13, exec_lo
	s_delay_alu instid0(VALU_DEP_2) | instskip(NEXT) | instid1(VALU_DEP_2)
	v_add_nc_u32_e32 v6, 1, v4
	v_add_nc_u32_e32 v4, -1, v5
	s_delay_alu instid0(VALU_DEP_2) | instskip(NEXT) | instid1(VALU_DEP_2)
	v_cndmask_b32_e64 v9, v6, v9, s7
	v_min_u32_e32 v4, v6, v4
	v_cndmask_b32_e64 v8, v8, v6, s7
	s_delay_alu instid0(VALU_DEP_2)
	v_lshl_add_u32 v4, v4, 3, v18
	ds_load_b64 v[4:5], v4
	s_waitcnt lgkmcnt(0)
	v_cndmask_b32_e64 v24, v5, v3, s7
	v_cndmask_b32_e64 v25, v4, v2, s7
	;; [unrolled: 1-line block ×4, first 2 shown]
	v_cmpx_lt_u32_e64 v9, v23
	s_cbranch_execz .LBB268_675
; %bb.665:
	s_mov_b32 s3, 0
	s_mov_b32 s12, exec_lo
	v_cmpx_lt_u32_e64 v8, v22
	s_cbranch_execz .LBB268_674
; %bb.666:
	s_and_not1_b32 vcc_lo, exec_lo, s16
	s_cbranch_vccnz .LBB268_672
; %bb.667:
	v_mad_u64_u32 v[4:5], null, v25, s8, s[10:11]
	v_mul_lo_u32 v10, v25, s9
	v_mul_lo_u32 v11, v24, s8
	v_mad_u64_u32 v[6:7], null, v29, s8, s[10:11]
	v_mul_lo_u32 v30, v29, s9
	v_mul_lo_u32 v31, v28, s8
	s_mov_b32 s17, 0
	s_mov_b64 s[4:5], s[8:9]
                                        ; implicit-def: $sgpr20
                                        ; implicit-def: $sgpr21
                                        ; implicit-def: $sgpr22
                                        ; implicit-def: $sgpr23
                                        ; implicit-def: $sgpr24
	s_delay_alu instid0(VALU_DEP_4) | instskip(NEXT) | instid1(VALU_DEP_2)
	v_add3_u32 v5, v11, v5, v10
	v_add3_u32 v7, v31, v7, v30
	s_branch .LBB268_669
.LBB268_668:                            ;   in Loop: Header=BB268_669 Depth=1
	s_or_b32 exec_lo, exec_lo, s3
	s_delay_alu instid0(SALU_CYCLE_1) | instskip(NEXT) | instid1(SALU_CYCLE_1)
	s_and_b32 s3, exec_lo, s21
	s_or_b32 s17, s3, s17
	s_and_not1_b32 s3, s24, exec_lo
	s_and_b32 s24, s23, exec_lo
	s_and_not1_b32 s20, s20, exec_lo
	s_and_b32 s25, s22, exec_lo
	s_or_b32 s24, s3, s24
	s_or_b32 s20, s20, s25
	s_and_not1_b32 exec_lo, exec_lo, s17
	s_cbranch_execz .LBB268_671
.LBB268_669:                            ; =>This Inner Loop Header: Depth=1
	global_load_u8 v10, v[4:5], off
	global_load_u8 v11, v[6:7], off
	s_and_not1_b32 s22, s22, exec_lo
	s_and_not1_b32 s23, s23, exec_lo
	s_or_b32 s21, s21, exec_lo
	s_waitcnt vmcnt(1)
	v_bfe_i32 v30, v10, 0, 8
	s_waitcnt vmcnt(0)
	v_bfe_i32 v31, v11, 0, 8
	v_and_b32_e32 v10, 0xff, v10
	v_and_b32_e32 v11, 0xff, v11
	s_delay_alu instid0(VALU_DEP_3)
	v_cmp_le_i16_e32 vcc_lo, v30, v31
	v_cmp_lt_i16_e64 s3, v30, v31
	s_and_b32 s25, vcc_lo, s24
	s_delay_alu instid0(VALU_DEP_1) | instid1(SALU_CYCLE_1)
	s_or_b32 s25, s3, s25
	s_delay_alu instid0(SALU_CYCLE_1) | instskip(NEXT) | instid1(SALU_CYCLE_1)
	s_and_b32 s3, s25, exec_lo
	s_or_b32 s22, s22, s3
	s_mov_b32 s3, exec_lo
	v_cmpx_eq_u16_e64 v10, v11
	s_cbranch_execz .LBB268_668
; %bb.670:                              ;   in Loop: Header=BB268_669 Depth=1
	s_add_u32 s4, s4, -1
	s_addc_u32 s5, s5, -1
	v_add_co_u32 v4, vcc_lo, v4, 1
	s_cmp_eq_u64 s[4:5], 0
	v_add_co_ci_u32_e32 v5, vcc_lo, 0, v5, vcc_lo
	v_add_co_u32 v6, vcc_lo, v6, 1
	s_cselect_b32 s24, -1, 0
	v_add_co_ci_u32_e32 v7, vcc_lo, 0, v7, vcc_lo
	s_and_not1_b32 s23, s23, exec_lo
	s_and_b32 s25, s25, exec_lo
	s_and_not1_b32 s21, s21, exec_lo
	s_and_b32 s24, s24, exec_lo
	s_or_b32 s23, s23, s25
	s_and_not1_b32 s22, s22, exec_lo
	s_or_b32 s21, s21, s24
                                        ; implicit-def: $sgpr24
	s_branch .LBB268_668
.LBB268_671:
	s_or_b32 exec_lo, exec_lo, s17
	s_xor_b32 s3, s20, -1
	s_branch .LBB268_673
.LBB268_672:
	s_mov_b32 s3, -1
.LBB268_673:
	s_delay_alu instid0(SALU_CYCLE_1)
	s_and_b32 s3, s3, exec_lo
.LBB268_674:
	s_or_b32 exec_lo, exec_lo, s12
	s_delay_alu instid0(SALU_CYCLE_1)
	s_or_not1_b32 s12, s3, exec_lo
.LBB268_675:
	s_or_b32 exec_lo, exec_lo, s13
	v_cndmask_b32_e64 v4, v9, v8, s12
	v_cndmask_b32_e64 v5, v23, v22, s12
	s_mov_b32 s13, -1
	s_mov_b32 s17, exec_lo
	s_delay_alu instid0(VALU_DEP_2) | instskip(NEXT) | instid1(VALU_DEP_2)
	v_add_nc_u32_e32 v6, 1, v4
	v_add_nc_u32_e32 v4, -1, v5
	s_delay_alu instid0(VALU_DEP_2) | instskip(NEXT) | instid1(VALU_DEP_2)
	v_cndmask_b32_e64 v9, v6, v9, s12
	v_min_u32_e32 v4, v6, v4
	v_cndmask_b32_e64 v8, v8, v6, s12
	s_delay_alu instid0(VALU_DEP_2)
	v_lshl_add_u32 v4, v4, 3, v18
	ds_load_b64 v[4:5], v4
	s_waitcnt lgkmcnt(0)
	v_cndmask_b32_e64 v30, v5, v24, s12
	v_cndmask_b32_e64 v31, v4, v25, s12
	;; [unrolled: 1-line block ×4, first 2 shown]
	v_cmpx_lt_u32_e64 v9, v23
	s_cbranch_execz .LBB268_686
; %bb.676:
	s_mov_b32 s3, 0
	s_mov_b32 s13, exec_lo
	v_cmpx_lt_u32_e64 v8, v22
	s_cbranch_execz .LBB268_685
; %bb.677:
	s_and_not1_b32 vcc_lo, exec_lo, s16
	s_cbranch_vccnz .LBB268_683
; %bb.678:
	v_mad_u64_u32 v[4:5], null, v31, s8, s[10:11]
	v_mul_lo_u32 v10, v31, s9
	v_mul_lo_u32 v11, v30, s8
	v_mad_u64_u32 v[6:7], null, v33, s8, s[10:11]
	v_mul_lo_u32 v34, v33, s9
	v_mul_lo_u32 v35, v32, s8
	s_mov_b32 s20, 0
	s_mov_b64 s[4:5], s[8:9]
                                        ; implicit-def: $sgpr21
                                        ; implicit-def: $sgpr22
                                        ; implicit-def: $sgpr23
                                        ; implicit-def: $sgpr24
                                        ; implicit-def: $sgpr25
	s_delay_alu instid0(VALU_DEP_4) | instskip(NEXT) | instid1(VALU_DEP_2)
	v_add3_u32 v5, v11, v5, v10
	v_add3_u32 v7, v35, v7, v34
	s_branch .LBB268_680
.LBB268_679:                            ;   in Loop: Header=BB268_680 Depth=1
	s_or_b32 exec_lo, exec_lo, s3
	s_delay_alu instid0(SALU_CYCLE_1) | instskip(NEXT) | instid1(SALU_CYCLE_1)
	s_and_b32 s3, exec_lo, s22
	s_or_b32 s20, s3, s20
	s_and_not1_b32 s3, s25, exec_lo
	s_and_b32 s25, s24, exec_lo
	s_and_not1_b32 s21, s21, exec_lo
	s_and_b32 s26, s23, exec_lo
	s_or_b32 s25, s3, s25
	s_or_b32 s21, s21, s26
	s_and_not1_b32 exec_lo, exec_lo, s20
	s_cbranch_execz .LBB268_682
.LBB268_680:                            ; =>This Inner Loop Header: Depth=1
	global_load_u8 v10, v[4:5], off
	global_load_u8 v11, v[6:7], off
	s_and_not1_b32 s23, s23, exec_lo
	s_and_not1_b32 s24, s24, exec_lo
	s_or_b32 s22, s22, exec_lo
	s_waitcnt vmcnt(1)
	v_bfe_i32 v34, v10, 0, 8
	s_waitcnt vmcnt(0)
	v_bfe_i32 v35, v11, 0, 8
	v_and_b32_e32 v10, 0xff, v10
	v_and_b32_e32 v11, 0xff, v11
	s_delay_alu instid0(VALU_DEP_3)
	v_cmp_le_i16_e32 vcc_lo, v34, v35
	v_cmp_lt_i16_e64 s3, v34, v35
	s_and_b32 s26, vcc_lo, s25
	s_delay_alu instid0(VALU_DEP_1) | instid1(SALU_CYCLE_1)
	s_or_b32 s26, s3, s26
	s_delay_alu instid0(SALU_CYCLE_1) | instskip(NEXT) | instid1(SALU_CYCLE_1)
	s_and_b32 s3, s26, exec_lo
	s_or_b32 s23, s23, s3
	s_mov_b32 s3, exec_lo
	v_cmpx_eq_u16_e64 v10, v11
	s_cbranch_execz .LBB268_679
; %bb.681:                              ;   in Loop: Header=BB268_680 Depth=1
	s_add_u32 s4, s4, -1
	s_addc_u32 s5, s5, -1
	v_add_co_u32 v4, vcc_lo, v4, 1
	s_cmp_eq_u64 s[4:5], 0
	v_add_co_ci_u32_e32 v5, vcc_lo, 0, v5, vcc_lo
	v_add_co_u32 v6, vcc_lo, v6, 1
	s_cselect_b32 s25, -1, 0
	v_add_co_ci_u32_e32 v7, vcc_lo, 0, v7, vcc_lo
	s_and_not1_b32 s24, s24, exec_lo
	s_and_b32 s26, s26, exec_lo
	s_and_not1_b32 s22, s22, exec_lo
	s_and_b32 s25, s25, exec_lo
	s_or_b32 s24, s24, s26
	s_and_not1_b32 s23, s23, exec_lo
	s_or_b32 s22, s22, s25
                                        ; implicit-def: $sgpr25
	s_branch .LBB268_679
.LBB268_682:
	s_or_b32 exec_lo, exec_lo, s20
	s_xor_b32 s3, s21, -1
	s_branch .LBB268_684
.LBB268_683:
	s_mov_b32 s3, -1
.LBB268_684:
	s_delay_alu instid0(SALU_CYCLE_1)
	s_and_b32 s3, s3, exec_lo
.LBB268_685:
	s_or_b32 exec_lo, exec_lo, s13
	s_delay_alu instid0(SALU_CYCLE_1)
	s_or_not1_b32 s13, s3, exec_lo
.LBB268_686:
	s_or_b32 exec_lo, exec_lo, s17
	v_cndmask_b32_e64 v4, v9, v8, s13
	v_cndmask_b32_e64 v5, v23, v22, s13
	s_mov_b32 s17, exec_lo
	s_delay_alu instid0(VALU_DEP_2) | instskip(NEXT) | instid1(VALU_DEP_2)
	v_add_nc_u32_e32 v10, 1, v4
	v_add_nc_u32_e32 v4, -1, v5
	s_delay_alu instid0(VALU_DEP_2) | instskip(NEXT) | instid1(VALU_DEP_2)
	v_cndmask_b32_e64 v9, v10, v9, s13
	v_min_u32_e32 v4, v10, v4
	s_delay_alu instid0(VALU_DEP_1)
	v_lshl_add_u32 v4, v4, 3, v18
	ds_load_b64 v[4:5], v4
	s_waitcnt lgkmcnt(0)
	v_cndmask_b32_e64 v7, v32, v5, s13
	v_cndmask_b32_e64 v6, v33, v4, s13
	v_cmpx_lt_u32_e64 v9, v23
	s_cbranch_execz .LBB268_696
; %bb.687:
	v_cndmask_b32_e64 v8, v8, v10, s13
	v_cndmask_b32_e64 v5, v5, v30, s13
	;; [unrolled: 1-line block ×3, first 2 shown]
	s_mov_b32 s20, exec_lo
	s_delay_alu instid0(VALU_DEP_3)
	v_cmpx_lt_u32_e64 v8, v22
	s_cbranch_execz .LBB268_695
; %bb.688:
	s_and_not1_b32 vcc_lo, exec_lo, s16
	s_cbranch_vccnz .LBB268_694
; %bb.689:
	v_mad_u64_u32 v[8:9], null, v4, s8, s[10:11]
	v_mul_lo_u32 v22, v4, s9
	v_mul_lo_u32 v23, v5, s8
	v_mad_u64_u32 v[10:11], null, v6, s8, s[10:11]
	v_mul_lo_u32 v34, v6, s9
	v_mul_lo_u32 v35, v7, s8
	s_mov_b32 s21, 0
	s_mov_b64 s[4:5], s[8:9]
                                        ; implicit-def: $sgpr22
                                        ; implicit-def: $sgpr23
                                        ; implicit-def: $sgpr24
                                        ; implicit-def: $sgpr25
                                        ; implicit-def: $sgpr26
	s_delay_alu instid0(VALU_DEP_4) | instskip(NEXT) | instid1(VALU_DEP_2)
	v_add3_u32 v9, v23, v9, v22
	v_add3_u32 v11, v35, v11, v34
	s_branch .LBB268_691
.LBB268_690:                            ;   in Loop: Header=BB268_691 Depth=1
	s_or_b32 exec_lo, exec_lo, s3
	s_delay_alu instid0(SALU_CYCLE_1) | instskip(NEXT) | instid1(SALU_CYCLE_1)
	s_and_b32 s3, exec_lo, s23
	s_or_b32 s21, s3, s21
	s_and_not1_b32 s3, s26, exec_lo
	s_and_b32 s26, s25, exec_lo
	s_and_not1_b32 s22, s22, exec_lo
	s_and_b32 s27, s24, exec_lo
	s_or_b32 s26, s3, s26
	s_or_b32 s22, s22, s27
	s_and_not1_b32 exec_lo, exec_lo, s21
	s_cbranch_execz .LBB268_693
.LBB268_691:                            ; =>This Inner Loop Header: Depth=1
	global_load_u8 v22, v[8:9], off
	global_load_u8 v23, v[10:11], off
	s_and_not1_b32 s24, s24, exec_lo
	s_and_not1_b32 s25, s25, exec_lo
	s_or_b32 s23, s23, exec_lo
	s_waitcnt vmcnt(1)
	v_bfe_i32 v34, v22, 0, 8
	s_waitcnt vmcnt(0)
	v_bfe_i32 v35, v23, 0, 8
	v_and_b32_e32 v22, 0xff, v22
	v_and_b32_e32 v23, 0xff, v23
	s_delay_alu instid0(VALU_DEP_3)
	v_cmp_le_i16_e32 vcc_lo, v34, v35
	v_cmp_lt_i16_e64 s3, v34, v35
	s_and_b32 s27, vcc_lo, s26
	s_delay_alu instid0(VALU_DEP_1) | instid1(SALU_CYCLE_1)
	s_or_b32 s27, s3, s27
	s_delay_alu instid0(SALU_CYCLE_1) | instskip(NEXT) | instid1(SALU_CYCLE_1)
	s_and_b32 s3, s27, exec_lo
	s_or_b32 s24, s24, s3
	s_mov_b32 s3, exec_lo
	v_cmpx_eq_u16_e64 v22, v23
	s_cbranch_execz .LBB268_690
; %bb.692:                              ;   in Loop: Header=BB268_691 Depth=1
	s_add_u32 s4, s4, -1
	s_addc_u32 s5, s5, -1
	v_add_co_u32 v8, vcc_lo, v8, 1
	s_cmp_eq_u64 s[4:5], 0
	v_add_co_ci_u32_e32 v9, vcc_lo, 0, v9, vcc_lo
	v_add_co_u32 v10, vcc_lo, v10, 1
	s_cselect_b32 s26, -1, 0
	v_add_co_ci_u32_e32 v11, vcc_lo, 0, v11, vcc_lo
	s_and_not1_b32 s25, s25, exec_lo
	s_and_b32 s27, s27, exec_lo
	s_and_not1_b32 s23, s23, exec_lo
	s_and_b32 s26, s26, exec_lo
	s_or_b32 s25, s25, s27
	s_and_not1_b32 s24, s24, exec_lo
	s_or_b32 s23, s23, s26
                                        ; implicit-def: $sgpr26
	s_branch .LBB268_690
.LBB268_693:
	s_or_b32 exec_lo, exec_lo, s21
	v_cndmask_b32_e64 v7, v7, v5, s22
	v_cndmask_b32_e64 v6, v6, v4, s22
.LBB268_694:
	s_delay_alu instid0(VALU_DEP_1)
	v_dual_mov_b32 v4, v6 :: v_dual_mov_b32 v5, v7
.LBB268_695:
	s_or_b32 exec_lo, exec_lo, s20
	s_delay_alu instid0(VALU_DEP_1)
	v_dual_mov_b32 v7, v5 :: v_dual_mov_b32 v6, v4
.LBB268_696:
	s_or_b32 exec_lo, exec_lo, s17
	v_cndmask_b32_e64 v1, v3, v1, s7
	v_cndmask_b32_e64 v0, v2, v0, s7
	;; [unrolled: 1-line block ×6, first 2 shown]
.LBB268_697:
	s_or_b32 exec_lo, exec_lo, s6
	v_and_b32_e32 v28, 0x60, v20
	v_and_b32_e32 v9, 28, v20
	s_mov_b32 s6, exec_lo
	; wave barrier
	s_delay_alu instid0(VALU_DEP_2) | instskip(NEXT) | instid1(VALU_DEP_2)
	v_or_b32_e32 v8, 16, v28
	v_min_u32_e32 v29, v19, v9
	v_lshl_add_u32 v25, v28, 3, v18
	ds_store_b128 v21, v[0:3]
	ds_store_b128 v21, v[4:7] offset:16
	v_min_u32_e32 v22, v19, v8
	; wave barrier
	s_delay_alu instid0(VALU_DEP_1) | instskip(SKIP_1) | instid1(VALU_DEP_2)
	v_add_nc_u32_e32 v8, 16, v22
	v_sub_nc_u32_e32 v9, v22, v28
	v_min_u32_e32 v23, v19, v8
	s_delay_alu instid0(VALU_DEP_2) | instskip(NEXT) | instid1(VALU_DEP_2)
	v_min_u32_e32 v30, v29, v9
	v_sub_nc_u32_e32 v8, v23, v22
	s_delay_alu instid0(VALU_DEP_1) | instskip(NEXT) | instid1(VALU_DEP_1)
	v_sub_nc_u32_e64 v24, v29, v8 clamp
	v_cmpx_lt_u32_e64 v24, v30
	s_cbranch_execz .LBB268_707
; %bb.698:
	v_lshlrev_b32_e32 v8, 3, v22
	v_lshlrev_b32_e32 v9, 3, v29
	s_mov_b32 s7, 0
	s_delay_alu instid0(VALU_DEP_1)
	v_add3_u32 v31, v18, v8, v9
	s_branch .LBB268_701
.LBB268_699:                            ;   in Loop: Header=BB268_701 Depth=1
	s_or_b32 exec_lo, exec_lo, s12
.LBB268_700:                            ;   in Loop: Header=BB268_701 Depth=1
	s_delay_alu instid0(VALU_DEP_1) | instskip(SKIP_1) | instid1(VALU_DEP_2)
	v_add_nc_u32_e32 v8, 1, v32
	v_cndmask_b32_e64 v30, v30, v32, s13
	v_cndmask_b32_e64 v24, v8, v24, s13
	s_delay_alu instid0(VALU_DEP_1) | instskip(SKIP_1) | instid1(SALU_CYCLE_1)
	v_cmp_ge_u32_e32 vcc_lo, v24, v30
	s_or_b32 s7, vcc_lo, s7
	s_and_not1_b32 exec_lo, exec_lo, s7
	s_cbranch_execz .LBB268_706
.LBB268_701:                            ; =>This Loop Header: Depth=1
                                        ;     Child Loop BB268_704 Depth 2
	v_add_nc_u32_e32 v8, v30, v24
	s_and_not1_b32 vcc_lo, exec_lo, s16
	s_mov_b32 s13, 0
	s_delay_alu instid0(VALU_DEP_1)
	v_lshrrev_b32_e32 v32, 1, v8
	s_cbranch_vccnz .LBB268_700
; %bb.702:                              ;   in Loop: Header=BB268_701 Depth=1
	s_delay_alu instid0(VALU_DEP_1) | instskip(SKIP_3) | instid1(VALU_DEP_2)
	v_not_b32_e32 v8, v32
	v_lshl_add_u32 v9, v32, 3, v25
	s_mov_b32 s12, 0
	s_mov_b64 s[4:5], s[8:9]
                                        ; implicit-def: $sgpr13
                                        ; implicit-def: $sgpr17
                                        ; implicit-def: $sgpr20
                                        ; implicit-def: $sgpr21
                                        ; implicit-def: $sgpr22
	v_lshl_add_u32 v8, v8, 3, v31
	ds_load_b64 v[10:11], v8
	ds_load_b64 v[33:34], v9
	s_waitcnt lgkmcnt(1)
	v_mul_lo_u32 v35, v10, s9
	v_mul_lo_u32 v36, v11, s8
	v_mad_u64_u32 v[8:9], null, v10, s8, s[10:11]
	s_waitcnt lgkmcnt(0)
	v_mul_lo_u32 v37, v33, s9
	v_mul_lo_u32 v34, v34, s8
	v_mad_u64_u32 v[10:11], null, v33, s8, s[10:11]
	s_delay_alu instid0(VALU_DEP_4) | instskip(NEXT) | instid1(VALU_DEP_2)
	v_add3_u32 v9, v36, v9, v35
	v_add3_u32 v11, v34, v11, v37
	s_branch .LBB268_704
.LBB268_703:                            ;   in Loop: Header=BB268_704 Depth=2
	s_or_b32 exec_lo, exec_lo, s23
	s_delay_alu instid0(SALU_CYCLE_1) | instskip(NEXT) | instid1(SALU_CYCLE_1)
	s_and_b32 s3, exec_lo, s17
	s_or_b32 s12, s3, s12
	s_and_not1_b32 s3, s22, exec_lo
	s_and_b32 s22, s20, exec_lo
	s_and_not1_b32 s13, s13, exec_lo
	s_and_b32 s23, s21, exec_lo
	s_or_b32 s22, s3, s22
	s_or_b32 s13, s13, s23
	s_and_not1_b32 exec_lo, exec_lo, s12
	s_cbranch_execz .LBB268_699
.LBB268_704:                            ;   Parent Loop BB268_701 Depth=1
                                        ; =>  This Inner Loop Header: Depth=2
	global_load_u8 v33, v[8:9], off
	global_load_u8 v34, v[10:11], off
	s_and_not1_b32 s21, s21, exec_lo
	s_and_not1_b32 s20, s20, exec_lo
	s_or_b32 s17, s17, exec_lo
	s_waitcnt vmcnt(1)
	v_bfe_i32 v35, v33, 0, 8
	s_waitcnt vmcnt(0)
	v_bfe_i32 v36, v34, 0, 8
	v_and_b32_e32 v33, 0xff, v33
	v_and_b32_e32 v34, 0xff, v34
	s_delay_alu instid0(VALU_DEP_3)
	v_cmp_le_i16_e32 vcc_lo, v35, v36
	v_cmp_lt_i16_e64 s3, v35, v36
	s_and_b32 s23, vcc_lo, s22
	s_delay_alu instid0(VALU_DEP_1) | instid1(SALU_CYCLE_1)
	s_or_b32 s3, s3, s23
	s_delay_alu instid0(SALU_CYCLE_1) | instskip(NEXT) | instid1(SALU_CYCLE_1)
	s_and_b32 s23, s3, exec_lo
	s_or_b32 s21, s21, s23
	s_mov_b32 s23, exec_lo
	v_cmpx_eq_u16_e64 v33, v34
	s_cbranch_execz .LBB268_703
; %bb.705:                              ;   in Loop: Header=BB268_704 Depth=2
	s_add_u32 s4, s4, -1
	s_addc_u32 s5, s5, -1
	v_add_co_u32 v8, vcc_lo, v8, 1
	v_add_co_ci_u32_e32 v9, vcc_lo, 0, v9, vcc_lo
	s_cmp_eq_u64 s[4:5], 0
	v_add_co_u32 v10, vcc_lo, v10, 1
	s_cselect_b32 s22, -1, 0
	v_add_co_ci_u32_e32 v11, vcc_lo, 0, v11, vcc_lo
	s_and_not1_b32 s20, s20, exec_lo
	s_and_b32 s3, s3, exec_lo
	s_and_not1_b32 s17, s17, exec_lo
	s_and_b32 s22, s22, exec_lo
	s_and_not1_b32 s21, s21, exec_lo
	s_or_b32 s20, s20, s3
	s_or_b32 s17, s17, s22
                                        ; implicit-def: $sgpr22
	s_branch .LBB268_703
.LBB268_706:
	s_or_b32 exec_lo, exec_lo, s7
.LBB268_707:
	s_delay_alu instid0(SALU_CYCLE_1) | instskip(SKIP_2) | instid1(VALU_DEP_2)
	s_or_b32 exec_lo, exec_lo, s6
	v_add_nc_u32_e32 v9, v22, v29
	v_add_nc_u32_e32 v8, v24, v28
	v_sub_nc_u32_e32 v9, v9, v24
	s_delay_alu instid0(VALU_DEP_2) | instskip(NEXT) | instid1(VALU_DEP_2)
	v_cmp_le_u32_e32 vcc_lo, v8, v22
	v_cmp_le_u32_e64 s3, v9, v23
	s_delay_alu instid0(VALU_DEP_1) | instskip(NEXT) | instid1(SALU_CYCLE_1)
	s_or_b32 s3, vcc_lo, s3
	s_and_saveexec_b32 s6, s3
	s_cbranch_execz .LBB268_754
; %bb.708:
	v_cmp_ge_u32_e32 vcc_lo, v8, v22
	s_mov_b32 s4, exec_lo
                                        ; implicit-def: $vgpr0_vgpr1
	v_cmpx_lt_u32_e64 v8, v22
	s_cbranch_execz .LBB268_710
; %bb.709:
	v_lshl_add_u32 v0, v24, 3, v25
	ds_load_b64 v[0:1], v0
.LBB268_710:
	s_or_b32 exec_lo, exec_lo, s4
	v_cmp_ge_u32_e64 s7, v9, v23
	s_mov_b32 s4, exec_lo
                                        ; implicit-def: $vgpr2_vgpr3
	v_cmpx_lt_u32_e64 v9, v23
	s_cbranch_execz .LBB268_712
; %bb.711:
	v_lshl_add_u32 v2, v9, 3, v18
	ds_load_b64 v[2:3], v2
.LBB268_712:
	s_or_b32 exec_lo, exec_lo, s4
	s_or_b32 s3, vcc_lo, s7
	s_mov_b32 s12, -1
	s_xor_b32 s3, s3, -1
	s_delay_alu instid0(SALU_CYCLE_1)
	s_and_saveexec_b32 s13, s3
	s_cbranch_execz .LBB268_721
; %bb.713:
	s_and_not1_b32 vcc_lo, exec_lo, s16
	s_cbranch_vccnz .LBB268_719
; %bb.714:
	s_waitcnt lgkmcnt(0)
	v_mad_u64_u32 v[4:5], null, v2, s8, s[10:11]
	v_mul_lo_u32 v10, v2, s9
	v_mul_lo_u32 v11, v3, s8
	v_mad_u64_u32 v[6:7], null, v0, s8, s[10:11]
	v_mul_lo_u32 v24, v0, s9
	v_mul_lo_u32 v25, v1, s8
	s_mov_b32 s17, 0
	s_mov_b64 s[4:5], s[8:9]
                                        ; implicit-def: $sgpr20
                                        ; implicit-def: $sgpr21
                                        ; implicit-def: $sgpr22
                                        ; implicit-def: $sgpr23
                                        ; implicit-def: $sgpr24
	s_delay_alu instid0(VALU_DEP_4) | instskip(NEXT) | instid1(VALU_DEP_2)
	v_add3_u32 v5, v11, v5, v10
	v_add3_u32 v7, v25, v7, v24
	s_branch .LBB268_716
.LBB268_715:                            ;   in Loop: Header=BB268_716 Depth=1
	s_or_b32 exec_lo, exec_lo, s3
	s_delay_alu instid0(SALU_CYCLE_1) | instskip(NEXT) | instid1(SALU_CYCLE_1)
	s_and_b32 s3, exec_lo, s21
	s_or_b32 s17, s3, s17
	s_and_not1_b32 s3, s24, exec_lo
	s_and_b32 s24, s23, exec_lo
	s_and_not1_b32 s20, s20, exec_lo
	s_and_b32 s25, s22, exec_lo
	s_or_b32 s24, s3, s24
	s_or_b32 s20, s20, s25
	s_and_not1_b32 exec_lo, exec_lo, s17
	s_cbranch_execz .LBB268_718
.LBB268_716:                            ; =>This Inner Loop Header: Depth=1
	global_load_u8 v10, v[4:5], off
	global_load_u8 v11, v[6:7], off
	s_and_not1_b32 s22, s22, exec_lo
	s_and_not1_b32 s23, s23, exec_lo
	s_or_b32 s21, s21, exec_lo
	s_waitcnt vmcnt(1)
	v_bfe_i32 v24, v10, 0, 8
	s_waitcnt vmcnt(0)
	v_bfe_i32 v25, v11, 0, 8
	v_and_b32_e32 v10, 0xff, v10
	v_and_b32_e32 v11, 0xff, v11
	s_delay_alu instid0(VALU_DEP_3)
	v_cmp_le_i16_e32 vcc_lo, v24, v25
	v_cmp_lt_i16_e64 s3, v24, v25
	s_and_b32 s25, vcc_lo, s24
	s_delay_alu instid0(VALU_DEP_1) | instid1(SALU_CYCLE_1)
	s_or_b32 s25, s3, s25
	s_delay_alu instid0(SALU_CYCLE_1) | instskip(NEXT) | instid1(SALU_CYCLE_1)
	s_and_b32 s3, s25, exec_lo
	s_or_b32 s22, s22, s3
	s_mov_b32 s3, exec_lo
	v_cmpx_eq_u16_e64 v10, v11
	s_cbranch_execz .LBB268_715
; %bb.717:                              ;   in Loop: Header=BB268_716 Depth=1
	s_add_u32 s4, s4, -1
	s_addc_u32 s5, s5, -1
	v_add_co_u32 v4, vcc_lo, v4, 1
	s_cmp_eq_u64 s[4:5], 0
	v_add_co_ci_u32_e32 v5, vcc_lo, 0, v5, vcc_lo
	v_add_co_u32 v6, vcc_lo, v6, 1
	s_cselect_b32 s24, -1, 0
	v_add_co_ci_u32_e32 v7, vcc_lo, 0, v7, vcc_lo
	s_and_not1_b32 s23, s23, exec_lo
	s_and_b32 s25, s25, exec_lo
	s_and_not1_b32 s21, s21, exec_lo
	s_and_b32 s24, s24, exec_lo
	s_or_b32 s23, s23, s25
	s_and_not1_b32 s22, s22, exec_lo
	s_or_b32 s21, s21, s24
                                        ; implicit-def: $sgpr24
	s_branch .LBB268_715
.LBB268_718:
	s_or_b32 exec_lo, exec_lo, s17
	s_xor_b32 s3, s20, -1
	s_branch .LBB268_720
.LBB268_719:
	s_mov_b32 s3, -1
.LBB268_720:
	s_and_not1_b32 s4, s7, exec_lo
	s_and_b32 s3, s3, exec_lo
	s_delay_alu instid0(SALU_CYCLE_1)
	s_or_b32 s7, s4, s3
.LBB268_721:
	s_or_b32 exec_lo, exec_lo, s13
	v_cndmask_b32_e64 v4, v9, v8, s7
	v_cndmask_b32_e64 v5, v23, v22, s7
	s_mov_b32 s13, exec_lo
	s_delay_alu instid0(VALU_DEP_2) | instskip(NEXT) | instid1(VALU_DEP_2)
	v_add_nc_u32_e32 v6, 1, v4
	v_add_nc_u32_e32 v4, -1, v5
	s_delay_alu instid0(VALU_DEP_2) | instskip(NEXT) | instid1(VALU_DEP_2)
	v_cndmask_b32_e64 v9, v6, v9, s7
	v_min_u32_e32 v4, v6, v4
	v_cndmask_b32_e64 v8, v8, v6, s7
	s_delay_alu instid0(VALU_DEP_2)
	v_lshl_add_u32 v4, v4, 3, v18
	ds_load_b64 v[4:5], v4
	s_waitcnt lgkmcnt(0)
	v_cndmask_b32_e64 v24, v5, v3, s7
	v_cndmask_b32_e64 v25, v4, v2, s7
	;; [unrolled: 1-line block ×4, first 2 shown]
	v_cmpx_lt_u32_e64 v9, v23
	s_cbranch_execz .LBB268_732
; %bb.722:
	s_mov_b32 s3, 0
	s_mov_b32 s12, exec_lo
	v_cmpx_lt_u32_e64 v8, v22
	s_cbranch_execz .LBB268_731
; %bb.723:
	s_and_not1_b32 vcc_lo, exec_lo, s16
	s_cbranch_vccnz .LBB268_729
; %bb.724:
	v_mad_u64_u32 v[4:5], null, v25, s8, s[10:11]
	v_mul_lo_u32 v10, v25, s9
	v_mul_lo_u32 v11, v24, s8
	v_mad_u64_u32 v[6:7], null, v29, s8, s[10:11]
	v_mul_lo_u32 v30, v29, s9
	v_mul_lo_u32 v31, v28, s8
	s_mov_b32 s17, 0
	s_mov_b64 s[4:5], s[8:9]
                                        ; implicit-def: $sgpr20
                                        ; implicit-def: $sgpr21
                                        ; implicit-def: $sgpr22
                                        ; implicit-def: $sgpr23
                                        ; implicit-def: $sgpr24
	s_delay_alu instid0(VALU_DEP_4) | instskip(NEXT) | instid1(VALU_DEP_2)
	v_add3_u32 v5, v11, v5, v10
	v_add3_u32 v7, v31, v7, v30
	s_branch .LBB268_726
.LBB268_725:                            ;   in Loop: Header=BB268_726 Depth=1
	s_or_b32 exec_lo, exec_lo, s3
	s_delay_alu instid0(SALU_CYCLE_1) | instskip(NEXT) | instid1(SALU_CYCLE_1)
	s_and_b32 s3, exec_lo, s21
	s_or_b32 s17, s3, s17
	s_and_not1_b32 s3, s24, exec_lo
	s_and_b32 s24, s23, exec_lo
	s_and_not1_b32 s20, s20, exec_lo
	s_and_b32 s25, s22, exec_lo
	s_or_b32 s24, s3, s24
	s_or_b32 s20, s20, s25
	s_and_not1_b32 exec_lo, exec_lo, s17
	s_cbranch_execz .LBB268_728
.LBB268_726:                            ; =>This Inner Loop Header: Depth=1
	global_load_u8 v10, v[4:5], off
	global_load_u8 v11, v[6:7], off
	s_and_not1_b32 s22, s22, exec_lo
	s_and_not1_b32 s23, s23, exec_lo
	s_or_b32 s21, s21, exec_lo
	s_waitcnt vmcnt(1)
	v_bfe_i32 v30, v10, 0, 8
	s_waitcnt vmcnt(0)
	v_bfe_i32 v31, v11, 0, 8
	v_and_b32_e32 v10, 0xff, v10
	v_and_b32_e32 v11, 0xff, v11
	s_delay_alu instid0(VALU_DEP_3)
	v_cmp_le_i16_e32 vcc_lo, v30, v31
	v_cmp_lt_i16_e64 s3, v30, v31
	s_and_b32 s25, vcc_lo, s24
	s_delay_alu instid0(VALU_DEP_1) | instid1(SALU_CYCLE_1)
	s_or_b32 s25, s3, s25
	s_delay_alu instid0(SALU_CYCLE_1) | instskip(NEXT) | instid1(SALU_CYCLE_1)
	s_and_b32 s3, s25, exec_lo
	s_or_b32 s22, s22, s3
	s_mov_b32 s3, exec_lo
	v_cmpx_eq_u16_e64 v10, v11
	s_cbranch_execz .LBB268_725
; %bb.727:                              ;   in Loop: Header=BB268_726 Depth=1
	s_add_u32 s4, s4, -1
	s_addc_u32 s5, s5, -1
	v_add_co_u32 v4, vcc_lo, v4, 1
	s_cmp_eq_u64 s[4:5], 0
	v_add_co_ci_u32_e32 v5, vcc_lo, 0, v5, vcc_lo
	v_add_co_u32 v6, vcc_lo, v6, 1
	s_cselect_b32 s24, -1, 0
	v_add_co_ci_u32_e32 v7, vcc_lo, 0, v7, vcc_lo
	s_and_not1_b32 s23, s23, exec_lo
	s_and_b32 s25, s25, exec_lo
	s_and_not1_b32 s21, s21, exec_lo
	s_and_b32 s24, s24, exec_lo
	s_or_b32 s23, s23, s25
	s_and_not1_b32 s22, s22, exec_lo
	s_or_b32 s21, s21, s24
                                        ; implicit-def: $sgpr24
	s_branch .LBB268_725
.LBB268_728:
	s_or_b32 exec_lo, exec_lo, s17
	s_xor_b32 s3, s20, -1
	s_branch .LBB268_730
.LBB268_729:
	s_mov_b32 s3, -1
.LBB268_730:
	s_delay_alu instid0(SALU_CYCLE_1)
	s_and_b32 s3, s3, exec_lo
.LBB268_731:
	s_or_b32 exec_lo, exec_lo, s12
	s_delay_alu instid0(SALU_CYCLE_1)
	s_or_not1_b32 s12, s3, exec_lo
.LBB268_732:
	s_or_b32 exec_lo, exec_lo, s13
	v_cndmask_b32_e64 v4, v9, v8, s12
	v_cndmask_b32_e64 v5, v23, v22, s12
	s_mov_b32 s13, -1
	s_mov_b32 s17, exec_lo
	s_delay_alu instid0(VALU_DEP_2) | instskip(NEXT) | instid1(VALU_DEP_2)
	v_add_nc_u32_e32 v6, 1, v4
	v_add_nc_u32_e32 v4, -1, v5
	s_delay_alu instid0(VALU_DEP_2) | instskip(NEXT) | instid1(VALU_DEP_2)
	v_cndmask_b32_e64 v9, v6, v9, s12
	v_min_u32_e32 v4, v6, v4
	v_cndmask_b32_e64 v8, v8, v6, s12
	s_delay_alu instid0(VALU_DEP_2)
	v_lshl_add_u32 v4, v4, 3, v18
	ds_load_b64 v[4:5], v4
	s_waitcnt lgkmcnt(0)
	v_cndmask_b32_e64 v30, v5, v24, s12
	v_cndmask_b32_e64 v31, v4, v25, s12
	;; [unrolled: 1-line block ×4, first 2 shown]
	v_cmpx_lt_u32_e64 v9, v23
	s_cbranch_execz .LBB268_743
; %bb.733:
	s_mov_b32 s3, 0
	s_mov_b32 s13, exec_lo
	v_cmpx_lt_u32_e64 v8, v22
	s_cbranch_execz .LBB268_742
; %bb.734:
	s_and_not1_b32 vcc_lo, exec_lo, s16
	s_cbranch_vccnz .LBB268_740
; %bb.735:
	v_mad_u64_u32 v[4:5], null, v31, s8, s[10:11]
	v_mul_lo_u32 v10, v31, s9
	v_mul_lo_u32 v11, v30, s8
	v_mad_u64_u32 v[6:7], null, v33, s8, s[10:11]
	v_mul_lo_u32 v34, v33, s9
	v_mul_lo_u32 v35, v32, s8
	s_mov_b32 s20, 0
	s_mov_b64 s[4:5], s[8:9]
                                        ; implicit-def: $sgpr21
                                        ; implicit-def: $sgpr22
                                        ; implicit-def: $sgpr23
                                        ; implicit-def: $sgpr24
                                        ; implicit-def: $sgpr25
	s_delay_alu instid0(VALU_DEP_4) | instskip(NEXT) | instid1(VALU_DEP_2)
	v_add3_u32 v5, v11, v5, v10
	v_add3_u32 v7, v35, v7, v34
	s_branch .LBB268_737
.LBB268_736:                            ;   in Loop: Header=BB268_737 Depth=1
	s_or_b32 exec_lo, exec_lo, s3
	s_delay_alu instid0(SALU_CYCLE_1) | instskip(NEXT) | instid1(SALU_CYCLE_1)
	s_and_b32 s3, exec_lo, s22
	s_or_b32 s20, s3, s20
	s_and_not1_b32 s3, s25, exec_lo
	s_and_b32 s25, s24, exec_lo
	s_and_not1_b32 s21, s21, exec_lo
	s_and_b32 s26, s23, exec_lo
	s_or_b32 s25, s3, s25
	s_or_b32 s21, s21, s26
	s_and_not1_b32 exec_lo, exec_lo, s20
	s_cbranch_execz .LBB268_739
.LBB268_737:                            ; =>This Inner Loop Header: Depth=1
	global_load_u8 v10, v[4:5], off
	global_load_u8 v11, v[6:7], off
	s_and_not1_b32 s23, s23, exec_lo
	s_and_not1_b32 s24, s24, exec_lo
	s_or_b32 s22, s22, exec_lo
	s_waitcnt vmcnt(1)
	v_bfe_i32 v34, v10, 0, 8
	s_waitcnt vmcnt(0)
	v_bfe_i32 v35, v11, 0, 8
	v_and_b32_e32 v10, 0xff, v10
	v_and_b32_e32 v11, 0xff, v11
	s_delay_alu instid0(VALU_DEP_3)
	v_cmp_le_i16_e32 vcc_lo, v34, v35
	v_cmp_lt_i16_e64 s3, v34, v35
	s_and_b32 s26, vcc_lo, s25
	s_delay_alu instid0(VALU_DEP_1) | instid1(SALU_CYCLE_1)
	s_or_b32 s26, s3, s26
	s_delay_alu instid0(SALU_CYCLE_1) | instskip(NEXT) | instid1(SALU_CYCLE_1)
	s_and_b32 s3, s26, exec_lo
	s_or_b32 s23, s23, s3
	s_mov_b32 s3, exec_lo
	v_cmpx_eq_u16_e64 v10, v11
	s_cbranch_execz .LBB268_736
; %bb.738:                              ;   in Loop: Header=BB268_737 Depth=1
	s_add_u32 s4, s4, -1
	s_addc_u32 s5, s5, -1
	v_add_co_u32 v4, vcc_lo, v4, 1
	s_cmp_eq_u64 s[4:5], 0
	v_add_co_ci_u32_e32 v5, vcc_lo, 0, v5, vcc_lo
	v_add_co_u32 v6, vcc_lo, v6, 1
	s_cselect_b32 s25, -1, 0
	v_add_co_ci_u32_e32 v7, vcc_lo, 0, v7, vcc_lo
	s_and_not1_b32 s24, s24, exec_lo
	s_and_b32 s26, s26, exec_lo
	s_and_not1_b32 s22, s22, exec_lo
	s_and_b32 s25, s25, exec_lo
	s_or_b32 s24, s24, s26
	s_and_not1_b32 s23, s23, exec_lo
	s_or_b32 s22, s22, s25
                                        ; implicit-def: $sgpr25
	s_branch .LBB268_736
.LBB268_739:
	s_or_b32 exec_lo, exec_lo, s20
	s_xor_b32 s3, s21, -1
	s_branch .LBB268_741
.LBB268_740:
	s_mov_b32 s3, -1
.LBB268_741:
	s_delay_alu instid0(SALU_CYCLE_1)
	s_and_b32 s3, s3, exec_lo
.LBB268_742:
	s_or_b32 exec_lo, exec_lo, s13
	s_delay_alu instid0(SALU_CYCLE_1)
	s_or_not1_b32 s13, s3, exec_lo
.LBB268_743:
	s_or_b32 exec_lo, exec_lo, s17
	v_cndmask_b32_e64 v4, v9, v8, s13
	v_cndmask_b32_e64 v5, v23, v22, s13
	s_mov_b32 s17, exec_lo
	s_delay_alu instid0(VALU_DEP_2) | instskip(NEXT) | instid1(VALU_DEP_2)
	v_add_nc_u32_e32 v10, 1, v4
	v_add_nc_u32_e32 v4, -1, v5
	s_delay_alu instid0(VALU_DEP_2) | instskip(NEXT) | instid1(VALU_DEP_2)
	v_cndmask_b32_e64 v9, v10, v9, s13
	v_min_u32_e32 v4, v10, v4
	s_delay_alu instid0(VALU_DEP_1)
	v_lshl_add_u32 v4, v4, 3, v18
	ds_load_b64 v[4:5], v4
	s_waitcnt lgkmcnt(0)
	v_cndmask_b32_e64 v7, v32, v5, s13
	v_cndmask_b32_e64 v6, v33, v4, s13
	v_cmpx_lt_u32_e64 v9, v23
	s_cbranch_execz .LBB268_753
; %bb.744:
	v_cndmask_b32_e64 v8, v8, v10, s13
	v_cndmask_b32_e64 v5, v5, v30, s13
	;; [unrolled: 1-line block ×3, first 2 shown]
	s_mov_b32 s20, exec_lo
	s_delay_alu instid0(VALU_DEP_3)
	v_cmpx_lt_u32_e64 v8, v22
	s_cbranch_execz .LBB268_752
; %bb.745:
	s_and_not1_b32 vcc_lo, exec_lo, s16
	s_cbranch_vccnz .LBB268_751
; %bb.746:
	v_mad_u64_u32 v[8:9], null, v4, s8, s[10:11]
	v_mul_lo_u32 v22, v4, s9
	v_mul_lo_u32 v23, v5, s8
	v_mad_u64_u32 v[10:11], null, v6, s8, s[10:11]
	v_mul_lo_u32 v34, v6, s9
	v_mul_lo_u32 v35, v7, s8
	s_mov_b32 s21, 0
	s_mov_b64 s[4:5], s[8:9]
                                        ; implicit-def: $sgpr22
                                        ; implicit-def: $sgpr23
                                        ; implicit-def: $sgpr24
                                        ; implicit-def: $sgpr25
                                        ; implicit-def: $sgpr26
	s_delay_alu instid0(VALU_DEP_4) | instskip(NEXT) | instid1(VALU_DEP_2)
	v_add3_u32 v9, v23, v9, v22
	v_add3_u32 v11, v35, v11, v34
	s_branch .LBB268_748
.LBB268_747:                            ;   in Loop: Header=BB268_748 Depth=1
	s_or_b32 exec_lo, exec_lo, s3
	s_delay_alu instid0(SALU_CYCLE_1) | instskip(NEXT) | instid1(SALU_CYCLE_1)
	s_and_b32 s3, exec_lo, s23
	s_or_b32 s21, s3, s21
	s_and_not1_b32 s3, s26, exec_lo
	s_and_b32 s26, s25, exec_lo
	s_and_not1_b32 s22, s22, exec_lo
	s_and_b32 s27, s24, exec_lo
	s_or_b32 s26, s3, s26
	s_or_b32 s22, s22, s27
	s_and_not1_b32 exec_lo, exec_lo, s21
	s_cbranch_execz .LBB268_750
.LBB268_748:                            ; =>This Inner Loop Header: Depth=1
	global_load_u8 v22, v[8:9], off
	global_load_u8 v23, v[10:11], off
	s_and_not1_b32 s24, s24, exec_lo
	s_and_not1_b32 s25, s25, exec_lo
	s_or_b32 s23, s23, exec_lo
	s_waitcnt vmcnt(1)
	v_bfe_i32 v34, v22, 0, 8
	s_waitcnt vmcnt(0)
	v_bfe_i32 v35, v23, 0, 8
	v_and_b32_e32 v22, 0xff, v22
	v_and_b32_e32 v23, 0xff, v23
	s_delay_alu instid0(VALU_DEP_3)
	v_cmp_le_i16_e32 vcc_lo, v34, v35
	v_cmp_lt_i16_e64 s3, v34, v35
	s_and_b32 s27, vcc_lo, s26
	s_delay_alu instid0(VALU_DEP_1) | instid1(SALU_CYCLE_1)
	s_or_b32 s27, s3, s27
	s_delay_alu instid0(SALU_CYCLE_1) | instskip(NEXT) | instid1(SALU_CYCLE_1)
	s_and_b32 s3, s27, exec_lo
	s_or_b32 s24, s24, s3
	s_mov_b32 s3, exec_lo
	v_cmpx_eq_u16_e64 v22, v23
	s_cbranch_execz .LBB268_747
; %bb.749:                              ;   in Loop: Header=BB268_748 Depth=1
	s_add_u32 s4, s4, -1
	s_addc_u32 s5, s5, -1
	v_add_co_u32 v8, vcc_lo, v8, 1
	s_cmp_eq_u64 s[4:5], 0
	v_add_co_ci_u32_e32 v9, vcc_lo, 0, v9, vcc_lo
	v_add_co_u32 v10, vcc_lo, v10, 1
	s_cselect_b32 s26, -1, 0
	v_add_co_ci_u32_e32 v11, vcc_lo, 0, v11, vcc_lo
	s_and_not1_b32 s25, s25, exec_lo
	s_and_b32 s27, s27, exec_lo
	s_and_not1_b32 s23, s23, exec_lo
	s_and_b32 s26, s26, exec_lo
	s_or_b32 s25, s25, s27
	s_and_not1_b32 s24, s24, exec_lo
	s_or_b32 s23, s23, s26
                                        ; implicit-def: $sgpr26
	s_branch .LBB268_747
.LBB268_750:
	s_or_b32 exec_lo, exec_lo, s21
	v_cndmask_b32_e64 v7, v7, v5, s22
	v_cndmask_b32_e64 v6, v6, v4, s22
.LBB268_751:
	s_delay_alu instid0(VALU_DEP_1)
	v_dual_mov_b32 v4, v6 :: v_dual_mov_b32 v5, v7
.LBB268_752:
	s_or_b32 exec_lo, exec_lo, s20
	s_delay_alu instid0(VALU_DEP_1)
	v_dual_mov_b32 v7, v5 :: v_dual_mov_b32 v6, v4
.LBB268_753:
	s_or_b32 exec_lo, exec_lo, s17
	v_cndmask_b32_e64 v1, v3, v1, s7
	v_cndmask_b32_e64 v0, v2, v0, s7
	;; [unrolled: 1-line block ×6, first 2 shown]
.LBB268_754:
	s_or_b32 exec_lo, exec_lo, s6
	v_and_b32_e32 v24, 64, v20
	v_and_b32_e32 v9, 60, v20
	s_mov_b32 s6, exec_lo
	; wave barrier
	s_delay_alu instid0(VALU_DEP_2) | instskip(NEXT) | instid1(VALU_DEP_2)
	v_or_b32_e32 v8, 32, v24
	v_min_u32_e32 v25, v19, v9
	v_lshl_add_u32 v23, v24, 3, v18
	ds_store_b128 v21, v[0:3]
	ds_store_b128 v21, v[4:7] offset:16
	v_min_u32_e32 v22, v19, v8
	; wave barrier
	s_delay_alu instid0(VALU_DEP_1) | instskip(SKIP_1) | instid1(VALU_DEP_2)
	v_add_nc_u32_e32 v8, 32, v22
	v_sub_nc_u32_e32 v9, v22, v24
	v_min_u32_e32 v20, v19, v8
	s_delay_alu instid0(VALU_DEP_2) | instskip(NEXT) | instid1(VALU_DEP_2)
	v_min_u32_e32 v28, v25, v9
	v_sub_nc_u32_e32 v8, v20, v22
	s_delay_alu instid0(VALU_DEP_1) | instskip(NEXT) | instid1(VALU_DEP_1)
	v_sub_nc_u32_e64 v19, v25, v8 clamp
	v_cmpx_lt_u32_e64 v19, v28
	s_cbranch_execz .LBB268_764
; %bb.755:
	v_lshlrev_b32_e32 v8, 3, v22
	v_lshlrev_b32_e32 v9, 3, v25
	s_mov_b32 s7, 0
	s_delay_alu instid0(VALU_DEP_1)
	v_add3_u32 v21, v18, v8, v9
	s_branch .LBB268_758
.LBB268_756:                            ;   in Loop: Header=BB268_758 Depth=1
	s_or_b32 exec_lo, exec_lo, s12
.LBB268_757:                            ;   in Loop: Header=BB268_758 Depth=1
	s_delay_alu instid0(VALU_DEP_1) | instskip(SKIP_1) | instid1(VALU_DEP_2)
	v_add_nc_u32_e32 v8, 1, v29
	v_cndmask_b32_e64 v28, v28, v29, s13
	v_cndmask_b32_e64 v19, v8, v19, s13
	s_delay_alu instid0(VALU_DEP_1) | instskip(SKIP_1) | instid1(SALU_CYCLE_1)
	v_cmp_ge_u32_e32 vcc_lo, v19, v28
	s_or_b32 s7, vcc_lo, s7
	s_and_not1_b32 exec_lo, exec_lo, s7
	s_cbranch_execz .LBB268_763
.LBB268_758:                            ; =>This Loop Header: Depth=1
                                        ;     Child Loop BB268_761 Depth 2
	v_add_nc_u32_e32 v8, v28, v19
	s_and_not1_b32 vcc_lo, exec_lo, s16
	s_mov_b32 s13, 0
	s_delay_alu instid0(VALU_DEP_1)
	v_lshrrev_b32_e32 v29, 1, v8
	s_cbranch_vccnz .LBB268_757
; %bb.759:                              ;   in Loop: Header=BB268_758 Depth=1
	s_delay_alu instid0(VALU_DEP_1) | instskip(SKIP_3) | instid1(VALU_DEP_2)
	v_not_b32_e32 v8, v29
	v_lshl_add_u32 v9, v29, 3, v23
	s_mov_b32 s12, 0
	s_mov_b64 s[4:5], s[8:9]
                                        ; implicit-def: $sgpr13
                                        ; implicit-def: $sgpr17
                                        ; implicit-def: $sgpr20
                                        ; implicit-def: $sgpr21
                                        ; implicit-def: $sgpr22
	v_lshl_add_u32 v8, v8, 3, v21
	ds_load_b64 v[10:11], v8
	ds_load_b64 v[30:31], v9
	s_waitcnt lgkmcnt(1)
	v_mul_lo_u32 v32, v10, s9
	v_mul_lo_u32 v33, v11, s8
	v_mad_u64_u32 v[8:9], null, v10, s8, s[10:11]
	s_waitcnt lgkmcnt(0)
	v_mul_lo_u32 v34, v30, s9
	v_mul_lo_u32 v31, v31, s8
	v_mad_u64_u32 v[10:11], null, v30, s8, s[10:11]
	s_delay_alu instid0(VALU_DEP_4) | instskip(NEXT) | instid1(VALU_DEP_2)
	v_add3_u32 v9, v33, v9, v32
	v_add3_u32 v11, v31, v11, v34
	s_branch .LBB268_761
.LBB268_760:                            ;   in Loop: Header=BB268_761 Depth=2
	s_or_b32 exec_lo, exec_lo, s23
	s_delay_alu instid0(SALU_CYCLE_1) | instskip(NEXT) | instid1(SALU_CYCLE_1)
	s_and_b32 s3, exec_lo, s17
	s_or_b32 s12, s3, s12
	s_and_not1_b32 s3, s22, exec_lo
	s_and_b32 s22, s20, exec_lo
	s_and_not1_b32 s13, s13, exec_lo
	s_and_b32 s23, s21, exec_lo
	s_or_b32 s22, s3, s22
	s_or_b32 s13, s13, s23
	s_and_not1_b32 exec_lo, exec_lo, s12
	s_cbranch_execz .LBB268_756
.LBB268_761:                            ;   Parent Loop BB268_758 Depth=1
                                        ; =>  This Inner Loop Header: Depth=2
	global_load_u8 v30, v[8:9], off
	global_load_u8 v31, v[10:11], off
	s_and_not1_b32 s21, s21, exec_lo
	s_and_not1_b32 s20, s20, exec_lo
	s_or_b32 s17, s17, exec_lo
	s_waitcnt vmcnt(1)
	v_bfe_i32 v32, v30, 0, 8
	s_waitcnt vmcnt(0)
	v_bfe_i32 v33, v31, 0, 8
	v_and_b32_e32 v30, 0xff, v30
	v_and_b32_e32 v31, 0xff, v31
	s_delay_alu instid0(VALU_DEP_3)
	v_cmp_le_i16_e32 vcc_lo, v32, v33
	v_cmp_lt_i16_e64 s3, v32, v33
	s_and_b32 s23, vcc_lo, s22
	s_delay_alu instid0(VALU_DEP_1) | instid1(SALU_CYCLE_1)
	s_or_b32 s3, s3, s23
	s_delay_alu instid0(SALU_CYCLE_1) | instskip(NEXT) | instid1(SALU_CYCLE_1)
	s_and_b32 s23, s3, exec_lo
	s_or_b32 s21, s21, s23
	s_mov_b32 s23, exec_lo
	v_cmpx_eq_u16_e64 v30, v31
	s_cbranch_execz .LBB268_760
; %bb.762:                              ;   in Loop: Header=BB268_761 Depth=2
	s_add_u32 s4, s4, -1
	s_addc_u32 s5, s5, -1
	v_add_co_u32 v8, vcc_lo, v8, 1
	v_add_co_ci_u32_e32 v9, vcc_lo, 0, v9, vcc_lo
	s_cmp_eq_u64 s[4:5], 0
	v_add_co_u32 v10, vcc_lo, v10, 1
	s_cselect_b32 s22, -1, 0
	v_add_co_ci_u32_e32 v11, vcc_lo, 0, v11, vcc_lo
	s_and_not1_b32 s20, s20, exec_lo
	s_and_b32 s3, s3, exec_lo
	s_and_not1_b32 s17, s17, exec_lo
	s_and_b32 s22, s22, exec_lo
	s_and_not1_b32 s21, s21, exec_lo
	s_or_b32 s20, s20, s3
	s_or_b32 s17, s17, s22
                                        ; implicit-def: $sgpr22
	s_branch .LBB268_760
.LBB268_763:
	s_or_b32 exec_lo, exec_lo, s7
.LBB268_764:
	s_delay_alu instid0(SALU_CYCLE_1) | instskip(SKIP_2) | instid1(VALU_DEP_2)
	s_or_b32 exec_lo, exec_lo, s6
	v_add_nc_u32_e32 v9, v22, v25
	v_add_nc_u32_e32 v8, v19, v24
	v_sub_nc_u32_e32 v9, v9, v19
	s_delay_alu instid0(VALU_DEP_2) | instskip(NEXT) | instid1(VALU_DEP_2)
	v_cmp_le_u32_e32 vcc_lo, v8, v22
	v_cmp_le_u32_e64 s3, v9, v20
	s_delay_alu instid0(VALU_DEP_1) | instskip(NEXT) | instid1(SALU_CYCLE_1)
	s_or_b32 s3, vcc_lo, s3
	s_and_saveexec_b32 s6, s3
	s_cbranch_execz .LBB268_811
; %bb.765:
	v_cmp_ge_u32_e32 vcc_lo, v8, v22
	s_mov_b32 s4, exec_lo
                                        ; implicit-def: $vgpr0_vgpr1
	v_cmpx_lt_u32_e64 v8, v22
	s_cbranch_execz .LBB268_767
; %bb.766:
	v_lshl_add_u32 v0, v19, 3, v23
	ds_load_b64 v[0:1], v0
.LBB268_767:
	s_or_b32 exec_lo, exec_lo, s4
	v_cmp_ge_u32_e64 s7, v9, v20
	s_mov_b32 s4, exec_lo
                                        ; implicit-def: $vgpr2_vgpr3
	v_cmpx_lt_u32_e64 v9, v20
	s_cbranch_execz .LBB268_769
; %bb.768:
	v_lshl_add_u32 v2, v9, 3, v18
	ds_load_b64 v[2:3], v2
.LBB268_769:
	s_or_b32 exec_lo, exec_lo, s4
	s_or_b32 s3, vcc_lo, s7
	s_mov_b32 s12, -1
	s_xor_b32 s3, s3, -1
	s_delay_alu instid0(SALU_CYCLE_1)
	s_and_saveexec_b32 s13, s3
	s_cbranch_execz .LBB268_778
; %bb.770:
	s_and_not1_b32 vcc_lo, exec_lo, s16
	s_cbranch_vccnz .LBB268_776
; %bb.771:
	s_waitcnt lgkmcnt(0)
	v_mad_u64_u32 v[4:5], null, v2, s8, s[10:11]
	v_mul_lo_u32 v10, v2, s9
	v_mul_lo_u32 v11, v3, s8
	v_mad_u64_u32 v[6:7], null, v0, s8, s[10:11]
	v_mul_lo_u32 v19, v0, s9
	v_mul_lo_u32 v21, v1, s8
	s_mov_b32 s17, 0
	s_mov_b64 s[4:5], s[8:9]
                                        ; implicit-def: $sgpr20
                                        ; implicit-def: $sgpr21
                                        ; implicit-def: $sgpr22
                                        ; implicit-def: $sgpr23
                                        ; implicit-def: $sgpr24
	s_delay_alu instid0(VALU_DEP_4) | instskip(NEXT) | instid1(VALU_DEP_2)
	v_add3_u32 v5, v11, v5, v10
	v_add3_u32 v7, v21, v7, v19
	s_branch .LBB268_773
.LBB268_772:                            ;   in Loop: Header=BB268_773 Depth=1
	s_or_b32 exec_lo, exec_lo, s3
	s_delay_alu instid0(SALU_CYCLE_1) | instskip(NEXT) | instid1(SALU_CYCLE_1)
	s_and_b32 s3, exec_lo, s21
	s_or_b32 s17, s3, s17
	s_and_not1_b32 s3, s24, exec_lo
	s_and_b32 s24, s23, exec_lo
	s_and_not1_b32 s20, s20, exec_lo
	s_and_b32 s25, s22, exec_lo
	s_or_b32 s24, s3, s24
	s_or_b32 s20, s20, s25
	s_and_not1_b32 exec_lo, exec_lo, s17
	s_cbranch_execz .LBB268_775
.LBB268_773:                            ; =>This Inner Loop Header: Depth=1
	global_load_u8 v10, v[4:5], off
	global_load_u8 v11, v[6:7], off
	s_and_not1_b32 s22, s22, exec_lo
	s_and_not1_b32 s23, s23, exec_lo
	s_or_b32 s21, s21, exec_lo
	s_waitcnt vmcnt(1)
	v_bfe_i32 v19, v10, 0, 8
	s_waitcnt vmcnt(0)
	v_bfe_i32 v21, v11, 0, 8
	v_and_b32_e32 v10, 0xff, v10
	v_and_b32_e32 v11, 0xff, v11
	s_delay_alu instid0(VALU_DEP_3)
	v_cmp_le_i16_e32 vcc_lo, v19, v21
	v_cmp_lt_i16_e64 s3, v19, v21
	s_and_b32 s25, vcc_lo, s24
	s_delay_alu instid0(VALU_DEP_1) | instid1(SALU_CYCLE_1)
	s_or_b32 s25, s3, s25
	s_delay_alu instid0(SALU_CYCLE_1) | instskip(NEXT) | instid1(SALU_CYCLE_1)
	s_and_b32 s3, s25, exec_lo
	s_or_b32 s22, s22, s3
	s_mov_b32 s3, exec_lo
	v_cmpx_eq_u16_e64 v10, v11
	s_cbranch_execz .LBB268_772
; %bb.774:                              ;   in Loop: Header=BB268_773 Depth=1
	s_add_u32 s4, s4, -1
	s_addc_u32 s5, s5, -1
	v_add_co_u32 v4, vcc_lo, v4, 1
	s_cmp_eq_u64 s[4:5], 0
	v_add_co_ci_u32_e32 v5, vcc_lo, 0, v5, vcc_lo
	v_add_co_u32 v6, vcc_lo, v6, 1
	s_cselect_b32 s24, -1, 0
	v_add_co_ci_u32_e32 v7, vcc_lo, 0, v7, vcc_lo
	s_and_not1_b32 s23, s23, exec_lo
	s_and_b32 s25, s25, exec_lo
	s_and_not1_b32 s21, s21, exec_lo
	s_and_b32 s24, s24, exec_lo
	s_or_b32 s23, s23, s25
	s_and_not1_b32 s22, s22, exec_lo
	s_or_b32 s21, s21, s24
                                        ; implicit-def: $sgpr24
	s_branch .LBB268_772
.LBB268_775:
	s_or_b32 exec_lo, exec_lo, s17
	s_xor_b32 s3, s20, -1
	s_branch .LBB268_777
.LBB268_776:
	s_mov_b32 s3, -1
.LBB268_777:
	s_and_not1_b32 s4, s7, exec_lo
	s_and_b32 s3, s3, exec_lo
	s_delay_alu instid0(SALU_CYCLE_1)
	s_or_b32 s7, s4, s3
.LBB268_778:
	s_or_b32 exec_lo, exec_lo, s13
	v_cndmask_b32_e64 v4, v9, v8, s7
	v_cndmask_b32_e64 v5, v20, v22, s7
	s_mov_b32 s13, exec_lo
	s_delay_alu instid0(VALU_DEP_2) | instskip(NEXT) | instid1(VALU_DEP_2)
	v_add_nc_u32_e32 v6, 1, v4
	v_add_nc_u32_e32 v4, -1, v5
	s_delay_alu instid0(VALU_DEP_2) | instskip(NEXT) | instid1(VALU_DEP_2)
	v_cndmask_b32_e64 v9, v6, v9, s7
	v_min_u32_e32 v4, v6, v4
	v_cndmask_b32_e64 v8, v8, v6, s7
	s_delay_alu instid0(VALU_DEP_2)
	v_lshl_add_u32 v4, v4, 3, v18
	ds_load_b64 v[4:5], v4
	s_waitcnt lgkmcnt(0)
	v_cndmask_b32_e64 v19, v5, v3, s7
	v_cndmask_b32_e64 v21, v4, v2, s7
	v_cndmask_b32_e64 v23, v1, v5, s7
	v_cndmask_b32_e64 v24, v0, v4, s7
	v_cmpx_lt_u32_e64 v9, v20
	s_cbranch_execz .LBB268_789
; %bb.779:
	s_mov_b32 s3, 0
	s_mov_b32 s12, exec_lo
	v_cmpx_lt_u32_e64 v8, v22
	s_cbranch_execz .LBB268_788
; %bb.780:
	s_and_not1_b32 vcc_lo, exec_lo, s16
	s_cbranch_vccnz .LBB268_786
; %bb.781:
	v_mad_u64_u32 v[4:5], null, v21, s8, s[10:11]
	v_mul_lo_u32 v10, v21, s9
	v_mul_lo_u32 v11, v19, s8
	v_mad_u64_u32 v[6:7], null, v24, s8, s[10:11]
	v_mul_lo_u32 v25, v24, s9
	v_mul_lo_u32 v28, v23, s8
	s_mov_b32 s17, 0
	s_mov_b64 s[4:5], s[8:9]
                                        ; implicit-def: $sgpr20
                                        ; implicit-def: $sgpr21
                                        ; implicit-def: $sgpr22
                                        ; implicit-def: $sgpr23
                                        ; implicit-def: $sgpr24
	s_delay_alu instid0(VALU_DEP_4) | instskip(NEXT) | instid1(VALU_DEP_2)
	v_add3_u32 v5, v11, v5, v10
	v_add3_u32 v7, v28, v7, v25
	s_branch .LBB268_783
.LBB268_782:                            ;   in Loop: Header=BB268_783 Depth=1
	s_or_b32 exec_lo, exec_lo, s3
	s_delay_alu instid0(SALU_CYCLE_1) | instskip(NEXT) | instid1(SALU_CYCLE_1)
	s_and_b32 s3, exec_lo, s21
	s_or_b32 s17, s3, s17
	s_and_not1_b32 s3, s24, exec_lo
	s_and_b32 s24, s23, exec_lo
	s_and_not1_b32 s20, s20, exec_lo
	s_and_b32 s25, s22, exec_lo
	s_or_b32 s24, s3, s24
	s_or_b32 s20, s20, s25
	s_and_not1_b32 exec_lo, exec_lo, s17
	s_cbranch_execz .LBB268_785
.LBB268_783:                            ; =>This Inner Loop Header: Depth=1
	global_load_u8 v10, v[4:5], off
	global_load_u8 v11, v[6:7], off
	s_and_not1_b32 s22, s22, exec_lo
	s_and_not1_b32 s23, s23, exec_lo
	s_or_b32 s21, s21, exec_lo
	s_waitcnt vmcnt(1)
	v_bfe_i32 v25, v10, 0, 8
	s_waitcnt vmcnt(0)
	v_bfe_i32 v28, v11, 0, 8
	v_and_b32_e32 v10, 0xff, v10
	v_and_b32_e32 v11, 0xff, v11
	s_delay_alu instid0(VALU_DEP_3)
	v_cmp_le_i16_e32 vcc_lo, v25, v28
	v_cmp_lt_i16_e64 s3, v25, v28
	s_and_b32 s25, vcc_lo, s24
	s_delay_alu instid0(VALU_DEP_1) | instid1(SALU_CYCLE_1)
	s_or_b32 s25, s3, s25
	s_delay_alu instid0(SALU_CYCLE_1) | instskip(NEXT) | instid1(SALU_CYCLE_1)
	s_and_b32 s3, s25, exec_lo
	s_or_b32 s22, s22, s3
	s_mov_b32 s3, exec_lo
	v_cmpx_eq_u16_e64 v10, v11
	s_cbranch_execz .LBB268_782
; %bb.784:                              ;   in Loop: Header=BB268_783 Depth=1
	s_add_u32 s4, s4, -1
	s_addc_u32 s5, s5, -1
	v_add_co_u32 v4, vcc_lo, v4, 1
	s_cmp_eq_u64 s[4:5], 0
	v_add_co_ci_u32_e32 v5, vcc_lo, 0, v5, vcc_lo
	v_add_co_u32 v6, vcc_lo, v6, 1
	s_cselect_b32 s24, -1, 0
	v_add_co_ci_u32_e32 v7, vcc_lo, 0, v7, vcc_lo
	s_and_not1_b32 s23, s23, exec_lo
	s_and_b32 s25, s25, exec_lo
	s_and_not1_b32 s21, s21, exec_lo
	s_and_b32 s24, s24, exec_lo
	s_or_b32 s23, s23, s25
	s_and_not1_b32 s22, s22, exec_lo
	s_or_b32 s21, s21, s24
                                        ; implicit-def: $sgpr24
	s_branch .LBB268_782
.LBB268_785:
	s_or_b32 exec_lo, exec_lo, s17
	s_xor_b32 s3, s20, -1
	s_branch .LBB268_787
.LBB268_786:
	s_mov_b32 s3, -1
.LBB268_787:
	s_delay_alu instid0(SALU_CYCLE_1)
	s_and_b32 s3, s3, exec_lo
.LBB268_788:
	s_or_b32 exec_lo, exec_lo, s12
	s_delay_alu instid0(SALU_CYCLE_1)
	s_or_not1_b32 s12, s3, exec_lo
.LBB268_789:
	s_or_b32 exec_lo, exec_lo, s13
	v_cndmask_b32_e64 v4, v9, v8, s12
	v_cndmask_b32_e64 v5, v20, v22, s12
	s_mov_b32 s13, -1
	s_mov_b32 s17, exec_lo
	s_delay_alu instid0(VALU_DEP_2) | instskip(NEXT) | instid1(VALU_DEP_2)
	v_add_nc_u32_e32 v6, 1, v4
	v_add_nc_u32_e32 v4, -1, v5
	s_delay_alu instid0(VALU_DEP_2) | instskip(NEXT) | instid1(VALU_DEP_2)
	v_cndmask_b32_e64 v9, v6, v9, s12
	v_min_u32_e32 v4, v6, v4
	v_cndmask_b32_e64 v8, v8, v6, s12
	s_delay_alu instid0(VALU_DEP_2)
	v_lshl_add_u32 v4, v4, 3, v18
	ds_load_b64 v[4:5], v4
	s_waitcnt lgkmcnt(0)
	v_cndmask_b32_e64 v25, v5, v19, s12
	v_cndmask_b32_e64 v28, v4, v21, s12
	;; [unrolled: 1-line block ×4, first 2 shown]
	v_cmpx_lt_u32_e64 v9, v20
	s_cbranch_execz .LBB268_800
; %bb.790:
	s_mov_b32 s3, 0
	s_mov_b32 s13, exec_lo
	v_cmpx_lt_u32_e64 v8, v22
	s_cbranch_execz .LBB268_799
; %bb.791:
	s_and_not1_b32 vcc_lo, exec_lo, s16
	s_cbranch_vccnz .LBB268_797
; %bb.792:
	v_mad_u64_u32 v[4:5], null, v28, s8, s[10:11]
	v_mul_lo_u32 v10, v28, s9
	v_mul_lo_u32 v11, v25, s8
	v_mad_u64_u32 v[6:7], null, v30, s8, s[10:11]
	v_mul_lo_u32 v31, v30, s9
	v_mul_lo_u32 v32, v29, s8
	s_mov_b32 s20, 0
	s_mov_b64 s[4:5], s[8:9]
                                        ; implicit-def: $sgpr21
                                        ; implicit-def: $sgpr22
                                        ; implicit-def: $sgpr23
                                        ; implicit-def: $sgpr24
                                        ; implicit-def: $sgpr25
	s_delay_alu instid0(VALU_DEP_4) | instskip(NEXT) | instid1(VALU_DEP_2)
	v_add3_u32 v5, v11, v5, v10
	v_add3_u32 v7, v32, v7, v31
	s_branch .LBB268_794
.LBB268_793:                            ;   in Loop: Header=BB268_794 Depth=1
	s_or_b32 exec_lo, exec_lo, s3
	s_delay_alu instid0(SALU_CYCLE_1) | instskip(NEXT) | instid1(SALU_CYCLE_1)
	s_and_b32 s3, exec_lo, s22
	s_or_b32 s20, s3, s20
	s_and_not1_b32 s3, s25, exec_lo
	s_and_b32 s25, s24, exec_lo
	s_and_not1_b32 s21, s21, exec_lo
	s_and_b32 s26, s23, exec_lo
	s_or_b32 s25, s3, s25
	s_or_b32 s21, s21, s26
	s_and_not1_b32 exec_lo, exec_lo, s20
	s_cbranch_execz .LBB268_796
.LBB268_794:                            ; =>This Inner Loop Header: Depth=1
	global_load_u8 v10, v[4:5], off
	global_load_u8 v11, v[6:7], off
	s_and_not1_b32 s23, s23, exec_lo
	s_and_not1_b32 s24, s24, exec_lo
	s_or_b32 s22, s22, exec_lo
	s_waitcnt vmcnt(1)
	v_bfe_i32 v31, v10, 0, 8
	s_waitcnt vmcnt(0)
	v_bfe_i32 v32, v11, 0, 8
	v_and_b32_e32 v10, 0xff, v10
	v_and_b32_e32 v11, 0xff, v11
	s_delay_alu instid0(VALU_DEP_3)
	v_cmp_le_i16_e32 vcc_lo, v31, v32
	v_cmp_lt_i16_e64 s3, v31, v32
	s_and_b32 s26, vcc_lo, s25
	s_delay_alu instid0(VALU_DEP_1) | instid1(SALU_CYCLE_1)
	s_or_b32 s26, s3, s26
	s_delay_alu instid0(SALU_CYCLE_1) | instskip(NEXT) | instid1(SALU_CYCLE_1)
	s_and_b32 s3, s26, exec_lo
	s_or_b32 s23, s23, s3
	s_mov_b32 s3, exec_lo
	v_cmpx_eq_u16_e64 v10, v11
	s_cbranch_execz .LBB268_793
; %bb.795:                              ;   in Loop: Header=BB268_794 Depth=1
	s_add_u32 s4, s4, -1
	s_addc_u32 s5, s5, -1
	v_add_co_u32 v4, vcc_lo, v4, 1
	s_cmp_eq_u64 s[4:5], 0
	v_add_co_ci_u32_e32 v5, vcc_lo, 0, v5, vcc_lo
	v_add_co_u32 v6, vcc_lo, v6, 1
	s_cselect_b32 s25, -1, 0
	v_add_co_ci_u32_e32 v7, vcc_lo, 0, v7, vcc_lo
	s_and_not1_b32 s24, s24, exec_lo
	s_and_b32 s26, s26, exec_lo
	s_and_not1_b32 s22, s22, exec_lo
	s_and_b32 s25, s25, exec_lo
	s_or_b32 s24, s24, s26
	s_and_not1_b32 s23, s23, exec_lo
	s_or_b32 s22, s22, s25
                                        ; implicit-def: $sgpr25
	s_branch .LBB268_793
.LBB268_796:
	s_or_b32 exec_lo, exec_lo, s20
	s_xor_b32 s3, s21, -1
	s_branch .LBB268_798
.LBB268_797:
	s_mov_b32 s3, -1
.LBB268_798:
	s_delay_alu instid0(SALU_CYCLE_1)
	s_and_b32 s3, s3, exec_lo
.LBB268_799:
	s_or_b32 exec_lo, exec_lo, s13
	s_delay_alu instid0(SALU_CYCLE_1)
	s_or_not1_b32 s13, s3, exec_lo
.LBB268_800:
	s_or_b32 exec_lo, exec_lo, s17
	v_cndmask_b32_e64 v4, v9, v8, s13
	v_cndmask_b32_e64 v5, v20, v22, s13
	s_mov_b32 s17, exec_lo
	s_delay_alu instid0(VALU_DEP_2) | instskip(NEXT) | instid1(VALU_DEP_2)
	v_add_nc_u32_e32 v10, 1, v4
	v_add_nc_u32_e32 v4, -1, v5
	s_delay_alu instid0(VALU_DEP_2) | instskip(NEXT) | instid1(VALU_DEP_2)
	v_cndmask_b32_e64 v9, v10, v9, s13
	v_min_u32_e32 v4, v10, v4
	s_delay_alu instid0(VALU_DEP_1)
	v_lshl_add_u32 v4, v4, 3, v18
	ds_load_b64 v[4:5], v4
	s_waitcnt lgkmcnt(0)
	v_cndmask_b32_e64 v7, v29, v5, s13
	v_cndmask_b32_e64 v6, v30, v4, s13
	v_cmpx_lt_u32_e64 v9, v20
	s_cbranch_execz .LBB268_810
; %bb.801:
	v_cndmask_b32_e64 v8, v8, v10, s13
	v_cndmask_b32_e64 v5, v5, v25, s13
	;; [unrolled: 1-line block ×3, first 2 shown]
	s_mov_b32 s20, exec_lo
	s_delay_alu instid0(VALU_DEP_3)
	v_cmpx_lt_u32_e64 v8, v22
	s_cbranch_execz .LBB268_809
; %bb.802:
	s_and_not1_b32 vcc_lo, exec_lo, s16
	s_cbranch_vccnz .LBB268_808
; %bb.803:
	v_mad_u64_u32 v[8:9], null, v4, s8, s[10:11]
	v_mul_lo_u32 v18, v4, s9
	v_mul_lo_u32 v20, v5, s8
	v_mad_u64_u32 v[10:11], null, v6, s8, s[10:11]
	v_mul_lo_u32 v22, v6, s9
	v_mul_lo_u32 v31, v7, s8
	s_mov_b32 s21, 0
	s_mov_b64 s[4:5], s[8:9]
                                        ; implicit-def: $sgpr22
                                        ; implicit-def: $sgpr23
                                        ; implicit-def: $sgpr24
                                        ; implicit-def: $sgpr25
                                        ; implicit-def: $sgpr26
	s_delay_alu instid0(VALU_DEP_4) | instskip(NEXT) | instid1(VALU_DEP_2)
	v_add3_u32 v9, v20, v9, v18
	v_add3_u32 v11, v31, v11, v22
	s_branch .LBB268_805
.LBB268_804:                            ;   in Loop: Header=BB268_805 Depth=1
	s_or_b32 exec_lo, exec_lo, s3
	s_delay_alu instid0(SALU_CYCLE_1) | instskip(NEXT) | instid1(SALU_CYCLE_1)
	s_and_b32 s3, exec_lo, s23
	s_or_b32 s21, s3, s21
	s_and_not1_b32 s3, s26, exec_lo
	s_and_b32 s26, s25, exec_lo
	s_and_not1_b32 s22, s22, exec_lo
	s_and_b32 s27, s24, exec_lo
	s_or_b32 s26, s3, s26
	s_or_b32 s22, s22, s27
	s_and_not1_b32 exec_lo, exec_lo, s21
	s_cbranch_execz .LBB268_807
.LBB268_805:                            ; =>This Inner Loop Header: Depth=1
	global_load_u8 v18, v[8:9], off
	global_load_u8 v20, v[10:11], off
	s_and_not1_b32 s24, s24, exec_lo
	s_and_not1_b32 s25, s25, exec_lo
	s_or_b32 s23, s23, exec_lo
	s_waitcnt vmcnt(1)
	v_bfe_i32 v22, v18, 0, 8
	s_waitcnt vmcnt(0)
	v_bfe_i32 v31, v20, 0, 8
	v_and_b32_e32 v18, 0xff, v18
	v_and_b32_e32 v20, 0xff, v20
	s_delay_alu instid0(VALU_DEP_3)
	v_cmp_le_i16_e32 vcc_lo, v22, v31
	v_cmp_lt_i16_e64 s3, v22, v31
	s_and_b32 s27, vcc_lo, s26
	s_delay_alu instid0(VALU_DEP_1) | instid1(SALU_CYCLE_1)
	s_or_b32 s27, s3, s27
	s_delay_alu instid0(SALU_CYCLE_1) | instskip(NEXT) | instid1(SALU_CYCLE_1)
	s_and_b32 s3, s27, exec_lo
	s_or_b32 s24, s24, s3
	s_mov_b32 s3, exec_lo
	v_cmpx_eq_u16_e64 v18, v20
	s_cbranch_execz .LBB268_804
; %bb.806:                              ;   in Loop: Header=BB268_805 Depth=1
	s_add_u32 s4, s4, -1
	s_addc_u32 s5, s5, -1
	v_add_co_u32 v8, vcc_lo, v8, 1
	s_cmp_eq_u64 s[4:5], 0
	v_add_co_ci_u32_e32 v9, vcc_lo, 0, v9, vcc_lo
	v_add_co_u32 v10, vcc_lo, v10, 1
	s_cselect_b32 s26, -1, 0
	v_add_co_ci_u32_e32 v11, vcc_lo, 0, v11, vcc_lo
	s_and_not1_b32 s25, s25, exec_lo
	s_and_b32 s27, s27, exec_lo
	s_and_not1_b32 s23, s23, exec_lo
	s_and_b32 s26, s26, exec_lo
	s_or_b32 s25, s25, s27
	s_and_not1_b32 s24, s24, exec_lo
	s_or_b32 s23, s23, s26
                                        ; implicit-def: $sgpr26
	s_branch .LBB268_804
.LBB268_807:
	s_or_b32 exec_lo, exec_lo, s21
	v_cndmask_b32_e64 v7, v7, v5, s22
	v_cndmask_b32_e64 v6, v6, v4, s22
.LBB268_808:
	s_delay_alu instid0(VALU_DEP_1)
	v_dual_mov_b32 v4, v6 :: v_dual_mov_b32 v5, v7
.LBB268_809:
	s_or_b32 exec_lo, exec_lo, s20
	s_delay_alu instid0(VALU_DEP_1)
	v_dual_mov_b32 v7, v5 :: v_dual_mov_b32 v6, v4
.LBB268_810:
	s_or_b32 exec_lo, exec_lo, s17
	v_cndmask_b32_e64 v1, v3, v1, s7
	v_cndmask_b32_e64 v0, v2, v0, s7
	;; [unrolled: 1-line block ×6, first 2 shown]
.LBB268_811:
	s_or_b32 exec_lo, exec_lo, s6
	s_cmpk_lt_u32 s18, 0x41
	; wave barrier
	s_waitcnt lgkmcnt(0)
	s_barrier
	buffer_gl0_inv
	s_cbranch_scc1 .LBB268_871
; %bb.812:
	v_lshlrev_b32_e32 v18, 3, v27
	s_mov_b32 s6, 64
	s_branch .LBB268_818
.LBB268_813:                            ;   in Loop: Header=BB268_818 Depth=1
	s_or_b32 exec_lo, exec_lo, s22
	v_cndmask_b32_e64 v7, v7, v5, s23
	v_cndmask_b32_e64 v6, v6, v4, s23
.LBB268_814:                            ;   in Loop: Header=BB268_818 Depth=1
	s_delay_alu instid0(VALU_DEP_1)
	v_dual_mov_b32 v4, v6 :: v_dual_mov_b32 v5, v7
.LBB268_815:                            ;   in Loop: Header=BB268_818 Depth=1
	s_or_b32 exec_lo, exec_lo, s21
	s_delay_alu instid0(VALU_DEP_1)
	v_dual_mov_b32 v7, v5 :: v_dual_mov_b32 v6, v4
.LBB268_816:                            ;   in Loop: Header=BB268_818 Depth=1
	s_or_b32 exec_lo, exec_lo, s20
	v_cndmask_b32_e64 v1, v3, v1, s12
	v_cndmask_b32_e64 v0, v2, v0, s12
	;; [unrolled: 1-line block ×6, first 2 shown]
.LBB268_817:                            ;   in Loop: Header=BB268_818 Depth=1
	s_or_b32 exec_lo, exec_lo, s7
	s_cmp_lt_u32 s6, s18
	s_barrier
	buffer_gl0_inv
	s_cbranch_scc0 .LBB268_871
.LBB268_818:                            ; =>This Loop Header: Depth=1
                                        ;     Child Loop BB268_822 Depth 2
                                        ;       Child Loop BB268_825 Depth 3
                                        ;     Child Loop BB268_837 Depth 2
                                        ;     Child Loop BB268_847 Depth 2
	;; [unrolled: 1-line block ×4, first 2 shown]
	s_mov_b32 s3, s6
	s_lshl_b32 s6, s6, 1
	s_mov_b32 s7, exec_lo
	s_sub_i32 s4, 0, s6
	ds_store_b128 v18, v[0:3]
	ds_store_b128 v18, v[4:7] offset:16
	v_and_b32_e32 v23, s4, v27
	s_waitcnt lgkmcnt(0)
	s_barrier
	buffer_gl0_inv
	v_add_nc_u32_e32 v8, s3, v23
	v_lshlrev_b32_e32 v22, 3, v23
	s_delay_alu instid0(VALU_DEP_2) | instskip(NEXT) | instid1(VALU_DEP_1)
	v_min_u32_e32 v19, s18, v8
	v_add_nc_u32_e32 v8, s3, v19
	s_add_i32 s3, s6, -1
	s_delay_alu instid0(SALU_CYCLE_1) | instskip(NEXT) | instid1(VALU_DEP_2)
	v_and_b32_e32 v9, s3, v27
	v_min_u32_e32 v20, s18, v8
	v_sub_nc_u32_e32 v8, v19, v23
	s_delay_alu instid0(VALU_DEP_3) | instskip(NEXT) | instid1(VALU_DEP_3)
	v_min_u32_e32 v24, s18, v9
	v_sub_nc_u32_e32 v9, v20, v19
	s_delay_alu instid0(VALU_DEP_2) | instskip(NEXT) | instid1(VALU_DEP_2)
	v_min_u32_e32 v25, v24, v8
	v_sub_nc_u32_e64 v21, v24, v9 clamp
	s_delay_alu instid0(VALU_DEP_1)
	v_cmpx_lt_u32_e64 v21, v25
	s_cbranch_execz .LBB268_828
; %bb.819:                              ;   in Loop: Header=BB268_818 Depth=1
	v_lshlrev_b32_e32 v8, 3, v24
	s_mov_b32 s12, 0
	s_delay_alu instid0(VALU_DEP_1)
	v_lshl_add_u32 v28, v19, 3, v8
	s_branch .LBB268_822
.LBB268_820:                            ;   in Loop: Header=BB268_822 Depth=2
	s_or_b32 exec_lo, exec_lo, s13
.LBB268_821:                            ;   in Loop: Header=BB268_822 Depth=2
	s_delay_alu instid0(VALU_DEP_1) | instskip(SKIP_1) | instid1(VALU_DEP_2)
	v_add_nc_u32_e32 v8, 1, v29
	v_cndmask_b32_e64 v25, v25, v29, s17
	v_cndmask_b32_e64 v21, v8, v21, s17
	s_delay_alu instid0(VALU_DEP_1) | instskip(SKIP_1) | instid1(SALU_CYCLE_1)
	v_cmp_ge_u32_e32 vcc_lo, v21, v25
	s_or_b32 s12, vcc_lo, s12
	s_and_not1_b32 exec_lo, exec_lo, s12
	s_cbranch_execz .LBB268_827
.LBB268_822:                            ;   Parent Loop BB268_818 Depth=1
                                        ; =>  This Loop Header: Depth=2
                                        ;       Child Loop BB268_825 Depth 3
	v_add_nc_u32_e32 v8, v25, v21
	s_and_not1_b32 vcc_lo, exec_lo, s16
	s_mov_b32 s17, 0
	s_delay_alu instid0(VALU_DEP_1)
	v_lshrrev_b32_e32 v29, 1, v8
	s_cbranch_vccnz .LBB268_821
; %bb.823:                              ;   in Loop: Header=BB268_822 Depth=2
	s_delay_alu instid0(VALU_DEP_1) | instskip(SKIP_3) | instid1(VALU_DEP_2)
	v_not_b32_e32 v8, v29
	v_lshl_add_u32 v9, v29, 3, v22
	s_mov_b32 s13, 0
	s_mov_b64 s[4:5], s[8:9]
                                        ; implicit-def: $sgpr17
                                        ; implicit-def: $sgpr20
                                        ; implicit-def: $sgpr21
                                        ; implicit-def: $sgpr22
                                        ; implicit-def: $sgpr23
	v_lshl_add_u32 v8, v8, 3, v28
	ds_load_b64 v[10:11], v8
	ds_load_b64 v[30:31], v9
	s_waitcnt lgkmcnt(1)
	v_mul_lo_u32 v32, v10, s9
	v_mul_lo_u32 v33, v11, s8
	v_mad_u64_u32 v[8:9], null, v10, s8, s[10:11]
	s_waitcnt lgkmcnt(0)
	v_mul_lo_u32 v34, v30, s9
	v_mul_lo_u32 v31, v31, s8
	v_mad_u64_u32 v[10:11], null, v30, s8, s[10:11]
	s_delay_alu instid0(VALU_DEP_4) | instskip(NEXT) | instid1(VALU_DEP_2)
	v_add3_u32 v9, v33, v9, v32
	v_add3_u32 v11, v31, v11, v34
	s_branch .LBB268_825
.LBB268_824:                            ;   in Loop: Header=BB268_825 Depth=3
	s_or_b32 exec_lo, exec_lo, s3
	s_delay_alu instid0(SALU_CYCLE_1) | instskip(NEXT) | instid1(SALU_CYCLE_1)
	s_and_b32 s3, exec_lo, s20
	s_or_b32 s13, s3, s13
	s_and_not1_b32 s3, s23, exec_lo
	s_and_b32 s23, s21, exec_lo
	s_and_not1_b32 s17, s17, exec_lo
	s_and_b32 s24, s22, exec_lo
	s_or_b32 s23, s3, s23
	s_or_b32 s17, s17, s24
	s_and_not1_b32 exec_lo, exec_lo, s13
	s_cbranch_execz .LBB268_820
.LBB268_825:                            ;   Parent Loop BB268_818 Depth=1
                                        ;     Parent Loop BB268_822 Depth=2
                                        ; =>    This Inner Loop Header: Depth=3
	global_load_u8 v30, v[8:9], off
	global_load_u8 v31, v[10:11], off
	s_and_not1_b32 s22, s22, exec_lo
	s_and_not1_b32 s21, s21, exec_lo
	s_or_b32 s20, s20, exec_lo
	s_waitcnt vmcnt(1)
	v_bfe_i32 v32, v30, 0, 8
	s_waitcnt vmcnt(0)
	v_bfe_i32 v33, v31, 0, 8
	v_and_b32_e32 v30, 0xff, v30
	v_and_b32_e32 v31, 0xff, v31
	s_delay_alu instid0(VALU_DEP_3)
	v_cmp_le_i16_e32 vcc_lo, v32, v33
	v_cmp_lt_i16_e64 s3, v32, v33
	s_and_b32 s24, vcc_lo, s23
	s_delay_alu instid0(VALU_DEP_1) | instid1(SALU_CYCLE_1)
	s_or_b32 s24, s3, s24
	s_delay_alu instid0(SALU_CYCLE_1) | instskip(NEXT) | instid1(SALU_CYCLE_1)
	s_and_b32 s3, s24, exec_lo
	s_or_b32 s22, s22, s3
	s_mov_b32 s3, exec_lo
	v_cmpx_eq_u16_e64 v30, v31
	s_cbranch_execz .LBB268_824
; %bb.826:                              ;   in Loop: Header=BB268_825 Depth=3
	s_add_u32 s4, s4, -1
	s_addc_u32 s5, s5, -1
	v_add_co_u32 v8, vcc_lo, v8, 1
	v_add_co_ci_u32_e32 v9, vcc_lo, 0, v9, vcc_lo
	s_cmp_eq_u64 s[4:5], 0
	v_add_co_u32 v10, vcc_lo, v10, 1
	s_cselect_b32 s23, -1, 0
	v_add_co_ci_u32_e32 v11, vcc_lo, 0, v11, vcc_lo
	s_and_not1_b32 s21, s21, exec_lo
	s_and_b32 s24, s24, exec_lo
	s_and_not1_b32 s20, s20, exec_lo
	s_and_b32 s23, s23, exec_lo
	s_and_not1_b32 s22, s22, exec_lo
	s_or_b32 s21, s21, s24
	s_or_b32 s20, s20, s23
                                        ; implicit-def: $sgpr23
	s_branch .LBB268_824
.LBB268_827:                            ;   in Loop: Header=BB268_818 Depth=1
	s_or_b32 exec_lo, exec_lo, s12
.LBB268_828:                            ;   in Loop: Header=BB268_818 Depth=1
	s_delay_alu instid0(SALU_CYCLE_1) | instskip(SKIP_2) | instid1(VALU_DEP_2)
	s_or_b32 exec_lo, exec_lo, s7
	v_sub_nc_u32_e32 v9, v24, v21
	v_add_nc_u32_e32 v8, v21, v23
	v_add_nc_u32_e32 v9, v9, v19
	s_delay_alu instid0(VALU_DEP_2) | instskip(NEXT) | instid1(VALU_DEP_2)
	v_cmp_le_u32_e32 vcc_lo, v8, v19
	v_cmp_le_u32_e64 s3, v9, v20
	s_delay_alu instid0(VALU_DEP_1) | instskip(NEXT) | instid1(SALU_CYCLE_1)
	s_or_b32 s3, vcc_lo, s3
	s_and_saveexec_b32 s7, s3
	s_cbranch_execz .LBB268_817
; %bb.829:                              ;   in Loop: Header=BB268_818 Depth=1
	v_cmp_ge_u32_e32 vcc_lo, v8, v19
	s_mov_b32 s4, exec_lo
                                        ; implicit-def: $vgpr0_vgpr1
	v_cmpx_lt_u32_e64 v8, v19
	s_cbranch_execz .LBB268_831
; %bb.830:                              ;   in Loop: Header=BB268_818 Depth=1
	v_lshl_add_u32 v0, v21, 3, v22
	ds_load_b64 v[0:1], v0
.LBB268_831:                            ;   in Loop: Header=BB268_818 Depth=1
	s_or_b32 exec_lo, exec_lo, s4
	v_cmp_ge_u32_e64 s12, v9, v20
	s_mov_b32 s4, exec_lo
                                        ; implicit-def: $vgpr2_vgpr3
	v_cmpx_lt_u32_e64 v9, v20
	s_cbranch_execz .LBB268_833
; %bb.832:                              ;   in Loop: Header=BB268_818 Depth=1
	v_lshlrev_b32_e32 v2, 3, v9
	ds_load_b64 v[2:3], v2
.LBB268_833:                            ;   in Loop: Header=BB268_818 Depth=1
	s_or_b32 exec_lo, exec_lo, s4
	s_or_b32 s3, vcc_lo, s12
	s_delay_alu instid0(SALU_CYCLE_1) | instskip(NEXT) | instid1(SALU_CYCLE_1)
	s_xor_b32 s3, s3, -1
	s_and_saveexec_b32 s13, s3
	s_cbranch_execz .LBB268_842
; %bb.834:                              ;   in Loop: Header=BB268_818 Depth=1
	s_and_not1_b32 vcc_lo, exec_lo, s16
	s_cbranch_vccnz .LBB268_840
; %bb.835:                              ;   in Loop: Header=BB268_818 Depth=1
	s_waitcnt lgkmcnt(0)
	v_mad_u64_u32 v[4:5], null, v2, s8, s[10:11]
	v_mul_lo_u32 v10, v2, s9
	v_mul_lo_u32 v11, v3, s8
	v_mad_u64_u32 v[6:7], null, v0, s8, s[10:11]
	v_mul_lo_u32 v21, v0, s9
	v_mul_lo_u32 v22, v1, s8
	s_mov_b32 s17, 0
	s_mov_b64 s[4:5], s[8:9]
                                        ; implicit-def: $sgpr20
                                        ; implicit-def: $sgpr21
                                        ; implicit-def: $sgpr22
                                        ; implicit-def: $sgpr23
                                        ; implicit-def: $sgpr24
	s_delay_alu instid0(VALU_DEP_4) | instskip(NEXT) | instid1(VALU_DEP_2)
	v_add3_u32 v5, v11, v5, v10
	v_add3_u32 v7, v22, v7, v21
	s_branch .LBB268_837
.LBB268_836:                            ;   in Loop: Header=BB268_837 Depth=2
	s_or_b32 exec_lo, exec_lo, s3
	s_delay_alu instid0(SALU_CYCLE_1) | instskip(NEXT) | instid1(SALU_CYCLE_1)
	s_and_b32 s3, exec_lo, s21
	s_or_b32 s17, s3, s17
	s_and_not1_b32 s3, s24, exec_lo
	s_and_b32 s24, s23, exec_lo
	s_and_not1_b32 s20, s20, exec_lo
	s_and_b32 s25, s22, exec_lo
	s_or_b32 s24, s3, s24
	s_or_b32 s20, s20, s25
	s_and_not1_b32 exec_lo, exec_lo, s17
	s_cbranch_execz .LBB268_839
.LBB268_837:                            ;   Parent Loop BB268_818 Depth=1
                                        ; =>  This Inner Loop Header: Depth=2
	global_load_u8 v10, v[4:5], off
	global_load_u8 v11, v[6:7], off
	s_and_not1_b32 s22, s22, exec_lo
	s_and_not1_b32 s23, s23, exec_lo
	s_or_b32 s21, s21, exec_lo
	s_waitcnt vmcnt(1)
	v_bfe_i32 v21, v10, 0, 8
	s_waitcnt vmcnt(0)
	v_bfe_i32 v22, v11, 0, 8
	v_and_b32_e32 v10, 0xff, v10
	v_and_b32_e32 v11, 0xff, v11
	s_delay_alu instid0(VALU_DEP_3)
	v_cmp_le_i16_e32 vcc_lo, v21, v22
	v_cmp_lt_i16_e64 s3, v21, v22
	s_and_b32 s25, vcc_lo, s24
	s_delay_alu instid0(VALU_DEP_1) | instid1(SALU_CYCLE_1)
	s_or_b32 s25, s3, s25
	s_delay_alu instid0(SALU_CYCLE_1) | instskip(NEXT) | instid1(SALU_CYCLE_1)
	s_and_b32 s3, s25, exec_lo
	s_or_b32 s22, s22, s3
	s_mov_b32 s3, exec_lo
	v_cmpx_eq_u16_e64 v10, v11
	s_cbranch_execz .LBB268_836
; %bb.838:                              ;   in Loop: Header=BB268_837 Depth=2
	s_add_u32 s4, s4, -1
	s_addc_u32 s5, s5, -1
	v_add_co_u32 v4, vcc_lo, v4, 1
	s_cmp_eq_u64 s[4:5], 0
	v_add_co_ci_u32_e32 v5, vcc_lo, 0, v5, vcc_lo
	s_cselect_b32 s24, -1, 0
	s_and_not1_b32 s23, s23, exec_lo
	s_and_b32 s25, s25, exec_lo
	v_add_co_u32 v6, vcc_lo, v6, 1
	s_and_not1_b32 s21, s21, exec_lo
	s_and_b32 s24, s24, exec_lo
	v_add_co_ci_u32_e32 v7, vcc_lo, 0, v7, vcc_lo
	s_or_b32 s23, s23, s25
	s_and_not1_b32 s22, s22, exec_lo
	s_or_b32 s21, s21, s24
                                        ; implicit-def: $sgpr24
	s_branch .LBB268_836
.LBB268_839:                            ;   in Loop: Header=BB268_818 Depth=1
	s_or_b32 exec_lo, exec_lo, s17
	s_xor_b32 s3, s20, -1
	s_branch .LBB268_841
.LBB268_840:                            ;   in Loop: Header=BB268_818 Depth=1
	s_mov_b32 s3, -1
.LBB268_841:                            ;   in Loop: Header=BB268_818 Depth=1
	s_and_not1_b32 s4, s12, exec_lo
	s_and_b32 s3, s3, exec_lo
	s_delay_alu instid0(SALU_CYCLE_1)
	s_or_b32 s12, s4, s3
.LBB268_842:                            ;   in Loop: Header=BB268_818 Depth=1
	s_or_b32 exec_lo, exec_lo, s13
	v_cndmask_b32_e64 v4, v9, v8, s12
	v_cndmask_b32_e64 v5, v20, v19, s12
	s_mov_b32 s13, -1
	s_mov_b32 s17, -1
	s_mov_b32 s20, exec_lo
	v_add_nc_u32_e32 v6, 1, v4
	v_add_nc_u32_e32 v4, -1, v5
	s_delay_alu instid0(VALU_DEP_2) | instskip(NEXT) | instid1(VALU_DEP_2)
	v_cndmask_b32_e64 v9, v6, v9, s12
	v_min_u32_e32 v4, v6, v4
	v_cndmask_b32_e64 v8, v8, v6, s12
	s_delay_alu instid0(VALU_DEP_2)
	v_lshlrev_b32_e32 v4, 3, v4
	ds_load_b64 v[4:5], v4
	s_waitcnt lgkmcnt(0)
	v_cndmask_b32_e64 v21, v5, v3, s12
	v_cndmask_b32_e64 v22, v4, v2, s12
	v_cndmask_b32_e64 v23, v1, v5, s12
	v_cndmask_b32_e64 v24, v0, v4, s12
	v_cmpx_lt_u32_e64 v9, v20
	s_cbranch_execz .LBB268_853
; %bb.843:                              ;   in Loop: Header=BB268_818 Depth=1
	s_mov_b32 s3, 0
	s_mov_b32 s17, exec_lo
	v_cmpx_lt_u32_e64 v8, v19
	s_cbranch_execz .LBB268_852
; %bb.844:                              ;   in Loop: Header=BB268_818 Depth=1
	s_and_not1_b32 vcc_lo, exec_lo, s16
	s_cbranch_vccnz .LBB268_850
; %bb.845:                              ;   in Loop: Header=BB268_818 Depth=1
	v_mad_u64_u32 v[4:5], null, v22, s8, s[10:11]
	v_mul_lo_u32 v10, v22, s9
	v_mul_lo_u32 v11, v21, s8
	v_mad_u64_u32 v[6:7], null, v24, s8, s[10:11]
	v_mul_lo_u32 v25, v24, s9
	v_mul_lo_u32 v28, v23, s8
	s_mov_b32 s21, 0
	s_mov_b64 s[4:5], s[8:9]
                                        ; implicit-def: $sgpr22
                                        ; implicit-def: $sgpr23
                                        ; implicit-def: $sgpr24
                                        ; implicit-def: $sgpr25
                                        ; implicit-def: $sgpr26
	s_delay_alu instid0(VALU_DEP_4) | instskip(NEXT) | instid1(VALU_DEP_2)
	v_add3_u32 v5, v11, v5, v10
	v_add3_u32 v7, v28, v7, v25
	s_branch .LBB268_847
.LBB268_846:                            ;   in Loop: Header=BB268_847 Depth=2
	s_or_b32 exec_lo, exec_lo, s3
	s_delay_alu instid0(SALU_CYCLE_1) | instskip(NEXT) | instid1(SALU_CYCLE_1)
	s_and_b32 s3, exec_lo, s23
	s_or_b32 s21, s3, s21
	s_and_not1_b32 s3, s26, exec_lo
	s_and_b32 s26, s25, exec_lo
	s_and_not1_b32 s22, s22, exec_lo
	s_and_b32 s27, s24, exec_lo
	s_or_b32 s26, s3, s26
	s_or_b32 s22, s22, s27
	s_and_not1_b32 exec_lo, exec_lo, s21
	s_cbranch_execz .LBB268_849
.LBB268_847:                            ;   Parent Loop BB268_818 Depth=1
                                        ; =>  This Inner Loop Header: Depth=2
	global_load_u8 v10, v[4:5], off
	global_load_u8 v11, v[6:7], off
	s_and_not1_b32 s24, s24, exec_lo
	s_and_not1_b32 s25, s25, exec_lo
	s_or_b32 s23, s23, exec_lo
	s_waitcnt vmcnt(1)
	v_bfe_i32 v25, v10, 0, 8
	s_waitcnt vmcnt(0)
	v_bfe_i32 v28, v11, 0, 8
	v_and_b32_e32 v10, 0xff, v10
	v_and_b32_e32 v11, 0xff, v11
	s_delay_alu instid0(VALU_DEP_3)
	v_cmp_le_i16_e32 vcc_lo, v25, v28
	v_cmp_lt_i16_e64 s3, v25, v28
	s_and_b32 s27, vcc_lo, s26
	s_delay_alu instid0(VALU_DEP_1) | instid1(SALU_CYCLE_1)
	s_or_b32 s27, s3, s27
	s_delay_alu instid0(SALU_CYCLE_1) | instskip(NEXT) | instid1(SALU_CYCLE_1)
	s_and_b32 s3, s27, exec_lo
	s_or_b32 s24, s24, s3
	s_mov_b32 s3, exec_lo
	v_cmpx_eq_u16_e64 v10, v11
	s_cbranch_execz .LBB268_846
; %bb.848:                              ;   in Loop: Header=BB268_847 Depth=2
	s_add_u32 s4, s4, -1
	s_addc_u32 s5, s5, -1
	v_add_co_u32 v4, vcc_lo, v4, 1
	s_cmp_eq_u64 s[4:5], 0
	v_add_co_ci_u32_e32 v5, vcc_lo, 0, v5, vcc_lo
	v_add_co_u32 v6, vcc_lo, v6, 1
	s_cselect_b32 s26, -1, 0
	v_add_co_ci_u32_e32 v7, vcc_lo, 0, v7, vcc_lo
	s_and_not1_b32 s25, s25, exec_lo
	s_and_b32 s27, s27, exec_lo
	s_and_not1_b32 s23, s23, exec_lo
	s_and_b32 s26, s26, exec_lo
	s_or_b32 s25, s25, s27
	s_and_not1_b32 s24, s24, exec_lo
	s_or_b32 s23, s23, s26
                                        ; implicit-def: $sgpr26
	s_branch .LBB268_846
.LBB268_849:                            ;   in Loop: Header=BB268_818 Depth=1
	s_or_b32 exec_lo, exec_lo, s21
	s_xor_b32 s3, s22, -1
	s_branch .LBB268_851
.LBB268_850:                            ;   in Loop: Header=BB268_818 Depth=1
	s_mov_b32 s3, -1
.LBB268_851:                            ;   in Loop: Header=BB268_818 Depth=1
	s_delay_alu instid0(SALU_CYCLE_1)
	s_and_b32 s3, s3, exec_lo
.LBB268_852:                            ;   in Loop: Header=BB268_818 Depth=1
	s_or_b32 exec_lo, exec_lo, s17
	s_delay_alu instid0(SALU_CYCLE_1)
	s_or_not1_b32 s17, s3, exec_lo
.LBB268_853:                            ;   in Loop: Header=BB268_818 Depth=1
	s_or_b32 exec_lo, exec_lo, s20
	v_cndmask_b32_e64 v4, v9, v8, s17
	v_cndmask_b32_e64 v5, v20, v19, s17
	s_mov_b32 s20, exec_lo
	s_delay_alu instid0(VALU_DEP_2) | instskip(NEXT) | instid1(VALU_DEP_2)
	v_add_nc_u32_e32 v6, 1, v4
	v_add_nc_u32_e32 v4, -1, v5
	s_delay_alu instid0(VALU_DEP_2) | instskip(NEXT) | instid1(VALU_DEP_2)
	v_cndmask_b32_e64 v9, v6, v9, s17
	v_min_u32_e32 v4, v6, v4
	v_cndmask_b32_e64 v8, v8, v6, s17
	s_delay_alu instid0(VALU_DEP_2)
	v_lshlrev_b32_e32 v4, 3, v4
	ds_load_b64 v[4:5], v4
	s_waitcnt lgkmcnt(0)
	v_cndmask_b32_e64 v25, v5, v21, s17
	v_cndmask_b32_e64 v28, v4, v22, s17
	;; [unrolled: 1-line block ×4, first 2 shown]
	v_cmpx_lt_u32_e64 v9, v20
	s_cbranch_execz .LBB268_864
; %bb.854:                              ;   in Loop: Header=BB268_818 Depth=1
	s_mov_b32 s3, 0
	s_mov_b32 s13, exec_lo
	v_cmpx_lt_u32_e64 v8, v19
	s_cbranch_execz .LBB268_863
; %bb.855:                              ;   in Loop: Header=BB268_818 Depth=1
	s_and_not1_b32 vcc_lo, exec_lo, s16
	s_cbranch_vccnz .LBB268_861
; %bb.856:                              ;   in Loop: Header=BB268_818 Depth=1
	v_mad_u64_u32 v[4:5], null, v28, s8, s[10:11]
	v_mul_lo_u32 v10, v28, s9
	v_mul_lo_u32 v11, v25, s8
	v_mad_u64_u32 v[6:7], null, v30, s8, s[10:11]
	v_mul_lo_u32 v31, v30, s9
	v_mul_lo_u32 v32, v29, s8
	s_mov_b32 s21, 0
	s_mov_b64 s[4:5], s[8:9]
                                        ; implicit-def: $sgpr22
                                        ; implicit-def: $sgpr23
                                        ; implicit-def: $sgpr24
                                        ; implicit-def: $sgpr25
                                        ; implicit-def: $sgpr26
	s_delay_alu instid0(VALU_DEP_4) | instskip(NEXT) | instid1(VALU_DEP_2)
	v_add3_u32 v5, v11, v5, v10
	v_add3_u32 v7, v32, v7, v31
	s_branch .LBB268_858
.LBB268_857:                            ;   in Loop: Header=BB268_858 Depth=2
	s_or_b32 exec_lo, exec_lo, s3
	s_delay_alu instid0(SALU_CYCLE_1) | instskip(NEXT) | instid1(SALU_CYCLE_1)
	s_and_b32 s3, exec_lo, s23
	s_or_b32 s21, s3, s21
	s_and_not1_b32 s3, s26, exec_lo
	s_and_b32 s26, s25, exec_lo
	s_and_not1_b32 s22, s22, exec_lo
	s_and_b32 s27, s24, exec_lo
	s_or_b32 s26, s3, s26
	s_or_b32 s22, s22, s27
	s_and_not1_b32 exec_lo, exec_lo, s21
	s_cbranch_execz .LBB268_860
.LBB268_858:                            ;   Parent Loop BB268_818 Depth=1
                                        ; =>  This Inner Loop Header: Depth=2
	global_load_u8 v10, v[4:5], off
	global_load_u8 v11, v[6:7], off
	s_and_not1_b32 s24, s24, exec_lo
	s_and_not1_b32 s25, s25, exec_lo
	s_or_b32 s23, s23, exec_lo
	s_waitcnt vmcnt(1)
	v_bfe_i32 v31, v10, 0, 8
	s_waitcnt vmcnt(0)
	v_bfe_i32 v32, v11, 0, 8
	v_and_b32_e32 v10, 0xff, v10
	v_and_b32_e32 v11, 0xff, v11
	s_delay_alu instid0(VALU_DEP_3)
	v_cmp_le_i16_e32 vcc_lo, v31, v32
	v_cmp_lt_i16_e64 s3, v31, v32
	s_and_b32 s27, vcc_lo, s26
	s_delay_alu instid0(VALU_DEP_1) | instid1(SALU_CYCLE_1)
	s_or_b32 s27, s3, s27
	s_delay_alu instid0(SALU_CYCLE_1) | instskip(NEXT) | instid1(SALU_CYCLE_1)
	s_and_b32 s3, s27, exec_lo
	s_or_b32 s24, s24, s3
	s_mov_b32 s3, exec_lo
	v_cmpx_eq_u16_e64 v10, v11
	s_cbranch_execz .LBB268_857
; %bb.859:                              ;   in Loop: Header=BB268_858 Depth=2
	s_add_u32 s4, s4, -1
	s_addc_u32 s5, s5, -1
	v_add_co_u32 v4, vcc_lo, v4, 1
	s_cmp_eq_u64 s[4:5], 0
	v_add_co_ci_u32_e32 v5, vcc_lo, 0, v5, vcc_lo
	v_add_co_u32 v6, vcc_lo, v6, 1
	s_cselect_b32 s26, -1, 0
	v_add_co_ci_u32_e32 v7, vcc_lo, 0, v7, vcc_lo
	s_and_not1_b32 s25, s25, exec_lo
	s_and_b32 s27, s27, exec_lo
	s_and_not1_b32 s23, s23, exec_lo
	s_and_b32 s26, s26, exec_lo
	s_or_b32 s25, s25, s27
	s_and_not1_b32 s24, s24, exec_lo
	s_or_b32 s23, s23, s26
                                        ; implicit-def: $sgpr26
	s_branch .LBB268_857
.LBB268_860:                            ;   in Loop: Header=BB268_818 Depth=1
	s_or_b32 exec_lo, exec_lo, s21
	s_xor_b32 s3, s22, -1
	s_branch .LBB268_862
.LBB268_861:                            ;   in Loop: Header=BB268_818 Depth=1
	s_mov_b32 s3, -1
.LBB268_862:                            ;   in Loop: Header=BB268_818 Depth=1
	s_delay_alu instid0(SALU_CYCLE_1)
	s_and_b32 s3, s3, exec_lo
.LBB268_863:                            ;   in Loop: Header=BB268_818 Depth=1
	s_or_b32 exec_lo, exec_lo, s13
	s_delay_alu instid0(SALU_CYCLE_1)
	s_or_not1_b32 s13, s3, exec_lo
.LBB268_864:                            ;   in Loop: Header=BB268_818 Depth=1
	s_or_b32 exec_lo, exec_lo, s20
	v_cndmask_b32_e64 v4, v9, v8, s13
	v_cndmask_b32_e64 v5, v20, v19, s13
	s_mov_b32 s20, exec_lo
	s_delay_alu instid0(VALU_DEP_2) | instskip(NEXT) | instid1(VALU_DEP_2)
	v_add_nc_u32_e32 v10, 1, v4
	v_add_nc_u32_e32 v4, -1, v5
	s_delay_alu instid0(VALU_DEP_2) | instskip(NEXT) | instid1(VALU_DEP_2)
	v_cndmask_b32_e64 v9, v10, v9, s13
	v_min_u32_e32 v4, v10, v4
	s_delay_alu instid0(VALU_DEP_1)
	v_lshlrev_b32_e32 v4, 3, v4
	ds_load_b64 v[4:5], v4
	s_waitcnt lgkmcnt(0)
	v_cndmask_b32_e64 v7, v29, v5, s13
	v_cndmask_b32_e64 v6, v30, v4, s13
	v_cmpx_lt_u32_e64 v9, v20
	s_cbranch_execz .LBB268_816
; %bb.865:                              ;   in Loop: Header=BB268_818 Depth=1
	v_cndmask_b32_e64 v8, v8, v10, s13
	v_cndmask_b32_e64 v5, v5, v25, s13
	;; [unrolled: 1-line block ×3, first 2 shown]
	s_mov_b32 s21, exec_lo
	s_delay_alu instid0(VALU_DEP_3)
	v_cmpx_lt_u32_e64 v8, v19
	s_cbranch_execz .LBB268_815
; %bb.866:                              ;   in Loop: Header=BB268_818 Depth=1
	s_and_not1_b32 vcc_lo, exec_lo, s16
	s_cbranch_vccnz .LBB268_814
; %bb.867:                              ;   in Loop: Header=BB268_818 Depth=1
	v_mad_u64_u32 v[8:9], null, v4, s8, s[10:11]
	v_mul_lo_u32 v19, v4, s9
	v_mul_lo_u32 v20, v5, s8
	v_mad_u64_u32 v[10:11], null, v6, s8, s[10:11]
	v_mul_lo_u32 v31, v6, s9
	v_mul_lo_u32 v32, v7, s8
	s_mov_b32 s22, 0
	s_mov_b64 s[4:5], s[8:9]
                                        ; implicit-def: $sgpr23
                                        ; implicit-def: $sgpr24
                                        ; implicit-def: $sgpr25
                                        ; implicit-def: $sgpr26
                                        ; implicit-def: $sgpr27
	s_delay_alu instid0(VALU_DEP_4) | instskip(NEXT) | instid1(VALU_DEP_2)
	v_add3_u32 v9, v20, v9, v19
	v_add3_u32 v11, v32, v11, v31
	s_branch .LBB268_869
.LBB268_868:                            ;   in Loop: Header=BB268_869 Depth=2
	s_or_b32 exec_lo, exec_lo, s3
	s_delay_alu instid0(SALU_CYCLE_1) | instskip(NEXT) | instid1(SALU_CYCLE_1)
	s_and_b32 s3, exec_lo, s24
	s_or_b32 s22, s3, s22
	s_and_not1_b32 s3, s27, exec_lo
	s_and_b32 s27, s26, exec_lo
	s_and_not1_b32 s23, s23, exec_lo
	s_and_b32 s28, s25, exec_lo
	s_or_b32 s27, s3, s27
	s_or_b32 s23, s23, s28
	s_and_not1_b32 exec_lo, exec_lo, s22
	s_cbranch_execz .LBB268_813
.LBB268_869:                            ;   Parent Loop BB268_818 Depth=1
                                        ; =>  This Inner Loop Header: Depth=2
	global_load_u8 v19, v[8:9], off
	global_load_u8 v20, v[10:11], off
	s_and_not1_b32 s25, s25, exec_lo
	s_and_not1_b32 s26, s26, exec_lo
	s_or_b32 s24, s24, exec_lo
	s_waitcnt vmcnt(1)
	v_bfe_i32 v31, v19, 0, 8
	s_waitcnt vmcnt(0)
	v_bfe_i32 v32, v20, 0, 8
	v_and_b32_e32 v19, 0xff, v19
	v_and_b32_e32 v20, 0xff, v20
	s_delay_alu instid0(VALU_DEP_3)
	v_cmp_le_i16_e32 vcc_lo, v31, v32
	v_cmp_lt_i16_e64 s3, v31, v32
	s_and_b32 s28, vcc_lo, s27
	s_delay_alu instid0(VALU_DEP_1) | instid1(SALU_CYCLE_1)
	s_or_b32 s28, s3, s28
	s_delay_alu instid0(SALU_CYCLE_1) | instskip(NEXT) | instid1(SALU_CYCLE_1)
	s_and_b32 s3, s28, exec_lo
	s_or_b32 s25, s25, s3
	s_mov_b32 s3, exec_lo
	v_cmpx_eq_u16_e64 v19, v20
	s_cbranch_execz .LBB268_868
; %bb.870:                              ;   in Loop: Header=BB268_869 Depth=2
	s_add_u32 s4, s4, -1
	s_addc_u32 s5, s5, -1
	v_add_co_u32 v8, vcc_lo, v8, 1
	s_cmp_eq_u64 s[4:5], 0
	v_add_co_ci_u32_e32 v9, vcc_lo, 0, v9, vcc_lo
	v_add_co_u32 v10, vcc_lo, v10, 1
	s_cselect_b32 s27, -1, 0
	v_add_co_ci_u32_e32 v11, vcc_lo, 0, v11, vcc_lo
	s_and_not1_b32 s26, s26, exec_lo
	s_and_b32 s28, s28, exec_lo
	s_and_not1_b32 s24, s24, exec_lo
	s_and_b32 s27, s27, exec_lo
	s_or_b32 s26, s26, s28
	s_and_not1_b32 s25, s25, exec_lo
	s_or_b32 s24, s24, s27
                                        ; implicit-def: $sgpr27
	s_branch .LBB268_868
.LBB268_871:
	s_barrier
	buffer_gl0_inv
	ds_store_2addr_b64 v17, v[0:1], v[2:3] offset1:1
	ds_store_2addr_b64 v17, v[4:5], v[6:7] offset0:2 offset1:3
	s_waitcnt lgkmcnt(0)
	s_barrier
	buffer_gl0_inv
	ds_load_b64 v[6:7], v13 offset:2048
	ds_load_b64 v[2:3], v15 offset:4096
	;; [unrolled: 1-line block ×3, first 2 shown]
	v_add_co_u32 v4, s3, s14, v26
	v_mov_b32_e32 v13, 0
	v_add_co_ci_u32_e64 v5, null, s15, 0, s3
	s_and_saveexec_b32 s3, s0
	s_cbranch_execnz .LBB268_879
; %bb.872:
	s_or_b32 exec_lo, exec_lo, s3
	s_and_saveexec_b32 s0, s1
	s_cbranch_execnz .LBB268_880
.LBB268_873:
	s_or_b32 exec_lo, exec_lo, s0
	s_and_saveexec_b32 s0, s2
	s_cbranch_execz .LBB268_875
.LBB268_874:
	v_add_co_u32 v4, vcc_lo, 0x1000, v4
	v_add_co_ci_u32_e32 v5, vcc_lo, 0, v5, vcc_lo
	s_waitcnt lgkmcnt(1)
	global_store_b64 v[4:5], v[2:3], off
.LBB268_875:
	s_or_b32 exec_lo, exec_lo, s0
.LBB268_876:
	s_and_saveexec_b32 s0, s19
	s_cbranch_execz .LBB268_878
; %bb.877:
	s_waitcnt lgkmcnt(1)
	v_lshlrev_b64 v[2:3], 3, v[12:13]
	s_delay_alu instid0(VALU_DEP_1) | instskip(NEXT) | instid1(VALU_DEP_2)
	v_add_co_u32 v2, vcc_lo, s14, v2
	v_add_co_ci_u32_e32 v3, vcc_lo, s15, v3, vcc_lo
	s_delay_alu instid0(VALU_DEP_2) | instskip(NEXT) | instid1(VALU_DEP_2)
	v_add_co_u32 v2, vcc_lo, 0x1000, v2
	v_add_co_ci_u32_e32 v3, vcc_lo, 0, v3, vcc_lo
	s_waitcnt lgkmcnt(0)
	global_store_b64 v[2:3], v[0:1], off offset:2048
.LBB268_878:
	s_nop 0
	s_sendmsg sendmsg(MSG_DEALLOC_VGPRS)
	s_endpgm
.LBB268_879:
	ds_load_b64 v[8:9], v14
	s_waitcnt lgkmcnt(0)
	global_store_b64 v[4:5], v[8:9], off
	s_or_b32 exec_lo, exec_lo, s3
	s_and_saveexec_b32 s0, s1
	s_cbranch_execz .LBB268_873
.LBB268_880:
	s_waitcnt lgkmcnt(2)
	global_store_b64 v[4:5], v[6:7], off offset:2048
	s_or_b32 exec_lo, exec_lo, s0
	s_and_saveexec_b32 s0, s2
	s_cbranch_execnz .LBB268_874
	s_branch .LBB268_875
	.section	.rodata,"a",@progbits
	.p2align	6, 0x0
	.amdhsa_kernel _ZN7rocprim17ROCPRIM_400000_NS6detail17trampoline_kernelINS0_14default_configENS1_37merge_sort_block_sort_config_selectorIlNS0_10empty_typeEEEZNS1_21merge_sort_block_sortIS3_PlS8_PS5_S9_ZN2at6native12_GLOBAL__N_124unique_dim_cuda_templateIaEESt5tupleIJNSA_6TensorESF_SF_EERKSF_lbbbEUlllE_EE10hipError_tT0_T1_T2_T3_mRjT4_P12ihipStream_tbNS1_7vsmem_tEEUlT_E_NS1_11comp_targetILNS1_3genE9ELNS1_11target_archE1100ELNS1_3gpuE3ELNS1_3repE0EEENS1_30default_config_static_selectorELNS0_4arch9wavefront6targetE0EEEvSM_
		.amdhsa_group_segment_fixed_size 8448
		.amdhsa_private_segment_fixed_size 0
		.amdhsa_kernarg_size 328
		.amdhsa_user_sgpr_count 13
		.amdhsa_user_sgpr_dispatch_ptr 0
		.amdhsa_user_sgpr_queue_ptr 0
		.amdhsa_user_sgpr_kernarg_segment_ptr 1
		.amdhsa_user_sgpr_dispatch_id 0
		.amdhsa_user_sgpr_private_segment_size 0
		.amdhsa_wavefront_size32 1
		.amdhsa_uses_dynamic_stack 0
		.amdhsa_enable_private_segment 0
		.amdhsa_system_sgpr_workgroup_id_x 1
		.amdhsa_system_sgpr_workgroup_id_y 1
		.amdhsa_system_sgpr_workgroup_id_z 1
		.amdhsa_system_sgpr_workgroup_info 0
		.amdhsa_system_vgpr_workitem_id 2
		.amdhsa_next_free_vgpr 49
		.amdhsa_next_free_sgpr 32
		.amdhsa_reserve_vcc 1
		.amdhsa_float_round_mode_32 0
		.amdhsa_float_round_mode_16_64 0
		.amdhsa_float_denorm_mode_32 3
		.amdhsa_float_denorm_mode_16_64 3
		.amdhsa_dx10_clamp 1
		.amdhsa_ieee_mode 1
		.amdhsa_fp16_overflow 0
		.amdhsa_workgroup_processor_mode 1
		.amdhsa_memory_ordered 1
		.amdhsa_forward_progress 0
		.amdhsa_shared_vgpr_count 0
		.amdhsa_exception_fp_ieee_invalid_op 0
		.amdhsa_exception_fp_denorm_src 0
		.amdhsa_exception_fp_ieee_div_zero 0
		.amdhsa_exception_fp_ieee_overflow 0
		.amdhsa_exception_fp_ieee_underflow 0
		.amdhsa_exception_fp_ieee_inexact 0
		.amdhsa_exception_int_div_zero 0
	.end_amdhsa_kernel
	.section	.text._ZN7rocprim17ROCPRIM_400000_NS6detail17trampoline_kernelINS0_14default_configENS1_37merge_sort_block_sort_config_selectorIlNS0_10empty_typeEEEZNS1_21merge_sort_block_sortIS3_PlS8_PS5_S9_ZN2at6native12_GLOBAL__N_124unique_dim_cuda_templateIaEESt5tupleIJNSA_6TensorESF_SF_EERKSF_lbbbEUlllE_EE10hipError_tT0_T1_T2_T3_mRjT4_P12ihipStream_tbNS1_7vsmem_tEEUlT_E_NS1_11comp_targetILNS1_3genE9ELNS1_11target_archE1100ELNS1_3gpuE3ELNS1_3repE0EEENS1_30default_config_static_selectorELNS0_4arch9wavefront6targetE0EEEvSM_,"axG",@progbits,_ZN7rocprim17ROCPRIM_400000_NS6detail17trampoline_kernelINS0_14default_configENS1_37merge_sort_block_sort_config_selectorIlNS0_10empty_typeEEEZNS1_21merge_sort_block_sortIS3_PlS8_PS5_S9_ZN2at6native12_GLOBAL__N_124unique_dim_cuda_templateIaEESt5tupleIJNSA_6TensorESF_SF_EERKSF_lbbbEUlllE_EE10hipError_tT0_T1_T2_T3_mRjT4_P12ihipStream_tbNS1_7vsmem_tEEUlT_E_NS1_11comp_targetILNS1_3genE9ELNS1_11target_archE1100ELNS1_3gpuE3ELNS1_3repE0EEENS1_30default_config_static_selectorELNS0_4arch9wavefront6targetE0EEEvSM_,comdat
.Lfunc_end268:
	.size	_ZN7rocprim17ROCPRIM_400000_NS6detail17trampoline_kernelINS0_14default_configENS1_37merge_sort_block_sort_config_selectorIlNS0_10empty_typeEEEZNS1_21merge_sort_block_sortIS3_PlS8_PS5_S9_ZN2at6native12_GLOBAL__N_124unique_dim_cuda_templateIaEESt5tupleIJNSA_6TensorESF_SF_EERKSF_lbbbEUlllE_EE10hipError_tT0_T1_T2_T3_mRjT4_P12ihipStream_tbNS1_7vsmem_tEEUlT_E_NS1_11comp_targetILNS1_3genE9ELNS1_11target_archE1100ELNS1_3gpuE3ELNS1_3repE0EEENS1_30default_config_static_selectorELNS0_4arch9wavefront6targetE0EEEvSM_, .Lfunc_end268-_ZN7rocprim17ROCPRIM_400000_NS6detail17trampoline_kernelINS0_14default_configENS1_37merge_sort_block_sort_config_selectorIlNS0_10empty_typeEEEZNS1_21merge_sort_block_sortIS3_PlS8_PS5_S9_ZN2at6native12_GLOBAL__N_124unique_dim_cuda_templateIaEESt5tupleIJNSA_6TensorESF_SF_EERKSF_lbbbEUlllE_EE10hipError_tT0_T1_T2_T3_mRjT4_P12ihipStream_tbNS1_7vsmem_tEEUlT_E_NS1_11comp_targetILNS1_3genE9ELNS1_11target_archE1100ELNS1_3gpuE3ELNS1_3repE0EEENS1_30default_config_static_selectorELNS0_4arch9wavefront6targetE0EEEvSM_
                                        ; -- End function
	.section	.AMDGPU.csdata,"",@progbits
; Kernel info:
; codeLenInByte = 42360
; NumSgprs: 34
; NumVgprs: 49
; ScratchSize: 0
; MemoryBound: 0
; FloatMode: 240
; IeeeMode: 1
; LDSByteSize: 8448 bytes/workgroup (compile time only)
; SGPRBlocks: 4
; VGPRBlocks: 6
; NumSGPRsForWavesPerEU: 34
; NumVGPRsForWavesPerEU: 49
; Occupancy: 16
; WaveLimiterHint : 1
; COMPUTE_PGM_RSRC2:SCRATCH_EN: 0
; COMPUTE_PGM_RSRC2:USER_SGPR: 13
; COMPUTE_PGM_RSRC2:TRAP_HANDLER: 0
; COMPUTE_PGM_RSRC2:TGID_X_EN: 1
; COMPUTE_PGM_RSRC2:TGID_Y_EN: 1
; COMPUTE_PGM_RSRC2:TGID_Z_EN: 1
; COMPUTE_PGM_RSRC2:TIDIG_COMP_CNT: 2
	.section	.text._ZN7rocprim17ROCPRIM_400000_NS6detail17trampoline_kernelINS0_14default_configENS1_37merge_sort_block_sort_config_selectorIlNS0_10empty_typeEEEZNS1_21merge_sort_block_sortIS3_PlS8_PS5_S9_ZN2at6native12_GLOBAL__N_124unique_dim_cuda_templateIaEESt5tupleIJNSA_6TensorESF_SF_EERKSF_lbbbEUlllE_EE10hipError_tT0_T1_T2_T3_mRjT4_P12ihipStream_tbNS1_7vsmem_tEEUlT_E_NS1_11comp_targetILNS1_3genE8ELNS1_11target_archE1030ELNS1_3gpuE2ELNS1_3repE0EEENS1_30default_config_static_selectorELNS0_4arch9wavefront6targetE0EEEvSM_,"axG",@progbits,_ZN7rocprim17ROCPRIM_400000_NS6detail17trampoline_kernelINS0_14default_configENS1_37merge_sort_block_sort_config_selectorIlNS0_10empty_typeEEEZNS1_21merge_sort_block_sortIS3_PlS8_PS5_S9_ZN2at6native12_GLOBAL__N_124unique_dim_cuda_templateIaEESt5tupleIJNSA_6TensorESF_SF_EERKSF_lbbbEUlllE_EE10hipError_tT0_T1_T2_T3_mRjT4_P12ihipStream_tbNS1_7vsmem_tEEUlT_E_NS1_11comp_targetILNS1_3genE8ELNS1_11target_archE1030ELNS1_3gpuE2ELNS1_3repE0EEENS1_30default_config_static_selectorELNS0_4arch9wavefront6targetE0EEEvSM_,comdat
	.globl	_ZN7rocprim17ROCPRIM_400000_NS6detail17trampoline_kernelINS0_14default_configENS1_37merge_sort_block_sort_config_selectorIlNS0_10empty_typeEEEZNS1_21merge_sort_block_sortIS3_PlS8_PS5_S9_ZN2at6native12_GLOBAL__N_124unique_dim_cuda_templateIaEESt5tupleIJNSA_6TensorESF_SF_EERKSF_lbbbEUlllE_EE10hipError_tT0_T1_T2_T3_mRjT4_P12ihipStream_tbNS1_7vsmem_tEEUlT_E_NS1_11comp_targetILNS1_3genE8ELNS1_11target_archE1030ELNS1_3gpuE2ELNS1_3repE0EEENS1_30default_config_static_selectorELNS0_4arch9wavefront6targetE0EEEvSM_ ; -- Begin function _ZN7rocprim17ROCPRIM_400000_NS6detail17trampoline_kernelINS0_14default_configENS1_37merge_sort_block_sort_config_selectorIlNS0_10empty_typeEEEZNS1_21merge_sort_block_sortIS3_PlS8_PS5_S9_ZN2at6native12_GLOBAL__N_124unique_dim_cuda_templateIaEESt5tupleIJNSA_6TensorESF_SF_EERKSF_lbbbEUlllE_EE10hipError_tT0_T1_T2_T3_mRjT4_P12ihipStream_tbNS1_7vsmem_tEEUlT_E_NS1_11comp_targetILNS1_3genE8ELNS1_11target_archE1030ELNS1_3gpuE2ELNS1_3repE0EEENS1_30default_config_static_selectorELNS0_4arch9wavefront6targetE0EEEvSM_
	.p2align	8
	.type	_ZN7rocprim17ROCPRIM_400000_NS6detail17trampoline_kernelINS0_14default_configENS1_37merge_sort_block_sort_config_selectorIlNS0_10empty_typeEEEZNS1_21merge_sort_block_sortIS3_PlS8_PS5_S9_ZN2at6native12_GLOBAL__N_124unique_dim_cuda_templateIaEESt5tupleIJNSA_6TensorESF_SF_EERKSF_lbbbEUlllE_EE10hipError_tT0_T1_T2_T3_mRjT4_P12ihipStream_tbNS1_7vsmem_tEEUlT_E_NS1_11comp_targetILNS1_3genE8ELNS1_11target_archE1030ELNS1_3gpuE2ELNS1_3repE0EEENS1_30default_config_static_selectorELNS0_4arch9wavefront6targetE0EEEvSM_,@function
_ZN7rocprim17ROCPRIM_400000_NS6detail17trampoline_kernelINS0_14default_configENS1_37merge_sort_block_sort_config_selectorIlNS0_10empty_typeEEEZNS1_21merge_sort_block_sortIS3_PlS8_PS5_S9_ZN2at6native12_GLOBAL__N_124unique_dim_cuda_templateIaEESt5tupleIJNSA_6TensorESF_SF_EERKSF_lbbbEUlllE_EE10hipError_tT0_T1_T2_T3_mRjT4_P12ihipStream_tbNS1_7vsmem_tEEUlT_E_NS1_11comp_targetILNS1_3genE8ELNS1_11target_archE1030ELNS1_3gpuE2ELNS1_3repE0EEENS1_30default_config_static_selectorELNS0_4arch9wavefront6targetE0EEEvSM_: ; @_ZN7rocprim17ROCPRIM_400000_NS6detail17trampoline_kernelINS0_14default_configENS1_37merge_sort_block_sort_config_selectorIlNS0_10empty_typeEEEZNS1_21merge_sort_block_sortIS3_PlS8_PS5_S9_ZN2at6native12_GLOBAL__N_124unique_dim_cuda_templateIaEESt5tupleIJNSA_6TensorESF_SF_EERKSF_lbbbEUlllE_EE10hipError_tT0_T1_T2_T3_mRjT4_P12ihipStream_tbNS1_7vsmem_tEEUlT_E_NS1_11comp_targetILNS1_3genE8ELNS1_11target_archE1030ELNS1_3gpuE2ELNS1_3repE0EEENS1_30default_config_static_selectorELNS0_4arch9wavefront6targetE0EEEvSM_
; %bb.0:
	.section	.rodata,"a",@progbits
	.p2align	6, 0x0
	.amdhsa_kernel _ZN7rocprim17ROCPRIM_400000_NS6detail17trampoline_kernelINS0_14default_configENS1_37merge_sort_block_sort_config_selectorIlNS0_10empty_typeEEEZNS1_21merge_sort_block_sortIS3_PlS8_PS5_S9_ZN2at6native12_GLOBAL__N_124unique_dim_cuda_templateIaEESt5tupleIJNSA_6TensorESF_SF_EERKSF_lbbbEUlllE_EE10hipError_tT0_T1_T2_T3_mRjT4_P12ihipStream_tbNS1_7vsmem_tEEUlT_E_NS1_11comp_targetILNS1_3genE8ELNS1_11target_archE1030ELNS1_3gpuE2ELNS1_3repE0EEENS1_30default_config_static_selectorELNS0_4arch9wavefront6targetE0EEEvSM_
		.amdhsa_group_segment_fixed_size 0
		.amdhsa_private_segment_fixed_size 0
		.amdhsa_kernarg_size 72
		.amdhsa_user_sgpr_count 15
		.amdhsa_user_sgpr_dispatch_ptr 0
		.amdhsa_user_sgpr_queue_ptr 0
		.amdhsa_user_sgpr_kernarg_segment_ptr 1
		.amdhsa_user_sgpr_dispatch_id 0
		.amdhsa_user_sgpr_private_segment_size 0
		.amdhsa_wavefront_size32 1
		.amdhsa_uses_dynamic_stack 0
		.amdhsa_enable_private_segment 0
		.amdhsa_system_sgpr_workgroup_id_x 1
		.amdhsa_system_sgpr_workgroup_id_y 0
		.amdhsa_system_sgpr_workgroup_id_z 0
		.amdhsa_system_sgpr_workgroup_info 0
		.amdhsa_system_vgpr_workitem_id 0
		.amdhsa_next_free_vgpr 1
		.amdhsa_next_free_sgpr 1
		.amdhsa_reserve_vcc 0
		.amdhsa_float_round_mode_32 0
		.amdhsa_float_round_mode_16_64 0
		.amdhsa_float_denorm_mode_32 3
		.amdhsa_float_denorm_mode_16_64 3
		.amdhsa_dx10_clamp 1
		.amdhsa_ieee_mode 1
		.amdhsa_fp16_overflow 0
		.amdhsa_workgroup_processor_mode 1
		.amdhsa_memory_ordered 1
		.amdhsa_forward_progress 0
		.amdhsa_shared_vgpr_count 0
		.amdhsa_exception_fp_ieee_invalid_op 0
		.amdhsa_exception_fp_denorm_src 0
		.amdhsa_exception_fp_ieee_div_zero 0
		.amdhsa_exception_fp_ieee_overflow 0
		.amdhsa_exception_fp_ieee_underflow 0
		.amdhsa_exception_fp_ieee_inexact 0
		.amdhsa_exception_int_div_zero 0
	.end_amdhsa_kernel
	.section	.text._ZN7rocprim17ROCPRIM_400000_NS6detail17trampoline_kernelINS0_14default_configENS1_37merge_sort_block_sort_config_selectorIlNS0_10empty_typeEEEZNS1_21merge_sort_block_sortIS3_PlS8_PS5_S9_ZN2at6native12_GLOBAL__N_124unique_dim_cuda_templateIaEESt5tupleIJNSA_6TensorESF_SF_EERKSF_lbbbEUlllE_EE10hipError_tT0_T1_T2_T3_mRjT4_P12ihipStream_tbNS1_7vsmem_tEEUlT_E_NS1_11comp_targetILNS1_3genE8ELNS1_11target_archE1030ELNS1_3gpuE2ELNS1_3repE0EEENS1_30default_config_static_selectorELNS0_4arch9wavefront6targetE0EEEvSM_,"axG",@progbits,_ZN7rocprim17ROCPRIM_400000_NS6detail17trampoline_kernelINS0_14default_configENS1_37merge_sort_block_sort_config_selectorIlNS0_10empty_typeEEEZNS1_21merge_sort_block_sortIS3_PlS8_PS5_S9_ZN2at6native12_GLOBAL__N_124unique_dim_cuda_templateIaEESt5tupleIJNSA_6TensorESF_SF_EERKSF_lbbbEUlllE_EE10hipError_tT0_T1_T2_T3_mRjT4_P12ihipStream_tbNS1_7vsmem_tEEUlT_E_NS1_11comp_targetILNS1_3genE8ELNS1_11target_archE1030ELNS1_3gpuE2ELNS1_3repE0EEENS1_30default_config_static_selectorELNS0_4arch9wavefront6targetE0EEEvSM_,comdat
.Lfunc_end269:
	.size	_ZN7rocprim17ROCPRIM_400000_NS6detail17trampoline_kernelINS0_14default_configENS1_37merge_sort_block_sort_config_selectorIlNS0_10empty_typeEEEZNS1_21merge_sort_block_sortIS3_PlS8_PS5_S9_ZN2at6native12_GLOBAL__N_124unique_dim_cuda_templateIaEESt5tupleIJNSA_6TensorESF_SF_EERKSF_lbbbEUlllE_EE10hipError_tT0_T1_T2_T3_mRjT4_P12ihipStream_tbNS1_7vsmem_tEEUlT_E_NS1_11comp_targetILNS1_3genE8ELNS1_11target_archE1030ELNS1_3gpuE2ELNS1_3repE0EEENS1_30default_config_static_selectorELNS0_4arch9wavefront6targetE0EEEvSM_, .Lfunc_end269-_ZN7rocprim17ROCPRIM_400000_NS6detail17trampoline_kernelINS0_14default_configENS1_37merge_sort_block_sort_config_selectorIlNS0_10empty_typeEEEZNS1_21merge_sort_block_sortIS3_PlS8_PS5_S9_ZN2at6native12_GLOBAL__N_124unique_dim_cuda_templateIaEESt5tupleIJNSA_6TensorESF_SF_EERKSF_lbbbEUlllE_EE10hipError_tT0_T1_T2_T3_mRjT4_P12ihipStream_tbNS1_7vsmem_tEEUlT_E_NS1_11comp_targetILNS1_3genE8ELNS1_11target_archE1030ELNS1_3gpuE2ELNS1_3repE0EEENS1_30default_config_static_selectorELNS0_4arch9wavefront6targetE0EEEvSM_
                                        ; -- End function
	.section	.AMDGPU.csdata,"",@progbits
; Kernel info:
; codeLenInByte = 0
; NumSgprs: 0
; NumVgprs: 0
; ScratchSize: 0
; MemoryBound: 0
; FloatMode: 240
; IeeeMode: 1
; LDSByteSize: 0 bytes/workgroup (compile time only)
; SGPRBlocks: 0
; VGPRBlocks: 0
; NumSGPRsForWavesPerEU: 1
; NumVGPRsForWavesPerEU: 1
; Occupancy: 16
; WaveLimiterHint : 0
; COMPUTE_PGM_RSRC2:SCRATCH_EN: 0
; COMPUTE_PGM_RSRC2:USER_SGPR: 15
; COMPUTE_PGM_RSRC2:TRAP_HANDLER: 0
; COMPUTE_PGM_RSRC2:TGID_X_EN: 1
; COMPUTE_PGM_RSRC2:TGID_Y_EN: 0
; COMPUTE_PGM_RSRC2:TGID_Z_EN: 0
; COMPUTE_PGM_RSRC2:TIDIG_COMP_CNT: 0
	.section	.text._ZN7rocprim17ROCPRIM_400000_NS6detail17trampoline_kernelINS0_14default_configENS1_38merge_sort_block_merge_config_selectorIlNS0_10empty_typeEEEZZNS1_27merge_sort_block_merge_implIS3_PlPS5_mZN2at6native12_GLOBAL__N_124unique_dim_cuda_templateIaEESt5tupleIJNSA_6TensorESF_SF_EERKSF_lbbbEUlllE_EE10hipError_tT0_T1_T2_jT3_P12ihipStream_tbPNSt15iterator_traitsISL_E10value_typeEPNSR_ISM_E10value_typeEPSN_NS1_7vsmem_tEENKUlT_SL_SM_SN_E_clIS8_S8_S9_S9_EESK_S10_SL_SM_SN_EUlS10_E_NS1_11comp_targetILNS1_3genE0ELNS1_11target_archE4294967295ELNS1_3gpuE0ELNS1_3repE0EEENS1_48merge_mergepath_partition_config_static_selectorELNS0_4arch9wavefront6targetE0EEEvSM_,"axG",@progbits,_ZN7rocprim17ROCPRIM_400000_NS6detail17trampoline_kernelINS0_14default_configENS1_38merge_sort_block_merge_config_selectorIlNS0_10empty_typeEEEZZNS1_27merge_sort_block_merge_implIS3_PlPS5_mZN2at6native12_GLOBAL__N_124unique_dim_cuda_templateIaEESt5tupleIJNSA_6TensorESF_SF_EERKSF_lbbbEUlllE_EE10hipError_tT0_T1_T2_jT3_P12ihipStream_tbPNSt15iterator_traitsISL_E10value_typeEPNSR_ISM_E10value_typeEPSN_NS1_7vsmem_tEENKUlT_SL_SM_SN_E_clIS8_S8_S9_S9_EESK_S10_SL_SM_SN_EUlS10_E_NS1_11comp_targetILNS1_3genE0ELNS1_11target_archE4294967295ELNS1_3gpuE0ELNS1_3repE0EEENS1_48merge_mergepath_partition_config_static_selectorELNS0_4arch9wavefront6targetE0EEEvSM_,comdat
	.globl	_ZN7rocprim17ROCPRIM_400000_NS6detail17trampoline_kernelINS0_14default_configENS1_38merge_sort_block_merge_config_selectorIlNS0_10empty_typeEEEZZNS1_27merge_sort_block_merge_implIS3_PlPS5_mZN2at6native12_GLOBAL__N_124unique_dim_cuda_templateIaEESt5tupleIJNSA_6TensorESF_SF_EERKSF_lbbbEUlllE_EE10hipError_tT0_T1_T2_jT3_P12ihipStream_tbPNSt15iterator_traitsISL_E10value_typeEPNSR_ISM_E10value_typeEPSN_NS1_7vsmem_tEENKUlT_SL_SM_SN_E_clIS8_S8_S9_S9_EESK_S10_SL_SM_SN_EUlS10_E_NS1_11comp_targetILNS1_3genE0ELNS1_11target_archE4294967295ELNS1_3gpuE0ELNS1_3repE0EEENS1_48merge_mergepath_partition_config_static_selectorELNS0_4arch9wavefront6targetE0EEEvSM_ ; -- Begin function _ZN7rocprim17ROCPRIM_400000_NS6detail17trampoline_kernelINS0_14default_configENS1_38merge_sort_block_merge_config_selectorIlNS0_10empty_typeEEEZZNS1_27merge_sort_block_merge_implIS3_PlPS5_mZN2at6native12_GLOBAL__N_124unique_dim_cuda_templateIaEESt5tupleIJNSA_6TensorESF_SF_EERKSF_lbbbEUlllE_EE10hipError_tT0_T1_T2_jT3_P12ihipStream_tbPNSt15iterator_traitsISL_E10value_typeEPNSR_ISM_E10value_typeEPSN_NS1_7vsmem_tEENKUlT_SL_SM_SN_E_clIS8_S8_S9_S9_EESK_S10_SL_SM_SN_EUlS10_E_NS1_11comp_targetILNS1_3genE0ELNS1_11target_archE4294967295ELNS1_3gpuE0ELNS1_3repE0EEENS1_48merge_mergepath_partition_config_static_selectorELNS0_4arch9wavefront6targetE0EEEvSM_
	.p2align	8
	.type	_ZN7rocprim17ROCPRIM_400000_NS6detail17trampoline_kernelINS0_14default_configENS1_38merge_sort_block_merge_config_selectorIlNS0_10empty_typeEEEZZNS1_27merge_sort_block_merge_implIS3_PlPS5_mZN2at6native12_GLOBAL__N_124unique_dim_cuda_templateIaEESt5tupleIJNSA_6TensorESF_SF_EERKSF_lbbbEUlllE_EE10hipError_tT0_T1_T2_jT3_P12ihipStream_tbPNSt15iterator_traitsISL_E10value_typeEPNSR_ISM_E10value_typeEPSN_NS1_7vsmem_tEENKUlT_SL_SM_SN_E_clIS8_S8_S9_S9_EESK_S10_SL_SM_SN_EUlS10_E_NS1_11comp_targetILNS1_3genE0ELNS1_11target_archE4294967295ELNS1_3gpuE0ELNS1_3repE0EEENS1_48merge_mergepath_partition_config_static_selectorELNS0_4arch9wavefront6targetE0EEEvSM_,@function
_ZN7rocprim17ROCPRIM_400000_NS6detail17trampoline_kernelINS0_14default_configENS1_38merge_sort_block_merge_config_selectorIlNS0_10empty_typeEEEZZNS1_27merge_sort_block_merge_implIS3_PlPS5_mZN2at6native12_GLOBAL__N_124unique_dim_cuda_templateIaEESt5tupleIJNSA_6TensorESF_SF_EERKSF_lbbbEUlllE_EE10hipError_tT0_T1_T2_jT3_P12ihipStream_tbPNSt15iterator_traitsISL_E10value_typeEPNSR_ISM_E10value_typeEPSN_NS1_7vsmem_tEENKUlT_SL_SM_SN_E_clIS8_S8_S9_S9_EESK_S10_SL_SM_SN_EUlS10_E_NS1_11comp_targetILNS1_3genE0ELNS1_11target_archE4294967295ELNS1_3gpuE0ELNS1_3repE0EEENS1_48merge_mergepath_partition_config_static_selectorELNS0_4arch9wavefront6targetE0EEEvSM_: ; @_ZN7rocprim17ROCPRIM_400000_NS6detail17trampoline_kernelINS0_14default_configENS1_38merge_sort_block_merge_config_selectorIlNS0_10empty_typeEEEZZNS1_27merge_sort_block_merge_implIS3_PlPS5_mZN2at6native12_GLOBAL__N_124unique_dim_cuda_templateIaEESt5tupleIJNSA_6TensorESF_SF_EERKSF_lbbbEUlllE_EE10hipError_tT0_T1_T2_jT3_P12ihipStream_tbPNSt15iterator_traitsISL_E10value_typeEPNSR_ISM_E10value_typeEPSN_NS1_7vsmem_tEENKUlT_SL_SM_SN_E_clIS8_S8_S9_S9_EESK_S10_SL_SM_SN_EUlS10_E_NS1_11comp_targetILNS1_3genE0ELNS1_11target_archE4294967295ELNS1_3gpuE0ELNS1_3repE0EEENS1_48merge_mergepath_partition_config_static_selectorELNS0_4arch9wavefront6targetE0EEEvSM_
; %bb.0:
	.section	.rodata,"a",@progbits
	.p2align	6, 0x0
	.amdhsa_kernel _ZN7rocprim17ROCPRIM_400000_NS6detail17trampoline_kernelINS0_14default_configENS1_38merge_sort_block_merge_config_selectorIlNS0_10empty_typeEEEZZNS1_27merge_sort_block_merge_implIS3_PlPS5_mZN2at6native12_GLOBAL__N_124unique_dim_cuda_templateIaEESt5tupleIJNSA_6TensorESF_SF_EERKSF_lbbbEUlllE_EE10hipError_tT0_T1_T2_jT3_P12ihipStream_tbPNSt15iterator_traitsISL_E10value_typeEPNSR_ISM_E10value_typeEPSN_NS1_7vsmem_tEENKUlT_SL_SM_SN_E_clIS8_S8_S9_S9_EESK_S10_SL_SM_SN_EUlS10_E_NS1_11comp_targetILNS1_3genE0ELNS1_11target_archE4294967295ELNS1_3gpuE0ELNS1_3repE0EEENS1_48merge_mergepath_partition_config_static_selectorELNS0_4arch9wavefront6targetE0EEEvSM_
		.amdhsa_group_segment_fixed_size 0
		.amdhsa_private_segment_fixed_size 0
		.amdhsa_kernarg_size 56
		.amdhsa_user_sgpr_count 15
		.amdhsa_user_sgpr_dispatch_ptr 0
		.amdhsa_user_sgpr_queue_ptr 0
		.amdhsa_user_sgpr_kernarg_segment_ptr 1
		.amdhsa_user_sgpr_dispatch_id 0
		.amdhsa_user_sgpr_private_segment_size 0
		.amdhsa_wavefront_size32 1
		.amdhsa_uses_dynamic_stack 0
		.amdhsa_enable_private_segment 0
		.amdhsa_system_sgpr_workgroup_id_x 1
		.amdhsa_system_sgpr_workgroup_id_y 0
		.amdhsa_system_sgpr_workgroup_id_z 0
		.amdhsa_system_sgpr_workgroup_info 0
		.amdhsa_system_vgpr_workitem_id 0
		.amdhsa_next_free_vgpr 1
		.amdhsa_next_free_sgpr 1
		.amdhsa_reserve_vcc 0
		.amdhsa_float_round_mode_32 0
		.amdhsa_float_round_mode_16_64 0
		.amdhsa_float_denorm_mode_32 3
		.amdhsa_float_denorm_mode_16_64 3
		.amdhsa_dx10_clamp 1
		.amdhsa_ieee_mode 1
		.amdhsa_fp16_overflow 0
		.amdhsa_workgroup_processor_mode 1
		.amdhsa_memory_ordered 1
		.amdhsa_forward_progress 0
		.amdhsa_shared_vgpr_count 0
		.amdhsa_exception_fp_ieee_invalid_op 0
		.amdhsa_exception_fp_denorm_src 0
		.amdhsa_exception_fp_ieee_div_zero 0
		.amdhsa_exception_fp_ieee_overflow 0
		.amdhsa_exception_fp_ieee_underflow 0
		.amdhsa_exception_fp_ieee_inexact 0
		.amdhsa_exception_int_div_zero 0
	.end_amdhsa_kernel
	.section	.text._ZN7rocprim17ROCPRIM_400000_NS6detail17trampoline_kernelINS0_14default_configENS1_38merge_sort_block_merge_config_selectorIlNS0_10empty_typeEEEZZNS1_27merge_sort_block_merge_implIS3_PlPS5_mZN2at6native12_GLOBAL__N_124unique_dim_cuda_templateIaEESt5tupleIJNSA_6TensorESF_SF_EERKSF_lbbbEUlllE_EE10hipError_tT0_T1_T2_jT3_P12ihipStream_tbPNSt15iterator_traitsISL_E10value_typeEPNSR_ISM_E10value_typeEPSN_NS1_7vsmem_tEENKUlT_SL_SM_SN_E_clIS8_S8_S9_S9_EESK_S10_SL_SM_SN_EUlS10_E_NS1_11comp_targetILNS1_3genE0ELNS1_11target_archE4294967295ELNS1_3gpuE0ELNS1_3repE0EEENS1_48merge_mergepath_partition_config_static_selectorELNS0_4arch9wavefront6targetE0EEEvSM_,"axG",@progbits,_ZN7rocprim17ROCPRIM_400000_NS6detail17trampoline_kernelINS0_14default_configENS1_38merge_sort_block_merge_config_selectorIlNS0_10empty_typeEEEZZNS1_27merge_sort_block_merge_implIS3_PlPS5_mZN2at6native12_GLOBAL__N_124unique_dim_cuda_templateIaEESt5tupleIJNSA_6TensorESF_SF_EERKSF_lbbbEUlllE_EE10hipError_tT0_T1_T2_jT3_P12ihipStream_tbPNSt15iterator_traitsISL_E10value_typeEPNSR_ISM_E10value_typeEPSN_NS1_7vsmem_tEENKUlT_SL_SM_SN_E_clIS8_S8_S9_S9_EESK_S10_SL_SM_SN_EUlS10_E_NS1_11comp_targetILNS1_3genE0ELNS1_11target_archE4294967295ELNS1_3gpuE0ELNS1_3repE0EEENS1_48merge_mergepath_partition_config_static_selectorELNS0_4arch9wavefront6targetE0EEEvSM_,comdat
.Lfunc_end270:
	.size	_ZN7rocprim17ROCPRIM_400000_NS6detail17trampoline_kernelINS0_14default_configENS1_38merge_sort_block_merge_config_selectorIlNS0_10empty_typeEEEZZNS1_27merge_sort_block_merge_implIS3_PlPS5_mZN2at6native12_GLOBAL__N_124unique_dim_cuda_templateIaEESt5tupleIJNSA_6TensorESF_SF_EERKSF_lbbbEUlllE_EE10hipError_tT0_T1_T2_jT3_P12ihipStream_tbPNSt15iterator_traitsISL_E10value_typeEPNSR_ISM_E10value_typeEPSN_NS1_7vsmem_tEENKUlT_SL_SM_SN_E_clIS8_S8_S9_S9_EESK_S10_SL_SM_SN_EUlS10_E_NS1_11comp_targetILNS1_3genE0ELNS1_11target_archE4294967295ELNS1_3gpuE0ELNS1_3repE0EEENS1_48merge_mergepath_partition_config_static_selectorELNS0_4arch9wavefront6targetE0EEEvSM_, .Lfunc_end270-_ZN7rocprim17ROCPRIM_400000_NS6detail17trampoline_kernelINS0_14default_configENS1_38merge_sort_block_merge_config_selectorIlNS0_10empty_typeEEEZZNS1_27merge_sort_block_merge_implIS3_PlPS5_mZN2at6native12_GLOBAL__N_124unique_dim_cuda_templateIaEESt5tupleIJNSA_6TensorESF_SF_EERKSF_lbbbEUlllE_EE10hipError_tT0_T1_T2_jT3_P12ihipStream_tbPNSt15iterator_traitsISL_E10value_typeEPNSR_ISM_E10value_typeEPSN_NS1_7vsmem_tEENKUlT_SL_SM_SN_E_clIS8_S8_S9_S9_EESK_S10_SL_SM_SN_EUlS10_E_NS1_11comp_targetILNS1_3genE0ELNS1_11target_archE4294967295ELNS1_3gpuE0ELNS1_3repE0EEENS1_48merge_mergepath_partition_config_static_selectorELNS0_4arch9wavefront6targetE0EEEvSM_
                                        ; -- End function
	.section	.AMDGPU.csdata,"",@progbits
; Kernel info:
; codeLenInByte = 0
; NumSgprs: 0
; NumVgprs: 0
; ScratchSize: 0
; MemoryBound: 0
; FloatMode: 240
; IeeeMode: 1
; LDSByteSize: 0 bytes/workgroup (compile time only)
; SGPRBlocks: 0
; VGPRBlocks: 0
; NumSGPRsForWavesPerEU: 1
; NumVGPRsForWavesPerEU: 1
; Occupancy: 16
; WaveLimiterHint : 0
; COMPUTE_PGM_RSRC2:SCRATCH_EN: 0
; COMPUTE_PGM_RSRC2:USER_SGPR: 15
; COMPUTE_PGM_RSRC2:TRAP_HANDLER: 0
; COMPUTE_PGM_RSRC2:TGID_X_EN: 1
; COMPUTE_PGM_RSRC2:TGID_Y_EN: 0
; COMPUTE_PGM_RSRC2:TGID_Z_EN: 0
; COMPUTE_PGM_RSRC2:TIDIG_COMP_CNT: 0
	.section	.text._ZN7rocprim17ROCPRIM_400000_NS6detail17trampoline_kernelINS0_14default_configENS1_38merge_sort_block_merge_config_selectorIlNS0_10empty_typeEEEZZNS1_27merge_sort_block_merge_implIS3_PlPS5_mZN2at6native12_GLOBAL__N_124unique_dim_cuda_templateIaEESt5tupleIJNSA_6TensorESF_SF_EERKSF_lbbbEUlllE_EE10hipError_tT0_T1_T2_jT3_P12ihipStream_tbPNSt15iterator_traitsISL_E10value_typeEPNSR_ISM_E10value_typeEPSN_NS1_7vsmem_tEENKUlT_SL_SM_SN_E_clIS8_S8_S9_S9_EESK_S10_SL_SM_SN_EUlS10_E_NS1_11comp_targetILNS1_3genE10ELNS1_11target_archE1201ELNS1_3gpuE5ELNS1_3repE0EEENS1_48merge_mergepath_partition_config_static_selectorELNS0_4arch9wavefront6targetE0EEEvSM_,"axG",@progbits,_ZN7rocprim17ROCPRIM_400000_NS6detail17trampoline_kernelINS0_14default_configENS1_38merge_sort_block_merge_config_selectorIlNS0_10empty_typeEEEZZNS1_27merge_sort_block_merge_implIS3_PlPS5_mZN2at6native12_GLOBAL__N_124unique_dim_cuda_templateIaEESt5tupleIJNSA_6TensorESF_SF_EERKSF_lbbbEUlllE_EE10hipError_tT0_T1_T2_jT3_P12ihipStream_tbPNSt15iterator_traitsISL_E10value_typeEPNSR_ISM_E10value_typeEPSN_NS1_7vsmem_tEENKUlT_SL_SM_SN_E_clIS8_S8_S9_S9_EESK_S10_SL_SM_SN_EUlS10_E_NS1_11comp_targetILNS1_3genE10ELNS1_11target_archE1201ELNS1_3gpuE5ELNS1_3repE0EEENS1_48merge_mergepath_partition_config_static_selectorELNS0_4arch9wavefront6targetE0EEEvSM_,comdat
	.globl	_ZN7rocprim17ROCPRIM_400000_NS6detail17trampoline_kernelINS0_14default_configENS1_38merge_sort_block_merge_config_selectorIlNS0_10empty_typeEEEZZNS1_27merge_sort_block_merge_implIS3_PlPS5_mZN2at6native12_GLOBAL__N_124unique_dim_cuda_templateIaEESt5tupleIJNSA_6TensorESF_SF_EERKSF_lbbbEUlllE_EE10hipError_tT0_T1_T2_jT3_P12ihipStream_tbPNSt15iterator_traitsISL_E10value_typeEPNSR_ISM_E10value_typeEPSN_NS1_7vsmem_tEENKUlT_SL_SM_SN_E_clIS8_S8_S9_S9_EESK_S10_SL_SM_SN_EUlS10_E_NS1_11comp_targetILNS1_3genE10ELNS1_11target_archE1201ELNS1_3gpuE5ELNS1_3repE0EEENS1_48merge_mergepath_partition_config_static_selectorELNS0_4arch9wavefront6targetE0EEEvSM_ ; -- Begin function _ZN7rocprim17ROCPRIM_400000_NS6detail17trampoline_kernelINS0_14default_configENS1_38merge_sort_block_merge_config_selectorIlNS0_10empty_typeEEEZZNS1_27merge_sort_block_merge_implIS3_PlPS5_mZN2at6native12_GLOBAL__N_124unique_dim_cuda_templateIaEESt5tupleIJNSA_6TensorESF_SF_EERKSF_lbbbEUlllE_EE10hipError_tT0_T1_T2_jT3_P12ihipStream_tbPNSt15iterator_traitsISL_E10value_typeEPNSR_ISM_E10value_typeEPSN_NS1_7vsmem_tEENKUlT_SL_SM_SN_E_clIS8_S8_S9_S9_EESK_S10_SL_SM_SN_EUlS10_E_NS1_11comp_targetILNS1_3genE10ELNS1_11target_archE1201ELNS1_3gpuE5ELNS1_3repE0EEENS1_48merge_mergepath_partition_config_static_selectorELNS0_4arch9wavefront6targetE0EEEvSM_
	.p2align	8
	.type	_ZN7rocprim17ROCPRIM_400000_NS6detail17trampoline_kernelINS0_14default_configENS1_38merge_sort_block_merge_config_selectorIlNS0_10empty_typeEEEZZNS1_27merge_sort_block_merge_implIS3_PlPS5_mZN2at6native12_GLOBAL__N_124unique_dim_cuda_templateIaEESt5tupleIJNSA_6TensorESF_SF_EERKSF_lbbbEUlllE_EE10hipError_tT0_T1_T2_jT3_P12ihipStream_tbPNSt15iterator_traitsISL_E10value_typeEPNSR_ISM_E10value_typeEPSN_NS1_7vsmem_tEENKUlT_SL_SM_SN_E_clIS8_S8_S9_S9_EESK_S10_SL_SM_SN_EUlS10_E_NS1_11comp_targetILNS1_3genE10ELNS1_11target_archE1201ELNS1_3gpuE5ELNS1_3repE0EEENS1_48merge_mergepath_partition_config_static_selectorELNS0_4arch9wavefront6targetE0EEEvSM_,@function
_ZN7rocprim17ROCPRIM_400000_NS6detail17trampoline_kernelINS0_14default_configENS1_38merge_sort_block_merge_config_selectorIlNS0_10empty_typeEEEZZNS1_27merge_sort_block_merge_implIS3_PlPS5_mZN2at6native12_GLOBAL__N_124unique_dim_cuda_templateIaEESt5tupleIJNSA_6TensorESF_SF_EERKSF_lbbbEUlllE_EE10hipError_tT0_T1_T2_jT3_P12ihipStream_tbPNSt15iterator_traitsISL_E10value_typeEPNSR_ISM_E10value_typeEPSN_NS1_7vsmem_tEENKUlT_SL_SM_SN_E_clIS8_S8_S9_S9_EESK_S10_SL_SM_SN_EUlS10_E_NS1_11comp_targetILNS1_3genE10ELNS1_11target_archE1201ELNS1_3gpuE5ELNS1_3repE0EEENS1_48merge_mergepath_partition_config_static_selectorELNS0_4arch9wavefront6targetE0EEEvSM_: ; @_ZN7rocprim17ROCPRIM_400000_NS6detail17trampoline_kernelINS0_14default_configENS1_38merge_sort_block_merge_config_selectorIlNS0_10empty_typeEEEZZNS1_27merge_sort_block_merge_implIS3_PlPS5_mZN2at6native12_GLOBAL__N_124unique_dim_cuda_templateIaEESt5tupleIJNSA_6TensorESF_SF_EERKSF_lbbbEUlllE_EE10hipError_tT0_T1_T2_jT3_P12ihipStream_tbPNSt15iterator_traitsISL_E10value_typeEPNSR_ISM_E10value_typeEPSN_NS1_7vsmem_tEENKUlT_SL_SM_SN_E_clIS8_S8_S9_S9_EESK_S10_SL_SM_SN_EUlS10_E_NS1_11comp_targetILNS1_3genE10ELNS1_11target_archE1201ELNS1_3gpuE5ELNS1_3repE0EEENS1_48merge_mergepath_partition_config_static_selectorELNS0_4arch9wavefront6targetE0EEEvSM_
; %bb.0:
	.section	.rodata,"a",@progbits
	.p2align	6, 0x0
	.amdhsa_kernel _ZN7rocprim17ROCPRIM_400000_NS6detail17trampoline_kernelINS0_14default_configENS1_38merge_sort_block_merge_config_selectorIlNS0_10empty_typeEEEZZNS1_27merge_sort_block_merge_implIS3_PlPS5_mZN2at6native12_GLOBAL__N_124unique_dim_cuda_templateIaEESt5tupleIJNSA_6TensorESF_SF_EERKSF_lbbbEUlllE_EE10hipError_tT0_T1_T2_jT3_P12ihipStream_tbPNSt15iterator_traitsISL_E10value_typeEPNSR_ISM_E10value_typeEPSN_NS1_7vsmem_tEENKUlT_SL_SM_SN_E_clIS8_S8_S9_S9_EESK_S10_SL_SM_SN_EUlS10_E_NS1_11comp_targetILNS1_3genE10ELNS1_11target_archE1201ELNS1_3gpuE5ELNS1_3repE0EEENS1_48merge_mergepath_partition_config_static_selectorELNS0_4arch9wavefront6targetE0EEEvSM_
		.amdhsa_group_segment_fixed_size 0
		.amdhsa_private_segment_fixed_size 0
		.amdhsa_kernarg_size 56
		.amdhsa_user_sgpr_count 15
		.amdhsa_user_sgpr_dispatch_ptr 0
		.amdhsa_user_sgpr_queue_ptr 0
		.amdhsa_user_sgpr_kernarg_segment_ptr 1
		.amdhsa_user_sgpr_dispatch_id 0
		.amdhsa_user_sgpr_private_segment_size 0
		.amdhsa_wavefront_size32 1
		.amdhsa_uses_dynamic_stack 0
		.amdhsa_enable_private_segment 0
		.amdhsa_system_sgpr_workgroup_id_x 1
		.amdhsa_system_sgpr_workgroup_id_y 0
		.amdhsa_system_sgpr_workgroup_id_z 0
		.amdhsa_system_sgpr_workgroup_info 0
		.amdhsa_system_vgpr_workitem_id 0
		.amdhsa_next_free_vgpr 1
		.amdhsa_next_free_sgpr 1
		.amdhsa_reserve_vcc 0
		.amdhsa_float_round_mode_32 0
		.amdhsa_float_round_mode_16_64 0
		.amdhsa_float_denorm_mode_32 3
		.amdhsa_float_denorm_mode_16_64 3
		.amdhsa_dx10_clamp 1
		.amdhsa_ieee_mode 1
		.amdhsa_fp16_overflow 0
		.amdhsa_workgroup_processor_mode 1
		.amdhsa_memory_ordered 1
		.amdhsa_forward_progress 0
		.amdhsa_shared_vgpr_count 0
		.amdhsa_exception_fp_ieee_invalid_op 0
		.amdhsa_exception_fp_denorm_src 0
		.amdhsa_exception_fp_ieee_div_zero 0
		.amdhsa_exception_fp_ieee_overflow 0
		.amdhsa_exception_fp_ieee_underflow 0
		.amdhsa_exception_fp_ieee_inexact 0
		.amdhsa_exception_int_div_zero 0
	.end_amdhsa_kernel
	.section	.text._ZN7rocprim17ROCPRIM_400000_NS6detail17trampoline_kernelINS0_14default_configENS1_38merge_sort_block_merge_config_selectorIlNS0_10empty_typeEEEZZNS1_27merge_sort_block_merge_implIS3_PlPS5_mZN2at6native12_GLOBAL__N_124unique_dim_cuda_templateIaEESt5tupleIJNSA_6TensorESF_SF_EERKSF_lbbbEUlllE_EE10hipError_tT0_T1_T2_jT3_P12ihipStream_tbPNSt15iterator_traitsISL_E10value_typeEPNSR_ISM_E10value_typeEPSN_NS1_7vsmem_tEENKUlT_SL_SM_SN_E_clIS8_S8_S9_S9_EESK_S10_SL_SM_SN_EUlS10_E_NS1_11comp_targetILNS1_3genE10ELNS1_11target_archE1201ELNS1_3gpuE5ELNS1_3repE0EEENS1_48merge_mergepath_partition_config_static_selectorELNS0_4arch9wavefront6targetE0EEEvSM_,"axG",@progbits,_ZN7rocprim17ROCPRIM_400000_NS6detail17trampoline_kernelINS0_14default_configENS1_38merge_sort_block_merge_config_selectorIlNS0_10empty_typeEEEZZNS1_27merge_sort_block_merge_implIS3_PlPS5_mZN2at6native12_GLOBAL__N_124unique_dim_cuda_templateIaEESt5tupleIJNSA_6TensorESF_SF_EERKSF_lbbbEUlllE_EE10hipError_tT0_T1_T2_jT3_P12ihipStream_tbPNSt15iterator_traitsISL_E10value_typeEPNSR_ISM_E10value_typeEPSN_NS1_7vsmem_tEENKUlT_SL_SM_SN_E_clIS8_S8_S9_S9_EESK_S10_SL_SM_SN_EUlS10_E_NS1_11comp_targetILNS1_3genE10ELNS1_11target_archE1201ELNS1_3gpuE5ELNS1_3repE0EEENS1_48merge_mergepath_partition_config_static_selectorELNS0_4arch9wavefront6targetE0EEEvSM_,comdat
.Lfunc_end271:
	.size	_ZN7rocprim17ROCPRIM_400000_NS6detail17trampoline_kernelINS0_14default_configENS1_38merge_sort_block_merge_config_selectorIlNS0_10empty_typeEEEZZNS1_27merge_sort_block_merge_implIS3_PlPS5_mZN2at6native12_GLOBAL__N_124unique_dim_cuda_templateIaEESt5tupleIJNSA_6TensorESF_SF_EERKSF_lbbbEUlllE_EE10hipError_tT0_T1_T2_jT3_P12ihipStream_tbPNSt15iterator_traitsISL_E10value_typeEPNSR_ISM_E10value_typeEPSN_NS1_7vsmem_tEENKUlT_SL_SM_SN_E_clIS8_S8_S9_S9_EESK_S10_SL_SM_SN_EUlS10_E_NS1_11comp_targetILNS1_3genE10ELNS1_11target_archE1201ELNS1_3gpuE5ELNS1_3repE0EEENS1_48merge_mergepath_partition_config_static_selectorELNS0_4arch9wavefront6targetE0EEEvSM_, .Lfunc_end271-_ZN7rocprim17ROCPRIM_400000_NS6detail17trampoline_kernelINS0_14default_configENS1_38merge_sort_block_merge_config_selectorIlNS0_10empty_typeEEEZZNS1_27merge_sort_block_merge_implIS3_PlPS5_mZN2at6native12_GLOBAL__N_124unique_dim_cuda_templateIaEESt5tupleIJNSA_6TensorESF_SF_EERKSF_lbbbEUlllE_EE10hipError_tT0_T1_T2_jT3_P12ihipStream_tbPNSt15iterator_traitsISL_E10value_typeEPNSR_ISM_E10value_typeEPSN_NS1_7vsmem_tEENKUlT_SL_SM_SN_E_clIS8_S8_S9_S9_EESK_S10_SL_SM_SN_EUlS10_E_NS1_11comp_targetILNS1_3genE10ELNS1_11target_archE1201ELNS1_3gpuE5ELNS1_3repE0EEENS1_48merge_mergepath_partition_config_static_selectorELNS0_4arch9wavefront6targetE0EEEvSM_
                                        ; -- End function
	.section	.AMDGPU.csdata,"",@progbits
; Kernel info:
; codeLenInByte = 0
; NumSgprs: 0
; NumVgprs: 0
; ScratchSize: 0
; MemoryBound: 0
; FloatMode: 240
; IeeeMode: 1
; LDSByteSize: 0 bytes/workgroup (compile time only)
; SGPRBlocks: 0
; VGPRBlocks: 0
; NumSGPRsForWavesPerEU: 1
; NumVGPRsForWavesPerEU: 1
; Occupancy: 16
; WaveLimiterHint : 0
; COMPUTE_PGM_RSRC2:SCRATCH_EN: 0
; COMPUTE_PGM_RSRC2:USER_SGPR: 15
; COMPUTE_PGM_RSRC2:TRAP_HANDLER: 0
; COMPUTE_PGM_RSRC2:TGID_X_EN: 1
; COMPUTE_PGM_RSRC2:TGID_Y_EN: 0
; COMPUTE_PGM_RSRC2:TGID_Z_EN: 0
; COMPUTE_PGM_RSRC2:TIDIG_COMP_CNT: 0
	.section	.text._ZN7rocprim17ROCPRIM_400000_NS6detail17trampoline_kernelINS0_14default_configENS1_38merge_sort_block_merge_config_selectorIlNS0_10empty_typeEEEZZNS1_27merge_sort_block_merge_implIS3_PlPS5_mZN2at6native12_GLOBAL__N_124unique_dim_cuda_templateIaEESt5tupleIJNSA_6TensorESF_SF_EERKSF_lbbbEUlllE_EE10hipError_tT0_T1_T2_jT3_P12ihipStream_tbPNSt15iterator_traitsISL_E10value_typeEPNSR_ISM_E10value_typeEPSN_NS1_7vsmem_tEENKUlT_SL_SM_SN_E_clIS8_S8_S9_S9_EESK_S10_SL_SM_SN_EUlS10_E_NS1_11comp_targetILNS1_3genE5ELNS1_11target_archE942ELNS1_3gpuE9ELNS1_3repE0EEENS1_48merge_mergepath_partition_config_static_selectorELNS0_4arch9wavefront6targetE0EEEvSM_,"axG",@progbits,_ZN7rocprim17ROCPRIM_400000_NS6detail17trampoline_kernelINS0_14default_configENS1_38merge_sort_block_merge_config_selectorIlNS0_10empty_typeEEEZZNS1_27merge_sort_block_merge_implIS3_PlPS5_mZN2at6native12_GLOBAL__N_124unique_dim_cuda_templateIaEESt5tupleIJNSA_6TensorESF_SF_EERKSF_lbbbEUlllE_EE10hipError_tT0_T1_T2_jT3_P12ihipStream_tbPNSt15iterator_traitsISL_E10value_typeEPNSR_ISM_E10value_typeEPSN_NS1_7vsmem_tEENKUlT_SL_SM_SN_E_clIS8_S8_S9_S9_EESK_S10_SL_SM_SN_EUlS10_E_NS1_11comp_targetILNS1_3genE5ELNS1_11target_archE942ELNS1_3gpuE9ELNS1_3repE0EEENS1_48merge_mergepath_partition_config_static_selectorELNS0_4arch9wavefront6targetE0EEEvSM_,comdat
	.globl	_ZN7rocprim17ROCPRIM_400000_NS6detail17trampoline_kernelINS0_14default_configENS1_38merge_sort_block_merge_config_selectorIlNS0_10empty_typeEEEZZNS1_27merge_sort_block_merge_implIS3_PlPS5_mZN2at6native12_GLOBAL__N_124unique_dim_cuda_templateIaEESt5tupleIJNSA_6TensorESF_SF_EERKSF_lbbbEUlllE_EE10hipError_tT0_T1_T2_jT3_P12ihipStream_tbPNSt15iterator_traitsISL_E10value_typeEPNSR_ISM_E10value_typeEPSN_NS1_7vsmem_tEENKUlT_SL_SM_SN_E_clIS8_S8_S9_S9_EESK_S10_SL_SM_SN_EUlS10_E_NS1_11comp_targetILNS1_3genE5ELNS1_11target_archE942ELNS1_3gpuE9ELNS1_3repE0EEENS1_48merge_mergepath_partition_config_static_selectorELNS0_4arch9wavefront6targetE0EEEvSM_ ; -- Begin function _ZN7rocprim17ROCPRIM_400000_NS6detail17trampoline_kernelINS0_14default_configENS1_38merge_sort_block_merge_config_selectorIlNS0_10empty_typeEEEZZNS1_27merge_sort_block_merge_implIS3_PlPS5_mZN2at6native12_GLOBAL__N_124unique_dim_cuda_templateIaEESt5tupleIJNSA_6TensorESF_SF_EERKSF_lbbbEUlllE_EE10hipError_tT0_T1_T2_jT3_P12ihipStream_tbPNSt15iterator_traitsISL_E10value_typeEPNSR_ISM_E10value_typeEPSN_NS1_7vsmem_tEENKUlT_SL_SM_SN_E_clIS8_S8_S9_S9_EESK_S10_SL_SM_SN_EUlS10_E_NS1_11comp_targetILNS1_3genE5ELNS1_11target_archE942ELNS1_3gpuE9ELNS1_3repE0EEENS1_48merge_mergepath_partition_config_static_selectorELNS0_4arch9wavefront6targetE0EEEvSM_
	.p2align	8
	.type	_ZN7rocprim17ROCPRIM_400000_NS6detail17trampoline_kernelINS0_14default_configENS1_38merge_sort_block_merge_config_selectorIlNS0_10empty_typeEEEZZNS1_27merge_sort_block_merge_implIS3_PlPS5_mZN2at6native12_GLOBAL__N_124unique_dim_cuda_templateIaEESt5tupleIJNSA_6TensorESF_SF_EERKSF_lbbbEUlllE_EE10hipError_tT0_T1_T2_jT3_P12ihipStream_tbPNSt15iterator_traitsISL_E10value_typeEPNSR_ISM_E10value_typeEPSN_NS1_7vsmem_tEENKUlT_SL_SM_SN_E_clIS8_S8_S9_S9_EESK_S10_SL_SM_SN_EUlS10_E_NS1_11comp_targetILNS1_3genE5ELNS1_11target_archE942ELNS1_3gpuE9ELNS1_3repE0EEENS1_48merge_mergepath_partition_config_static_selectorELNS0_4arch9wavefront6targetE0EEEvSM_,@function
_ZN7rocprim17ROCPRIM_400000_NS6detail17trampoline_kernelINS0_14default_configENS1_38merge_sort_block_merge_config_selectorIlNS0_10empty_typeEEEZZNS1_27merge_sort_block_merge_implIS3_PlPS5_mZN2at6native12_GLOBAL__N_124unique_dim_cuda_templateIaEESt5tupleIJNSA_6TensorESF_SF_EERKSF_lbbbEUlllE_EE10hipError_tT0_T1_T2_jT3_P12ihipStream_tbPNSt15iterator_traitsISL_E10value_typeEPNSR_ISM_E10value_typeEPSN_NS1_7vsmem_tEENKUlT_SL_SM_SN_E_clIS8_S8_S9_S9_EESK_S10_SL_SM_SN_EUlS10_E_NS1_11comp_targetILNS1_3genE5ELNS1_11target_archE942ELNS1_3gpuE9ELNS1_3repE0EEENS1_48merge_mergepath_partition_config_static_selectorELNS0_4arch9wavefront6targetE0EEEvSM_: ; @_ZN7rocprim17ROCPRIM_400000_NS6detail17trampoline_kernelINS0_14default_configENS1_38merge_sort_block_merge_config_selectorIlNS0_10empty_typeEEEZZNS1_27merge_sort_block_merge_implIS3_PlPS5_mZN2at6native12_GLOBAL__N_124unique_dim_cuda_templateIaEESt5tupleIJNSA_6TensorESF_SF_EERKSF_lbbbEUlllE_EE10hipError_tT0_T1_T2_jT3_P12ihipStream_tbPNSt15iterator_traitsISL_E10value_typeEPNSR_ISM_E10value_typeEPSN_NS1_7vsmem_tEENKUlT_SL_SM_SN_E_clIS8_S8_S9_S9_EESK_S10_SL_SM_SN_EUlS10_E_NS1_11comp_targetILNS1_3genE5ELNS1_11target_archE942ELNS1_3gpuE9ELNS1_3repE0EEENS1_48merge_mergepath_partition_config_static_selectorELNS0_4arch9wavefront6targetE0EEEvSM_
; %bb.0:
	.section	.rodata,"a",@progbits
	.p2align	6, 0x0
	.amdhsa_kernel _ZN7rocprim17ROCPRIM_400000_NS6detail17trampoline_kernelINS0_14default_configENS1_38merge_sort_block_merge_config_selectorIlNS0_10empty_typeEEEZZNS1_27merge_sort_block_merge_implIS3_PlPS5_mZN2at6native12_GLOBAL__N_124unique_dim_cuda_templateIaEESt5tupleIJNSA_6TensorESF_SF_EERKSF_lbbbEUlllE_EE10hipError_tT0_T1_T2_jT3_P12ihipStream_tbPNSt15iterator_traitsISL_E10value_typeEPNSR_ISM_E10value_typeEPSN_NS1_7vsmem_tEENKUlT_SL_SM_SN_E_clIS8_S8_S9_S9_EESK_S10_SL_SM_SN_EUlS10_E_NS1_11comp_targetILNS1_3genE5ELNS1_11target_archE942ELNS1_3gpuE9ELNS1_3repE0EEENS1_48merge_mergepath_partition_config_static_selectorELNS0_4arch9wavefront6targetE0EEEvSM_
		.amdhsa_group_segment_fixed_size 0
		.amdhsa_private_segment_fixed_size 0
		.amdhsa_kernarg_size 56
		.amdhsa_user_sgpr_count 15
		.amdhsa_user_sgpr_dispatch_ptr 0
		.amdhsa_user_sgpr_queue_ptr 0
		.amdhsa_user_sgpr_kernarg_segment_ptr 1
		.amdhsa_user_sgpr_dispatch_id 0
		.amdhsa_user_sgpr_private_segment_size 0
		.amdhsa_wavefront_size32 1
		.amdhsa_uses_dynamic_stack 0
		.amdhsa_enable_private_segment 0
		.amdhsa_system_sgpr_workgroup_id_x 1
		.amdhsa_system_sgpr_workgroup_id_y 0
		.amdhsa_system_sgpr_workgroup_id_z 0
		.amdhsa_system_sgpr_workgroup_info 0
		.amdhsa_system_vgpr_workitem_id 0
		.amdhsa_next_free_vgpr 1
		.amdhsa_next_free_sgpr 1
		.amdhsa_reserve_vcc 0
		.amdhsa_float_round_mode_32 0
		.amdhsa_float_round_mode_16_64 0
		.amdhsa_float_denorm_mode_32 3
		.amdhsa_float_denorm_mode_16_64 3
		.amdhsa_dx10_clamp 1
		.amdhsa_ieee_mode 1
		.amdhsa_fp16_overflow 0
		.amdhsa_workgroup_processor_mode 1
		.amdhsa_memory_ordered 1
		.amdhsa_forward_progress 0
		.amdhsa_shared_vgpr_count 0
		.amdhsa_exception_fp_ieee_invalid_op 0
		.amdhsa_exception_fp_denorm_src 0
		.amdhsa_exception_fp_ieee_div_zero 0
		.amdhsa_exception_fp_ieee_overflow 0
		.amdhsa_exception_fp_ieee_underflow 0
		.amdhsa_exception_fp_ieee_inexact 0
		.amdhsa_exception_int_div_zero 0
	.end_amdhsa_kernel
	.section	.text._ZN7rocprim17ROCPRIM_400000_NS6detail17trampoline_kernelINS0_14default_configENS1_38merge_sort_block_merge_config_selectorIlNS0_10empty_typeEEEZZNS1_27merge_sort_block_merge_implIS3_PlPS5_mZN2at6native12_GLOBAL__N_124unique_dim_cuda_templateIaEESt5tupleIJNSA_6TensorESF_SF_EERKSF_lbbbEUlllE_EE10hipError_tT0_T1_T2_jT3_P12ihipStream_tbPNSt15iterator_traitsISL_E10value_typeEPNSR_ISM_E10value_typeEPSN_NS1_7vsmem_tEENKUlT_SL_SM_SN_E_clIS8_S8_S9_S9_EESK_S10_SL_SM_SN_EUlS10_E_NS1_11comp_targetILNS1_3genE5ELNS1_11target_archE942ELNS1_3gpuE9ELNS1_3repE0EEENS1_48merge_mergepath_partition_config_static_selectorELNS0_4arch9wavefront6targetE0EEEvSM_,"axG",@progbits,_ZN7rocprim17ROCPRIM_400000_NS6detail17trampoline_kernelINS0_14default_configENS1_38merge_sort_block_merge_config_selectorIlNS0_10empty_typeEEEZZNS1_27merge_sort_block_merge_implIS3_PlPS5_mZN2at6native12_GLOBAL__N_124unique_dim_cuda_templateIaEESt5tupleIJNSA_6TensorESF_SF_EERKSF_lbbbEUlllE_EE10hipError_tT0_T1_T2_jT3_P12ihipStream_tbPNSt15iterator_traitsISL_E10value_typeEPNSR_ISM_E10value_typeEPSN_NS1_7vsmem_tEENKUlT_SL_SM_SN_E_clIS8_S8_S9_S9_EESK_S10_SL_SM_SN_EUlS10_E_NS1_11comp_targetILNS1_3genE5ELNS1_11target_archE942ELNS1_3gpuE9ELNS1_3repE0EEENS1_48merge_mergepath_partition_config_static_selectorELNS0_4arch9wavefront6targetE0EEEvSM_,comdat
.Lfunc_end272:
	.size	_ZN7rocprim17ROCPRIM_400000_NS6detail17trampoline_kernelINS0_14default_configENS1_38merge_sort_block_merge_config_selectorIlNS0_10empty_typeEEEZZNS1_27merge_sort_block_merge_implIS3_PlPS5_mZN2at6native12_GLOBAL__N_124unique_dim_cuda_templateIaEESt5tupleIJNSA_6TensorESF_SF_EERKSF_lbbbEUlllE_EE10hipError_tT0_T1_T2_jT3_P12ihipStream_tbPNSt15iterator_traitsISL_E10value_typeEPNSR_ISM_E10value_typeEPSN_NS1_7vsmem_tEENKUlT_SL_SM_SN_E_clIS8_S8_S9_S9_EESK_S10_SL_SM_SN_EUlS10_E_NS1_11comp_targetILNS1_3genE5ELNS1_11target_archE942ELNS1_3gpuE9ELNS1_3repE0EEENS1_48merge_mergepath_partition_config_static_selectorELNS0_4arch9wavefront6targetE0EEEvSM_, .Lfunc_end272-_ZN7rocprim17ROCPRIM_400000_NS6detail17trampoline_kernelINS0_14default_configENS1_38merge_sort_block_merge_config_selectorIlNS0_10empty_typeEEEZZNS1_27merge_sort_block_merge_implIS3_PlPS5_mZN2at6native12_GLOBAL__N_124unique_dim_cuda_templateIaEESt5tupleIJNSA_6TensorESF_SF_EERKSF_lbbbEUlllE_EE10hipError_tT0_T1_T2_jT3_P12ihipStream_tbPNSt15iterator_traitsISL_E10value_typeEPNSR_ISM_E10value_typeEPSN_NS1_7vsmem_tEENKUlT_SL_SM_SN_E_clIS8_S8_S9_S9_EESK_S10_SL_SM_SN_EUlS10_E_NS1_11comp_targetILNS1_3genE5ELNS1_11target_archE942ELNS1_3gpuE9ELNS1_3repE0EEENS1_48merge_mergepath_partition_config_static_selectorELNS0_4arch9wavefront6targetE0EEEvSM_
                                        ; -- End function
	.section	.AMDGPU.csdata,"",@progbits
; Kernel info:
; codeLenInByte = 0
; NumSgprs: 0
; NumVgprs: 0
; ScratchSize: 0
; MemoryBound: 0
; FloatMode: 240
; IeeeMode: 1
; LDSByteSize: 0 bytes/workgroup (compile time only)
; SGPRBlocks: 0
; VGPRBlocks: 0
; NumSGPRsForWavesPerEU: 1
; NumVGPRsForWavesPerEU: 1
; Occupancy: 16
; WaveLimiterHint : 0
; COMPUTE_PGM_RSRC2:SCRATCH_EN: 0
; COMPUTE_PGM_RSRC2:USER_SGPR: 15
; COMPUTE_PGM_RSRC2:TRAP_HANDLER: 0
; COMPUTE_PGM_RSRC2:TGID_X_EN: 1
; COMPUTE_PGM_RSRC2:TGID_Y_EN: 0
; COMPUTE_PGM_RSRC2:TGID_Z_EN: 0
; COMPUTE_PGM_RSRC2:TIDIG_COMP_CNT: 0
	.section	.text._ZN7rocprim17ROCPRIM_400000_NS6detail17trampoline_kernelINS0_14default_configENS1_38merge_sort_block_merge_config_selectorIlNS0_10empty_typeEEEZZNS1_27merge_sort_block_merge_implIS3_PlPS5_mZN2at6native12_GLOBAL__N_124unique_dim_cuda_templateIaEESt5tupleIJNSA_6TensorESF_SF_EERKSF_lbbbEUlllE_EE10hipError_tT0_T1_T2_jT3_P12ihipStream_tbPNSt15iterator_traitsISL_E10value_typeEPNSR_ISM_E10value_typeEPSN_NS1_7vsmem_tEENKUlT_SL_SM_SN_E_clIS8_S8_S9_S9_EESK_S10_SL_SM_SN_EUlS10_E_NS1_11comp_targetILNS1_3genE4ELNS1_11target_archE910ELNS1_3gpuE8ELNS1_3repE0EEENS1_48merge_mergepath_partition_config_static_selectorELNS0_4arch9wavefront6targetE0EEEvSM_,"axG",@progbits,_ZN7rocprim17ROCPRIM_400000_NS6detail17trampoline_kernelINS0_14default_configENS1_38merge_sort_block_merge_config_selectorIlNS0_10empty_typeEEEZZNS1_27merge_sort_block_merge_implIS3_PlPS5_mZN2at6native12_GLOBAL__N_124unique_dim_cuda_templateIaEESt5tupleIJNSA_6TensorESF_SF_EERKSF_lbbbEUlllE_EE10hipError_tT0_T1_T2_jT3_P12ihipStream_tbPNSt15iterator_traitsISL_E10value_typeEPNSR_ISM_E10value_typeEPSN_NS1_7vsmem_tEENKUlT_SL_SM_SN_E_clIS8_S8_S9_S9_EESK_S10_SL_SM_SN_EUlS10_E_NS1_11comp_targetILNS1_3genE4ELNS1_11target_archE910ELNS1_3gpuE8ELNS1_3repE0EEENS1_48merge_mergepath_partition_config_static_selectorELNS0_4arch9wavefront6targetE0EEEvSM_,comdat
	.globl	_ZN7rocprim17ROCPRIM_400000_NS6detail17trampoline_kernelINS0_14default_configENS1_38merge_sort_block_merge_config_selectorIlNS0_10empty_typeEEEZZNS1_27merge_sort_block_merge_implIS3_PlPS5_mZN2at6native12_GLOBAL__N_124unique_dim_cuda_templateIaEESt5tupleIJNSA_6TensorESF_SF_EERKSF_lbbbEUlllE_EE10hipError_tT0_T1_T2_jT3_P12ihipStream_tbPNSt15iterator_traitsISL_E10value_typeEPNSR_ISM_E10value_typeEPSN_NS1_7vsmem_tEENKUlT_SL_SM_SN_E_clIS8_S8_S9_S9_EESK_S10_SL_SM_SN_EUlS10_E_NS1_11comp_targetILNS1_3genE4ELNS1_11target_archE910ELNS1_3gpuE8ELNS1_3repE0EEENS1_48merge_mergepath_partition_config_static_selectorELNS0_4arch9wavefront6targetE0EEEvSM_ ; -- Begin function _ZN7rocprim17ROCPRIM_400000_NS6detail17trampoline_kernelINS0_14default_configENS1_38merge_sort_block_merge_config_selectorIlNS0_10empty_typeEEEZZNS1_27merge_sort_block_merge_implIS3_PlPS5_mZN2at6native12_GLOBAL__N_124unique_dim_cuda_templateIaEESt5tupleIJNSA_6TensorESF_SF_EERKSF_lbbbEUlllE_EE10hipError_tT0_T1_T2_jT3_P12ihipStream_tbPNSt15iterator_traitsISL_E10value_typeEPNSR_ISM_E10value_typeEPSN_NS1_7vsmem_tEENKUlT_SL_SM_SN_E_clIS8_S8_S9_S9_EESK_S10_SL_SM_SN_EUlS10_E_NS1_11comp_targetILNS1_3genE4ELNS1_11target_archE910ELNS1_3gpuE8ELNS1_3repE0EEENS1_48merge_mergepath_partition_config_static_selectorELNS0_4arch9wavefront6targetE0EEEvSM_
	.p2align	8
	.type	_ZN7rocprim17ROCPRIM_400000_NS6detail17trampoline_kernelINS0_14default_configENS1_38merge_sort_block_merge_config_selectorIlNS0_10empty_typeEEEZZNS1_27merge_sort_block_merge_implIS3_PlPS5_mZN2at6native12_GLOBAL__N_124unique_dim_cuda_templateIaEESt5tupleIJNSA_6TensorESF_SF_EERKSF_lbbbEUlllE_EE10hipError_tT0_T1_T2_jT3_P12ihipStream_tbPNSt15iterator_traitsISL_E10value_typeEPNSR_ISM_E10value_typeEPSN_NS1_7vsmem_tEENKUlT_SL_SM_SN_E_clIS8_S8_S9_S9_EESK_S10_SL_SM_SN_EUlS10_E_NS1_11comp_targetILNS1_3genE4ELNS1_11target_archE910ELNS1_3gpuE8ELNS1_3repE0EEENS1_48merge_mergepath_partition_config_static_selectorELNS0_4arch9wavefront6targetE0EEEvSM_,@function
_ZN7rocprim17ROCPRIM_400000_NS6detail17trampoline_kernelINS0_14default_configENS1_38merge_sort_block_merge_config_selectorIlNS0_10empty_typeEEEZZNS1_27merge_sort_block_merge_implIS3_PlPS5_mZN2at6native12_GLOBAL__N_124unique_dim_cuda_templateIaEESt5tupleIJNSA_6TensorESF_SF_EERKSF_lbbbEUlllE_EE10hipError_tT0_T1_T2_jT3_P12ihipStream_tbPNSt15iterator_traitsISL_E10value_typeEPNSR_ISM_E10value_typeEPSN_NS1_7vsmem_tEENKUlT_SL_SM_SN_E_clIS8_S8_S9_S9_EESK_S10_SL_SM_SN_EUlS10_E_NS1_11comp_targetILNS1_3genE4ELNS1_11target_archE910ELNS1_3gpuE8ELNS1_3repE0EEENS1_48merge_mergepath_partition_config_static_selectorELNS0_4arch9wavefront6targetE0EEEvSM_: ; @_ZN7rocprim17ROCPRIM_400000_NS6detail17trampoline_kernelINS0_14default_configENS1_38merge_sort_block_merge_config_selectorIlNS0_10empty_typeEEEZZNS1_27merge_sort_block_merge_implIS3_PlPS5_mZN2at6native12_GLOBAL__N_124unique_dim_cuda_templateIaEESt5tupleIJNSA_6TensorESF_SF_EERKSF_lbbbEUlllE_EE10hipError_tT0_T1_T2_jT3_P12ihipStream_tbPNSt15iterator_traitsISL_E10value_typeEPNSR_ISM_E10value_typeEPSN_NS1_7vsmem_tEENKUlT_SL_SM_SN_E_clIS8_S8_S9_S9_EESK_S10_SL_SM_SN_EUlS10_E_NS1_11comp_targetILNS1_3genE4ELNS1_11target_archE910ELNS1_3gpuE8ELNS1_3repE0EEENS1_48merge_mergepath_partition_config_static_selectorELNS0_4arch9wavefront6targetE0EEEvSM_
; %bb.0:
	.section	.rodata,"a",@progbits
	.p2align	6, 0x0
	.amdhsa_kernel _ZN7rocprim17ROCPRIM_400000_NS6detail17trampoline_kernelINS0_14default_configENS1_38merge_sort_block_merge_config_selectorIlNS0_10empty_typeEEEZZNS1_27merge_sort_block_merge_implIS3_PlPS5_mZN2at6native12_GLOBAL__N_124unique_dim_cuda_templateIaEESt5tupleIJNSA_6TensorESF_SF_EERKSF_lbbbEUlllE_EE10hipError_tT0_T1_T2_jT3_P12ihipStream_tbPNSt15iterator_traitsISL_E10value_typeEPNSR_ISM_E10value_typeEPSN_NS1_7vsmem_tEENKUlT_SL_SM_SN_E_clIS8_S8_S9_S9_EESK_S10_SL_SM_SN_EUlS10_E_NS1_11comp_targetILNS1_3genE4ELNS1_11target_archE910ELNS1_3gpuE8ELNS1_3repE0EEENS1_48merge_mergepath_partition_config_static_selectorELNS0_4arch9wavefront6targetE0EEEvSM_
		.amdhsa_group_segment_fixed_size 0
		.amdhsa_private_segment_fixed_size 0
		.amdhsa_kernarg_size 56
		.amdhsa_user_sgpr_count 15
		.amdhsa_user_sgpr_dispatch_ptr 0
		.amdhsa_user_sgpr_queue_ptr 0
		.amdhsa_user_sgpr_kernarg_segment_ptr 1
		.amdhsa_user_sgpr_dispatch_id 0
		.amdhsa_user_sgpr_private_segment_size 0
		.amdhsa_wavefront_size32 1
		.amdhsa_uses_dynamic_stack 0
		.amdhsa_enable_private_segment 0
		.amdhsa_system_sgpr_workgroup_id_x 1
		.amdhsa_system_sgpr_workgroup_id_y 0
		.amdhsa_system_sgpr_workgroup_id_z 0
		.amdhsa_system_sgpr_workgroup_info 0
		.amdhsa_system_vgpr_workitem_id 0
		.amdhsa_next_free_vgpr 1
		.amdhsa_next_free_sgpr 1
		.amdhsa_reserve_vcc 0
		.amdhsa_float_round_mode_32 0
		.amdhsa_float_round_mode_16_64 0
		.amdhsa_float_denorm_mode_32 3
		.amdhsa_float_denorm_mode_16_64 3
		.amdhsa_dx10_clamp 1
		.amdhsa_ieee_mode 1
		.amdhsa_fp16_overflow 0
		.amdhsa_workgroup_processor_mode 1
		.amdhsa_memory_ordered 1
		.amdhsa_forward_progress 0
		.amdhsa_shared_vgpr_count 0
		.amdhsa_exception_fp_ieee_invalid_op 0
		.amdhsa_exception_fp_denorm_src 0
		.amdhsa_exception_fp_ieee_div_zero 0
		.amdhsa_exception_fp_ieee_overflow 0
		.amdhsa_exception_fp_ieee_underflow 0
		.amdhsa_exception_fp_ieee_inexact 0
		.amdhsa_exception_int_div_zero 0
	.end_amdhsa_kernel
	.section	.text._ZN7rocprim17ROCPRIM_400000_NS6detail17trampoline_kernelINS0_14default_configENS1_38merge_sort_block_merge_config_selectorIlNS0_10empty_typeEEEZZNS1_27merge_sort_block_merge_implIS3_PlPS5_mZN2at6native12_GLOBAL__N_124unique_dim_cuda_templateIaEESt5tupleIJNSA_6TensorESF_SF_EERKSF_lbbbEUlllE_EE10hipError_tT0_T1_T2_jT3_P12ihipStream_tbPNSt15iterator_traitsISL_E10value_typeEPNSR_ISM_E10value_typeEPSN_NS1_7vsmem_tEENKUlT_SL_SM_SN_E_clIS8_S8_S9_S9_EESK_S10_SL_SM_SN_EUlS10_E_NS1_11comp_targetILNS1_3genE4ELNS1_11target_archE910ELNS1_3gpuE8ELNS1_3repE0EEENS1_48merge_mergepath_partition_config_static_selectorELNS0_4arch9wavefront6targetE0EEEvSM_,"axG",@progbits,_ZN7rocprim17ROCPRIM_400000_NS6detail17trampoline_kernelINS0_14default_configENS1_38merge_sort_block_merge_config_selectorIlNS0_10empty_typeEEEZZNS1_27merge_sort_block_merge_implIS3_PlPS5_mZN2at6native12_GLOBAL__N_124unique_dim_cuda_templateIaEESt5tupleIJNSA_6TensorESF_SF_EERKSF_lbbbEUlllE_EE10hipError_tT0_T1_T2_jT3_P12ihipStream_tbPNSt15iterator_traitsISL_E10value_typeEPNSR_ISM_E10value_typeEPSN_NS1_7vsmem_tEENKUlT_SL_SM_SN_E_clIS8_S8_S9_S9_EESK_S10_SL_SM_SN_EUlS10_E_NS1_11comp_targetILNS1_3genE4ELNS1_11target_archE910ELNS1_3gpuE8ELNS1_3repE0EEENS1_48merge_mergepath_partition_config_static_selectorELNS0_4arch9wavefront6targetE0EEEvSM_,comdat
.Lfunc_end273:
	.size	_ZN7rocprim17ROCPRIM_400000_NS6detail17trampoline_kernelINS0_14default_configENS1_38merge_sort_block_merge_config_selectorIlNS0_10empty_typeEEEZZNS1_27merge_sort_block_merge_implIS3_PlPS5_mZN2at6native12_GLOBAL__N_124unique_dim_cuda_templateIaEESt5tupleIJNSA_6TensorESF_SF_EERKSF_lbbbEUlllE_EE10hipError_tT0_T1_T2_jT3_P12ihipStream_tbPNSt15iterator_traitsISL_E10value_typeEPNSR_ISM_E10value_typeEPSN_NS1_7vsmem_tEENKUlT_SL_SM_SN_E_clIS8_S8_S9_S9_EESK_S10_SL_SM_SN_EUlS10_E_NS1_11comp_targetILNS1_3genE4ELNS1_11target_archE910ELNS1_3gpuE8ELNS1_3repE0EEENS1_48merge_mergepath_partition_config_static_selectorELNS0_4arch9wavefront6targetE0EEEvSM_, .Lfunc_end273-_ZN7rocprim17ROCPRIM_400000_NS6detail17trampoline_kernelINS0_14default_configENS1_38merge_sort_block_merge_config_selectorIlNS0_10empty_typeEEEZZNS1_27merge_sort_block_merge_implIS3_PlPS5_mZN2at6native12_GLOBAL__N_124unique_dim_cuda_templateIaEESt5tupleIJNSA_6TensorESF_SF_EERKSF_lbbbEUlllE_EE10hipError_tT0_T1_T2_jT3_P12ihipStream_tbPNSt15iterator_traitsISL_E10value_typeEPNSR_ISM_E10value_typeEPSN_NS1_7vsmem_tEENKUlT_SL_SM_SN_E_clIS8_S8_S9_S9_EESK_S10_SL_SM_SN_EUlS10_E_NS1_11comp_targetILNS1_3genE4ELNS1_11target_archE910ELNS1_3gpuE8ELNS1_3repE0EEENS1_48merge_mergepath_partition_config_static_selectorELNS0_4arch9wavefront6targetE0EEEvSM_
                                        ; -- End function
	.section	.AMDGPU.csdata,"",@progbits
; Kernel info:
; codeLenInByte = 0
; NumSgprs: 0
; NumVgprs: 0
; ScratchSize: 0
; MemoryBound: 0
; FloatMode: 240
; IeeeMode: 1
; LDSByteSize: 0 bytes/workgroup (compile time only)
; SGPRBlocks: 0
; VGPRBlocks: 0
; NumSGPRsForWavesPerEU: 1
; NumVGPRsForWavesPerEU: 1
; Occupancy: 16
; WaveLimiterHint : 0
; COMPUTE_PGM_RSRC2:SCRATCH_EN: 0
; COMPUTE_PGM_RSRC2:USER_SGPR: 15
; COMPUTE_PGM_RSRC2:TRAP_HANDLER: 0
; COMPUTE_PGM_RSRC2:TGID_X_EN: 1
; COMPUTE_PGM_RSRC2:TGID_Y_EN: 0
; COMPUTE_PGM_RSRC2:TGID_Z_EN: 0
; COMPUTE_PGM_RSRC2:TIDIG_COMP_CNT: 0
	.section	.text._ZN7rocprim17ROCPRIM_400000_NS6detail17trampoline_kernelINS0_14default_configENS1_38merge_sort_block_merge_config_selectorIlNS0_10empty_typeEEEZZNS1_27merge_sort_block_merge_implIS3_PlPS5_mZN2at6native12_GLOBAL__N_124unique_dim_cuda_templateIaEESt5tupleIJNSA_6TensorESF_SF_EERKSF_lbbbEUlllE_EE10hipError_tT0_T1_T2_jT3_P12ihipStream_tbPNSt15iterator_traitsISL_E10value_typeEPNSR_ISM_E10value_typeEPSN_NS1_7vsmem_tEENKUlT_SL_SM_SN_E_clIS8_S8_S9_S9_EESK_S10_SL_SM_SN_EUlS10_E_NS1_11comp_targetILNS1_3genE3ELNS1_11target_archE908ELNS1_3gpuE7ELNS1_3repE0EEENS1_48merge_mergepath_partition_config_static_selectorELNS0_4arch9wavefront6targetE0EEEvSM_,"axG",@progbits,_ZN7rocprim17ROCPRIM_400000_NS6detail17trampoline_kernelINS0_14default_configENS1_38merge_sort_block_merge_config_selectorIlNS0_10empty_typeEEEZZNS1_27merge_sort_block_merge_implIS3_PlPS5_mZN2at6native12_GLOBAL__N_124unique_dim_cuda_templateIaEESt5tupleIJNSA_6TensorESF_SF_EERKSF_lbbbEUlllE_EE10hipError_tT0_T1_T2_jT3_P12ihipStream_tbPNSt15iterator_traitsISL_E10value_typeEPNSR_ISM_E10value_typeEPSN_NS1_7vsmem_tEENKUlT_SL_SM_SN_E_clIS8_S8_S9_S9_EESK_S10_SL_SM_SN_EUlS10_E_NS1_11comp_targetILNS1_3genE3ELNS1_11target_archE908ELNS1_3gpuE7ELNS1_3repE0EEENS1_48merge_mergepath_partition_config_static_selectorELNS0_4arch9wavefront6targetE0EEEvSM_,comdat
	.globl	_ZN7rocprim17ROCPRIM_400000_NS6detail17trampoline_kernelINS0_14default_configENS1_38merge_sort_block_merge_config_selectorIlNS0_10empty_typeEEEZZNS1_27merge_sort_block_merge_implIS3_PlPS5_mZN2at6native12_GLOBAL__N_124unique_dim_cuda_templateIaEESt5tupleIJNSA_6TensorESF_SF_EERKSF_lbbbEUlllE_EE10hipError_tT0_T1_T2_jT3_P12ihipStream_tbPNSt15iterator_traitsISL_E10value_typeEPNSR_ISM_E10value_typeEPSN_NS1_7vsmem_tEENKUlT_SL_SM_SN_E_clIS8_S8_S9_S9_EESK_S10_SL_SM_SN_EUlS10_E_NS1_11comp_targetILNS1_3genE3ELNS1_11target_archE908ELNS1_3gpuE7ELNS1_3repE0EEENS1_48merge_mergepath_partition_config_static_selectorELNS0_4arch9wavefront6targetE0EEEvSM_ ; -- Begin function _ZN7rocprim17ROCPRIM_400000_NS6detail17trampoline_kernelINS0_14default_configENS1_38merge_sort_block_merge_config_selectorIlNS0_10empty_typeEEEZZNS1_27merge_sort_block_merge_implIS3_PlPS5_mZN2at6native12_GLOBAL__N_124unique_dim_cuda_templateIaEESt5tupleIJNSA_6TensorESF_SF_EERKSF_lbbbEUlllE_EE10hipError_tT0_T1_T2_jT3_P12ihipStream_tbPNSt15iterator_traitsISL_E10value_typeEPNSR_ISM_E10value_typeEPSN_NS1_7vsmem_tEENKUlT_SL_SM_SN_E_clIS8_S8_S9_S9_EESK_S10_SL_SM_SN_EUlS10_E_NS1_11comp_targetILNS1_3genE3ELNS1_11target_archE908ELNS1_3gpuE7ELNS1_3repE0EEENS1_48merge_mergepath_partition_config_static_selectorELNS0_4arch9wavefront6targetE0EEEvSM_
	.p2align	8
	.type	_ZN7rocprim17ROCPRIM_400000_NS6detail17trampoline_kernelINS0_14default_configENS1_38merge_sort_block_merge_config_selectorIlNS0_10empty_typeEEEZZNS1_27merge_sort_block_merge_implIS3_PlPS5_mZN2at6native12_GLOBAL__N_124unique_dim_cuda_templateIaEESt5tupleIJNSA_6TensorESF_SF_EERKSF_lbbbEUlllE_EE10hipError_tT0_T1_T2_jT3_P12ihipStream_tbPNSt15iterator_traitsISL_E10value_typeEPNSR_ISM_E10value_typeEPSN_NS1_7vsmem_tEENKUlT_SL_SM_SN_E_clIS8_S8_S9_S9_EESK_S10_SL_SM_SN_EUlS10_E_NS1_11comp_targetILNS1_3genE3ELNS1_11target_archE908ELNS1_3gpuE7ELNS1_3repE0EEENS1_48merge_mergepath_partition_config_static_selectorELNS0_4arch9wavefront6targetE0EEEvSM_,@function
_ZN7rocprim17ROCPRIM_400000_NS6detail17trampoline_kernelINS0_14default_configENS1_38merge_sort_block_merge_config_selectorIlNS0_10empty_typeEEEZZNS1_27merge_sort_block_merge_implIS3_PlPS5_mZN2at6native12_GLOBAL__N_124unique_dim_cuda_templateIaEESt5tupleIJNSA_6TensorESF_SF_EERKSF_lbbbEUlllE_EE10hipError_tT0_T1_T2_jT3_P12ihipStream_tbPNSt15iterator_traitsISL_E10value_typeEPNSR_ISM_E10value_typeEPSN_NS1_7vsmem_tEENKUlT_SL_SM_SN_E_clIS8_S8_S9_S9_EESK_S10_SL_SM_SN_EUlS10_E_NS1_11comp_targetILNS1_3genE3ELNS1_11target_archE908ELNS1_3gpuE7ELNS1_3repE0EEENS1_48merge_mergepath_partition_config_static_selectorELNS0_4arch9wavefront6targetE0EEEvSM_: ; @_ZN7rocprim17ROCPRIM_400000_NS6detail17trampoline_kernelINS0_14default_configENS1_38merge_sort_block_merge_config_selectorIlNS0_10empty_typeEEEZZNS1_27merge_sort_block_merge_implIS3_PlPS5_mZN2at6native12_GLOBAL__N_124unique_dim_cuda_templateIaEESt5tupleIJNSA_6TensorESF_SF_EERKSF_lbbbEUlllE_EE10hipError_tT0_T1_T2_jT3_P12ihipStream_tbPNSt15iterator_traitsISL_E10value_typeEPNSR_ISM_E10value_typeEPSN_NS1_7vsmem_tEENKUlT_SL_SM_SN_E_clIS8_S8_S9_S9_EESK_S10_SL_SM_SN_EUlS10_E_NS1_11comp_targetILNS1_3genE3ELNS1_11target_archE908ELNS1_3gpuE7ELNS1_3repE0EEENS1_48merge_mergepath_partition_config_static_selectorELNS0_4arch9wavefront6targetE0EEEvSM_
; %bb.0:
	.section	.rodata,"a",@progbits
	.p2align	6, 0x0
	.amdhsa_kernel _ZN7rocprim17ROCPRIM_400000_NS6detail17trampoline_kernelINS0_14default_configENS1_38merge_sort_block_merge_config_selectorIlNS0_10empty_typeEEEZZNS1_27merge_sort_block_merge_implIS3_PlPS5_mZN2at6native12_GLOBAL__N_124unique_dim_cuda_templateIaEESt5tupleIJNSA_6TensorESF_SF_EERKSF_lbbbEUlllE_EE10hipError_tT0_T1_T2_jT3_P12ihipStream_tbPNSt15iterator_traitsISL_E10value_typeEPNSR_ISM_E10value_typeEPSN_NS1_7vsmem_tEENKUlT_SL_SM_SN_E_clIS8_S8_S9_S9_EESK_S10_SL_SM_SN_EUlS10_E_NS1_11comp_targetILNS1_3genE3ELNS1_11target_archE908ELNS1_3gpuE7ELNS1_3repE0EEENS1_48merge_mergepath_partition_config_static_selectorELNS0_4arch9wavefront6targetE0EEEvSM_
		.amdhsa_group_segment_fixed_size 0
		.amdhsa_private_segment_fixed_size 0
		.amdhsa_kernarg_size 56
		.amdhsa_user_sgpr_count 15
		.amdhsa_user_sgpr_dispatch_ptr 0
		.amdhsa_user_sgpr_queue_ptr 0
		.amdhsa_user_sgpr_kernarg_segment_ptr 1
		.amdhsa_user_sgpr_dispatch_id 0
		.amdhsa_user_sgpr_private_segment_size 0
		.amdhsa_wavefront_size32 1
		.amdhsa_uses_dynamic_stack 0
		.amdhsa_enable_private_segment 0
		.amdhsa_system_sgpr_workgroup_id_x 1
		.amdhsa_system_sgpr_workgroup_id_y 0
		.amdhsa_system_sgpr_workgroup_id_z 0
		.amdhsa_system_sgpr_workgroup_info 0
		.amdhsa_system_vgpr_workitem_id 0
		.amdhsa_next_free_vgpr 1
		.amdhsa_next_free_sgpr 1
		.amdhsa_reserve_vcc 0
		.amdhsa_float_round_mode_32 0
		.amdhsa_float_round_mode_16_64 0
		.amdhsa_float_denorm_mode_32 3
		.amdhsa_float_denorm_mode_16_64 3
		.amdhsa_dx10_clamp 1
		.amdhsa_ieee_mode 1
		.amdhsa_fp16_overflow 0
		.amdhsa_workgroup_processor_mode 1
		.amdhsa_memory_ordered 1
		.amdhsa_forward_progress 0
		.amdhsa_shared_vgpr_count 0
		.amdhsa_exception_fp_ieee_invalid_op 0
		.amdhsa_exception_fp_denorm_src 0
		.amdhsa_exception_fp_ieee_div_zero 0
		.amdhsa_exception_fp_ieee_overflow 0
		.amdhsa_exception_fp_ieee_underflow 0
		.amdhsa_exception_fp_ieee_inexact 0
		.amdhsa_exception_int_div_zero 0
	.end_amdhsa_kernel
	.section	.text._ZN7rocprim17ROCPRIM_400000_NS6detail17trampoline_kernelINS0_14default_configENS1_38merge_sort_block_merge_config_selectorIlNS0_10empty_typeEEEZZNS1_27merge_sort_block_merge_implIS3_PlPS5_mZN2at6native12_GLOBAL__N_124unique_dim_cuda_templateIaEESt5tupleIJNSA_6TensorESF_SF_EERKSF_lbbbEUlllE_EE10hipError_tT0_T1_T2_jT3_P12ihipStream_tbPNSt15iterator_traitsISL_E10value_typeEPNSR_ISM_E10value_typeEPSN_NS1_7vsmem_tEENKUlT_SL_SM_SN_E_clIS8_S8_S9_S9_EESK_S10_SL_SM_SN_EUlS10_E_NS1_11comp_targetILNS1_3genE3ELNS1_11target_archE908ELNS1_3gpuE7ELNS1_3repE0EEENS1_48merge_mergepath_partition_config_static_selectorELNS0_4arch9wavefront6targetE0EEEvSM_,"axG",@progbits,_ZN7rocprim17ROCPRIM_400000_NS6detail17trampoline_kernelINS0_14default_configENS1_38merge_sort_block_merge_config_selectorIlNS0_10empty_typeEEEZZNS1_27merge_sort_block_merge_implIS3_PlPS5_mZN2at6native12_GLOBAL__N_124unique_dim_cuda_templateIaEESt5tupleIJNSA_6TensorESF_SF_EERKSF_lbbbEUlllE_EE10hipError_tT0_T1_T2_jT3_P12ihipStream_tbPNSt15iterator_traitsISL_E10value_typeEPNSR_ISM_E10value_typeEPSN_NS1_7vsmem_tEENKUlT_SL_SM_SN_E_clIS8_S8_S9_S9_EESK_S10_SL_SM_SN_EUlS10_E_NS1_11comp_targetILNS1_3genE3ELNS1_11target_archE908ELNS1_3gpuE7ELNS1_3repE0EEENS1_48merge_mergepath_partition_config_static_selectorELNS0_4arch9wavefront6targetE0EEEvSM_,comdat
.Lfunc_end274:
	.size	_ZN7rocprim17ROCPRIM_400000_NS6detail17trampoline_kernelINS0_14default_configENS1_38merge_sort_block_merge_config_selectorIlNS0_10empty_typeEEEZZNS1_27merge_sort_block_merge_implIS3_PlPS5_mZN2at6native12_GLOBAL__N_124unique_dim_cuda_templateIaEESt5tupleIJNSA_6TensorESF_SF_EERKSF_lbbbEUlllE_EE10hipError_tT0_T1_T2_jT3_P12ihipStream_tbPNSt15iterator_traitsISL_E10value_typeEPNSR_ISM_E10value_typeEPSN_NS1_7vsmem_tEENKUlT_SL_SM_SN_E_clIS8_S8_S9_S9_EESK_S10_SL_SM_SN_EUlS10_E_NS1_11comp_targetILNS1_3genE3ELNS1_11target_archE908ELNS1_3gpuE7ELNS1_3repE0EEENS1_48merge_mergepath_partition_config_static_selectorELNS0_4arch9wavefront6targetE0EEEvSM_, .Lfunc_end274-_ZN7rocprim17ROCPRIM_400000_NS6detail17trampoline_kernelINS0_14default_configENS1_38merge_sort_block_merge_config_selectorIlNS0_10empty_typeEEEZZNS1_27merge_sort_block_merge_implIS3_PlPS5_mZN2at6native12_GLOBAL__N_124unique_dim_cuda_templateIaEESt5tupleIJNSA_6TensorESF_SF_EERKSF_lbbbEUlllE_EE10hipError_tT0_T1_T2_jT3_P12ihipStream_tbPNSt15iterator_traitsISL_E10value_typeEPNSR_ISM_E10value_typeEPSN_NS1_7vsmem_tEENKUlT_SL_SM_SN_E_clIS8_S8_S9_S9_EESK_S10_SL_SM_SN_EUlS10_E_NS1_11comp_targetILNS1_3genE3ELNS1_11target_archE908ELNS1_3gpuE7ELNS1_3repE0EEENS1_48merge_mergepath_partition_config_static_selectorELNS0_4arch9wavefront6targetE0EEEvSM_
                                        ; -- End function
	.section	.AMDGPU.csdata,"",@progbits
; Kernel info:
; codeLenInByte = 0
; NumSgprs: 0
; NumVgprs: 0
; ScratchSize: 0
; MemoryBound: 0
; FloatMode: 240
; IeeeMode: 1
; LDSByteSize: 0 bytes/workgroup (compile time only)
; SGPRBlocks: 0
; VGPRBlocks: 0
; NumSGPRsForWavesPerEU: 1
; NumVGPRsForWavesPerEU: 1
; Occupancy: 16
; WaveLimiterHint : 0
; COMPUTE_PGM_RSRC2:SCRATCH_EN: 0
; COMPUTE_PGM_RSRC2:USER_SGPR: 15
; COMPUTE_PGM_RSRC2:TRAP_HANDLER: 0
; COMPUTE_PGM_RSRC2:TGID_X_EN: 1
; COMPUTE_PGM_RSRC2:TGID_Y_EN: 0
; COMPUTE_PGM_RSRC2:TGID_Z_EN: 0
; COMPUTE_PGM_RSRC2:TIDIG_COMP_CNT: 0
	.section	.text._ZN7rocprim17ROCPRIM_400000_NS6detail17trampoline_kernelINS0_14default_configENS1_38merge_sort_block_merge_config_selectorIlNS0_10empty_typeEEEZZNS1_27merge_sort_block_merge_implIS3_PlPS5_mZN2at6native12_GLOBAL__N_124unique_dim_cuda_templateIaEESt5tupleIJNSA_6TensorESF_SF_EERKSF_lbbbEUlllE_EE10hipError_tT0_T1_T2_jT3_P12ihipStream_tbPNSt15iterator_traitsISL_E10value_typeEPNSR_ISM_E10value_typeEPSN_NS1_7vsmem_tEENKUlT_SL_SM_SN_E_clIS8_S8_S9_S9_EESK_S10_SL_SM_SN_EUlS10_E_NS1_11comp_targetILNS1_3genE2ELNS1_11target_archE906ELNS1_3gpuE6ELNS1_3repE0EEENS1_48merge_mergepath_partition_config_static_selectorELNS0_4arch9wavefront6targetE0EEEvSM_,"axG",@progbits,_ZN7rocprim17ROCPRIM_400000_NS6detail17trampoline_kernelINS0_14default_configENS1_38merge_sort_block_merge_config_selectorIlNS0_10empty_typeEEEZZNS1_27merge_sort_block_merge_implIS3_PlPS5_mZN2at6native12_GLOBAL__N_124unique_dim_cuda_templateIaEESt5tupleIJNSA_6TensorESF_SF_EERKSF_lbbbEUlllE_EE10hipError_tT0_T1_T2_jT3_P12ihipStream_tbPNSt15iterator_traitsISL_E10value_typeEPNSR_ISM_E10value_typeEPSN_NS1_7vsmem_tEENKUlT_SL_SM_SN_E_clIS8_S8_S9_S9_EESK_S10_SL_SM_SN_EUlS10_E_NS1_11comp_targetILNS1_3genE2ELNS1_11target_archE906ELNS1_3gpuE6ELNS1_3repE0EEENS1_48merge_mergepath_partition_config_static_selectorELNS0_4arch9wavefront6targetE0EEEvSM_,comdat
	.globl	_ZN7rocprim17ROCPRIM_400000_NS6detail17trampoline_kernelINS0_14default_configENS1_38merge_sort_block_merge_config_selectorIlNS0_10empty_typeEEEZZNS1_27merge_sort_block_merge_implIS3_PlPS5_mZN2at6native12_GLOBAL__N_124unique_dim_cuda_templateIaEESt5tupleIJNSA_6TensorESF_SF_EERKSF_lbbbEUlllE_EE10hipError_tT0_T1_T2_jT3_P12ihipStream_tbPNSt15iterator_traitsISL_E10value_typeEPNSR_ISM_E10value_typeEPSN_NS1_7vsmem_tEENKUlT_SL_SM_SN_E_clIS8_S8_S9_S9_EESK_S10_SL_SM_SN_EUlS10_E_NS1_11comp_targetILNS1_3genE2ELNS1_11target_archE906ELNS1_3gpuE6ELNS1_3repE0EEENS1_48merge_mergepath_partition_config_static_selectorELNS0_4arch9wavefront6targetE0EEEvSM_ ; -- Begin function _ZN7rocprim17ROCPRIM_400000_NS6detail17trampoline_kernelINS0_14default_configENS1_38merge_sort_block_merge_config_selectorIlNS0_10empty_typeEEEZZNS1_27merge_sort_block_merge_implIS3_PlPS5_mZN2at6native12_GLOBAL__N_124unique_dim_cuda_templateIaEESt5tupleIJNSA_6TensorESF_SF_EERKSF_lbbbEUlllE_EE10hipError_tT0_T1_T2_jT3_P12ihipStream_tbPNSt15iterator_traitsISL_E10value_typeEPNSR_ISM_E10value_typeEPSN_NS1_7vsmem_tEENKUlT_SL_SM_SN_E_clIS8_S8_S9_S9_EESK_S10_SL_SM_SN_EUlS10_E_NS1_11comp_targetILNS1_3genE2ELNS1_11target_archE906ELNS1_3gpuE6ELNS1_3repE0EEENS1_48merge_mergepath_partition_config_static_selectorELNS0_4arch9wavefront6targetE0EEEvSM_
	.p2align	8
	.type	_ZN7rocprim17ROCPRIM_400000_NS6detail17trampoline_kernelINS0_14default_configENS1_38merge_sort_block_merge_config_selectorIlNS0_10empty_typeEEEZZNS1_27merge_sort_block_merge_implIS3_PlPS5_mZN2at6native12_GLOBAL__N_124unique_dim_cuda_templateIaEESt5tupleIJNSA_6TensorESF_SF_EERKSF_lbbbEUlllE_EE10hipError_tT0_T1_T2_jT3_P12ihipStream_tbPNSt15iterator_traitsISL_E10value_typeEPNSR_ISM_E10value_typeEPSN_NS1_7vsmem_tEENKUlT_SL_SM_SN_E_clIS8_S8_S9_S9_EESK_S10_SL_SM_SN_EUlS10_E_NS1_11comp_targetILNS1_3genE2ELNS1_11target_archE906ELNS1_3gpuE6ELNS1_3repE0EEENS1_48merge_mergepath_partition_config_static_selectorELNS0_4arch9wavefront6targetE0EEEvSM_,@function
_ZN7rocprim17ROCPRIM_400000_NS6detail17trampoline_kernelINS0_14default_configENS1_38merge_sort_block_merge_config_selectorIlNS0_10empty_typeEEEZZNS1_27merge_sort_block_merge_implIS3_PlPS5_mZN2at6native12_GLOBAL__N_124unique_dim_cuda_templateIaEESt5tupleIJNSA_6TensorESF_SF_EERKSF_lbbbEUlllE_EE10hipError_tT0_T1_T2_jT3_P12ihipStream_tbPNSt15iterator_traitsISL_E10value_typeEPNSR_ISM_E10value_typeEPSN_NS1_7vsmem_tEENKUlT_SL_SM_SN_E_clIS8_S8_S9_S9_EESK_S10_SL_SM_SN_EUlS10_E_NS1_11comp_targetILNS1_3genE2ELNS1_11target_archE906ELNS1_3gpuE6ELNS1_3repE0EEENS1_48merge_mergepath_partition_config_static_selectorELNS0_4arch9wavefront6targetE0EEEvSM_: ; @_ZN7rocprim17ROCPRIM_400000_NS6detail17trampoline_kernelINS0_14default_configENS1_38merge_sort_block_merge_config_selectorIlNS0_10empty_typeEEEZZNS1_27merge_sort_block_merge_implIS3_PlPS5_mZN2at6native12_GLOBAL__N_124unique_dim_cuda_templateIaEESt5tupleIJNSA_6TensorESF_SF_EERKSF_lbbbEUlllE_EE10hipError_tT0_T1_T2_jT3_P12ihipStream_tbPNSt15iterator_traitsISL_E10value_typeEPNSR_ISM_E10value_typeEPSN_NS1_7vsmem_tEENKUlT_SL_SM_SN_E_clIS8_S8_S9_S9_EESK_S10_SL_SM_SN_EUlS10_E_NS1_11comp_targetILNS1_3genE2ELNS1_11target_archE906ELNS1_3gpuE6ELNS1_3repE0EEENS1_48merge_mergepath_partition_config_static_selectorELNS0_4arch9wavefront6targetE0EEEvSM_
; %bb.0:
	.section	.rodata,"a",@progbits
	.p2align	6, 0x0
	.amdhsa_kernel _ZN7rocprim17ROCPRIM_400000_NS6detail17trampoline_kernelINS0_14default_configENS1_38merge_sort_block_merge_config_selectorIlNS0_10empty_typeEEEZZNS1_27merge_sort_block_merge_implIS3_PlPS5_mZN2at6native12_GLOBAL__N_124unique_dim_cuda_templateIaEESt5tupleIJNSA_6TensorESF_SF_EERKSF_lbbbEUlllE_EE10hipError_tT0_T1_T2_jT3_P12ihipStream_tbPNSt15iterator_traitsISL_E10value_typeEPNSR_ISM_E10value_typeEPSN_NS1_7vsmem_tEENKUlT_SL_SM_SN_E_clIS8_S8_S9_S9_EESK_S10_SL_SM_SN_EUlS10_E_NS1_11comp_targetILNS1_3genE2ELNS1_11target_archE906ELNS1_3gpuE6ELNS1_3repE0EEENS1_48merge_mergepath_partition_config_static_selectorELNS0_4arch9wavefront6targetE0EEEvSM_
		.amdhsa_group_segment_fixed_size 0
		.amdhsa_private_segment_fixed_size 0
		.amdhsa_kernarg_size 56
		.amdhsa_user_sgpr_count 15
		.amdhsa_user_sgpr_dispatch_ptr 0
		.amdhsa_user_sgpr_queue_ptr 0
		.amdhsa_user_sgpr_kernarg_segment_ptr 1
		.amdhsa_user_sgpr_dispatch_id 0
		.amdhsa_user_sgpr_private_segment_size 0
		.amdhsa_wavefront_size32 1
		.amdhsa_uses_dynamic_stack 0
		.amdhsa_enable_private_segment 0
		.amdhsa_system_sgpr_workgroup_id_x 1
		.amdhsa_system_sgpr_workgroup_id_y 0
		.amdhsa_system_sgpr_workgroup_id_z 0
		.amdhsa_system_sgpr_workgroup_info 0
		.amdhsa_system_vgpr_workitem_id 0
		.amdhsa_next_free_vgpr 1
		.amdhsa_next_free_sgpr 1
		.amdhsa_reserve_vcc 0
		.amdhsa_float_round_mode_32 0
		.amdhsa_float_round_mode_16_64 0
		.amdhsa_float_denorm_mode_32 3
		.amdhsa_float_denorm_mode_16_64 3
		.amdhsa_dx10_clamp 1
		.amdhsa_ieee_mode 1
		.amdhsa_fp16_overflow 0
		.amdhsa_workgroup_processor_mode 1
		.amdhsa_memory_ordered 1
		.amdhsa_forward_progress 0
		.amdhsa_shared_vgpr_count 0
		.amdhsa_exception_fp_ieee_invalid_op 0
		.amdhsa_exception_fp_denorm_src 0
		.amdhsa_exception_fp_ieee_div_zero 0
		.amdhsa_exception_fp_ieee_overflow 0
		.amdhsa_exception_fp_ieee_underflow 0
		.amdhsa_exception_fp_ieee_inexact 0
		.amdhsa_exception_int_div_zero 0
	.end_amdhsa_kernel
	.section	.text._ZN7rocprim17ROCPRIM_400000_NS6detail17trampoline_kernelINS0_14default_configENS1_38merge_sort_block_merge_config_selectorIlNS0_10empty_typeEEEZZNS1_27merge_sort_block_merge_implIS3_PlPS5_mZN2at6native12_GLOBAL__N_124unique_dim_cuda_templateIaEESt5tupleIJNSA_6TensorESF_SF_EERKSF_lbbbEUlllE_EE10hipError_tT0_T1_T2_jT3_P12ihipStream_tbPNSt15iterator_traitsISL_E10value_typeEPNSR_ISM_E10value_typeEPSN_NS1_7vsmem_tEENKUlT_SL_SM_SN_E_clIS8_S8_S9_S9_EESK_S10_SL_SM_SN_EUlS10_E_NS1_11comp_targetILNS1_3genE2ELNS1_11target_archE906ELNS1_3gpuE6ELNS1_3repE0EEENS1_48merge_mergepath_partition_config_static_selectorELNS0_4arch9wavefront6targetE0EEEvSM_,"axG",@progbits,_ZN7rocprim17ROCPRIM_400000_NS6detail17trampoline_kernelINS0_14default_configENS1_38merge_sort_block_merge_config_selectorIlNS0_10empty_typeEEEZZNS1_27merge_sort_block_merge_implIS3_PlPS5_mZN2at6native12_GLOBAL__N_124unique_dim_cuda_templateIaEESt5tupleIJNSA_6TensorESF_SF_EERKSF_lbbbEUlllE_EE10hipError_tT0_T1_T2_jT3_P12ihipStream_tbPNSt15iterator_traitsISL_E10value_typeEPNSR_ISM_E10value_typeEPSN_NS1_7vsmem_tEENKUlT_SL_SM_SN_E_clIS8_S8_S9_S9_EESK_S10_SL_SM_SN_EUlS10_E_NS1_11comp_targetILNS1_3genE2ELNS1_11target_archE906ELNS1_3gpuE6ELNS1_3repE0EEENS1_48merge_mergepath_partition_config_static_selectorELNS0_4arch9wavefront6targetE0EEEvSM_,comdat
.Lfunc_end275:
	.size	_ZN7rocprim17ROCPRIM_400000_NS6detail17trampoline_kernelINS0_14default_configENS1_38merge_sort_block_merge_config_selectorIlNS0_10empty_typeEEEZZNS1_27merge_sort_block_merge_implIS3_PlPS5_mZN2at6native12_GLOBAL__N_124unique_dim_cuda_templateIaEESt5tupleIJNSA_6TensorESF_SF_EERKSF_lbbbEUlllE_EE10hipError_tT0_T1_T2_jT3_P12ihipStream_tbPNSt15iterator_traitsISL_E10value_typeEPNSR_ISM_E10value_typeEPSN_NS1_7vsmem_tEENKUlT_SL_SM_SN_E_clIS8_S8_S9_S9_EESK_S10_SL_SM_SN_EUlS10_E_NS1_11comp_targetILNS1_3genE2ELNS1_11target_archE906ELNS1_3gpuE6ELNS1_3repE0EEENS1_48merge_mergepath_partition_config_static_selectorELNS0_4arch9wavefront6targetE0EEEvSM_, .Lfunc_end275-_ZN7rocprim17ROCPRIM_400000_NS6detail17trampoline_kernelINS0_14default_configENS1_38merge_sort_block_merge_config_selectorIlNS0_10empty_typeEEEZZNS1_27merge_sort_block_merge_implIS3_PlPS5_mZN2at6native12_GLOBAL__N_124unique_dim_cuda_templateIaEESt5tupleIJNSA_6TensorESF_SF_EERKSF_lbbbEUlllE_EE10hipError_tT0_T1_T2_jT3_P12ihipStream_tbPNSt15iterator_traitsISL_E10value_typeEPNSR_ISM_E10value_typeEPSN_NS1_7vsmem_tEENKUlT_SL_SM_SN_E_clIS8_S8_S9_S9_EESK_S10_SL_SM_SN_EUlS10_E_NS1_11comp_targetILNS1_3genE2ELNS1_11target_archE906ELNS1_3gpuE6ELNS1_3repE0EEENS1_48merge_mergepath_partition_config_static_selectorELNS0_4arch9wavefront6targetE0EEEvSM_
                                        ; -- End function
	.section	.AMDGPU.csdata,"",@progbits
; Kernel info:
; codeLenInByte = 0
; NumSgprs: 0
; NumVgprs: 0
; ScratchSize: 0
; MemoryBound: 0
; FloatMode: 240
; IeeeMode: 1
; LDSByteSize: 0 bytes/workgroup (compile time only)
; SGPRBlocks: 0
; VGPRBlocks: 0
; NumSGPRsForWavesPerEU: 1
; NumVGPRsForWavesPerEU: 1
; Occupancy: 16
; WaveLimiterHint : 0
; COMPUTE_PGM_RSRC2:SCRATCH_EN: 0
; COMPUTE_PGM_RSRC2:USER_SGPR: 15
; COMPUTE_PGM_RSRC2:TRAP_HANDLER: 0
; COMPUTE_PGM_RSRC2:TGID_X_EN: 1
; COMPUTE_PGM_RSRC2:TGID_Y_EN: 0
; COMPUTE_PGM_RSRC2:TGID_Z_EN: 0
; COMPUTE_PGM_RSRC2:TIDIG_COMP_CNT: 0
	.section	.text._ZN7rocprim17ROCPRIM_400000_NS6detail17trampoline_kernelINS0_14default_configENS1_38merge_sort_block_merge_config_selectorIlNS0_10empty_typeEEEZZNS1_27merge_sort_block_merge_implIS3_PlPS5_mZN2at6native12_GLOBAL__N_124unique_dim_cuda_templateIaEESt5tupleIJNSA_6TensorESF_SF_EERKSF_lbbbEUlllE_EE10hipError_tT0_T1_T2_jT3_P12ihipStream_tbPNSt15iterator_traitsISL_E10value_typeEPNSR_ISM_E10value_typeEPSN_NS1_7vsmem_tEENKUlT_SL_SM_SN_E_clIS8_S8_S9_S9_EESK_S10_SL_SM_SN_EUlS10_E_NS1_11comp_targetILNS1_3genE9ELNS1_11target_archE1100ELNS1_3gpuE3ELNS1_3repE0EEENS1_48merge_mergepath_partition_config_static_selectorELNS0_4arch9wavefront6targetE0EEEvSM_,"axG",@progbits,_ZN7rocprim17ROCPRIM_400000_NS6detail17trampoline_kernelINS0_14default_configENS1_38merge_sort_block_merge_config_selectorIlNS0_10empty_typeEEEZZNS1_27merge_sort_block_merge_implIS3_PlPS5_mZN2at6native12_GLOBAL__N_124unique_dim_cuda_templateIaEESt5tupleIJNSA_6TensorESF_SF_EERKSF_lbbbEUlllE_EE10hipError_tT0_T1_T2_jT3_P12ihipStream_tbPNSt15iterator_traitsISL_E10value_typeEPNSR_ISM_E10value_typeEPSN_NS1_7vsmem_tEENKUlT_SL_SM_SN_E_clIS8_S8_S9_S9_EESK_S10_SL_SM_SN_EUlS10_E_NS1_11comp_targetILNS1_3genE9ELNS1_11target_archE1100ELNS1_3gpuE3ELNS1_3repE0EEENS1_48merge_mergepath_partition_config_static_selectorELNS0_4arch9wavefront6targetE0EEEvSM_,comdat
	.globl	_ZN7rocprim17ROCPRIM_400000_NS6detail17trampoline_kernelINS0_14default_configENS1_38merge_sort_block_merge_config_selectorIlNS0_10empty_typeEEEZZNS1_27merge_sort_block_merge_implIS3_PlPS5_mZN2at6native12_GLOBAL__N_124unique_dim_cuda_templateIaEESt5tupleIJNSA_6TensorESF_SF_EERKSF_lbbbEUlllE_EE10hipError_tT0_T1_T2_jT3_P12ihipStream_tbPNSt15iterator_traitsISL_E10value_typeEPNSR_ISM_E10value_typeEPSN_NS1_7vsmem_tEENKUlT_SL_SM_SN_E_clIS8_S8_S9_S9_EESK_S10_SL_SM_SN_EUlS10_E_NS1_11comp_targetILNS1_3genE9ELNS1_11target_archE1100ELNS1_3gpuE3ELNS1_3repE0EEENS1_48merge_mergepath_partition_config_static_selectorELNS0_4arch9wavefront6targetE0EEEvSM_ ; -- Begin function _ZN7rocprim17ROCPRIM_400000_NS6detail17trampoline_kernelINS0_14default_configENS1_38merge_sort_block_merge_config_selectorIlNS0_10empty_typeEEEZZNS1_27merge_sort_block_merge_implIS3_PlPS5_mZN2at6native12_GLOBAL__N_124unique_dim_cuda_templateIaEESt5tupleIJNSA_6TensorESF_SF_EERKSF_lbbbEUlllE_EE10hipError_tT0_T1_T2_jT3_P12ihipStream_tbPNSt15iterator_traitsISL_E10value_typeEPNSR_ISM_E10value_typeEPSN_NS1_7vsmem_tEENKUlT_SL_SM_SN_E_clIS8_S8_S9_S9_EESK_S10_SL_SM_SN_EUlS10_E_NS1_11comp_targetILNS1_3genE9ELNS1_11target_archE1100ELNS1_3gpuE3ELNS1_3repE0EEENS1_48merge_mergepath_partition_config_static_selectorELNS0_4arch9wavefront6targetE0EEEvSM_
	.p2align	8
	.type	_ZN7rocprim17ROCPRIM_400000_NS6detail17trampoline_kernelINS0_14default_configENS1_38merge_sort_block_merge_config_selectorIlNS0_10empty_typeEEEZZNS1_27merge_sort_block_merge_implIS3_PlPS5_mZN2at6native12_GLOBAL__N_124unique_dim_cuda_templateIaEESt5tupleIJNSA_6TensorESF_SF_EERKSF_lbbbEUlllE_EE10hipError_tT0_T1_T2_jT3_P12ihipStream_tbPNSt15iterator_traitsISL_E10value_typeEPNSR_ISM_E10value_typeEPSN_NS1_7vsmem_tEENKUlT_SL_SM_SN_E_clIS8_S8_S9_S9_EESK_S10_SL_SM_SN_EUlS10_E_NS1_11comp_targetILNS1_3genE9ELNS1_11target_archE1100ELNS1_3gpuE3ELNS1_3repE0EEENS1_48merge_mergepath_partition_config_static_selectorELNS0_4arch9wavefront6targetE0EEEvSM_,@function
_ZN7rocprim17ROCPRIM_400000_NS6detail17trampoline_kernelINS0_14default_configENS1_38merge_sort_block_merge_config_selectorIlNS0_10empty_typeEEEZZNS1_27merge_sort_block_merge_implIS3_PlPS5_mZN2at6native12_GLOBAL__N_124unique_dim_cuda_templateIaEESt5tupleIJNSA_6TensorESF_SF_EERKSF_lbbbEUlllE_EE10hipError_tT0_T1_T2_jT3_P12ihipStream_tbPNSt15iterator_traitsISL_E10value_typeEPNSR_ISM_E10value_typeEPSN_NS1_7vsmem_tEENKUlT_SL_SM_SN_E_clIS8_S8_S9_S9_EESK_S10_SL_SM_SN_EUlS10_E_NS1_11comp_targetILNS1_3genE9ELNS1_11target_archE1100ELNS1_3gpuE3ELNS1_3repE0EEENS1_48merge_mergepath_partition_config_static_selectorELNS0_4arch9wavefront6targetE0EEEvSM_: ; @_ZN7rocprim17ROCPRIM_400000_NS6detail17trampoline_kernelINS0_14default_configENS1_38merge_sort_block_merge_config_selectorIlNS0_10empty_typeEEEZZNS1_27merge_sort_block_merge_implIS3_PlPS5_mZN2at6native12_GLOBAL__N_124unique_dim_cuda_templateIaEESt5tupleIJNSA_6TensorESF_SF_EERKSF_lbbbEUlllE_EE10hipError_tT0_T1_T2_jT3_P12ihipStream_tbPNSt15iterator_traitsISL_E10value_typeEPNSR_ISM_E10value_typeEPSN_NS1_7vsmem_tEENKUlT_SL_SM_SN_E_clIS8_S8_S9_S9_EESK_S10_SL_SM_SN_EUlS10_E_NS1_11comp_targetILNS1_3genE9ELNS1_11target_archE1100ELNS1_3gpuE3ELNS1_3repE0EEENS1_48merge_mergepath_partition_config_static_selectorELNS0_4arch9wavefront6targetE0EEEvSM_
; %bb.0:
	s_load_b32 s2, s[0:1], 0x0
	v_lshl_or_b32 v0, s15, 7, v0
	s_waitcnt lgkmcnt(0)
	s_delay_alu instid0(VALU_DEP_1)
	v_cmp_gt_u32_e32 vcc_lo, s2, v0
	s_and_saveexec_b32 s2, vcc_lo
	s_cbranch_execz .LBB276_13
; %bb.1:
	s_load_b128 s[4:7], s[0:1], 0x8
	s_mov_b32 s12, 0
	v_mov_b32_e32 v2, 0
	s_waitcnt lgkmcnt(0)
	v_alignbit_b32 v1, s5, s4, 9
	s_delay_alu instid0(VALU_DEP_1) | instskip(NEXT) | instid1(VALU_DEP_1)
	v_and_b32_e32 v3, -2, v1
	v_sub_nc_u32_e32 v1, 0, v3
	s_delay_alu instid0(VALU_DEP_1) | instskip(NEXT) | instid1(VALU_DEP_1)
	v_and_b32_e32 v1, v0, v1
	v_lshlrev_b64 v[4:5], 10, v[1:2]
	v_add_nc_u32_e32 v1, -1, v3
	s_delay_alu instid0(VALU_DEP_1) | instskip(NEXT) | instid1(VALU_DEP_3)
	v_dual_mov_b32 v11, v2 :: v_dual_and_b32 v10, v1, v0
	v_add_co_u32 v6, vcc_lo, v4, s4
	s_delay_alu instid0(VALU_DEP_4) | instskip(NEXT) | instid1(VALU_DEP_1)
	v_add_co_ci_u32_e32 v7, vcc_lo, s5, v5, vcc_lo
	v_cmp_lt_u64_e32 vcc_lo, s[6:7], v[6:7]
	v_cndmask_b32_e64 v8, v6, s6, vcc_lo
	v_cndmask_b32_e64 v9, v7, s7, vcc_lo
	s_delay_alu instid0(VALU_DEP_2) | instskip(NEXT) | instid1(VALU_DEP_2)
	v_add_co_u32 v6, vcc_lo, v8, s4
	v_add_co_ci_u32_e32 v7, vcc_lo, s5, v9, vcc_lo
	v_cmp_lt_u64_e32 vcc_lo, s[6:7], v[4:5]
	s_delay_alu instid0(VALU_DEP_2) | instskip(SKIP_3) | instid1(VALU_DEP_4)
	v_cmp_lt_u64_e64 s2, s[6:7], v[6:7]
	v_cndmask_b32_e64 v2, v4, s6, vcc_lo
	v_cndmask_b32_e64 v3, v5, s7, vcc_lo
	v_lshlrev_b64 v[4:5], 10, v[10:11]
	v_cndmask_b32_e64 v12, v6, s6, s2
	v_cndmask_b32_e64 v1, v7, s7, s2
	s_load_b256 s[4:11], s[0:1], 0x18
	s_mov_b32 s1, exec_lo
	s_delay_alu instid0(VALU_DEP_2) | instskip(NEXT) | instid1(VALU_DEP_2)
	v_sub_co_u32 v6, vcc_lo, v12, v2
	v_sub_co_ci_u32_e32 v7, vcc_lo, v1, v3, vcc_lo
	s_delay_alu instid0(VALU_DEP_1) | instskip(SKIP_3) | instid1(VALU_DEP_2)
	v_cmp_lt_u64_e32 vcc_lo, v[6:7], v[4:5]
	v_dual_cndmask_b32 v11, v5, v7 :: v_dual_cndmask_b32 v10, v4, v6
	v_sub_co_u32 v4, vcc_lo, v8, v12
	v_sub_co_ci_u32_e32 v1, vcc_lo, v9, v1, vcc_lo
	v_add_co_u32 v4, vcc_lo, v10, v4
	s_delay_alu instid0(VALU_DEP_2) | instskip(SKIP_2) | instid1(VALU_DEP_3)
	v_add_co_ci_u32_e32 v5, vcc_lo, v11, v1, vcc_lo
	v_sub_co_u32 v6, vcc_lo, v8, v2
	v_sub_co_ci_u32_e32 v7, vcc_lo, v9, v3, vcc_lo
	v_cmp_gt_u64_e32 vcc_lo, v[4:5], v[10:11]
	s_delay_alu instid0(VALU_DEP_2) | instskip(SKIP_2) | instid1(VALU_DEP_3)
	v_cmp_lt_u64_e64 s0, v[10:11], v[6:7]
	v_cndmask_b32_e64 v5, v5, 0, vcc_lo
	v_cndmask_b32_e64 v4, v4, 0, vcc_lo
	v_cndmask_b32_e64 v7, v7, v11, s0
	v_cndmask_b32_e64 v6, v6, v10, s0
	s_delay_alu instid0(VALU_DEP_1)
	v_cmpx_lt_u64_e64 v[4:5], v[6:7]
	s_cbranch_execz .LBB276_12
; %bb.2:
	v_lshlrev_b64 v[8:9], 3, v[8:9]
	v_lshlrev_b64 v[12:13], 3, v[2:3]
	;; [unrolled: 1-line block ×3, first 2 shown]
	s_waitcnt lgkmcnt(0)
	s_delay_alu instid0(VALU_DEP_3) | instskip(NEXT) | instid1(VALU_DEP_4)
	v_add_co_u32 v8, vcc_lo, s4, v8
	v_add_co_ci_u32_e32 v9, vcc_lo, s5, v9, vcc_lo
	s_delay_alu instid0(VALU_DEP_4) | instskip(SKIP_1) | instid1(VALU_DEP_4)
	v_add_co_u32 v1, vcc_lo, s4, v12
	v_add_co_ci_u32_e32 v14, vcc_lo, s5, v13, vcc_lo
	v_add_co_u32 v15, vcc_lo, v8, v10
	v_cmp_gt_i64_e64 s4, s[6:7], 0
	v_add_co_ci_u32_e32 v16, vcc_lo, v9, v11, vcc_lo
	s_branch .LBB276_5
.LBB276_3:                              ;   in Loop: Header=BB276_5 Depth=1
	s_or_b32 exec_lo, exec_lo, s13
.LBB276_4:                              ;   in Loop: Header=BB276_5 Depth=1
	s_delay_alu instid0(VALU_DEP_1) | instskip(NEXT) | instid1(VALU_DEP_2)
	v_add_co_u32 v10, vcc_lo, v8, 1
	v_add_co_ci_u32_e32 v11, vcc_lo, 0, v9, vcc_lo
	v_cndmask_b32_e64 v7, v7, v9, s5
	v_cndmask_b32_e64 v6, v6, v8, s5
	s_delay_alu instid0(VALU_DEP_4) | instskip(NEXT) | instid1(VALU_DEP_4)
	v_cndmask_b32_e64 v4, v10, v4, s5
	v_cndmask_b32_e64 v5, v11, v5, s5
	s_delay_alu instid0(VALU_DEP_1) | instskip(SKIP_1) | instid1(SALU_CYCLE_1)
	v_cmp_ge_u64_e32 vcc_lo, v[4:5], v[6:7]
	s_or_b32 s12, vcc_lo, s12
	s_and_not1_b32 exec_lo, exec_lo, s12
	s_cbranch_execz .LBB276_11
.LBB276_5:                              ; =>This Loop Header: Depth=1
                                        ;     Child Loop BB276_8 Depth 2
	v_add_co_u32 v8, vcc_lo, v6, v4
	v_add_co_ci_u32_e32 v9, vcc_lo, v7, v5, vcc_lo
	s_delay_alu instid0(VALU_DEP_4) | instskip(NEXT) | instid1(VALU_DEP_1)
	s_and_not1_b32 vcc_lo, exec_lo, s4
	v_lshrrev_b64 v[8:9], 1, v[8:9]
	s_cbranch_vccnz .LBB276_10
; %bb.6:                                ;   in Loop: Header=BB276_5 Depth=1
	s_delay_alu instid0(VALU_DEP_1) | instskip(NEXT) | instid1(VALU_DEP_2)
	v_not_b32_e32 v11, v9
	v_not_b32_e32 v10, v8
	v_lshlrev_b64 v[12:13], 3, v[8:9]
	s_mov_b32 s13, 0
	s_mov_b64 s[2:3], s[6:7]
                                        ; implicit-def: $sgpr5
                                        ; implicit-def: $sgpr14
                                        ; implicit-def: $sgpr15
                                        ; implicit-def: $sgpr16
                                        ; implicit-def: $sgpr17
	s_delay_alu instid0(VALU_DEP_2) | instskip(NEXT) | instid1(VALU_DEP_1)
	v_lshlrev_b64 v[10:11], 3, v[10:11]
	v_add_co_u32 v10, vcc_lo, v15, v10
	s_delay_alu instid0(VALU_DEP_2)
	v_add_co_ci_u32_e32 v11, vcc_lo, v16, v11, vcc_lo
	v_add_co_u32 v12, vcc_lo, v1, v12
	v_add_co_ci_u32_e32 v13, vcc_lo, v14, v13, vcc_lo
	s_clause 0x1
	global_load_b64 v[17:18], v[10:11], off
	global_load_b64 v[19:20], v[12:13], off
	s_waitcnt vmcnt(1)
	v_mul_lo_u32 v21, v17, s7
	v_mul_lo_u32 v18, v18, s6
	v_mad_u64_u32 v[10:11], null, v17, s6, s[8:9]
	s_waitcnt vmcnt(0)
	v_mul_lo_u32 v17, v19, s7
	v_mul_lo_u32 v20, v20, s6
	v_mad_u64_u32 v[12:13], null, v19, s6, s[8:9]
	s_delay_alu instid0(VALU_DEP_4) | instskip(NEXT) | instid1(VALU_DEP_2)
	v_add3_u32 v11, v18, v11, v21
	v_add3_u32 v13, v20, v13, v17
	s_branch .LBB276_8
.LBB276_7:                              ;   in Loop: Header=BB276_8 Depth=2
	s_or_b32 exec_lo, exec_lo, s0
	s_delay_alu instid0(SALU_CYCLE_1) | instskip(NEXT) | instid1(SALU_CYCLE_1)
	s_and_b32 s0, exec_lo, s14
	s_or_b32 s13, s0, s13
	s_and_not1_b32 s0, s17, exec_lo
	s_and_b32 s17, s15, exec_lo
	s_and_not1_b32 s5, s5, exec_lo
	s_and_b32 s18, s16, exec_lo
	s_or_b32 s17, s0, s17
	s_or_b32 s5, s5, s18
	s_and_not1_b32 exec_lo, exec_lo, s13
	s_cbranch_execz .LBB276_3
.LBB276_8:                              ;   Parent Loop BB276_5 Depth=1
                                        ; =>  This Inner Loop Header: Depth=2
	global_load_u8 v17, v[10:11], off
	global_load_u8 v18, v[12:13], off
	s_and_not1_b32 s16, s16, exec_lo
	s_and_not1_b32 s15, s15, exec_lo
	s_or_b32 s14, s14, exec_lo
	s_waitcnt vmcnt(1)
	v_bfe_i32 v19, v17, 0, 8
	s_waitcnt vmcnt(0)
	v_bfe_i32 v20, v18, 0, 8
	v_and_b32_e32 v17, 0xff, v17
	v_and_b32_e32 v18, 0xff, v18
	s_delay_alu instid0(VALU_DEP_3)
	v_cmp_le_i16_e32 vcc_lo, v19, v20
	v_cmp_lt_i16_e64 s0, v19, v20
	s_and_b32 s18, vcc_lo, s17
	s_delay_alu instid0(VALU_DEP_1) | instid1(SALU_CYCLE_1)
	s_or_b32 s18, s0, s18
	s_delay_alu instid0(SALU_CYCLE_1) | instskip(NEXT) | instid1(SALU_CYCLE_1)
	s_and_b32 s0, s18, exec_lo
	s_or_b32 s16, s16, s0
	s_mov_b32 s0, exec_lo
	v_cmpx_eq_u16_e64 v17, v18
	s_cbranch_execz .LBB276_7
; %bb.9:                                ;   in Loop: Header=BB276_8 Depth=2
	s_add_u32 s2, s2, -1
	s_addc_u32 s3, s3, -1
	v_add_co_u32 v10, vcc_lo, v10, 1
	s_cmp_eq_u64 s[2:3], 0
	v_add_co_ci_u32_e32 v11, vcc_lo, 0, v11, vcc_lo
	s_cselect_b32 s17, -1, 0
	v_add_co_u32 v12, vcc_lo, v12, 1
	s_and_not1_b32 s15, s15, exec_lo
	s_and_b32 s18, s18, exec_lo
	s_and_not1_b32 s14, s14, exec_lo
	s_and_b32 s17, s17, exec_lo
	v_add_co_ci_u32_e32 v13, vcc_lo, 0, v13, vcc_lo
	s_and_not1_b32 s16, s16, exec_lo
	s_or_b32 s15, s15, s18
	s_or_b32 s14, s14, s17
                                        ; implicit-def: $sgpr17
	s_branch .LBB276_7
.LBB276_10:                             ;   in Loop: Header=BB276_5 Depth=1
	s_mov_b32 s5, 0
	s_branch .LBB276_4
.LBB276_11:
	s_or_b32 exec_lo, exec_lo, s12
.LBB276_12:
	s_delay_alu instid0(SALU_CYCLE_1) | instskip(SKIP_3) | instid1(VALU_DEP_3)
	s_or_b32 exec_lo, exec_lo, s1
	v_mov_b32_e32 v1, 0
	v_add_co_u32 v2, vcc_lo, v4, v2
	v_add_co_ci_u32_e32 v3, vcc_lo, v5, v3, vcc_lo
	v_lshlrev_b64 v[0:1], 3, v[0:1]
	s_waitcnt lgkmcnt(0)
	s_delay_alu instid0(VALU_DEP_1) | instskip(NEXT) | instid1(VALU_DEP_2)
	v_add_co_u32 v0, vcc_lo, s10, v0
	v_add_co_ci_u32_e32 v1, vcc_lo, s11, v1, vcc_lo
	global_store_b64 v[0:1], v[2:3], off
.LBB276_13:
	s_nop 0
	s_sendmsg sendmsg(MSG_DEALLOC_VGPRS)
	s_endpgm
	.section	.rodata,"a",@progbits
	.p2align	6, 0x0
	.amdhsa_kernel _ZN7rocprim17ROCPRIM_400000_NS6detail17trampoline_kernelINS0_14default_configENS1_38merge_sort_block_merge_config_selectorIlNS0_10empty_typeEEEZZNS1_27merge_sort_block_merge_implIS3_PlPS5_mZN2at6native12_GLOBAL__N_124unique_dim_cuda_templateIaEESt5tupleIJNSA_6TensorESF_SF_EERKSF_lbbbEUlllE_EE10hipError_tT0_T1_T2_jT3_P12ihipStream_tbPNSt15iterator_traitsISL_E10value_typeEPNSR_ISM_E10value_typeEPSN_NS1_7vsmem_tEENKUlT_SL_SM_SN_E_clIS8_S8_S9_S9_EESK_S10_SL_SM_SN_EUlS10_E_NS1_11comp_targetILNS1_3genE9ELNS1_11target_archE1100ELNS1_3gpuE3ELNS1_3repE0EEENS1_48merge_mergepath_partition_config_static_selectorELNS0_4arch9wavefront6targetE0EEEvSM_
		.amdhsa_group_segment_fixed_size 0
		.amdhsa_private_segment_fixed_size 0
		.amdhsa_kernarg_size 56
		.amdhsa_user_sgpr_count 15
		.amdhsa_user_sgpr_dispatch_ptr 0
		.amdhsa_user_sgpr_queue_ptr 0
		.amdhsa_user_sgpr_kernarg_segment_ptr 1
		.amdhsa_user_sgpr_dispatch_id 0
		.amdhsa_user_sgpr_private_segment_size 0
		.amdhsa_wavefront_size32 1
		.amdhsa_uses_dynamic_stack 0
		.amdhsa_enable_private_segment 0
		.amdhsa_system_sgpr_workgroup_id_x 1
		.amdhsa_system_sgpr_workgroup_id_y 0
		.amdhsa_system_sgpr_workgroup_id_z 0
		.amdhsa_system_sgpr_workgroup_info 0
		.amdhsa_system_vgpr_workitem_id 0
		.amdhsa_next_free_vgpr 22
		.amdhsa_next_free_sgpr 19
		.amdhsa_reserve_vcc 1
		.amdhsa_float_round_mode_32 0
		.amdhsa_float_round_mode_16_64 0
		.amdhsa_float_denorm_mode_32 3
		.amdhsa_float_denorm_mode_16_64 3
		.amdhsa_dx10_clamp 1
		.amdhsa_ieee_mode 1
		.amdhsa_fp16_overflow 0
		.amdhsa_workgroup_processor_mode 1
		.amdhsa_memory_ordered 1
		.amdhsa_forward_progress 0
		.amdhsa_shared_vgpr_count 0
		.amdhsa_exception_fp_ieee_invalid_op 0
		.amdhsa_exception_fp_denorm_src 0
		.amdhsa_exception_fp_ieee_div_zero 0
		.amdhsa_exception_fp_ieee_overflow 0
		.amdhsa_exception_fp_ieee_underflow 0
		.amdhsa_exception_fp_ieee_inexact 0
		.amdhsa_exception_int_div_zero 0
	.end_amdhsa_kernel
	.section	.text._ZN7rocprim17ROCPRIM_400000_NS6detail17trampoline_kernelINS0_14default_configENS1_38merge_sort_block_merge_config_selectorIlNS0_10empty_typeEEEZZNS1_27merge_sort_block_merge_implIS3_PlPS5_mZN2at6native12_GLOBAL__N_124unique_dim_cuda_templateIaEESt5tupleIJNSA_6TensorESF_SF_EERKSF_lbbbEUlllE_EE10hipError_tT0_T1_T2_jT3_P12ihipStream_tbPNSt15iterator_traitsISL_E10value_typeEPNSR_ISM_E10value_typeEPSN_NS1_7vsmem_tEENKUlT_SL_SM_SN_E_clIS8_S8_S9_S9_EESK_S10_SL_SM_SN_EUlS10_E_NS1_11comp_targetILNS1_3genE9ELNS1_11target_archE1100ELNS1_3gpuE3ELNS1_3repE0EEENS1_48merge_mergepath_partition_config_static_selectorELNS0_4arch9wavefront6targetE0EEEvSM_,"axG",@progbits,_ZN7rocprim17ROCPRIM_400000_NS6detail17trampoline_kernelINS0_14default_configENS1_38merge_sort_block_merge_config_selectorIlNS0_10empty_typeEEEZZNS1_27merge_sort_block_merge_implIS3_PlPS5_mZN2at6native12_GLOBAL__N_124unique_dim_cuda_templateIaEESt5tupleIJNSA_6TensorESF_SF_EERKSF_lbbbEUlllE_EE10hipError_tT0_T1_T2_jT3_P12ihipStream_tbPNSt15iterator_traitsISL_E10value_typeEPNSR_ISM_E10value_typeEPSN_NS1_7vsmem_tEENKUlT_SL_SM_SN_E_clIS8_S8_S9_S9_EESK_S10_SL_SM_SN_EUlS10_E_NS1_11comp_targetILNS1_3genE9ELNS1_11target_archE1100ELNS1_3gpuE3ELNS1_3repE0EEENS1_48merge_mergepath_partition_config_static_selectorELNS0_4arch9wavefront6targetE0EEEvSM_,comdat
.Lfunc_end276:
	.size	_ZN7rocprim17ROCPRIM_400000_NS6detail17trampoline_kernelINS0_14default_configENS1_38merge_sort_block_merge_config_selectorIlNS0_10empty_typeEEEZZNS1_27merge_sort_block_merge_implIS3_PlPS5_mZN2at6native12_GLOBAL__N_124unique_dim_cuda_templateIaEESt5tupleIJNSA_6TensorESF_SF_EERKSF_lbbbEUlllE_EE10hipError_tT0_T1_T2_jT3_P12ihipStream_tbPNSt15iterator_traitsISL_E10value_typeEPNSR_ISM_E10value_typeEPSN_NS1_7vsmem_tEENKUlT_SL_SM_SN_E_clIS8_S8_S9_S9_EESK_S10_SL_SM_SN_EUlS10_E_NS1_11comp_targetILNS1_3genE9ELNS1_11target_archE1100ELNS1_3gpuE3ELNS1_3repE0EEENS1_48merge_mergepath_partition_config_static_selectorELNS0_4arch9wavefront6targetE0EEEvSM_, .Lfunc_end276-_ZN7rocprim17ROCPRIM_400000_NS6detail17trampoline_kernelINS0_14default_configENS1_38merge_sort_block_merge_config_selectorIlNS0_10empty_typeEEEZZNS1_27merge_sort_block_merge_implIS3_PlPS5_mZN2at6native12_GLOBAL__N_124unique_dim_cuda_templateIaEESt5tupleIJNSA_6TensorESF_SF_EERKSF_lbbbEUlllE_EE10hipError_tT0_T1_T2_jT3_P12ihipStream_tbPNSt15iterator_traitsISL_E10value_typeEPNSR_ISM_E10value_typeEPSN_NS1_7vsmem_tEENKUlT_SL_SM_SN_E_clIS8_S8_S9_S9_EESK_S10_SL_SM_SN_EUlS10_E_NS1_11comp_targetILNS1_3genE9ELNS1_11target_archE1100ELNS1_3gpuE3ELNS1_3repE0EEENS1_48merge_mergepath_partition_config_static_selectorELNS0_4arch9wavefront6targetE0EEEvSM_
                                        ; -- End function
	.section	.AMDGPU.csdata,"",@progbits
; Kernel info:
; codeLenInByte = 1052
; NumSgprs: 21
; NumVgprs: 22
; ScratchSize: 0
; MemoryBound: 0
; FloatMode: 240
; IeeeMode: 1
; LDSByteSize: 0 bytes/workgroup (compile time only)
; SGPRBlocks: 2
; VGPRBlocks: 2
; NumSGPRsForWavesPerEU: 21
; NumVGPRsForWavesPerEU: 22
; Occupancy: 16
; WaveLimiterHint : 0
; COMPUTE_PGM_RSRC2:SCRATCH_EN: 0
; COMPUTE_PGM_RSRC2:USER_SGPR: 15
; COMPUTE_PGM_RSRC2:TRAP_HANDLER: 0
; COMPUTE_PGM_RSRC2:TGID_X_EN: 1
; COMPUTE_PGM_RSRC2:TGID_Y_EN: 0
; COMPUTE_PGM_RSRC2:TGID_Z_EN: 0
; COMPUTE_PGM_RSRC2:TIDIG_COMP_CNT: 0
	.section	.text._ZN7rocprim17ROCPRIM_400000_NS6detail17trampoline_kernelINS0_14default_configENS1_38merge_sort_block_merge_config_selectorIlNS0_10empty_typeEEEZZNS1_27merge_sort_block_merge_implIS3_PlPS5_mZN2at6native12_GLOBAL__N_124unique_dim_cuda_templateIaEESt5tupleIJNSA_6TensorESF_SF_EERKSF_lbbbEUlllE_EE10hipError_tT0_T1_T2_jT3_P12ihipStream_tbPNSt15iterator_traitsISL_E10value_typeEPNSR_ISM_E10value_typeEPSN_NS1_7vsmem_tEENKUlT_SL_SM_SN_E_clIS8_S8_S9_S9_EESK_S10_SL_SM_SN_EUlS10_E_NS1_11comp_targetILNS1_3genE8ELNS1_11target_archE1030ELNS1_3gpuE2ELNS1_3repE0EEENS1_48merge_mergepath_partition_config_static_selectorELNS0_4arch9wavefront6targetE0EEEvSM_,"axG",@progbits,_ZN7rocprim17ROCPRIM_400000_NS6detail17trampoline_kernelINS0_14default_configENS1_38merge_sort_block_merge_config_selectorIlNS0_10empty_typeEEEZZNS1_27merge_sort_block_merge_implIS3_PlPS5_mZN2at6native12_GLOBAL__N_124unique_dim_cuda_templateIaEESt5tupleIJNSA_6TensorESF_SF_EERKSF_lbbbEUlllE_EE10hipError_tT0_T1_T2_jT3_P12ihipStream_tbPNSt15iterator_traitsISL_E10value_typeEPNSR_ISM_E10value_typeEPSN_NS1_7vsmem_tEENKUlT_SL_SM_SN_E_clIS8_S8_S9_S9_EESK_S10_SL_SM_SN_EUlS10_E_NS1_11comp_targetILNS1_3genE8ELNS1_11target_archE1030ELNS1_3gpuE2ELNS1_3repE0EEENS1_48merge_mergepath_partition_config_static_selectorELNS0_4arch9wavefront6targetE0EEEvSM_,comdat
	.globl	_ZN7rocprim17ROCPRIM_400000_NS6detail17trampoline_kernelINS0_14default_configENS1_38merge_sort_block_merge_config_selectorIlNS0_10empty_typeEEEZZNS1_27merge_sort_block_merge_implIS3_PlPS5_mZN2at6native12_GLOBAL__N_124unique_dim_cuda_templateIaEESt5tupleIJNSA_6TensorESF_SF_EERKSF_lbbbEUlllE_EE10hipError_tT0_T1_T2_jT3_P12ihipStream_tbPNSt15iterator_traitsISL_E10value_typeEPNSR_ISM_E10value_typeEPSN_NS1_7vsmem_tEENKUlT_SL_SM_SN_E_clIS8_S8_S9_S9_EESK_S10_SL_SM_SN_EUlS10_E_NS1_11comp_targetILNS1_3genE8ELNS1_11target_archE1030ELNS1_3gpuE2ELNS1_3repE0EEENS1_48merge_mergepath_partition_config_static_selectorELNS0_4arch9wavefront6targetE0EEEvSM_ ; -- Begin function _ZN7rocprim17ROCPRIM_400000_NS6detail17trampoline_kernelINS0_14default_configENS1_38merge_sort_block_merge_config_selectorIlNS0_10empty_typeEEEZZNS1_27merge_sort_block_merge_implIS3_PlPS5_mZN2at6native12_GLOBAL__N_124unique_dim_cuda_templateIaEESt5tupleIJNSA_6TensorESF_SF_EERKSF_lbbbEUlllE_EE10hipError_tT0_T1_T2_jT3_P12ihipStream_tbPNSt15iterator_traitsISL_E10value_typeEPNSR_ISM_E10value_typeEPSN_NS1_7vsmem_tEENKUlT_SL_SM_SN_E_clIS8_S8_S9_S9_EESK_S10_SL_SM_SN_EUlS10_E_NS1_11comp_targetILNS1_3genE8ELNS1_11target_archE1030ELNS1_3gpuE2ELNS1_3repE0EEENS1_48merge_mergepath_partition_config_static_selectorELNS0_4arch9wavefront6targetE0EEEvSM_
	.p2align	8
	.type	_ZN7rocprim17ROCPRIM_400000_NS6detail17trampoline_kernelINS0_14default_configENS1_38merge_sort_block_merge_config_selectorIlNS0_10empty_typeEEEZZNS1_27merge_sort_block_merge_implIS3_PlPS5_mZN2at6native12_GLOBAL__N_124unique_dim_cuda_templateIaEESt5tupleIJNSA_6TensorESF_SF_EERKSF_lbbbEUlllE_EE10hipError_tT0_T1_T2_jT3_P12ihipStream_tbPNSt15iterator_traitsISL_E10value_typeEPNSR_ISM_E10value_typeEPSN_NS1_7vsmem_tEENKUlT_SL_SM_SN_E_clIS8_S8_S9_S9_EESK_S10_SL_SM_SN_EUlS10_E_NS1_11comp_targetILNS1_3genE8ELNS1_11target_archE1030ELNS1_3gpuE2ELNS1_3repE0EEENS1_48merge_mergepath_partition_config_static_selectorELNS0_4arch9wavefront6targetE0EEEvSM_,@function
_ZN7rocprim17ROCPRIM_400000_NS6detail17trampoline_kernelINS0_14default_configENS1_38merge_sort_block_merge_config_selectorIlNS0_10empty_typeEEEZZNS1_27merge_sort_block_merge_implIS3_PlPS5_mZN2at6native12_GLOBAL__N_124unique_dim_cuda_templateIaEESt5tupleIJNSA_6TensorESF_SF_EERKSF_lbbbEUlllE_EE10hipError_tT0_T1_T2_jT3_P12ihipStream_tbPNSt15iterator_traitsISL_E10value_typeEPNSR_ISM_E10value_typeEPSN_NS1_7vsmem_tEENKUlT_SL_SM_SN_E_clIS8_S8_S9_S9_EESK_S10_SL_SM_SN_EUlS10_E_NS1_11comp_targetILNS1_3genE8ELNS1_11target_archE1030ELNS1_3gpuE2ELNS1_3repE0EEENS1_48merge_mergepath_partition_config_static_selectorELNS0_4arch9wavefront6targetE0EEEvSM_: ; @_ZN7rocprim17ROCPRIM_400000_NS6detail17trampoline_kernelINS0_14default_configENS1_38merge_sort_block_merge_config_selectorIlNS0_10empty_typeEEEZZNS1_27merge_sort_block_merge_implIS3_PlPS5_mZN2at6native12_GLOBAL__N_124unique_dim_cuda_templateIaEESt5tupleIJNSA_6TensorESF_SF_EERKSF_lbbbEUlllE_EE10hipError_tT0_T1_T2_jT3_P12ihipStream_tbPNSt15iterator_traitsISL_E10value_typeEPNSR_ISM_E10value_typeEPSN_NS1_7vsmem_tEENKUlT_SL_SM_SN_E_clIS8_S8_S9_S9_EESK_S10_SL_SM_SN_EUlS10_E_NS1_11comp_targetILNS1_3genE8ELNS1_11target_archE1030ELNS1_3gpuE2ELNS1_3repE0EEENS1_48merge_mergepath_partition_config_static_selectorELNS0_4arch9wavefront6targetE0EEEvSM_
; %bb.0:
	.section	.rodata,"a",@progbits
	.p2align	6, 0x0
	.amdhsa_kernel _ZN7rocprim17ROCPRIM_400000_NS6detail17trampoline_kernelINS0_14default_configENS1_38merge_sort_block_merge_config_selectorIlNS0_10empty_typeEEEZZNS1_27merge_sort_block_merge_implIS3_PlPS5_mZN2at6native12_GLOBAL__N_124unique_dim_cuda_templateIaEESt5tupleIJNSA_6TensorESF_SF_EERKSF_lbbbEUlllE_EE10hipError_tT0_T1_T2_jT3_P12ihipStream_tbPNSt15iterator_traitsISL_E10value_typeEPNSR_ISM_E10value_typeEPSN_NS1_7vsmem_tEENKUlT_SL_SM_SN_E_clIS8_S8_S9_S9_EESK_S10_SL_SM_SN_EUlS10_E_NS1_11comp_targetILNS1_3genE8ELNS1_11target_archE1030ELNS1_3gpuE2ELNS1_3repE0EEENS1_48merge_mergepath_partition_config_static_selectorELNS0_4arch9wavefront6targetE0EEEvSM_
		.amdhsa_group_segment_fixed_size 0
		.amdhsa_private_segment_fixed_size 0
		.amdhsa_kernarg_size 56
		.amdhsa_user_sgpr_count 15
		.amdhsa_user_sgpr_dispatch_ptr 0
		.amdhsa_user_sgpr_queue_ptr 0
		.amdhsa_user_sgpr_kernarg_segment_ptr 1
		.amdhsa_user_sgpr_dispatch_id 0
		.amdhsa_user_sgpr_private_segment_size 0
		.amdhsa_wavefront_size32 1
		.amdhsa_uses_dynamic_stack 0
		.amdhsa_enable_private_segment 0
		.amdhsa_system_sgpr_workgroup_id_x 1
		.amdhsa_system_sgpr_workgroup_id_y 0
		.amdhsa_system_sgpr_workgroup_id_z 0
		.amdhsa_system_sgpr_workgroup_info 0
		.amdhsa_system_vgpr_workitem_id 0
		.amdhsa_next_free_vgpr 1
		.amdhsa_next_free_sgpr 1
		.amdhsa_reserve_vcc 0
		.amdhsa_float_round_mode_32 0
		.amdhsa_float_round_mode_16_64 0
		.amdhsa_float_denorm_mode_32 3
		.amdhsa_float_denorm_mode_16_64 3
		.amdhsa_dx10_clamp 1
		.amdhsa_ieee_mode 1
		.amdhsa_fp16_overflow 0
		.amdhsa_workgroup_processor_mode 1
		.amdhsa_memory_ordered 1
		.amdhsa_forward_progress 0
		.amdhsa_shared_vgpr_count 0
		.amdhsa_exception_fp_ieee_invalid_op 0
		.amdhsa_exception_fp_denorm_src 0
		.amdhsa_exception_fp_ieee_div_zero 0
		.amdhsa_exception_fp_ieee_overflow 0
		.amdhsa_exception_fp_ieee_underflow 0
		.amdhsa_exception_fp_ieee_inexact 0
		.amdhsa_exception_int_div_zero 0
	.end_amdhsa_kernel
	.section	.text._ZN7rocprim17ROCPRIM_400000_NS6detail17trampoline_kernelINS0_14default_configENS1_38merge_sort_block_merge_config_selectorIlNS0_10empty_typeEEEZZNS1_27merge_sort_block_merge_implIS3_PlPS5_mZN2at6native12_GLOBAL__N_124unique_dim_cuda_templateIaEESt5tupleIJNSA_6TensorESF_SF_EERKSF_lbbbEUlllE_EE10hipError_tT0_T1_T2_jT3_P12ihipStream_tbPNSt15iterator_traitsISL_E10value_typeEPNSR_ISM_E10value_typeEPSN_NS1_7vsmem_tEENKUlT_SL_SM_SN_E_clIS8_S8_S9_S9_EESK_S10_SL_SM_SN_EUlS10_E_NS1_11comp_targetILNS1_3genE8ELNS1_11target_archE1030ELNS1_3gpuE2ELNS1_3repE0EEENS1_48merge_mergepath_partition_config_static_selectorELNS0_4arch9wavefront6targetE0EEEvSM_,"axG",@progbits,_ZN7rocprim17ROCPRIM_400000_NS6detail17trampoline_kernelINS0_14default_configENS1_38merge_sort_block_merge_config_selectorIlNS0_10empty_typeEEEZZNS1_27merge_sort_block_merge_implIS3_PlPS5_mZN2at6native12_GLOBAL__N_124unique_dim_cuda_templateIaEESt5tupleIJNSA_6TensorESF_SF_EERKSF_lbbbEUlllE_EE10hipError_tT0_T1_T2_jT3_P12ihipStream_tbPNSt15iterator_traitsISL_E10value_typeEPNSR_ISM_E10value_typeEPSN_NS1_7vsmem_tEENKUlT_SL_SM_SN_E_clIS8_S8_S9_S9_EESK_S10_SL_SM_SN_EUlS10_E_NS1_11comp_targetILNS1_3genE8ELNS1_11target_archE1030ELNS1_3gpuE2ELNS1_3repE0EEENS1_48merge_mergepath_partition_config_static_selectorELNS0_4arch9wavefront6targetE0EEEvSM_,comdat
.Lfunc_end277:
	.size	_ZN7rocprim17ROCPRIM_400000_NS6detail17trampoline_kernelINS0_14default_configENS1_38merge_sort_block_merge_config_selectorIlNS0_10empty_typeEEEZZNS1_27merge_sort_block_merge_implIS3_PlPS5_mZN2at6native12_GLOBAL__N_124unique_dim_cuda_templateIaEESt5tupleIJNSA_6TensorESF_SF_EERKSF_lbbbEUlllE_EE10hipError_tT0_T1_T2_jT3_P12ihipStream_tbPNSt15iterator_traitsISL_E10value_typeEPNSR_ISM_E10value_typeEPSN_NS1_7vsmem_tEENKUlT_SL_SM_SN_E_clIS8_S8_S9_S9_EESK_S10_SL_SM_SN_EUlS10_E_NS1_11comp_targetILNS1_3genE8ELNS1_11target_archE1030ELNS1_3gpuE2ELNS1_3repE0EEENS1_48merge_mergepath_partition_config_static_selectorELNS0_4arch9wavefront6targetE0EEEvSM_, .Lfunc_end277-_ZN7rocprim17ROCPRIM_400000_NS6detail17trampoline_kernelINS0_14default_configENS1_38merge_sort_block_merge_config_selectorIlNS0_10empty_typeEEEZZNS1_27merge_sort_block_merge_implIS3_PlPS5_mZN2at6native12_GLOBAL__N_124unique_dim_cuda_templateIaEESt5tupleIJNSA_6TensorESF_SF_EERKSF_lbbbEUlllE_EE10hipError_tT0_T1_T2_jT3_P12ihipStream_tbPNSt15iterator_traitsISL_E10value_typeEPNSR_ISM_E10value_typeEPSN_NS1_7vsmem_tEENKUlT_SL_SM_SN_E_clIS8_S8_S9_S9_EESK_S10_SL_SM_SN_EUlS10_E_NS1_11comp_targetILNS1_3genE8ELNS1_11target_archE1030ELNS1_3gpuE2ELNS1_3repE0EEENS1_48merge_mergepath_partition_config_static_selectorELNS0_4arch9wavefront6targetE0EEEvSM_
                                        ; -- End function
	.section	.AMDGPU.csdata,"",@progbits
; Kernel info:
; codeLenInByte = 0
; NumSgprs: 0
; NumVgprs: 0
; ScratchSize: 0
; MemoryBound: 0
; FloatMode: 240
; IeeeMode: 1
; LDSByteSize: 0 bytes/workgroup (compile time only)
; SGPRBlocks: 0
; VGPRBlocks: 0
; NumSGPRsForWavesPerEU: 1
; NumVGPRsForWavesPerEU: 1
; Occupancy: 16
; WaveLimiterHint : 0
; COMPUTE_PGM_RSRC2:SCRATCH_EN: 0
; COMPUTE_PGM_RSRC2:USER_SGPR: 15
; COMPUTE_PGM_RSRC2:TRAP_HANDLER: 0
; COMPUTE_PGM_RSRC2:TGID_X_EN: 1
; COMPUTE_PGM_RSRC2:TGID_Y_EN: 0
; COMPUTE_PGM_RSRC2:TGID_Z_EN: 0
; COMPUTE_PGM_RSRC2:TIDIG_COMP_CNT: 0
	.section	.text._ZN7rocprim17ROCPRIM_400000_NS6detail17trampoline_kernelINS0_14default_configENS1_38merge_sort_block_merge_config_selectorIlNS0_10empty_typeEEEZZNS1_27merge_sort_block_merge_implIS3_PlPS5_mZN2at6native12_GLOBAL__N_124unique_dim_cuda_templateIaEESt5tupleIJNSA_6TensorESF_SF_EERKSF_lbbbEUlllE_EE10hipError_tT0_T1_T2_jT3_P12ihipStream_tbPNSt15iterator_traitsISL_E10value_typeEPNSR_ISM_E10value_typeEPSN_NS1_7vsmem_tEENKUlT_SL_SM_SN_E_clIS8_S8_S9_S9_EESK_S10_SL_SM_SN_EUlS10_E0_NS1_11comp_targetILNS1_3genE0ELNS1_11target_archE4294967295ELNS1_3gpuE0ELNS1_3repE0EEENS1_38merge_mergepath_config_static_selectorELNS0_4arch9wavefront6targetE0EEEvSM_,"axG",@progbits,_ZN7rocprim17ROCPRIM_400000_NS6detail17trampoline_kernelINS0_14default_configENS1_38merge_sort_block_merge_config_selectorIlNS0_10empty_typeEEEZZNS1_27merge_sort_block_merge_implIS3_PlPS5_mZN2at6native12_GLOBAL__N_124unique_dim_cuda_templateIaEESt5tupleIJNSA_6TensorESF_SF_EERKSF_lbbbEUlllE_EE10hipError_tT0_T1_T2_jT3_P12ihipStream_tbPNSt15iterator_traitsISL_E10value_typeEPNSR_ISM_E10value_typeEPSN_NS1_7vsmem_tEENKUlT_SL_SM_SN_E_clIS8_S8_S9_S9_EESK_S10_SL_SM_SN_EUlS10_E0_NS1_11comp_targetILNS1_3genE0ELNS1_11target_archE4294967295ELNS1_3gpuE0ELNS1_3repE0EEENS1_38merge_mergepath_config_static_selectorELNS0_4arch9wavefront6targetE0EEEvSM_,comdat
	.globl	_ZN7rocprim17ROCPRIM_400000_NS6detail17trampoline_kernelINS0_14default_configENS1_38merge_sort_block_merge_config_selectorIlNS0_10empty_typeEEEZZNS1_27merge_sort_block_merge_implIS3_PlPS5_mZN2at6native12_GLOBAL__N_124unique_dim_cuda_templateIaEESt5tupleIJNSA_6TensorESF_SF_EERKSF_lbbbEUlllE_EE10hipError_tT0_T1_T2_jT3_P12ihipStream_tbPNSt15iterator_traitsISL_E10value_typeEPNSR_ISM_E10value_typeEPSN_NS1_7vsmem_tEENKUlT_SL_SM_SN_E_clIS8_S8_S9_S9_EESK_S10_SL_SM_SN_EUlS10_E0_NS1_11comp_targetILNS1_3genE0ELNS1_11target_archE4294967295ELNS1_3gpuE0ELNS1_3repE0EEENS1_38merge_mergepath_config_static_selectorELNS0_4arch9wavefront6targetE0EEEvSM_ ; -- Begin function _ZN7rocprim17ROCPRIM_400000_NS6detail17trampoline_kernelINS0_14default_configENS1_38merge_sort_block_merge_config_selectorIlNS0_10empty_typeEEEZZNS1_27merge_sort_block_merge_implIS3_PlPS5_mZN2at6native12_GLOBAL__N_124unique_dim_cuda_templateIaEESt5tupleIJNSA_6TensorESF_SF_EERKSF_lbbbEUlllE_EE10hipError_tT0_T1_T2_jT3_P12ihipStream_tbPNSt15iterator_traitsISL_E10value_typeEPNSR_ISM_E10value_typeEPSN_NS1_7vsmem_tEENKUlT_SL_SM_SN_E_clIS8_S8_S9_S9_EESK_S10_SL_SM_SN_EUlS10_E0_NS1_11comp_targetILNS1_3genE0ELNS1_11target_archE4294967295ELNS1_3gpuE0ELNS1_3repE0EEENS1_38merge_mergepath_config_static_selectorELNS0_4arch9wavefront6targetE0EEEvSM_
	.p2align	8
	.type	_ZN7rocprim17ROCPRIM_400000_NS6detail17trampoline_kernelINS0_14default_configENS1_38merge_sort_block_merge_config_selectorIlNS0_10empty_typeEEEZZNS1_27merge_sort_block_merge_implIS3_PlPS5_mZN2at6native12_GLOBAL__N_124unique_dim_cuda_templateIaEESt5tupleIJNSA_6TensorESF_SF_EERKSF_lbbbEUlllE_EE10hipError_tT0_T1_T2_jT3_P12ihipStream_tbPNSt15iterator_traitsISL_E10value_typeEPNSR_ISM_E10value_typeEPSN_NS1_7vsmem_tEENKUlT_SL_SM_SN_E_clIS8_S8_S9_S9_EESK_S10_SL_SM_SN_EUlS10_E0_NS1_11comp_targetILNS1_3genE0ELNS1_11target_archE4294967295ELNS1_3gpuE0ELNS1_3repE0EEENS1_38merge_mergepath_config_static_selectorELNS0_4arch9wavefront6targetE0EEEvSM_,@function
_ZN7rocprim17ROCPRIM_400000_NS6detail17trampoline_kernelINS0_14default_configENS1_38merge_sort_block_merge_config_selectorIlNS0_10empty_typeEEEZZNS1_27merge_sort_block_merge_implIS3_PlPS5_mZN2at6native12_GLOBAL__N_124unique_dim_cuda_templateIaEESt5tupleIJNSA_6TensorESF_SF_EERKSF_lbbbEUlllE_EE10hipError_tT0_T1_T2_jT3_P12ihipStream_tbPNSt15iterator_traitsISL_E10value_typeEPNSR_ISM_E10value_typeEPSN_NS1_7vsmem_tEENKUlT_SL_SM_SN_E_clIS8_S8_S9_S9_EESK_S10_SL_SM_SN_EUlS10_E0_NS1_11comp_targetILNS1_3genE0ELNS1_11target_archE4294967295ELNS1_3gpuE0ELNS1_3repE0EEENS1_38merge_mergepath_config_static_selectorELNS0_4arch9wavefront6targetE0EEEvSM_: ; @_ZN7rocprim17ROCPRIM_400000_NS6detail17trampoline_kernelINS0_14default_configENS1_38merge_sort_block_merge_config_selectorIlNS0_10empty_typeEEEZZNS1_27merge_sort_block_merge_implIS3_PlPS5_mZN2at6native12_GLOBAL__N_124unique_dim_cuda_templateIaEESt5tupleIJNSA_6TensorESF_SF_EERKSF_lbbbEUlllE_EE10hipError_tT0_T1_T2_jT3_P12ihipStream_tbPNSt15iterator_traitsISL_E10value_typeEPNSR_ISM_E10value_typeEPSN_NS1_7vsmem_tEENKUlT_SL_SM_SN_E_clIS8_S8_S9_S9_EESK_S10_SL_SM_SN_EUlS10_E0_NS1_11comp_targetILNS1_3genE0ELNS1_11target_archE4294967295ELNS1_3gpuE0ELNS1_3repE0EEENS1_38merge_mergepath_config_static_selectorELNS0_4arch9wavefront6targetE0EEEvSM_
; %bb.0:
	.section	.rodata,"a",@progbits
	.p2align	6, 0x0
	.amdhsa_kernel _ZN7rocprim17ROCPRIM_400000_NS6detail17trampoline_kernelINS0_14default_configENS1_38merge_sort_block_merge_config_selectorIlNS0_10empty_typeEEEZZNS1_27merge_sort_block_merge_implIS3_PlPS5_mZN2at6native12_GLOBAL__N_124unique_dim_cuda_templateIaEESt5tupleIJNSA_6TensorESF_SF_EERKSF_lbbbEUlllE_EE10hipError_tT0_T1_T2_jT3_P12ihipStream_tbPNSt15iterator_traitsISL_E10value_typeEPNSR_ISM_E10value_typeEPSN_NS1_7vsmem_tEENKUlT_SL_SM_SN_E_clIS8_S8_S9_S9_EESK_S10_SL_SM_SN_EUlS10_E0_NS1_11comp_targetILNS1_3genE0ELNS1_11target_archE4294967295ELNS1_3gpuE0ELNS1_3repE0EEENS1_38merge_mergepath_config_static_selectorELNS0_4arch9wavefront6targetE0EEEvSM_
		.amdhsa_group_segment_fixed_size 0
		.amdhsa_private_segment_fixed_size 0
		.amdhsa_kernarg_size 88
		.amdhsa_user_sgpr_count 15
		.amdhsa_user_sgpr_dispatch_ptr 0
		.amdhsa_user_sgpr_queue_ptr 0
		.amdhsa_user_sgpr_kernarg_segment_ptr 1
		.amdhsa_user_sgpr_dispatch_id 0
		.amdhsa_user_sgpr_private_segment_size 0
		.amdhsa_wavefront_size32 1
		.amdhsa_uses_dynamic_stack 0
		.amdhsa_enable_private_segment 0
		.amdhsa_system_sgpr_workgroup_id_x 1
		.amdhsa_system_sgpr_workgroup_id_y 0
		.amdhsa_system_sgpr_workgroup_id_z 0
		.amdhsa_system_sgpr_workgroup_info 0
		.amdhsa_system_vgpr_workitem_id 0
		.amdhsa_next_free_vgpr 1
		.amdhsa_next_free_sgpr 1
		.amdhsa_reserve_vcc 0
		.amdhsa_float_round_mode_32 0
		.amdhsa_float_round_mode_16_64 0
		.amdhsa_float_denorm_mode_32 3
		.amdhsa_float_denorm_mode_16_64 3
		.amdhsa_dx10_clamp 1
		.amdhsa_ieee_mode 1
		.amdhsa_fp16_overflow 0
		.amdhsa_workgroup_processor_mode 1
		.amdhsa_memory_ordered 1
		.amdhsa_forward_progress 0
		.amdhsa_shared_vgpr_count 0
		.amdhsa_exception_fp_ieee_invalid_op 0
		.amdhsa_exception_fp_denorm_src 0
		.amdhsa_exception_fp_ieee_div_zero 0
		.amdhsa_exception_fp_ieee_overflow 0
		.amdhsa_exception_fp_ieee_underflow 0
		.amdhsa_exception_fp_ieee_inexact 0
		.amdhsa_exception_int_div_zero 0
	.end_amdhsa_kernel
	.section	.text._ZN7rocprim17ROCPRIM_400000_NS6detail17trampoline_kernelINS0_14default_configENS1_38merge_sort_block_merge_config_selectorIlNS0_10empty_typeEEEZZNS1_27merge_sort_block_merge_implIS3_PlPS5_mZN2at6native12_GLOBAL__N_124unique_dim_cuda_templateIaEESt5tupleIJNSA_6TensorESF_SF_EERKSF_lbbbEUlllE_EE10hipError_tT0_T1_T2_jT3_P12ihipStream_tbPNSt15iterator_traitsISL_E10value_typeEPNSR_ISM_E10value_typeEPSN_NS1_7vsmem_tEENKUlT_SL_SM_SN_E_clIS8_S8_S9_S9_EESK_S10_SL_SM_SN_EUlS10_E0_NS1_11comp_targetILNS1_3genE0ELNS1_11target_archE4294967295ELNS1_3gpuE0ELNS1_3repE0EEENS1_38merge_mergepath_config_static_selectorELNS0_4arch9wavefront6targetE0EEEvSM_,"axG",@progbits,_ZN7rocprim17ROCPRIM_400000_NS6detail17trampoline_kernelINS0_14default_configENS1_38merge_sort_block_merge_config_selectorIlNS0_10empty_typeEEEZZNS1_27merge_sort_block_merge_implIS3_PlPS5_mZN2at6native12_GLOBAL__N_124unique_dim_cuda_templateIaEESt5tupleIJNSA_6TensorESF_SF_EERKSF_lbbbEUlllE_EE10hipError_tT0_T1_T2_jT3_P12ihipStream_tbPNSt15iterator_traitsISL_E10value_typeEPNSR_ISM_E10value_typeEPSN_NS1_7vsmem_tEENKUlT_SL_SM_SN_E_clIS8_S8_S9_S9_EESK_S10_SL_SM_SN_EUlS10_E0_NS1_11comp_targetILNS1_3genE0ELNS1_11target_archE4294967295ELNS1_3gpuE0ELNS1_3repE0EEENS1_38merge_mergepath_config_static_selectorELNS0_4arch9wavefront6targetE0EEEvSM_,comdat
.Lfunc_end278:
	.size	_ZN7rocprim17ROCPRIM_400000_NS6detail17trampoline_kernelINS0_14default_configENS1_38merge_sort_block_merge_config_selectorIlNS0_10empty_typeEEEZZNS1_27merge_sort_block_merge_implIS3_PlPS5_mZN2at6native12_GLOBAL__N_124unique_dim_cuda_templateIaEESt5tupleIJNSA_6TensorESF_SF_EERKSF_lbbbEUlllE_EE10hipError_tT0_T1_T2_jT3_P12ihipStream_tbPNSt15iterator_traitsISL_E10value_typeEPNSR_ISM_E10value_typeEPSN_NS1_7vsmem_tEENKUlT_SL_SM_SN_E_clIS8_S8_S9_S9_EESK_S10_SL_SM_SN_EUlS10_E0_NS1_11comp_targetILNS1_3genE0ELNS1_11target_archE4294967295ELNS1_3gpuE0ELNS1_3repE0EEENS1_38merge_mergepath_config_static_selectorELNS0_4arch9wavefront6targetE0EEEvSM_, .Lfunc_end278-_ZN7rocprim17ROCPRIM_400000_NS6detail17trampoline_kernelINS0_14default_configENS1_38merge_sort_block_merge_config_selectorIlNS0_10empty_typeEEEZZNS1_27merge_sort_block_merge_implIS3_PlPS5_mZN2at6native12_GLOBAL__N_124unique_dim_cuda_templateIaEESt5tupleIJNSA_6TensorESF_SF_EERKSF_lbbbEUlllE_EE10hipError_tT0_T1_T2_jT3_P12ihipStream_tbPNSt15iterator_traitsISL_E10value_typeEPNSR_ISM_E10value_typeEPSN_NS1_7vsmem_tEENKUlT_SL_SM_SN_E_clIS8_S8_S9_S9_EESK_S10_SL_SM_SN_EUlS10_E0_NS1_11comp_targetILNS1_3genE0ELNS1_11target_archE4294967295ELNS1_3gpuE0ELNS1_3repE0EEENS1_38merge_mergepath_config_static_selectorELNS0_4arch9wavefront6targetE0EEEvSM_
                                        ; -- End function
	.section	.AMDGPU.csdata,"",@progbits
; Kernel info:
; codeLenInByte = 0
; NumSgprs: 0
; NumVgprs: 0
; ScratchSize: 0
; MemoryBound: 0
; FloatMode: 240
; IeeeMode: 1
; LDSByteSize: 0 bytes/workgroup (compile time only)
; SGPRBlocks: 0
; VGPRBlocks: 0
; NumSGPRsForWavesPerEU: 1
; NumVGPRsForWavesPerEU: 1
; Occupancy: 16
; WaveLimiterHint : 0
; COMPUTE_PGM_RSRC2:SCRATCH_EN: 0
; COMPUTE_PGM_RSRC2:USER_SGPR: 15
; COMPUTE_PGM_RSRC2:TRAP_HANDLER: 0
; COMPUTE_PGM_RSRC2:TGID_X_EN: 1
; COMPUTE_PGM_RSRC2:TGID_Y_EN: 0
; COMPUTE_PGM_RSRC2:TGID_Z_EN: 0
; COMPUTE_PGM_RSRC2:TIDIG_COMP_CNT: 0
	.section	.text._ZN7rocprim17ROCPRIM_400000_NS6detail17trampoline_kernelINS0_14default_configENS1_38merge_sort_block_merge_config_selectorIlNS0_10empty_typeEEEZZNS1_27merge_sort_block_merge_implIS3_PlPS5_mZN2at6native12_GLOBAL__N_124unique_dim_cuda_templateIaEESt5tupleIJNSA_6TensorESF_SF_EERKSF_lbbbEUlllE_EE10hipError_tT0_T1_T2_jT3_P12ihipStream_tbPNSt15iterator_traitsISL_E10value_typeEPNSR_ISM_E10value_typeEPSN_NS1_7vsmem_tEENKUlT_SL_SM_SN_E_clIS8_S8_S9_S9_EESK_S10_SL_SM_SN_EUlS10_E0_NS1_11comp_targetILNS1_3genE10ELNS1_11target_archE1201ELNS1_3gpuE5ELNS1_3repE0EEENS1_38merge_mergepath_config_static_selectorELNS0_4arch9wavefront6targetE0EEEvSM_,"axG",@progbits,_ZN7rocprim17ROCPRIM_400000_NS6detail17trampoline_kernelINS0_14default_configENS1_38merge_sort_block_merge_config_selectorIlNS0_10empty_typeEEEZZNS1_27merge_sort_block_merge_implIS3_PlPS5_mZN2at6native12_GLOBAL__N_124unique_dim_cuda_templateIaEESt5tupleIJNSA_6TensorESF_SF_EERKSF_lbbbEUlllE_EE10hipError_tT0_T1_T2_jT3_P12ihipStream_tbPNSt15iterator_traitsISL_E10value_typeEPNSR_ISM_E10value_typeEPSN_NS1_7vsmem_tEENKUlT_SL_SM_SN_E_clIS8_S8_S9_S9_EESK_S10_SL_SM_SN_EUlS10_E0_NS1_11comp_targetILNS1_3genE10ELNS1_11target_archE1201ELNS1_3gpuE5ELNS1_3repE0EEENS1_38merge_mergepath_config_static_selectorELNS0_4arch9wavefront6targetE0EEEvSM_,comdat
	.globl	_ZN7rocprim17ROCPRIM_400000_NS6detail17trampoline_kernelINS0_14default_configENS1_38merge_sort_block_merge_config_selectorIlNS0_10empty_typeEEEZZNS1_27merge_sort_block_merge_implIS3_PlPS5_mZN2at6native12_GLOBAL__N_124unique_dim_cuda_templateIaEESt5tupleIJNSA_6TensorESF_SF_EERKSF_lbbbEUlllE_EE10hipError_tT0_T1_T2_jT3_P12ihipStream_tbPNSt15iterator_traitsISL_E10value_typeEPNSR_ISM_E10value_typeEPSN_NS1_7vsmem_tEENKUlT_SL_SM_SN_E_clIS8_S8_S9_S9_EESK_S10_SL_SM_SN_EUlS10_E0_NS1_11comp_targetILNS1_3genE10ELNS1_11target_archE1201ELNS1_3gpuE5ELNS1_3repE0EEENS1_38merge_mergepath_config_static_selectorELNS0_4arch9wavefront6targetE0EEEvSM_ ; -- Begin function _ZN7rocprim17ROCPRIM_400000_NS6detail17trampoline_kernelINS0_14default_configENS1_38merge_sort_block_merge_config_selectorIlNS0_10empty_typeEEEZZNS1_27merge_sort_block_merge_implIS3_PlPS5_mZN2at6native12_GLOBAL__N_124unique_dim_cuda_templateIaEESt5tupleIJNSA_6TensorESF_SF_EERKSF_lbbbEUlllE_EE10hipError_tT0_T1_T2_jT3_P12ihipStream_tbPNSt15iterator_traitsISL_E10value_typeEPNSR_ISM_E10value_typeEPSN_NS1_7vsmem_tEENKUlT_SL_SM_SN_E_clIS8_S8_S9_S9_EESK_S10_SL_SM_SN_EUlS10_E0_NS1_11comp_targetILNS1_3genE10ELNS1_11target_archE1201ELNS1_3gpuE5ELNS1_3repE0EEENS1_38merge_mergepath_config_static_selectorELNS0_4arch9wavefront6targetE0EEEvSM_
	.p2align	8
	.type	_ZN7rocprim17ROCPRIM_400000_NS6detail17trampoline_kernelINS0_14default_configENS1_38merge_sort_block_merge_config_selectorIlNS0_10empty_typeEEEZZNS1_27merge_sort_block_merge_implIS3_PlPS5_mZN2at6native12_GLOBAL__N_124unique_dim_cuda_templateIaEESt5tupleIJNSA_6TensorESF_SF_EERKSF_lbbbEUlllE_EE10hipError_tT0_T1_T2_jT3_P12ihipStream_tbPNSt15iterator_traitsISL_E10value_typeEPNSR_ISM_E10value_typeEPSN_NS1_7vsmem_tEENKUlT_SL_SM_SN_E_clIS8_S8_S9_S9_EESK_S10_SL_SM_SN_EUlS10_E0_NS1_11comp_targetILNS1_3genE10ELNS1_11target_archE1201ELNS1_3gpuE5ELNS1_3repE0EEENS1_38merge_mergepath_config_static_selectorELNS0_4arch9wavefront6targetE0EEEvSM_,@function
_ZN7rocprim17ROCPRIM_400000_NS6detail17trampoline_kernelINS0_14default_configENS1_38merge_sort_block_merge_config_selectorIlNS0_10empty_typeEEEZZNS1_27merge_sort_block_merge_implIS3_PlPS5_mZN2at6native12_GLOBAL__N_124unique_dim_cuda_templateIaEESt5tupleIJNSA_6TensorESF_SF_EERKSF_lbbbEUlllE_EE10hipError_tT0_T1_T2_jT3_P12ihipStream_tbPNSt15iterator_traitsISL_E10value_typeEPNSR_ISM_E10value_typeEPSN_NS1_7vsmem_tEENKUlT_SL_SM_SN_E_clIS8_S8_S9_S9_EESK_S10_SL_SM_SN_EUlS10_E0_NS1_11comp_targetILNS1_3genE10ELNS1_11target_archE1201ELNS1_3gpuE5ELNS1_3repE0EEENS1_38merge_mergepath_config_static_selectorELNS0_4arch9wavefront6targetE0EEEvSM_: ; @_ZN7rocprim17ROCPRIM_400000_NS6detail17trampoline_kernelINS0_14default_configENS1_38merge_sort_block_merge_config_selectorIlNS0_10empty_typeEEEZZNS1_27merge_sort_block_merge_implIS3_PlPS5_mZN2at6native12_GLOBAL__N_124unique_dim_cuda_templateIaEESt5tupleIJNSA_6TensorESF_SF_EERKSF_lbbbEUlllE_EE10hipError_tT0_T1_T2_jT3_P12ihipStream_tbPNSt15iterator_traitsISL_E10value_typeEPNSR_ISM_E10value_typeEPSN_NS1_7vsmem_tEENKUlT_SL_SM_SN_E_clIS8_S8_S9_S9_EESK_S10_SL_SM_SN_EUlS10_E0_NS1_11comp_targetILNS1_3genE10ELNS1_11target_archE1201ELNS1_3gpuE5ELNS1_3repE0EEENS1_38merge_mergepath_config_static_selectorELNS0_4arch9wavefront6targetE0EEEvSM_
; %bb.0:
	.section	.rodata,"a",@progbits
	.p2align	6, 0x0
	.amdhsa_kernel _ZN7rocprim17ROCPRIM_400000_NS6detail17trampoline_kernelINS0_14default_configENS1_38merge_sort_block_merge_config_selectorIlNS0_10empty_typeEEEZZNS1_27merge_sort_block_merge_implIS3_PlPS5_mZN2at6native12_GLOBAL__N_124unique_dim_cuda_templateIaEESt5tupleIJNSA_6TensorESF_SF_EERKSF_lbbbEUlllE_EE10hipError_tT0_T1_T2_jT3_P12ihipStream_tbPNSt15iterator_traitsISL_E10value_typeEPNSR_ISM_E10value_typeEPSN_NS1_7vsmem_tEENKUlT_SL_SM_SN_E_clIS8_S8_S9_S9_EESK_S10_SL_SM_SN_EUlS10_E0_NS1_11comp_targetILNS1_3genE10ELNS1_11target_archE1201ELNS1_3gpuE5ELNS1_3repE0EEENS1_38merge_mergepath_config_static_selectorELNS0_4arch9wavefront6targetE0EEEvSM_
		.amdhsa_group_segment_fixed_size 0
		.amdhsa_private_segment_fixed_size 0
		.amdhsa_kernarg_size 88
		.amdhsa_user_sgpr_count 15
		.amdhsa_user_sgpr_dispatch_ptr 0
		.amdhsa_user_sgpr_queue_ptr 0
		.amdhsa_user_sgpr_kernarg_segment_ptr 1
		.amdhsa_user_sgpr_dispatch_id 0
		.amdhsa_user_sgpr_private_segment_size 0
		.amdhsa_wavefront_size32 1
		.amdhsa_uses_dynamic_stack 0
		.amdhsa_enable_private_segment 0
		.amdhsa_system_sgpr_workgroup_id_x 1
		.amdhsa_system_sgpr_workgroup_id_y 0
		.amdhsa_system_sgpr_workgroup_id_z 0
		.amdhsa_system_sgpr_workgroup_info 0
		.amdhsa_system_vgpr_workitem_id 0
		.amdhsa_next_free_vgpr 1
		.amdhsa_next_free_sgpr 1
		.amdhsa_reserve_vcc 0
		.amdhsa_float_round_mode_32 0
		.amdhsa_float_round_mode_16_64 0
		.amdhsa_float_denorm_mode_32 3
		.amdhsa_float_denorm_mode_16_64 3
		.amdhsa_dx10_clamp 1
		.amdhsa_ieee_mode 1
		.amdhsa_fp16_overflow 0
		.amdhsa_workgroup_processor_mode 1
		.amdhsa_memory_ordered 1
		.amdhsa_forward_progress 0
		.amdhsa_shared_vgpr_count 0
		.amdhsa_exception_fp_ieee_invalid_op 0
		.amdhsa_exception_fp_denorm_src 0
		.amdhsa_exception_fp_ieee_div_zero 0
		.amdhsa_exception_fp_ieee_overflow 0
		.amdhsa_exception_fp_ieee_underflow 0
		.amdhsa_exception_fp_ieee_inexact 0
		.amdhsa_exception_int_div_zero 0
	.end_amdhsa_kernel
	.section	.text._ZN7rocprim17ROCPRIM_400000_NS6detail17trampoline_kernelINS0_14default_configENS1_38merge_sort_block_merge_config_selectorIlNS0_10empty_typeEEEZZNS1_27merge_sort_block_merge_implIS3_PlPS5_mZN2at6native12_GLOBAL__N_124unique_dim_cuda_templateIaEESt5tupleIJNSA_6TensorESF_SF_EERKSF_lbbbEUlllE_EE10hipError_tT0_T1_T2_jT3_P12ihipStream_tbPNSt15iterator_traitsISL_E10value_typeEPNSR_ISM_E10value_typeEPSN_NS1_7vsmem_tEENKUlT_SL_SM_SN_E_clIS8_S8_S9_S9_EESK_S10_SL_SM_SN_EUlS10_E0_NS1_11comp_targetILNS1_3genE10ELNS1_11target_archE1201ELNS1_3gpuE5ELNS1_3repE0EEENS1_38merge_mergepath_config_static_selectorELNS0_4arch9wavefront6targetE0EEEvSM_,"axG",@progbits,_ZN7rocprim17ROCPRIM_400000_NS6detail17trampoline_kernelINS0_14default_configENS1_38merge_sort_block_merge_config_selectorIlNS0_10empty_typeEEEZZNS1_27merge_sort_block_merge_implIS3_PlPS5_mZN2at6native12_GLOBAL__N_124unique_dim_cuda_templateIaEESt5tupleIJNSA_6TensorESF_SF_EERKSF_lbbbEUlllE_EE10hipError_tT0_T1_T2_jT3_P12ihipStream_tbPNSt15iterator_traitsISL_E10value_typeEPNSR_ISM_E10value_typeEPSN_NS1_7vsmem_tEENKUlT_SL_SM_SN_E_clIS8_S8_S9_S9_EESK_S10_SL_SM_SN_EUlS10_E0_NS1_11comp_targetILNS1_3genE10ELNS1_11target_archE1201ELNS1_3gpuE5ELNS1_3repE0EEENS1_38merge_mergepath_config_static_selectorELNS0_4arch9wavefront6targetE0EEEvSM_,comdat
.Lfunc_end279:
	.size	_ZN7rocprim17ROCPRIM_400000_NS6detail17trampoline_kernelINS0_14default_configENS1_38merge_sort_block_merge_config_selectorIlNS0_10empty_typeEEEZZNS1_27merge_sort_block_merge_implIS3_PlPS5_mZN2at6native12_GLOBAL__N_124unique_dim_cuda_templateIaEESt5tupleIJNSA_6TensorESF_SF_EERKSF_lbbbEUlllE_EE10hipError_tT0_T1_T2_jT3_P12ihipStream_tbPNSt15iterator_traitsISL_E10value_typeEPNSR_ISM_E10value_typeEPSN_NS1_7vsmem_tEENKUlT_SL_SM_SN_E_clIS8_S8_S9_S9_EESK_S10_SL_SM_SN_EUlS10_E0_NS1_11comp_targetILNS1_3genE10ELNS1_11target_archE1201ELNS1_3gpuE5ELNS1_3repE0EEENS1_38merge_mergepath_config_static_selectorELNS0_4arch9wavefront6targetE0EEEvSM_, .Lfunc_end279-_ZN7rocprim17ROCPRIM_400000_NS6detail17trampoline_kernelINS0_14default_configENS1_38merge_sort_block_merge_config_selectorIlNS0_10empty_typeEEEZZNS1_27merge_sort_block_merge_implIS3_PlPS5_mZN2at6native12_GLOBAL__N_124unique_dim_cuda_templateIaEESt5tupleIJNSA_6TensorESF_SF_EERKSF_lbbbEUlllE_EE10hipError_tT0_T1_T2_jT3_P12ihipStream_tbPNSt15iterator_traitsISL_E10value_typeEPNSR_ISM_E10value_typeEPSN_NS1_7vsmem_tEENKUlT_SL_SM_SN_E_clIS8_S8_S9_S9_EESK_S10_SL_SM_SN_EUlS10_E0_NS1_11comp_targetILNS1_3genE10ELNS1_11target_archE1201ELNS1_3gpuE5ELNS1_3repE0EEENS1_38merge_mergepath_config_static_selectorELNS0_4arch9wavefront6targetE0EEEvSM_
                                        ; -- End function
	.section	.AMDGPU.csdata,"",@progbits
; Kernel info:
; codeLenInByte = 0
; NumSgprs: 0
; NumVgprs: 0
; ScratchSize: 0
; MemoryBound: 0
; FloatMode: 240
; IeeeMode: 1
; LDSByteSize: 0 bytes/workgroup (compile time only)
; SGPRBlocks: 0
; VGPRBlocks: 0
; NumSGPRsForWavesPerEU: 1
; NumVGPRsForWavesPerEU: 1
; Occupancy: 16
; WaveLimiterHint : 0
; COMPUTE_PGM_RSRC2:SCRATCH_EN: 0
; COMPUTE_PGM_RSRC2:USER_SGPR: 15
; COMPUTE_PGM_RSRC2:TRAP_HANDLER: 0
; COMPUTE_PGM_RSRC2:TGID_X_EN: 1
; COMPUTE_PGM_RSRC2:TGID_Y_EN: 0
; COMPUTE_PGM_RSRC2:TGID_Z_EN: 0
; COMPUTE_PGM_RSRC2:TIDIG_COMP_CNT: 0
	.section	.text._ZN7rocprim17ROCPRIM_400000_NS6detail17trampoline_kernelINS0_14default_configENS1_38merge_sort_block_merge_config_selectorIlNS0_10empty_typeEEEZZNS1_27merge_sort_block_merge_implIS3_PlPS5_mZN2at6native12_GLOBAL__N_124unique_dim_cuda_templateIaEESt5tupleIJNSA_6TensorESF_SF_EERKSF_lbbbEUlllE_EE10hipError_tT0_T1_T2_jT3_P12ihipStream_tbPNSt15iterator_traitsISL_E10value_typeEPNSR_ISM_E10value_typeEPSN_NS1_7vsmem_tEENKUlT_SL_SM_SN_E_clIS8_S8_S9_S9_EESK_S10_SL_SM_SN_EUlS10_E0_NS1_11comp_targetILNS1_3genE5ELNS1_11target_archE942ELNS1_3gpuE9ELNS1_3repE0EEENS1_38merge_mergepath_config_static_selectorELNS0_4arch9wavefront6targetE0EEEvSM_,"axG",@progbits,_ZN7rocprim17ROCPRIM_400000_NS6detail17trampoline_kernelINS0_14default_configENS1_38merge_sort_block_merge_config_selectorIlNS0_10empty_typeEEEZZNS1_27merge_sort_block_merge_implIS3_PlPS5_mZN2at6native12_GLOBAL__N_124unique_dim_cuda_templateIaEESt5tupleIJNSA_6TensorESF_SF_EERKSF_lbbbEUlllE_EE10hipError_tT0_T1_T2_jT3_P12ihipStream_tbPNSt15iterator_traitsISL_E10value_typeEPNSR_ISM_E10value_typeEPSN_NS1_7vsmem_tEENKUlT_SL_SM_SN_E_clIS8_S8_S9_S9_EESK_S10_SL_SM_SN_EUlS10_E0_NS1_11comp_targetILNS1_3genE5ELNS1_11target_archE942ELNS1_3gpuE9ELNS1_3repE0EEENS1_38merge_mergepath_config_static_selectorELNS0_4arch9wavefront6targetE0EEEvSM_,comdat
	.globl	_ZN7rocprim17ROCPRIM_400000_NS6detail17trampoline_kernelINS0_14default_configENS1_38merge_sort_block_merge_config_selectorIlNS0_10empty_typeEEEZZNS1_27merge_sort_block_merge_implIS3_PlPS5_mZN2at6native12_GLOBAL__N_124unique_dim_cuda_templateIaEESt5tupleIJNSA_6TensorESF_SF_EERKSF_lbbbEUlllE_EE10hipError_tT0_T1_T2_jT3_P12ihipStream_tbPNSt15iterator_traitsISL_E10value_typeEPNSR_ISM_E10value_typeEPSN_NS1_7vsmem_tEENKUlT_SL_SM_SN_E_clIS8_S8_S9_S9_EESK_S10_SL_SM_SN_EUlS10_E0_NS1_11comp_targetILNS1_3genE5ELNS1_11target_archE942ELNS1_3gpuE9ELNS1_3repE0EEENS1_38merge_mergepath_config_static_selectorELNS0_4arch9wavefront6targetE0EEEvSM_ ; -- Begin function _ZN7rocprim17ROCPRIM_400000_NS6detail17trampoline_kernelINS0_14default_configENS1_38merge_sort_block_merge_config_selectorIlNS0_10empty_typeEEEZZNS1_27merge_sort_block_merge_implIS3_PlPS5_mZN2at6native12_GLOBAL__N_124unique_dim_cuda_templateIaEESt5tupleIJNSA_6TensorESF_SF_EERKSF_lbbbEUlllE_EE10hipError_tT0_T1_T2_jT3_P12ihipStream_tbPNSt15iterator_traitsISL_E10value_typeEPNSR_ISM_E10value_typeEPSN_NS1_7vsmem_tEENKUlT_SL_SM_SN_E_clIS8_S8_S9_S9_EESK_S10_SL_SM_SN_EUlS10_E0_NS1_11comp_targetILNS1_3genE5ELNS1_11target_archE942ELNS1_3gpuE9ELNS1_3repE0EEENS1_38merge_mergepath_config_static_selectorELNS0_4arch9wavefront6targetE0EEEvSM_
	.p2align	8
	.type	_ZN7rocprim17ROCPRIM_400000_NS6detail17trampoline_kernelINS0_14default_configENS1_38merge_sort_block_merge_config_selectorIlNS0_10empty_typeEEEZZNS1_27merge_sort_block_merge_implIS3_PlPS5_mZN2at6native12_GLOBAL__N_124unique_dim_cuda_templateIaEESt5tupleIJNSA_6TensorESF_SF_EERKSF_lbbbEUlllE_EE10hipError_tT0_T1_T2_jT3_P12ihipStream_tbPNSt15iterator_traitsISL_E10value_typeEPNSR_ISM_E10value_typeEPSN_NS1_7vsmem_tEENKUlT_SL_SM_SN_E_clIS8_S8_S9_S9_EESK_S10_SL_SM_SN_EUlS10_E0_NS1_11comp_targetILNS1_3genE5ELNS1_11target_archE942ELNS1_3gpuE9ELNS1_3repE0EEENS1_38merge_mergepath_config_static_selectorELNS0_4arch9wavefront6targetE0EEEvSM_,@function
_ZN7rocprim17ROCPRIM_400000_NS6detail17trampoline_kernelINS0_14default_configENS1_38merge_sort_block_merge_config_selectorIlNS0_10empty_typeEEEZZNS1_27merge_sort_block_merge_implIS3_PlPS5_mZN2at6native12_GLOBAL__N_124unique_dim_cuda_templateIaEESt5tupleIJNSA_6TensorESF_SF_EERKSF_lbbbEUlllE_EE10hipError_tT0_T1_T2_jT3_P12ihipStream_tbPNSt15iterator_traitsISL_E10value_typeEPNSR_ISM_E10value_typeEPSN_NS1_7vsmem_tEENKUlT_SL_SM_SN_E_clIS8_S8_S9_S9_EESK_S10_SL_SM_SN_EUlS10_E0_NS1_11comp_targetILNS1_3genE5ELNS1_11target_archE942ELNS1_3gpuE9ELNS1_3repE0EEENS1_38merge_mergepath_config_static_selectorELNS0_4arch9wavefront6targetE0EEEvSM_: ; @_ZN7rocprim17ROCPRIM_400000_NS6detail17trampoline_kernelINS0_14default_configENS1_38merge_sort_block_merge_config_selectorIlNS0_10empty_typeEEEZZNS1_27merge_sort_block_merge_implIS3_PlPS5_mZN2at6native12_GLOBAL__N_124unique_dim_cuda_templateIaEESt5tupleIJNSA_6TensorESF_SF_EERKSF_lbbbEUlllE_EE10hipError_tT0_T1_T2_jT3_P12ihipStream_tbPNSt15iterator_traitsISL_E10value_typeEPNSR_ISM_E10value_typeEPSN_NS1_7vsmem_tEENKUlT_SL_SM_SN_E_clIS8_S8_S9_S9_EESK_S10_SL_SM_SN_EUlS10_E0_NS1_11comp_targetILNS1_3genE5ELNS1_11target_archE942ELNS1_3gpuE9ELNS1_3repE0EEENS1_38merge_mergepath_config_static_selectorELNS0_4arch9wavefront6targetE0EEEvSM_
; %bb.0:
	.section	.rodata,"a",@progbits
	.p2align	6, 0x0
	.amdhsa_kernel _ZN7rocprim17ROCPRIM_400000_NS6detail17trampoline_kernelINS0_14default_configENS1_38merge_sort_block_merge_config_selectorIlNS0_10empty_typeEEEZZNS1_27merge_sort_block_merge_implIS3_PlPS5_mZN2at6native12_GLOBAL__N_124unique_dim_cuda_templateIaEESt5tupleIJNSA_6TensorESF_SF_EERKSF_lbbbEUlllE_EE10hipError_tT0_T1_T2_jT3_P12ihipStream_tbPNSt15iterator_traitsISL_E10value_typeEPNSR_ISM_E10value_typeEPSN_NS1_7vsmem_tEENKUlT_SL_SM_SN_E_clIS8_S8_S9_S9_EESK_S10_SL_SM_SN_EUlS10_E0_NS1_11comp_targetILNS1_3genE5ELNS1_11target_archE942ELNS1_3gpuE9ELNS1_3repE0EEENS1_38merge_mergepath_config_static_selectorELNS0_4arch9wavefront6targetE0EEEvSM_
		.amdhsa_group_segment_fixed_size 0
		.amdhsa_private_segment_fixed_size 0
		.amdhsa_kernarg_size 88
		.amdhsa_user_sgpr_count 15
		.amdhsa_user_sgpr_dispatch_ptr 0
		.amdhsa_user_sgpr_queue_ptr 0
		.amdhsa_user_sgpr_kernarg_segment_ptr 1
		.amdhsa_user_sgpr_dispatch_id 0
		.amdhsa_user_sgpr_private_segment_size 0
		.amdhsa_wavefront_size32 1
		.amdhsa_uses_dynamic_stack 0
		.amdhsa_enable_private_segment 0
		.amdhsa_system_sgpr_workgroup_id_x 1
		.amdhsa_system_sgpr_workgroup_id_y 0
		.amdhsa_system_sgpr_workgroup_id_z 0
		.amdhsa_system_sgpr_workgroup_info 0
		.amdhsa_system_vgpr_workitem_id 0
		.amdhsa_next_free_vgpr 1
		.amdhsa_next_free_sgpr 1
		.amdhsa_reserve_vcc 0
		.amdhsa_float_round_mode_32 0
		.amdhsa_float_round_mode_16_64 0
		.amdhsa_float_denorm_mode_32 3
		.amdhsa_float_denorm_mode_16_64 3
		.amdhsa_dx10_clamp 1
		.amdhsa_ieee_mode 1
		.amdhsa_fp16_overflow 0
		.amdhsa_workgroup_processor_mode 1
		.amdhsa_memory_ordered 1
		.amdhsa_forward_progress 0
		.amdhsa_shared_vgpr_count 0
		.amdhsa_exception_fp_ieee_invalid_op 0
		.amdhsa_exception_fp_denorm_src 0
		.amdhsa_exception_fp_ieee_div_zero 0
		.amdhsa_exception_fp_ieee_overflow 0
		.amdhsa_exception_fp_ieee_underflow 0
		.amdhsa_exception_fp_ieee_inexact 0
		.amdhsa_exception_int_div_zero 0
	.end_amdhsa_kernel
	.section	.text._ZN7rocprim17ROCPRIM_400000_NS6detail17trampoline_kernelINS0_14default_configENS1_38merge_sort_block_merge_config_selectorIlNS0_10empty_typeEEEZZNS1_27merge_sort_block_merge_implIS3_PlPS5_mZN2at6native12_GLOBAL__N_124unique_dim_cuda_templateIaEESt5tupleIJNSA_6TensorESF_SF_EERKSF_lbbbEUlllE_EE10hipError_tT0_T1_T2_jT3_P12ihipStream_tbPNSt15iterator_traitsISL_E10value_typeEPNSR_ISM_E10value_typeEPSN_NS1_7vsmem_tEENKUlT_SL_SM_SN_E_clIS8_S8_S9_S9_EESK_S10_SL_SM_SN_EUlS10_E0_NS1_11comp_targetILNS1_3genE5ELNS1_11target_archE942ELNS1_3gpuE9ELNS1_3repE0EEENS1_38merge_mergepath_config_static_selectorELNS0_4arch9wavefront6targetE0EEEvSM_,"axG",@progbits,_ZN7rocprim17ROCPRIM_400000_NS6detail17trampoline_kernelINS0_14default_configENS1_38merge_sort_block_merge_config_selectorIlNS0_10empty_typeEEEZZNS1_27merge_sort_block_merge_implIS3_PlPS5_mZN2at6native12_GLOBAL__N_124unique_dim_cuda_templateIaEESt5tupleIJNSA_6TensorESF_SF_EERKSF_lbbbEUlllE_EE10hipError_tT0_T1_T2_jT3_P12ihipStream_tbPNSt15iterator_traitsISL_E10value_typeEPNSR_ISM_E10value_typeEPSN_NS1_7vsmem_tEENKUlT_SL_SM_SN_E_clIS8_S8_S9_S9_EESK_S10_SL_SM_SN_EUlS10_E0_NS1_11comp_targetILNS1_3genE5ELNS1_11target_archE942ELNS1_3gpuE9ELNS1_3repE0EEENS1_38merge_mergepath_config_static_selectorELNS0_4arch9wavefront6targetE0EEEvSM_,comdat
.Lfunc_end280:
	.size	_ZN7rocprim17ROCPRIM_400000_NS6detail17trampoline_kernelINS0_14default_configENS1_38merge_sort_block_merge_config_selectorIlNS0_10empty_typeEEEZZNS1_27merge_sort_block_merge_implIS3_PlPS5_mZN2at6native12_GLOBAL__N_124unique_dim_cuda_templateIaEESt5tupleIJNSA_6TensorESF_SF_EERKSF_lbbbEUlllE_EE10hipError_tT0_T1_T2_jT3_P12ihipStream_tbPNSt15iterator_traitsISL_E10value_typeEPNSR_ISM_E10value_typeEPSN_NS1_7vsmem_tEENKUlT_SL_SM_SN_E_clIS8_S8_S9_S9_EESK_S10_SL_SM_SN_EUlS10_E0_NS1_11comp_targetILNS1_3genE5ELNS1_11target_archE942ELNS1_3gpuE9ELNS1_3repE0EEENS1_38merge_mergepath_config_static_selectorELNS0_4arch9wavefront6targetE0EEEvSM_, .Lfunc_end280-_ZN7rocprim17ROCPRIM_400000_NS6detail17trampoline_kernelINS0_14default_configENS1_38merge_sort_block_merge_config_selectorIlNS0_10empty_typeEEEZZNS1_27merge_sort_block_merge_implIS3_PlPS5_mZN2at6native12_GLOBAL__N_124unique_dim_cuda_templateIaEESt5tupleIJNSA_6TensorESF_SF_EERKSF_lbbbEUlllE_EE10hipError_tT0_T1_T2_jT3_P12ihipStream_tbPNSt15iterator_traitsISL_E10value_typeEPNSR_ISM_E10value_typeEPSN_NS1_7vsmem_tEENKUlT_SL_SM_SN_E_clIS8_S8_S9_S9_EESK_S10_SL_SM_SN_EUlS10_E0_NS1_11comp_targetILNS1_3genE5ELNS1_11target_archE942ELNS1_3gpuE9ELNS1_3repE0EEENS1_38merge_mergepath_config_static_selectorELNS0_4arch9wavefront6targetE0EEEvSM_
                                        ; -- End function
	.section	.AMDGPU.csdata,"",@progbits
; Kernel info:
; codeLenInByte = 0
; NumSgprs: 0
; NumVgprs: 0
; ScratchSize: 0
; MemoryBound: 0
; FloatMode: 240
; IeeeMode: 1
; LDSByteSize: 0 bytes/workgroup (compile time only)
; SGPRBlocks: 0
; VGPRBlocks: 0
; NumSGPRsForWavesPerEU: 1
; NumVGPRsForWavesPerEU: 1
; Occupancy: 16
; WaveLimiterHint : 0
; COMPUTE_PGM_RSRC2:SCRATCH_EN: 0
; COMPUTE_PGM_RSRC2:USER_SGPR: 15
; COMPUTE_PGM_RSRC2:TRAP_HANDLER: 0
; COMPUTE_PGM_RSRC2:TGID_X_EN: 1
; COMPUTE_PGM_RSRC2:TGID_Y_EN: 0
; COMPUTE_PGM_RSRC2:TGID_Z_EN: 0
; COMPUTE_PGM_RSRC2:TIDIG_COMP_CNT: 0
	.section	.text._ZN7rocprim17ROCPRIM_400000_NS6detail17trampoline_kernelINS0_14default_configENS1_38merge_sort_block_merge_config_selectorIlNS0_10empty_typeEEEZZNS1_27merge_sort_block_merge_implIS3_PlPS5_mZN2at6native12_GLOBAL__N_124unique_dim_cuda_templateIaEESt5tupleIJNSA_6TensorESF_SF_EERKSF_lbbbEUlllE_EE10hipError_tT0_T1_T2_jT3_P12ihipStream_tbPNSt15iterator_traitsISL_E10value_typeEPNSR_ISM_E10value_typeEPSN_NS1_7vsmem_tEENKUlT_SL_SM_SN_E_clIS8_S8_S9_S9_EESK_S10_SL_SM_SN_EUlS10_E0_NS1_11comp_targetILNS1_3genE4ELNS1_11target_archE910ELNS1_3gpuE8ELNS1_3repE0EEENS1_38merge_mergepath_config_static_selectorELNS0_4arch9wavefront6targetE0EEEvSM_,"axG",@progbits,_ZN7rocprim17ROCPRIM_400000_NS6detail17trampoline_kernelINS0_14default_configENS1_38merge_sort_block_merge_config_selectorIlNS0_10empty_typeEEEZZNS1_27merge_sort_block_merge_implIS3_PlPS5_mZN2at6native12_GLOBAL__N_124unique_dim_cuda_templateIaEESt5tupleIJNSA_6TensorESF_SF_EERKSF_lbbbEUlllE_EE10hipError_tT0_T1_T2_jT3_P12ihipStream_tbPNSt15iterator_traitsISL_E10value_typeEPNSR_ISM_E10value_typeEPSN_NS1_7vsmem_tEENKUlT_SL_SM_SN_E_clIS8_S8_S9_S9_EESK_S10_SL_SM_SN_EUlS10_E0_NS1_11comp_targetILNS1_3genE4ELNS1_11target_archE910ELNS1_3gpuE8ELNS1_3repE0EEENS1_38merge_mergepath_config_static_selectorELNS0_4arch9wavefront6targetE0EEEvSM_,comdat
	.globl	_ZN7rocprim17ROCPRIM_400000_NS6detail17trampoline_kernelINS0_14default_configENS1_38merge_sort_block_merge_config_selectorIlNS0_10empty_typeEEEZZNS1_27merge_sort_block_merge_implIS3_PlPS5_mZN2at6native12_GLOBAL__N_124unique_dim_cuda_templateIaEESt5tupleIJNSA_6TensorESF_SF_EERKSF_lbbbEUlllE_EE10hipError_tT0_T1_T2_jT3_P12ihipStream_tbPNSt15iterator_traitsISL_E10value_typeEPNSR_ISM_E10value_typeEPSN_NS1_7vsmem_tEENKUlT_SL_SM_SN_E_clIS8_S8_S9_S9_EESK_S10_SL_SM_SN_EUlS10_E0_NS1_11comp_targetILNS1_3genE4ELNS1_11target_archE910ELNS1_3gpuE8ELNS1_3repE0EEENS1_38merge_mergepath_config_static_selectorELNS0_4arch9wavefront6targetE0EEEvSM_ ; -- Begin function _ZN7rocprim17ROCPRIM_400000_NS6detail17trampoline_kernelINS0_14default_configENS1_38merge_sort_block_merge_config_selectorIlNS0_10empty_typeEEEZZNS1_27merge_sort_block_merge_implIS3_PlPS5_mZN2at6native12_GLOBAL__N_124unique_dim_cuda_templateIaEESt5tupleIJNSA_6TensorESF_SF_EERKSF_lbbbEUlllE_EE10hipError_tT0_T1_T2_jT3_P12ihipStream_tbPNSt15iterator_traitsISL_E10value_typeEPNSR_ISM_E10value_typeEPSN_NS1_7vsmem_tEENKUlT_SL_SM_SN_E_clIS8_S8_S9_S9_EESK_S10_SL_SM_SN_EUlS10_E0_NS1_11comp_targetILNS1_3genE4ELNS1_11target_archE910ELNS1_3gpuE8ELNS1_3repE0EEENS1_38merge_mergepath_config_static_selectorELNS0_4arch9wavefront6targetE0EEEvSM_
	.p2align	8
	.type	_ZN7rocprim17ROCPRIM_400000_NS6detail17trampoline_kernelINS0_14default_configENS1_38merge_sort_block_merge_config_selectorIlNS0_10empty_typeEEEZZNS1_27merge_sort_block_merge_implIS3_PlPS5_mZN2at6native12_GLOBAL__N_124unique_dim_cuda_templateIaEESt5tupleIJNSA_6TensorESF_SF_EERKSF_lbbbEUlllE_EE10hipError_tT0_T1_T2_jT3_P12ihipStream_tbPNSt15iterator_traitsISL_E10value_typeEPNSR_ISM_E10value_typeEPSN_NS1_7vsmem_tEENKUlT_SL_SM_SN_E_clIS8_S8_S9_S9_EESK_S10_SL_SM_SN_EUlS10_E0_NS1_11comp_targetILNS1_3genE4ELNS1_11target_archE910ELNS1_3gpuE8ELNS1_3repE0EEENS1_38merge_mergepath_config_static_selectorELNS0_4arch9wavefront6targetE0EEEvSM_,@function
_ZN7rocprim17ROCPRIM_400000_NS6detail17trampoline_kernelINS0_14default_configENS1_38merge_sort_block_merge_config_selectorIlNS0_10empty_typeEEEZZNS1_27merge_sort_block_merge_implIS3_PlPS5_mZN2at6native12_GLOBAL__N_124unique_dim_cuda_templateIaEESt5tupleIJNSA_6TensorESF_SF_EERKSF_lbbbEUlllE_EE10hipError_tT0_T1_T2_jT3_P12ihipStream_tbPNSt15iterator_traitsISL_E10value_typeEPNSR_ISM_E10value_typeEPSN_NS1_7vsmem_tEENKUlT_SL_SM_SN_E_clIS8_S8_S9_S9_EESK_S10_SL_SM_SN_EUlS10_E0_NS1_11comp_targetILNS1_3genE4ELNS1_11target_archE910ELNS1_3gpuE8ELNS1_3repE0EEENS1_38merge_mergepath_config_static_selectorELNS0_4arch9wavefront6targetE0EEEvSM_: ; @_ZN7rocprim17ROCPRIM_400000_NS6detail17trampoline_kernelINS0_14default_configENS1_38merge_sort_block_merge_config_selectorIlNS0_10empty_typeEEEZZNS1_27merge_sort_block_merge_implIS3_PlPS5_mZN2at6native12_GLOBAL__N_124unique_dim_cuda_templateIaEESt5tupleIJNSA_6TensorESF_SF_EERKSF_lbbbEUlllE_EE10hipError_tT0_T1_T2_jT3_P12ihipStream_tbPNSt15iterator_traitsISL_E10value_typeEPNSR_ISM_E10value_typeEPSN_NS1_7vsmem_tEENKUlT_SL_SM_SN_E_clIS8_S8_S9_S9_EESK_S10_SL_SM_SN_EUlS10_E0_NS1_11comp_targetILNS1_3genE4ELNS1_11target_archE910ELNS1_3gpuE8ELNS1_3repE0EEENS1_38merge_mergepath_config_static_selectorELNS0_4arch9wavefront6targetE0EEEvSM_
; %bb.0:
	.section	.rodata,"a",@progbits
	.p2align	6, 0x0
	.amdhsa_kernel _ZN7rocprim17ROCPRIM_400000_NS6detail17trampoline_kernelINS0_14default_configENS1_38merge_sort_block_merge_config_selectorIlNS0_10empty_typeEEEZZNS1_27merge_sort_block_merge_implIS3_PlPS5_mZN2at6native12_GLOBAL__N_124unique_dim_cuda_templateIaEESt5tupleIJNSA_6TensorESF_SF_EERKSF_lbbbEUlllE_EE10hipError_tT0_T1_T2_jT3_P12ihipStream_tbPNSt15iterator_traitsISL_E10value_typeEPNSR_ISM_E10value_typeEPSN_NS1_7vsmem_tEENKUlT_SL_SM_SN_E_clIS8_S8_S9_S9_EESK_S10_SL_SM_SN_EUlS10_E0_NS1_11comp_targetILNS1_3genE4ELNS1_11target_archE910ELNS1_3gpuE8ELNS1_3repE0EEENS1_38merge_mergepath_config_static_selectorELNS0_4arch9wavefront6targetE0EEEvSM_
		.amdhsa_group_segment_fixed_size 0
		.amdhsa_private_segment_fixed_size 0
		.amdhsa_kernarg_size 88
		.amdhsa_user_sgpr_count 15
		.amdhsa_user_sgpr_dispatch_ptr 0
		.amdhsa_user_sgpr_queue_ptr 0
		.amdhsa_user_sgpr_kernarg_segment_ptr 1
		.amdhsa_user_sgpr_dispatch_id 0
		.amdhsa_user_sgpr_private_segment_size 0
		.amdhsa_wavefront_size32 1
		.amdhsa_uses_dynamic_stack 0
		.amdhsa_enable_private_segment 0
		.amdhsa_system_sgpr_workgroup_id_x 1
		.amdhsa_system_sgpr_workgroup_id_y 0
		.amdhsa_system_sgpr_workgroup_id_z 0
		.amdhsa_system_sgpr_workgroup_info 0
		.amdhsa_system_vgpr_workitem_id 0
		.amdhsa_next_free_vgpr 1
		.amdhsa_next_free_sgpr 1
		.amdhsa_reserve_vcc 0
		.amdhsa_float_round_mode_32 0
		.amdhsa_float_round_mode_16_64 0
		.amdhsa_float_denorm_mode_32 3
		.amdhsa_float_denorm_mode_16_64 3
		.amdhsa_dx10_clamp 1
		.amdhsa_ieee_mode 1
		.amdhsa_fp16_overflow 0
		.amdhsa_workgroup_processor_mode 1
		.amdhsa_memory_ordered 1
		.amdhsa_forward_progress 0
		.amdhsa_shared_vgpr_count 0
		.amdhsa_exception_fp_ieee_invalid_op 0
		.amdhsa_exception_fp_denorm_src 0
		.amdhsa_exception_fp_ieee_div_zero 0
		.amdhsa_exception_fp_ieee_overflow 0
		.amdhsa_exception_fp_ieee_underflow 0
		.amdhsa_exception_fp_ieee_inexact 0
		.amdhsa_exception_int_div_zero 0
	.end_amdhsa_kernel
	.section	.text._ZN7rocprim17ROCPRIM_400000_NS6detail17trampoline_kernelINS0_14default_configENS1_38merge_sort_block_merge_config_selectorIlNS0_10empty_typeEEEZZNS1_27merge_sort_block_merge_implIS3_PlPS5_mZN2at6native12_GLOBAL__N_124unique_dim_cuda_templateIaEESt5tupleIJNSA_6TensorESF_SF_EERKSF_lbbbEUlllE_EE10hipError_tT0_T1_T2_jT3_P12ihipStream_tbPNSt15iterator_traitsISL_E10value_typeEPNSR_ISM_E10value_typeEPSN_NS1_7vsmem_tEENKUlT_SL_SM_SN_E_clIS8_S8_S9_S9_EESK_S10_SL_SM_SN_EUlS10_E0_NS1_11comp_targetILNS1_3genE4ELNS1_11target_archE910ELNS1_3gpuE8ELNS1_3repE0EEENS1_38merge_mergepath_config_static_selectorELNS0_4arch9wavefront6targetE0EEEvSM_,"axG",@progbits,_ZN7rocprim17ROCPRIM_400000_NS6detail17trampoline_kernelINS0_14default_configENS1_38merge_sort_block_merge_config_selectorIlNS0_10empty_typeEEEZZNS1_27merge_sort_block_merge_implIS3_PlPS5_mZN2at6native12_GLOBAL__N_124unique_dim_cuda_templateIaEESt5tupleIJNSA_6TensorESF_SF_EERKSF_lbbbEUlllE_EE10hipError_tT0_T1_T2_jT3_P12ihipStream_tbPNSt15iterator_traitsISL_E10value_typeEPNSR_ISM_E10value_typeEPSN_NS1_7vsmem_tEENKUlT_SL_SM_SN_E_clIS8_S8_S9_S9_EESK_S10_SL_SM_SN_EUlS10_E0_NS1_11comp_targetILNS1_3genE4ELNS1_11target_archE910ELNS1_3gpuE8ELNS1_3repE0EEENS1_38merge_mergepath_config_static_selectorELNS0_4arch9wavefront6targetE0EEEvSM_,comdat
.Lfunc_end281:
	.size	_ZN7rocprim17ROCPRIM_400000_NS6detail17trampoline_kernelINS0_14default_configENS1_38merge_sort_block_merge_config_selectorIlNS0_10empty_typeEEEZZNS1_27merge_sort_block_merge_implIS3_PlPS5_mZN2at6native12_GLOBAL__N_124unique_dim_cuda_templateIaEESt5tupleIJNSA_6TensorESF_SF_EERKSF_lbbbEUlllE_EE10hipError_tT0_T1_T2_jT3_P12ihipStream_tbPNSt15iterator_traitsISL_E10value_typeEPNSR_ISM_E10value_typeEPSN_NS1_7vsmem_tEENKUlT_SL_SM_SN_E_clIS8_S8_S9_S9_EESK_S10_SL_SM_SN_EUlS10_E0_NS1_11comp_targetILNS1_3genE4ELNS1_11target_archE910ELNS1_3gpuE8ELNS1_3repE0EEENS1_38merge_mergepath_config_static_selectorELNS0_4arch9wavefront6targetE0EEEvSM_, .Lfunc_end281-_ZN7rocprim17ROCPRIM_400000_NS6detail17trampoline_kernelINS0_14default_configENS1_38merge_sort_block_merge_config_selectorIlNS0_10empty_typeEEEZZNS1_27merge_sort_block_merge_implIS3_PlPS5_mZN2at6native12_GLOBAL__N_124unique_dim_cuda_templateIaEESt5tupleIJNSA_6TensorESF_SF_EERKSF_lbbbEUlllE_EE10hipError_tT0_T1_T2_jT3_P12ihipStream_tbPNSt15iterator_traitsISL_E10value_typeEPNSR_ISM_E10value_typeEPSN_NS1_7vsmem_tEENKUlT_SL_SM_SN_E_clIS8_S8_S9_S9_EESK_S10_SL_SM_SN_EUlS10_E0_NS1_11comp_targetILNS1_3genE4ELNS1_11target_archE910ELNS1_3gpuE8ELNS1_3repE0EEENS1_38merge_mergepath_config_static_selectorELNS0_4arch9wavefront6targetE0EEEvSM_
                                        ; -- End function
	.section	.AMDGPU.csdata,"",@progbits
; Kernel info:
; codeLenInByte = 0
; NumSgprs: 0
; NumVgprs: 0
; ScratchSize: 0
; MemoryBound: 0
; FloatMode: 240
; IeeeMode: 1
; LDSByteSize: 0 bytes/workgroup (compile time only)
; SGPRBlocks: 0
; VGPRBlocks: 0
; NumSGPRsForWavesPerEU: 1
; NumVGPRsForWavesPerEU: 1
; Occupancy: 16
; WaveLimiterHint : 0
; COMPUTE_PGM_RSRC2:SCRATCH_EN: 0
; COMPUTE_PGM_RSRC2:USER_SGPR: 15
; COMPUTE_PGM_RSRC2:TRAP_HANDLER: 0
; COMPUTE_PGM_RSRC2:TGID_X_EN: 1
; COMPUTE_PGM_RSRC2:TGID_Y_EN: 0
; COMPUTE_PGM_RSRC2:TGID_Z_EN: 0
; COMPUTE_PGM_RSRC2:TIDIG_COMP_CNT: 0
	.section	.text._ZN7rocprim17ROCPRIM_400000_NS6detail17trampoline_kernelINS0_14default_configENS1_38merge_sort_block_merge_config_selectorIlNS0_10empty_typeEEEZZNS1_27merge_sort_block_merge_implIS3_PlPS5_mZN2at6native12_GLOBAL__N_124unique_dim_cuda_templateIaEESt5tupleIJNSA_6TensorESF_SF_EERKSF_lbbbEUlllE_EE10hipError_tT0_T1_T2_jT3_P12ihipStream_tbPNSt15iterator_traitsISL_E10value_typeEPNSR_ISM_E10value_typeEPSN_NS1_7vsmem_tEENKUlT_SL_SM_SN_E_clIS8_S8_S9_S9_EESK_S10_SL_SM_SN_EUlS10_E0_NS1_11comp_targetILNS1_3genE3ELNS1_11target_archE908ELNS1_3gpuE7ELNS1_3repE0EEENS1_38merge_mergepath_config_static_selectorELNS0_4arch9wavefront6targetE0EEEvSM_,"axG",@progbits,_ZN7rocprim17ROCPRIM_400000_NS6detail17trampoline_kernelINS0_14default_configENS1_38merge_sort_block_merge_config_selectorIlNS0_10empty_typeEEEZZNS1_27merge_sort_block_merge_implIS3_PlPS5_mZN2at6native12_GLOBAL__N_124unique_dim_cuda_templateIaEESt5tupleIJNSA_6TensorESF_SF_EERKSF_lbbbEUlllE_EE10hipError_tT0_T1_T2_jT3_P12ihipStream_tbPNSt15iterator_traitsISL_E10value_typeEPNSR_ISM_E10value_typeEPSN_NS1_7vsmem_tEENKUlT_SL_SM_SN_E_clIS8_S8_S9_S9_EESK_S10_SL_SM_SN_EUlS10_E0_NS1_11comp_targetILNS1_3genE3ELNS1_11target_archE908ELNS1_3gpuE7ELNS1_3repE0EEENS1_38merge_mergepath_config_static_selectorELNS0_4arch9wavefront6targetE0EEEvSM_,comdat
	.globl	_ZN7rocprim17ROCPRIM_400000_NS6detail17trampoline_kernelINS0_14default_configENS1_38merge_sort_block_merge_config_selectorIlNS0_10empty_typeEEEZZNS1_27merge_sort_block_merge_implIS3_PlPS5_mZN2at6native12_GLOBAL__N_124unique_dim_cuda_templateIaEESt5tupleIJNSA_6TensorESF_SF_EERKSF_lbbbEUlllE_EE10hipError_tT0_T1_T2_jT3_P12ihipStream_tbPNSt15iterator_traitsISL_E10value_typeEPNSR_ISM_E10value_typeEPSN_NS1_7vsmem_tEENKUlT_SL_SM_SN_E_clIS8_S8_S9_S9_EESK_S10_SL_SM_SN_EUlS10_E0_NS1_11comp_targetILNS1_3genE3ELNS1_11target_archE908ELNS1_3gpuE7ELNS1_3repE0EEENS1_38merge_mergepath_config_static_selectorELNS0_4arch9wavefront6targetE0EEEvSM_ ; -- Begin function _ZN7rocprim17ROCPRIM_400000_NS6detail17trampoline_kernelINS0_14default_configENS1_38merge_sort_block_merge_config_selectorIlNS0_10empty_typeEEEZZNS1_27merge_sort_block_merge_implIS3_PlPS5_mZN2at6native12_GLOBAL__N_124unique_dim_cuda_templateIaEESt5tupleIJNSA_6TensorESF_SF_EERKSF_lbbbEUlllE_EE10hipError_tT0_T1_T2_jT3_P12ihipStream_tbPNSt15iterator_traitsISL_E10value_typeEPNSR_ISM_E10value_typeEPSN_NS1_7vsmem_tEENKUlT_SL_SM_SN_E_clIS8_S8_S9_S9_EESK_S10_SL_SM_SN_EUlS10_E0_NS1_11comp_targetILNS1_3genE3ELNS1_11target_archE908ELNS1_3gpuE7ELNS1_3repE0EEENS1_38merge_mergepath_config_static_selectorELNS0_4arch9wavefront6targetE0EEEvSM_
	.p2align	8
	.type	_ZN7rocprim17ROCPRIM_400000_NS6detail17trampoline_kernelINS0_14default_configENS1_38merge_sort_block_merge_config_selectorIlNS0_10empty_typeEEEZZNS1_27merge_sort_block_merge_implIS3_PlPS5_mZN2at6native12_GLOBAL__N_124unique_dim_cuda_templateIaEESt5tupleIJNSA_6TensorESF_SF_EERKSF_lbbbEUlllE_EE10hipError_tT0_T1_T2_jT3_P12ihipStream_tbPNSt15iterator_traitsISL_E10value_typeEPNSR_ISM_E10value_typeEPSN_NS1_7vsmem_tEENKUlT_SL_SM_SN_E_clIS8_S8_S9_S9_EESK_S10_SL_SM_SN_EUlS10_E0_NS1_11comp_targetILNS1_3genE3ELNS1_11target_archE908ELNS1_3gpuE7ELNS1_3repE0EEENS1_38merge_mergepath_config_static_selectorELNS0_4arch9wavefront6targetE0EEEvSM_,@function
_ZN7rocprim17ROCPRIM_400000_NS6detail17trampoline_kernelINS0_14default_configENS1_38merge_sort_block_merge_config_selectorIlNS0_10empty_typeEEEZZNS1_27merge_sort_block_merge_implIS3_PlPS5_mZN2at6native12_GLOBAL__N_124unique_dim_cuda_templateIaEESt5tupleIJNSA_6TensorESF_SF_EERKSF_lbbbEUlllE_EE10hipError_tT0_T1_T2_jT3_P12ihipStream_tbPNSt15iterator_traitsISL_E10value_typeEPNSR_ISM_E10value_typeEPSN_NS1_7vsmem_tEENKUlT_SL_SM_SN_E_clIS8_S8_S9_S9_EESK_S10_SL_SM_SN_EUlS10_E0_NS1_11comp_targetILNS1_3genE3ELNS1_11target_archE908ELNS1_3gpuE7ELNS1_3repE0EEENS1_38merge_mergepath_config_static_selectorELNS0_4arch9wavefront6targetE0EEEvSM_: ; @_ZN7rocprim17ROCPRIM_400000_NS6detail17trampoline_kernelINS0_14default_configENS1_38merge_sort_block_merge_config_selectorIlNS0_10empty_typeEEEZZNS1_27merge_sort_block_merge_implIS3_PlPS5_mZN2at6native12_GLOBAL__N_124unique_dim_cuda_templateIaEESt5tupleIJNSA_6TensorESF_SF_EERKSF_lbbbEUlllE_EE10hipError_tT0_T1_T2_jT3_P12ihipStream_tbPNSt15iterator_traitsISL_E10value_typeEPNSR_ISM_E10value_typeEPSN_NS1_7vsmem_tEENKUlT_SL_SM_SN_E_clIS8_S8_S9_S9_EESK_S10_SL_SM_SN_EUlS10_E0_NS1_11comp_targetILNS1_3genE3ELNS1_11target_archE908ELNS1_3gpuE7ELNS1_3repE0EEENS1_38merge_mergepath_config_static_selectorELNS0_4arch9wavefront6targetE0EEEvSM_
; %bb.0:
	.section	.rodata,"a",@progbits
	.p2align	6, 0x0
	.amdhsa_kernel _ZN7rocprim17ROCPRIM_400000_NS6detail17trampoline_kernelINS0_14default_configENS1_38merge_sort_block_merge_config_selectorIlNS0_10empty_typeEEEZZNS1_27merge_sort_block_merge_implIS3_PlPS5_mZN2at6native12_GLOBAL__N_124unique_dim_cuda_templateIaEESt5tupleIJNSA_6TensorESF_SF_EERKSF_lbbbEUlllE_EE10hipError_tT0_T1_T2_jT3_P12ihipStream_tbPNSt15iterator_traitsISL_E10value_typeEPNSR_ISM_E10value_typeEPSN_NS1_7vsmem_tEENKUlT_SL_SM_SN_E_clIS8_S8_S9_S9_EESK_S10_SL_SM_SN_EUlS10_E0_NS1_11comp_targetILNS1_3genE3ELNS1_11target_archE908ELNS1_3gpuE7ELNS1_3repE0EEENS1_38merge_mergepath_config_static_selectorELNS0_4arch9wavefront6targetE0EEEvSM_
		.amdhsa_group_segment_fixed_size 0
		.amdhsa_private_segment_fixed_size 0
		.amdhsa_kernarg_size 88
		.amdhsa_user_sgpr_count 15
		.amdhsa_user_sgpr_dispatch_ptr 0
		.amdhsa_user_sgpr_queue_ptr 0
		.amdhsa_user_sgpr_kernarg_segment_ptr 1
		.amdhsa_user_sgpr_dispatch_id 0
		.amdhsa_user_sgpr_private_segment_size 0
		.amdhsa_wavefront_size32 1
		.amdhsa_uses_dynamic_stack 0
		.amdhsa_enable_private_segment 0
		.amdhsa_system_sgpr_workgroup_id_x 1
		.amdhsa_system_sgpr_workgroup_id_y 0
		.amdhsa_system_sgpr_workgroup_id_z 0
		.amdhsa_system_sgpr_workgroup_info 0
		.amdhsa_system_vgpr_workitem_id 0
		.amdhsa_next_free_vgpr 1
		.amdhsa_next_free_sgpr 1
		.amdhsa_reserve_vcc 0
		.amdhsa_float_round_mode_32 0
		.amdhsa_float_round_mode_16_64 0
		.amdhsa_float_denorm_mode_32 3
		.amdhsa_float_denorm_mode_16_64 3
		.amdhsa_dx10_clamp 1
		.amdhsa_ieee_mode 1
		.amdhsa_fp16_overflow 0
		.amdhsa_workgroup_processor_mode 1
		.amdhsa_memory_ordered 1
		.amdhsa_forward_progress 0
		.amdhsa_shared_vgpr_count 0
		.amdhsa_exception_fp_ieee_invalid_op 0
		.amdhsa_exception_fp_denorm_src 0
		.amdhsa_exception_fp_ieee_div_zero 0
		.amdhsa_exception_fp_ieee_overflow 0
		.amdhsa_exception_fp_ieee_underflow 0
		.amdhsa_exception_fp_ieee_inexact 0
		.amdhsa_exception_int_div_zero 0
	.end_amdhsa_kernel
	.section	.text._ZN7rocprim17ROCPRIM_400000_NS6detail17trampoline_kernelINS0_14default_configENS1_38merge_sort_block_merge_config_selectorIlNS0_10empty_typeEEEZZNS1_27merge_sort_block_merge_implIS3_PlPS5_mZN2at6native12_GLOBAL__N_124unique_dim_cuda_templateIaEESt5tupleIJNSA_6TensorESF_SF_EERKSF_lbbbEUlllE_EE10hipError_tT0_T1_T2_jT3_P12ihipStream_tbPNSt15iterator_traitsISL_E10value_typeEPNSR_ISM_E10value_typeEPSN_NS1_7vsmem_tEENKUlT_SL_SM_SN_E_clIS8_S8_S9_S9_EESK_S10_SL_SM_SN_EUlS10_E0_NS1_11comp_targetILNS1_3genE3ELNS1_11target_archE908ELNS1_3gpuE7ELNS1_3repE0EEENS1_38merge_mergepath_config_static_selectorELNS0_4arch9wavefront6targetE0EEEvSM_,"axG",@progbits,_ZN7rocprim17ROCPRIM_400000_NS6detail17trampoline_kernelINS0_14default_configENS1_38merge_sort_block_merge_config_selectorIlNS0_10empty_typeEEEZZNS1_27merge_sort_block_merge_implIS3_PlPS5_mZN2at6native12_GLOBAL__N_124unique_dim_cuda_templateIaEESt5tupleIJNSA_6TensorESF_SF_EERKSF_lbbbEUlllE_EE10hipError_tT0_T1_T2_jT3_P12ihipStream_tbPNSt15iterator_traitsISL_E10value_typeEPNSR_ISM_E10value_typeEPSN_NS1_7vsmem_tEENKUlT_SL_SM_SN_E_clIS8_S8_S9_S9_EESK_S10_SL_SM_SN_EUlS10_E0_NS1_11comp_targetILNS1_3genE3ELNS1_11target_archE908ELNS1_3gpuE7ELNS1_3repE0EEENS1_38merge_mergepath_config_static_selectorELNS0_4arch9wavefront6targetE0EEEvSM_,comdat
.Lfunc_end282:
	.size	_ZN7rocprim17ROCPRIM_400000_NS6detail17trampoline_kernelINS0_14default_configENS1_38merge_sort_block_merge_config_selectorIlNS0_10empty_typeEEEZZNS1_27merge_sort_block_merge_implIS3_PlPS5_mZN2at6native12_GLOBAL__N_124unique_dim_cuda_templateIaEESt5tupleIJNSA_6TensorESF_SF_EERKSF_lbbbEUlllE_EE10hipError_tT0_T1_T2_jT3_P12ihipStream_tbPNSt15iterator_traitsISL_E10value_typeEPNSR_ISM_E10value_typeEPSN_NS1_7vsmem_tEENKUlT_SL_SM_SN_E_clIS8_S8_S9_S9_EESK_S10_SL_SM_SN_EUlS10_E0_NS1_11comp_targetILNS1_3genE3ELNS1_11target_archE908ELNS1_3gpuE7ELNS1_3repE0EEENS1_38merge_mergepath_config_static_selectorELNS0_4arch9wavefront6targetE0EEEvSM_, .Lfunc_end282-_ZN7rocprim17ROCPRIM_400000_NS6detail17trampoline_kernelINS0_14default_configENS1_38merge_sort_block_merge_config_selectorIlNS0_10empty_typeEEEZZNS1_27merge_sort_block_merge_implIS3_PlPS5_mZN2at6native12_GLOBAL__N_124unique_dim_cuda_templateIaEESt5tupleIJNSA_6TensorESF_SF_EERKSF_lbbbEUlllE_EE10hipError_tT0_T1_T2_jT3_P12ihipStream_tbPNSt15iterator_traitsISL_E10value_typeEPNSR_ISM_E10value_typeEPSN_NS1_7vsmem_tEENKUlT_SL_SM_SN_E_clIS8_S8_S9_S9_EESK_S10_SL_SM_SN_EUlS10_E0_NS1_11comp_targetILNS1_3genE3ELNS1_11target_archE908ELNS1_3gpuE7ELNS1_3repE0EEENS1_38merge_mergepath_config_static_selectorELNS0_4arch9wavefront6targetE0EEEvSM_
                                        ; -- End function
	.section	.AMDGPU.csdata,"",@progbits
; Kernel info:
; codeLenInByte = 0
; NumSgprs: 0
; NumVgprs: 0
; ScratchSize: 0
; MemoryBound: 0
; FloatMode: 240
; IeeeMode: 1
; LDSByteSize: 0 bytes/workgroup (compile time only)
; SGPRBlocks: 0
; VGPRBlocks: 0
; NumSGPRsForWavesPerEU: 1
; NumVGPRsForWavesPerEU: 1
; Occupancy: 16
; WaveLimiterHint : 0
; COMPUTE_PGM_RSRC2:SCRATCH_EN: 0
; COMPUTE_PGM_RSRC2:USER_SGPR: 15
; COMPUTE_PGM_RSRC2:TRAP_HANDLER: 0
; COMPUTE_PGM_RSRC2:TGID_X_EN: 1
; COMPUTE_PGM_RSRC2:TGID_Y_EN: 0
; COMPUTE_PGM_RSRC2:TGID_Z_EN: 0
; COMPUTE_PGM_RSRC2:TIDIG_COMP_CNT: 0
	.section	.text._ZN7rocprim17ROCPRIM_400000_NS6detail17trampoline_kernelINS0_14default_configENS1_38merge_sort_block_merge_config_selectorIlNS0_10empty_typeEEEZZNS1_27merge_sort_block_merge_implIS3_PlPS5_mZN2at6native12_GLOBAL__N_124unique_dim_cuda_templateIaEESt5tupleIJNSA_6TensorESF_SF_EERKSF_lbbbEUlllE_EE10hipError_tT0_T1_T2_jT3_P12ihipStream_tbPNSt15iterator_traitsISL_E10value_typeEPNSR_ISM_E10value_typeEPSN_NS1_7vsmem_tEENKUlT_SL_SM_SN_E_clIS8_S8_S9_S9_EESK_S10_SL_SM_SN_EUlS10_E0_NS1_11comp_targetILNS1_3genE2ELNS1_11target_archE906ELNS1_3gpuE6ELNS1_3repE0EEENS1_38merge_mergepath_config_static_selectorELNS0_4arch9wavefront6targetE0EEEvSM_,"axG",@progbits,_ZN7rocprim17ROCPRIM_400000_NS6detail17trampoline_kernelINS0_14default_configENS1_38merge_sort_block_merge_config_selectorIlNS0_10empty_typeEEEZZNS1_27merge_sort_block_merge_implIS3_PlPS5_mZN2at6native12_GLOBAL__N_124unique_dim_cuda_templateIaEESt5tupleIJNSA_6TensorESF_SF_EERKSF_lbbbEUlllE_EE10hipError_tT0_T1_T2_jT3_P12ihipStream_tbPNSt15iterator_traitsISL_E10value_typeEPNSR_ISM_E10value_typeEPSN_NS1_7vsmem_tEENKUlT_SL_SM_SN_E_clIS8_S8_S9_S9_EESK_S10_SL_SM_SN_EUlS10_E0_NS1_11comp_targetILNS1_3genE2ELNS1_11target_archE906ELNS1_3gpuE6ELNS1_3repE0EEENS1_38merge_mergepath_config_static_selectorELNS0_4arch9wavefront6targetE0EEEvSM_,comdat
	.globl	_ZN7rocprim17ROCPRIM_400000_NS6detail17trampoline_kernelINS0_14default_configENS1_38merge_sort_block_merge_config_selectorIlNS0_10empty_typeEEEZZNS1_27merge_sort_block_merge_implIS3_PlPS5_mZN2at6native12_GLOBAL__N_124unique_dim_cuda_templateIaEESt5tupleIJNSA_6TensorESF_SF_EERKSF_lbbbEUlllE_EE10hipError_tT0_T1_T2_jT3_P12ihipStream_tbPNSt15iterator_traitsISL_E10value_typeEPNSR_ISM_E10value_typeEPSN_NS1_7vsmem_tEENKUlT_SL_SM_SN_E_clIS8_S8_S9_S9_EESK_S10_SL_SM_SN_EUlS10_E0_NS1_11comp_targetILNS1_3genE2ELNS1_11target_archE906ELNS1_3gpuE6ELNS1_3repE0EEENS1_38merge_mergepath_config_static_selectorELNS0_4arch9wavefront6targetE0EEEvSM_ ; -- Begin function _ZN7rocprim17ROCPRIM_400000_NS6detail17trampoline_kernelINS0_14default_configENS1_38merge_sort_block_merge_config_selectorIlNS0_10empty_typeEEEZZNS1_27merge_sort_block_merge_implIS3_PlPS5_mZN2at6native12_GLOBAL__N_124unique_dim_cuda_templateIaEESt5tupleIJNSA_6TensorESF_SF_EERKSF_lbbbEUlllE_EE10hipError_tT0_T1_T2_jT3_P12ihipStream_tbPNSt15iterator_traitsISL_E10value_typeEPNSR_ISM_E10value_typeEPSN_NS1_7vsmem_tEENKUlT_SL_SM_SN_E_clIS8_S8_S9_S9_EESK_S10_SL_SM_SN_EUlS10_E0_NS1_11comp_targetILNS1_3genE2ELNS1_11target_archE906ELNS1_3gpuE6ELNS1_3repE0EEENS1_38merge_mergepath_config_static_selectorELNS0_4arch9wavefront6targetE0EEEvSM_
	.p2align	8
	.type	_ZN7rocprim17ROCPRIM_400000_NS6detail17trampoline_kernelINS0_14default_configENS1_38merge_sort_block_merge_config_selectorIlNS0_10empty_typeEEEZZNS1_27merge_sort_block_merge_implIS3_PlPS5_mZN2at6native12_GLOBAL__N_124unique_dim_cuda_templateIaEESt5tupleIJNSA_6TensorESF_SF_EERKSF_lbbbEUlllE_EE10hipError_tT0_T1_T2_jT3_P12ihipStream_tbPNSt15iterator_traitsISL_E10value_typeEPNSR_ISM_E10value_typeEPSN_NS1_7vsmem_tEENKUlT_SL_SM_SN_E_clIS8_S8_S9_S9_EESK_S10_SL_SM_SN_EUlS10_E0_NS1_11comp_targetILNS1_3genE2ELNS1_11target_archE906ELNS1_3gpuE6ELNS1_3repE0EEENS1_38merge_mergepath_config_static_selectorELNS0_4arch9wavefront6targetE0EEEvSM_,@function
_ZN7rocprim17ROCPRIM_400000_NS6detail17trampoline_kernelINS0_14default_configENS1_38merge_sort_block_merge_config_selectorIlNS0_10empty_typeEEEZZNS1_27merge_sort_block_merge_implIS3_PlPS5_mZN2at6native12_GLOBAL__N_124unique_dim_cuda_templateIaEESt5tupleIJNSA_6TensorESF_SF_EERKSF_lbbbEUlllE_EE10hipError_tT0_T1_T2_jT3_P12ihipStream_tbPNSt15iterator_traitsISL_E10value_typeEPNSR_ISM_E10value_typeEPSN_NS1_7vsmem_tEENKUlT_SL_SM_SN_E_clIS8_S8_S9_S9_EESK_S10_SL_SM_SN_EUlS10_E0_NS1_11comp_targetILNS1_3genE2ELNS1_11target_archE906ELNS1_3gpuE6ELNS1_3repE0EEENS1_38merge_mergepath_config_static_selectorELNS0_4arch9wavefront6targetE0EEEvSM_: ; @_ZN7rocprim17ROCPRIM_400000_NS6detail17trampoline_kernelINS0_14default_configENS1_38merge_sort_block_merge_config_selectorIlNS0_10empty_typeEEEZZNS1_27merge_sort_block_merge_implIS3_PlPS5_mZN2at6native12_GLOBAL__N_124unique_dim_cuda_templateIaEESt5tupleIJNSA_6TensorESF_SF_EERKSF_lbbbEUlllE_EE10hipError_tT0_T1_T2_jT3_P12ihipStream_tbPNSt15iterator_traitsISL_E10value_typeEPNSR_ISM_E10value_typeEPSN_NS1_7vsmem_tEENKUlT_SL_SM_SN_E_clIS8_S8_S9_S9_EESK_S10_SL_SM_SN_EUlS10_E0_NS1_11comp_targetILNS1_3genE2ELNS1_11target_archE906ELNS1_3gpuE6ELNS1_3repE0EEENS1_38merge_mergepath_config_static_selectorELNS0_4arch9wavefront6targetE0EEEvSM_
; %bb.0:
	.section	.rodata,"a",@progbits
	.p2align	6, 0x0
	.amdhsa_kernel _ZN7rocprim17ROCPRIM_400000_NS6detail17trampoline_kernelINS0_14default_configENS1_38merge_sort_block_merge_config_selectorIlNS0_10empty_typeEEEZZNS1_27merge_sort_block_merge_implIS3_PlPS5_mZN2at6native12_GLOBAL__N_124unique_dim_cuda_templateIaEESt5tupleIJNSA_6TensorESF_SF_EERKSF_lbbbEUlllE_EE10hipError_tT0_T1_T2_jT3_P12ihipStream_tbPNSt15iterator_traitsISL_E10value_typeEPNSR_ISM_E10value_typeEPSN_NS1_7vsmem_tEENKUlT_SL_SM_SN_E_clIS8_S8_S9_S9_EESK_S10_SL_SM_SN_EUlS10_E0_NS1_11comp_targetILNS1_3genE2ELNS1_11target_archE906ELNS1_3gpuE6ELNS1_3repE0EEENS1_38merge_mergepath_config_static_selectorELNS0_4arch9wavefront6targetE0EEEvSM_
		.amdhsa_group_segment_fixed_size 0
		.amdhsa_private_segment_fixed_size 0
		.amdhsa_kernarg_size 88
		.amdhsa_user_sgpr_count 15
		.amdhsa_user_sgpr_dispatch_ptr 0
		.amdhsa_user_sgpr_queue_ptr 0
		.amdhsa_user_sgpr_kernarg_segment_ptr 1
		.amdhsa_user_sgpr_dispatch_id 0
		.amdhsa_user_sgpr_private_segment_size 0
		.amdhsa_wavefront_size32 1
		.amdhsa_uses_dynamic_stack 0
		.amdhsa_enable_private_segment 0
		.amdhsa_system_sgpr_workgroup_id_x 1
		.amdhsa_system_sgpr_workgroup_id_y 0
		.amdhsa_system_sgpr_workgroup_id_z 0
		.amdhsa_system_sgpr_workgroup_info 0
		.amdhsa_system_vgpr_workitem_id 0
		.amdhsa_next_free_vgpr 1
		.amdhsa_next_free_sgpr 1
		.amdhsa_reserve_vcc 0
		.amdhsa_float_round_mode_32 0
		.amdhsa_float_round_mode_16_64 0
		.amdhsa_float_denorm_mode_32 3
		.amdhsa_float_denorm_mode_16_64 3
		.amdhsa_dx10_clamp 1
		.amdhsa_ieee_mode 1
		.amdhsa_fp16_overflow 0
		.amdhsa_workgroup_processor_mode 1
		.amdhsa_memory_ordered 1
		.amdhsa_forward_progress 0
		.amdhsa_shared_vgpr_count 0
		.amdhsa_exception_fp_ieee_invalid_op 0
		.amdhsa_exception_fp_denorm_src 0
		.amdhsa_exception_fp_ieee_div_zero 0
		.amdhsa_exception_fp_ieee_overflow 0
		.amdhsa_exception_fp_ieee_underflow 0
		.amdhsa_exception_fp_ieee_inexact 0
		.amdhsa_exception_int_div_zero 0
	.end_amdhsa_kernel
	.section	.text._ZN7rocprim17ROCPRIM_400000_NS6detail17trampoline_kernelINS0_14default_configENS1_38merge_sort_block_merge_config_selectorIlNS0_10empty_typeEEEZZNS1_27merge_sort_block_merge_implIS3_PlPS5_mZN2at6native12_GLOBAL__N_124unique_dim_cuda_templateIaEESt5tupleIJNSA_6TensorESF_SF_EERKSF_lbbbEUlllE_EE10hipError_tT0_T1_T2_jT3_P12ihipStream_tbPNSt15iterator_traitsISL_E10value_typeEPNSR_ISM_E10value_typeEPSN_NS1_7vsmem_tEENKUlT_SL_SM_SN_E_clIS8_S8_S9_S9_EESK_S10_SL_SM_SN_EUlS10_E0_NS1_11comp_targetILNS1_3genE2ELNS1_11target_archE906ELNS1_3gpuE6ELNS1_3repE0EEENS1_38merge_mergepath_config_static_selectorELNS0_4arch9wavefront6targetE0EEEvSM_,"axG",@progbits,_ZN7rocprim17ROCPRIM_400000_NS6detail17trampoline_kernelINS0_14default_configENS1_38merge_sort_block_merge_config_selectorIlNS0_10empty_typeEEEZZNS1_27merge_sort_block_merge_implIS3_PlPS5_mZN2at6native12_GLOBAL__N_124unique_dim_cuda_templateIaEESt5tupleIJNSA_6TensorESF_SF_EERKSF_lbbbEUlllE_EE10hipError_tT0_T1_T2_jT3_P12ihipStream_tbPNSt15iterator_traitsISL_E10value_typeEPNSR_ISM_E10value_typeEPSN_NS1_7vsmem_tEENKUlT_SL_SM_SN_E_clIS8_S8_S9_S9_EESK_S10_SL_SM_SN_EUlS10_E0_NS1_11comp_targetILNS1_3genE2ELNS1_11target_archE906ELNS1_3gpuE6ELNS1_3repE0EEENS1_38merge_mergepath_config_static_selectorELNS0_4arch9wavefront6targetE0EEEvSM_,comdat
.Lfunc_end283:
	.size	_ZN7rocprim17ROCPRIM_400000_NS6detail17trampoline_kernelINS0_14default_configENS1_38merge_sort_block_merge_config_selectorIlNS0_10empty_typeEEEZZNS1_27merge_sort_block_merge_implIS3_PlPS5_mZN2at6native12_GLOBAL__N_124unique_dim_cuda_templateIaEESt5tupleIJNSA_6TensorESF_SF_EERKSF_lbbbEUlllE_EE10hipError_tT0_T1_T2_jT3_P12ihipStream_tbPNSt15iterator_traitsISL_E10value_typeEPNSR_ISM_E10value_typeEPSN_NS1_7vsmem_tEENKUlT_SL_SM_SN_E_clIS8_S8_S9_S9_EESK_S10_SL_SM_SN_EUlS10_E0_NS1_11comp_targetILNS1_3genE2ELNS1_11target_archE906ELNS1_3gpuE6ELNS1_3repE0EEENS1_38merge_mergepath_config_static_selectorELNS0_4arch9wavefront6targetE0EEEvSM_, .Lfunc_end283-_ZN7rocprim17ROCPRIM_400000_NS6detail17trampoline_kernelINS0_14default_configENS1_38merge_sort_block_merge_config_selectorIlNS0_10empty_typeEEEZZNS1_27merge_sort_block_merge_implIS3_PlPS5_mZN2at6native12_GLOBAL__N_124unique_dim_cuda_templateIaEESt5tupleIJNSA_6TensorESF_SF_EERKSF_lbbbEUlllE_EE10hipError_tT0_T1_T2_jT3_P12ihipStream_tbPNSt15iterator_traitsISL_E10value_typeEPNSR_ISM_E10value_typeEPSN_NS1_7vsmem_tEENKUlT_SL_SM_SN_E_clIS8_S8_S9_S9_EESK_S10_SL_SM_SN_EUlS10_E0_NS1_11comp_targetILNS1_3genE2ELNS1_11target_archE906ELNS1_3gpuE6ELNS1_3repE0EEENS1_38merge_mergepath_config_static_selectorELNS0_4arch9wavefront6targetE0EEEvSM_
                                        ; -- End function
	.section	.AMDGPU.csdata,"",@progbits
; Kernel info:
; codeLenInByte = 0
; NumSgprs: 0
; NumVgprs: 0
; ScratchSize: 0
; MemoryBound: 0
; FloatMode: 240
; IeeeMode: 1
; LDSByteSize: 0 bytes/workgroup (compile time only)
; SGPRBlocks: 0
; VGPRBlocks: 0
; NumSGPRsForWavesPerEU: 1
; NumVGPRsForWavesPerEU: 1
; Occupancy: 16
; WaveLimiterHint : 0
; COMPUTE_PGM_RSRC2:SCRATCH_EN: 0
; COMPUTE_PGM_RSRC2:USER_SGPR: 15
; COMPUTE_PGM_RSRC2:TRAP_HANDLER: 0
; COMPUTE_PGM_RSRC2:TGID_X_EN: 1
; COMPUTE_PGM_RSRC2:TGID_Y_EN: 0
; COMPUTE_PGM_RSRC2:TGID_Z_EN: 0
; COMPUTE_PGM_RSRC2:TIDIG_COMP_CNT: 0
	.section	.text._ZN7rocprim17ROCPRIM_400000_NS6detail17trampoline_kernelINS0_14default_configENS1_38merge_sort_block_merge_config_selectorIlNS0_10empty_typeEEEZZNS1_27merge_sort_block_merge_implIS3_PlPS5_mZN2at6native12_GLOBAL__N_124unique_dim_cuda_templateIaEESt5tupleIJNSA_6TensorESF_SF_EERKSF_lbbbEUlllE_EE10hipError_tT0_T1_T2_jT3_P12ihipStream_tbPNSt15iterator_traitsISL_E10value_typeEPNSR_ISM_E10value_typeEPSN_NS1_7vsmem_tEENKUlT_SL_SM_SN_E_clIS8_S8_S9_S9_EESK_S10_SL_SM_SN_EUlS10_E0_NS1_11comp_targetILNS1_3genE9ELNS1_11target_archE1100ELNS1_3gpuE3ELNS1_3repE0EEENS1_38merge_mergepath_config_static_selectorELNS0_4arch9wavefront6targetE0EEEvSM_,"axG",@progbits,_ZN7rocprim17ROCPRIM_400000_NS6detail17trampoline_kernelINS0_14default_configENS1_38merge_sort_block_merge_config_selectorIlNS0_10empty_typeEEEZZNS1_27merge_sort_block_merge_implIS3_PlPS5_mZN2at6native12_GLOBAL__N_124unique_dim_cuda_templateIaEESt5tupleIJNSA_6TensorESF_SF_EERKSF_lbbbEUlllE_EE10hipError_tT0_T1_T2_jT3_P12ihipStream_tbPNSt15iterator_traitsISL_E10value_typeEPNSR_ISM_E10value_typeEPSN_NS1_7vsmem_tEENKUlT_SL_SM_SN_E_clIS8_S8_S9_S9_EESK_S10_SL_SM_SN_EUlS10_E0_NS1_11comp_targetILNS1_3genE9ELNS1_11target_archE1100ELNS1_3gpuE3ELNS1_3repE0EEENS1_38merge_mergepath_config_static_selectorELNS0_4arch9wavefront6targetE0EEEvSM_,comdat
	.globl	_ZN7rocprim17ROCPRIM_400000_NS6detail17trampoline_kernelINS0_14default_configENS1_38merge_sort_block_merge_config_selectorIlNS0_10empty_typeEEEZZNS1_27merge_sort_block_merge_implIS3_PlPS5_mZN2at6native12_GLOBAL__N_124unique_dim_cuda_templateIaEESt5tupleIJNSA_6TensorESF_SF_EERKSF_lbbbEUlllE_EE10hipError_tT0_T1_T2_jT3_P12ihipStream_tbPNSt15iterator_traitsISL_E10value_typeEPNSR_ISM_E10value_typeEPSN_NS1_7vsmem_tEENKUlT_SL_SM_SN_E_clIS8_S8_S9_S9_EESK_S10_SL_SM_SN_EUlS10_E0_NS1_11comp_targetILNS1_3genE9ELNS1_11target_archE1100ELNS1_3gpuE3ELNS1_3repE0EEENS1_38merge_mergepath_config_static_selectorELNS0_4arch9wavefront6targetE0EEEvSM_ ; -- Begin function _ZN7rocprim17ROCPRIM_400000_NS6detail17trampoline_kernelINS0_14default_configENS1_38merge_sort_block_merge_config_selectorIlNS0_10empty_typeEEEZZNS1_27merge_sort_block_merge_implIS3_PlPS5_mZN2at6native12_GLOBAL__N_124unique_dim_cuda_templateIaEESt5tupleIJNSA_6TensorESF_SF_EERKSF_lbbbEUlllE_EE10hipError_tT0_T1_T2_jT3_P12ihipStream_tbPNSt15iterator_traitsISL_E10value_typeEPNSR_ISM_E10value_typeEPSN_NS1_7vsmem_tEENKUlT_SL_SM_SN_E_clIS8_S8_S9_S9_EESK_S10_SL_SM_SN_EUlS10_E0_NS1_11comp_targetILNS1_3genE9ELNS1_11target_archE1100ELNS1_3gpuE3ELNS1_3repE0EEENS1_38merge_mergepath_config_static_selectorELNS0_4arch9wavefront6targetE0EEEvSM_
	.p2align	8
	.type	_ZN7rocprim17ROCPRIM_400000_NS6detail17trampoline_kernelINS0_14default_configENS1_38merge_sort_block_merge_config_selectorIlNS0_10empty_typeEEEZZNS1_27merge_sort_block_merge_implIS3_PlPS5_mZN2at6native12_GLOBAL__N_124unique_dim_cuda_templateIaEESt5tupleIJNSA_6TensorESF_SF_EERKSF_lbbbEUlllE_EE10hipError_tT0_T1_T2_jT3_P12ihipStream_tbPNSt15iterator_traitsISL_E10value_typeEPNSR_ISM_E10value_typeEPSN_NS1_7vsmem_tEENKUlT_SL_SM_SN_E_clIS8_S8_S9_S9_EESK_S10_SL_SM_SN_EUlS10_E0_NS1_11comp_targetILNS1_3genE9ELNS1_11target_archE1100ELNS1_3gpuE3ELNS1_3repE0EEENS1_38merge_mergepath_config_static_selectorELNS0_4arch9wavefront6targetE0EEEvSM_,@function
_ZN7rocprim17ROCPRIM_400000_NS6detail17trampoline_kernelINS0_14default_configENS1_38merge_sort_block_merge_config_selectorIlNS0_10empty_typeEEEZZNS1_27merge_sort_block_merge_implIS3_PlPS5_mZN2at6native12_GLOBAL__N_124unique_dim_cuda_templateIaEESt5tupleIJNSA_6TensorESF_SF_EERKSF_lbbbEUlllE_EE10hipError_tT0_T1_T2_jT3_P12ihipStream_tbPNSt15iterator_traitsISL_E10value_typeEPNSR_ISM_E10value_typeEPSN_NS1_7vsmem_tEENKUlT_SL_SM_SN_E_clIS8_S8_S9_S9_EESK_S10_SL_SM_SN_EUlS10_E0_NS1_11comp_targetILNS1_3genE9ELNS1_11target_archE1100ELNS1_3gpuE3ELNS1_3repE0EEENS1_38merge_mergepath_config_static_selectorELNS0_4arch9wavefront6targetE0EEEvSM_: ; @_ZN7rocprim17ROCPRIM_400000_NS6detail17trampoline_kernelINS0_14default_configENS1_38merge_sort_block_merge_config_selectorIlNS0_10empty_typeEEEZZNS1_27merge_sort_block_merge_implIS3_PlPS5_mZN2at6native12_GLOBAL__N_124unique_dim_cuda_templateIaEESt5tupleIJNSA_6TensorESF_SF_EERKSF_lbbbEUlllE_EE10hipError_tT0_T1_T2_jT3_P12ihipStream_tbPNSt15iterator_traitsISL_E10value_typeEPNSR_ISM_E10value_typeEPSN_NS1_7vsmem_tEENKUlT_SL_SM_SN_E_clIS8_S8_S9_S9_EESK_S10_SL_SM_SN_EUlS10_E0_NS1_11comp_targetILNS1_3genE9ELNS1_11target_archE1100ELNS1_3gpuE3ELNS1_3repE0EEENS1_38merge_mergepath_config_static_selectorELNS0_4arch9wavefront6targetE0EEEvSM_
; %bb.0:
	s_clause 0x1
	s_load_b64 s[24:25], s[0:1], 0x58
	s_load_b32 s3, s[0:1], 0x38
	s_add_u32 s22, s0, 0x58
	s_addc_u32 s23, s1, 0
	s_waitcnt lgkmcnt(0)
	s_mul_i32 s2, s25, s15
	s_delay_alu instid0(SALU_CYCLE_1) | instskip(NEXT) | instid1(SALU_CYCLE_1)
	s_add_i32 s2, s2, s14
	s_mul_i32 s2, s2, s24
	s_delay_alu instid0(SALU_CYCLE_1) | instskip(NEXT) | instid1(SALU_CYCLE_1)
	s_add_i32 s2, s2, s13
	s_cmp_ge_u32 s2, s3
	s_cbranch_scc1 .LBB284_53
; %bb.1:
	s_clause 0x1
	s_load_b128 s[4:7], s[0:1], 0x28
	s_load_b64 s[8:9], s[0:1], 0x50
	s_mov_b32 s3, 0
	s_delay_alu instid0(SALU_CYCLE_1)
	s_lshl_b64 s[10:11], s[2:3], 3
	s_waitcnt lgkmcnt(0)
	v_alignbit_b32 v1, s7, s6, 9
	s_add_u32 s8, s8, s10
	s_addc_u32 s9, s9, s11
	s_lshl_b64 s[20:21], s[2:3], 10
	s_load_b128 s[16:19], s[8:9], 0x0
	v_readfirstlane_b32 s10, v1
	s_mov_b32 s9, s3
	s_delay_alu instid0(VALU_DEP_1) | instskip(NEXT) | instid1(SALU_CYCLE_1)
	s_and_b32 s8, s10, -2
	s_sub_i32 s33, 0, s8
	s_delay_alu instid0(SALU_CYCLE_1) | instskip(NEXT) | instid1(SALU_CYCLE_1)
	s_and_b32 s8, s2, s33
	s_lshl_b64 s[14:15], s[8:9], 10
	s_delay_alu instid0(SALU_CYCLE_1)
	s_sub_u32 s12, s20, s14
	s_subb_u32 s25, s21, s15
	s_lshl_b64 s[28:29], s[8:9], 11
	s_load_b128 s[8:11], s[0:1], 0x8
	s_add_u32 s27, s28, s6
	s_addc_u32 s28, s29, s7
	s_add_u32 s12, s27, s12
	s_addc_u32 s25, s28, s25
	s_waitcnt lgkmcnt(0)
	s_sub_u32 s26, s12, s18
	s_subb_u32 s19, s25, s19
	s_add_u32 s30, s26, 0x400
	s_addc_u32 s31, s19, 0
	s_delay_alu instid0(SALU_CYCLE_1) | instskip(NEXT) | instid1(VALU_DEP_1)
	v_cmp_lt_u64_e64 s19, s[4:5], s[30:31]
	s_and_b32 s19, s19, exec_lo
	s_cselect_b32 s26, s4, s30
	s_or_b32 s19, s2, s33
	s_delay_alu instid0(SALU_CYCLE_1)
	s_cmp_lg_u32 s19, -1
	s_mov_b32 s19, -1
	s_cbranch_scc1 .LBB284_3
; %bb.2:
	s_sub_u32 s14, s27, s14
	s_subb_u32 s15, s28, s15
	s_delay_alu instid0(SALU_CYCLE_1) | instskip(NEXT) | instid1(VALU_DEP_1)
	v_cmp_lt_u64_e64 s18, s[4:5], s[14:15]
	s_and_b32 s18, s18, exec_lo
	s_cselect_b32 s18, s4, s14
	s_add_u32 s6, s14, s6
	s_addc_u32 s7, s15, s7
	s_delay_alu instid0(SALU_CYCLE_1) | instskip(NEXT) | instid1(VALU_DEP_1)
	v_cmp_lt_u64_e64 s7, s[4:5], s[6:7]
	s_and_b32 s7, s7, exec_lo
	s_cselect_b32 s26, s4, s6
.LBB284_3:
	v_mov_b32_e32 v2, 0
	s_lshr_b64 s[28:29], s[4:5], 10
	v_lshlrev_b32_e32 v11, 3, v0
	s_cmp_lg_u64 s[28:29], s[2:3]
	s_cselect_b32 s6, -1, 0
	global_load_b32 v1, v2, s[22:23] offset:14
	s_sub_u32 s14, s12, s16
	s_subb_u32 s15, s25, s17
	s_delay_alu instid0(SALU_CYCLE_1) | instskip(NEXT) | instid1(VALU_DEP_1)
	v_cmp_lt_u64_e64 s7, s[4:5], s[14:15]
	s_and_b32 s7, s7, exec_lo
	s_cselect_b32 s30, s4, s14
	s_cselect_b32 s31, s5, s15
	s_lshl_b64 s[14:15], s[16:17], 3
	s_sub_i32 s5, s18, s16
	s_sub_i32 s16, s26, s30
	s_add_u32 s12, s8, s14
	s_addc_u32 s14, s9, s15
	s_lshl_b64 s[26:27], s[30:31], 3
	s_delay_alu instid0(SALU_CYCLE_1) | instskip(SKIP_3) | instid1(SALU_CYCLE_1)
	s_add_u32 s8, s8, s26
	s_addc_u32 s9, s9, s27
	s_cmp_lt_u32 s13, s24
	s_cselect_b32 s7, 12, 18
	s_add_u32 s22, s22, s7
	s_addc_u32 s23, s23, 0
	s_cmp_eq_u64 s[28:29], s[2:3]
	s_waitcnt vmcnt(0)
	v_lshrrev_b32_e32 v4, 16, v1
	v_and_b32_e32 v1, 0xffff, v1
	global_load_u16 v3, v2, s[22:23]
	v_mul_lo_u32 v1, v1, v4
	s_waitcnt vmcnt(0)
	s_delay_alu instid0(VALU_DEP_1)
	v_mul_lo_u32 v7, v1, v3
	s_cbranch_scc1 .LBB284_5
; %bb.4:
	v_subrev_nc_u32_e32 v1, s5, v0
	v_add_co_u32 v8, s2, s12, v11
	s_delay_alu instid0(VALU_DEP_1) | instskip(NEXT) | instid1(VALU_DEP_3)
	v_add_co_ci_u32_e64 v9, null, s14, 0, s2
	v_lshlrev_b64 v[3:4], 3, v[1:2]
	v_add_nc_u32_e32 v1, v7, v0
	s_add_i32 s7, s5, s16
	s_delay_alu instid0(VALU_DEP_1) | instskip(NEXT) | instid1(VALU_DEP_3)
	v_lshlrev_b64 v[5:6], 3, v[1:2]
	v_add_co_u32 v3, s2, s8, v3
	s_delay_alu instid0(VALU_DEP_1) | instskip(SKIP_1) | instid1(VALU_DEP_4)
	v_add_co_ci_u32_e64 v4, s2, s9, v4, s2
	v_cmp_gt_u32_e64 s2, s5, v0
	v_add_co_u32 v5, vcc_lo, s12, v5
	v_add_co_ci_u32_e32 v6, vcc_lo, s14, v6, vcc_lo
	v_cmp_gt_u32_e32 vcc_lo, s5, v1
	v_subrev_nc_u32_e32 v1, s5, v1
	s_delay_alu instid0(VALU_DEP_1) | instskip(NEXT) | instid1(VALU_DEP_1)
	v_lshlrev_b64 v[1:2], 3, v[1:2]
	v_add_co_u32 v10, s3, s8, v1
	s_delay_alu instid0(VALU_DEP_1) | instskip(SKIP_2) | instid1(VALU_DEP_3)
	v_add_co_ci_u32_e64 v12, s3, s9, v2, s3
	v_cndmask_b32_e64 v2, v4, v9, s2
	v_cndmask_b32_e64 v1, v3, v8, s2
	v_dual_cndmask_b32 v3, v10, v5 :: v_dual_cndmask_b32 v4, v12, v6
	global_load_b64 v[1:2], v[1:2], off
	global_load_b64 v[5:6], v[3:4], off
	s_cbranch_execz .LBB284_6
	s_branch .LBB284_11
.LBB284_5:
                                        ; implicit-def: $vgpr5_vgpr6
                                        ; implicit-def: $sgpr7
                                        ; implicit-def: $vgpr1_vgpr2_vgpr3_vgpr4
	s_and_not1_b32 vcc_lo, exec_lo, s19
	s_cbranch_vccnz .LBB284_11
.LBB284_6:
	s_add_i32 s7, s5, s16
	s_mov_b32 s2, exec_lo
                                        ; implicit-def: $vgpr1_vgpr2
	v_cmpx_gt_u32_e64 s7, v0
	s_cbranch_execz .LBB284_8
; %bb.7:
	s_waitcnt vmcnt(1)
	v_subrev_nc_u32_e32 v1, s5, v0
	v_add_co_u32 v3, s3, s12, v11
	v_mov_b32_e32 v2, 0
	v_add_co_ci_u32_e64 v4, null, s14, 0, s3
	s_delay_alu instid0(VALU_DEP_2) | instskip(NEXT) | instid1(VALU_DEP_1)
	v_lshlrev_b64 v[1:2], 3, v[1:2]
	v_add_co_u32 v1, vcc_lo, s8, v1
	s_delay_alu instid0(VALU_DEP_2) | instskip(SKIP_1) | instid1(VALU_DEP_2)
	v_add_co_ci_u32_e32 v2, vcc_lo, s9, v2, vcc_lo
	v_cmp_gt_u32_e32 vcc_lo, s5, v0
	v_dual_cndmask_b32 v1, v1, v3 :: v_dual_cndmask_b32 v2, v2, v4
	global_load_b64 v[1:2], v[1:2], off
.LBB284_8:
	s_or_b32 exec_lo, exec_lo, s2
	v_add_nc_u32_e32 v7, v7, v0
	s_mov_b32 s3, exec_lo
	s_delay_alu instid0(VALU_DEP_1)
	v_cmpx_gt_u32_e64 s7, v7
                                        ; implicit-def: $vgpr3_vgpr4_vgpr5_vgpr6
	s_cbranch_execz .LBB284_10
; %bb.9:
	v_mov_b32_e32 v8, 0
	s_delay_alu instid0(VALU_DEP_1) | instskip(SKIP_1) | instid1(VALU_DEP_1)
	v_lshlrev_b64 v[3:4], 3, v[7:8]
	s_waitcnt vmcnt(0)
	v_add_co_u32 v5, vcc_lo, s12, v3
	s_delay_alu instid0(VALU_DEP_2) | instskip(SKIP_2) | instid1(VALU_DEP_1)
	v_add_co_ci_u32_e32 v6, vcc_lo, s14, v4, vcc_lo
	v_cmp_gt_u32_e32 vcc_lo, s5, v7
	v_subrev_nc_u32_e32 v7, s5, v7
	v_lshlrev_b64 v[3:4], 3, v[7:8]
	s_delay_alu instid0(VALU_DEP_1) | instskip(NEXT) | instid1(VALU_DEP_1)
	v_add_co_u32 v3, s2, s8, v3
	v_add_co_ci_u32_e64 v4, s2, s9, v4, s2
	s_delay_alu instid0(VALU_DEP_1)
	v_dual_cndmask_b32 v3, v3, v5 :: v_dual_cndmask_b32 v4, v4, v6
	global_load_b64 v[5:6], v[3:4], off
.LBB284_10:
	s_or_b32 exec_lo, exec_lo, s3
.LBB284_11:
	s_load_b128 s[12:15], s[0:1], 0x40
	v_lshlrev_b32_e32 v12, 1, v0
	s_mov_b32 s1, exec_lo
	s_waitcnt vmcnt(0)
	ds_store_2addr_stride64_b64 v11, v[1:2], v[5:6] offset1:8
	s_waitcnt lgkmcnt(0)
	s_barrier
	v_min_u32_e32 v9, s7, v12
	buffer_gl0_inv
	v_sub_nc_u32_e64 v13, v9, s16 clamp
	v_min_u32_e32 v10, s5, v9
	s_delay_alu instid0(VALU_DEP_1)
	v_cmpx_lt_u32_e64 v13, v10
	s_cbranch_execz .LBB284_21
; %bb.12:
	v_lshlrev_b32_e32 v3, 3, v9
	v_cmp_gt_i64_e64 s8, s[12:13], 0
	s_mov_b32 s9, 0
	s_delay_alu instid0(VALU_DEP_2)
	v_lshl_add_u32 v14, s5, 3, v3
	s_branch .LBB284_15
.LBB284_13:                             ;   in Loop: Header=BB284_15 Depth=1
	s_or_b32 exec_lo, exec_lo, s16
.LBB284_14:                             ;   in Loop: Header=BB284_15 Depth=1
	s_delay_alu instid0(VALU_DEP_1) | instskip(SKIP_1) | instid1(VALU_DEP_2)
	v_add_nc_u32_e32 v3, 1, v15
	v_cndmask_b32_e64 v10, v10, v15, s17
	v_cndmask_b32_e64 v13, v3, v13, s17
	s_delay_alu instid0(VALU_DEP_1) | instskip(SKIP_1) | instid1(SALU_CYCLE_1)
	v_cmp_ge_u32_e32 vcc_lo, v13, v10
	s_or_b32 s9, vcc_lo, s9
	s_and_not1_b32 exec_lo, exec_lo, s9
	s_cbranch_execz .LBB284_20
.LBB284_15:                             ; =>This Loop Header: Depth=1
                                        ;     Child Loop BB284_18 Depth 2
	v_add_nc_u32_e32 v3, v10, v13
	s_delay_alu instid0(VALU_DEP_3) | instskip(SKIP_1) | instid1(VALU_DEP_1)
	s_and_not1_b32 vcc_lo, exec_lo, s8
	s_mov_b32 s17, 0
	v_lshrrev_b32_e32 v15, 1, v3
	s_cbranch_vccnz .LBB284_14
; %bb.16:                               ;   in Loop: Header=BB284_15 Depth=1
	s_delay_alu instid0(VALU_DEP_1) | instskip(SKIP_3) | instid1(VALU_DEP_2)
	v_not_b32_e32 v3, v15
	v_lshlrev_b32_e32 v4, 3, v15
	s_mov_b32 s16, 0
	s_mov_b64 s[2:3], s[12:13]
                                        ; implicit-def: $sgpr17
                                        ; implicit-def: $sgpr18
                                        ; implicit-def: $sgpr19
                                        ; implicit-def: $sgpr22
                                        ; implicit-def: $sgpr23
	v_lshl_add_u32 v3, v3, 3, v14
	ds_load_b64 v[7:8], v3
	ds_load_b64 v[16:17], v4
	s_waitcnt lgkmcnt(1)
	v_mul_lo_u32 v18, v7, s13
	v_mul_lo_u32 v19, v8, s12
	v_mad_u64_u32 v[3:4], null, v7, s12, s[14:15]
	s_waitcnt lgkmcnt(0)
	v_mul_lo_u32 v20, v16, s13
	v_mul_lo_u32 v17, v17, s12
	v_mad_u64_u32 v[7:8], null, v16, s12, s[14:15]
	s_delay_alu instid0(VALU_DEP_4) | instskip(NEXT) | instid1(VALU_DEP_2)
	v_add3_u32 v4, v19, v4, v18
	v_add3_u32 v8, v17, v8, v20
	s_branch .LBB284_18
.LBB284_17:                             ;   in Loop: Header=BB284_18 Depth=2
	s_or_b32 exec_lo, exec_lo, s0
	s_delay_alu instid0(SALU_CYCLE_1) | instskip(NEXT) | instid1(SALU_CYCLE_1)
	s_and_b32 s0, exec_lo, s18
	s_or_b32 s16, s0, s16
	s_and_not1_b32 s0, s23, exec_lo
	s_and_b32 s23, s19, exec_lo
	s_and_not1_b32 s17, s17, exec_lo
	s_and_b32 s24, s22, exec_lo
	s_or_b32 s23, s0, s23
	s_or_b32 s17, s17, s24
	s_and_not1_b32 exec_lo, exec_lo, s16
	s_cbranch_execz .LBB284_13
.LBB284_18:                             ;   Parent Loop BB284_15 Depth=1
                                        ; =>  This Inner Loop Header: Depth=2
	global_load_u8 v16, v[3:4], off
	global_load_u8 v17, v[7:8], off
	s_and_not1_b32 s22, s22, exec_lo
	s_and_not1_b32 s19, s19, exec_lo
	s_or_b32 s18, s18, exec_lo
	s_waitcnt vmcnt(1)
	v_bfe_i32 v18, v16, 0, 8
	s_waitcnt vmcnt(0)
	v_bfe_i32 v19, v17, 0, 8
	v_and_b32_e32 v16, 0xff, v16
	v_and_b32_e32 v17, 0xff, v17
	s_delay_alu instid0(VALU_DEP_3)
	v_cmp_le_i16_e32 vcc_lo, v18, v19
	v_cmp_lt_i16_e64 s0, v18, v19
	s_and_b32 s24, vcc_lo, s23
	s_delay_alu instid0(VALU_DEP_1) | instid1(SALU_CYCLE_1)
	s_or_b32 s24, s0, s24
	s_delay_alu instid0(SALU_CYCLE_1) | instskip(NEXT) | instid1(SALU_CYCLE_1)
	s_and_b32 s0, s24, exec_lo
	s_or_b32 s22, s22, s0
	s_mov_b32 s0, exec_lo
	v_cmpx_eq_u16_e64 v16, v17
	s_cbranch_execz .LBB284_17
; %bb.19:                               ;   in Loop: Header=BB284_18 Depth=2
	s_add_u32 s2, s2, -1
	s_addc_u32 s3, s3, -1
	v_add_co_u32 v3, vcc_lo, v3, 1
	v_add_co_ci_u32_e32 v4, vcc_lo, 0, v4, vcc_lo
	s_cmp_eq_u64 s[2:3], 0
	v_add_co_u32 v7, vcc_lo, v7, 1
	s_cselect_b32 s23, -1, 0
	v_add_co_ci_u32_e32 v8, vcc_lo, 0, v8, vcc_lo
	s_and_not1_b32 s19, s19, exec_lo
	s_and_b32 s24, s24, exec_lo
	s_and_not1_b32 s18, s18, exec_lo
	s_and_b32 s23, s23, exec_lo
	s_and_not1_b32 s22, s22, exec_lo
	s_or_b32 s19, s19, s24
	s_or_b32 s18, s18, s23
                                        ; implicit-def: $sgpr23
	s_branch .LBB284_17
.LBB284_20:
	s_or_b32 exec_lo, exec_lo, s9
.LBB284_21:
	s_delay_alu instid0(SALU_CYCLE_1) | instskip(SKIP_2) | instid1(VALU_DEP_2)
	s_or_b32 exec_lo, exec_lo, s1
	v_sub_nc_u32_e32 v3, v9, v13
	v_cmp_ge_u32_e32 vcc_lo, s5, v13
	v_add_nc_u32_e32 v14, s5, v3
	s_delay_alu instid0(VALU_DEP_1) | instskip(NEXT) | instid1(VALU_DEP_1)
	v_cmp_ge_u32_e64 s0, s7, v14
	s_or_b32 s0, vcc_lo, s0
	s_delay_alu instid0(SALU_CYCLE_1)
	s_and_saveexec_b32 s1, s0
	s_cbranch_execz .LBB284_45
; %bb.22:
	v_cmp_le_u32_e32 vcc_lo, s5, v13
	s_mov_b32 s2, exec_lo
                                        ; implicit-def: $vgpr3_vgpr4
	v_cmpx_gt_u32_e64 s5, v13
	s_cbranch_execz .LBB284_24
; %bb.23:
	v_lshlrev_b32_e32 v1, 3, v13
	ds_load_b64 v[3:4], v1
.LBB284_24:
	s_or_b32 exec_lo, exec_lo, s2
	v_cmp_le_u32_e64 s8, s7, v14
	s_mov_b32 s2, exec_lo
                                        ; implicit-def: $vgpr7_vgpr8
	v_cmpx_gt_u32_e64 s7, v14
	s_cbranch_execz .LBB284_26
; %bb.25:
	v_lshlrev_b32_e32 v1, 3, v14
	ds_load_b64 v[7:8], v1
.LBB284_26:
	s_or_b32 exec_lo, exec_lo, s2
	v_cmp_gt_i64_e64 s9, s[12:13], 0
	s_or_b32 s2, vcc_lo, s8
	s_mov_b32 s0, -1
	s_xor_b32 s2, s2, -1
	s_delay_alu instid0(SALU_CYCLE_1)
	s_and_saveexec_b32 s16, s2
	s_cbranch_execz .LBB284_34
; %bb.27:
	s_and_not1_b32 vcc_lo, exec_lo, s9
	s_cbranch_vccnz .LBB284_33
; %bb.28:
	s_waitcnt lgkmcnt(0)
	v_mad_u64_u32 v[1:2], null, v7, s12, s[14:15]
	v_mul_lo_u32 v9, v7, s13
	v_mul_lo_u32 v10, v8, s12
	v_mad_u64_u32 v[5:6], null, v3, s12, s[14:15]
	v_mul_lo_u32 v15, v3, s13
	v_mul_lo_u32 v16, v4, s12
	s_mov_b32 s17, 0
	s_mov_b64 s[2:3], s[12:13]
                                        ; implicit-def: $sgpr18
                                        ; implicit-def: $sgpr19
                                        ; implicit-def: $sgpr22
                                        ; implicit-def: $sgpr23
                                        ; implicit-def: $sgpr24
	s_delay_alu instid0(VALU_DEP_4) | instskip(NEXT) | instid1(VALU_DEP_2)
	v_add3_u32 v2, v10, v2, v9
	v_add3_u32 v6, v16, v6, v15
	s_branch .LBB284_30
.LBB284_29:                             ;   in Loop: Header=BB284_30 Depth=1
	s_or_b32 exec_lo, exec_lo, s0
	s_delay_alu instid0(SALU_CYCLE_1) | instskip(NEXT) | instid1(SALU_CYCLE_1)
	s_and_b32 s0, exec_lo, s19
	s_or_b32 s17, s0, s17
	s_and_not1_b32 s0, s24, exec_lo
	s_and_b32 s24, s23, exec_lo
	s_and_not1_b32 s18, s18, exec_lo
	s_and_b32 s25, s22, exec_lo
	s_or_b32 s24, s0, s24
	s_or_b32 s18, s18, s25
	s_and_not1_b32 exec_lo, exec_lo, s17
	s_cbranch_execz .LBB284_32
.LBB284_30:                             ; =>This Inner Loop Header: Depth=1
	global_load_u8 v9, v[1:2], off
	global_load_u8 v10, v[5:6], off
	s_and_not1_b32 s22, s22, exec_lo
	s_and_not1_b32 s23, s23, exec_lo
	s_or_b32 s19, s19, exec_lo
	s_waitcnt vmcnt(1)
	v_bfe_i32 v15, v9, 0, 8
	s_waitcnt vmcnt(0)
	v_bfe_i32 v16, v10, 0, 8
	v_and_b32_e32 v9, 0xff, v9
	v_and_b32_e32 v10, 0xff, v10
	s_delay_alu instid0(VALU_DEP_3)
	v_cmp_le_i16_e32 vcc_lo, v15, v16
	v_cmp_lt_i16_e64 s0, v15, v16
	s_and_b32 s25, vcc_lo, s24
	s_delay_alu instid0(VALU_DEP_1) | instid1(SALU_CYCLE_1)
	s_or_b32 s25, s0, s25
	s_delay_alu instid0(SALU_CYCLE_1) | instskip(NEXT) | instid1(SALU_CYCLE_1)
	s_and_b32 s0, s25, exec_lo
	s_or_b32 s22, s22, s0
	s_mov_b32 s0, exec_lo
	v_cmpx_eq_u16_e64 v9, v10
	s_cbranch_execz .LBB284_29
; %bb.31:                               ;   in Loop: Header=BB284_30 Depth=1
	s_add_u32 s2, s2, -1
	s_addc_u32 s3, s3, -1
	v_add_co_u32 v1, vcc_lo, v1, 1
	s_cmp_eq_u64 s[2:3], 0
	v_add_co_ci_u32_e32 v2, vcc_lo, 0, v2, vcc_lo
	v_add_co_u32 v5, vcc_lo, v5, 1
	s_cselect_b32 s24, -1, 0
	v_add_co_ci_u32_e32 v6, vcc_lo, 0, v6, vcc_lo
	s_and_not1_b32 s23, s23, exec_lo
	s_and_b32 s25, s25, exec_lo
	s_and_not1_b32 s19, s19, exec_lo
	s_and_b32 s24, s24, exec_lo
	s_or_b32 s23, s23, s25
	s_and_not1_b32 s22, s22, exec_lo
	s_or_b32 s19, s19, s24
                                        ; implicit-def: $sgpr24
	s_branch .LBB284_29
.LBB284_32:
	s_or_b32 exec_lo, exec_lo, s17
	s_xor_b32 s0, s18, -1
.LBB284_33:
	s_and_not1_b32 s2, s8, exec_lo
	s_and_b32 s0, s0, exec_lo
	s_delay_alu instid0(SALU_CYCLE_1)
	s_or_b32 s8, s2, s0
.LBB284_34:
	s_or_b32 exec_lo, exec_lo, s16
	v_mov_b32_e32 v1, s5
	v_cndmask_b32_e64 v2, v14, v13, s8
	s_mov_b32 s2, exec_lo
	s_delay_alu instid0(VALU_DEP_2) | instskip(NEXT) | instid1(VALU_DEP_2)
	v_cndmask_b32_e64 v1, s7, v1, s8
	v_add_nc_u32_e32 v15, 1, v2
	s_waitcnt lgkmcnt(0)
	v_cndmask_b32_e64 v2, v8, v4, s8
	s_delay_alu instid0(VALU_DEP_3) | instskip(NEXT) | instid1(VALU_DEP_3)
	v_add_nc_u32_e32 v1, -1, v1
	v_cndmask_b32_e64 v14, v15, v14, s8
	s_delay_alu instid0(VALU_DEP_2) | instskip(NEXT) | instid1(VALU_DEP_1)
	v_min_u32_e32 v1, v15, v1
	v_lshlrev_b32_e32 v1, 3, v1
	ds_load_b64 v[9:10], v1
	v_cndmask_b32_e64 v1, v7, v3, s8
	s_waitcnt lgkmcnt(0)
	v_cndmask_b32_e64 v6, v4, v10, s8
	v_cndmask_b32_e64 v5, v3, v9, s8
	v_cmpx_gt_u32_e64 s7, v14
	s_cbranch_execz .LBB284_44
; %bb.35:
	v_cndmask_b32_e64 v13, v13, v15, s8
	v_cndmask_b32_e64 v4, v10, v8, s8
	;; [unrolled: 1-line block ×3, first 2 shown]
	s_mov_b32 s3, exec_lo
	s_delay_alu instid0(VALU_DEP_3)
	v_cmpx_gt_u32_e64 s5, v13
	s_cbranch_execz .LBB284_43
; %bb.36:
	s_and_not1_b32 vcc_lo, exec_lo, s9
	s_cbranch_vccnz .LBB284_42
; %bb.37:
	v_mad_u64_u32 v[7:8], null, v3, s12, s[14:15]
	v_mul_lo_u32 v13, v3, s13
	v_mul_lo_u32 v14, v4, s12
	v_mad_u64_u32 v[9:10], null, v5, s12, s[14:15]
	v_mul_lo_u32 v15, v5, s13
	v_mul_lo_u32 v16, v6, s12
	s_mov_b32 s5, 0
                                        ; implicit-def: $sgpr7
                                        ; implicit-def: $sgpr8
                                        ; implicit-def: $sgpr9
                                        ; implicit-def: $sgpr14
                                        ; implicit-def: $sgpr15
	s_delay_alu instid0(VALU_DEP_4) | instskip(NEXT) | instid1(VALU_DEP_2)
	v_add3_u32 v8, v14, v8, v13
	v_add3_u32 v10, v16, v10, v15
	s_branch .LBB284_39
.LBB284_38:                             ;   in Loop: Header=BB284_39 Depth=1
	s_or_b32 exec_lo, exec_lo, s0
	s_delay_alu instid0(SALU_CYCLE_1) | instskip(NEXT) | instid1(SALU_CYCLE_1)
	s_and_b32 s0, exec_lo, s8
	s_or_b32 s5, s0, s5
	s_and_not1_b32 s0, s15, exec_lo
	s_and_b32 s15, s14, exec_lo
	s_and_not1_b32 s7, s7, exec_lo
	s_and_b32 s16, s9, exec_lo
	s_or_b32 s15, s0, s15
	s_or_b32 s7, s7, s16
	s_and_not1_b32 exec_lo, exec_lo, s5
	s_cbranch_execz .LBB284_41
.LBB284_39:                             ; =>This Inner Loop Header: Depth=1
	global_load_u8 v13, v[7:8], off
	global_load_u8 v14, v[9:10], off
	s_and_not1_b32 s9, s9, exec_lo
	s_and_not1_b32 s14, s14, exec_lo
	s_or_b32 s8, s8, exec_lo
	s_waitcnt vmcnt(1)
	v_bfe_i32 v15, v13, 0, 8
	s_waitcnt vmcnt(0)
	v_bfe_i32 v16, v14, 0, 8
	v_and_b32_e32 v13, 0xff, v13
	v_and_b32_e32 v14, 0xff, v14
	s_delay_alu instid0(VALU_DEP_3)
	v_cmp_le_i16_e32 vcc_lo, v15, v16
	v_cmp_lt_i16_e64 s0, v15, v16
	s_and_b32 s16, vcc_lo, s15
	s_delay_alu instid0(VALU_DEP_1) | instid1(SALU_CYCLE_1)
	s_or_b32 s16, s0, s16
	s_delay_alu instid0(SALU_CYCLE_1) | instskip(NEXT) | instid1(SALU_CYCLE_1)
	s_and_b32 s0, s16, exec_lo
	s_or_b32 s9, s9, s0
	s_mov_b32 s0, exec_lo
	v_cmpx_eq_u16_e64 v13, v14
	s_cbranch_execz .LBB284_38
; %bb.40:                               ;   in Loop: Header=BB284_39 Depth=1
	s_add_u32 s12, s12, -1
	s_addc_u32 s13, s13, -1
	v_add_co_u32 v7, vcc_lo, v7, 1
	s_cmp_eq_u64 s[12:13], 0
	v_add_co_ci_u32_e32 v8, vcc_lo, 0, v8, vcc_lo
	v_add_co_u32 v9, vcc_lo, v9, 1
	s_cselect_b32 s15, -1, 0
	v_add_co_ci_u32_e32 v10, vcc_lo, 0, v10, vcc_lo
	s_and_not1_b32 s14, s14, exec_lo
	s_and_b32 s16, s16, exec_lo
	s_and_not1_b32 s8, s8, exec_lo
	s_and_b32 s15, s15, exec_lo
	s_or_b32 s14, s14, s16
	s_and_not1_b32 s9, s9, exec_lo
	s_or_b32 s8, s8, s15
                                        ; implicit-def: $sgpr15
	s_branch .LBB284_38
.LBB284_41:
	s_or_b32 exec_lo, exec_lo, s5
	v_cndmask_b32_e64 v6, v6, v4, s7
	v_cndmask_b32_e64 v5, v5, v3, s7
.LBB284_42:
	s_delay_alu instid0(VALU_DEP_1)
	v_dual_mov_b32 v3, v5 :: v_dual_mov_b32 v4, v6
.LBB284_43:
	s_or_b32 exec_lo, exec_lo, s3
	s_delay_alu instid0(VALU_DEP_1)
	v_dual_mov_b32 v6, v4 :: v_dual_mov_b32 v5, v3
.LBB284_44:
	s_or_b32 exec_lo, exec_lo, s2
.LBB284_45:
	s_delay_alu instid0(SALU_CYCLE_1) | instskip(SKIP_4) | instid1(VALU_DEP_3)
	s_or_b32 exec_lo, exec_lo, s1
	v_lshrrev_b32_e32 v3, 1, v0
	v_or_b32_e32 v7, 0x200, v0
	v_lshrrev_b32_e32 v4, 2, v0
	s_lshl_b64 s[0:1], s[20:21], 3
	v_and_b32_e32 v3, 0xf8, v3
	s_delay_alu instid0(VALU_DEP_3) | instskip(NEXT) | instid1(VALU_DEP_3)
	v_lshrrev_b32_e32 v8, 2, v7
	v_and_b32_e32 v4, 0x78, v4
	s_add_u32 s0, s10, s0
	s_barrier
	v_lshl_add_u32 v3, v12, 3, v3
	v_and_b32_e32 v8, 0xf8, v8
	buffer_gl0_inv
	s_barrier
	buffer_gl0_inv
	s_addc_u32 s1, s11, s1
	ds_store_2addr_b64 v3, v[1:2], v[5:6] offset1:1
	v_add_co_u32 v1, s0, s0, v11
	v_add_nc_u32_e32 v5, v11, v4
	v_add_nc_u32_e32 v6, v11, v8
	v_add_co_ci_u32_e64 v2, null, s1, 0, s0
	s_and_b32 vcc_lo, exec_lo, s6
	s_mov_b32 s0, 0
	s_waitcnt lgkmcnt(0)
	s_cbranch_vccz .LBB284_47
; %bb.46:
	s_barrier
	buffer_gl0_inv
	ds_load_b64 v[8:9], v5
	ds_load_b64 v[3:4], v6 offset:4096
	s_mov_b32 s0, -1
	s_waitcnt lgkmcnt(1)
	global_store_b64 v[1:2], v[8:9], off
	s_cbranch_execz .LBB284_48
	s_branch .LBB284_51
.LBB284_47:
                                        ; implicit-def: $vgpr3_vgpr4
.LBB284_48:
	s_waitcnt lgkmcnt(0)
	s_waitcnt_vscnt null, 0x0
	s_barrier
	buffer_gl0_inv
	ds_load_b64 v[3:4], v6 offset:4096
	s_sub_i32 s0, s4, s20
	s_mov_b32 s1, exec_lo
	v_cmpx_gt_u32_e64 s0, v0
	s_cbranch_execz .LBB284_50
; %bb.49:
	ds_load_b64 v[5:6], v5
	s_waitcnt lgkmcnt(0)
	global_store_b64 v[1:2], v[5:6], off
.LBB284_50:
	s_or_b32 exec_lo, exec_lo, s1
	v_cmp_gt_u32_e64 s0, s0, v7
.LBB284_51:
	s_delay_alu instid0(VALU_DEP_1)
	s_and_saveexec_b32 s1, s0
	s_cbranch_execz .LBB284_53
; %bb.52:
	v_add_co_u32 v0, vcc_lo, 0x1000, v1
	v_add_co_ci_u32_e32 v1, vcc_lo, 0, v2, vcc_lo
	s_waitcnt lgkmcnt(0)
	global_store_b64 v[0:1], v[3:4], off
.LBB284_53:
	s_nop 0
	s_sendmsg sendmsg(MSG_DEALLOC_VGPRS)
	s_endpgm
	.section	.rodata,"a",@progbits
	.p2align	6, 0x0
	.amdhsa_kernel _ZN7rocprim17ROCPRIM_400000_NS6detail17trampoline_kernelINS0_14default_configENS1_38merge_sort_block_merge_config_selectorIlNS0_10empty_typeEEEZZNS1_27merge_sort_block_merge_implIS3_PlPS5_mZN2at6native12_GLOBAL__N_124unique_dim_cuda_templateIaEESt5tupleIJNSA_6TensorESF_SF_EERKSF_lbbbEUlllE_EE10hipError_tT0_T1_T2_jT3_P12ihipStream_tbPNSt15iterator_traitsISL_E10value_typeEPNSR_ISM_E10value_typeEPSN_NS1_7vsmem_tEENKUlT_SL_SM_SN_E_clIS8_S8_S9_S9_EESK_S10_SL_SM_SN_EUlS10_E0_NS1_11comp_targetILNS1_3genE9ELNS1_11target_archE1100ELNS1_3gpuE3ELNS1_3repE0EEENS1_38merge_mergepath_config_static_selectorELNS0_4arch9wavefront6targetE0EEEvSM_
		.amdhsa_group_segment_fixed_size 8448
		.amdhsa_private_segment_fixed_size 0
		.amdhsa_kernarg_size 344
		.amdhsa_user_sgpr_count 13
		.amdhsa_user_sgpr_dispatch_ptr 0
		.amdhsa_user_sgpr_queue_ptr 0
		.amdhsa_user_sgpr_kernarg_segment_ptr 1
		.amdhsa_user_sgpr_dispatch_id 0
		.amdhsa_user_sgpr_private_segment_size 0
		.amdhsa_wavefront_size32 1
		.amdhsa_uses_dynamic_stack 0
		.amdhsa_enable_private_segment 0
		.amdhsa_system_sgpr_workgroup_id_x 1
		.amdhsa_system_sgpr_workgroup_id_y 1
		.amdhsa_system_sgpr_workgroup_id_z 1
		.amdhsa_system_sgpr_workgroup_info 0
		.amdhsa_system_vgpr_workitem_id 0
		.amdhsa_next_free_vgpr 21
		.amdhsa_next_free_sgpr 34
		.amdhsa_reserve_vcc 1
		.amdhsa_float_round_mode_32 0
		.amdhsa_float_round_mode_16_64 0
		.amdhsa_float_denorm_mode_32 3
		.amdhsa_float_denorm_mode_16_64 3
		.amdhsa_dx10_clamp 1
		.amdhsa_ieee_mode 1
		.amdhsa_fp16_overflow 0
		.amdhsa_workgroup_processor_mode 1
		.amdhsa_memory_ordered 1
		.amdhsa_forward_progress 0
		.amdhsa_shared_vgpr_count 0
		.amdhsa_exception_fp_ieee_invalid_op 0
		.amdhsa_exception_fp_denorm_src 0
		.amdhsa_exception_fp_ieee_div_zero 0
		.amdhsa_exception_fp_ieee_overflow 0
		.amdhsa_exception_fp_ieee_underflow 0
		.amdhsa_exception_fp_ieee_inexact 0
		.amdhsa_exception_int_div_zero 0
	.end_amdhsa_kernel
	.section	.text._ZN7rocprim17ROCPRIM_400000_NS6detail17trampoline_kernelINS0_14default_configENS1_38merge_sort_block_merge_config_selectorIlNS0_10empty_typeEEEZZNS1_27merge_sort_block_merge_implIS3_PlPS5_mZN2at6native12_GLOBAL__N_124unique_dim_cuda_templateIaEESt5tupleIJNSA_6TensorESF_SF_EERKSF_lbbbEUlllE_EE10hipError_tT0_T1_T2_jT3_P12ihipStream_tbPNSt15iterator_traitsISL_E10value_typeEPNSR_ISM_E10value_typeEPSN_NS1_7vsmem_tEENKUlT_SL_SM_SN_E_clIS8_S8_S9_S9_EESK_S10_SL_SM_SN_EUlS10_E0_NS1_11comp_targetILNS1_3genE9ELNS1_11target_archE1100ELNS1_3gpuE3ELNS1_3repE0EEENS1_38merge_mergepath_config_static_selectorELNS0_4arch9wavefront6targetE0EEEvSM_,"axG",@progbits,_ZN7rocprim17ROCPRIM_400000_NS6detail17trampoline_kernelINS0_14default_configENS1_38merge_sort_block_merge_config_selectorIlNS0_10empty_typeEEEZZNS1_27merge_sort_block_merge_implIS3_PlPS5_mZN2at6native12_GLOBAL__N_124unique_dim_cuda_templateIaEESt5tupleIJNSA_6TensorESF_SF_EERKSF_lbbbEUlllE_EE10hipError_tT0_T1_T2_jT3_P12ihipStream_tbPNSt15iterator_traitsISL_E10value_typeEPNSR_ISM_E10value_typeEPSN_NS1_7vsmem_tEENKUlT_SL_SM_SN_E_clIS8_S8_S9_S9_EESK_S10_SL_SM_SN_EUlS10_E0_NS1_11comp_targetILNS1_3genE9ELNS1_11target_archE1100ELNS1_3gpuE3ELNS1_3repE0EEENS1_38merge_mergepath_config_static_selectorELNS0_4arch9wavefront6targetE0EEEvSM_,comdat
.Lfunc_end284:
	.size	_ZN7rocprim17ROCPRIM_400000_NS6detail17trampoline_kernelINS0_14default_configENS1_38merge_sort_block_merge_config_selectorIlNS0_10empty_typeEEEZZNS1_27merge_sort_block_merge_implIS3_PlPS5_mZN2at6native12_GLOBAL__N_124unique_dim_cuda_templateIaEESt5tupleIJNSA_6TensorESF_SF_EERKSF_lbbbEUlllE_EE10hipError_tT0_T1_T2_jT3_P12ihipStream_tbPNSt15iterator_traitsISL_E10value_typeEPNSR_ISM_E10value_typeEPSN_NS1_7vsmem_tEENKUlT_SL_SM_SN_E_clIS8_S8_S9_S9_EESK_S10_SL_SM_SN_EUlS10_E0_NS1_11comp_targetILNS1_3genE9ELNS1_11target_archE1100ELNS1_3gpuE3ELNS1_3repE0EEENS1_38merge_mergepath_config_static_selectorELNS0_4arch9wavefront6targetE0EEEvSM_, .Lfunc_end284-_ZN7rocprim17ROCPRIM_400000_NS6detail17trampoline_kernelINS0_14default_configENS1_38merge_sort_block_merge_config_selectorIlNS0_10empty_typeEEEZZNS1_27merge_sort_block_merge_implIS3_PlPS5_mZN2at6native12_GLOBAL__N_124unique_dim_cuda_templateIaEESt5tupleIJNSA_6TensorESF_SF_EERKSF_lbbbEUlllE_EE10hipError_tT0_T1_T2_jT3_P12ihipStream_tbPNSt15iterator_traitsISL_E10value_typeEPNSR_ISM_E10value_typeEPSN_NS1_7vsmem_tEENKUlT_SL_SM_SN_E_clIS8_S8_S9_S9_EESK_S10_SL_SM_SN_EUlS10_E0_NS1_11comp_targetILNS1_3genE9ELNS1_11target_archE1100ELNS1_3gpuE3ELNS1_3repE0EEENS1_38merge_mergepath_config_static_selectorELNS0_4arch9wavefront6targetE0EEEvSM_
                                        ; -- End function
	.section	.AMDGPU.csdata,"",@progbits
; Kernel info:
; codeLenInByte = 2848
; NumSgprs: 36
; NumVgprs: 21
; ScratchSize: 0
; MemoryBound: 0
; FloatMode: 240
; IeeeMode: 1
; LDSByteSize: 8448 bytes/workgroup (compile time only)
; SGPRBlocks: 4
; VGPRBlocks: 2
; NumSGPRsForWavesPerEU: 36
; NumVGPRsForWavesPerEU: 21
; Occupancy: 16
; WaveLimiterHint : 1
; COMPUTE_PGM_RSRC2:SCRATCH_EN: 0
; COMPUTE_PGM_RSRC2:USER_SGPR: 13
; COMPUTE_PGM_RSRC2:TRAP_HANDLER: 0
; COMPUTE_PGM_RSRC2:TGID_X_EN: 1
; COMPUTE_PGM_RSRC2:TGID_Y_EN: 1
; COMPUTE_PGM_RSRC2:TGID_Z_EN: 1
; COMPUTE_PGM_RSRC2:TIDIG_COMP_CNT: 0
	.section	.text._ZN7rocprim17ROCPRIM_400000_NS6detail17trampoline_kernelINS0_14default_configENS1_38merge_sort_block_merge_config_selectorIlNS0_10empty_typeEEEZZNS1_27merge_sort_block_merge_implIS3_PlPS5_mZN2at6native12_GLOBAL__N_124unique_dim_cuda_templateIaEESt5tupleIJNSA_6TensorESF_SF_EERKSF_lbbbEUlllE_EE10hipError_tT0_T1_T2_jT3_P12ihipStream_tbPNSt15iterator_traitsISL_E10value_typeEPNSR_ISM_E10value_typeEPSN_NS1_7vsmem_tEENKUlT_SL_SM_SN_E_clIS8_S8_S9_S9_EESK_S10_SL_SM_SN_EUlS10_E0_NS1_11comp_targetILNS1_3genE8ELNS1_11target_archE1030ELNS1_3gpuE2ELNS1_3repE0EEENS1_38merge_mergepath_config_static_selectorELNS0_4arch9wavefront6targetE0EEEvSM_,"axG",@progbits,_ZN7rocprim17ROCPRIM_400000_NS6detail17trampoline_kernelINS0_14default_configENS1_38merge_sort_block_merge_config_selectorIlNS0_10empty_typeEEEZZNS1_27merge_sort_block_merge_implIS3_PlPS5_mZN2at6native12_GLOBAL__N_124unique_dim_cuda_templateIaEESt5tupleIJNSA_6TensorESF_SF_EERKSF_lbbbEUlllE_EE10hipError_tT0_T1_T2_jT3_P12ihipStream_tbPNSt15iterator_traitsISL_E10value_typeEPNSR_ISM_E10value_typeEPSN_NS1_7vsmem_tEENKUlT_SL_SM_SN_E_clIS8_S8_S9_S9_EESK_S10_SL_SM_SN_EUlS10_E0_NS1_11comp_targetILNS1_3genE8ELNS1_11target_archE1030ELNS1_3gpuE2ELNS1_3repE0EEENS1_38merge_mergepath_config_static_selectorELNS0_4arch9wavefront6targetE0EEEvSM_,comdat
	.globl	_ZN7rocprim17ROCPRIM_400000_NS6detail17trampoline_kernelINS0_14default_configENS1_38merge_sort_block_merge_config_selectorIlNS0_10empty_typeEEEZZNS1_27merge_sort_block_merge_implIS3_PlPS5_mZN2at6native12_GLOBAL__N_124unique_dim_cuda_templateIaEESt5tupleIJNSA_6TensorESF_SF_EERKSF_lbbbEUlllE_EE10hipError_tT0_T1_T2_jT3_P12ihipStream_tbPNSt15iterator_traitsISL_E10value_typeEPNSR_ISM_E10value_typeEPSN_NS1_7vsmem_tEENKUlT_SL_SM_SN_E_clIS8_S8_S9_S9_EESK_S10_SL_SM_SN_EUlS10_E0_NS1_11comp_targetILNS1_3genE8ELNS1_11target_archE1030ELNS1_3gpuE2ELNS1_3repE0EEENS1_38merge_mergepath_config_static_selectorELNS0_4arch9wavefront6targetE0EEEvSM_ ; -- Begin function _ZN7rocprim17ROCPRIM_400000_NS6detail17trampoline_kernelINS0_14default_configENS1_38merge_sort_block_merge_config_selectorIlNS0_10empty_typeEEEZZNS1_27merge_sort_block_merge_implIS3_PlPS5_mZN2at6native12_GLOBAL__N_124unique_dim_cuda_templateIaEESt5tupleIJNSA_6TensorESF_SF_EERKSF_lbbbEUlllE_EE10hipError_tT0_T1_T2_jT3_P12ihipStream_tbPNSt15iterator_traitsISL_E10value_typeEPNSR_ISM_E10value_typeEPSN_NS1_7vsmem_tEENKUlT_SL_SM_SN_E_clIS8_S8_S9_S9_EESK_S10_SL_SM_SN_EUlS10_E0_NS1_11comp_targetILNS1_3genE8ELNS1_11target_archE1030ELNS1_3gpuE2ELNS1_3repE0EEENS1_38merge_mergepath_config_static_selectorELNS0_4arch9wavefront6targetE0EEEvSM_
	.p2align	8
	.type	_ZN7rocprim17ROCPRIM_400000_NS6detail17trampoline_kernelINS0_14default_configENS1_38merge_sort_block_merge_config_selectorIlNS0_10empty_typeEEEZZNS1_27merge_sort_block_merge_implIS3_PlPS5_mZN2at6native12_GLOBAL__N_124unique_dim_cuda_templateIaEESt5tupleIJNSA_6TensorESF_SF_EERKSF_lbbbEUlllE_EE10hipError_tT0_T1_T2_jT3_P12ihipStream_tbPNSt15iterator_traitsISL_E10value_typeEPNSR_ISM_E10value_typeEPSN_NS1_7vsmem_tEENKUlT_SL_SM_SN_E_clIS8_S8_S9_S9_EESK_S10_SL_SM_SN_EUlS10_E0_NS1_11comp_targetILNS1_3genE8ELNS1_11target_archE1030ELNS1_3gpuE2ELNS1_3repE0EEENS1_38merge_mergepath_config_static_selectorELNS0_4arch9wavefront6targetE0EEEvSM_,@function
_ZN7rocprim17ROCPRIM_400000_NS6detail17trampoline_kernelINS0_14default_configENS1_38merge_sort_block_merge_config_selectorIlNS0_10empty_typeEEEZZNS1_27merge_sort_block_merge_implIS3_PlPS5_mZN2at6native12_GLOBAL__N_124unique_dim_cuda_templateIaEESt5tupleIJNSA_6TensorESF_SF_EERKSF_lbbbEUlllE_EE10hipError_tT0_T1_T2_jT3_P12ihipStream_tbPNSt15iterator_traitsISL_E10value_typeEPNSR_ISM_E10value_typeEPSN_NS1_7vsmem_tEENKUlT_SL_SM_SN_E_clIS8_S8_S9_S9_EESK_S10_SL_SM_SN_EUlS10_E0_NS1_11comp_targetILNS1_3genE8ELNS1_11target_archE1030ELNS1_3gpuE2ELNS1_3repE0EEENS1_38merge_mergepath_config_static_selectorELNS0_4arch9wavefront6targetE0EEEvSM_: ; @_ZN7rocprim17ROCPRIM_400000_NS6detail17trampoline_kernelINS0_14default_configENS1_38merge_sort_block_merge_config_selectorIlNS0_10empty_typeEEEZZNS1_27merge_sort_block_merge_implIS3_PlPS5_mZN2at6native12_GLOBAL__N_124unique_dim_cuda_templateIaEESt5tupleIJNSA_6TensorESF_SF_EERKSF_lbbbEUlllE_EE10hipError_tT0_T1_T2_jT3_P12ihipStream_tbPNSt15iterator_traitsISL_E10value_typeEPNSR_ISM_E10value_typeEPSN_NS1_7vsmem_tEENKUlT_SL_SM_SN_E_clIS8_S8_S9_S9_EESK_S10_SL_SM_SN_EUlS10_E0_NS1_11comp_targetILNS1_3genE8ELNS1_11target_archE1030ELNS1_3gpuE2ELNS1_3repE0EEENS1_38merge_mergepath_config_static_selectorELNS0_4arch9wavefront6targetE0EEEvSM_
; %bb.0:
	.section	.rodata,"a",@progbits
	.p2align	6, 0x0
	.amdhsa_kernel _ZN7rocprim17ROCPRIM_400000_NS6detail17trampoline_kernelINS0_14default_configENS1_38merge_sort_block_merge_config_selectorIlNS0_10empty_typeEEEZZNS1_27merge_sort_block_merge_implIS3_PlPS5_mZN2at6native12_GLOBAL__N_124unique_dim_cuda_templateIaEESt5tupleIJNSA_6TensorESF_SF_EERKSF_lbbbEUlllE_EE10hipError_tT0_T1_T2_jT3_P12ihipStream_tbPNSt15iterator_traitsISL_E10value_typeEPNSR_ISM_E10value_typeEPSN_NS1_7vsmem_tEENKUlT_SL_SM_SN_E_clIS8_S8_S9_S9_EESK_S10_SL_SM_SN_EUlS10_E0_NS1_11comp_targetILNS1_3genE8ELNS1_11target_archE1030ELNS1_3gpuE2ELNS1_3repE0EEENS1_38merge_mergepath_config_static_selectorELNS0_4arch9wavefront6targetE0EEEvSM_
		.amdhsa_group_segment_fixed_size 0
		.amdhsa_private_segment_fixed_size 0
		.amdhsa_kernarg_size 88
		.amdhsa_user_sgpr_count 15
		.amdhsa_user_sgpr_dispatch_ptr 0
		.amdhsa_user_sgpr_queue_ptr 0
		.amdhsa_user_sgpr_kernarg_segment_ptr 1
		.amdhsa_user_sgpr_dispatch_id 0
		.amdhsa_user_sgpr_private_segment_size 0
		.amdhsa_wavefront_size32 1
		.amdhsa_uses_dynamic_stack 0
		.amdhsa_enable_private_segment 0
		.amdhsa_system_sgpr_workgroup_id_x 1
		.amdhsa_system_sgpr_workgroup_id_y 0
		.amdhsa_system_sgpr_workgroup_id_z 0
		.amdhsa_system_sgpr_workgroup_info 0
		.amdhsa_system_vgpr_workitem_id 0
		.amdhsa_next_free_vgpr 1
		.amdhsa_next_free_sgpr 1
		.amdhsa_reserve_vcc 0
		.amdhsa_float_round_mode_32 0
		.amdhsa_float_round_mode_16_64 0
		.amdhsa_float_denorm_mode_32 3
		.amdhsa_float_denorm_mode_16_64 3
		.amdhsa_dx10_clamp 1
		.amdhsa_ieee_mode 1
		.amdhsa_fp16_overflow 0
		.amdhsa_workgroup_processor_mode 1
		.amdhsa_memory_ordered 1
		.amdhsa_forward_progress 0
		.amdhsa_shared_vgpr_count 0
		.amdhsa_exception_fp_ieee_invalid_op 0
		.amdhsa_exception_fp_denorm_src 0
		.amdhsa_exception_fp_ieee_div_zero 0
		.amdhsa_exception_fp_ieee_overflow 0
		.amdhsa_exception_fp_ieee_underflow 0
		.amdhsa_exception_fp_ieee_inexact 0
		.amdhsa_exception_int_div_zero 0
	.end_amdhsa_kernel
	.section	.text._ZN7rocprim17ROCPRIM_400000_NS6detail17trampoline_kernelINS0_14default_configENS1_38merge_sort_block_merge_config_selectorIlNS0_10empty_typeEEEZZNS1_27merge_sort_block_merge_implIS3_PlPS5_mZN2at6native12_GLOBAL__N_124unique_dim_cuda_templateIaEESt5tupleIJNSA_6TensorESF_SF_EERKSF_lbbbEUlllE_EE10hipError_tT0_T1_T2_jT3_P12ihipStream_tbPNSt15iterator_traitsISL_E10value_typeEPNSR_ISM_E10value_typeEPSN_NS1_7vsmem_tEENKUlT_SL_SM_SN_E_clIS8_S8_S9_S9_EESK_S10_SL_SM_SN_EUlS10_E0_NS1_11comp_targetILNS1_3genE8ELNS1_11target_archE1030ELNS1_3gpuE2ELNS1_3repE0EEENS1_38merge_mergepath_config_static_selectorELNS0_4arch9wavefront6targetE0EEEvSM_,"axG",@progbits,_ZN7rocprim17ROCPRIM_400000_NS6detail17trampoline_kernelINS0_14default_configENS1_38merge_sort_block_merge_config_selectorIlNS0_10empty_typeEEEZZNS1_27merge_sort_block_merge_implIS3_PlPS5_mZN2at6native12_GLOBAL__N_124unique_dim_cuda_templateIaEESt5tupleIJNSA_6TensorESF_SF_EERKSF_lbbbEUlllE_EE10hipError_tT0_T1_T2_jT3_P12ihipStream_tbPNSt15iterator_traitsISL_E10value_typeEPNSR_ISM_E10value_typeEPSN_NS1_7vsmem_tEENKUlT_SL_SM_SN_E_clIS8_S8_S9_S9_EESK_S10_SL_SM_SN_EUlS10_E0_NS1_11comp_targetILNS1_3genE8ELNS1_11target_archE1030ELNS1_3gpuE2ELNS1_3repE0EEENS1_38merge_mergepath_config_static_selectorELNS0_4arch9wavefront6targetE0EEEvSM_,comdat
.Lfunc_end285:
	.size	_ZN7rocprim17ROCPRIM_400000_NS6detail17trampoline_kernelINS0_14default_configENS1_38merge_sort_block_merge_config_selectorIlNS0_10empty_typeEEEZZNS1_27merge_sort_block_merge_implIS3_PlPS5_mZN2at6native12_GLOBAL__N_124unique_dim_cuda_templateIaEESt5tupleIJNSA_6TensorESF_SF_EERKSF_lbbbEUlllE_EE10hipError_tT0_T1_T2_jT3_P12ihipStream_tbPNSt15iterator_traitsISL_E10value_typeEPNSR_ISM_E10value_typeEPSN_NS1_7vsmem_tEENKUlT_SL_SM_SN_E_clIS8_S8_S9_S9_EESK_S10_SL_SM_SN_EUlS10_E0_NS1_11comp_targetILNS1_3genE8ELNS1_11target_archE1030ELNS1_3gpuE2ELNS1_3repE0EEENS1_38merge_mergepath_config_static_selectorELNS0_4arch9wavefront6targetE0EEEvSM_, .Lfunc_end285-_ZN7rocprim17ROCPRIM_400000_NS6detail17trampoline_kernelINS0_14default_configENS1_38merge_sort_block_merge_config_selectorIlNS0_10empty_typeEEEZZNS1_27merge_sort_block_merge_implIS3_PlPS5_mZN2at6native12_GLOBAL__N_124unique_dim_cuda_templateIaEESt5tupleIJNSA_6TensorESF_SF_EERKSF_lbbbEUlllE_EE10hipError_tT0_T1_T2_jT3_P12ihipStream_tbPNSt15iterator_traitsISL_E10value_typeEPNSR_ISM_E10value_typeEPSN_NS1_7vsmem_tEENKUlT_SL_SM_SN_E_clIS8_S8_S9_S9_EESK_S10_SL_SM_SN_EUlS10_E0_NS1_11comp_targetILNS1_3genE8ELNS1_11target_archE1030ELNS1_3gpuE2ELNS1_3repE0EEENS1_38merge_mergepath_config_static_selectorELNS0_4arch9wavefront6targetE0EEEvSM_
                                        ; -- End function
	.section	.AMDGPU.csdata,"",@progbits
; Kernel info:
; codeLenInByte = 0
; NumSgprs: 0
; NumVgprs: 0
; ScratchSize: 0
; MemoryBound: 0
; FloatMode: 240
; IeeeMode: 1
; LDSByteSize: 0 bytes/workgroup (compile time only)
; SGPRBlocks: 0
; VGPRBlocks: 0
; NumSGPRsForWavesPerEU: 1
; NumVGPRsForWavesPerEU: 1
; Occupancy: 16
; WaveLimiterHint : 0
; COMPUTE_PGM_RSRC2:SCRATCH_EN: 0
; COMPUTE_PGM_RSRC2:USER_SGPR: 15
; COMPUTE_PGM_RSRC2:TRAP_HANDLER: 0
; COMPUTE_PGM_RSRC2:TGID_X_EN: 1
; COMPUTE_PGM_RSRC2:TGID_Y_EN: 0
; COMPUTE_PGM_RSRC2:TGID_Z_EN: 0
; COMPUTE_PGM_RSRC2:TIDIG_COMP_CNT: 0
	.section	.text._ZN7rocprim17ROCPRIM_400000_NS6detail17trampoline_kernelINS0_14default_configENS1_38merge_sort_block_merge_config_selectorIlNS0_10empty_typeEEEZZNS1_27merge_sort_block_merge_implIS3_PlPS5_mZN2at6native12_GLOBAL__N_124unique_dim_cuda_templateIaEESt5tupleIJNSA_6TensorESF_SF_EERKSF_lbbbEUlllE_EE10hipError_tT0_T1_T2_jT3_P12ihipStream_tbPNSt15iterator_traitsISL_E10value_typeEPNSR_ISM_E10value_typeEPSN_NS1_7vsmem_tEENKUlT_SL_SM_SN_E_clIS8_S8_S9_S9_EESK_S10_SL_SM_SN_EUlS10_E1_NS1_11comp_targetILNS1_3genE0ELNS1_11target_archE4294967295ELNS1_3gpuE0ELNS1_3repE0EEENS1_36merge_oddeven_config_static_selectorELNS0_4arch9wavefront6targetE0EEEvSM_,"axG",@progbits,_ZN7rocprim17ROCPRIM_400000_NS6detail17trampoline_kernelINS0_14default_configENS1_38merge_sort_block_merge_config_selectorIlNS0_10empty_typeEEEZZNS1_27merge_sort_block_merge_implIS3_PlPS5_mZN2at6native12_GLOBAL__N_124unique_dim_cuda_templateIaEESt5tupleIJNSA_6TensorESF_SF_EERKSF_lbbbEUlllE_EE10hipError_tT0_T1_T2_jT3_P12ihipStream_tbPNSt15iterator_traitsISL_E10value_typeEPNSR_ISM_E10value_typeEPSN_NS1_7vsmem_tEENKUlT_SL_SM_SN_E_clIS8_S8_S9_S9_EESK_S10_SL_SM_SN_EUlS10_E1_NS1_11comp_targetILNS1_3genE0ELNS1_11target_archE4294967295ELNS1_3gpuE0ELNS1_3repE0EEENS1_36merge_oddeven_config_static_selectorELNS0_4arch9wavefront6targetE0EEEvSM_,comdat
	.globl	_ZN7rocprim17ROCPRIM_400000_NS6detail17trampoline_kernelINS0_14default_configENS1_38merge_sort_block_merge_config_selectorIlNS0_10empty_typeEEEZZNS1_27merge_sort_block_merge_implIS3_PlPS5_mZN2at6native12_GLOBAL__N_124unique_dim_cuda_templateIaEESt5tupleIJNSA_6TensorESF_SF_EERKSF_lbbbEUlllE_EE10hipError_tT0_T1_T2_jT3_P12ihipStream_tbPNSt15iterator_traitsISL_E10value_typeEPNSR_ISM_E10value_typeEPSN_NS1_7vsmem_tEENKUlT_SL_SM_SN_E_clIS8_S8_S9_S9_EESK_S10_SL_SM_SN_EUlS10_E1_NS1_11comp_targetILNS1_3genE0ELNS1_11target_archE4294967295ELNS1_3gpuE0ELNS1_3repE0EEENS1_36merge_oddeven_config_static_selectorELNS0_4arch9wavefront6targetE0EEEvSM_ ; -- Begin function _ZN7rocprim17ROCPRIM_400000_NS6detail17trampoline_kernelINS0_14default_configENS1_38merge_sort_block_merge_config_selectorIlNS0_10empty_typeEEEZZNS1_27merge_sort_block_merge_implIS3_PlPS5_mZN2at6native12_GLOBAL__N_124unique_dim_cuda_templateIaEESt5tupleIJNSA_6TensorESF_SF_EERKSF_lbbbEUlllE_EE10hipError_tT0_T1_T2_jT3_P12ihipStream_tbPNSt15iterator_traitsISL_E10value_typeEPNSR_ISM_E10value_typeEPSN_NS1_7vsmem_tEENKUlT_SL_SM_SN_E_clIS8_S8_S9_S9_EESK_S10_SL_SM_SN_EUlS10_E1_NS1_11comp_targetILNS1_3genE0ELNS1_11target_archE4294967295ELNS1_3gpuE0ELNS1_3repE0EEENS1_36merge_oddeven_config_static_selectorELNS0_4arch9wavefront6targetE0EEEvSM_
	.p2align	8
	.type	_ZN7rocprim17ROCPRIM_400000_NS6detail17trampoline_kernelINS0_14default_configENS1_38merge_sort_block_merge_config_selectorIlNS0_10empty_typeEEEZZNS1_27merge_sort_block_merge_implIS3_PlPS5_mZN2at6native12_GLOBAL__N_124unique_dim_cuda_templateIaEESt5tupleIJNSA_6TensorESF_SF_EERKSF_lbbbEUlllE_EE10hipError_tT0_T1_T2_jT3_P12ihipStream_tbPNSt15iterator_traitsISL_E10value_typeEPNSR_ISM_E10value_typeEPSN_NS1_7vsmem_tEENKUlT_SL_SM_SN_E_clIS8_S8_S9_S9_EESK_S10_SL_SM_SN_EUlS10_E1_NS1_11comp_targetILNS1_3genE0ELNS1_11target_archE4294967295ELNS1_3gpuE0ELNS1_3repE0EEENS1_36merge_oddeven_config_static_selectorELNS0_4arch9wavefront6targetE0EEEvSM_,@function
_ZN7rocprim17ROCPRIM_400000_NS6detail17trampoline_kernelINS0_14default_configENS1_38merge_sort_block_merge_config_selectorIlNS0_10empty_typeEEEZZNS1_27merge_sort_block_merge_implIS3_PlPS5_mZN2at6native12_GLOBAL__N_124unique_dim_cuda_templateIaEESt5tupleIJNSA_6TensorESF_SF_EERKSF_lbbbEUlllE_EE10hipError_tT0_T1_T2_jT3_P12ihipStream_tbPNSt15iterator_traitsISL_E10value_typeEPNSR_ISM_E10value_typeEPSN_NS1_7vsmem_tEENKUlT_SL_SM_SN_E_clIS8_S8_S9_S9_EESK_S10_SL_SM_SN_EUlS10_E1_NS1_11comp_targetILNS1_3genE0ELNS1_11target_archE4294967295ELNS1_3gpuE0ELNS1_3repE0EEENS1_36merge_oddeven_config_static_selectorELNS0_4arch9wavefront6targetE0EEEvSM_: ; @_ZN7rocprim17ROCPRIM_400000_NS6detail17trampoline_kernelINS0_14default_configENS1_38merge_sort_block_merge_config_selectorIlNS0_10empty_typeEEEZZNS1_27merge_sort_block_merge_implIS3_PlPS5_mZN2at6native12_GLOBAL__N_124unique_dim_cuda_templateIaEESt5tupleIJNSA_6TensorESF_SF_EERKSF_lbbbEUlllE_EE10hipError_tT0_T1_T2_jT3_P12ihipStream_tbPNSt15iterator_traitsISL_E10value_typeEPNSR_ISM_E10value_typeEPSN_NS1_7vsmem_tEENKUlT_SL_SM_SN_E_clIS8_S8_S9_S9_EESK_S10_SL_SM_SN_EUlS10_E1_NS1_11comp_targetILNS1_3genE0ELNS1_11target_archE4294967295ELNS1_3gpuE0ELNS1_3repE0EEENS1_36merge_oddeven_config_static_selectorELNS0_4arch9wavefront6targetE0EEEvSM_
; %bb.0:
	.section	.rodata,"a",@progbits
	.p2align	6, 0x0
	.amdhsa_kernel _ZN7rocprim17ROCPRIM_400000_NS6detail17trampoline_kernelINS0_14default_configENS1_38merge_sort_block_merge_config_selectorIlNS0_10empty_typeEEEZZNS1_27merge_sort_block_merge_implIS3_PlPS5_mZN2at6native12_GLOBAL__N_124unique_dim_cuda_templateIaEESt5tupleIJNSA_6TensorESF_SF_EERKSF_lbbbEUlllE_EE10hipError_tT0_T1_T2_jT3_P12ihipStream_tbPNSt15iterator_traitsISL_E10value_typeEPNSR_ISM_E10value_typeEPSN_NS1_7vsmem_tEENKUlT_SL_SM_SN_E_clIS8_S8_S9_S9_EESK_S10_SL_SM_SN_EUlS10_E1_NS1_11comp_targetILNS1_3genE0ELNS1_11target_archE4294967295ELNS1_3gpuE0ELNS1_3repE0EEENS1_36merge_oddeven_config_static_selectorELNS0_4arch9wavefront6targetE0EEEvSM_
		.amdhsa_group_segment_fixed_size 0
		.amdhsa_private_segment_fixed_size 0
		.amdhsa_kernarg_size 64
		.amdhsa_user_sgpr_count 15
		.amdhsa_user_sgpr_dispatch_ptr 0
		.amdhsa_user_sgpr_queue_ptr 0
		.amdhsa_user_sgpr_kernarg_segment_ptr 1
		.amdhsa_user_sgpr_dispatch_id 0
		.amdhsa_user_sgpr_private_segment_size 0
		.amdhsa_wavefront_size32 1
		.amdhsa_uses_dynamic_stack 0
		.amdhsa_enable_private_segment 0
		.amdhsa_system_sgpr_workgroup_id_x 1
		.amdhsa_system_sgpr_workgroup_id_y 0
		.amdhsa_system_sgpr_workgroup_id_z 0
		.amdhsa_system_sgpr_workgroup_info 0
		.amdhsa_system_vgpr_workitem_id 0
		.amdhsa_next_free_vgpr 1
		.amdhsa_next_free_sgpr 1
		.amdhsa_reserve_vcc 0
		.amdhsa_float_round_mode_32 0
		.amdhsa_float_round_mode_16_64 0
		.amdhsa_float_denorm_mode_32 3
		.amdhsa_float_denorm_mode_16_64 3
		.amdhsa_dx10_clamp 1
		.amdhsa_ieee_mode 1
		.amdhsa_fp16_overflow 0
		.amdhsa_workgroup_processor_mode 1
		.amdhsa_memory_ordered 1
		.amdhsa_forward_progress 0
		.amdhsa_shared_vgpr_count 0
		.amdhsa_exception_fp_ieee_invalid_op 0
		.amdhsa_exception_fp_denorm_src 0
		.amdhsa_exception_fp_ieee_div_zero 0
		.amdhsa_exception_fp_ieee_overflow 0
		.amdhsa_exception_fp_ieee_underflow 0
		.amdhsa_exception_fp_ieee_inexact 0
		.amdhsa_exception_int_div_zero 0
	.end_amdhsa_kernel
	.section	.text._ZN7rocprim17ROCPRIM_400000_NS6detail17trampoline_kernelINS0_14default_configENS1_38merge_sort_block_merge_config_selectorIlNS0_10empty_typeEEEZZNS1_27merge_sort_block_merge_implIS3_PlPS5_mZN2at6native12_GLOBAL__N_124unique_dim_cuda_templateIaEESt5tupleIJNSA_6TensorESF_SF_EERKSF_lbbbEUlllE_EE10hipError_tT0_T1_T2_jT3_P12ihipStream_tbPNSt15iterator_traitsISL_E10value_typeEPNSR_ISM_E10value_typeEPSN_NS1_7vsmem_tEENKUlT_SL_SM_SN_E_clIS8_S8_S9_S9_EESK_S10_SL_SM_SN_EUlS10_E1_NS1_11comp_targetILNS1_3genE0ELNS1_11target_archE4294967295ELNS1_3gpuE0ELNS1_3repE0EEENS1_36merge_oddeven_config_static_selectorELNS0_4arch9wavefront6targetE0EEEvSM_,"axG",@progbits,_ZN7rocprim17ROCPRIM_400000_NS6detail17trampoline_kernelINS0_14default_configENS1_38merge_sort_block_merge_config_selectorIlNS0_10empty_typeEEEZZNS1_27merge_sort_block_merge_implIS3_PlPS5_mZN2at6native12_GLOBAL__N_124unique_dim_cuda_templateIaEESt5tupleIJNSA_6TensorESF_SF_EERKSF_lbbbEUlllE_EE10hipError_tT0_T1_T2_jT3_P12ihipStream_tbPNSt15iterator_traitsISL_E10value_typeEPNSR_ISM_E10value_typeEPSN_NS1_7vsmem_tEENKUlT_SL_SM_SN_E_clIS8_S8_S9_S9_EESK_S10_SL_SM_SN_EUlS10_E1_NS1_11comp_targetILNS1_3genE0ELNS1_11target_archE4294967295ELNS1_3gpuE0ELNS1_3repE0EEENS1_36merge_oddeven_config_static_selectorELNS0_4arch9wavefront6targetE0EEEvSM_,comdat
.Lfunc_end286:
	.size	_ZN7rocprim17ROCPRIM_400000_NS6detail17trampoline_kernelINS0_14default_configENS1_38merge_sort_block_merge_config_selectorIlNS0_10empty_typeEEEZZNS1_27merge_sort_block_merge_implIS3_PlPS5_mZN2at6native12_GLOBAL__N_124unique_dim_cuda_templateIaEESt5tupleIJNSA_6TensorESF_SF_EERKSF_lbbbEUlllE_EE10hipError_tT0_T1_T2_jT3_P12ihipStream_tbPNSt15iterator_traitsISL_E10value_typeEPNSR_ISM_E10value_typeEPSN_NS1_7vsmem_tEENKUlT_SL_SM_SN_E_clIS8_S8_S9_S9_EESK_S10_SL_SM_SN_EUlS10_E1_NS1_11comp_targetILNS1_3genE0ELNS1_11target_archE4294967295ELNS1_3gpuE0ELNS1_3repE0EEENS1_36merge_oddeven_config_static_selectorELNS0_4arch9wavefront6targetE0EEEvSM_, .Lfunc_end286-_ZN7rocprim17ROCPRIM_400000_NS6detail17trampoline_kernelINS0_14default_configENS1_38merge_sort_block_merge_config_selectorIlNS0_10empty_typeEEEZZNS1_27merge_sort_block_merge_implIS3_PlPS5_mZN2at6native12_GLOBAL__N_124unique_dim_cuda_templateIaEESt5tupleIJNSA_6TensorESF_SF_EERKSF_lbbbEUlllE_EE10hipError_tT0_T1_T2_jT3_P12ihipStream_tbPNSt15iterator_traitsISL_E10value_typeEPNSR_ISM_E10value_typeEPSN_NS1_7vsmem_tEENKUlT_SL_SM_SN_E_clIS8_S8_S9_S9_EESK_S10_SL_SM_SN_EUlS10_E1_NS1_11comp_targetILNS1_3genE0ELNS1_11target_archE4294967295ELNS1_3gpuE0ELNS1_3repE0EEENS1_36merge_oddeven_config_static_selectorELNS0_4arch9wavefront6targetE0EEEvSM_
                                        ; -- End function
	.section	.AMDGPU.csdata,"",@progbits
; Kernel info:
; codeLenInByte = 0
; NumSgprs: 0
; NumVgprs: 0
; ScratchSize: 0
; MemoryBound: 0
; FloatMode: 240
; IeeeMode: 1
; LDSByteSize: 0 bytes/workgroup (compile time only)
; SGPRBlocks: 0
; VGPRBlocks: 0
; NumSGPRsForWavesPerEU: 1
; NumVGPRsForWavesPerEU: 1
; Occupancy: 16
; WaveLimiterHint : 0
; COMPUTE_PGM_RSRC2:SCRATCH_EN: 0
; COMPUTE_PGM_RSRC2:USER_SGPR: 15
; COMPUTE_PGM_RSRC2:TRAP_HANDLER: 0
; COMPUTE_PGM_RSRC2:TGID_X_EN: 1
; COMPUTE_PGM_RSRC2:TGID_Y_EN: 0
; COMPUTE_PGM_RSRC2:TGID_Z_EN: 0
; COMPUTE_PGM_RSRC2:TIDIG_COMP_CNT: 0
	.section	.text._ZN7rocprim17ROCPRIM_400000_NS6detail17trampoline_kernelINS0_14default_configENS1_38merge_sort_block_merge_config_selectorIlNS0_10empty_typeEEEZZNS1_27merge_sort_block_merge_implIS3_PlPS5_mZN2at6native12_GLOBAL__N_124unique_dim_cuda_templateIaEESt5tupleIJNSA_6TensorESF_SF_EERKSF_lbbbEUlllE_EE10hipError_tT0_T1_T2_jT3_P12ihipStream_tbPNSt15iterator_traitsISL_E10value_typeEPNSR_ISM_E10value_typeEPSN_NS1_7vsmem_tEENKUlT_SL_SM_SN_E_clIS8_S8_S9_S9_EESK_S10_SL_SM_SN_EUlS10_E1_NS1_11comp_targetILNS1_3genE10ELNS1_11target_archE1201ELNS1_3gpuE5ELNS1_3repE0EEENS1_36merge_oddeven_config_static_selectorELNS0_4arch9wavefront6targetE0EEEvSM_,"axG",@progbits,_ZN7rocprim17ROCPRIM_400000_NS6detail17trampoline_kernelINS0_14default_configENS1_38merge_sort_block_merge_config_selectorIlNS0_10empty_typeEEEZZNS1_27merge_sort_block_merge_implIS3_PlPS5_mZN2at6native12_GLOBAL__N_124unique_dim_cuda_templateIaEESt5tupleIJNSA_6TensorESF_SF_EERKSF_lbbbEUlllE_EE10hipError_tT0_T1_T2_jT3_P12ihipStream_tbPNSt15iterator_traitsISL_E10value_typeEPNSR_ISM_E10value_typeEPSN_NS1_7vsmem_tEENKUlT_SL_SM_SN_E_clIS8_S8_S9_S9_EESK_S10_SL_SM_SN_EUlS10_E1_NS1_11comp_targetILNS1_3genE10ELNS1_11target_archE1201ELNS1_3gpuE5ELNS1_3repE0EEENS1_36merge_oddeven_config_static_selectorELNS0_4arch9wavefront6targetE0EEEvSM_,comdat
	.globl	_ZN7rocprim17ROCPRIM_400000_NS6detail17trampoline_kernelINS0_14default_configENS1_38merge_sort_block_merge_config_selectorIlNS0_10empty_typeEEEZZNS1_27merge_sort_block_merge_implIS3_PlPS5_mZN2at6native12_GLOBAL__N_124unique_dim_cuda_templateIaEESt5tupleIJNSA_6TensorESF_SF_EERKSF_lbbbEUlllE_EE10hipError_tT0_T1_T2_jT3_P12ihipStream_tbPNSt15iterator_traitsISL_E10value_typeEPNSR_ISM_E10value_typeEPSN_NS1_7vsmem_tEENKUlT_SL_SM_SN_E_clIS8_S8_S9_S9_EESK_S10_SL_SM_SN_EUlS10_E1_NS1_11comp_targetILNS1_3genE10ELNS1_11target_archE1201ELNS1_3gpuE5ELNS1_3repE0EEENS1_36merge_oddeven_config_static_selectorELNS0_4arch9wavefront6targetE0EEEvSM_ ; -- Begin function _ZN7rocprim17ROCPRIM_400000_NS6detail17trampoline_kernelINS0_14default_configENS1_38merge_sort_block_merge_config_selectorIlNS0_10empty_typeEEEZZNS1_27merge_sort_block_merge_implIS3_PlPS5_mZN2at6native12_GLOBAL__N_124unique_dim_cuda_templateIaEESt5tupleIJNSA_6TensorESF_SF_EERKSF_lbbbEUlllE_EE10hipError_tT0_T1_T2_jT3_P12ihipStream_tbPNSt15iterator_traitsISL_E10value_typeEPNSR_ISM_E10value_typeEPSN_NS1_7vsmem_tEENKUlT_SL_SM_SN_E_clIS8_S8_S9_S9_EESK_S10_SL_SM_SN_EUlS10_E1_NS1_11comp_targetILNS1_3genE10ELNS1_11target_archE1201ELNS1_3gpuE5ELNS1_3repE0EEENS1_36merge_oddeven_config_static_selectorELNS0_4arch9wavefront6targetE0EEEvSM_
	.p2align	8
	.type	_ZN7rocprim17ROCPRIM_400000_NS6detail17trampoline_kernelINS0_14default_configENS1_38merge_sort_block_merge_config_selectorIlNS0_10empty_typeEEEZZNS1_27merge_sort_block_merge_implIS3_PlPS5_mZN2at6native12_GLOBAL__N_124unique_dim_cuda_templateIaEESt5tupleIJNSA_6TensorESF_SF_EERKSF_lbbbEUlllE_EE10hipError_tT0_T1_T2_jT3_P12ihipStream_tbPNSt15iterator_traitsISL_E10value_typeEPNSR_ISM_E10value_typeEPSN_NS1_7vsmem_tEENKUlT_SL_SM_SN_E_clIS8_S8_S9_S9_EESK_S10_SL_SM_SN_EUlS10_E1_NS1_11comp_targetILNS1_3genE10ELNS1_11target_archE1201ELNS1_3gpuE5ELNS1_3repE0EEENS1_36merge_oddeven_config_static_selectorELNS0_4arch9wavefront6targetE0EEEvSM_,@function
_ZN7rocprim17ROCPRIM_400000_NS6detail17trampoline_kernelINS0_14default_configENS1_38merge_sort_block_merge_config_selectorIlNS0_10empty_typeEEEZZNS1_27merge_sort_block_merge_implIS3_PlPS5_mZN2at6native12_GLOBAL__N_124unique_dim_cuda_templateIaEESt5tupleIJNSA_6TensorESF_SF_EERKSF_lbbbEUlllE_EE10hipError_tT0_T1_T2_jT3_P12ihipStream_tbPNSt15iterator_traitsISL_E10value_typeEPNSR_ISM_E10value_typeEPSN_NS1_7vsmem_tEENKUlT_SL_SM_SN_E_clIS8_S8_S9_S9_EESK_S10_SL_SM_SN_EUlS10_E1_NS1_11comp_targetILNS1_3genE10ELNS1_11target_archE1201ELNS1_3gpuE5ELNS1_3repE0EEENS1_36merge_oddeven_config_static_selectorELNS0_4arch9wavefront6targetE0EEEvSM_: ; @_ZN7rocprim17ROCPRIM_400000_NS6detail17trampoline_kernelINS0_14default_configENS1_38merge_sort_block_merge_config_selectorIlNS0_10empty_typeEEEZZNS1_27merge_sort_block_merge_implIS3_PlPS5_mZN2at6native12_GLOBAL__N_124unique_dim_cuda_templateIaEESt5tupleIJNSA_6TensorESF_SF_EERKSF_lbbbEUlllE_EE10hipError_tT0_T1_T2_jT3_P12ihipStream_tbPNSt15iterator_traitsISL_E10value_typeEPNSR_ISM_E10value_typeEPSN_NS1_7vsmem_tEENKUlT_SL_SM_SN_E_clIS8_S8_S9_S9_EESK_S10_SL_SM_SN_EUlS10_E1_NS1_11comp_targetILNS1_3genE10ELNS1_11target_archE1201ELNS1_3gpuE5ELNS1_3repE0EEENS1_36merge_oddeven_config_static_selectorELNS0_4arch9wavefront6targetE0EEEvSM_
; %bb.0:
	.section	.rodata,"a",@progbits
	.p2align	6, 0x0
	.amdhsa_kernel _ZN7rocprim17ROCPRIM_400000_NS6detail17trampoline_kernelINS0_14default_configENS1_38merge_sort_block_merge_config_selectorIlNS0_10empty_typeEEEZZNS1_27merge_sort_block_merge_implIS3_PlPS5_mZN2at6native12_GLOBAL__N_124unique_dim_cuda_templateIaEESt5tupleIJNSA_6TensorESF_SF_EERKSF_lbbbEUlllE_EE10hipError_tT0_T1_T2_jT3_P12ihipStream_tbPNSt15iterator_traitsISL_E10value_typeEPNSR_ISM_E10value_typeEPSN_NS1_7vsmem_tEENKUlT_SL_SM_SN_E_clIS8_S8_S9_S9_EESK_S10_SL_SM_SN_EUlS10_E1_NS1_11comp_targetILNS1_3genE10ELNS1_11target_archE1201ELNS1_3gpuE5ELNS1_3repE0EEENS1_36merge_oddeven_config_static_selectorELNS0_4arch9wavefront6targetE0EEEvSM_
		.amdhsa_group_segment_fixed_size 0
		.amdhsa_private_segment_fixed_size 0
		.amdhsa_kernarg_size 64
		.amdhsa_user_sgpr_count 15
		.amdhsa_user_sgpr_dispatch_ptr 0
		.amdhsa_user_sgpr_queue_ptr 0
		.amdhsa_user_sgpr_kernarg_segment_ptr 1
		.amdhsa_user_sgpr_dispatch_id 0
		.amdhsa_user_sgpr_private_segment_size 0
		.amdhsa_wavefront_size32 1
		.amdhsa_uses_dynamic_stack 0
		.amdhsa_enable_private_segment 0
		.amdhsa_system_sgpr_workgroup_id_x 1
		.amdhsa_system_sgpr_workgroup_id_y 0
		.amdhsa_system_sgpr_workgroup_id_z 0
		.amdhsa_system_sgpr_workgroup_info 0
		.amdhsa_system_vgpr_workitem_id 0
		.amdhsa_next_free_vgpr 1
		.amdhsa_next_free_sgpr 1
		.amdhsa_reserve_vcc 0
		.amdhsa_float_round_mode_32 0
		.amdhsa_float_round_mode_16_64 0
		.amdhsa_float_denorm_mode_32 3
		.amdhsa_float_denorm_mode_16_64 3
		.amdhsa_dx10_clamp 1
		.amdhsa_ieee_mode 1
		.amdhsa_fp16_overflow 0
		.amdhsa_workgroup_processor_mode 1
		.amdhsa_memory_ordered 1
		.amdhsa_forward_progress 0
		.amdhsa_shared_vgpr_count 0
		.amdhsa_exception_fp_ieee_invalid_op 0
		.amdhsa_exception_fp_denorm_src 0
		.amdhsa_exception_fp_ieee_div_zero 0
		.amdhsa_exception_fp_ieee_overflow 0
		.amdhsa_exception_fp_ieee_underflow 0
		.amdhsa_exception_fp_ieee_inexact 0
		.amdhsa_exception_int_div_zero 0
	.end_amdhsa_kernel
	.section	.text._ZN7rocprim17ROCPRIM_400000_NS6detail17trampoline_kernelINS0_14default_configENS1_38merge_sort_block_merge_config_selectorIlNS0_10empty_typeEEEZZNS1_27merge_sort_block_merge_implIS3_PlPS5_mZN2at6native12_GLOBAL__N_124unique_dim_cuda_templateIaEESt5tupleIJNSA_6TensorESF_SF_EERKSF_lbbbEUlllE_EE10hipError_tT0_T1_T2_jT3_P12ihipStream_tbPNSt15iterator_traitsISL_E10value_typeEPNSR_ISM_E10value_typeEPSN_NS1_7vsmem_tEENKUlT_SL_SM_SN_E_clIS8_S8_S9_S9_EESK_S10_SL_SM_SN_EUlS10_E1_NS1_11comp_targetILNS1_3genE10ELNS1_11target_archE1201ELNS1_3gpuE5ELNS1_3repE0EEENS1_36merge_oddeven_config_static_selectorELNS0_4arch9wavefront6targetE0EEEvSM_,"axG",@progbits,_ZN7rocprim17ROCPRIM_400000_NS6detail17trampoline_kernelINS0_14default_configENS1_38merge_sort_block_merge_config_selectorIlNS0_10empty_typeEEEZZNS1_27merge_sort_block_merge_implIS3_PlPS5_mZN2at6native12_GLOBAL__N_124unique_dim_cuda_templateIaEESt5tupleIJNSA_6TensorESF_SF_EERKSF_lbbbEUlllE_EE10hipError_tT0_T1_T2_jT3_P12ihipStream_tbPNSt15iterator_traitsISL_E10value_typeEPNSR_ISM_E10value_typeEPSN_NS1_7vsmem_tEENKUlT_SL_SM_SN_E_clIS8_S8_S9_S9_EESK_S10_SL_SM_SN_EUlS10_E1_NS1_11comp_targetILNS1_3genE10ELNS1_11target_archE1201ELNS1_3gpuE5ELNS1_3repE0EEENS1_36merge_oddeven_config_static_selectorELNS0_4arch9wavefront6targetE0EEEvSM_,comdat
.Lfunc_end287:
	.size	_ZN7rocprim17ROCPRIM_400000_NS6detail17trampoline_kernelINS0_14default_configENS1_38merge_sort_block_merge_config_selectorIlNS0_10empty_typeEEEZZNS1_27merge_sort_block_merge_implIS3_PlPS5_mZN2at6native12_GLOBAL__N_124unique_dim_cuda_templateIaEESt5tupleIJNSA_6TensorESF_SF_EERKSF_lbbbEUlllE_EE10hipError_tT0_T1_T2_jT3_P12ihipStream_tbPNSt15iterator_traitsISL_E10value_typeEPNSR_ISM_E10value_typeEPSN_NS1_7vsmem_tEENKUlT_SL_SM_SN_E_clIS8_S8_S9_S9_EESK_S10_SL_SM_SN_EUlS10_E1_NS1_11comp_targetILNS1_3genE10ELNS1_11target_archE1201ELNS1_3gpuE5ELNS1_3repE0EEENS1_36merge_oddeven_config_static_selectorELNS0_4arch9wavefront6targetE0EEEvSM_, .Lfunc_end287-_ZN7rocprim17ROCPRIM_400000_NS6detail17trampoline_kernelINS0_14default_configENS1_38merge_sort_block_merge_config_selectorIlNS0_10empty_typeEEEZZNS1_27merge_sort_block_merge_implIS3_PlPS5_mZN2at6native12_GLOBAL__N_124unique_dim_cuda_templateIaEESt5tupleIJNSA_6TensorESF_SF_EERKSF_lbbbEUlllE_EE10hipError_tT0_T1_T2_jT3_P12ihipStream_tbPNSt15iterator_traitsISL_E10value_typeEPNSR_ISM_E10value_typeEPSN_NS1_7vsmem_tEENKUlT_SL_SM_SN_E_clIS8_S8_S9_S9_EESK_S10_SL_SM_SN_EUlS10_E1_NS1_11comp_targetILNS1_3genE10ELNS1_11target_archE1201ELNS1_3gpuE5ELNS1_3repE0EEENS1_36merge_oddeven_config_static_selectorELNS0_4arch9wavefront6targetE0EEEvSM_
                                        ; -- End function
	.section	.AMDGPU.csdata,"",@progbits
; Kernel info:
; codeLenInByte = 0
; NumSgprs: 0
; NumVgprs: 0
; ScratchSize: 0
; MemoryBound: 0
; FloatMode: 240
; IeeeMode: 1
; LDSByteSize: 0 bytes/workgroup (compile time only)
; SGPRBlocks: 0
; VGPRBlocks: 0
; NumSGPRsForWavesPerEU: 1
; NumVGPRsForWavesPerEU: 1
; Occupancy: 16
; WaveLimiterHint : 0
; COMPUTE_PGM_RSRC2:SCRATCH_EN: 0
; COMPUTE_PGM_RSRC2:USER_SGPR: 15
; COMPUTE_PGM_RSRC2:TRAP_HANDLER: 0
; COMPUTE_PGM_RSRC2:TGID_X_EN: 1
; COMPUTE_PGM_RSRC2:TGID_Y_EN: 0
; COMPUTE_PGM_RSRC2:TGID_Z_EN: 0
; COMPUTE_PGM_RSRC2:TIDIG_COMP_CNT: 0
	.section	.text._ZN7rocprim17ROCPRIM_400000_NS6detail17trampoline_kernelINS0_14default_configENS1_38merge_sort_block_merge_config_selectorIlNS0_10empty_typeEEEZZNS1_27merge_sort_block_merge_implIS3_PlPS5_mZN2at6native12_GLOBAL__N_124unique_dim_cuda_templateIaEESt5tupleIJNSA_6TensorESF_SF_EERKSF_lbbbEUlllE_EE10hipError_tT0_T1_T2_jT3_P12ihipStream_tbPNSt15iterator_traitsISL_E10value_typeEPNSR_ISM_E10value_typeEPSN_NS1_7vsmem_tEENKUlT_SL_SM_SN_E_clIS8_S8_S9_S9_EESK_S10_SL_SM_SN_EUlS10_E1_NS1_11comp_targetILNS1_3genE5ELNS1_11target_archE942ELNS1_3gpuE9ELNS1_3repE0EEENS1_36merge_oddeven_config_static_selectorELNS0_4arch9wavefront6targetE0EEEvSM_,"axG",@progbits,_ZN7rocprim17ROCPRIM_400000_NS6detail17trampoline_kernelINS0_14default_configENS1_38merge_sort_block_merge_config_selectorIlNS0_10empty_typeEEEZZNS1_27merge_sort_block_merge_implIS3_PlPS5_mZN2at6native12_GLOBAL__N_124unique_dim_cuda_templateIaEESt5tupleIJNSA_6TensorESF_SF_EERKSF_lbbbEUlllE_EE10hipError_tT0_T1_T2_jT3_P12ihipStream_tbPNSt15iterator_traitsISL_E10value_typeEPNSR_ISM_E10value_typeEPSN_NS1_7vsmem_tEENKUlT_SL_SM_SN_E_clIS8_S8_S9_S9_EESK_S10_SL_SM_SN_EUlS10_E1_NS1_11comp_targetILNS1_3genE5ELNS1_11target_archE942ELNS1_3gpuE9ELNS1_3repE0EEENS1_36merge_oddeven_config_static_selectorELNS0_4arch9wavefront6targetE0EEEvSM_,comdat
	.globl	_ZN7rocprim17ROCPRIM_400000_NS6detail17trampoline_kernelINS0_14default_configENS1_38merge_sort_block_merge_config_selectorIlNS0_10empty_typeEEEZZNS1_27merge_sort_block_merge_implIS3_PlPS5_mZN2at6native12_GLOBAL__N_124unique_dim_cuda_templateIaEESt5tupleIJNSA_6TensorESF_SF_EERKSF_lbbbEUlllE_EE10hipError_tT0_T1_T2_jT3_P12ihipStream_tbPNSt15iterator_traitsISL_E10value_typeEPNSR_ISM_E10value_typeEPSN_NS1_7vsmem_tEENKUlT_SL_SM_SN_E_clIS8_S8_S9_S9_EESK_S10_SL_SM_SN_EUlS10_E1_NS1_11comp_targetILNS1_3genE5ELNS1_11target_archE942ELNS1_3gpuE9ELNS1_3repE0EEENS1_36merge_oddeven_config_static_selectorELNS0_4arch9wavefront6targetE0EEEvSM_ ; -- Begin function _ZN7rocprim17ROCPRIM_400000_NS6detail17trampoline_kernelINS0_14default_configENS1_38merge_sort_block_merge_config_selectorIlNS0_10empty_typeEEEZZNS1_27merge_sort_block_merge_implIS3_PlPS5_mZN2at6native12_GLOBAL__N_124unique_dim_cuda_templateIaEESt5tupleIJNSA_6TensorESF_SF_EERKSF_lbbbEUlllE_EE10hipError_tT0_T1_T2_jT3_P12ihipStream_tbPNSt15iterator_traitsISL_E10value_typeEPNSR_ISM_E10value_typeEPSN_NS1_7vsmem_tEENKUlT_SL_SM_SN_E_clIS8_S8_S9_S9_EESK_S10_SL_SM_SN_EUlS10_E1_NS1_11comp_targetILNS1_3genE5ELNS1_11target_archE942ELNS1_3gpuE9ELNS1_3repE0EEENS1_36merge_oddeven_config_static_selectorELNS0_4arch9wavefront6targetE0EEEvSM_
	.p2align	8
	.type	_ZN7rocprim17ROCPRIM_400000_NS6detail17trampoline_kernelINS0_14default_configENS1_38merge_sort_block_merge_config_selectorIlNS0_10empty_typeEEEZZNS1_27merge_sort_block_merge_implIS3_PlPS5_mZN2at6native12_GLOBAL__N_124unique_dim_cuda_templateIaEESt5tupleIJNSA_6TensorESF_SF_EERKSF_lbbbEUlllE_EE10hipError_tT0_T1_T2_jT3_P12ihipStream_tbPNSt15iterator_traitsISL_E10value_typeEPNSR_ISM_E10value_typeEPSN_NS1_7vsmem_tEENKUlT_SL_SM_SN_E_clIS8_S8_S9_S9_EESK_S10_SL_SM_SN_EUlS10_E1_NS1_11comp_targetILNS1_3genE5ELNS1_11target_archE942ELNS1_3gpuE9ELNS1_3repE0EEENS1_36merge_oddeven_config_static_selectorELNS0_4arch9wavefront6targetE0EEEvSM_,@function
_ZN7rocprim17ROCPRIM_400000_NS6detail17trampoline_kernelINS0_14default_configENS1_38merge_sort_block_merge_config_selectorIlNS0_10empty_typeEEEZZNS1_27merge_sort_block_merge_implIS3_PlPS5_mZN2at6native12_GLOBAL__N_124unique_dim_cuda_templateIaEESt5tupleIJNSA_6TensorESF_SF_EERKSF_lbbbEUlllE_EE10hipError_tT0_T1_T2_jT3_P12ihipStream_tbPNSt15iterator_traitsISL_E10value_typeEPNSR_ISM_E10value_typeEPSN_NS1_7vsmem_tEENKUlT_SL_SM_SN_E_clIS8_S8_S9_S9_EESK_S10_SL_SM_SN_EUlS10_E1_NS1_11comp_targetILNS1_3genE5ELNS1_11target_archE942ELNS1_3gpuE9ELNS1_3repE0EEENS1_36merge_oddeven_config_static_selectorELNS0_4arch9wavefront6targetE0EEEvSM_: ; @_ZN7rocprim17ROCPRIM_400000_NS6detail17trampoline_kernelINS0_14default_configENS1_38merge_sort_block_merge_config_selectorIlNS0_10empty_typeEEEZZNS1_27merge_sort_block_merge_implIS3_PlPS5_mZN2at6native12_GLOBAL__N_124unique_dim_cuda_templateIaEESt5tupleIJNSA_6TensorESF_SF_EERKSF_lbbbEUlllE_EE10hipError_tT0_T1_T2_jT3_P12ihipStream_tbPNSt15iterator_traitsISL_E10value_typeEPNSR_ISM_E10value_typeEPSN_NS1_7vsmem_tEENKUlT_SL_SM_SN_E_clIS8_S8_S9_S9_EESK_S10_SL_SM_SN_EUlS10_E1_NS1_11comp_targetILNS1_3genE5ELNS1_11target_archE942ELNS1_3gpuE9ELNS1_3repE0EEENS1_36merge_oddeven_config_static_selectorELNS0_4arch9wavefront6targetE0EEEvSM_
; %bb.0:
	.section	.rodata,"a",@progbits
	.p2align	6, 0x0
	.amdhsa_kernel _ZN7rocprim17ROCPRIM_400000_NS6detail17trampoline_kernelINS0_14default_configENS1_38merge_sort_block_merge_config_selectorIlNS0_10empty_typeEEEZZNS1_27merge_sort_block_merge_implIS3_PlPS5_mZN2at6native12_GLOBAL__N_124unique_dim_cuda_templateIaEESt5tupleIJNSA_6TensorESF_SF_EERKSF_lbbbEUlllE_EE10hipError_tT0_T1_T2_jT3_P12ihipStream_tbPNSt15iterator_traitsISL_E10value_typeEPNSR_ISM_E10value_typeEPSN_NS1_7vsmem_tEENKUlT_SL_SM_SN_E_clIS8_S8_S9_S9_EESK_S10_SL_SM_SN_EUlS10_E1_NS1_11comp_targetILNS1_3genE5ELNS1_11target_archE942ELNS1_3gpuE9ELNS1_3repE0EEENS1_36merge_oddeven_config_static_selectorELNS0_4arch9wavefront6targetE0EEEvSM_
		.amdhsa_group_segment_fixed_size 0
		.amdhsa_private_segment_fixed_size 0
		.amdhsa_kernarg_size 64
		.amdhsa_user_sgpr_count 15
		.amdhsa_user_sgpr_dispatch_ptr 0
		.amdhsa_user_sgpr_queue_ptr 0
		.amdhsa_user_sgpr_kernarg_segment_ptr 1
		.amdhsa_user_sgpr_dispatch_id 0
		.amdhsa_user_sgpr_private_segment_size 0
		.amdhsa_wavefront_size32 1
		.amdhsa_uses_dynamic_stack 0
		.amdhsa_enable_private_segment 0
		.amdhsa_system_sgpr_workgroup_id_x 1
		.amdhsa_system_sgpr_workgroup_id_y 0
		.amdhsa_system_sgpr_workgroup_id_z 0
		.amdhsa_system_sgpr_workgroup_info 0
		.amdhsa_system_vgpr_workitem_id 0
		.amdhsa_next_free_vgpr 1
		.amdhsa_next_free_sgpr 1
		.amdhsa_reserve_vcc 0
		.amdhsa_float_round_mode_32 0
		.amdhsa_float_round_mode_16_64 0
		.amdhsa_float_denorm_mode_32 3
		.amdhsa_float_denorm_mode_16_64 3
		.amdhsa_dx10_clamp 1
		.amdhsa_ieee_mode 1
		.amdhsa_fp16_overflow 0
		.amdhsa_workgroup_processor_mode 1
		.amdhsa_memory_ordered 1
		.amdhsa_forward_progress 0
		.amdhsa_shared_vgpr_count 0
		.amdhsa_exception_fp_ieee_invalid_op 0
		.amdhsa_exception_fp_denorm_src 0
		.amdhsa_exception_fp_ieee_div_zero 0
		.amdhsa_exception_fp_ieee_overflow 0
		.amdhsa_exception_fp_ieee_underflow 0
		.amdhsa_exception_fp_ieee_inexact 0
		.amdhsa_exception_int_div_zero 0
	.end_amdhsa_kernel
	.section	.text._ZN7rocprim17ROCPRIM_400000_NS6detail17trampoline_kernelINS0_14default_configENS1_38merge_sort_block_merge_config_selectorIlNS0_10empty_typeEEEZZNS1_27merge_sort_block_merge_implIS3_PlPS5_mZN2at6native12_GLOBAL__N_124unique_dim_cuda_templateIaEESt5tupleIJNSA_6TensorESF_SF_EERKSF_lbbbEUlllE_EE10hipError_tT0_T1_T2_jT3_P12ihipStream_tbPNSt15iterator_traitsISL_E10value_typeEPNSR_ISM_E10value_typeEPSN_NS1_7vsmem_tEENKUlT_SL_SM_SN_E_clIS8_S8_S9_S9_EESK_S10_SL_SM_SN_EUlS10_E1_NS1_11comp_targetILNS1_3genE5ELNS1_11target_archE942ELNS1_3gpuE9ELNS1_3repE0EEENS1_36merge_oddeven_config_static_selectorELNS0_4arch9wavefront6targetE0EEEvSM_,"axG",@progbits,_ZN7rocprim17ROCPRIM_400000_NS6detail17trampoline_kernelINS0_14default_configENS1_38merge_sort_block_merge_config_selectorIlNS0_10empty_typeEEEZZNS1_27merge_sort_block_merge_implIS3_PlPS5_mZN2at6native12_GLOBAL__N_124unique_dim_cuda_templateIaEESt5tupleIJNSA_6TensorESF_SF_EERKSF_lbbbEUlllE_EE10hipError_tT0_T1_T2_jT3_P12ihipStream_tbPNSt15iterator_traitsISL_E10value_typeEPNSR_ISM_E10value_typeEPSN_NS1_7vsmem_tEENKUlT_SL_SM_SN_E_clIS8_S8_S9_S9_EESK_S10_SL_SM_SN_EUlS10_E1_NS1_11comp_targetILNS1_3genE5ELNS1_11target_archE942ELNS1_3gpuE9ELNS1_3repE0EEENS1_36merge_oddeven_config_static_selectorELNS0_4arch9wavefront6targetE0EEEvSM_,comdat
.Lfunc_end288:
	.size	_ZN7rocprim17ROCPRIM_400000_NS6detail17trampoline_kernelINS0_14default_configENS1_38merge_sort_block_merge_config_selectorIlNS0_10empty_typeEEEZZNS1_27merge_sort_block_merge_implIS3_PlPS5_mZN2at6native12_GLOBAL__N_124unique_dim_cuda_templateIaEESt5tupleIJNSA_6TensorESF_SF_EERKSF_lbbbEUlllE_EE10hipError_tT0_T1_T2_jT3_P12ihipStream_tbPNSt15iterator_traitsISL_E10value_typeEPNSR_ISM_E10value_typeEPSN_NS1_7vsmem_tEENKUlT_SL_SM_SN_E_clIS8_S8_S9_S9_EESK_S10_SL_SM_SN_EUlS10_E1_NS1_11comp_targetILNS1_3genE5ELNS1_11target_archE942ELNS1_3gpuE9ELNS1_3repE0EEENS1_36merge_oddeven_config_static_selectorELNS0_4arch9wavefront6targetE0EEEvSM_, .Lfunc_end288-_ZN7rocprim17ROCPRIM_400000_NS6detail17trampoline_kernelINS0_14default_configENS1_38merge_sort_block_merge_config_selectorIlNS0_10empty_typeEEEZZNS1_27merge_sort_block_merge_implIS3_PlPS5_mZN2at6native12_GLOBAL__N_124unique_dim_cuda_templateIaEESt5tupleIJNSA_6TensorESF_SF_EERKSF_lbbbEUlllE_EE10hipError_tT0_T1_T2_jT3_P12ihipStream_tbPNSt15iterator_traitsISL_E10value_typeEPNSR_ISM_E10value_typeEPSN_NS1_7vsmem_tEENKUlT_SL_SM_SN_E_clIS8_S8_S9_S9_EESK_S10_SL_SM_SN_EUlS10_E1_NS1_11comp_targetILNS1_3genE5ELNS1_11target_archE942ELNS1_3gpuE9ELNS1_3repE0EEENS1_36merge_oddeven_config_static_selectorELNS0_4arch9wavefront6targetE0EEEvSM_
                                        ; -- End function
	.section	.AMDGPU.csdata,"",@progbits
; Kernel info:
; codeLenInByte = 0
; NumSgprs: 0
; NumVgprs: 0
; ScratchSize: 0
; MemoryBound: 0
; FloatMode: 240
; IeeeMode: 1
; LDSByteSize: 0 bytes/workgroup (compile time only)
; SGPRBlocks: 0
; VGPRBlocks: 0
; NumSGPRsForWavesPerEU: 1
; NumVGPRsForWavesPerEU: 1
; Occupancy: 16
; WaveLimiterHint : 0
; COMPUTE_PGM_RSRC2:SCRATCH_EN: 0
; COMPUTE_PGM_RSRC2:USER_SGPR: 15
; COMPUTE_PGM_RSRC2:TRAP_HANDLER: 0
; COMPUTE_PGM_RSRC2:TGID_X_EN: 1
; COMPUTE_PGM_RSRC2:TGID_Y_EN: 0
; COMPUTE_PGM_RSRC2:TGID_Z_EN: 0
; COMPUTE_PGM_RSRC2:TIDIG_COMP_CNT: 0
	.section	.text._ZN7rocprim17ROCPRIM_400000_NS6detail17trampoline_kernelINS0_14default_configENS1_38merge_sort_block_merge_config_selectorIlNS0_10empty_typeEEEZZNS1_27merge_sort_block_merge_implIS3_PlPS5_mZN2at6native12_GLOBAL__N_124unique_dim_cuda_templateIaEESt5tupleIJNSA_6TensorESF_SF_EERKSF_lbbbEUlllE_EE10hipError_tT0_T1_T2_jT3_P12ihipStream_tbPNSt15iterator_traitsISL_E10value_typeEPNSR_ISM_E10value_typeEPSN_NS1_7vsmem_tEENKUlT_SL_SM_SN_E_clIS8_S8_S9_S9_EESK_S10_SL_SM_SN_EUlS10_E1_NS1_11comp_targetILNS1_3genE4ELNS1_11target_archE910ELNS1_3gpuE8ELNS1_3repE0EEENS1_36merge_oddeven_config_static_selectorELNS0_4arch9wavefront6targetE0EEEvSM_,"axG",@progbits,_ZN7rocprim17ROCPRIM_400000_NS6detail17trampoline_kernelINS0_14default_configENS1_38merge_sort_block_merge_config_selectorIlNS0_10empty_typeEEEZZNS1_27merge_sort_block_merge_implIS3_PlPS5_mZN2at6native12_GLOBAL__N_124unique_dim_cuda_templateIaEESt5tupleIJNSA_6TensorESF_SF_EERKSF_lbbbEUlllE_EE10hipError_tT0_T1_T2_jT3_P12ihipStream_tbPNSt15iterator_traitsISL_E10value_typeEPNSR_ISM_E10value_typeEPSN_NS1_7vsmem_tEENKUlT_SL_SM_SN_E_clIS8_S8_S9_S9_EESK_S10_SL_SM_SN_EUlS10_E1_NS1_11comp_targetILNS1_3genE4ELNS1_11target_archE910ELNS1_3gpuE8ELNS1_3repE0EEENS1_36merge_oddeven_config_static_selectorELNS0_4arch9wavefront6targetE0EEEvSM_,comdat
	.globl	_ZN7rocprim17ROCPRIM_400000_NS6detail17trampoline_kernelINS0_14default_configENS1_38merge_sort_block_merge_config_selectorIlNS0_10empty_typeEEEZZNS1_27merge_sort_block_merge_implIS3_PlPS5_mZN2at6native12_GLOBAL__N_124unique_dim_cuda_templateIaEESt5tupleIJNSA_6TensorESF_SF_EERKSF_lbbbEUlllE_EE10hipError_tT0_T1_T2_jT3_P12ihipStream_tbPNSt15iterator_traitsISL_E10value_typeEPNSR_ISM_E10value_typeEPSN_NS1_7vsmem_tEENKUlT_SL_SM_SN_E_clIS8_S8_S9_S9_EESK_S10_SL_SM_SN_EUlS10_E1_NS1_11comp_targetILNS1_3genE4ELNS1_11target_archE910ELNS1_3gpuE8ELNS1_3repE0EEENS1_36merge_oddeven_config_static_selectorELNS0_4arch9wavefront6targetE0EEEvSM_ ; -- Begin function _ZN7rocprim17ROCPRIM_400000_NS6detail17trampoline_kernelINS0_14default_configENS1_38merge_sort_block_merge_config_selectorIlNS0_10empty_typeEEEZZNS1_27merge_sort_block_merge_implIS3_PlPS5_mZN2at6native12_GLOBAL__N_124unique_dim_cuda_templateIaEESt5tupleIJNSA_6TensorESF_SF_EERKSF_lbbbEUlllE_EE10hipError_tT0_T1_T2_jT3_P12ihipStream_tbPNSt15iterator_traitsISL_E10value_typeEPNSR_ISM_E10value_typeEPSN_NS1_7vsmem_tEENKUlT_SL_SM_SN_E_clIS8_S8_S9_S9_EESK_S10_SL_SM_SN_EUlS10_E1_NS1_11comp_targetILNS1_3genE4ELNS1_11target_archE910ELNS1_3gpuE8ELNS1_3repE0EEENS1_36merge_oddeven_config_static_selectorELNS0_4arch9wavefront6targetE0EEEvSM_
	.p2align	8
	.type	_ZN7rocprim17ROCPRIM_400000_NS6detail17trampoline_kernelINS0_14default_configENS1_38merge_sort_block_merge_config_selectorIlNS0_10empty_typeEEEZZNS1_27merge_sort_block_merge_implIS3_PlPS5_mZN2at6native12_GLOBAL__N_124unique_dim_cuda_templateIaEESt5tupleIJNSA_6TensorESF_SF_EERKSF_lbbbEUlllE_EE10hipError_tT0_T1_T2_jT3_P12ihipStream_tbPNSt15iterator_traitsISL_E10value_typeEPNSR_ISM_E10value_typeEPSN_NS1_7vsmem_tEENKUlT_SL_SM_SN_E_clIS8_S8_S9_S9_EESK_S10_SL_SM_SN_EUlS10_E1_NS1_11comp_targetILNS1_3genE4ELNS1_11target_archE910ELNS1_3gpuE8ELNS1_3repE0EEENS1_36merge_oddeven_config_static_selectorELNS0_4arch9wavefront6targetE0EEEvSM_,@function
_ZN7rocprim17ROCPRIM_400000_NS6detail17trampoline_kernelINS0_14default_configENS1_38merge_sort_block_merge_config_selectorIlNS0_10empty_typeEEEZZNS1_27merge_sort_block_merge_implIS3_PlPS5_mZN2at6native12_GLOBAL__N_124unique_dim_cuda_templateIaEESt5tupleIJNSA_6TensorESF_SF_EERKSF_lbbbEUlllE_EE10hipError_tT0_T1_T2_jT3_P12ihipStream_tbPNSt15iterator_traitsISL_E10value_typeEPNSR_ISM_E10value_typeEPSN_NS1_7vsmem_tEENKUlT_SL_SM_SN_E_clIS8_S8_S9_S9_EESK_S10_SL_SM_SN_EUlS10_E1_NS1_11comp_targetILNS1_3genE4ELNS1_11target_archE910ELNS1_3gpuE8ELNS1_3repE0EEENS1_36merge_oddeven_config_static_selectorELNS0_4arch9wavefront6targetE0EEEvSM_: ; @_ZN7rocprim17ROCPRIM_400000_NS6detail17trampoline_kernelINS0_14default_configENS1_38merge_sort_block_merge_config_selectorIlNS0_10empty_typeEEEZZNS1_27merge_sort_block_merge_implIS3_PlPS5_mZN2at6native12_GLOBAL__N_124unique_dim_cuda_templateIaEESt5tupleIJNSA_6TensorESF_SF_EERKSF_lbbbEUlllE_EE10hipError_tT0_T1_T2_jT3_P12ihipStream_tbPNSt15iterator_traitsISL_E10value_typeEPNSR_ISM_E10value_typeEPSN_NS1_7vsmem_tEENKUlT_SL_SM_SN_E_clIS8_S8_S9_S9_EESK_S10_SL_SM_SN_EUlS10_E1_NS1_11comp_targetILNS1_3genE4ELNS1_11target_archE910ELNS1_3gpuE8ELNS1_3repE0EEENS1_36merge_oddeven_config_static_selectorELNS0_4arch9wavefront6targetE0EEEvSM_
; %bb.0:
	.section	.rodata,"a",@progbits
	.p2align	6, 0x0
	.amdhsa_kernel _ZN7rocprim17ROCPRIM_400000_NS6detail17trampoline_kernelINS0_14default_configENS1_38merge_sort_block_merge_config_selectorIlNS0_10empty_typeEEEZZNS1_27merge_sort_block_merge_implIS3_PlPS5_mZN2at6native12_GLOBAL__N_124unique_dim_cuda_templateIaEESt5tupleIJNSA_6TensorESF_SF_EERKSF_lbbbEUlllE_EE10hipError_tT0_T1_T2_jT3_P12ihipStream_tbPNSt15iterator_traitsISL_E10value_typeEPNSR_ISM_E10value_typeEPSN_NS1_7vsmem_tEENKUlT_SL_SM_SN_E_clIS8_S8_S9_S9_EESK_S10_SL_SM_SN_EUlS10_E1_NS1_11comp_targetILNS1_3genE4ELNS1_11target_archE910ELNS1_3gpuE8ELNS1_3repE0EEENS1_36merge_oddeven_config_static_selectorELNS0_4arch9wavefront6targetE0EEEvSM_
		.amdhsa_group_segment_fixed_size 0
		.amdhsa_private_segment_fixed_size 0
		.amdhsa_kernarg_size 64
		.amdhsa_user_sgpr_count 15
		.amdhsa_user_sgpr_dispatch_ptr 0
		.amdhsa_user_sgpr_queue_ptr 0
		.amdhsa_user_sgpr_kernarg_segment_ptr 1
		.amdhsa_user_sgpr_dispatch_id 0
		.amdhsa_user_sgpr_private_segment_size 0
		.amdhsa_wavefront_size32 1
		.amdhsa_uses_dynamic_stack 0
		.amdhsa_enable_private_segment 0
		.amdhsa_system_sgpr_workgroup_id_x 1
		.amdhsa_system_sgpr_workgroup_id_y 0
		.amdhsa_system_sgpr_workgroup_id_z 0
		.amdhsa_system_sgpr_workgroup_info 0
		.amdhsa_system_vgpr_workitem_id 0
		.amdhsa_next_free_vgpr 1
		.amdhsa_next_free_sgpr 1
		.amdhsa_reserve_vcc 0
		.amdhsa_float_round_mode_32 0
		.amdhsa_float_round_mode_16_64 0
		.amdhsa_float_denorm_mode_32 3
		.amdhsa_float_denorm_mode_16_64 3
		.amdhsa_dx10_clamp 1
		.amdhsa_ieee_mode 1
		.amdhsa_fp16_overflow 0
		.amdhsa_workgroup_processor_mode 1
		.amdhsa_memory_ordered 1
		.amdhsa_forward_progress 0
		.amdhsa_shared_vgpr_count 0
		.amdhsa_exception_fp_ieee_invalid_op 0
		.amdhsa_exception_fp_denorm_src 0
		.amdhsa_exception_fp_ieee_div_zero 0
		.amdhsa_exception_fp_ieee_overflow 0
		.amdhsa_exception_fp_ieee_underflow 0
		.amdhsa_exception_fp_ieee_inexact 0
		.amdhsa_exception_int_div_zero 0
	.end_amdhsa_kernel
	.section	.text._ZN7rocprim17ROCPRIM_400000_NS6detail17trampoline_kernelINS0_14default_configENS1_38merge_sort_block_merge_config_selectorIlNS0_10empty_typeEEEZZNS1_27merge_sort_block_merge_implIS3_PlPS5_mZN2at6native12_GLOBAL__N_124unique_dim_cuda_templateIaEESt5tupleIJNSA_6TensorESF_SF_EERKSF_lbbbEUlllE_EE10hipError_tT0_T1_T2_jT3_P12ihipStream_tbPNSt15iterator_traitsISL_E10value_typeEPNSR_ISM_E10value_typeEPSN_NS1_7vsmem_tEENKUlT_SL_SM_SN_E_clIS8_S8_S9_S9_EESK_S10_SL_SM_SN_EUlS10_E1_NS1_11comp_targetILNS1_3genE4ELNS1_11target_archE910ELNS1_3gpuE8ELNS1_3repE0EEENS1_36merge_oddeven_config_static_selectorELNS0_4arch9wavefront6targetE0EEEvSM_,"axG",@progbits,_ZN7rocprim17ROCPRIM_400000_NS6detail17trampoline_kernelINS0_14default_configENS1_38merge_sort_block_merge_config_selectorIlNS0_10empty_typeEEEZZNS1_27merge_sort_block_merge_implIS3_PlPS5_mZN2at6native12_GLOBAL__N_124unique_dim_cuda_templateIaEESt5tupleIJNSA_6TensorESF_SF_EERKSF_lbbbEUlllE_EE10hipError_tT0_T1_T2_jT3_P12ihipStream_tbPNSt15iterator_traitsISL_E10value_typeEPNSR_ISM_E10value_typeEPSN_NS1_7vsmem_tEENKUlT_SL_SM_SN_E_clIS8_S8_S9_S9_EESK_S10_SL_SM_SN_EUlS10_E1_NS1_11comp_targetILNS1_3genE4ELNS1_11target_archE910ELNS1_3gpuE8ELNS1_3repE0EEENS1_36merge_oddeven_config_static_selectorELNS0_4arch9wavefront6targetE0EEEvSM_,comdat
.Lfunc_end289:
	.size	_ZN7rocprim17ROCPRIM_400000_NS6detail17trampoline_kernelINS0_14default_configENS1_38merge_sort_block_merge_config_selectorIlNS0_10empty_typeEEEZZNS1_27merge_sort_block_merge_implIS3_PlPS5_mZN2at6native12_GLOBAL__N_124unique_dim_cuda_templateIaEESt5tupleIJNSA_6TensorESF_SF_EERKSF_lbbbEUlllE_EE10hipError_tT0_T1_T2_jT3_P12ihipStream_tbPNSt15iterator_traitsISL_E10value_typeEPNSR_ISM_E10value_typeEPSN_NS1_7vsmem_tEENKUlT_SL_SM_SN_E_clIS8_S8_S9_S9_EESK_S10_SL_SM_SN_EUlS10_E1_NS1_11comp_targetILNS1_3genE4ELNS1_11target_archE910ELNS1_3gpuE8ELNS1_3repE0EEENS1_36merge_oddeven_config_static_selectorELNS0_4arch9wavefront6targetE0EEEvSM_, .Lfunc_end289-_ZN7rocprim17ROCPRIM_400000_NS6detail17trampoline_kernelINS0_14default_configENS1_38merge_sort_block_merge_config_selectorIlNS0_10empty_typeEEEZZNS1_27merge_sort_block_merge_implIS3_PlPS5_mZN2at6native12_GLOBAL__N_124unique_dim_cuda_templateIaEESt5tupleIJNSA_6TensorESF_SF_EERKSF_lbbbEUlllE_EE10hipError_tT0_T1_T2_jT3_P12ihipStream_tbPNSt15iterator_traitsISL_E10value_typeEPNSR_ISM_E10value_typeEPSN_NS1_7vsmem_tEENKUlT_SL_SM_SN_E_clIS8_S8_S9_S9_EESK_S10_SL_SM_SN_EUlS10_E1_NS1_11comp_targetILNS1_3genE4ELNS1_11target_archE910ELNS1_3gpuE8ELNS1_3repE0EEENS1_36merge_oddeven_config_static_selectorELNS0_4arch9wavefront6targetE0EEEvSM_
                                        ; -- End function
	.section	.AMDGPU.csdata,"",@progbits
; Kernel info:
; codeLenInByte = 0
; NumSgprs: 0
; NumVgprs: 0
; ScratchSize: 0
; MemoryBound: 0
; FloatMode: 240
; IeeeMode: 1
; LDSByteSize: 0 bytes/workgroup (compile time only)
; SGPRBlocks: 0
; VGPRBlocks: 0
; NumSGPRsForWavesPerEU: 1
; NumVGPRsForWavesPerEU: 1
; Occupancy: 16
; WaveLimiterHint : 0
; COMPUTE_PGM_RSRC2:SCRATCH_EN: 0
; COMPUTE_PGM_RSRC2:USER_SGPR: 15
; COMPUTE_PGM_RSRC2:TRAP_HANDLER: 0
; COMPUTE_PGM_RSRC2:TGID_X_EN: 1
; COMPUTE_PGM_RSRC2:TGID_Y_EN: 0
; COMPUTE_PGM_RSRC2:TGID_Z_EN: 0
; COMPUTE_PGM_RSRC2:TIDIG_COMP_CNT: 0
	.section	.text._ZN7rocprim17ROCPRIM_400000_NS6detail17trampoline_kernelINS0_14default_configENS1_38merge_sort_block_merge_config_selectorIlNS0_10empty_typeEEEZZNS1_27merge_sort_block_merge_implIS3_PlPS5_mZN2at6native12_GLOBAL__N_124unique_dim_cuda_templateIaEESt5tupleIJNSA_6TensorESF_SF_EERKSF_lbbbEUlllE_EE10hipError_tT0_T1_T2_jT3_P12ihipStream_tbPNSt15iterator_traitsISL_E10value_typeEPNSR_ISM_E10value_typeEPSN_NS1_7vsmem_tEENKUlT_SL_SM_SN_E_clIS8_S8_S9_S9_EESK_S10_SL_SM_SN_EUlS10_E1_NS1_11comp_targetILNS1_3genE3ELNS1_11target_archE908ELNS1_3gpuE7ELNS1_3repE0EEENS1_36merge_oddeven_config_static_selectorELNS0_4arch9wavefront6targetE0EEEvSM_,"axG",@progbits,_ZN7rocprim17ROCPRIM_400000_NS6detail17trampoline_kernelINS0_14default_configENS1_38merge_sort_block_merge_config_selectorIlNS0_10empty_typeEEEZZNS1_27merge_sort_block_merge_implIS3_PlPS5_mZN2at6native12_GLOBAL__N_124unique_dim_cuda_templateIaEESt5tupleIJNSA_6TensorESF_SF_EERKSF_lbbbEUlllE_EE10hipError_tT0_T1_T2_jT3_P12ihipStream_tbPNSt15iterator_traitsISL_E10value_typeEPNSR_ISM_E10value_typeEPSN_NS1_7vsmem_tEENKUlT_SL_SM_SN_E_clIS8_S8_S9_S9_EESK_S10_SL_SM_SN_EUlS10_E1_NS1_11comp_targetILNS1_3genE3ELNS1_11target_archE908ELNS1_3gpuE7ELNS1_3repE0EEENS1_36merge_oddeven_config_static_selectorELNS0_4arch9wavefront6targetE0EEEvSM_,comdat
	.globl	_ZN7rocprim17ROCPRIM_400000_NS6detail17trampoline_kernelINS0_14default_configENS1_38merge_sort_block_merge_config_selectorIlNS0_10empty_typeEEEZZNS1_27merge_sort_block_merge_implIS3_PlPS5_mZN2at6native12_GLOBAL__N_124unique_dim_cuda_templateIaEESt5tupleIJNSA_6TensorESF_SF_EERKSF_lbbbEUlllE_EE10hipError_tT0_T1_T2_jT3_P12ihipStream_tbPNSt15iterator_traitsISL_E10value_typeEPNSR_ISM_E10value_typeEPSN_NS1_7vsmem_tEENKUlT_SL_SM_SN_E_clIS8_S8_S9_S9_EESK_S10_SL_SM_SN_EUlS10_E1_NS1_11comp_targetILNS1_3genE3ELNS1_11target_archE908ELNS1_3gpuE7ELNS1_3repE0EEENS1_36merge_oddeven_config_static_selectorELNS0_4arch9wavefront6targetE0EEEvSM_ ; -- Begin function _ZN7rocprim17ROCPRIM_400000_NS6detail17trampoline_kernelINS0_14default_configENS1_38merge_sort_block_merge_config_selectorIlNS0_10empty_typeEEEZZNS1_27merge_sort_block_merge_implIS3_PlPS5_mZN2at6native12_GLOBAL__N_124unique_dim_cuda_templateIaEESt5tupleIJNSA_6TensorESF_SF_EERKSF_lbbbEUlllE_EE10hipError_tT0_T1_T2_jT3_P12ihipStream_tbPNSt15iterator_traitsISL_E10value_typeEPNSR_ISM_E10value_typeEPSN_NS1_7vsmem_tEENKUlT_SL_SM_SN_E_clIS8_S8_S9_S9_EESK_S10_SL_SM_SN_EUlS10_E1_NS1_11comp_targetILNS1_3genE3ELNS1_11target_archE908ELNS1_3gpuE7ELNS1_3repE0EEENS1_36merge_oddeven_config_static_selectorELNS0_4arch9wavefront6targetE0EEEvSM_
	.p2align	8
	.type	_ZN7rocprim17ROCPRIM_400000_NS6detail17trampoline_kernelINS0_14default_configENS1_38merge_sort_block_merge_config_selectorIlNS0_10empty_typeEEEZZNS1_27merge_sort_block_merge_implIS3_PlPS5_mZN2at6native12_GLOBAL__N_124unique_dim_cuda_templateIaEESt5tupleIJNSA_6TensorESF_SF_EERKSF_lbbbEUlllE_EE10hipError_tT0_T1_T2_jT3_P12ihipStream_tbPNSt15iterator_traitsISL_E10value_typeEPNSR_ISM_E10value_typeEPSN_NS1_7vsmem_tEENKUlT_SL_SM_SN_E_clIS8_S8_S9_S9_EESK_S10_SL_SM_SN_EUlS10_E1_NS1_11comp_targetILNS1_3genE3ELNS1_11target_archE908ELNS1_3gpuE7ELNS1_3repE0EEENS1_36merge_oddeven_config_static_selectorELNS0_4arch9wavefront6targetE0EEEvSM_,@function
_ZN7rocprim17ROCPRIM_400000_NS6detail17trampoline_kernelINS0_14default_configENS1_38merge_sort_block_merge_config_selectorIlNS0_10empty_typeEEEZZNS1_27merge_sort_block_merge_implIS3_PlPS5_mZN2at6native12_GLOBAL__N_124unique_dim_cuda_templateIaEESt5tupleIJNSA_6TensorESF_SF_EERKSF_lbbbEUlllE_EE10hipError_tT0_T1_T2_jT3_P12ihipStream_tbPNSt15iterator_traitsISL_E10value_typeEPNSR_ISM_E10value_typeEPSN_NS1_7vsmem_tEENKUlT_SL_SM_SN_E_clIS8_S8_S9_S9_EESK_S10_SL_SM_SN_EUlS10_E1_NS1_11comp_targetILNS1_3genE3ELNS1_11target_archE908ELNS1_3gpuE7ELNS1_3repE0EEENS1_36merge_oddeven_config_static_selectorELNS0_4arch9wavefront6targetE0EEEvSM_: ; @_ZN7rocprim17ROCPRIM_400000_NS6detail17trampoline_kernelINS0_14default_configENS1_38merge_sort_block_merge_config_selectorIlNS0_10empty_typeEEEZZNS1_27merge_sort_block_merge_implIS3_PlPS5_mZN2at6native12_GLOBAL__N_124unique_dim_cuda_templateIaEESt5tupleIJNSA_6TensorESF_SF_EERKSF_lbbbEUlllE_EE10hipError_tT0_T1_T2_jT3_P12ihipStream_tbPNSt15iterator_traitsISL_E10value_typeEPNSR_ISM_E10value_typeEPSN_NS1_7vsmem_tEENKUlT_SL_SM_SN_E_clIS8_S8_S9_S9_EESK_S10_SL_SM_SN_EUlS10_E1_NS1_11comp_targetILNS1_3genE3ELNS1_11target_archE908ELNS1_3gpuE7ELNS1_3repE0EEENS1_36merge_oddeven_config_static_selectorELNS0_4arch9wavefront6targetE0EEEvSM_
; %bb.0:
	.section	.rodata,"a",@progbits
	.p2align	6, 0x0
	.amdhsa_kernel _ZN7rocprim17ROCPRIM_400000_NS6detail17trampoline_kernelINS0_14default_configENS1_38merge_sort_block_merge_config_selectorIlNS0_10empty_typeEEEZZNS1_27merge_sort_block_merge_implIS3_PlPS5_mZN2at6native12_GLOBAL__N_124unique_dim_cuda_templateIaEESt5tupleIJNSA_6TensorESF_SF_EERKSF_lbbbEUlllE_EE10hipError_tT0_T1_T2_jT3_P12ihipStream_tbPNSt15iterator_traitsISL_E10value_typeEPNSR_ISM_E10value_typeEPSN_NS1_7vsmem_tEENKUlT_SL_SM_SN_E_clIS8_S8_S9_S9_EESK_S10_SL_SM_SN_EUlS10_E1_NS1_11comp_targetILNS1_3genE3ELNS1_11target_archE908ELNS1_3gpuE7ELNS1_3repE0EEENS1_36merge_oddeven_config_static_selectorELNS0_4arch9wavefront6targetE0EEEvSM_
		.amdhsa_group_segment_fixed_size 0
		.amdhsa_private_segment_fixed_size 0
		.amdhsa_kernarg_size 64
		.amdhsa_user_sgpr_count 15
		.amdhsa_user_sgpr_dispatch_ptr 0
		.amdhsa_user_sgpr_queue_ptr 0
		.amdhsa_user_sgpr_kernarg_segment_ptr 1
		.amdhsa_user_sgpr_dispatch_id 0
		.amdhsa_user_sgpr_private_segment_size 0
		.amdhsa_wavefront_size32 1
		.amdhsa_uses_dynamic_stack 0
		.amdhsa_enable_private_segment 0
		.amdhsa_system_sgpr_workgroup_id_x 1
		.amdhsa_system_sgpr_workgroup_id_y 0
		.amdhsa_system_sgpr_workgroup_id_z 0
		.amdhsa_system_sgpr_workgroup_info 0
		.amdhsa_system_vgpr_workitem_id 0
		.amdhsa_next_free_vgpr 1
		.amdhsa_next_free_sgpr 1
		.amdhsa_reserve_vcc 0
		.amdhsa_float_round_mode_32 0
		.amdhsa_float_round_mode_16_64 0
		.amdhsa_float_denorm_mode_32 3
		.amdhsa_float_denorm_mode_16_64 3
		.amdhsa_dx10_clamp 1
		.amdhsa_ieee_mode 1
		.amdhsa_fp16_overflow 0
		.amdhsa_workgroup_processor_mode 1
		.amdhsa_memory_ordered 1
		.amdhsa_forward_progress 0
		.amdhsa_shared_vgpr_count 0
		.amdhsa_exception_fp_ieee_invalid_op 0
		.amdhsa_exception_fp_denorm_src 0
		.amdhsa_exception_fp_ieee_div_zero 0
		.amdhsa_exception_fp_ieee_overflow 0
		.amdhsa_exception_fp_ieee_underflow 0
		.amdhsa_exception_fp_ieee_inexact 0
		.amdhsa_exception_int_div_zero 0
	.end_amdhsa_kernel
	.section	.text._ZN7rocprim17ROCPRIM_400000_NS6detail17trampoline_kernelINS0_14default_configENS1_38merge_sort_block_merge_config_selectorIlNS0_10empty_typeEEEZZNS1_27merge_sort_block_merge_implIS3_PlPS5_mZN2at6native12_GLOBAL__N_124unique_dim_cuda_templateIaEESt5tupleIJNSA_6TensorESF_SF_EERKSF_lbbbEUlllE_EE10hipError_tT0_T1_T2_jT3_P12ihipStream_tbPNSt15iterator_traitsISL_E10value_typeEPNSR_ISM_E10value_typeEPSN_NS1_7vsmem_tEENKUlT_SL_SM_SN_E_clIS8_S8_S9_S9_EESK_S10_SL_SM_SN_EUlS10_E1_NS1_11comp_targetILNS1_3genE3ELNS1_11target_archE908ELNS1_3gpuE7ELNS1_3repE0EEENS1_36merge_oddeven_config_static_selectorELNS0_4arch9wavefront6targetE0EEEvSM_,"axG",@progbits,_ZN7rocprim17ROCPRIM_400000_NS6detail17trampoline_kernelINS0_14default_configENS1_38merge_sort_block_merge_config_selectorIlNS0_10empty_typeEEEZZNS1_27merge_sort_block_merge_implIS3_PlPS5_mZN2at6native12_GLOBAL__N_124unique_dim_cuda_templateIaEESt5tupleIJNSA_6TensorESF_SF_EERKSF_lbbbEUlllE_EE10hipError_tT0_T1_T2_jT3_P12ihipStream_tbPNSt15iterator_traitsISL_E10value_typeEPNSR_ISM_E10value_typeEPSN_NS1_7vsmem_tEENKUlT_SL_SM_SN_E_clIS8_S8_S9_S9_EESK_S10_SL_SM_SN_EUlS10_E1_NS1_11comp_targetILNS1_3genE3ELNS1_11target_archE908ELNS1_3gpuE7ELNS1_3repE0EEENS1_36merge_oddeven_config_static_selectorELNS0_4arch9wavefront6targetE0EEEvSM_,comdat
.Lfunc_end290:
	.size	_ZN7rocprim17ROCPRIM_400000_NS6detail17trampoline_kernelINS0_14default_configENS1_38merge_sort_block_merge_config_selectorIlNS0_10empty_typeEEEZZNS1_27merge_sort_block_merge_implIS3_PlPS5_mZN2at6native12_GLOBAL__N_124unique_dim_cuda_templateIaEESt5tupleIJNSA_6TensorESF_SF_EERKSF_lbbbEUlllE_EE10hipError_tT0_T1_T2_jT3_P12ihipStream_tbPNSt15iterator_traitsISL_E10value_typeEPNSR_ISM_E10value_typeEPSN_NS1_7vsmem_tEENKUlT_SL_SM_SN_E_clIS8_S8_S9_S9_EESK_S10_SL_SM_SN_EUlS10_E1_NS1_11comp_targetILNS1_3genE3ELNS1_11target_archE908ELNS1_3gpuE7ELNS1_3repE0EEENS1_36merge_oddeven_config_static_selectorELNS0_4arch9wavefront6targetE0EEEvSM_, .Lfunc_end290-_ZN7rocprim17ROCPRIM_400000_NS6detail17trampoline_kernelINS0_14default_configENS1_38merge_sort_block_merge_config_selectorIlNS0_10empty_typeEEEZZNS1_27merge_sort_block_merge_implIS3_PlPS5_mZN2at6native12_GLOBAL__N_124unique_dim_cuda_templateIaEESt5tupleIJNSA_6TensorESF_SF_EERKSF_lbbbEUlllE_EE10hipError_tT0_T1_T2_jT3_P12ihipStream_tbPNSt15iterator_traitsISL_E10value_typeEPNSR_ISM_E10value_typeEPSN_NS1_7vsmem_tEENKUlT_SL_SM_SN_E_clIS8_S8_S9_S9_EESK_S10_SL_SM_SN_EUlS10_E1_NS1_11comp_targetILNS1_3genE3ELNS1_11target_archE908ELNS1_3gpuE7ELNS1_3repE0EEENS1_36merge_oddeven_config_static_selectorELNS0_4arch9wavefront6targetE0EEEvSM_
                                        ; -- End function
	.section	.AMDGPU.csdata,"",@progbits
; Kernel info:
; codeLenInByte = 0
; NumSgprs: 0
; NumVgprs: 0
; ScratchSize: 0
; MemoryBound: 0
; FloatMode: 240
; IeeeMode: 1
; LDSByteSize: 0 bytes/workgroup (compile time only)
; SGPRBlocks: 0
; VGPRBlocks: 0
; NumSGPRsForWavesPerEU: 1
; NumVGPRsForWavesPerEU: 1
; Occupancy: 16
; WaveLimiterHint : 0
; COMPUTE_PGM_RSRC2:SCRATCH_EN: 0
; COMPUTE_PGM_RSRC2:USER_SGPR: 15
; COMPUTE_PGM_RSRC2:TRAP_HANDLER: 0
; COMPUTE_PGM_RSRC2:TGID_X_EN: 1
; COMPUTE_PGM_RSRC2:TGID_Y_EN: 0
; COMPUTE_PGM_RSRC2:TGID_Z_EN: 0
; COMPUTE_PGM_RSRC2:TIDIG_COMP_CNT: 0
	.section	.text._ZN7rocprim17ROCPRIM_400000_NS6detail17trampoline_kernelINS0_14default_configENS1_38merge_sort_block_merge_config_selectorIlNS0_10empty_typeEEEZZNS1_27merge_sort_block_merge_implIS3_PlPS5_mZN2at6native12_GLOBAL__N_124unique_dim_cuda_templateIaEESt5tupleIJNSA_6TensorESF_SF_EERKSF_lbbbEUlllE_EE10hipError_tT0_T1_T2_jT3_P12ihipStream_tbPNSt15iterator_traitsISL_E10value_typeEPNSR_ISM_E10value_typeEPSN_NS1_7vsmem_tEENKUlT_SL_SM_SN_E_clIS8_S8_S9_S9_EESK_S10_SL_SM_SN_EUlS10_E1_NS1_11comp_targetILNS1_3genE2ELNS1_11target_archE906ELNS1_3gpuE6ELNS1_3repE0EEENS1_36merge_oddeven_config_static_selectorELNS0_4arch9wavefront6targetE0EEEvSM_,"axG",@progbits,_ZN7rocprim17ROCPRIM_400000_NS6detail17trampoline_kernelINS0_14default_configENS1_38merge_sort_block_merge_config_selectorIlNS0_10empty_typeEEEZZNS1_27merge_sort_block_merge_implIS3_PlPS5_mZN2at6native12_GLOBAL__N_124unique_dim_cuda_templateIaEESt5tupleIJNSA_6TensorESF_SF_EERKSF_lbbbEUlllE_EE10hipError_tT0_T1_T2_jT3_P12ihipStream_tbPNSt15iterator_traitsISL_E10value_typeEPNSR_ISM_E10value_typeEPSN_NS1_7vsmem_tEENKUlT_SL_SM_SN_E_clIS8_S8_S9_S9_EESK_S10_SL_SM_SN_EUlS10_E1_NS1_11comp_targetILNS1_3genE2ELNS1_11target_archE906ELNS1_3gpuE6ELNS1_3repE0EEENS1_36merge_oddeven_config_static_selectorELNS0_4arch9wavefront6targetE0EEEvSM_,comdat
	.globl	_ZN7rocprim17ROCPRIM_400000_NS6detail17trampoline_kernelINS0_14default_configENS1_38merge_sort_block_merge_config_selectorIlNS0_10empty_typeEEEZZNS1_27merge_sort_block_merge_implIS3_PlPS5_mZN2at6native12_GLOBAL__N_124unique_dim_cuda_templateIaEESt5tupleIJNSA_6TensorESF_SF_EERKSF_lbbbEUlllE_EE10hipError_tT0_T1_T2_jT3_P12ihipStream_tbPNSt15iterator_traitsISL_E10value_typeEPNSR_ISM_E10value_typeEPSN_NS1_7vsmem_tEENKUlT_SL_SM_SN_E_clIS8_S8_S9_S9_EESK_S10_SL_SM_SN_EUlS10_E1_NS1_11comp_targetILNS1_3genE2ELNS1_11target_archE906ELNS1_3gpuE6ELNS1_3repE0EEENS1_36merge_oddeven_config_static_selectorELNS0_4arch9wavefront6targetE0EEEvSM_ ; -- Begin function _ZN7rocprim17ROCPRIM_400000_NS6detail17trampoline_kernelINS0_14default_configENS1_38merge_sort_block_merge_config_selectorIlNS0_10empty_typeEEEZZNS1_27merge_sort_block_merge_implIS3_PlPS5_mZN2at6native12_GLOBAL__N_124unique_dim_cuda_templateIaEESt5tupleIJNSA_6TensorESF_SF_EERKSF_lbbbEUlllE_EE10hipError_tT0_T1_T2_jT3_P12ihipStream_tbPNSt15iterator_traitsISL_E10value_typeEPNSR_ISM_E10value_typeEPSN_NS1_7vsmem_tEENKUlT_SL_SM_SN_E_clIS8_S8_S9_S9_EESK_S10_SL_SM_SN_EUlS10_E1_NS1_11comp_targetILNS1_3genE2ELNS1_11target_archE906ELNS1_3gpuE6ELNS1_3repE0EEENS1_36merge_oddeven_config_static_selectorELNS0_4arch9wavefront6targetE0EEEvSM_
	.p2align	8
	.type	_ZN7rocprim17ROCPRIM_400000_NS6detail17trampoline_kernelINS0_14default_configENS1_38merge_sort_block_merge_config_selectorIlNS0_10empty_typeEEEZZNS1_27merge_sort_block_merge_implIS3_PlPS5_mZN2at6native12_GLOBAL__N_124unique_dim_cuda_templateIaEESt5tupleIJNSA_6TensorESF_SF_EERKSF_lbbbEUlllE_EE10hipError_tT0_T1_T2_jT3_P12ihipStream_tbPNSt15iterator_traitsISL_E10value_typeEPNSR_ISM_E10value_typeEPSN_NS1_7vsmem_tEENKUlT_SL_SM_SN_E_clIS8_S8_S9_S9_EESK_S10_SL_SM_SN_EUlS10_E1_NS1_11comp_targetILNS1_3genE2ELNS1_11target_archE906ELNS1_3gpuE6ELNS1_3repE0EEENS1_36merge_oddeven_config_static_selectorELNS0_4arch9wavefront6targetE0EEEvSM_,@function
_ZN7rocprim17ROCPRIM_400000_NS6detail17trampoline_kernelINS0_14default_configENS1_38merge_sort_block_merge_config_selectorIlNS0_10empty_typeEEEZZNS1_27merge_sort_block_merge_implIS3_PlPS5_mZN2at6native12_GLOBAL__N_124unique_dim_cuda_templateIaEESt5tupleIJNSA_6TensorESF_SF_EERKSF_lbbbEUlllE_EE10hipError_tT0_T1_T2_jT3_P12ihipStream_tbPNSt15iterator_traitsISL_E10value_typeEPNSR_ISM_E10value_typeEPSN_NS1_7vsmem_tEENKUlT_SL_SM_SN_E_clIS8_S8_S9_S9_EESK_S10_SL_SM_SN_EUlS10_E1_NS1_11comp_targetILNS1_3genE2ELNS1_11target_archE906ELNS1_3gpuE6ELNS1_3repE0EEENS1_36merge_oddeven_config_static_selectorELNS0_4arch9wavefront6targetE0EEEvSM_: ; @_ZN7rocprim17ROCPRIM_400000_NS6detail17trampoline_kernelINS0_14default_configENS1_38merge_sort_block_merge_config_selectorIlNS0_10empty_typeEEEZZNS1_27merge_sort_block_merge_implIS3_PlPS5_mZN2at6native12_GLOBAL__N_124unique_dim_cuda_templateIaEESt5tupleIJNSA_6TensorESF_SF_EERKSF_lbbbEUlllE_EE10hipError_tT0_T1_T2_jT3_P12ihipStream_tbPNSt15iterator_traitsISL_E10value_typeEPNSR_ISM_E10value_typeEPSN_NS1_7vsmem_tEENKUlT_SL_SM_SN_E_clIS8_S8_S9_S9_EESK_S10_SL_SM_SN_EUlS10_E1_NS1_11comp_targetILNS1_3genE2ELNS1_11target_archE906ELNS1_3gpuE6ELNS1_3repE0EEENS1_36merge_oddeven_config_static_selectorELNS0_4arch9wavefront6targetE0EEEvSM_
; %bb.0:
	.section	.rodata,"a",@progbits
	.p2align	6, 0x0
	.amdhsa_kernel _ZN7rocprim17ROCPRIM_400000_NS6detail17trampoline_kernelINS0_14default_configENS1_38merge_sort_block_merge_config_selectorIlNS0_10empty_typeEEEZZNS1_27merge_sort_block_merge_implIS3_PlPS5_mZN2at6native12_GLOBAL__N_124unique_dim_cuda_templateIaEESt5tupleIJNSA_6TensorESF_SF_EERKSF_lbbbEUlllE_EE10hipError_tT0_T1_T2_jT3_P12ihipStream_tbPNSt15iterator_traitsISL_E10value_typeEPNSR_ISM_E10value_typeEPSN_NS1_7vsmem_tEENKUlT_SL_SM_SN_E_clIS8_S8_S9_S9_EESK_S10_SL_SM_SN_EUlS10_E1_NS1_11comp_targetILNS1_3genE2ELNS1_11target_archE906ELNS1_3gpuE6ELNS1_3repE0EEENS1_36merge_oddeven_config_static_selectorELNS0_4arch9wavefront6targetE0EEEvSM_
		.amdhsa_group_segment_fixed_size 0
		.amdhsa_private_segment_fixed_size 0
		.amdhsa_kernarg_size 64
		.amdhsa_user_sgpr_count 15
		.amdhsa_user_sgpr_dispatch_ptr 0
		.amdhsa_user_sgpr_queue_ptr 0
		.amdhsa_user_sgpr_kernarg_segment_ptr 1
		.amdhsa_user_sgpr_dispatch_id 0
		.amdhsa_user_sgpr_private_segment_size 0
		.amdhsa_wavefront_size32 1
		.amdhsa_uses_dynamic_stack 0
		.amdhsa_enable_private_segment 0
		.amdhsa_system_sgpr_workgroup_id_x 1
		.amdhsa_system_sgpr_workgroup_id_y 0
		.amdhsa_system_sgpr_workgroup_id_z 0
		.amdhsa_system_sgpr_workgroup_info 0
		.amdhsa_system_vgpr_workitem_id 0
		.amdhsa_next_free_vgpr 1
		.amdhsa_next_free_sgpr 1
		.amdhsa_reserve_vcc 0
		.amdhsa_float_round_mode_32 0
		.amdhsa_float_round_mode_16_64 0
		.amdhsa_float_denorm_mode_32 3
		.amdhsa_float_denorm_mode_16_64 3
		.amdhsa_dx10_clamp 1
		.amdhsa_ieee_mode 1
		.amdhsa_fp16_overflow 0
		.amdhsa_workgroup_processor_mode 1
		.amdhsa_memory_ordered 1
		.amdhsa_forward_progress 0
		.amdhsa_shared_vgpr_count 0
		.amdhsa_exception_fp_ieee_invalid_op 0
		.amdhsa_exception_fp_denorm_src 0
		.amdhsa_exception_fp_ieee_div_zero 0
		.amdhsa_exception_fp_ieee_overflow 0
		.amdhsa_exception_fp_ieee_underflow 0
		.amdhsa_exception_fp_ieee_inexact 0
		.amdhsa_exception_int_div_zero 0
	.end_amdhsa_kernel
	.section	.text._ZN7rocprim17ROCPRIM_400000_NS6detail17trampoline_kernelINS0_14default_configENS1_38merge_sort_block_merge_config_selectorIlNS0_10empty_typeEEEZZNS1_27merge_sort_block_merge_implIS3_PlPS5_mZN2at6native12_GLOBAL__N_124unique_dim_cuda_templateIaEESt5tupleIJNSA_6TensorESF_SF_EERKSF_lbbbEUlllE_EE10hipError_tT0_T1_T2_jT3_P12ihipStream_tbPNSt15iterator_traitsISL_E10value_typeEPNSR_ISM_E10value_typeEPSN_NS1_7vsmem_tEENKUlT_SL_SM_SN_E_clIS8_S8_S9_S9_EESK_S10_SL_SM_SN_EUlS10_E1_NS1_11comp_targetILNS1_3genE2ELNS1_11target_archE906ELNS1_3gpuE6ELNS1_3repE0EEENS1_36merge_oddeven_config_static_selectorELNS0_4arch9wavefront6targetE0EEEvSM_,"axG",@progbits,_ZN7rocprim17ROCPRIM_400000_NS6detail17trampoline_kernelINS0_14default_configENS1_38merge_sort_block_merge_config_selectorIlNS0_10empty_typeEEEZZNS1_27merge_sort_block_merge_implIS3_PlPS5_mZN2at6native12_GLOBAL__N_124unique_dim_cuda_templateIaEESt5tupleIJNSA_6TensorESF_SF_EERKSF_lbbbEUlllE_EE10hipError_tT0_T1_T2_jT3_P12ihipStream_tbPNSt15iterator_traitsISL_E10value_typeEPNSR_ISM_E10value_typeEPSN_NS1_7vsmem_tEENKUlT_SL_SM_SN_E_clIS8_S8_S9_S9_EESK_S10_SL_SM_SN_EUlS10_E1_NS1_11comp_targetILNS1_3genE2ELNS1_11target_archE906ELNS1_3gpuE6ELNS1_3repE0EEENS1_36merge_oddeven_config_static_selectorELNS0_4arch9wavefront6targetE0EEEvSM_,comdat
.Lfunc_end291:
	.size	_ZN7rocprim17ROCPRIM_400000_NS6detail17trampoline_kernelINS0_14default_configENS1_38merge_sort_block_merge_config_selectorIlNS0_10empty_typeEEEZZNS1_27merge_sort_block_merge_implIS3_PlPS5_mZN2at6native12_GLOBAL__N_124unique_dim_cuda_templateIaEESt5tupleIJNSA_6TensorESF_SF_EERKSF_lbbbEUlllE_EE10hipError_tT0_T1_T2_jT3_P12ihipStream_tbPNSt15iterator_traitsISL_E10value_typeEPNSR_ISM_E10value_typeEPSN_NS1_7vsmem_tEENKUlT_SL_SM_SN_E_clIS8_S8_S9_S9_EESK_S10_SL_SM_SN_EUlS10_E1_NS1_11comp_targetILNS1_3genE2ELNS1_11target_archE906ELNS1_3gpuE6ELNS1_3repE0EEENS1_36merge_oddeven_config_static_selectorELNS0_4arch9wavefront6targetE0EEEvSM_, .Lfunc_end291-_ZN7rocprim17ROCPRIM_400000_NS6detail17trampoline_kernelINS0_14default_configENS1_38merge_sort_block_merge_config_selectorIlNS0_10empty_typeEEEZZNS1_27merge_sort_block_merge_implIS3_PlPS5_mZN2at6native12_GLOBAL__N_124unique_dim_cuda_templateIaEESt5tupleIJNSA_6TensorESF_SF_EERKSF_lbbbEUlllE_EE10hipError_tT0_T1_T2_jT3_P12ihipStream_tbPNSt15iterator_traitsISL_E10value_typeEPNSR_ISM_E10value_typeEPSN_NS1_7vsmem_tEENKUlT_SL_SM_SN_E_clIS8_S8_S9_S9_EESK_S10_SL_SM_SN_EUlS10_E1_NS1_11comp_targetILNS1_3genE2ELNS1_11target_archE906ELNS1_3gpuE6ELNS1_3repE0EEENS1_36merge_oddeven_config_static_selectorELNS0_4arch9wavefront6targetE0EEEvSM_
                                        ; -- End function
	.section	.AMDGPU.csdata,"",@progbits
; Kernel info:
; codeLenInByte = 0
; NumSgprs: 0
; NumVgprs: 0
; ScratchSize: 0
; MemoryBound: 0
; FloatMode: 240
; IeeeMode: 1
; LDSByteSize: 0 bytes/workgroup (compile time only)
; SGPRBlocks: 0
; VGPRBlocks: 0
; NumSGPRsForWavesPerEU: 1
; NumVGPRsForWavesPerEU: 1
; Occupancy: 16
; WaveLimiterHint : 0
; COMPUTE_PGM_RSRC2:SCRATCH_EN: 0
; COMPUTE_PGM_RSRC2:USER_SGPR: 15
; COMPUTE_PGM_RSRC2:TRAP_HANDLER: 0
; COMPUTE_PGM_RSRC2:TGID_X_EN: 1
; COMPUTE_PGM_RSRC2:TGID_Y_EN: 0
; COMPUTE_PGM_RSRC2:TGID_Z_EN: 0
; COMPUTE_PGM_RSRC2:TIDIG_COMP_CNT: 0
	.section	.text._ZN7rocprim17ROCPRIM_400000_NS6detail17trampoline_kernelINS0_14default_configENS1_38merge_sort_block_merge_config_selectorIlNS0_10empty_typeEEEZZNS1_27merge_sort_block_merge_implIS3_PlPS5_mZN2at6native12_GLOBAL__N_124unique_dim_cuda_templateIaEESt5tupleIJNSA_6TensorESF_SF_EERKSF_lbbbEUlllE_EE10hipError_tT0_T1_T2_jT3_P12ihipStream_tbPNSt15iterator_traitsISL_E10value_typeEPNSR_ISM_E10value_typeEPSN_NS1_7vsmem_tEENKUlT_SL_SM_SN_E_clIS8_S8_S9_S9_EESK_S10_SL_SM_SN_EUlS10_E1_NS1_11comp_targetILNS1_3genE9ELNS1_11target_archE1100ELNS1_3gpuE3ELNS1_3repE0EEENS1_36merge_oddeven_config_static_selectorELNS0_4arch9wavefront6targetE0EEEvSM_,"axG",@progbits,_ZN7rocprim17ROCPRIM_400000_NS6detail17trampoline_kernelINS0_14default_configENS1_38merge_sort_block_merge_config_selectorIlNS0_10empty_typeEEEZZNS1_27merge_sort_block_merge_implIS3_PlPS5_mZN2at6native12_GLOBAL__N_124unique_dim_cuda_templateIaEESt5tupleIJNSA_6TensorESF_SF_EERKSF_lbbbEUlllE_EE10hipError_tT0_T1_T2_jT3_P12ihipStream_tbPNSt15iterator_traitsISL_E10value_typeEPNSR_ISM_E10value_typeEPSN_NS1_7vsmem_tEENKUlT_SL_SM_SN_E_clIS8_S8_S9_S9_EESK_S10_SL_SM_SN_EUlS10_E1_NS1_11comp_targetILNS1_3genE9ELNS1_11target_archE1100ELNS1_3gpuE3ELNS1_3repE0EEENS1_36merge_oddeven_config_static_selectorELNS0_4arch9wavefront6targetE0EEEvSM_,comdat
	.globl	_ZN7rocprim17ROCPRIM_400000_NS6detail17trampoline_kernelINS0_14default_configENS1_38merge_sort_block_merge_config_selectorIlNS0_10empty_typeEEEZZNS1_27merge_sort_block_merge_implIS3_PlPS5_mZN2at6native12_GLOBAL__N_124unique_dim_cuda_templateIaEESt5tupleIJNSA_6TensorESF_SF_EERKSF_lbbbEUlllE_EE10hipError_tT0_T1_T2_jT3_P12ihipStream_tbPNSt15iterator_traitsISL_E10value_typeEPNSR_ISM_E10value_typeEPSN_NS1_7vsmem_tEENKUlT_SL_SM_SN_E_clIS8_S8_S9_S9_EESK_S10_SL_SM_SN_EUlS10_E1_NS1_11comp_targetILNS1_3genE9ELNS1_11target_archE1100ELNS1_3gpuE3ELNS1_3repE0EEENS1_36merge_oddeven_config_static_selectorELNS0_4arch9wavefront6targetE0EEEvSM_ ; -- Begin function _ZN7rocprim17ROCPRIM_400000_NS6detail17trampoline_kernelINS0_14default_configENS1_38merge_sort_block_merge_config_selectorIlNS0_10empty_typeEEEZZNS1_27merge_sort_block_merge_implIS3_PlPS5_mZN2at6native12_GLOBAL__N_124unique_dim_cuda_templateIaEESt5tupleIJNSA_6TensorESF_SF_EERKSF_lbbbEUlllE_EE10hipError_tT0_T1_T2_jT3_P12ihipStream_tbPNSt15iterator_traitsISL_E10value_typeEPNSR_ISM_E10value_typeEPSN_NS1_7vsmem_tEENKUlT_SL_SM_SN_E_clIS8_S8_S9_S9_EESK_S10_SL_SM_SN_EUlS10_E1_NS1_11comp_targetILNS1_3genE9ELNS1_11target_archE1100ELNS1_3gpuE3ELNS1_3repE0EEENS1_36merge_oddeven_config_static_selectorELNS0_4arch9wavefront6targetE0EEEvSM_
	.p2align	8
	.type	_ZN7rocprim17ROCPRIM_400000_NS6detail17trampoline_kernelINS0_14default_configENS1_38merge_sort_block_merge_config_selectorIlNS0_10empty_typeEEEZZNS1_27merge_sort_block_merge_implIS3_PlPS5_mZN2at6native12_GLOBAL__N_124unique_dim_cuda_templateIaEESt5tupleIJNSA_6TensorESF_SF_EERKSF_lbbbEUlllE_EE10hipError_tT0_T1_T2_jT3_P12ihipStream_tbPNSt15iterator_traitsISL_E10value_typeEPNSR_ISM_E10value_typeEPSN_NS1_7vsmem_tEENKUlT_SL_SM_SN_E_clIS8_S8_S9_S9_EESK_S10_SL_SM_SN_EUlS10_E1_NS1_11comp_targetILNS1_3genE9ELNS1_11target_archE1100ELNS1_3gpuE3ELNS1_3repE0EEENS1_36merge_oddeven_config_static_selectorELNS0_4arch9wavefront6targetE0EEEvSM_,@function
_ZN7rocprim17ROCPRIM_400000_NS6detail17trampoline_kernelINS0_14default_configENS1_38merge_sort_block_merge_config_selectorIlNS0_10empty_typeEEEZZNS1_27merge_sort_block_merge_implIS3_PlPS5_mZN2at6native12_GLOBAL__N_124unique_dim_cuda_templateIaEESt5tupleIJNSA_6TensorESF_SF_EERKSF_lbbbEUlllE_EE10hipError_tT0_T1_T2_jT3_P12ihipStream_tbPNSt15iterator_traitsISL_E10value_typeEPNSR_ISM_E10value_typeEPSN_NS1_7vsmem_tEENKUlT_SL_SM_SN_E_clIS8_S8_S9_S9_EESK_S10_SL_SM_SN_EUlS10_E1_NS1_11comp_targetILNS1_3genE9ELNS1_11target_archE1100ELNS1_3gpuE3ELNS1_3repE0EEENS1_36merge_oddeven_config_static_selectorELNS0_4arch9wavefront6targetE0EEEvSM_: ; @_ZN7rocprim17ROCPRIM_400000_NS6detail17trampoline_kernelINS0_14default_configENS1_38merge_sort_block_merge_config_selectorIlNS0_10empty_typeEEEZZNS1_27merge_sort_block_merge_implIS3_PlPS5_mZN2at6native12_GLOBAL__N_124unique_dim_cuda_templateIaEESt5tupleIJNSA_6TensorESF_SF_EERKSF_lbbbEUlllE_EE10hipError_tT0_T1_T2_jT3_P12ihipStream_tbPNSt15iterator_traitsISL_E10value_typeEPNSR_ISM_E10value_typeEPSN_NS1_7vsmem_tEENKUlT_SL_SM_SN_E_clIS8_S8_S9_S9_EESK_S10_SL_SM_SN_EUlS10_E1_NS1_11comp_targetILNS1_3genE9ELNS1_11target_archE1100ELNS1_3gpuE3ELNS1_3repE0EEENS1_36merge_oddeven_config_static_selectorELNS0_4arch9wavefront6targetE0EEEvSM_
; %bb.0:
	s_load_b32 s3, s[0:1], 0x20
	s_waitcnt lgkmcnt(0)
	s_lshr_b32 s2, s3, 8
	s_delay_alu instid0(SALU_CYCLE_1) | instskip(SKIP_4) | instid1(SALU_CYCLE_1)
	s_cmp_lg_u32 s15, s2
	s_cselect_b32 s8, -1, 0
	s_cmp_eq_u32 s15, s2
	s_cselect_b32 s16, -1, 0
	s_lshl_b32 s12, s15, 8
	s_sub_i32 s2, s3, s12
	s_delay_alu instid0(SALU_CYCLE_1) | instskip(NEXT) | instid1(VALU_DEP_1)
	v_cmp_gt_u32_e64 s2, s2, v0
	s_or_b32 s4, s8, s2
	s_delay_alu instid0(SALU_CYCLE_1)
	s_and_saveexec_b32 s5, s4
	s_cbranch_execz .LBB292_54
; %bb.1:
	s_clause 0x1
	s_load_b128 s[4:7], s[0:1], 0x0
	s_load_b32 s17, s[0:1], 0x28
	s_mov_b32 s13, 0
	v_lshlrev_b32_e32 v1, 3, v0
	s_lshl_b64 s[10:11], s[12:13], 3
	s_waitcnt lgkmcnt(0)
	s_add_u32 s10, s4, s10
	s_addc_u32 s11, s5, s11
	s_lshr_b32 s9, s17, 8
	global_load_b64 v[1:2], v1, s[10:11]
	s_sub_i32 s10, 0, s9
	s_delay_alu instid0(SALU_CYCLE_1) | instskip(NEXT) | instid1(SALU_CYCLE_1)
	s_and_b32 s10, s15, s10
	s_and_b32 s9, s10, s9
	s_delay_alu instid0(SALU_CYCLE_1)
	s_cmp_lg_u32 s9, 0
	s_cselect_b32 s14, -1, 0
	s_lshl_b32 s18, s10, 8
	s_sub_i32 s10, 0, s17
	s_cmp_eq_u32 s9, 0
	s_cselect_b32 s15, s17, s10
	s_delay_alu instid0(SALU_CYCLE_1) | instskip(NEXT) | instid1(SALU_CYCLE_1)
	s_add_i32 s15, s15, s18
	s_cmp_lt_u32 s15, s3
	s_cbranch_scc1 .LBB292_3
; %bb.2:
	v_add_nc_u32_e32 v3, s12, v0
	s_delay_alu instid0(VALU_DEP_1) | instskip(SKIP_1) | instid1(SALU_CYCLE_1)
	v_cmp_gt_u32_e32 vcc_lo, s3, v3
	s_or_b32 s9, vcc_lo, s8
	s_and_b32 s13, s9, exec_lo
	s_cbranch_execz .LBB292_4
	s_branch .LBB292_52
.LBB292_3:
                                        ; implicit-def: $vgpr3
.LBB292_4:
	s_load_b128 s[8:11], s[0:1], 0x30
	v_add_nc_u32_e32 v0, s12, v0
	s_min_u32 s1, s15, s3
	s_and_b32 vcc_lo, exec_lo, s16
	s_add_i32 s0, s18, s1
	s_add_i32 s12, s1, s17
	v_subrev_nc_u32_e32 v0, s0, v0
	s_min_u32 s0, s18, s1
	s_min_u32 s12, s12, s3
	s_delay_alu instid0(VALU_DEP_1)
	v_add_nc_u32_e32 v0, s0, v0
	s_cbranch_vccz .LBB292_26
; %bb.5:
                                        ; implicit-def: $vgpr3
	s_and_saveexec_b32 s16, s2
	s_cbranch_execz .LBB292_29
; %bb.6:
	v_mov_b32_e32 v13, s1
	s_cmp_ge_u32 s15, s12
	s_cbranch_scc1 .LBB292_28
; %bb.7:
	s_waitcnt vmcnt(0) lgkmcnt(0)
	v_mad_u64_u32 v[3:4], null, v1, s8, s[10:11]
	v_mul_lo_u32 v5, v1, s9
	v_mul_lo_u32 v7, v2, s8
	v_cmp_gt_i64_e64 s17, s[8:9], 0
	v_dual_mov_b32 v14, s12 :: v_dual_mov_b32 v13, s1
	v_mov_b32_e32 v6, 0
	s_mov_b32 s18, 0
	s_delay_alu instid0(VALU_DEP_4)
	v_add3_u32 v4, v7, v4, v5
	s_branch .LBB292_10
.LBB292_8:                              ;   in Loop: Header=BB292_10 Depth=1
	s_or_b32 exec_lo, exec_lo, s20
.LBB292_9:                              ;   in Loop: Header=BB292_10 Depth=1
	s_waitcnt vmcnt(0)
	v_add_nc_u32_e32 v7, 1, v5
	v_cndmask_b32_e64 v14, v5, v14, s19
	s_delay_alu instid0(VALU_DEP_2) | instskip(NEXT) | instid1(VALU_DEP_1)
	v_cndmask_b32_e64 v13, v13, v7, s19
	v_cmp_ge_u32_e32 vcc_lo, v13, v14
	s_or_b32 s18, vcc_lo, s18
	s_delay_alu instid0(SALU_CYCLE_1)
	s_and_not1_b32 exec_lo, exec_lo, s18
	s_cbranch_execz .LBB292_27
.LBB292_10:                             ; =>This Loop Header: Depth=1
                                        ;     Child Loop BB292_14 Depth 2
                                        ;     Child Loop BB292_23 Depth 2
	v_add_nc_u32_e32 v5, v13, v14
	s_mov_b32 s0, -1
                                        ; implicit-def: $sgpr19
	s_delay_alu instid0(VALU_DEP_1) | instskip(NEXT) | instid1(VALU_DEP_1)
	v_lshrrev_b32_e32 v5, 1, v5
	v_lshlrev_b64 v[7:8], 3, v[5:6]
	s_delay_alu instid0(VALU_DEP_1) | instskip(NEXT) | instid1(VALU_DEP_2)
	v_add_co_u32 v7, vcc_lo, s4, v7
	v_add_co_ci_u32_e32 v8, vcc_lo, s5, v8, vcc_lo
	s_and_not1_b32 vcc_lo, exec_lo, s14
	global_load_b64 v[7:8], v[7:8], off
	s_cbranch_vccnz .LBB292_19
; %bb.11:                               ;   in Loop: Header=BB292_10 Depth=1
	s_and_not1_b32 vcc_lo, exec_lo, s17
	s_cbranch_vccnz .LBB292_17
; %bb.12:                               ;   in Loop: Header=BB292_10 Depth=1
	s_waitcnt vmcnt(0)
	v_mad_u64_u32 v[9:10], null, v7, s8, s[10:11]
	v_mul_lo_u32 v11, v7, s9
	v_mul_lo_u32 v12, v8, s8
	s_mov_b32 s20, 0
	s_mov_b64 s[2:3], s[8:9]
                                        ; implicit-def: $sgpr19
                                        ; implicit-def: $sgpr21
                                        ; implicit-def: $sgpr22
                                        ; implicit-def: $sgpr23
                                        ; implicit-def: $sgpr24
	s_delay_alu instid0(VALU_DEP_1)
	v_add3_u32 v10, v12, v10, v11
	v_dual_mov_b32 v12, v4 :: v_dual_mov_b32 v11, v3
	s_branch .LBB292_14
.LBB292_13:                             ;   in Loop: Header=BB292_14 Depth=2
	s_or_b32 exec_lo, exec_lo, s0
	s_delay_alu instid0(SALU_CYCLE_1) | instskip(NEXT) | instid1(SALU_CYCLE_1)
	s_and_b32 s0, exec_lo, s21
	s_or_b32 s20, s0, s20
	s_and_not1_b32 s0, s24, exec_lo
	s_and_b32 s24, s22, exec_lo
	s_and_not1_b32 s19, s19, exec_lo
	s_and_b32 s25, s23, exec_lo
	s_or_b32 s24, s0, s24
	s_or_b32 s19, s19, s25
	s_and_not1_b32 exec_lo, exec_lo, s20
	s_cbranch_execz .LBB292_16
.LBB292_14:                             ;   Parent Loop BB292_10 Depth=1
                                        ; =>  This Inner Loop Header: Depth=2
	global_load_u8 v15, v[11:12], off
	global_load_u8 v16, v[9:10], off
	s_and_not1_b32 s23, s23, exec_lo
	s_and_not1_b32 s22, s22, exec_lo
	s_or_b32 s21, s21, exec_lo
	s_waitcnt vmcnt(1)
	v_bfe_i32 v17, v15, 0, 8
	s_waitcnt vmcnt(0)
	v_bfe_i32 v18, v16, 0, 8
	v_and_b32_e32 v15, 0xff, v15
	v_and_b32_e32 v16, 0xff, v16
	s_delay_alu instid0(VALU_DEP_3)
	v_cmp_le_i16_e32 vcc_lo, v17, v18
	v_cmp_lt_i16_e64 s0, v17, v18
	s_and_b32 s25, vcc_lo, s24
	s_delay_alu instid0(VALU_DEP_1) | instid1(SALU_CYCLE_1)
	s_or_b32 s25, s0, s25
	s_delay_alu instid0(SALU_CYCLE_1) | instskip(NEXT) | instid1(SALU_CYCLE_1)
	s_and_b32 s0, s25, exec_lo
	s_or_b32 s23, s23, s0
	s_mov_b32 s0, exec_lo
	v_cmpx_eq_u16_e64 v15, v16
	s_cbranch_execz .LBB292_13
; %bb.15:                               ;   in Loop: Header=BB292_14 Depth=2
	s_add_u32 s2, s2, -1
	s_addc_u32 s3, s3, -1
	v_add_co_u32 v11, vcc_lo, v11, 1
	s_cmp_eq_u64 s[2:3], 0
	v_add_co_ci_u32_e32 v12, vcc_lo, 0, v12, vcc_lo
	s_cselect_b32 s24, -1, 0
	v_add_co_u32 v9, vcc_lo, v9, 1
	s_and_not1_b32 s22, s22, exec_lo
	s_and_b32 s25, s25, exec_lo
	s_and_not1_b32 s21, s21, exec_lo
	s_and_b32 s24, s24, exec_lo
	v_add_co_ci_u32_e32 v10, vcc_lo, 0, v10, vcc_lo
	s_and_not1_b32 s23, s23, exec_lo
	s_or_b32 s22, s22, s25
	s_or_b32 s21, s21, s24
                                        ; implicit-def: $sgpr24
	s_branch .LBB292_13
.LBB292_16:                             ;   in Loop: Header=BB292_10 Depth=1
	s_or_b32 exec_lo, exec_lo, s20
	s_branch .LBB292_18
.LBB292_17:                             ;   in Loop: Header=BB292_10 Depth=1
	s_mov_b32 s19, 0
.LBB292_18:                             ;   in Loop: Header=BB292_10 Depth=1
	s_delay_alu instid0(SALU_CYCLE_1)
	s_xor_b32 s19, s19, -1
	s_mov_b32 s0, 0
.LBB292_19:                             ;   in Loop: Header=BB292_10 Depth=1
	s_delay_alu instid0(SALU_CYCLE_1)
	s_and_b32 vcc_lo, exec_lo, s0
	s_cbranch_vccz .LBB292_9
; %bb.20:                               ;   in Loop: Header=BB292_10 Depth=1
	s_and_not1_b32 vcc_lo, exec_lo, s17
	s_cbranch_vccnz .LBB292_25
; %bb.21:                               ;   in Loop: Header=BB292_10 Depth=1
	s_waitcnt vmcnt(0)
	v_mad_u64_u32 v[9:10], null, v7, s8, s[10:11]
	v_mul_lo_u32 v7, v7, s9
	v_mul_lo_u32 v8, v8, s8
	s_mov_b32 s20, 0
	s_mov_b64 s[2:3], s[8:9]
                                        ; implicit-def: $sgpr19
                                        ; implicit-def: $sgpr21
                                        ; implicit-def: $sgpr22
                                        ; implicit-def: $sgpr23
                                        ; implicit-def: $sgpr24
	s_delay_alu instid0(VALU_DEP_1)
	v_add3_u32 v10, v8, v10, v7
	v_dual_mov_b32 v8, v4 :: v_dual_mov_b32 v7, v3
	s_branch .LBB292_23
.LBB292_22:                             ;   in Loop: Header=BB292_23 Depth=2
	s_or_b32 exec_lo, exec_lo, s0
	s_delay_alu instid0(SALU_CYCLE_1) | instskip(NEXT) | instid1(SALU_CYCLE_1)
	s_and_b32 s0, exec_lo, s21
	s_or_b32 s20, s0, s20
	s_and_not1_b32 s0, s24, exec_lo
	s_and_b32 s24, s22, exec_lo
	s_and_not1_b32 s19, s19, exec_lo
	s_and_b32 s25, s23, exec_lo
	s_or_b32 s24, s0, s24
	s_or_b32 s19, s19, s25
	s_and_not1_b32 exec_lo, exec_lo, s20
	s_cbranch_execz .LBB292_8
.LBB292_23:                             ;   Parent Loop BB292_10 Depth=1
                                        ; =>  This Inner Loop Header: Depth=2
	global_load_u8 v11, v[9:10], off
	global_load_u8 v12, v[7:8], off
	s_and_not1_b32 s23, s23, exec_lo
	s_and_not1_b32 s22, s22, exec_lo
	s_or_b32 s21, s21, exec_lo
	s_waitcnt vmcnt(1)
	v_bfe_i32 v15, v11, 0, 8
	s_waitcnt vmcnt(0)
	v_bfe_i32 v16, v12, 0, 8
	v_and_b32_e32 v11, 0xff, v11
	v_and_b32_e32 v12, 0xff, v12
	s_delay_alu instid0(VALU_DEP_3)
	v_cmp_le_i16_e32 vcc_lo, v15, v16
	v_cmp_lt_i16_e64 s0, v15, v16
	s_and_b32 s25, vcc_lo, s24
	s_delay_alu instid0(VALU_DEP_1) | instid1(SALU_CYCLE_1)
	s_or_b32 s25, s0, s25
	s_delay_alu instid0(SALU_CYCLE_1) | instskip(NEXT) | instid1(SALU_CYCLE_1)
	s_and_b32 s0, s25, exec_lo
	s_or_b32 s23, s23, s0
	s_mov_b32 s0, exec_lo
	v_cmpx_eq_u16_e64 v11, v12
	s_cbranch_execz .LBB292_22
; %bb.24:                               ;   in Loop: Header=BB292_23 Depth=2
	s_add_u32 s2, s2, -1
	s_addc_u32 s3, s3, -1
	v_add_co_u32 v9, vcc_lo, v9, 1
	s_cmp_eq_u64 s[2:3], 0
	v_add_co_ci_u32_e32 v10, vcc_lo, 0, v10, vcc_lo
	s_cselect_b32 s24, -1, 0
	v_add_co_u32 v7, vcc_lo, v7, 1
	s_and_not1_b32 s22, s22, exec_lo
	s_and_b32 s25, s25, exec_lo
	s_and_not1_b32 s21, s21, exec_lo
	s_and_b32 s24, s24, exec_lo
	v_add_co_ci_u32_e32 v8, vcc_lo, 0, v8, vcc_lo
	s_and_not1_b32 s23, s23, exec_lo
	s_or_b32 s22, s22, s25
	s_or_b32 s21, s21, s24
                                        ; implicit-def: $sgpr24
	s_branch .LBB292_22
.LBB292_25:                             ;   in Loop: Header=BB292_10 Depth=1
	s_mov_b32 s19, 0
	s_branch .LBB292_9
.LBB292_26:
                                        ; implicit-def: $vgpr3
	s_cbranch_execnz .LBB292_30
	s_branch .LBB292_52
.LBB292_27:
	s_or_b32 exec_lo, exec_lo, s18
.LBB292_28:
	s_delay_alu instid0(VALU_DEP_1)
	v_add_nc_u32_e32 v3, v13, v0
	s_or_b32 s13, s13, exec_lo
.LBB292_29:
	s_or_b32 exec_lo, exec_lo, s16
	s_branch .LBB292_52
.LBB292_30:
	v_mov_b32_e32 v13, s1
	s_cmp_ge_u32 s15, s12
	s_cbranch_scc1 .LBB292_51
; %bb.31:
	s_waitcnt vmcnt(0) lgkmcnt(0)
	v_mad_u64_u32 v[3:4], null, v1, s8, s[10:11]
	v_mul_lo_u32 v5, v1, s9
	v_mul_lo_u32 v7, v2, s8
	v_dual_mov_b32 v14, s12 :: v_dual_mov_b32 v13, s1
	v_cmp_gt_i64_e64 s1, s[8:9], 0
	v_mov_b32_e32 v6, 0
	s_mov_b32 s12, 0
	s_delay_alu instid0(VALU_DEP_4) | instskip(NEXT) | instid1(VALU_DEP_3)
	v_add3_u32 v4, v7, v4, v5
	v_cndmask_b32_e64 v15, 0, 1, s1
	s_branch .LBB292_34
.LBB292_32:                             ;   in Loop: Header=BB292_34 Depth=1
	s_or_b32 exec_lo, exec_lo, s15
.LBB292_33:                             ;   in Loop: Header=BB292_34 Depth=1
	s_waitcnt vmcnt(0)
	v_add_nc_u32_e32 v7, 1, v5
	v_cndmask_b32_e64 v14, v5, v14, s13
	s_delay_alu instid0(VALU_DEP_2) | instskip(NEXT) | instid1(VALU_DEP_1)
	v_cndmask_b32_e64 v13, v13, v7, s13
	v_cmp_ge_u32_e32 vcc_lo, v13, v14
	s_or_b32 s12, vcc_lo, s12
	s_delay_alu instid0(SALU_CYCLE_1)
	s_and_not1_b32 exec_lo, exec_lo, s12
	s_cbranch_execz .LBB292_50
.LBB292_34:                             ; =>This Loop Header: Depth=1
                                        ;     Child Loop BB292_38 Depth 2
                                        ;     Child Loop BB292_47 Depth 2
	v_add_nc_u32_e32 v5, v13, v14
	s_delay_alu instid0(VALU_DEP_2) | instskip(SKIP_1) | instid1(VALU_DEP_2)
	v_cmp_ne_u32_e64 s0, 1, v15
	s_mov_b32 s2, -1
                                        ; implicit-def: $sgpr13
	v_lshrrev_b32_e32 v5, 1, v5
	s_delay_alu instid0(VALU_DEP_1) | instskip(NEXT) | instid1(VALU_DEP_1)
	v_lshlrev_b64 v[7:8], 3, v[5:6]
	v_add_co_u32 v7, vcc_lo, s4, v7
	s_delay_alu instid0(VALU_DEP_2)
	v_add_co_ci_u32_e32 v8, vcc_lo, s5, v8, vcc_lo
	s_and_not1_b32 vcc_lo, exec_lo, s14
	global_load_b64 v[7:8], v[7:8], off
	s_cbranch_vccnz .LBB292_43
; %bb.35:                               ;   in Loop: Header=BB292_34 Depth=1
	s_and_b32 vcc_lo, exec_lo, s0
	s_cbranch_vccnz .LBB292_41
; %bb.36:                               ;   in Loop: Header=BB292_34 Depth=1
	s_waitcnt vmcnt(0)
	v_mad_u64_u32 v[9:10], null, v7, s8, s[10:11]
	v_mul_lo_u32 v11, v7, s9
	v_mul_lo_u32 v12, v8, s8
	s_mov_b32 s15, 0
	s_mov_b64 s[2:3], s[8:9]
                                        ; implicit-def: $sgpr13
                                        ; implicit-def: $sgpr16
                                        ; implicit-def: $sgpr17
                                        ; implicit-def: $sgpr18
                                        ; implicit-def: $sgpr19
	s_delay_alu instid0(VALU_DEP_1)
	v_add3_u32 v10, v12, v10, v11
	v_dual_mov_b32 v12, v4 :: v_dual_mov_b32 v11, v3
	s_branch .LBB292_38
.LBB292_37:                             ;   in Loop: Header=BB292_38 Depth=2
	s_or_b32 exec_lo, exec_lo, s0
	s_delay_alu instid0(SALU_CYCLE_1) | instskip(NEXT) | instid1(SALU_CYCLE_1)
	s_and_b32 s0, exec_lo, s16
	s_or_b32 s15, s0, s15
	s_and_not1_b32 s0, s19, exec_lo
	s_and_b32 s19, s17, exec_lo
	s_and_not1_b32 s13, s13, exec_lo
	s_and_b32 s20, s18, exec_lo
	s_or_b32 s19, s0, s19
	s_or_b32 s13, s13, s20
	s_and_not1_b32 exec_lo, exec_lo, s15
	s_cbranch_execz .LBB292_40
.LBB292_38:                             ;   Parent Loop BB292_34 Depth=1
                                        ; =>  This Inner Loop Header: Depth=2
	global_load_u8 v16, v[11:12], off
	global_load_u8 v17, v[9:10], off
	s_and_not1_b32 s18, s18, exec_lo
	s_and_not1_b32 s17, s17, exec_lo
	s_or_b32 s16, s16, exec_lo
	s_waitcnt vmcnt(1)
	v_bfe_i32 v18, v16, 0, 8
	s_waitcnt vmcnt(0)
	v_bfe_i32 v19, v17, 0, 8
	v_and_b32_e32 v16, 0xff, v16
	v_and_b32_e32 v17, 0xff, v17
	s_delay_alu instid0(VALU_DEP_3)
	v_cmp_le_i16_e32 vcc_lo, v18, v19
	v_cmp_lt_i16_e64 s0, v18, v19
	s_and_b32 s20, vcc_lo, s19
	s_delay_alu instid0(VALU_DEP_1) | instid1(SALU_CYCLE_1)
	s_or_b32 s20, s0, s20
	s_delay_alu instid0(SALU_CYCLE_1) | instskip(NEXT) | instid1(SALU_CYCLE_1)
	s_and_b32 s0, s20, exec_lo
	s_or_b32 s18, s18, s0
	s_mov_b32 s0, exec_lo
	v_cmpx_eq_u16_e64 v16, v17
	s_cbranch_execz .LBB292_37
; %bb.39:                               ;   in Loop: Header=BB292_38 Depth=2
	s_add_u32 s2, s2, -1
	s_addc_u32 s3, s3, -1
	v_add_co_u32 v11, vcc_lo, v11, 1
	s_cmp_eq_u64 s[2:3], 0
	v_add_co_ci_u32_e32 v12, vcc_lo, 0, v12, vcc_lo
	s_cselect_b32 s19, -1, 0
	v_add_co_u32 v9, vcc_lo, v9, 1
	s_and_not1_b32 s17, s17, exec_lo
	s_and_b32 s20, s20, exec_lo
	s_and_not1_b32 s16, s16, exec_lo
	s_and_b32 s19, s19, exec_lo
	v_add_co_ci_u32_e32 v10, vcc_lo, 0, v10, vcc_lo
	s_and_not1_b32 s18, s18, exec_lo
	s_or_b32 s17, s17, s20
	s_or_b32 s16, s16, s19
                                        ; implicit-def: $sgpr19
	s_branch .LBB292_37
.LBB292_40:                             ;   in Loop: Header=BB292_34 Depth=1
	s_or_b32 exec_lo, exec_lo, s15
	s_branch .LBB292_42
.LBB292_41:                             ;   in Loop: Header=BB292_34 Depth=1
	s_mov_b32 s13, 0
.LBB292_42:                             ;   in Loop: Header=BB292_34 Depth=1
	s_delay_alu instid0(SALU_CYCLE_1)
	s_xor_b32 s13, s13, -1
	s_mov_b32 s2, 0
.LBB292_43:                             ;   in Loop: Header=BB292_34 Depth=1
	s_delay_alu instid0(SALU_CYCLE_1)
	s_and_b32 vcc_lo, exec_lo, s2
	s_cbranch_vccz .LBB292_33
; %bb.44:                               ;   in Loop: Header=BB292_34 Depth=1
	s_and_not1_b32 vcc_lo, exec_lo, s1
	s_cbranch_vccnz .LBB292_49
; %bb.45:                               ;   in Loop: Header=BB292_34 Depth=1
	s_waitcnt vmcnt(0)
	v_mad_u64_u32 v[9:10], null, v7, s8, s[10:11]
	v_mul_lo_u32 v7, v7, s9
	v_mul_lo_u32 v8, v8, s8
	s_mov_b32 s15, 0
	s_mov_b64 s[2:3], s[8:9]
                                        ; implicit-def: $sgpr13
                                        ; implicit-def: $sgpr16
                                        ; implicit-def: $sgpr17
                                        ; implicit-def: $sgpr18
                                        ; implicit-def: $sgpr19
	s_delay_alu instid0(VALU_DEP_1)
	v_add3_u32 v10, v8, v10, v7
	v_dual_mov_b32 v8, v4 :: v_dual_mov_b32 v7, v3
	s_branch .LBB292_47
.LBB292_46:                             ;   in Loop: Header=BB292_47 Depth=2
	s_or_b32 exec_lo, exec_lo, s0
	s_delay_alu instid0(SALU_CYCLE_1) | instskip(NEXT) | instid1(SALU_CYCLE_1)
	s_and_b32 s0, exec_lo, s16
	s_or_b32 s15, s0, s15
	s_and_not1_b32 s0, s19, exec_lo
	s_and_b32 s19, s17, exec_lo
	s_and_not1_b32 s13, s13, exec_lo
	s_and_b32 s20, s18, exec_lo
	s_or_b32 s19, s0, s19
	s_or_b32 s13, s13, s20
	s_and_not1_b32 exec_lo, exec_lo, s15
	s_cbranch_execz .LBB292_32
.LBB292_47:                             ;   Parent Loop BB292_34 Depth=1
                                        ; =>  This Inner Loop Header: Depth=2
	global_load_u8 v11, v[9:10], off
	global_load_u8 v12, v[7:8], off
	s_and_not1_b32 s18, s18, exec_lo
	s_and_not1_b32 s17, s17, exec_lo
	s_or_b32 s16, s16, exec_lo
	s_waitcnt vmcnt(1)
	v_bfe_i32 v16, v11, 0, 8
	s_waitcnt vmcnt(0)
	v_bfe_i32 v17, v12, 0, 8
	v_and_b32_e32 v11, 0xff, v11
	v_and_b32_e32 v12, 0xff, v12
	s_delay_alu instid0(VALU_DEP_3)
	v_cmp_le_i16_e32 vcc_lo, v16, v17
	v_cmp_lt_i16_e64 s0, v16, v17
	s_and_b32 s20, vcc_lo, s19
	s_delay_alu instid0(VALU_DEP_1) | instid1(SALU_CYCLE_1)
	s_or_b32 s20, s0, s20
	s_delay_alu instid0(SALU_CYCLE_1) | instskip(NEXT) | instid1(SALU_CYCLE_1)
	s_and_b32 s0, s20, exec_lo
	s_or_b32 s18, s18, s0
	s_mov_b32 s0, exec_lo
	v_cmpx_eq_u16_e64 v11, v12
	s_cbranch_execz .LBB292_46
; %bb.48:                               ;   in Loop: Header=BB292_47 Depth=2
	s_add_u32 s2, s2, -1
	s_addc_u32 s3, s3, -1
	v_add_co_u32 v9, vcc_lo, v9, 1
	s_cmp_eq_u64 s[2:3], 0
	v_add_co_ci_u32_e32 v10, vcc_lo, 0, v10, vcc_lo
	s_cselect_b32 s19, -1, 0
	v_add_co_u32 v7, vcc_lo, v7, 1
	s_and_not1_b32 s17, s17, exec_lo
	s_and_b32 s20, s20, exec_lo
	s_and_not1_b32 s16, s16, exec_lo
	s_and_b32 s19, s19, exec_lo
	v_add_co_ci_u32_e32 v8, vcc_lo, 0, v8, vcc_lo
	s_and_not1_b32 s18, s18, exec_lo
	s_or_b32 s17, s17, s20
	s_or_b32 s16, s16, s19
                                        ; implicit-def: $sgpr19
	s_branch .LBB292_46
.LBB292_49:                             ;   in Loop: Header=BB292_34 Depth=1
	s_mov_b32 s13, 0
	s_branch .LBB292_33
.LBB292_50:
	s_or_b32 exec_lo, exec_lo, s12
.LBB292_51:
	s_delay_alu instid0(VALU_DEP_1)
	v_add_nc_u32_e32 v3, v13, v0
	s_mov_b32 s13, -1
.LBB292_52:
	s_delay_alu instid0(SALU_CYCLE_1)
	s_and_b32 exec_lo, exec_lo, s13
	s_cbranch_execz .LBB292_54
; %bb.53:
	v_mov_b32_e32 v4, 0
	s_delay_alu instid0(VALU_DEP_1) | instskip(NEXT) | instid1(VALU_DEP_1)
	v_lshlrev_b64 v[3:4], 3, v[3:4]
	v_add_co_u32 v3, vcc_lo, s6, v3
	s_delay_alu instid0(VALU_DEP_2)
	v_add_co_ci_u32_e32 v4, vcc_lo, s7, v4, vcc_lo
	s_waitcnt vmcnt(0)
	global_store_b64 v[3:4], v[1:2], off
.LBB292_54:
	s_nop 0
	s_sendmsg sendmsg(MSG_DEALLOC_VGPRS)
	s_endpgm
	.section	.rodata,"a",@progbits
	.p2align	6, 0x0
	.amdhsa_kernel _ZN7rocprim17ROCPRIM_400000_NS6detail17trampoline_kernelINS0_14default_configENS1_38merge_sort_block_merge_config_selectorIlNS0_10empty_typeEEEZZNS1_27merge_sort_block_merge_implIS3_PlPS5_mZN2at6native12_GLOBAL__N_124unique_dim_cuda_templateIaEESt5tupleIJNSA_6TensorESF_SF_EERKSF_lbbbEUlllE_EE10hipError_tT0_T1_T2_jT3_P12ihipStream_tbPNSt15iterator_traitsISL_E10value_typeEPNSR_ISM_E10value_typeEPSN_NS1_7vsmem_tEENKUlT_SL_SM_SN_E_clIS8_S8_S9_S9_EESK_S10_SL_SM_SN_EUlS10_E1_NS1_11comp_targetILNS1_3genE9ELNS1_11target_archE1100ELNS1_3gpuE3ELNS1_3repE0EEENS1_36merge_oddeven_config_static_selectorELNS0_4arch9wavefront6targetE0EEEvSM_
		.amdhsa_group_segment_fixed_size 0
		.amdhsa_private_segment_fixed_size 0
		.amdhsa_kernarg_size 64
		.amdhsa_user_sgpr_count 15
		.amdhsa_user_sgpr_dispatch_ptr 0
		.amdhsa_user_sgpr_queue_ptr 0
		.amdhsa_user_sgpr_kernarg_segment_ptr 1
		.amdhsa_user_sgpr_dispatch_id 0
		.amdhsa_user_sgpr_private_segment_size 0
		.amdhsa_wavefront_size32 1
		.amdhsa_uses_dynamic_stack 0
		.amdhsa_enable_private_segment 0
		.amdhsa_system_sgpr_workgroup_id_x 1
		.amdhsa_system_sgpr_workgroup_id_y 0
		.amdhsa_system_sgpr_workgroup_id_z 0
		.amdhsa_system_sgpr_workgroup_info 0
		.amdhsa_system_vgpr_workitem_id 0
		.amdhsa_next_free_vgpr 20
		.amdhsa_next_free_sgpr 26
		.amdhsa_reserve_vcc 1
		.amdhsa_float_round_mode_32 0
		.amdhsa_float_round_mode_16_64 0
		.amdhsa_float_denorm_mode_32 3
		.amdhsa_float_denorm_mode_16_64 3
		.amdhsa_dx10_clamp 1
		.amdhsa_ieee_mode 1
		.amdhsa_fp16_overflow 0
		.amdhsa_workgroup_processor_mode 1
		.amdhsa_memory_ordered 1
		.amdhsa_forward_progress 0
		.amdhsa_shared_vgpr_count 0
		.amdhsa_exception_fp_ieee_invalid_op 0
		.amdhsa_exception_fp_denorm_src 0
		.amdhsa_exception_fp_ieee_div_zero 0
		.amdhsa_exception_fp_ieee_overflow 0
		.amdhsa_exception_fp_ieee_underflow 0
		.amdhsa_exception_fp_ieee_inexact 0
		.amdhsa_exception_int_div_zero 0
	.end_amdhsa_kernel
	.section	.text._ZN7rocprim17ROCPRIM_400000_NS6detail17trampoline_kernelINS0_14default_configENS1_38merge_sort_block_merge_config_selectorIlNS0_10empty_typeEEEZZNS1_27merge_sort_block_merge_implIS3_PlPS5_mZN2at6native12_GLOBAL__N_124unique_dim_cuda_templateIaEESt5tupleIJNSA_6TensorESF_SF_EERKSF_lbbbEUlllE_EE10hipError_tT0_T1_T2_jT3_P12ihipStream_tbPNSt15iterator_traitsISL_E10value_typeEPNSR_ISM_E10value_typeEPSN_NS1_7vsmem_tEENKUlT_SL_SM_SN_E_clIS8_S8_S9_S9_EESK_S10_SL_SM_SN_EUlS10_E1_NS1_11comp_targetILNS1_3genE9ELNS1_11target_archE1100ELNS1_3gpuE3ELNS1_3repE0EEENS1_36merge_oddeven_config_static_selectorELNS0_4arch9wavefront6targetE0EEEvSM_,"axG",@progbits,_ZN7rocprim17ROCPRIM_400000_NS6detail17trampoline_kernelINS0_14default_configENS1_38merge_sort_block_merge_config_selectorIlNS0_10empty_typeEEEZZNS1_27merge_sort_block_merge_implIS3_PlPS5_mZN2at6native12_GLOBAL__N_124unique_dim_cuda_templateIaEESt5tupleIJNSA_6TensorESF_SF_EERKSF_lbbbEUlllE_EE10hipError_tT0_T1_T2_jT3_P12ihipStream_tbPNSt15iterator_traitsISL_E10value_typeEPNSR_ISM_E10value_typeEPSN_NS1_7vsmem_tEENKUlT_SL_SM_SN_E_clIS8_S8_S9_S9_EESK_S10_SL_SM_SN_EUlS10_E1_NS1_11comp_targetILNS1_3genE9ELNS1_11target_archE1100ELNS1_3gpuE3ELNS1_3repE0EEENS1_36merge_oddeven_config_static_selectorELNS0_4arch9wavefront6targetE0EEEvSM_,comdat
.Lfunc_end292:
	.size	_ZN7rocprim17ROCPRIM_400000_NS6detail17trampoline_kernelINS0_14default_configENS1_38merge_sort_block_merge_config_selectorIlNS0_10empty_typeEEEZZNS1_27merge_sort_block_merge_implIS3_PlPS5_mZN2at6native12_GLOBAL__N_124unique_dim_cuda_templateIaEESt5tupleIJNSA_6TensorESF_SF_EERKSF_lbbbEUlllE_EE10hipError_tT0_T1_T2_jT3_P12ihipStream_tbPNSt15iterator_traitsISL_E10value_typeEPNSR_ISM_E10value_typeEPSN_NS1_7vsmem_tEENKUlT_SL_SM_SN_E_clIS8_S8_S9_S9_EESK_S10_SL_SM_SN_EUlS10_E1_NS1_11comp_targetILNS1_3genE9ELNS1_11target_archE1100ELNS1_3gpuE3ELNS1_3repE0EEENS1_36merge_oddeven_config_static_selectorELNS0_4arch9wavefront6targetE0EEEvSM_, .Lfunc_end292-_ZN7rocprim17ROCPRIM_400000_NS6detail17trampoline_kernelINS0_14default_configENS1_38merge_sort_block_merge_config_selectorIlNS0_10empty_typeEEEZZNS1_27merge_sort_block_merge_implIS3_PlPS5_mZN2at6native12_GLOBAL__N_124unique_dim_cuda_templateIaEESt5tupleIJNSA_6TensorESF_SF_EERKSF_lbbbEUlllE_EE10hipError_tT0_T1_T2_jT3_P12ihipStream_tbPNSt15iterator_traitsISL_E10value_typeEPNSR_ISM_E10value_typeEPSN_NS1_7vsmem_tEENKUlT_SL_SM_SN_E_clIS8_S8_S9_S9_EESK_S10_SL_SM_SN_EUlS10_E1_NS1_11comp_targetILNS1_3genE9ELNS1_11target_archE1100ELNS1_3gpuE3ELNS1_3repE0EEENS1_36merge_oddeven_config_static_selectorELNS0_4arch9wavefront6targetE0EEEvSM_
                                        ; -- End function
	.section	.AMDGPU.csdata,"",@progbits
; Kernel info:
; codeLenInByte = 2124
; NumSgprs: 28
; NumVgprs: 20
; ScratchSize: 0
; MemoryBound: 0
; FloatMode: 240
; IeeeMode: 1
; LDSByteSize: 0 bytes/workgroup (compile time only)
; SGPRBlocks: 3
; VGPRBlocks: 2
; NumSGPRsForWavesPerEU: 28
; NumVGPRsForWavesPerEU: 20
; Occupancy: 16
; WaveLimiterHint : 0
; COMPUTE_PGM_RSRC2:SCRATCH_EN: 0
; COMPUTE_PGM_RSRC2:USER_SGPR: 15
; COMPUTE_PGM_RSRC2:TRAP_HANDLER: 0
; COMPUTE_PGM_RSRC2:TGID_X_EN: 1
; COMPUTE_PGM_RSRC2:TGID_Y_EN: 0
; COMPUTE_PGM_RSRC2:TGID_Z_EN: 0
; COMPUTE_PGM_RSRC2:TIDIG_COMP_CNT: 0
	.section	.text._ZN7rocprim17ROCPRIM_400000_NS6detail17trampoline_kernelINS0_14default_configENS1_38merge_sort_block_merge_config_selectorIlNS0_10empty_typeEEEZZNS1_27merge_sort_block_merge_implIS3_PlPS5_mZN2at6native12_GLOBAL__N_124unique_dim_cuda_templateIaEESt5tupleIJNSA_6TensorESF_SF_EERKSF_lbbbEUlllE_EE10hipError_tT0_T1_T2_jT3_P12ihipStream_tbPNSt15iterator_traitsISL_E10value_typeEPNSR_ISM_E10value_typeEPSN_NS1_7vsmem_tEENKUlT_SL_SM_SN_E_clIS8_S8_S9_S9_EESK_S10_SL_SM_SN_EUlS10_E1_NS1_11comp_targetILNS1_3genE8ELNS1_11target_archE1030ELNS1_3gpuE2ELNS1_3repE0EEENS1_36merge_oddeven_config_static_selectorELNS0_4arch9wavefront6targetE0EEEvSM_,"axG",@progbits,_ZN7rocprim17ROCPRIM_400000_NS6detail17trampoline_kernelINS0_14default_configENS1_38merge_sort_block_merge_config_selectorIlNS0_10empty_typeEEEZZNS1_27merge_sort_block_merge_implIS3_PlPS5_mZN2at6native12_GLOBAL__N_124unique_dim_cuda_templateIaEESt5tupleIJNSA_6TensorESF_SF_EERKSF_lbbbEUlllE_EE10hipError_tT0_T1_T2_jT3_P12ihipStream_tbPNSt15iterator_traitsISL_E10value_typeEPNSR_ISM_E10value_typeEPSN_NS1_7vsmem_tEENKUlT_SL_SM_SN_E_clIS8_S8_S9_S9_EESK_S10_SL_SM_SN_EUlS10_E1_NS1_11comp_targetILNS1_3genE8ELNS1_11target_archE1030ELNS1_3gpuE2ELNS1_3repE0EEENS1_36merge_oddeven_config_static_selectorELNS0_4arch9wavefront6targetE0EEEvSM_,comdat
	.globl	_ZN7rocprim17ROCPRIM_400000_NS6detail17trampoline_kernelINS0_14default_configENS1_38merge_sort_block_merge_config_selectorIlNS0_10empty_typeEEEZZNS1_27merge_sort_block_merge_implIS3_PlPS5_mZN2at6native12_GLOBAL__N_124unique_dim_cuda_templateIaEESt5tupleIJNSA_6TensorESF_SF_EERKSF_lbbbEUlllE_EE10hipError_tT0_T1_T2_jT3_P12ihipStream_tbPNSt15iterator_traitsISL_E10value_typeEPNSR_ISM_E10value_typeEPSN_NS1_7vsmem_tEENKUlT_SL_SM_SN_E_clIS8_S8_S9_S9_EESK_S10_SL_SM_SN_EUlS10_E1_NS1_11comp_targetILNS1_3genE8ELNS1_11target_archE1030ELNS1_3gpuE2ELNS1_3repE0EEENS1_36merge_oddeven_config_static_selectorELNS0_4arch9wavefront6targetE0EEEvSM_ ; -- Begin function _ZN7rocprim17ROCPRIM_400000_NS6detail17trampoline_kernelINS0_14default_configENS1_38merge_sort_block_merge_config_selectorIlNS0_10empty_typeEEEZZNS1_27merge_sort_block_merge_implIS3_PlPS5_mZN2at6native12_GLOBAL__N_124unique_dim_cuda_templateIaEESt5tupleIJNSA_6TensorESF_SF_EERKSF_lbbbEUlllE_EE10hipError_tT0_T1_T2_jT3_P12ihipStream_tbPNSt15iterator_traitsISL_E10value_typeEPNSR_ISM_E10value_typeEPSN_NS1_7vsmem_tEENKUlT_SL_SM_SN_E_clIS8_S8_S9_S9_EESK_S10_SL_SM_SN_EUlS10_E1_NS1_11comp_targetILNS1_3genE8ELNS1_11target_archE1030ELNS1_3gpuE2ELNS1_3repE0EEENS1_36merge_oddeven_config_static_selectorELNS0_4arch9wavefront6targetE0EEEvSM_
	.p2align	8
	.type	_ZN7rocprim17ROCPRIM_400000_NS6detail17trampoline_kernelINS0_14default_configENS1_38merge_sort_block_merge_config_selectorIlNS0_10empty_typeEEEZZNS1_27merge_sort_block_merge_implIS3_PlPS5_mZN2at6native12_GLOBAL__N_124unique_dim_cuda_templateIaEESt5tupleIJNSA_6TensorESF_SF_EERKSF_lbbbEUlllE_EE10hipError_tT0_T1_T2_jT3_P12ihipStream_tbPNSt15iterator_traitsISL_E10value_typeEPNSR_ISM_E10value_typeEPSN_NS1_7vsmem_tEENKUlT_SL_SM_SN_E_clIS8_S8_S9_S9_EESK_S10_SL_SM_SN_EUlS10_E1_NS1_11comp_targetILNS1_3genE8ELNS1_11target_archE1030ELNS1_3gpuE2ELNS1_3repE0EEENS1_36merge_oddeven_config_static_selectorELNS0_4arch9wavefront6targetE0EEEvSM_,@function
_ZN7rocprim17ROCPRIM_400000_NS6detail17trampoline_kernelINS0_14default_configENS1_38merge_sort_block_merge_config_selectorIlNS0_10empty_typeEEEZZNS1_27merge_sort_block_merge_implIS3_PlPS5_mZN2at6native12_GLOBAL__N_124unique_dim_cuda_templateIaEESt5tupleIJNSA_6TensorESF_SF_EERKSF_lbbbEUlllE_EE10hipError_tT0_T1_T2_jT3_P12ihipStream_tbPNSt15iterator_traitsISL_E10value_typeEPNSR_ISM_E10value_typeEPSN_NS1_7vsmem_tEENKUlT_SL_SM_SN_E_clIS8_S8_S9_S9_EESK_S10_SL_SM_SN_EUlS10_E1_NS1_11comp_targetILNS1_3genE8ELNS1_11target_archE1030ELNS1_3gpuE2ELNS1_3repE0EEENS1_36merge_oddeven_config_static_selectorELNS0_4arch9wavefront6targetE0EEEvSM_: ; @_ZN7rocprim17ROCPRIM_400000_NS6detail17trampoline_kernelINS0_14default_configENS1_38merge_sort_block_merge_config_selectorIlNS0_10empty_typeEEEZZNS1_27merge_sort_block_merge_implIS3_PlPS5_mZN2at6native12_GLOBAL__N_124unique_dim_cuda_templateIaEESt5tupleIJNSA_6TensorESF_SF_EERKSF_lbbbEUlllE_EE10hipError_tT0_T1_T2_jT3_P12ihipStream_tbPNSt15iterator_traitsISL_E10value_typeEPNSR_ISM_E10value_typeEPSN_NS1_7vsmem_tEENKUlT_SL_SM_SN_E_clIS8_S8_S9_S9_EESK_S10_SL_SM_SN_EUlS10_E1_NS1_11comp_targetILNS1_3genE8ELNS1_11target_archE1030ELNS1_3gpuE2ELNS1_3repE0EEENS1_36merge_oddeven_config_static_selectorELNS0_4arch9wavefront6targetE0EEEvSM_
; %bb.0:
	.section	.rodata,"a",@progbits
	.p2align	6, 0x0
	.amdhsa_kernel _ZN7rocprim17ROCPRIM_400000_NS6detail17trampoline_kernelINS0_14default_configENS1_38merge_sort_block_merge_config_selectorIlNS0_10empty_typeEEEZZNS1_27merge_sort_block_merge_implIS3_PlPS5_mZN2at6native12_GLOBAL__N_124unique_dim_cuda_templateIaEESt5tupleIJNSA_6TensorESF_SF_EERKSF_lbbbEUlllE_EE10hipError_tT0_T1_T2_jT3_P12ihipStream_tbPNSt15iterator_traitsISL_E10value_typeEPNSR_ISM_E10value_typeEPSN_NS1_7vsmem_tEENKUlT_SL_SM_SN_E_clIS8_S8_S9_S9_EESK_S10_SL_SM_SN_EUlS10_E1_NS1_11comp_targetILNS1_3genE8ELNS1_11target_archE1030ELNS1_3gpuE2ELNS1_3repE0EEENS1_36merge_oddeven_config_static_selectorELNS0_4arch9wavefront6targetE0EEEvSM_
		.amdhsa_group_segment_fixed_size 0
		.amdhsa_private_segment_fixed_size 0
		.amdhsa_kernarg_size 64
		.amdhsa_user_sgpr_count 15
		.amdhsa_user_sgpr_dispatch_ptr 0
		.amdhsa_user_sgpr_queue_ptr 0
		.amdhsa_user_sgpr_kernarg_segment_ptr 1
		.amdhsa_user_sgpr_dispatch_id 0
		.amdhsa_user_sgpr_private_segment_size 0
		.amdhsa_wavefront_size32 1
		.amdhsa_uses_dynamic_stack 0
		.amdhsa_enable_private_segment 0
		.amdhsa_system_sgpr_workgroup_id_x 1
		.amdhsa_system_sgpr_workgroup_id_y 0
		.amdhsa_system_sgpr_workgroup_id_z 0
		.amdhsa_system_sgpr_workgroup_info 0
		.amdhsa_system_vgpr_workitem_id 0
		.amdhsa_next_free_vgpr 1
		.amdhsa_next_free_sgpr 1
		.amdhsa_reserve_vcc 0
		.amdhsa_float_round_mode_32 0
		.amdhsa_float_round_mode_16_64 0
		.amdhsa_float_denorm_mode_32 3
		.amdhsa_float_denorm_mode_16_64 3
		.amdhsa_dx10_clamp 1
		.amdhsa_ieee_mode 1
		.amdhsa_fp16_overflow 0
		.amdhsa_workgroup_processor_mode 1
		.amdhsa_memory_ordered 1
		.amdhsa_forward_progress 0
		.amdhsa_shared_vgpr_count 0
		.amdhsa_exception_fp_ieee_invalid_op 0
		.amdhsa_exception_fp_denorm_src 0
		.amdhsa_exception_fp_ieee_div_zero 0
		.amdhsa_exception_fp_ieee_overflow 0
		.amdhsa_exception_fp_ieee_underflow 0
		.amdhsa_exception_fp_ieee_inexact 0
		.amdhsa_exception_int_div_zero 0
	.end_amdhsa_kernel
	.section	.text._ZN7rocprim17ROCPRIM_400000_NS6detail17trampoline_kernelINS0_14default_configENS1_38merge_sort_block_merge_config_selectorIlNS0_10empty_typeEEEZZNS1_27merge_sort_block_merge_implIS3_PlPS5_mZN2at6native12_GLOBAL__N_124unique_dim_cuda_templateIaEESt5tupleIJNSA_6TensorESF_SF_EERKSF_lbbbEUlllE_EE10hipError_tT0_T1_T2_jT3_P12ihipStream_tbPNSt15iterator_traitsISL_E10value_typeEPNSR_ISM_E10value_typeEPSN_NS1_7vsmem_tEENKUlT_SL_SM_SN_E_clIS8_S8_S9_S9_EESK_S10_SL_SM_SN_EUlS10_E1_NS1_11comp_targetILNS1_3genE8ELNS1_11target_archE1030ELNS1_3gpuE2ELNS1_3repE0EEENS1_36merge_oddeven_config_static_selectorELNS0_4arch9wavefront6targetE0EEEvSM_,"axG",@progbits,_ZN7rocprim17ROCPRIM_400000_NS6detail17trampoline_kernelINS0_14default_configENS1_38merge_sort_block_merge_config_selectorIlNS0_10empty_typeEEEZZNS1_27merge_sort_block_merge_implIS3_PlPS5_mZN2at6native12_GLOBAL__N_124unique_dim_cuda_templateIaEESt5tupleIJNSA_6TensorESF_SF_EERKSF_lbbbEUlllE_EE10hipError_tT0_T1_T2_jT3_P12ihipStream_tbPNSt15iterator_traitsISL_E10value_typeEPNSR_ISM_E10value_typeEPSN_NS1_7vsmem_tEENKUlT_SL_SM_SN_E_clIS8_S8_S9_S9_EESK_S10_SL_SM_SN_EUlS10_E1_NS1_11comp_targetILNS1_3genE8ELNS1_11target_archE1030ELNS1_3gpuE2ELNS1_3repE0EEENS1_36merge_oddeven_config_static_selectorELNS0_4arch9wavefront6targetE0EEEvSM_,comdat
.Lfunc_end293:
	.size	_ZN7rocprim17ROCPRIM_400000_NS6detail17trampoline_kernelINS0_14default_configENS1_38merge_sort_block_merge_config_selectorIlNS0_10empty_typeEEEZZNS1_27merge_sort_block_merge_implIS3_PlPS5_mZN2at6native12_GLOBAL__N_124unique_dim_cuda_templateIaEESt5tupleIJNSA_6TensorESF_SF_EERKSF_lbbbEUlllE_EE10hipError_tT0_T1_T2_jT3_P12ihipStream_tbPNSt15iterator_traitsISL_E10value_typeEPNSR_ISM_E10value_typeEPSN_NS1_7vsmem_tEENKUlT_SL_SM_SN_E_clIS8_S8_S9_S9_EESK_S10_SL_SM_SN_EUlS10_E1_NS1_11comp_targetILNS1_3genE8ELNS1_11target_archE1030ELNS1_3gpuE2ELNS1_3repE0EEENS1_36merge_oddeven_config_static_selectorELNS0_4arch9wavefront6targetE0EEEvSM_, .Lfunc_end293-_ZN7rocprim17ROCPRIM_400000_NS6detail17trampoline_kernelINS0_14default_configENS1_38merge_sort_block_merge_config_selectorIlNS0_10empty_typeEEEZZNS1_27merge_sort_block_merge_implIS3_PlPS5_mZN2at6native12_GLOBAL__N_124unique_dim_cuda_templateIaEESt5tupleIJNSA_6TensorESF_SF_EERKSF_lbbbEUlllE_EE10hipError_tT0_T1_T2_jT3_P12ihipStream_tbPNSt15iterator_traitsISL_E10value_typeEPNSR_ISM_E10value_typeEPSN_NS1_7vsmem_tEENKUlT_SL_SM_SN_E_clIS8_S8_S9_S9_EESK_S10_SL_SM_SN_EUlS10_E1_NS1_11comp_targetILNS1_3genE8ELNS1_11target_archE1030ELNS1_3gpuE2ELNS1_3repE0EEENS1_36merge_oddeven_config_static_selectorELNS0_4arch9wavefront6targetE0EEEvSM_
                                        ; -- End function
	.section	.AMDGPU.csdata,"",@progbits
; Kernel info:
; codeLenInByte = 0
; NumSgprs: 0
; NumVgprs: 0
; ScratchSize: 0
; MemoryBound: 0
; FloatMode: 240
; IeeeMode: 1
; LDSByteSize: 0 bytes/workgroup (compile time only)
; SGPRBlocks: 0
; VGPRBlocks: 0
; NumSGPRsForWavesPerEU: 1
; NumVGPRsForWavesPerEU: 1
; Occupancy: 16
; WaveLimiterHint : 0
; COMPUTE_PGM_RSRC2:SCRATCH_EN: 0
; COMPUTE_PGM_RSRC2:USER_SGPR: 15
; COMPUTE_PGM_RSRC2:TRAP_HANDLER: 0
; COMPUTE_PGM_RSRC2:TGID_X_EN: 1
; COMPUTE_PGM_RSRC2:TGID_Y_EN: 0
; COMPUTE_PGM_RSRC2:TGID_Z_EN: 0
; COMPUTE_PGM_RSRC2:TIDIG_COMP_CNT: 0
	.section	.text._ZN7rocprim17ROCPRIM_400000_NS6detail17trampoline_kernelINS0_14default_configENS1_35adjacent_difference_config_selectorILb0ElEEZNS1_24adjacent_difference_implIS3_Lb0ELb0EPlS7_ZN2at6native12_GLOBAL__N_124unique_dim_cuda_templateIaEESt5tupleIJNS8_6TensorESD_SD_EERKSD_lbbbEUlllE1_EE10hipError_tPvRmT2_T3_mT4_P12ihipStream_tbEUlT_E_NS1_11comp_targetILNS1_3genE0ELNS1_11target_archE4294967295ELNS1_3gpuE0ELNS1_3repE0EEENS1_30default_config_static_selectorELNS0_4arch9wavefront6targetE0EEEvT1_,"axG",@progbits,_ZN7rocprim17ROCPRIM_400000_NS6detail17trampoline_kernelINS0_14default_configENS1_35adjacent_difference_config_selectorILb0ElEEZNS1_24adjacent_difference_implIS3_Lb0ELb0EPlS7_ZN2at6native12_GLOBAL__N_124unique_dim_cuda_templateIaEESt5tupleIJNS8_6TensorESD_SD_EERKSD_lbbbEUlllE1_EE10hipError_tPvRmT2_T3_mT4_P12ihipStream_tbEUlT_E_NS1_11comp_targetILNS1_3genE0ELNS1_11target_archE4294967295ELNS1_3gpuE0ELNS1_3repE0EEENS1_30default_config_static_selectorELNS0_4arch9wavefront6targetE0EEEvT1_,comdat
	.globl	_ZN7rocprim17ROCPRIM_400000_NS6detail17trampoline_kernelINS0_14default_configENS1_35adjacent_difference_config_selectorILb0ElEEZNS1_24adjacent_difference_implIS3_Lb0ELb0EPlS7_ZN2at6native12_GLOBAL__N_124unique_dim_cuda_templateIaEESt5tupleIJNS8_6TensorESD_SD_EERKSD_lbbbEUlllE1_EE10hipError_tPvRmT2_T3_mT4_P12ihipStream_tbEUlT_E_NS1_11comp_targetILNS1_3genE0ELNS1_11target_archE4294967295ELNS1_3gpuE0ELNS1_3repE0EEENS1_30default_config_static_selectorELNS0_4arch9wavefront6targetE0EEEvT1_ ; -- Begin function _ZN7rocprim17ROCPRIM_400000_NS6detail17trampoline_kernelINS0_14default_configENS1_35adjacent_difference_config_selectorILb0ElEEZNS1_24adjacent_difference_implIS3_Lb0ELb0EPlS7_ZN2at6native12_GLOBAL__N_124unique_dim_cuda_templateIaEESt5tupleIJNS8_6TensorESD_SD_EERKSD_lbbbEUlllE1_EE10hipError_tPvRmT2_T3_mT4_P12ihipStream_tbEUlT_E_NS1_11comp_targetILNS1_3genE0ELNS1_11target_archE4294967295ELNS1_3gpuE0ELNS1_3repE0EEENS1_30default_config_static_selectorELNS0_4arch9wavefront6targetE0EEEvT1_
	.p2align	8
	.type	_ZN7rocprim17ROCPRIM_400000_NS6detail17trampoline_kernelINS0_14default_configENS1_35adjacent_difference_config_selectorILb0ElEEZNS1_24adjacent_difference_implIS3_Lb0ELb0EPlS7_ZN2at6native12_GLOBAL__N_124unique_dim_cuda_templateIaEESt5tupleIJNS8_6TensorESD_SD_EERKSD_lbbbEUlllE1_EE10hipError_tPvRmT2_T3_mT4_P12ihipStream_tbEUlT_E_NS1_11comp_targetILNS1_3genE0ELNS1_11target_archE4294967295ELNS1_3gpuE0ELNS1_3repE0EEENS1_30default_config_static_selectorELNS0_4arch9wavefront6targetE0EEEvT1_,@function
_ZN7rocprim17ROCPRIM_400000_NS6detail17trampoline_kernelINS0_14default_configENS1_35adjacent_difference_config_selectorILb0ElEEZNS1_24adjacent_difference_implIS3_Lb0ELb0EPlS7_ZN2at6native12_GLOBAL__N_124unique_dim_cuda_templateIaEESt5tupleIJNS8_6TensorESD_SD_EERKSD_lbbbEUlllE1_EE10hipError_tPvRmT2_T3_mT4_P12ihipStream_tbEUlT_E_NS1_11comp_targetILNS1_3genE0ELNS1_11target_archE4294967295ELNS1_3gpuE0ELNS1_3repE0EEENS1_30default_config_static_selectorELNS0_4arch9wavefront6targetE0EEEvT1_: ; @_ZN7rocprim17ROCPRIM_400000_NS6detail17trampoline_kernelINS0_14default_configENS1_35adjacent_difference_config_selectorILb0ElEEZNS1_24adjacent_difference_implIS3_Lb0ELb0EPlS7_ZN2at6native12_GLOBAL__N_124unique_dim_cuda_templateIaEESt5tupleIJNS8_6TensorESD_SD_EERKSD_lbbbEUlllE1_EE10hipError_tPvRmT2_T3_mT4_P12ihipStream_tbEUlT_E_NS1_11comp_targetILNS1_3genE0ELNS1_11target_archE4294967295ELNS1_3gpuE0ELNS1_3repE0EEENS1_30default_config_static_selectorELNS0_4arch9wavefront6targetE0EEEvT1_
; %bb.0:
	.section	.rodata,"a",@progbits
	.p2align	6, 0x0
	.amdhsa_kernel _ZN7rocprim17ROCPRIM_400000_NS6detail17trampoline_kernelINS0_14default_configENS1_35adjacent_difference_config_selectorILb0ElEEZNS1_24adjacent_difference_implIS3_Lb0ELb0EPlS7_ZN2at6native12_GLOBAL__N_124unique_dim_cuda_templateIaEESt5tupleIJNS8_6TensorESD_SD_EERKSD_lbbbEUlllE1_EE10hipError_tPvRmT2_T3_mT4_P12ihipStream_tbEUlT_E_NS1_11comp_targetILNS1_3genE0ELNS1_11target_archE4294967295ELNS1_3gpuE0ELNS1_3repE0EEENS1_30default_config_static_selectorELNS0_4arch9wavefront6targetE0EEEvT1_
		.amdhsa_group_segment_fixed_size 0
		.amdhsa_private_segment_fixed_size 0
		.amdhsa_kernarg_size 64
		.amdhsa_user_sgpr_count 15
		.amdhsa_user_sgpr_dispatch_ptr 0
		.amdhsa_user_sgpr_queue_ptr 0
		.amdhsa_user_sgpr_kernarg_segment_ptr 1
		.amdhsa_user_sgpr_dispatch_id 0
		.amdhsa_user_sgpr_private_segment_size 0
		.amdhsa_wavefront_size32 1
		.amdhsa_uses_dynamic_stack 0
		.amdhsa_enable_private_segment 0
		.amdhsa_system_sgpr_workgroup_id_x 1
		.amdhsa_system_sgpr_workgroup_id_y 0
		.amdhsa_system_sgpr_workgroup_id_z 0
		.amdhsa_system_sgpr_workgroup_info 0
		.amdhsa_system_vgpr_workitem_id 0
		.amdhsa_next_free_vgpr 1
		.amdhsa_next_free_sgpr 1
		.amdhsa_reserve_vcc 0
		.amdhsa_float_round_mode_32 0
		.amdhsa_float_round_mode_16_64 0
		.amdhsa_float_denorm_mode_32 3
		.amdhsa_float_denorm_mode_16_64 3
		.amdhsa_dx10_clamp 1
		.amdhsa_ieee_mode 1
		.amdhsa_fp16_overflow 0
		.amdhsa_workgroup_processor_mode 1
		.amdhsa_memory_ordered 1
		.amdhsa_forward_progress 0
		.amdhsa_shared_vgpr_count 0
		.amdhsa_exception_fp_ieee_invalid_op 0
		.amdhsa_exception_fp_denorm_src 0
		.amdhsa_exception_fp_ieee_div_zero 0
		.amdhsa_exception_fp_ieee_overflow 0
		.amdhsa_exception_fp_ieee_underflow 0
		.amdhsa_exception_fp_ieee_inexact 0
		.amdhsa_exception_int_div_zero 0
	.end_amdhsa_kernel
	.section	.text._ZN7rocprim17ROCPRIM_400000_NS6detail17trampoline_kernelINS0_14default_configENS1_35adjacent_difference_config_selectorILb0ElEEZNS1_24adjacent_difference_implIS3_Lb0ELb0EPlS7_ZN2at6native12_GLOBAL__N_124unique_dim_cuda_templateIaEESt5tupleIJNS8_6TensorESD_SD_EERKSD_lbbbEUlllE1_EE10hipError_tPvRmT2_T3_mT4_P12ihipStream_tbEUlT_E_NS1_11comp_targetILNS1_3genE0ELNS1_11target_archE4294967295ELNS1_3gpuE0ELNS1_3repE0EEENS1_30default_config_static_selectorELNS0_4arch9wavefront6targetE0EEEvT1_,"axG",@progbits,_ZN7rocprim17ROCPRIM_400000_NS6detail17trampoline_kernelINS0_14default_configENS1_35adjacent_difference_config_selectorILb0ElEEZNS1_24adjacent_difference_implIS3_Lb0ELb0EPlS7_ZN2at6native12_GLOBAL__N_124unique_dim_cuda_templateIaEESt5tupleIJNS8_6TensorESD_SD_EERKSD_lbbbEUlllE1_EE10hipError_tPvRmT2_T3_mT4_P12ihipStream_tbEUlT_E_NS1_11comp_targetILNS1_3genE0ELNS1_11target_archE4294967295ELNS1_3gpuE0ELNS1_3repE0EEENS1_30default_config_static_selectorELNS0_4arch9wavefront6targetE0EEEvT1_,comdat
.Lfunc_end294:
	.size	_ZN7rocprim17ROCPRIM_400000_NS6detail17trampoline_kernelINS0_14default_configENS1_35adjacent_difference_config_selectorILb0ElEEZNS1_24adjacent_difference_implIS3_Lb0ELb0EPlS7_ZN2at6native12_GLOBAL__N_124unique_dim_cuda_templateIaEESt5tupleIJNS8_6TensorESD_SD_EERKSD_lbbbEUlllE1_EE10hipError_tPvRmT2_T3_mT4_P12ihipStream_tbEUlT_E_NS1_11comp_targetILNS1_3genE0ELNS1_11target_archE4294967295ELNS1_3gpuE0ELNS1_3repE0EEENS1_30default_config_static_selectorELNS0_4arch9wavefront6targetE0EEEvT1_, .Lfunc_end294-_ZN7rocprim17ROCPRIM_400000_NS6detail17trampoline_kernelINS0_14default_configENS1_35adjacent_difference_config_selectorILb0ElEEZNS1_24adjacent_difference_implIS3_Lb0ELb0EPlS7_ZN2at6native12_GLOBAL__N_124unique_dim_cuda_templateIaEESt5tupleIJNS8_6TensorESD_SD_EERKSD_lbbbEUlllE1_EE10hipError_tPvRmT2_T3_mT4_P12ihipStream_tbEUlT_E_NS1_11comp_targetILNS1_3genE0ELNS1_11target_archE4294967295ELNS1_3gpuE0ELNS1_3repE0EEENS1_30default_config_static_selectorELNS0_4arch9wavefront6targetE0EEEvT1_
                                        ; -- End function
	.section	.AMDGPU.csdata,"",@progbits
; Kernel info:
; codeLenInByte = 0
; NumSgprs: 0
; NumVgprs: 0
; ScratchSize: 0
; MemoryBound: 0
; FloatMode: 240
; IeeeMode: 1
; LDSByteSize: 0 bytes/workgroup (compile time only)
; SGPRBlocks: 0
; VGPRBlocks: 0
; NumSGPRsForWavesPerEU: 1
; NumVGPRsForWavesPerEU: 1
; Occupancy: 16
; WaveLimiterHint : 0
; COMPUTE_PGM_RSRC2:SCRATCH_EN: 0
; COMPUTE_PGM_RSRC2:USER_SGPR: 15
; COMPUTE_PGM_RSRC2:TRAP_HANDLER: 0
; COMPUTE_PGM_RSRC2:TGID_X_EN: 1
; COMPUTE_PGM_RSRC2:TGID_Y_EN: 0
; COMPUTE_PGM_RSRC2:TGID_Z_EN: 0
; COMPUTE_PGM_RSRC2:TIDIG_COMP_CNT: 0
	.section	.text._ZN7rocprim17ROCPRIM_400000_NS6detail17trampoline_kernelINS0_14default_configENS1_35adjacent_difference_config_selectorILb0ElEEZNS1_24adjacent_difference_implIS3_Lb0ELb0EPlS7_ZN2at6native12_GLOBAL__N_124unique_dim_cuda_templateIaEESt5tupleIJNS8_6TensorESD_SD_EERKSD_lbbbEUlllE1_EE10hipError_tPvRmT2_T3_mT4_P12ihipStream_tbEUlT_E_NS1_11comp_targetILNS1_3genE10ELNS1_11target_archE1201ELNS1_3gpuE5ELNS1_3repE0EEENS1_30default_config_static_selectorELNS0_4arch9wavefront6targetE0EEEvT1_,"axG",@progbits,_ZN7rocprim17ROCPRIM_400000_NS6detail17trampoline_kernelINS0_14default_configENS1_35adjacent_difference_config_selectorILb0ElEEZNS1_24adjacent_difference_implIS3_Lb0ELb0EPlS7_ZN2at6native12_GLOBAL__N_124unique_dim_cuda_templateIaEESt5tupleIJNS8_6TensorESD_SD_EERKSD_lbbbEUlllE1_EE10hipError_tPvRmT2_T3_mT4_P12ihipStream_tbEUlT_E_NS1_11comp_targetILNS1_3genE10ELNS1_11target_archE1201ELNS1_3gpuE5ELNS1_3repE0EEENS1_30default_config_static_selectorELNS0_4arch9wavefront6targetE0EEEvT1_,comdat
	.globl	_ZN7rocprim17ROCPRIM_400000_NS6detail17trampoline_kernelINS0_14default_configENS1_35adjacent_difference_config_selectorILb0ElEEZNS1_24adjacent_difference_implIS3_Lb0ELb0EPlS7_ZN2at6native12_GLOBAL__N_124unique_dim_cuda_templateIaEESt5tupleIJNS8_6TensorESD_SD_EERKSD_lbbbEUlllE1_EE10hipError_tPvRmT2_T3_mT4_P12ihipStream_tbEUlT_E_NS1_11comp_targetILNS1_3genE10ELNS1_11target_archE1201ELNS1_3gpuE5ELNS1_3repE0EEENS1_30default_config_static_selectorELNS0_4arch9wavefront6targetE0EEEvT1_ ; -- Begin function _ZN7rocprim17ROCPRIM_400000_NS6detail17trampoline_kernelINS0_14default_configENS1_35adjacent_difference_config_selectorILb0ElEEZNS1_24adjacent_difference_implIS3_Lb0ELb0EPlS7_ZN2at6native12_GLOBAL__N_124unique_dim_cuda_templateIaEESt5tupleIJNS8_6TensorESD_SD_EERKSD_lbbbEUlllE1_EE10hipError_tPvRmT2_T3_mT4_P12ihipStream_tbEUlT_E_NS1_11comp_targetILNS1_3genE10ELNS1_11target_archE1201ELNS1_3gpuE5ELNS1_3repE0EEENS1_30default_config_static_selectorELNS0_4arch9wavefront6targetE0EEEvT1_
	.p2align	8
	.type	_ZN7rocprim17ROCPRIM_400000_NS6detail17trampoline_kernelINS0_14default_configENS1_35adjacent_difference_config_selectorILb0ElEEZNS1_24adjacent_difference_implIS3_Lb0ELb0EPlS7_ZN2at6native12_GLOBAL__N_124unique_dim_cuda_templateIaEESt5tupleIJNS8_6TensorESD_SD_EERKSD_lbbbEUlllE1_EE10hipError_tPvRmT2_T3_mT4_P12ihipStream_tbEUlT_E_NS1_11comp_targetILNS1_3genE10ELNS1_11target_archE1201ELNS1_3gpuE5ELNS1_3repE0EEENS1_30default_config_static_selectorELNS0_4arch9wavefront6targetE0EEEvT1_,@function
_ZN7rocprim17ROCPRIM_400000_NS6detail17trampoline_kernelINS0_14default_configENS1_35adjacent_difference_config_selectorILb0ElEEZNS1_24adjacent_difference_implIS3_Lb0ELb0EPlS7_ZN2at6native12_GLOBAL__N_124unique_dim_cuda_templateIaEESt5tupleIJNS8_6TensorESD_SD_EERKSD_lbbbEUlllE1_EE10hipError_tPvRmT2_T3_mT4_P12ihipStream_tbEUlT_E_NS1_11comp_targetILNS1_3genE10ELNS1_11target_archE1201ELNS1_3gpuE5ELNS1_3repE0EEENS1_30default_config_static_selectorELNS0_4arch9wavefront6targetE0EEEvT1_: ; @_ZN7rocprim17ROCPRIM_400000_NS6detail17trampoline_kernelINS0_14default_configENS1_35adjacent_difference_config_selectorILb0ElEEZNS1_24adjacent_difference_implIS3_Lb0ELb0EPlS7_ZN2at6native12_GLOBAL__N_124unique_dim_cuda_templateIaEESt5tupleIJNS8_6TensorESD_SD_EERKSD_lbbbEUlllE1_EE10hipError_tPvRmT2_T3_mT4_P12ihipStream_tbEUlT_E_NS1_11comp_targetILNS1_3genE10ELNS1_11target_archE1201ELNS1_3gpuE5ELNS1_3repE0EEENS1_30default_config_static_selectorELNS0_4arch9wavefront6targetE0EEEvT1_
; %bb.0:
	.section	.rodata,"a",@progbits
	.p2align	6, 0x0
	.amdhsa_kernel _ZN7rocprim17ROCPRIM_400000_NS6detail17trampoline_kernelINS0_14default_configENS1_35adjacent_difference_config_selectorILb0ElEEZNS1_24adjacent_difference_implIS3_Lb0ELb0EPlS7_ZN2at6native12_GLOBAL__N_124unique_dim_cuda_templateIaEESt5tupleIJNS8_6TensorESD_SD_EERKSD_lbbbEUlllE1_EE10hipError_tPvRmT2_T3_mT4_P12ihipStream_tbEUlT_E_NS1_11comp_targetILNS1_3genE10ELNS1_11target_archE1201ELNS1_3gpuE5ELNS1_3repE0EEENS1_30default_config_static_selectorELNS0_4arch9wavefront6targetE0EEEvT1_
		.amdhsa_group_segment_fixed_size 0
		.amdhsa_private_segment_fixed_size 0
		.amdhsa_kernarg_size 64
		.amdhsa_user_sgpr_count 15
		.amdhsa_user_sgpr_dispatch_ptr 0
		.amdhsa_user_sgpr_queue_ptr 0
		.amdhsa_user_sgpr_kernarg_segment_ptr 1
		.amdhsa_user_sgpr_dispatch_id 0
		.amdhsa_user_sgpr_private_segment_size 0
		.amdhsa_wavefront_size32 1
		.amdhsa_uses_dynamic_stack 0
		.amdhsa_enable_private_segment 0
		.amdhsa_system_sgpr_workgroup_id_x 1
		.amdhsa_system_sgpr_workgroup_id_y 0
		.amdhsa_system_sgpr_workgroup_id_z 0
		.amdhsa_system_sgpr_workgroup_info 0
		.amdhsa_system_vgpr_workitem_id 0
		.amdhsa_next_free_vgpr 1
		.amdhsa_next_free_sgpr 1
		.amdhsa_reserve_vcc 0
		.amdhsa_float_round_mode_32 0
		.amdhsa_float_round_mode_16_64 0
		.amdhsa_float_denorm_mode_32 3
		.amdhsa_float_denorm_mode_16_64 3
		.amdhsa_dx10_clamp 1
		.amdhsa_ieee_mode 1
		.amdhsa_fp16_overflow 0
		.amdhsa_workgroup_processor_mode 1
		.amdhsa_memory_ordered 1
		.amdhsa_forward_progress 0
		.amdhsa_shared_vgpr_count 0
		.amdhsa_exception_fp_ieee_invalid_op 0
		.amdhsa_exception_fp_denorm_src 0
		.amdhsa_exception_fp_ieee_div_zero 0
		.amdhsa_exception_fp_ieee_overflow 0
		.amdhsa_exception_fp_ieee_underflow 0
		.amdhsa_exception_fp_ieee_inexact 0
		.amdhsa_exception_int_div_zero 0
	.end_amdhsa_kernel
	.section	.text._ZN7rocprim17ROCPRIM_400000_NS6detail17trampoline_kernelINS0_14default_configENS1_35adjacent_difference_config_selectorILb0ElEEZNS1_24adjacent_difference_implIS3_Lb0ELb0EPlS7_ZN2at6native12_GLOBAL__N_124unique_dim_cuda_templateIaEESt5tupleIJNS8_6TensorESD_SD_EERKSD_lbbbEUlllE1_EE10hipError_tPvRmT2_T3_mT4_P12ihipStream_tbEUlT_E_NS1_11comp_targetILNS1_3genE10ELNS1_11target_archE1201ELNS1_3gpuE5ELNS1_3repE0EEENS1_30default_config_static_selectorELNS0_4arch9wavefront6targetE0EEEvT1_,"axG",@progbits,_ZN7rocprim17ROCPRIM_400000_NS6detail17trampoline_kernelINS0_14default_configENS1_35adjacent_difference_config_selectorILb0ElEEZNS1_24adjacent_difference_implIS3_Lb0ELb0EPlS7_ZN2at6native12_GLOBAL__N_124unique_dim_cuda_templateIaEESt5tupleIJNS8_6TensorESD_SD_EERKSD_lbbbEUlllE1_EE10hipError_tPvRmT2_T3_mT4_P12ihipStream_tbEUlT_E_NS1_11comp_targetILNS1_3genE10ELNS1_11target_archE1201ELNS1_3gpuE5ELNS1_3repE0EEENS1_30default_config_static_selectorELNS0_4arch9wavefront6targetE0EEEvT1_,comdat
.Lfunc_end295:
	.size	_ZN7rocprim17ROCPRIM_400000_NS6detail17trampoline_kernelINS0_14default_configENS1_35adjacent_difference_config_selectorILb0ElEEZNS1_24adjacent_difference_implIS3_Lb0ELb0EPlS7_ZN2at6native12_GLOBAL__N_124unique_dim_cuda_templateIaEESt5tupleIJNS8_6TensorESD_SD_EERKSD_lbbbEUlllE1_EE10hipError_tPvRmT2_T3_mT4_P12ihipStream_tbEUlT_E_NS1_11comp_targetILNS1_3genE10ELNS1_11target_archE1201ELNS1_3gpuE5ELNS1_3repE0EEENS1_30default_config_static_selectorELNS0_4arch9wavefront6targetE0EEEvT1_, .Lfunc_end295-_ZN7rocprim17ROCPRIM_400000_NS6detail17trampoline_kernelINS0_14default_configENS1_35adjacent_difference_config_selectorILb0ElEEZNS1_24adjacent_difference_implIS3_Lb0ELb0EPlS7_ZN2at6native12_GLOBAL__N_124unique_dim_cuda_templateIaEESt5tupleIJNS8_6TensorESD_SD_EERKSD_lbbbEUlllE1_EE10hipError_tPvRmT2_T3_mT4_P12ihipStream_tbEUlT_E_NS1_11comp_targetILNS1_3genE10ELNS1_11target_archE1201ELNS1_3gpuE5ELNS1_3repE0EEENS1_30default_config_static_selectorELNS0_4arch9wavefront6targetE0EEEvT1_
                                        ; -- End function
	.section	.AMDGPU.csdata,"",@progbits
; Kernel info:
; codeLenInByte = 0
; NumSgprs: 0
; NumVgprs: 0
; ScratchSize: 0
; MemoryBound: 0
; FloatMode: 240
; IeeeMode: 1
; LDSByteSize: 0 bytes/workgroup (compile time only)
; SGPRBlocks: 0
; VGPRBlocks: 0
; NumSGPRsForWavesPerEU: 1
; NumVGPRsForWavesPerEU: 1
; Occupancy: 16
; WaveLimiterHint : 0
; COMPUTE_PGM_RSRC2:SCRATCH_EN: 0
; COMPUTE_PGM_RSRC2:USER_SGPR: 15
; COMPUTE_PGM_RSRC2:TRAP_HANDLER: 0
; COMPUTE_PGM_RSRC2:TGID_X_EN: 1
; COMPUTE_PGM_RSRC2:TGID_Y_EN: 0
; COMPUTE_PGM_RSRC2:TGID_Z_EN: 0
; COMPUTE_PGM_RSRC2:TIDIG_COMP_CNT: 0
	.section	.text._ZN7rocprim17ROCPRIM_400000_NS6detail17trampoline_kernelINS0_14default_configENS1_35adjacent_difference_config_selectorILb0ElEEZNS1_24adjacent_difference_implIS3_Lb0ELb0EPlS7_ZN2at6native12_GLOBAL__N_124unique_dim_cuda_templateIaEESt5tupleIJNS8_6TensorESD_SD_EERKSD_lbbbEUlllE1_EE10hipError_tPvRmT2_T3_mT4_P12ihipStream_tbEUlT_E_NS1_11comp_targetILNS1_3genE5ELNS1_11target_archE942ELNS1_3gpuE9ELNS1_3repE0EEENS1_30default_config_static_selectorELNS0_4arch9wavefront6targetE0EEEvT1_,"axG",@progbits,_ZN7rocprim17ROCPRIM_400000_NS6detail17trampoline_kernelINS0_14default_configENS1_35adjacent_difference_config_selectorILb0ElEEZNS1_24adjacent_difference_implIS3_Lb0ELb0EPlS7_ZN2at6native12_GLOBAL__N_124unique_dim_cuda_templateIaEESt5tupleIJNS8_6TensorESD_SD_EERKSD_lbbbEUlllE1_EE10hipError_tPvRmT2_T3_mT4_P12ihipStream_tbEUlT_E_NS1_11comp_targetILNS1_3genE5ELNS1_11target_archE942ELNS1_3gpuE9ELNS1_3repE0EEENS1_30default_config_static_selectorELNS0_4arch9wavefront6targetE0EEEvT1_,comdat
	.globl	_ZN7rocprim17ROCPRIM_400000_NS6detail17trampoline_kernelINS0_14default_configENS1_35adjacent_difference_config_selectorILb0ElEEZNS1_24adjacent_difference_implIS3_Lb0ELb0EPlS7_ZN2at6native12_GLOBAL__N_124unique_dim_cuda_templateIaEESt5tupleIJNS8_6TensorESD_SD_EERKSD_lbbbEUlllE1_EE10hipError_tPvRmT2_T3_mT4_P12ihipStream_tbEUlT_E_NS1_11comp_targetILNS1_3genE5ELNS1_11target_archE942ELNS1_3gpuE9ELNS1_3repE0EEENS1_30default_config_static_selectorELNS0_4arch9wavefront6targetE0EEEvT1_ ; -- Begin function _ZN7rocprim17ROCPRIM_400000_NS6detail17trampoline_kernelINS0_14default_configENS1_35adjacent_difference_config_selectorILb0ElEEZNS1_24adjacent_difference_implIS3_Lb0ELb0EPlS7_ZN2at6native12_GLOBAL__N_124unique_dim_cuda_templateIaEESt5tupleIJNS8_6TensorESD_SD_EERKSD_lbbbEUlllE1_EE10hipError_tPvRmT2_T3_mT4_P12ihipStream_tbEUlT_E_NS1_11comp_targetILNS1_3genE5ELNS1_11target_archE942ELNS1_3gpuE9ELNS1_3repE0EEENS1_30default_config_static_selectorELNS0_4arch9wavefront6targetE0EEEvT1_
	.p2align	8
	.type	_ZN7rocprim17ROCPRIM_400000_NS6detail17trampoline_kernelINS0_14default_configENS1_35adjacent_difference_config_selectorILb0ElEEZNS1_24adjacent_difference_implIS3_Lb0ELb0EPlS7_ZN2at6native12_GLOBAL__N_124unique_dim_cuda_templateIaEESt5tupleIJNS8_6TensorESD_SD_EERKSD_lbbbEUlllE1_EE10hipError_tPvRmT2_T3_mT4_P12ihipStream_tbEUlT_E_NS1_11comp_targetILNS1_3genE5ELNS1_11target_archE942ELNS1_3gpuE9ELNS1_3repE0EEENS1_30default_config_static_selectorELNS0_4arch9wavefront6targetE0EEEvT1_,@function
_ZN7rocprim17ROCPRIM_400000_NS6detail17trampoline_kernelINS0_14default_configENS1_35adjacent_difference_config_selectorILb0ElEEZNS1_24adjacent_difference_implIS3_Lb0ELb0EPlS7_ZN2at6native12_GLOBAL__N_124unique_dim_cuda_templateIaEESt5tupleIJNS8_6TensorESD_SD_EERKSD_lbbbEUlllE1_EE10hipError_tPvRmT2_T3_mT4_P12ihipStream_tbEUlT_E_NS1_11comp_targetILNS1_3genE5ELNS1_11target_archE942ELNS1_3gpuE9ELNS1_3repE0EEENS1_30default_config_static_selectorELNS0_4arch9wavefront6targetE0EEEvT1_: ; @_ZN7rocprim17ROCPRIM_400000_NS6detail17trampoline_kernelINS0_14default_configENS1_35adjacent_difference_config_selectorILb0ElEEZNS1_24adjacent_difference_implIS3_Lb0ELb0EPlS7_ZN2at6native12_GLOBAL__N_124unique_dim_cuda_templateIaEESt5tupleIJNS8_6TensorESD_SD_EERKSD_lbbbEUlllE1_EE10hipError_tPvRmT2_T3_mT4_P12ihipStream_tbEUlT_E_NS1_11comp_targetILNS1_3genE5ELNS1_11target_archE942ELNS1_3gpuE9ELNS1_3repE0EEENS1_30default_config_static_selectorELNS0_4arch9wavefront6targetE0EEEvT1_
; %bb.0:
	.section	.rodata,"a",@progbits
	.p2align	6, 0x0
	.amdhsa_kernel _ZN7rocprim17ROCPRIM_400000_NS6detail17trampoline_kernelINS0_14default_configENS1_35adjacent_difference_config_selectorILb0ElEEZNS1_24adjacent_difference_implIS3_Lb0ELb0EPlS7_ZN2at6native12_GLOBAL__N_124unique_dim_cuda_templateIaEESt5tupleIJNS8_6TensorESD_SD_EERKSD_lbbbEUlllE1_EE10hipError_tPvRmT2_T3_mT4_P12ihipStream_tbEUlT_E_NS1_11comp_targetILNS1_3genE5ELNS1_11target_archE942ELNS1_3gpuE9ELNS1_3repE0EEENS1_30default_config_static_selectorELNS0_4arch9wavefront6targetE0EEEvT1_
		.amdhsa_group_segment_fixed_size 0
		.amdhsa_private_segment_fixed_size 0
		.amdhsa_kernarg_size 64
		.amdhsa_user_sgpr_count 15
		.amdhsa_user_sgpr_dispatch_ptr 0
		.amdhsa_user_sgpr_queue_ptr 0
		.amdhsa_user_sgpr_kernarg_segment_ptr 1
		.amdhsa_user_sgpr_dispatch_id 0
		.amdhsa_user_sgpr_private_segment_size 0
		.amdhsa_wavefront_size32 1
		.amdhsa_uses_dynamic_stack 0
		.amdhsa_enable_private_segment 0
		.amdhsa_system_sgpr_workgroup_id_x 1
		.amdhsa_system_sgpr_workgroup_id_y 0
		.amdhsa_system_sgpr_workgroup_id_z 0
		.amdhsa_system_sgpr_workgroup_info 0
		.amdhsa_system_vgpr_workitem_id 0
		.amdhsa_next_free_vgpr 1
		.amdhsa_next_free_sgpr 1
		.amdhsa_reserve_vcc 0
		.amdhsa_float_round_mode_32 0
		.amdhsa_float_round_mode_16_64 0
		.amdhsa_float_denorm_mode_32 3
		.amdhsa_float_denorm_mode_16_64 3
		.amdhsa_dx10_clamp 1
		.amdhsa_ieee_mode 1
		.amdhsa_fp16_overflow 0
		.amdhsa_workgroup_processor_mode 1
		.amdhsa_memory_ordered 1
		.amdhsa_forward_progress 0
		.amdhsa_shared_vgpr_count 0
		.amdhsa_exception_fp_ieee_invalid_op 0
		.amdhsa_exception_fp_denorm_src 0
		.amdhsa_exception_fp_ieee_div_zero 0
		.amdhsa_exception_fp_ieee_overflow 0
		.amdhsa_exception_fp_ieee_underflow 0
		.amdhsa_exception_fp_ieee_inexact 0
		.amdhsa_exception_int_div_zero 0
	.end_amdhsa_kernel
	.section	.text._ZN7rocprim17ROCPRIM_400000_NS6detail17trampoline_kernelINS0_14default_configENS1_35adjacent_difference_config_selectorILb0ElEEZNS1_24adjacent_difference_implIS3_Lb0ELb0EPlS7_ZN2at6native12_GLOBAL__N_124unique_dim_cuda_templateIaEESt5tupleIJNS8_6TensorESD_SD_EERKSD_lbbbEUlllE1_EE10hipError_tPvRmT2_T3_mT4_P12ihipStream_tbEUlT_E_NS1_11comp_targetILNS1_3genE5ELNS1_11target_archE942ELNS1_3gpuE9ELNS1_3repE0EEENS1_30default_config_static_selectorELNS0_4arch9wavefront6targetE0EEEvT1_,"axG",@progbits,_ZN7rocprim17ROCPRIM_400000_NS6detail17trampoline_kernelINS0_14default_configENS1_35adjacent_difference_config_selectorILb0ElEEZNS1_24adjacent_difference_implIS3_Lb0ELb0EPlS7_ZN2at6native12_GLOBAL__N_124unique_dim_cuda_templateIaEESt5tupleIJNS8_6TensorESD_SD_EERKSD_lbbbEUlllE1_EE10hipError_tPvRmT2_T3_mT4_P12ihipStream_tbEUlT_E_NS1_11comp_targetILNS1_3genE5ELNS1_11target_archE942ELNS1_3gpuE9ELNS1_3repE0EEENS1_30default_config_static_selectorELNS0_4arch9wavefront6targetE0EEEvT1_,comdat
.Lfunc_end296:
	.size	_ZN7rocprim17ROCPRIM_400000_NS6detail17trampoline_kernelINS0_14default_configENS1_35adjacent_difference_config_selectorILb0ElEEZNS1_24adjacent_difference_implIS3_Lb0ELb0EPlS7_ZN2at6native12_GLOBAL__N_124unique_dim_cuda_templateIaEESt5tupleIJNS8_6TensorESD_SD_EERKSD_lbbbEUlllE1_EE10hipError_tPvRmT2_T3_mT4_P12ihipStream_tbEUlT_E_NS1_11comp_targetILNS1_3genE5ELNS1_11target_archE942ELNS1_3gpuE9ELNS1_3repE0EEENS1_30default_config_static_selectorELNS0_4arch9wavefront6targetE0EEEvT1_, .Lfunc_end296-_ZN7rocprim17ROCPRIM_400000_NS6detail17trampoline_kernelINS0_14default_configENS1_35adjacent_difference_config_selectorILb0ElEEZNS1_24adjacent_difference_implIS3_Lb0ELb0EPlS7_ZN2at6native12_GLOBAL__N_124unique_dim_cuda_templateIaEESt5tupleIJNS8_6TensorESD_SD_EERKSD_lbbbEUlllE1_EE10hipError_tPvRmT2_T3_mT4_P12ihipStream_tbEUlT_E_NS1_11comp_targetILNS1_3genE5ELNS1_11target_archE942ELNS1_3gpuE9ELNS1_3repE0EEENS1_30default_config_static_selectorELNS0_4arch9wavefront6targetE0EEEvT1_
                                        ; -- End function
	.section	.AMDGPU.csdata,"",@progbits
; Kernel info:
; codeLenInByte = 0
; NumSgprs: 0
; NumVgprs: 0
; ScratchSize: 0
; MemoryBound: 0
; FloatMode: 240
; IeeeMode: 1
; LDSByteSize: 0 bytes/workgroup (compile time only)
; SGPRBlocks: 0
; VGPRBlocks: 0
; NumSGPRsForWavesPerEU: 1
; NumVGPRsForWavesPerEU: 1
; Occupancy: 16
; WaveLimiterHint : 0
; COMPUTE_PGM_RSRC2:SCRATCH_EN: 0
; COMPUTE_PGM_RSRC2:USER_SGPR: 15
; COMPUTE_PGM_RSRC2:TRAP_HANDLER: 0
; COMPUTE_PGM_RSRC2:TGID_X_EN: 1
; COMPUTE_PGM_RSRC2:TGID_Y_EN: 0
; COMPUTE_PGM_RSRC2:TGID_Z_EN: 0
; COMPUTE_PGM_RSRC2:TIDIG_COMP_CNT: 0
	.section	.text._ZN7rocprim17ROCPRIM_400000_NS6detail17trampoline_kernelINS0_14default_configENS1_35adjacent_difference_config_selectorILb0ElEEZNS1_24adjacent_difference_implIS3_Lb0ELb0EPlS7_ZN2at6native12_GLOBAL__N_124unique_dim_cuda_templateIaEESt5tupleIJNS8_6TensorESD_SD_EERKSD_lbbbEUlllE1_EE10hipError_tPvRmT2_T3_mT4_P12ihipStream_tbEUlT_E_NS1_11comp_targetILNS1_3genE4ELNS1_11target_archE910ELNS1_3gpuE8ELNS1_3repE0EEENS1_30default_config_static_selectorELNS0_4arch9wavefront6targetE0EEEvT1_,"axG",@progbits,_ZN7rocprim17ROCPRIM_400000_NS6detail17trampoline_kernelINS0_14default_configENS1_35adjacent_difference_config_selectorILb0ElEEZNS1_24adjacent_difference_implIS3_Lb0ELb0EPlS7_ZN2at6native12_GLOBAL__N_124unique_dim_cuda_templateIaEESt5tupleIJNS8_6TensorESD_SD_EERKSD_lbbbEUlllE1_EE10hipError_tPvRmT2_T3_mT4_P12ihipStream_tbEUlT_E_NS1_11comp_targetILNS1_3genE4ELNS1_11target_archE910ELNS1_3gpuE8ELNS1_3repE0EEENS1_30default_config_static_selectorELNS0_4arch9wavefront6targetE0EEEvT1_,comdat
	.globl	_ZN7rocprim17ROCPRIM_400000_NS6detail17trampoline_kernelINS0_14default_configENS1_35adjacent_difference_config_selectorILb0ElEEZNS1_24adjacent_difference_implIS3_Lb0ELb0EPlS7_ZN2at6native12_GLOBAL__N_124unique_dim_cuda_templateIaEESt5tupleIJNS8_6TensorESD_SD_EERKSD_lbbbEUlllE1_EE10hipError_tPvRmT2_T3_mT4_P12ihipStream_tbEUlT_E_NS1_11comp_targetILNS1_3genE4ELNS1_11target_archE910ELNS1_3gpuE8ELNS1_3repE0EEENS1_30default_config_static_selectorELNS0_4arch9wavefront6targetE0EEEvT1_ ; -- Begin function _ZN7rocprim17ROCPRIM_400000_NS6detail17trampoline_kernelINS0_14default_configENS1_35adjacent_difference_config_selectorILb0ElEEZNS1_24adjacent_difference_implIS3_Lb0ELb0EPlS7_ZN2at6native12_GLOBAL__N_124unique_dim_cuda_templateIaEESt5tupleIJNS8_6TensorESD_SD_EERKSD_lbbbEUlllE1_EE10hipError_tPvRmT2_T3_mT4_P12ihipStream_tbEUlT_E_NS1_11comp_targetILNS1_3genE4ELNS1_11target_archE910ELNS1_3gpuE8ELNS1_3repE0EEENS1_30default_config_static_selectorELNS0_4arch9wavefront6targetE0EEEvT1_
	.p2align	8
	.type	_ZN7rocprim17ROCPRIM_400000_NS6detail17trampoline_kernelINS0_14default_configENS1_35adjacent_difference_config_selectorILb0ElEEZNS1_24adjacent_difference_implIS3_Lb0ELb0EPlS7_ZN2at6native12_GLOBAL__N_124unique_dim_cuda_templateIaEESt5tupleIJNS8_6TensorESD_SD_EERKSD_lbbbEUlllE1_EE10hipError_tPvRmT2_T3_mT4_P12ihipStream_tbEUlT_E_NS1_11comp_targetILNS1_3genE4ELNS1_11target_archE910ELNS1_3gpuE8ELNS1_3repE0EEENS1_30default_config_static_selectorELNS0_4arch9wavefront6targetE0EEEvT1_,@function
_ZN7rocprim17ROCPRIM_400000_NS6detail17trampoline_kernelINS0_14default_configENS1_35adjacent_difference_config_selectorILb0ElEEZNS1_24adjacent_difference_implIS3_Lb0ELb0EPlS7_ZN2at6native12_GLOBAL__N_124unique_dim_cuda_templateIaEESt5tupleIJNS8_6TensorESD_SD_EERKSD_lbbbEUlllE1_EE10hipError_tPvRmT2_T3_mT4_P12ihipStream_tbEUlT_E_NS1_11comp_targetILNS1_3genE4ELNS1_11target_archE910ELNS1_3gpuE8ELNS1_3repE0EEENS1_30default_config_static_selectorELNS0_4arch9wavefront6targetE0EEEvT1_: ; @_ZN7rocprim17ROCPRIM_400000_NS6detail17trampoline_kernelINS0_14default_configENS1_35adjacent_difference_config_selectorILb0ElEEZNS1_24adjacent_difference_implIS3_Lb0ELb0EPlS7_ZN2at6native12_GLOBAL__N_124unique_dim_cuda_templateIaEESt5tupleIJNS8_6TensorESD_SD_EERKSD_lbbbEUlllE1_EE10hipError_tPvRmT2_T3_mT4_P12ihipStream_tbEUlT_E_NS1_11comp_targetILNS1_3genE4ELNS1_11target_archE910ELNS1_3gpuE8ELNS1_3repE0EEENS1_30default_config_static_selectorELNS0_4arch9wavefront6targetE0EEEvT1_
; %bb.0:
	.section	.rodata,"a",@progbits
	.p2align	6, 0x0
	.amdhsa_kernel _ZN7rocprim17ROCPRIM_400000_NS6detail17trampoline_kernelINS0_14default_configENS1_35adjacent_difference_config_selectorILb0ElEEZNS1_24adjacent_difference_implIS3_Lb0ELb0EPlS7_ZN2at6native12_GLOBAL__N_124unique_dim_cuda_templateIaEESt5tupleIJNS8_6TensorESD_SD_EERKSD_lbbbEUlllE1_EE10hipError_tPvRmT2_T3_mT4_P12ihipStream_tbEUlT_E_NS1_11comp_targetILNS1_3genE4ELNS1_11target_archE910ELNS1_3gpuE8ELNS1_3repE0EEENS1_30default_config_static_selectorELNS0_4arch9wavefront6targetE0EEEvT1_
		.amdhsa_group_segment_fixed_size 0
		.amdhsa_private_segment_fixed_size 0
		.amdhsa_kernarg_size 64
		.amdhsa_user_sgpr_count 15
		.amdhsa_user_sgpr_dispatch_ptr 0
		.amdhsa_user_sgpr_queue_ptr 0
		.amdhsa_user_sgpr_kernarg_segment_ptr 1
		.amdhsa_user_sgpr_dispatch_id 0
		.amdhsa_user_sgpr_private_segment_size 0
		.amdhsa_wavefront_size32 1
		.amdhsa_uses_dynamic_stack 0
		.amdhsa_enable_private_segment 0
		.amdhsa_system_sgpr_workgroup_id_x 1
		.amdhsa_system_sgpr_workgroup_id_y 0
		.amdhsa_system_sgpr_workgroup_id_z 0
		.amdhsa_system_sgpr_workgroup_info 0
		.amdhsa_system_vgpr_workitem_id 0
		.amdhsa_next_free_vgpr 1
		.amdhsa_next_free_sgpr 1
		.amdhsa_reserve_vcc 0
		.amdhsa_float_round_mode_32 0
		.amdhsa_float_round_mode_16_64 0
		.amdhsa_float_denorm_mode_32 3
		.amdhsa_float_denorm_mode_16_64 3
		.amdhsa_dx10_clamp 1
		.amdhsa_ieee_mode 1
		.amdhsa_fp16_overflow 0
		.amdhsa_workgroup_processor_mode 1
		.amdhsa_memory_ordered 1
		.amdhsa_forward_progress 0
		.amdhsa_shared_vgpr_count 0
		.amdhsa_exception_fp_ieee_invalid_op 0
		.amdhsa_exception_fp_denorm_src 0
		.amdhsa_exception_fp_ieee_div_zero 0
		.amdhsa_exception_fp_ieee_overflow 0
		.amdhsa_exception_fp_ieee_underflow 0
		.amdhsa_exception_fp_ieee_inexact 0
		.amdhsa_exception_int_div_zero 0
	.end_amdhsa_kernel
	.section	.text._ZN7rocprim17ROCPRIM_400000_NS6detail17trampoline_kernelINS0_14default_configENS1_35adjacent_difference_config_selectorILb0ElEEZNS1_24adjacent_difference_implIS3_Lb0ELb0EPlS7_ZN2at6native12_GLOBAL__N_124unique_dim_cuda_templateIaEESt5tupleIJNS8_6TensorESD_SD_EERKSD_lbbbEUlllE1_EE10hipError_tPvRmT2_T3_mT4_P12ihipStream_tbEUlT_E_NS1_11comp_targetILNS1_3genE4ELNS1_11target_archE910ELNS1_3gpuE8ELNS1_3repE0EEENS1_30default_config_static_selectorELNS0_4arch9wavefront6targetE0EEEvT1_,"axG",@progbits,_ZN7rocprim17ROCPRIM_400000_NS6detail17trampoline_kernelINS0_14default_configENS1_35adjacent_difference_config_selectorILb0ElEEZNS1_24adjacent_difference_implIS3_Lb0ELb0EPlS7_ZN2at6native12_GLOBAL__N_124unique_dim_cuda_templateIaEESt5tupleIJNS8_6TensorESD_SD_EERKSD_lbbbEUlllE1_EE10hipError_tPvRmT2_T3_mT4_P12ihipStream_tbEUlT_E_NS1_11comp_targetILNS1_3genE4ELNS1_11target_archE910ELNS1_3gpuE8ELNS1_3repE0EEENS1_30default_config_static_selectorELNS0_4arch9wavefront6targetE0EEEvT1_,comdat
.Lfunc_end297:
	.size	_ZN7rocprim17ROCPRIM_400000_NS6detail17trampoline_kernelINS0_14default_configENS1_35adjacent_difference_config_selectorILb0ElEEZNS1_24adjacent_difference_implIS3_Lb0ELb0EPlS7_ZN2at6native12_GLOBAL__N_124unique_dim_cuda_templateIaEESt5tupleIJNS8_6TensorESD_SD_EERKSD_lbbbEUlllE1_EE10hipError_tPvRmT2_T3_mT4_P12ihipStream_tbEUlT_E_NS1_11comp_targetILNS1_3genE4ELNS1_11target_archE910ELNS1_3gpuE8ELNS1_3repE0EEENS1_30default_config_static_selectorELNS0_4arch9wavefront6targetE0EEEvT1_, .Lfunc_end297-_ZN7rocprim17ROCPRIM_400000_NS6detail17trampoline_kernelINS0_14default_configENS1_35adjacent_difference_config_selectorILb0ElEEZNS1_24adjacent_difference_implIS3_Lb0ELb0EPlS7_ZN2at6native12_GLOBAL__N_124unique_dim_cuda_templateIaEESt5tupleIJNS8_6TensorESD_SD_EERKSD_lbbbEUlllE1_EE10hipError_tPvRmT2_T3_mT4_P12ihipStream_tbEUlT_E_NS1_11comp_targetILNS1_3genE4ELNS1_11target_archE910ELNS1_3gpuE8ELNS1_3repE0EEENS1_30default_config_static_selectorELNS0_4arch9wavefront6targetE0EEEvT1_
                                        ; -- End function
	.section	.AMDGPU.csdata,"",@progbits
; Kernel info:
; codeLenInByte = 0
; NumSgprs: 0
; NumVgprs: 0
; ScratchSize: 0
; MemoryBound: 0
; FloatMode: 240
; IeeeMode: 1
; LDSByteSize: 0 bytes/workgroup (compile time only)
; SGPRBlocks: 0
; VGPRBlocks: 0
; NumSGPRsForWavesPerEU: 1
; NumVGPRsForWavesPerEU: 1
; Occupancy: 16
; WaveLimiterHint : 0
; COMPUTE_PGM_RSRC2:SCRATCH_EN: 0
; COMPUTE_PGM_RSRC2:USER_SGPR: 15
; COMPUTE_PGM_RSRC2:TRAP_HANDLER: 0
; COMPUTE_PGM_RSRC2:TGID_X_EN: 1
; COMPUTE_PGM_RSRC2:TGID_Y_EN: 0
; COMPUTE_PGM_RSRC2:TGID_Z_EN: 0
; COMPUTE_PGM_RSRC2:TIDIG_COMP_CNT: 0
	.section	.text._ZN7rocprim17ROCPRIM_400000_NS6detail17trampoline_kernelINS0_14default_configENS1_35adjacent_difference_config_selectorILb0ElEEZNS1_24adjacent_difference_implIS3_Lb0ELb0EPlS7_ZN2at6native12_GLOBAL__N_124unique_dim_cuda_templateIaEESt5tupleIJNS8_6TensorESD_SD_EERKSD_lbbbEUlllE1_EE10hipError_tPvRmT2_T3_mT4_P12ihipStream_tbEUlT_E_NS1_11comp_targetILNS1_3genE3ELNS1_11target_archE908ELNS1_3gpuE7ELNS1_3repE0EEENS1_30default_config_static_selectorELNS0_4arch9wavefront6targetE0EEEvT1_,"axG",@progbits,_ZN7rocprim17ROCPRIM_400000_NS6detail17trampoline_kernelINS0_14default_configENS1_35adjacent_difference_config_selectorILb0ElEEZNS1_24adjacent_difference_implIS3_Lb0ELb0EPlS7_ZN2at6native12_GLOBAL__N_124unique_dim_cuda_templateIaEESt5tupleIJNS8_6TensorESD_SD_EERKSD_lbbbEUlllE1_EE10hipError_tPvRmT2_T3_mT4_P12ihipStream_tbEUlT_E_NS1_11comp_targetILNS1_3genE3ELNS1_11target_archE908ELNS1_3gpuE7ELNS1_3repE0EEENS1_30default_config_static_selectorELNS0_4arch9wavefront6targetE0EEEvT1_,comdat
	.globl	_ZN7rocprim17ROCPRIM_400000_NS6detail17trampoline_kernelINS0_14default_configENS1_35adjacent_difference_config_selectorILb0ElEEZNS1_24adjacent_difference_implIS3_Lb0ELb0EPlS7_ZN2at6native12_GLOBAL__N_124unique_dim_cuda_templateIaEESt5tupleIJNS8_6TensorESD_SD_EERKSD_lbbbEUlllE1_EE10hipError_tPvRmT2_T3_mT4_P12ihipStream_tbEUlT_E_NS1_11comp_targetILNS1_3genE3ELNS1_11target_archE908ELNS1_3gpuE7ELNS1_3repE0EEENS1_30default_config_static_selectorELNS0_4arch9wavefront6targetE0EEEvT1_ ; -- Begin function _ZN7rocprim17ROCPRIM_400000_NS6detail17trampoline_kernelINS0_14default_configENS1_35adjacent_difference_config_selectorILb0ElEEZNS1_24adjacent_difference_implIS3_Lb0ELb0EPlS7_ZN2at6native12_GLOBAL__N_124unique_dim_cuda_templateIaEESt5tupleIJNS8_6TensorESD_SD_EERKSD_lbbbEUlllE1_EE10hipError_tPvRmT2_T3_mT4_P12ihipStream_tbEUlT_E_NS1_11comp_targetILNS1_3genE3ELNS1_11target_archE908ELNS1_3gpuE7ELNS1_3repE0EEENS1_30default_config_static_selectorELNS0_4arch9wavefront6targetE0EEEvT1_
	.p2align	8
	.type	_ZN7rocprim17ROCPRIM_400000_NS6detail17trampoline_kernelINS0_14default_configENS1_35adjacent_difference_config_selectorILb0ElEEZNS1_24adjacent_difference_implIS3_Lb0ELb0EPlS7_ZN2at6native12_GLOBAL__N_124unique_dim_cuda_templateIaEESt5tupleIJNS8_6TensorESD_SD_EERKSD_lbbbEUlllE1_EE10hipError_tPvRmT2_T3_mT4_P12ihipStream_tbEUlT_E_NS1_11comp_targetILNS1_3genE3ELNS1_11target_archE908ELNS1_3gpuE7ELNS1_3repE0EEENS1_30default_config_static_selectorELNS0_4arch9wavefront6targetE0EEEvT1_,@function
_ZN7rocprim17ROCPRIM_400000_NS6detail17trampoline_kernelINS0_14default_configENS1_35adjacent_difference_config_selectorILb0ElEEZNS1_24adjacent_difference_implIS3_Lb0ELb0EPlS7_ZN2at6native12_GLOBAL__N_124unique_dim_cuda_templateIaEESt5tupleIJNS8_6TensorESD_SD_EERKSD_lbbbEUlllE1_EE10hipError_tPvRmT2_T3_mT4_P12ihipStream_tbEUlT_E_NS1_11comp_targetILNS1_3genE3ELNS1_11target_archE908ELNS1_3gpuE7ELNS1_3repE0EEENS1_30default_config_static_selectorELNS0_4arch9wavefront6targetE0EEEvT1_: ; @_ZN7rocprim17ROCPRIM_400000_NS6detail17trampoline_kernelINS0_14default_configENS1_35adjacent_difference_config_selectorILb0ElEEZNS1_24adjacent_difference_implIS3_Lb0ELb0EPlS7_ZN2at6native12_GLOBAL__N_124unique_dim_cuda_templateIaEESt5tupleIJNS8_6TensorESD_SD_EERKSD_lbbbEUlllE1_EE10hipError_tPvRmT2_T3_mT4_P12ihipStream_tbEUlT_E_NS1_11comp_targetILNS1_3genE3ELNS1_11target_archE908ELNS1_3gpuE7ELNS1_3repE0EEENS1_30default_config_static_selectorELNS0_4arch9wavefront6targetE0EEEvT1_
; %bb.0:
	.section	.rodata,"a",@progbits
	.p2align	6, 0x0
	.amdhsa_kernel _ZN7rocprim17ROCPRIM_400000_NS6detail17trampoline_kernelINS0_14default_configENS1_35adjacent_difference_config_selectorILb0ElEEZNS1_24adjacent_difference_implIS3_Lb0ELb0EPlS7_ZN2at6native12_GLOBAL__N_124unique_dim_cuda_templateIaEESt5tupleIJNS8_6TensorESD_SD_EERKSD_lbbbEUlllE1_EE10hipError_tPvRmT2_T3_mT4_P12ihipStream_tbEUlT_E_NS1_11comp_targetILNS1_3genE3ELNS1_11target_archE908ELNS1_3gpuE7ELNS1_3repE0EEENS1_30default_config_static_selectorELNS0_4arch9wavefront6targetE0EEEvT1_
		.amdhsa_group_segment_fixed_size 0
		.amdhsa_private_segment_fixed_size 0
		.amdhsa_kernarg_size 64
		.amdhsa_user_sgpr_count 15
		.amdhsa_user_sgpr_dispatch_ptr 0
		.amdhsa_user_sgpr_queue_ptr 0
		.amdhsa_user_sgpr_kernarg_segment_ptr 1
		.amdhsa_user_sgpr_dispatch_id 0
		.amdhsa_user_sgpr_private_segment_size 0
		.amdhsa_wavefront_size32 1
		.amdhsa_uses_dynamic_stack 0
		.amdhsa_enable_private_segment 0
		.amdhsa_system_sgpr_workgroup_id_x 1
		.amdhsa_system_sgpr_workgroup_id_y 0
		.amdhsa_system_sgpr_workgroup_id_z 0
		.amdhsa_system_sgpr_workgroup_info 0
		.amdhsa_system_vgpr_workitem_id 0
		.amdhsa_next_free_vgpr 1
		.amdhsa_next_free_sgpr 1
		.amdhsa_reserve_vcc 0
		.amdhsa_float_round_mode_32 0
		.amdhsa_float_round_mode_16_64 0
		.amdhsa_float_denorm_mode_32 3
		.amdhsa_float_denorm_mode_16_64 3
		.amdhsa_dx10_clamp 1
		.amdhsa_ieee_mode 1
		.amdhsa_fp16_overflow 0
		.amdhsa_workgroup_processor_mode 1
		.amdhsa_memory_ordered 1
		.amdhsa_forward_progress 0
		.amdhsa_shared_vgpr_count 0
		.amdhsa_exception_fp_ieee_invalid_op 0
		.amdhsa_exception_fp_denorm_src 0
		.amdhsa_exception_fp_ieee_div_zero 0
		.amdhsa_exception_fp_ieee_overflow 0
		.amdhsa_exception_fp_ieee_underflow 0
		.amdhsa_exception_fp_ieee_inexact 0
		.amdhsa_exception_int_div_zero 0
	.end_amdhsa_kernel
	.section	.text._ZN7rocprim17ROCPRIM_400000_NS6detail17trampoline_kernelINS0_14default_configENS1_35adjacent_difference_config_selectorILb0ElEEZNS1_24adjacent_difference_implIS3_Lb0ELb0EPlS7_ZN2at6native12_GLOBAL__N_124unique_dim_cuda_templateIaEESt5tupleIJNS8_6TensorESD_SD_EERKSD_lbbbEUlllE1_EE10hipError_tPvRmT2_T3_mT4_P12ihipStream_tbEUlT_E_NS1_11comp_targetILNS1_3genE3ELNS1_11target_archE908ELNS1_3gpuE7ELNS1_3repE0EEENS1_30default_config_static_selectorELNS0_4arch9wavefront6targetE0EEEvT1_,"axG",@progbits,_ZN7rocprim17ROCPRIM_400000_NS6detail17trampoline_kernelINS0_14default_configENS1_35adjacent_difference_config_selectorILb0ElEEZNS1_24adjacent_difference_implIS3_Lb0ELb0EPlS7_ZN2at6native12_GLOBAL__N_124unique_dim_cuda_templateIaEESt5tupleIJNS8_6TensorESD_SD_EERKSD_lbbbEUlllE1_EE10hipError_tPvRmT2_T3_mT4_P12ihipStream_tbEUlT_E_NS1_11comp_targetILNS1_3genE3ELNS1_11target_archE908ELNS1_3gpuE7ELNS1_3repE0EEENS1_30default_config_static_selectorELNS0_4arch9wavefront6targetE0EEEvT1_,comdat
.Lfunc_end298:
	.size	_ZN7rocprim17ROCPRIM_400000_NS6detail17trampoline_kernelINS0_14default_configENS1_35adjacent_difference_config_selectorILb0ElEEZNS1_24adjacent_difference_implIS3_Lb0ELb0EPlS7_ZN2at6native12_GLOBAL__N_124unique_dim_cuda_templateIaEESt5tupleIJNS8_6TensorESD_SD_EERKSD_lbbbEUlllE1_EE10hipError_tPvRmT2_T3_mT4_P12ihipStream_tbEUlT_E_NS1_11comp_targetILNS1_3genE3ELNS1_11target_archE908ELNS1_3gpuE7ELNS1_3repE0EEENS1_30default_config_static_selectorELNS0_4arch9wavefront6targetE0EEEvT1_, .Lfunc_end298-_ZN7rocprim17ROCPRIM_400000_NS6detail17trampoline_kernelINS0_14default_configENS1_35adjacent_difference_config_selectorILb0ElEEZNS1_24adjacent_difference_implIS3_Lb0ELb0EPlS7_ZN2at6native12_GLOBAL__N_124unique_dim_cuda_templateIaEESt5tupleIJNS8_6TensorESD_SD_EERKSD_lbbbEUlllE1_EE10hipError_tPvRmT2_T3_mT4_P12ihipStream_tbEUlT_E_NS1_11comp_targetILNS1_3genE3ELNS1_11target_archE908ELNS1_3gpuE7ELNS1_3repE0EEENS1_30default_config_static_selectorELNS0_4arch9wavefront6targetE0EEEvT1_
                                        ; -- End function
	.section	.AMDGPU.csdata,"",@progbits
; Kernel info:
; codeLenInByte = 0
; NumSgprs: 0
; NumVgprs: 0
; ScratchSize: 0
; MemoryBound: 0
; FloatMode: 240
; IeeeMode: 1
; LDSByteSize: 0 bytes/workgroup (compile time only)
; SGPRBlocks: 0
; VGPRBlocks: 0
; NumSGPRsForWavesPerEU: 1
; NumVGPRsForWavesPerEU: 1
; Occupancy: 16
; WaveLimiterHint : 0
; COMPUTE_PGM_RSRC2:SCRATCH_EN: 0
; COMPUTE_PGM_RSRC2:USER_SGPR: 15
; COMPUTE_PGM_RSRC2:TRAP_HANDLER: 0
; COMPUTE_PGM_RSRC2:TGID_X_EN: 1
; COMPUTE_PGM_RSRC2:TGID_Y_EN: 0
; COMPUTE_PGM_RSRC2:TGID_Z_EN: 0
; COMPUTE_PGM_RSRC2:TIDIG_COMP_CNT: 0
	.section	.text._ZN7rocprim17ROCPRIM_400000_NS6detail17trampoline_kernelINS0_14default_configENS1_35adjacent_difference_config_selectorILb0ElEEZNS1_24adjacent_difference_implIS3_Lb0ELb0EPlS7_ZN2at6native12_GLOBAL__N_124unique_dim_cuda_templateIaEESt5tupleIJNS8_6TensorESD_SD_EERKSD_lbbbEUlllE1_EE10hipError_tPvRmT2_T3_mT4_P12ihipStream_tbEUlT_E_NS1_11comp_targetILNS1_3genE2ELNS1_11target_archE906ELNS1_3gpuE6ELNS1_3repE0EEENS1_30default_config_static_selectorELNS0_4arch9wavefront6targetE0EEEvT1_,"axG",@progbits,_ZN7rocprim17ROCPRIM_400000_NS6detail17trampoline_kernelINS0_14default_configENS1_35adjacent_difference_config_selectorILb0ElEEZNS1_24adjacent_difference_implIS3_Lb0ELb0EPlS7_ZN2at6native12_GLOBAL__N_124unique_dim_cuda_templateIaEESt5tupleIJNS8_6TensorESD_SD_EERKSD_lbbbEUlllE1_EE10hipError_tPvRmT2_T3_mT4_P12ihipStream_tbEUlT_E_NS1_11comp_targetILNS1_3genE2ELNS1_11target_archE906ELNS1_3gpuE6ELNS1_3repE0EEENS1_30default_config_static_selectorELNS0_4arch9wavefront6targetE0EEEvT1_,comdat
	.globl	_ZN7rocprim17ROCPRIM_400000_NS6detail17trampoline_kernelINS0_14default_configENS1_35adjacent_difference_config_selectorILb0ElEEZNS1_24adjacent_difference_implIS3_Lb0ELb0EPlS7_ZN2at6native12_GLOBAL__N_124unique_dim_cuda_templateIaEESt5tupleIJNS8_6TensorESD_SD_EERKSD_lbbbEUlllE1_EE10hipError_tPvRmT2_T3_mT4_P12ihipStream_tbEUlT_E_NS1_11comp_targetILNS1_3genE2ELNS1_11target_archE906ELNS1_3gpuE6ELNS1_3repE0EEENS1_30default_config_static_selectorELNS0_4arch9wavefront6targetE0EEEvT1_ ; -- Begin function _ZN7rocprim17ROCPRIM_400000_NS6detail17trampoline_kernelINS0_14default_configENS1_35adjacent_difference_config_selectorILb0ElEEZNS1_24adjacent_difference_implIS3_Lb0ELb0EPlS7_ZN2at6native12_GLOBAL__N_124unique_dim_cuda_templateIaEESt5tupleIJNS8_6TensorESD_SD_EERKSD_lbbbEUlllE1_EE10hipError_tPvRmT2_T3_mT4_P12ihipStream_tbEUlT_E_NS1_11comp_targetILNS1_3genE2ELNS1_11target_archE906ELNS1_3gpuE6ELNS1_3repE0EEENS1_30default_config_static_selectorELNS0_4arch9wavefront6targetE0EEEvT1_
	.p2align	8
	.type	_ZN7rocprim17ROCPRIM_400000_NS6detail17trampoline_kernelINS0_14default_configENS1_35adjacent_difference_config_selectorILb0ElEEZNS1_24adjacent_difference_implIS3_Lb0ELb0EPlS7_ZN2at6native12_GLOBAL__N_124unique_dim_cuda_templateIaEESt5tupleIJNS8_6TensorESD_SD_EERKSD_lbbbEUlllE1_EE10hipError_tPvRmT2_T3_mT4_P12ihipStream_tbEUlT_E_NS1_11comp_targetILNS1_3genE2ELNS1_11target_archE906ELNS1_3gpuE6ELNS1_3repE0EEENS1_30default_config_static_selectorELNS0_4arch9wavefront6targetE0EEEvT1_,@function
_ZN7rocprim17ROCPRIM_400000_NS6detail17trampoline_kernelINS0_14default_configENS1_35adjacent_difference_config_selectorILb0ElEEZNS1_24adjacent_difference_implIS3_Lb0ELb0EPlS7_ZN2at6native12_GLOBAL__N_124unique_dim_cuda_templateIaEESt5tupleIJNS8_6TensorESD_SD_EERKSD_lbbbEUlllE1_EE10hipError_tPvRmT2_T3_mT4_P12ihipStream_tbEUlT_E_NS1_11comp_targetILNS1_3genE2ELNS1_11target_archE906ELNS1_3gpuE6ELNS1_3repE0EEENS1_30default_config_static_selectorELNS0_4arch9wavefront6targetE0EEEvT1_: ; @_ZN7rocprim17ROCPRIM_400000_NS6detail17trampoline_kernelINS0_14default_configENS1_35adjacent_difference_config_selectorILb0ElEEZNS1_24adjacent_difference_implIS3_Lb0ELb0EPlS7_ZN2at6native12_GLOBAL__N_124unique_dim_cuda_templateIaEESt5tupleIJNS8_6TensorESD_SD_EERKSD_lbbbEUlllE1_EE10hipError_tPvRmT2_T3_mT4_P12ihipStream_tbEUlT_E_NS1_11comp_targetILNS1_3genE2ELNS1_11target_archE906ELNS1_3gpuE6ELNS1_3repE0EEENS1_30default_config_static_selectorELNS0_4arch9wavefront6targetE0EEEvT1_
; %bb.0:
	.section	.rodata,"a",@progbits
	.p2align	6, 0x0
	.amdhsa_kernel _ZN7rocprim17ROCPRIM_400000_NS6detail17trampoline_kernelINS0_14default_configENS1_35adjacent_difference_config_selectorILb0ElEEZNS1_24adjacent_difference_implIS3_Lb0ELb0EPlS7_ZN2at6native12_GLOBAL__N_124unique_dim_cuda_templateIaEESt5tupleIJNS8_6TensorESD_SD_EERKSD_lbbbEUlllE1_EE10hipError_tPvRmT2_T3_mT4_P12ihipStream_tbEUlT_E_NS1_11comp_targetILNS1_3genE2ELNS1_11target_archE906ELNS1_3gpuE6ELNS1_3repE0EEENS1_30default_config_static_selectorELNS0_4arch9wavefront6targetE0EEEvT1_
		.amdhsa_group_segment_fixed_size 0
		.amdhsa_private_segment_fixed_size 0
		.amdhsa_kernarg_size 64
		.amdhsa_user_sgpr_count 15
		.amdhsa_user_sgpr_dispatch_ptr 0
		.amdhsa_user_sgpr_queue_ptr 0
		.amdhsa_user_sgpr_kernarg_segment_ptr 1
		.amdhsa_user_sgpr_dispatch_id 0
		.amdhsa_user_sgpr_private_segment_size 0
		.amdhsa_wavefront_size32 1
		.amdhsa_uses_dynamic_stack 0
		.amdhsa_enable_private_segment 0
		.amdhsa_system_sgpr_workgroup_id_x 1
		.amdhsa_system_sgpr_workgroup_id_y 0
		.amdhsa_system_sgpr_workgroup_id_z 0
		.amdhsa_system_sgpr_workgroup_info 0
		.amdhsa_system_vgpr_workitem_id 0
		.amdhsa_next_free_vgpr 1
		.amdhsa_next_free_sgpr 1
		.amdhsa_reserve_vcc 0
		.amdhsa_float_round_mode_32 0
		.amdhsa_float_round_mode_16_64 0
		.amdhsa_float_denorm_mode_32 3
		.amdhsa_float_denorm_mode_16_64 3
		.amdhsa_dx10_clamp 1
		.amdhsa_ieee_mode 1
		.amdhsa_fp16_overflow 0
		.amdhsa_workgroup_processor_mode 1
		.amdhsa_memory_ordered 1
		.amdhsa_forward_progress 0
		.amdhsa_shared_vgpr_count 0
		.amdhsa_exception_fp_ieee_invalid_op 0
		.amdhsa_exception_fp_denorm_src 0
		.amdhsa_exception_fp_ieee_div_zero 0
		.amdhsa_exception_fp_ieee_overflow 0
		.amdhsa_exception_fp_ieee_underflow 0
		.amdhsa_exception_fp_ieee_inexact 0
		.amdhsa_exception_int_div_zero 0
	.end_amdhsa_kernel
	.section	.text._ZN7rocprim17ROCPRIM_400000_NS6detail17trampoline_kernelINS0_14default_configENS1_35adjacent_difference_config_selectorILb0ElEEZNS1_24adjacent_difference_implIS3_Lb0ELb0EPlS7_ZN2at6native12_GLOBAL__N_124unique_dim_cuda_templateIaEESt5tupleIJNS8_6TensorESD_SD_EERKSD_lbbbEUlllE1_EE10hipError_tPvRmT2_T3_mT4_P12ihipStream_tbEUlT_E_NS1_11comp_targetILNS1_3genE2ELNS1_11target_archE906ELNS1_3gpuE6ELNS1_3repE0EEENS1_30default_config_static_selectorELNS0_4arch9wavefront6targetE0EEEvT1_,"axG",@progbits,_ZN7rocprim17ROCPRIM_400000_NS6detail17trampoline_kernelINS0_14default_configENS1_35adjacent_difference_config_selectorILb0ElEEZNS1_24adjacent_difference_implIS3_Lb0ELb0EPlS7_ZN2at6native12_GLOBAL__N_124unique_dim_cuda_templateIaEESt5tupleIJNS8_6TensorESD_SD_EERKSD_lbbbEUlllE1_EE10hipError_tPvRmT2_T3_mT4_P12ihipStream_tbEUlT_E_NS1_11comp_targetILNS1_3genE2ELNS1_11target_archE906ELNS1_3gpuE6ELNS1_3repE0EEENS1_30default_config_static_selectorELNS0_4arch9wavefront6targetE0EEEvT1_,comdat
.Lfunc_end299:
	.size	_ZN7rocprim17ROCPRIM_400000_NS6detail17trampoline_kernelINS0_14default_configENS1_35adjacent_difference_config_selectorILb0ElEEZNS1_24adjacent_difference_implIS3_Lb0ELb0EPlS7_ZN2at6native12_GLOBAL__N_124unique_dim_cuda_templateIaEESt5tupleIJNS8_6TensorESD_SD_EERKSD_lbbbEUlllE1_EE10hipError_tPvRmT2_T3_mT4_P12ihipStream_tbEUlT_E_NS1_11comp_targetILNS1_3genE2ELNS1_11target_archE906ELNS1_3gpuE6ELNS1_3repE0EEENS1_30default_config_static_selectorELNS0_4arch9wavefront6targetE0EEEvT1_, .Lfunc_end299-_ZN7rocprim17ROCPRIM_400000_NS6detail17trampoline_kernelINS0_14default_configENS1_35adjacent_difference_config_selectorILb0ElEEZNS1_24adjacent_difference_implIS3_Lb0ELb0EPlS7_ZN2at6native12_GLOBAL__N_124unique_dim_cuda_templateIaEESt5tupleIJNS8_6TensorESD_SD_EERKSD_lbbbEUlllE1_EE10hipError_tPvRmT2_T3_mT4_P12ihipStream_tbEUlT_E_NS1_11comp_targetILNS1_3genE2ELNS1_11target_archE906ELNS1_3gpuE6ELNS1_3repE0EEENS1_30default_config_static_selectorELNS0_4arch9wavefront6targetE0EEEvT1_
                                        ; -- End function
	.section	.AMDGPU.csdata,"",@progbits
; Kernel info:
; codeLenInByte = 0
; NumSgprs: 0
; NumVgprs: 0
; ScratchSize: 0
; MemoryBound: 0
; FloatMode: 240
; IeeeMode: 1
; LDSByteSize: 0 bytes/workgroup (compile time only)
; SGPRBlocks: 0
; VGPRBlocks: 0
; NumSGPRsForWavesPerEU: 1
; NumVGPRsForWavesPerEU: 1
; Occupancy: 16
; WaveLimiterHint : 0
; COMPUTE_PGM_RSRC2:SCRATCH_EN: 0
; COMPUTE_PGM_RSRC2:USER_SGPR: 15
; COMPUTE_PGM_RSRC2:TRAP_HANDLER: 0
; COMPUTE_PGM_RSRC2:TGID_X_EN: 1
; COMPUTE_PGM_RSRC2:TGID_Y_EN: 0
; COMPUTE_PGM_RSRC2:TGID_Z_EN: 0
; COMPUTE_PGM_RSRC2:TIDIG_COMP_CNT: 0
	.section	.text._ZN7rocprim17ROCPRIM_400000_NS6detail17trampoline_kernelINS0_14default_configENS1_35adjacent_difference_config_selectorILb0ElEEZNS1_24adjacent_difference_implIS3_Lb0ELb0EPlS7_ZN2at6native12_GLOBAL__N_124unique_dim_cuda_templateIaEESt5tupleIJNS8_6TensorESD_SD_EERKSD_lbbbEUlllE1_EE10hipError_tPvRmT2_T3_mT4_P12ihipStream_tbEUlT_E_NS1_11comp_targetILNS1_3genE9ELNS1_11target_archE1100ELNS1_3gpuE3ELNS1_3repE0EEENS1_30default_config_static_selectorELNS0_4arch9wavefront6targetE0EEEvT1_,"axG",@progbits,_ZN7rocprim17ROCPRIM_400000_NS6detail17trampoline_kernelINS0_14default_configENS1_35adjacent_difference_config_selectorILb0ElEEZNS1_24adjacent_difference_implIS3_Lb0ELb0EPlS7_ZN2at6native12_GLOBAL__N_124unique_dim_cuda_templateIaEESt5tupleIJNS8_6TensorESD_SD_EERKSD_lbbbEUlllE1_EE10hipError_tPvRmT2_T3_mT4_P12ihipStream_tbEUlT_E_NS1_11comp_targetILNS1_3genE9ELNS1_11target_archE1100ELNS1_3gpuE3ELNS1_3repE0EEENS1_30default_config_static_selectorELNS0_4arch9wavefront6targetE0EEEvT1_,comdat
	.globl	_ZN7rocprim17ROCPRIM_400000_NS6detail17trampoline_kernelINS0_14default_configENS1_35adjacent_difference_config_selectorILb0ElEEZNS1_24adjacent_difference_implIS3_Lb0ELb0EPlS7_ZN2at6native12_GLOBAL__N_124unique_dim_cuda_templateIaEESt5tupleIJNS8_6TensorESD_SD_EERKSD_lbbbEUlllE1_EE10hipError_tPvRmT2_T3_mT4_P12ihipStream_tbEUlT_E_NS1_11comp_targetILNS1_3genE9ELNS1_11target_archE1100ELNS1_3gpuE3ELNS1_3repE0EEENS1_30default_config_static_selectorELNS0_4arch9wavefront6targetE0EEEvT1_ ; -- Begin function _ZN7rocprim17ROCPRIM_400000_NS6detail17trampoline_kernelINS0_14default_configENS1_35adjacent_difference_config_selectorILb0ElEEZNS1_24adjacent_difference_implIS3_Lb0ELb0EPlS7_ZN2at6native12_GLOBAL__N_124unique_dim_cuda_templateIaEESt5tupleIJNS8_6TensorESD_SD_EERKSD_lbbbEUlllE1_EE10hipError_tPvRmT2_T3_mT4_P12ihipStream_tbEUlT_E_NS1_11comp_targetILNS1_3genE9ELNS1_11target_archE1100ELNS1_3gpuE3ELNS1_3repE0EEENS1_30default_config_static_selectorELNS0_4arch9wavefront6targetE0EEEvT1_
	.p2align	8
	.type	_ZN7rocprim17ROCPRIM_400000_NS6detail17trampoline_kernelINS0_14default_configENS1_35adjacent_difference_config_selectorILb0ElEEZNS1_24adjacent_difference_implIS3_Lb0ELb0EPlS7_ZN2at6native12_GLOBAL__N_124unique_dim_cuda_templateIaEESt5tupleIJNS8_6TensorESD_SD_EERKSD_lbbbEUlllE1_EE10hipError_tPvRmT2_T3_mT4_P12ihipStream_tbEUlT_E_NS1_11comp_targetILNS1_3genE9ELNS1_11target_archE1100ELNS1_3gpuE3ELNS1_3repE0EEENS1_30default_config_static_selectorELNS0_4arch9wavefront6targetE0EEEvT1_,@function
_ZN7rocprim17ROCPRIM_400000_NS6detail17trampoline_kernelINS0_14default_configENS1_35adjacent_difference_config_selectorILb0ElEEZNS1_24adjacent_difference_implIS3_Lb0ELb0EPlS7_ZN2at6native12_GLOBAL__N_124unique_dim_cuda_templateIaEESt5tupleIJNS8_6TensorESD_SD_EERKSD_lbbbEUlllE1_EE10hipError_tPvRmT2_T3_mT4_P12ihipStream_tbEUlT_E_NS1_11comp_targetILNS1_3genE9ELNS1_11target_archE1100ELNS1_3gpuE3ELNS1_3repE0EEENS1_30default_config_static_selectorELNS0_4arch9wavefront6targetE0EEEvT1_: ; @_ZN7rocprim17ROCPRIM_400000_NS6detail17trampoline_kernelINS0_14default_configENS1_35adjacent_difference_config_selectorILb0ElEEZNS1_24adjacent_difference_implIS3_Lb0ELb0EPlS7_ZN2at6native12_GLOBAL__N_124unique_dim_cuda_templateIaEESt5tupleIJNS8_6TensorESD_SD_EERKSD_lbbbEUlllE1_EE10hipError_tPvRmT2_T3_mT4_P12ihipStream_tbEUlT_E_NS1_11comp_targetILNS1_3genE9ELNS1_11target_archE1100ELNS1_3gpuE3ELNS1_3repE0EEENS1_30default_config_static_selectorELNS0_4arch9wavefront6targetE0EEEvT1_
; %bb.0:
	s_clause 0x1
	s_load_b256 s[4:11], s[0:1], 0x0
	s_load_b64 s[20:21], s[0:1], 0x38
	s_mov_b32 s17, 0
	s_waitcnt lgkmcnt(0)
	s_lshl_b64 s[12:13], s[6:7], 3
	s_delay_alu instid0(SALU_CYCLE_1)
	s_add_u32 s18, s4, s12
	s_addc_u32 s19, s5, s13
	s_load_b128 s[4:7], s[0:1], 0x20
	s_and_b32 s16, s10, 0x1ff
	s_lshl_b32 s2, s15, 9
	s_lshr_b64 s[22:23], s[10:11], 9
	s_cmp_lg_u64 s[16:17], 0
	s_cselect_b32 s3, -1, 0
	s_delay_alu instid0(SALU_CYCLE_1) | instskip(NEXT) | instid1(VALU_DEP_1)
	v_cndmask_b32_e64 v1, 0, 1, s3
	v_readfirstlane_b32 s3, v1
	s_delay_alu instid0(VALU_DEP_1)
	s_add_u32 s0, s22, s3
	s_addc_u32 s1, s23, 0
	s_add_u32 s16, s20, s15
	s_addc_u32 s17, s21, 0
	s_add_u32 s14, s0, -1
	s_addc_u32 s15, s1, -1
	s_delay_alu instid0(SALU_CYCLE_1) | instskip(NEXT) | instid1(VALU_DEP_1)
	v_cmp_ge_u64_e64 s11, s[16:17], s[14:15]
	s_and_b32 vcc_lo, exec_lo, s11
	s_cbranch_vccz .LBB300_4
; %bb.1:
	s_lshl_b32 s3, s14, 9
	s_mov_b32 s20, exec_lo
	s_sub_i32 s3, s10, s3
                                        ; implicit-def: $vgpr1_vgpr2
	s_delay_alu instid0(SALU_CYCLE_1)
	v_cmpx_gt_u32_e64 s3, v0
	s_cbranch_execz .LBB300_3
; %bb.2:
	s_mov_b32 s3, 0
	v_lshlrev_b32_e32 v1, 3, v0
	s_lshl_b64 s[22:23], s[2:3], 3
	s_delay_alu instid0(SALU_CYCLE_1)
	s_add_u32 s22, s18, s22
	s_addc_u32 s23, s19, s23
	global_load_b64 v[1:2], v1, s[22:23]
.LBB300_3:
	s_or_b32 exec_lo, exec_lo, s20
	v_lshlrev_b32_e32 v3, 3, v0
	s_waitcnt vmcnt(0)
	ds_store_b64 v3, v[1:2]
	s_waitcnt lgkmcnt(0)
	s_barrier
	v_lshlrev_b32_e32 v9, 3, v0
	s_branch .LBB300_6
.LBB300_4:
                                        ; implicit-def: $vgpr3
	v_lshlrev_b32_e32 v9, 3, v0
	s_cbranch_execz .LBB300_6
; %bb.5:
	s_mov_b32 s3, 0
	s_delay_alu instid0(VALU_DEP_1) | instskip(SKIP_1) | instid1(SALU_CYCLE_1)
	v_mov_b32_e32 v3, v9
	s_lshl_b64 s[20:21], s[2:3], 3
	s_add_u32 s20, s18, s20
	s_addc_u32 s21, s19, s21
	global_load_b64 v[1:2], v9, s[20:21]
	s_waitcnt vmcnt(0)
	ds_store_b64 v9, v[1:2]
	s_waitcnt lgkmcnt(0)
	s_barrier
.LBB300_6:
	s_waitcnt lgkmcnt(0)
	buffer_gl0_inv
	ds_load_b64 v[1:2], v3
	s_cmp_eq_u64 s[16:17], 0
	s_waitcnt lgkmcnt(0)
	s_barrier
	buffer_gl0_inv
	s_cbranch_scc1 .LBB300_17
; %bb.7:
	s_mov_b32 s3, 0
	s_delay_alu instid0(SALU_CYCLE_1) | instskip(NEXT) | instid1(SALU_CYCLE_1)
	s_lshl_b64 s[20:21], s[2:3], 3
	s_add_u32 s18, s18, s20
	s_addc_u32 s19, s19, s21
	s_add_u32 s18, s18, -8
	s_addc_u32 s19, s19, -1
	s_cmp_lg_u64 s[16:17], s[14:15]
	s_load_b64 s[18:19], s[18:19], 0x0
	s_cbranch_scc0 .LBB300_18
; %bb.8:
	s_waitcnt lgkmcnt(0)
	v_dual_mov_b32 v7, s18 :: v_dual_mov_b32 v8, s19
	s_mov_b32 s15, 0
	s_mov_b32 s3, exec_lo
	ds_store_b64 v9, v[1:2]
	s_waitcnt lgkmcnt(0)
	s_barrier
	buffer_gl0_inv
	v_cmpx_ne_u32_e32 0, v0
	s_cbranch_execz .LBB300_10
; %bb.9:
	v_add_nc_u32_e32 v3, -8, v9
	ds_load_b64 v[7:8], v3
.LBB300_10:
	s_or_b32 exec_lo, exec_lo, s3
	v_cmp_lt_i64_e64 s3, s[4:5], 1
	s_delay_alu instid0(VALU_DEP_1)
	s_and_b32 vcc_lo, exec_lo, s3
	s_cbranch_vccnz .LBB300_21
; %bb.11:
	v_mad_u64_u32 v[3:4], null, v1, s4, s[6:7]
	v_mul_lo_u32 v10, v1, s5
	v_mul_lo_u32 v11, v2, s4
	s_waitcnt lgkmcnt(0)
	v_mad_u64_u32 v[5:6], null, v7, s4, s[6:7]
	v_mul_lo_u32 v7, v7, s5
	v_mul_lo_u32 v8, v8, s4
	s_mov_b32 s15, -1
	s_mov_b32 s3, exec_lo
	s_delay_alu instid0(VALU_DEP_4) | instskip(NEXT) | instid1(VALU_DEP_2)
	v_add3_u32 v4, v11, v4, v10
	v_add3_u32 v6, v8, v6, v7
	s_clause 0x1
	global_load_u8 v7, v[3:4], off
	global_load_u8 v8, v[5:6], off
	s_waitcnt vmcnt(0)
	v_cmpx_eq_u16_e64 v7, v8
	s_cbranch_execz .LBB300_20
; %bb.12:
	s_mov_b64 s[20:21], 1
	s_mov_b32 s15, 0
                                        ; implicit-def: $sgpr17
	s_set_inst_prefetch_distance 0x1
	s_branch .LBB300_15
	.p2align	6
.LBB300_13:                             ;   in Loop: Header=BB300_15 Depth=1
	v_add_co_u32 v7, vcc_lo, v3, s20
	v_add_co_ci_u32_e32 v8, vcc_lo, s21, v4, vcc_lo
	v_add_co_u32 v10, vcc_lo, v5, s20
	v_add_co_ci_u32_e32 v11, vcc_lo, s21, v6, vcc_lo
	s_add_u32 s22, s20, 1
	s_clause 0x1
	global_load_u8 v7, v[7:8], off
	global_load_u8 v8, v[10:11], off
	s_addc_u32 s23, s21, 0
	s_and_not1_b32 s17, s17, exec_lo
	s_waitcnt vmcnt(0)
	v_cmp_ne_u16_e32 vcc_lo, v7, v8
	s_and_b32 s24, vcc_lo, exec_lo
	s_delay_alu instid0(SALU_CYCLE_1)
	s_or_b32 s17, s17, s24
.LBB300_14:                             ;   in Loop: Header=BB300_15 Depth=1
	v_dual_mov_b32 v7, s20 :: v_dual_mov_b32 v8, s21
	s_and_b32 s24, exec_lo, s17
	s_mov_b64 s[20:21], s[22:23]
	s_or_b32 s15, s24, s15
	s_delay_alu instid0(SALU_CYCLE_1)
	s_and_not1_b32 exec_lo, exec_lo, s15
	s_cbranch_execz .LBB300_19
.LBB300_15:                             ; =>This Inner Loop Header: Depth=1
	s_or_b32 s17, s17, exec_lo
	s_cmp_eq_u64 s[4:5], s[20:21]
	s_cbranch_scc0 .LBB300_13
; %bb.16:                               ;   in Loop: Header=BB300_15 Depth=1
	s_mov_b64 s[20:21], s[4:5]
                                        ; implicit-def: $sgpr22_sgpr23
	s_branch .LBB300_14
.LBB300_17:
	s_mov_b32 s3, 0
                                        ; implicit-def: $sgpr15
	s_cbranch_execnz .LBB300_38
	s_branch .LBB300_65
.LBB300_18:
                                        ; implicit-def: $sgpr15
	s_cbranch_execnz .LBB300_22
	s_branch .LBB300_37
.LBB300_19:
	s_set_inst_prefetch_distance 0x2
	s_or_b32 exec_lo, exec_lo, s15
	v_cmp_gt_i64_e32 vcc_lo, s[4:5], v[7:8]
	s_or_not1_b32 s15, vcc_lo, exec_lo
.LBB300_20:
	s_or_b32 exec_lo, exec_lo, s3
.LBB300_21:
	s_mov_b32 s3, -1
	s_branch .LBB300_37
.LBB300_22:
	s_waitcnt lgkmcnt(0)
	v_dual_mov_b32 v7, s18 :: v_dual_mov_b32 v8, s19
	s_mov_b32 s15, exec_lo
	ds_store_b64 v9, v[1:2]
	s_waitcnt lgkmcnt(0)
	s_barrier
	buffer_gl0_inv
	v_cmpx_ne_u32_e32 0, v0
	s_cbranch_execz .LBB300_24
; %bb.23:
	v_add_nc_u32_e32 v3, -8, v9
	ds_load_b64 v[7:8], v3
.LBB300_24:
	s_or_b32 exec_lo, exec_lo, s15
	s_lshl_b32 s15, s16, 9
	s_delay_alu instid0(SALU_CYCLE_1) | instskip(NEXT) | instid1(SALU_CYCLE_1)
	s_sub_i32 s15, s10, s15
	v_cmp_gt_u32_e32 vcc_lo, s15, v0
                                        ; implicit-def: $sgpr15
	s_and_saveexec_b32 s20, vcc_lo
	s_cbranch_execz .LBB300_36
; %bb.25:
	v_cmp_lt_i64_e64 s15, s[4:5], 1
	s_delay_alu instid0(VALU_DEP_1)
	s_and_b32 vcc_lo, exec_lo, s15
	s_cbranch_vccnz .LBB300_32
; %bb.26:
	v_mad_u64_u32 v[3:4], null, v1, s4, s[6:7]
	v_mul_lo_u32 v10, v1, s5
	v_mul_lo_u32 v11, v2, s4
	s_waitcnt lgkmcnt(0)
	v_mad_u64_u32 v[5:6], null, v7, s4, s[6:7]
	v_mul_lo_u32 v7, v7, s5
	v_mul_lo_u32 v8, v8, s4
	s_mov_b32 s16, -1
	s_mov_b32 s15, exec_lo
	s_delay_alu instid0(VALU_DEP_4) | instskip(NEXT) | instid1(VALU_DEP_2)
	v_add3_u32 v4, v11, v4, v10
	v_add3_u32 v6, v8, v6, v7
	s_clause 0x1
	global_load_u8 v7, v[3:4], off
	global_load_u8 v8, v[5:6], off
	s_waitcnt vmcnt(0)
	v_cmpx_eq_u16_e64 v7, v8
	s_cbranch_execz .LBB300_34
; %bb.27:
	s_mov_b64 s[16:17], 1
	s_mov_b32 s21, 0
                                        ; implicit-def: $sgpr22
	s_set_inst_prefetch_distance 0x1
	s_branch .LBB300_30
	.p2align	6
.LBB300_28:                             ;   in Loop: Header=BB300_30 Depth=1
	v_add_co_u32 v7, vcc_lo, v3, s16
	v_add_co_ci_u32_e32 v8, vcc_lo, s17, v4, vcc_lo
	v_add_co_u32 v10, vcc_lo, v5, s16
	v_add_co_ci_u32_e32 v11, vcc_lo, s17, v6, vcc_lo
	s_add_u32 s18, s16, 1
	s_clause 0x1
	global_load_u8 v7, v[7:8], off
	global_load_u8 v8, v[10:11], off
	s_addc_u32 s19, s17, 0
	s_and_not1_b32 s22, s22, exec_lo
	s_waitcnt vmcnt(0)
	v_cmp_ne_u16_e32 vcc_lo, v7, v8
	s_and_b32 s23, vcc_lo, exec_lo
	s_delay_alu instid0(SALU_CYCLE_1)
	s_or_b32 s22, s22, s23
.LBB300_29:                             ;   in Loop: Header=BB300_30 Depth=1
	v_dual_mov_b32 v7, s16 :: v_dual_mov_b32 v8, s17
	s_and_b32 s23, exec_lo, s22
	s_mov_b64 s[16:17], s[18:19]
	s_or_b32 s21, s23, s21
	s_delay_alu instid0(SALU_CYCLE_1)
	s_and_not1_b32 exec_lo, exec_lo, s21
	s_cbranch_execz .LBB300_33
.LBB300_30:                             ; =>This Inner Loop Header: Depth=1
	s_or_b32 s22, s22, exec_lo
	s_cmp_eq_u64 s[4:5], s[16:17]
	s_cbranch_scc0 .LBB300_28
; %bb.31:                               ;   in Loop: Header=BB300_30 Depth=1
	s_mov_b64 s[16:17], s[4:5]
                                        ; implicit-def: $sgpr18_sgpr19
	s_branch .LBB300_29
.LBB300_32:
	s_mov_b32 s16, 0
	s_branch .LBB300_35
.LBB300_33:
	s_set_inst_prefetch_distance 0x2
	s_or_b32 exec_lo, exec_lo, s21
	v_cmp_gt_i64_e32 vcc_lo, s[4:5], v[7:8]
	s_or_not1_b32 s16, vcc_lo, exec_lo
.LBB300_34:
	s_or_b32 exec_lo, exec_lo, s15
.LBB300_35:
	s_delay_alu instid0(SALU_CYCLE_1)
	s_and_b32 s15, s16, exec_lo
	s_or_b32 s3, s3, exec_lo
.LBB300_36:
	s_or_b32 exec_lo, exec_lo, s20
.LBB300_37:
	s_branch .LBB300_65
.LBB300_38:
	s_cmp_lg_u64 s[0:1], 1
	s_cbranch_scc0 .LBB300_47
; %bb.39:
	s_waitcnt lgkmcnt(0)
	s_mov_b32 s18, 0
	s_mov_b32 s19, exec_lo
	ds_store_b64 v9, v[1:2]
	s_waitcnt lgkmcnt(0)
	s_barrier
	buffer_gl0_inv
                                        ; implicit-def: $sgpr15
	v_cmpx_ne_u32_e32 0, v0
	s_cbranch_execz .LBB300_48
; %bb.40:
	v_cmp_lt_i64_e64 s0, s[4:5], 1
	s_delay_alu instid0(VALU_DEP_1)
	s_and_b32 vcc_lo, exec_lo, s0
	s_cbranch_vccnz .LBB300_49
; %bb.41:
	v_add_nc_u32_e32 v3, -8, v9
	v_mul_lo_u32 v10, v1, s5
	v_mul_lo_u32 v11, v2, s4
	s_mov_b32 s0, -1
	s_mov_b32 s15, exec_lo
	ds_load_b64 v[7:8], v3
	v_mad_u64_u32 v[3:4], null, v1, s4, s[6:7]
	s_delay_alu instid0(VALU_DEP_1) | instskip(SKIP_4) | instid1(VALU_DEP_1)
	v_add3_u32 v4, v11, v4, v10
	s_waitcnt lgkmcnt(0)
	v_mul_lo_u32 v12, v7, s5
	v_mul_lo_u32 v8, v8, s4
	v_mad_u64_u32 v[5:6], null, v7, s4, s[6:7]
	v_add3_u32 v6, v8, v6, v12
	s_clause 0x1
	global_load_u8 v7, v[3:4], off
	global_load_u8 v8, v[5:6], off
	s_waitcnt vmcnt(0)
	v_cmpx_eq_u16_e64 v7, v8
	s_cbranch_execz .LBB300_51
; %bb.42:
	s_mov_b64 s[0:1], 1
	s_mov_b32 s20, 0
                                        ; implicit-def: $sgpr21
	s_set_inst_prefetch_distance 0x1
	s_branch .LBB300_45
	.p2align	6
.LBB300_43:                             ;   in Loop: Header=BB300_45 Depth=1
	v_add_co_u32 v7, vcc_lo, v3, s0
	v_add_co_ci_u32_e32 v8, vcc_lo, s1, v4, vcc_lo
	v_add_co_u32 v10, vcc_lo, v5, s0
	v_add_co_ci_u32_e32 v11, vcc_lo, s1, v6, vcc_lo
	s_add_u32 s16, s0, 1
	s_clause 0x1
	global_load_u8 v7, v[7:8], off
	global_load_u8 v8, v[10:11], off
	s_addc_u32 s17, s1, 0
	s_and_not1_b32 s21, s21, exec_lo
	s_waitcnt vmcnt(0)
	v_cmp_ne_u16_e32 vcc_lo, v7, v8
	s_and_b32 s22, vcc_lo, exec_lo
	s_delay_alu instid0(SALU_CYCLE_1)
	s_or_b32 s21, s21, s22
.LBB300_44:                             ;   in Loop: Header=BB300_45 Depth=1
	v_dual_mov_b32 v8, s1 :: v_dual_mov_b32 v7, s0
	s_and_b32 s22, exec_lo, s21
	s_mov_b64 s[0:1], s[16:17]
	s_or_b32 s20, s22, s20
	s_delay_alu instid0(SALU_CYCLE_1)
	s_and_not1_b32 exec_lo, exec_lo, s20
	s_cbranch_execz .LBB300_50
.LBB300_45:                             ; =>This Inner Loop Header: Depth=1
	s_or_b32 s21, s21, exec_lo
	s_cmp_eq_u64 s[4:5], s[0:1]
	s_cbranch_scc0 .LBB300_43
; %bb.46:                               ;   in Loop: Header=BB300_45 Depth=1
	s_mov_b64 s[0:1], s[4:5]
                                        ; implicit-def: $sgpr16_sgpr17
	s_branch .LBB300_44
.LBB300_47:
	s_waitcnt lgkmcnt(0)
                                        ; implicit-def: $sgpr15
	s_cbranch_execnz .LBB300_53
	s_branch .LBB300_65
.LBB300_48:
	s_or_b32 exec_lo, exec_lo, s19
	s_delay_alu instid0(SALU_CYCLE_1)
	s_and_b32 vcc_lo, exec_lo, s18
	s_cbranch_vccnz .LBB300_53
	s_branch .LBB300_65
.LBB300_49:
	s_mov_b32 s0, 0
	s_branch .LBB300_52
.LBB300_50:
	s_set_inst_prefetch_distance 0x2
	s_or_b32 exec_lo, exec_lo, s20
	v_cmp_gt_i64_e32 vcc_lo, s[4:5], v[7:8]
	s_or_not1_b32 s0, vcc_lo, exec_lo
.LBB300_51:
	s_or_b32 exec_lo, exec_lo, s15
.LBB300_52:
	s_delay_alu instid0(SALU_CYCLE_1) | instskip(SKIP_2) | instid1(SALU_CYCLE_1)
	s_and_b32 s15, s0, exec_lo
	s_or_b32 s3, s3, exec_lo
	s_or_b32 exec_lo, exec_lo, s19
	s_and_b32 vcc_lo, exec_lo, s18
	s_cbranch_vccz .LBB300_65
.LBB300_53:
	v_cmp_ne_u32_e32 vcc_lo, 0, v0
	v_cmp_gt_u32_e64 s0, s10, v0
	s_mov_b32 s1, 0
	ds_store_b64 v9, v[1:2]
	s_waitcnt lgkmcnt(0)
	s_barrier
	s_and_b32 s0, vcc_lo, s0
	buffer_gl0_inv
                                        ; implicit-def: $sgpr15
	s_and_saveexec_b32 s16, s0
	s_cbranch_execz .LBB300_64
; %bb.54:
	v_cmp_lt_i64_e64 s0, s[4:5], 1
	s_delay_alu instid0(VALU_DEP_1)
	s_and_b32 vcc_lo, exec_lo, s0
	s_cbranch_vccnz .LBB300_63
; %bb.55:
	v_add_nc_u32_e32 v3, -8, v9
	v_mul_lo_u32 v7, v1, s5
	v_mul_lo_u32 v8, v2, s4
	s_mov_b32 s1, -1
	s_mov_b32 s15, exec_lo
	ds_load_b64 v[5:6], v3
	v_mad_u64_u32 v[3:4], null, v1, s4, s[6:7]
	s_delay_alu instid0(VALU_DEP_1) | instskip(SKIP_4) | instid1(VALU_DEP_1)
	v_add3_u32 v4, v8, v4, v7
	s_waitcnt lgkmcnt(0)
	v_mul_lo_u32 v10, v5, s5
	v_mul_lo_u32 v6, v6, s4
	v_mad_u64_u32 v[1:2], null, v5, s4, s[6:7]
	v_add3_u32 v2, v6, v2, v10
	s_clause 0x1
	global_load_u8 v5, v[3:4], off
	global_load_u8 v6, v[1:2], off
	s_waitcnt vmcnt(0)
	v_cmpx_eq_u16_e64 v5, v6
	s_cbranch_execz .LBB300_62
; %bb.56:
	s_mov_b64 s[0:1], 1
	s_mov_b32 s17, 0
                                        ; implicit-def: $sgpr18
	s_set_inst_prefetch_distance 0x1
	s_branch .LBB300_59
	.p2align	6
.LBB300_57:                             ;   in Loop: Header=BB300_59 Depth=1
	v_add_co_u32 v5, vcc_lo, v3, s0
	v_add_co_ci_u32_e32 v6, vcc_lo, s1, v4, vcc_lo
	v_add_co_u32 v7, vcc_lo, v1, s0
	v_add_co_ci_u32_e32 v8, vcc_lo, s1, v2, vcc_lo
	s_add_u32 s6, s0, 1
	s_clause 0x1
	global_load_u8 v5, v[5:6], off
	global_load_u8 v6, v[7:8], off
	s_addc_u32 s7, s1, 0
	s_and_not1_b32 s18, s18, exec_lo
	s_waitcnt vmcnt(0)
	v_cmp_ne_u16_e32 vcc_lo, v5, v6
	s_and_b32 s19, vcc_lo, exec_lo
	s_delay_alu instid0(SALU_CYCLE_1)
	s_or_b32 s18, s18, s19
.LBB300_58:                             ;   in Loop: Header=BB300_59 Depth=1
	v_dual_mov_b32 v6, s1 :: v_dual_mov_b32 v5, s0
	s_and_b32 s19, exec_lo, s18
	s_mov_b64 s[0:1], s[6:7]
	s_or_b32 s17, s19, s17
	s_delay_alu instid0(SALU_CYCLE_1)
	s_and_not1_b32 exec_lo, exec_lo, s17
	s_cbranch_execz .LBB300_61
.LBB300_59:                             ; =>This Inner Loop Header: Depth=1
	s_or_b32 s18, s18, exec_lo
	s_cmp_eq_u64 s[4:5], s[0:1]
	s_cbranch_scc0 .LBB300_57
; %bb.60:                               ;   in Loop: Header=BB300_59 Depth=1
	s_mov_b64 s[0:1], s[4:5]
                                        ; implicit-def: $sgpr6_sgpr7
	s_branch .LBB300_58
.LBB300_61:
	s_set_inst_prefetch_distance 0x2
	s_or_b32 exec_lo, exec_lo, s17
	v_cmp_gt_i64_e32 vcc_lo, s[4:5], v[5:6]
	s_or_not1_b32 s1, vcc_lo, exec_lo
.LBB300_62:
	s_or_b32 exec_lo, exec_lo, s15
.LBB300_63:
	s_delay_alu instid0(SALU_CYCLE_1)
	s_and_b32 s15, s1, exec_lo
	s_or_b32 s3, s3, exec_lo
                                        ; implicit-def: $vgpr1_vgpr2
.LBB300_64:
	s_or_b32 exec_lo, exec_lo, s16
.LBB300_65:
	s_and_saveexec_b32 s0, s3
; %bb.66:
	s_mov_b32 s1, 0
	v_cndmask_b32_e64 v1, 0, 1, s15
	v_mov_b32_e32 v2, s1
; %bb.67:
	s_or_b32 exec_lo, exec_lo, s0
	s_add_u32 s0, s8, s12
	s_addc_u32 s1, s9, s13
	s_and_b32 vcc_lo, exec_lo, s11
	s_mov_b32 s3, -1
	s_waitcnt lgkmcnt(0)
	s_barrier
	buffer_gl0_inv
	s_cbranch_vccnz .LBB300_70
; %bb.68:
	s_and_not1_b32 vcc_lo, exec_lo, s3
	s_cbranch_vccz .LBB300_73
.LBB300_69:
	s_nop 0
	s_sendmsg sendmsg(MSG_DEALLOC_VGPRS)
	s_endpgm
.LBB300_70:
	s_lshl_b32 s3, s14, 9
	s_mov_b32 s4, exec_lo
	s_sub_i32 s3, s10, s3
	ds_store_b64 v9, v[1:2]
	s_waitcnt lgkmcnt(0)
	s_barrier
	buffer_gl0_inv
	v_cmpx_gt_u32_e64 s3, v0
	s_cbranch_execz .LBB300_72
; %bb.71:
	ds_load_b64 v[3:4], v9
	s_mov_b32 s3, 0
	s_delay_alu instid0(SALU_CYCLE_1) | instskip(NEXT) | instid1(SALU_CYCLE_1)
	s_lshl_b64 s[6:7], s[2:3], 3
	s_add_u32 s6, s0, s6
	s_addc_u32 s7, s1, s7
	s_waitcnt lgkmcnt(0)
	global_store_b64 v9, v[3:4], s[6:7]
.LBB300_72:
	s_or_b32 exec_lo, exec_lo, s4
	s_cbranch_execnz .LBB300_69
.LBB300_73:
	ds_store_b64 v9, v[1:2]
	s_waitcnt lgkmcnt(0)
	s_waitcnt_vscnt null, 0x0
	s_barrier
	buffer_gl0_inv
	ds_load_b64 v[0:1], v9
	s_mov_b32 s3, 0
	s_delay_alu instid0(SALU_CYCLE_1) | instskip(NEXT) | instid1(SALU_CYCLE_1)
	s_lshl_b64 s[2:3], s[2:3], 3
	s_add_u32 s0, s0, s2
	s_addc_u32 s1, s1, s3
	s_waitcnt lgkmcnt(0)
	global_store_b64 v9, v[0:1], s[0:1]
	s_nop 0
	s_sendmsg sendmsg(MSG_DEALLOC_VGPRS)
	s_endpgm
	.section	.rodata,"a",@progbits
	.p2align	6, 0x0
	.amdhsa_kernel _ZN7rocprim17ROCPRIM_400000_NS6detail17trampoline_kernelINS0_14default_configENS1_35adjacent_difference_config_selectorILb0ElEEZNS1_24adjacent_difference_implIS3_Lb0ELb0EPlS7_ZN2at6native12_GLOBAL__N_124unique_dim_cuda_templateIaEESt5tupleIJNS8_6TensorESD_SD_EERKSD_lbbbEUlllE1_EE10hipError_tPvRmT2_T3_mT4_P12ihipStream_tbEUlT_E_NS1_11comp_targetILNS1_3genE9ELNS1_11target_archE1100ELNS1_3gpuE3ELNS1_3repE0EEENS1_30default_config_static_selectorELNS0_4arch9wavefront6targetE0EEEvT1_
		.amdhsa_group_segment_fixed_size 8192
		.amdhsa_private_segment_fixed_size 0
		.amdhsa_kernarg_size 64
		.amdhsa_user_sgpr_count 15
		.amdhsa_user_sgpr_dispatch_ptr 0
		.amdhsa_user_sgpr_queue_ptr 0
		.amdhsa_user_sgpr_kernarg_segment_ptr 1
		.amdhsa_user_sgpr_dispatch_id 0
		.amdhsa_user_sgpr_private_segment_size 0
		.amdhsa_wavefront_size32 1
		.amdhsa_uses_dynamic_stack 0
		.amdhsa_enable_private_segment 0
		.amdhsa_system_sgpr_workgroup_id_x 1
		.amdhsa_system_sgpr_workgroup_id_y 0
		.amdhsa_system_sgpr_workgroup_id_z 0
		.amdhsa_system_sgpr_workgroup_info 0
		.amdhsa_system_vgpr_workitem_id 0
		.amdhsa_next_free_vgpr 13
		.amdhsa_next_free_sgpr 25
		.amdhsa_reserve_vcc 1
		.amdhsa_float_round_mode_32 0
		.amdhsa_float_round_mode_16_64 0
		.amdhsa_float_denorm_mode_32 3
		.amdhsa_float_denorm_mode_16_64 3
		.amdhsa_dx10_clamp 1
		.amdhsa_ieee_mode 1
		.amdhsa_fp16_overflow 0
		.amdhsa_workgroup_processor_mode 1
		.amdhsa_memory_ordered 1
		.amdhsa_forward_progress 0
		.amdhsa_shared_vgpr_count 0
		.amdhsa_exception_fp_ieee_invalid_op 0
		.amdhsa_exception_fp_denorm_src 0
		.amdhsa_exception_fp_ieee_div_zero 0
		.amdhsa_exception_fp_ieee_overflow 0
		.amdhsa_exception_fp_ieee_underflow 0
		.amdhsa_exception_fp_ieee_inexact 0
		.amdhsa_exception_int_div_zero 0
	.end_amdhsa_kernel
	.section	.text._ZN7rocprim17ROCPRIM_400000_NS6detail17trampoline_kernelINS0_14default_configENS1_35adjacent_difference_config_selectorILb0ElEEZNS1_24adjacent_difference_implIS3_Lb0ELb0EPlS7_ZN2at6native12_GLOBAL__N_124unique_dim_cuda_templateIaEESt5tupleIJNS8_6TensorESD_SD_EERKSD_lbbbEUlllE1_EE10hipError_tPvRmT2_T3_mT4_P12ihipStream_tbEUlT_E_NS1_11comp_targetILNS1_3genE9ELNS1_11target_archE1100ELNS1_3gpuE3ELNS1_3repE0EEENS1_30default_config_static_selectorELNS0_4arch9wavefront6targetE0EEEvT1_,"axG",@progbits,_ZN7rocprim17ROCPRIM_400000_NS6detail17trampoline_kernelINS0_14default_configENS1_35adjacent_difference_config_selectorILb0ElEEZNS1_24adjacent_difference_implIS3_Lb0ELb0EPlS7_ZN2at6native12_GLOBAL__N_124unique_dim_cuda_templateIaEESt5tupleIJNS8_6TensorESD_SD_EERKSD_lbbbEUlllE1_EE10hipError_tPvRmT2_T3_mT4_P12ihipStream_tbEUlT_E_NS1_11comp_targetILNS1_3genE9ELNS1_11target_archE1100ELNS1_3gpuE3ELNS1_3repE0EEENS1_30default_config_static_selectorELNS0_4arch9wavefront6targetE0EEEvT1_,comdat
.Lfunc_end300:
	.size	_ZN7rocprim17ROCPRIM_400000_NS6detail17trampoline_kernelINS0_14default_configENS1_35adjacent_difference_config_selectorILb0ElEEZNS1_24adjacent_difference_implIS3_Lb0ELb0EPlS7_ZN2at6native12_GLOBAL__N_124unique_dim_cuda_templateIaEESt5tupleIJNS8_6TensorESD_SD_EERKSD_lbbbEUlllE1_EE10hipError_tPvRmT2_T3_mT4_P12ihipStream_tbEUlT_E_NS1_11comp_targetILNS1_3genE9ELNS1_11target_archE1100ELNS1_3gpuE3ELNS1_3repE0EEENS1_30default_config_static_selectorELNS0_4arch9wavefront6targetE0EEEvT1_, .Lfunc_end300-_ZN7rocprim17ROCPRIM_400000_NS6detail17trampoline_kernelINS0_14default_configENS1_35adjacent_difference_config_selectorILb0ElEEZNS1_24adjacent_difference_implIS3_Lb0ELb0EPlS7_ZN2at6native12_GLOBAL__N_124unique_dim_cuda_templateIaEESt5tupleIJNS8_6TensorESD_SD_EERKSD_lbbbEUlllE1_EE10hipError_tPvRmT2_T3_mT4_P12ihipStream_tbEUlT_E_NS1_11comp_targetILNS1_3genE9ELNS1_11target_archE1100ELNS1_3gpuE3ELNS1_3repE0EEENS1_30default_config_static_selectorELNS0_4arch9wavefront6targetE0EEEvT1_
                                        ; -- End function
	.section	.AMDGPU.csdata,"",@progbits
; Kernel info:
; codeLenInByte = 2260
; NumSgprs: 27
; NumVgprs: 13
; ScratchSize: 0
; MemoryBound: 0
; FloatMode: 240
; IeeeMode: 1
; LDSByteSize: 8192 bytes/workgroup (compile time only)
; SGPRBlocks: 3
; VGPRBlocks: 1
; NumSGPRsForWavesPerEU: 27
; NumVGPRsForWavesPerEU: 13
; Occupancy: 16
; WaveLimiterHint : 0
; COMPUTE_PGM_RSRC2:SCRATCH_EN: 0
; COMPUTE_PGM_RSRC2:USER_SGPR: 15
; COMPUTE_PGM_RSRC2:TRAP_HANDLER: 0
; COMPUTE_PGM_RSRC2:TGID_X_EN: 1
; COMPUTE_PGM_RSRC2:TGID_Y_EN: 0
; COMPUTE_PGM_RSRC2:TGID_Z_EN: 0
; COMPUTE_PGM_RSRC2:TIDIG_COMP_CNT: 0
	.section	.text._ZN7rocprim17ROCPRIM_400000_NS6detail17trampoline_kernelINS0_14default_configENS1_35adjacent_difference_config_selectorILb0ElEEZNS1_24adjacent_difference_implIS3_Lb0ELb0EPlS7_ZN2at6native12_GLOBAL__N_124unique_dim_cuda_templateIaEESt5tupleIJNS8_6TensorESD_SD_EERKSD_lbbbEUlllE1_EE10hipError_tPvRmT2_T3_mT4_P12ihipStream_tbEUlT_E_NS1_11comp_targetILNS1_3genE8ELNS1_11target_archE1030ELNS1_3gpuE2ELNS1_3repE0EEENS1_30default_config_static_selectorELNS0_4arch9wavefront6targetE0EEEvT1_,"axG",@progbits,_ZN7rocprim17ROCPRIM_400000_NS6detail17trampoline_kernelINS0_14default_configENS1_35adjacent_difference_config_selectorILb0ElEEZNS1_24adjacent_difference_implIS3_Lb0ELb0EPlS7_ZN2at6native12_GLOBAL__N_124unique_dim_cuda_templateIaEESt5tupleIJNS8_6TensorESD_SD_EERKSD_lbbbEUlllE1_EE10hipError_tPvRmT2_T3_mT4_P12ihipStream_tbEUlT_E_NS1_11comp_targetILNS1_3genE8ELNS1_11target_archE1030ELNS1_3gpuE2ELNS1_3repE0EEENS1_30default_config_static_selectorELNS0_4arch9wavefront6targetE0EEEvT1_,comdat
	.globl	_ZN7rocprim17ROCPRIM_400000_NS6detail17trampoline_kernelINS0_14default_configENS1_35adjacent_difference_config_selectorILb0ElEEZNS1_24adjacent_difference_implIS3_Lb0ELb0EPlS7_ZN2at6native12_GLOBAL__N_124unique_dim_cuda_templateIaEESt5tupleIJNS8_6TensorESD_SD_EERKSD_lbbbEUlllE1_EE10hipError_tPvRmT2_T3_mT4_P12ihipStream_tbEUlT_E_NS1_11comp_targetILNS1_3genE8ELNS1_11target_archE1030ELNS1_3gpuE2ELNS1_3repE0EEENS1_30default_config_static_selectorELNS0_4arch9wavefront6targetE0EEEvT1_ ; -- Begin function _ZN7rocprim17ROCPRIM_400000_NS6detail17trampoline_kernelINS0_14default_configENS1_35adjacent_difference_config_selectorILb0ElEEZNS1_24adjacent_difference_implIS3_Lb0ELb0EPlS7_ZN2at6native12_GLOBAL__N_124unique_dim_cuda_templateIaEESt5tupleIJNS8_6TensorESD_SD_EERKSD_lbbbEUlllE1_EE10hipError_tPvRmT2_T3_mT4_P12ihipStream_tbEUlT_E_NS1_11comp_targetILNS1_3genE8ELNS1_11target_archE1030ELNS1_3gpuE2ELNS1_3repE0EEENS1_30default_config_static_selectorELNS0_4arch9wavefront6targetE0EEEvT1_
	.p2align	8
	.type	_ZN7rocprim17ROCPRIM_400000_NS6detail17trampoline_kernelINS0_14default_configENS1_35adjacent_difference_config_selectorILb0ElEEZNS1_24adjacent_difference_implIS3_Lb0ELb0EPlS7_ZN2at6native12_GLOBAL__N_124unique_dim_cuda_templateIaEESt5tupleIJNS8_6TensorESD_SD_EERKSD_lbbbEUlllE1_EE10hipError_tPvRmT2_T3_mT4_P12ihipStream_tbEUlT_E_NS1_11comp_targetILNS1_3genE8ELNS1_11target_archE1030ELNS1_3gpuE2ELNS1_3repE0EEENS1_30default_config_static_selectorELNS0_4arch9wavefront6targetE0EEEvT1_,@function
_ZN7rocprim17ROCPRIM_400000_NS6detail17trampoline_kernelINS0_14default_configENS1_35adjacent_difference_config_selectorILb0ElEEZNS1_24adjacent_difference_implIS3_Lb0ELb0EPlS7_ZN2at6native12_GLOBAL__N_124unique_dim_cuda_templateIaEESt5tupleIJNS8_6TensorESD_SD_EERKSD_lbbbEUlllE1_EE10hipError_tPvRmT2_T3_mT4_P12ihipStream_tbEUlT_E_NS1_11comp_targetILNS1_3genE8ELNS1_11target_archE1030ELNS1_3gpuE2ELNS1_3repE0EEENS1_30default_config_static_selectorELNS0_4arch9wavefront6targetE0EEEvT1_: ; @_ZN7rocprim17ROCPRIM_400000_NS6detail17trampoline_kernelINS0_14default_configENS1_35adjacent_difference_config_selectorILb0ElEEZNS1_24adjacent_difference_implIS3_Lb0ELb0EPlS7_ZN2at6native12_GLOBAL__N_124unique_dim_cuda_templateIaEESt5tupleIJNS8_6TensorESD_SD_EERKSD_lbbbEUlllE1_EE10hipError_tPvRmT2_T3_mT4_P12ihipStream_tbEUlT_E_NS1_11comp_targetILNS1_3genE8ELNS1_11target_archE1030ELNS1_3gpuE2ELNS1_3repE0EEENS1_30default_config_static_selectorELNS0_4arch9wavefront6targetE0EEEvT1_
; %bb.0:
	.section	.rodata,"a",@progbits
	.p2align	6, 0x0
	.amdhsa_kernel _ZN7rocprim17ROCPRIM_400000_NS6detail17trampoline_kernelINS0_14default_configENS1_35adjacent_difference_config_selectorILb0ElEEZNS1_24adjacent_difference_implIS3_Lb0ELb0EPlS7_ZN2at6native12_GLOBAL__N_124unique_dim_cuda_templateIaEESt5tupleIJNS8_6TensorESD_SD_EERKSD_lbbbEUlllE1_EE10hipError_tPvRmT2_T3_mT4_P12ihipStream_tbEUlT_E_NS1_11comp_targetILNS1_3genE8ELNS1_11target_archE1030ELNS1_3gpuE2ELNS1_3repE0EEENS1_30default_config_static_selectorELNS0_4arch9wavefront6targetE0EEEvT1_
		.amdhsa_group_segment_fixed_size 0
		.amdhsa_private_segment_fixed_size 0
		.amdhsa_kernarg_size 64
		.amdhsa_user_sgpr_count 15
		.amdhsa_user_sgpr_dispatch_ptr 0
		.amdhsa_user_sgpr_queue_ptr 0
		.amdhsa_user_sgpr_kernarg_segment_ptr 1
		.amdhsa_user_sgpr_dispatch_id 0
		.amdhsa_user_sgpr_private_segment_size 0
		.amdhsa_wavefront_size32 1
		.amdhsa_uses_dynamic_stack 0
		.amdhsa_enable_private_segment 0
		.amdhsa_system_sgpr_workgroup_id_x 1
		.amdhsa_system_sgpr_workgroup_id_y 0
		.amdhsa_system_sgpr_workgroup_id_z 0
		.amdhsa_system_sgpr_workgroup_info 0
		.amdhsa_system_vgpr_workitem_id 0
		.amdhsa_next_free_vgpr 1
		.amdhsa_next_free_sgpr 1
		.amdhsa_reserve_vcc 0
		.amdhsa_float_round_mode_32 0
		.amdhsa_float_round_mode_16_64 0
		.amdhsa_float_denorm_mode_32 3
		.amdhsa_float_denorm_mode_16_64 3
		.amdhsa_dx10_clamp 1
		.amdhsa_ieee_mode 1
		.amdhsa_fp16_overflow 0
		.amdhsa_workgroup_processor_mode 1
		.amdhsa_memory_ordered 1
		.amdhsa_forward_progress 0
		.amdhsa_shared_vgpr_count 0
		.amdhsa_exception_fp_ieee_invalid_op 0
		.amdhsa_exception_fp_denorm_src 0
		.amdhsa_exception_fp_ieee_div_zero 0
		.amdhsa_exception_fp_ieee_overflow 0
		.amdhsa_exception_fp_ieee_underflow 0
		.amdhsa_exception_fp_ieee_inexact 0
		.amdhsa_exception_int_div_zero 0
	.end_amdhsa_kernel
	.section	.text._ZN7rocprim17ROCPRIM_400000_NS6detail17trampoline_kernelINS0_14default_configENS1_35adjacent_difference_config_selectorILb0ElEEZNS1_24adjacent_difference_implIS3_Lb0ELb0EPlS7_ZN2at6native12_GLOBAL__N_124unique_dim_cuda_templateIaEESt5tupleIJNS8_6TensorESD_SD_EERKSD_lbbbEUlllE1_EE10hipError_tPvRmT2_T3_mT4_P12ihipStream_tbEUlT_E_NS1_11comp_targetILNS1_3genE8ELNS1_11target_archE1030ELNS1_3gpuE2ELNS1_3repE0EEENS1_30default_config_static_selectorELNS0_4arch9wavefront6targetE0EEEvT1_,"axG",@progbits,_ZN7rocprim17ROCPRIM_400000_NS6detail17trampoline_kernelINS0_14default_configENS1_35adjacent_difference_config_selectorILb0ElEEZNS1_24adjacent_difference_implIS3_Lb0ELb0EPlS7_ZN2at6native12_GLOBAL__N_124unique_dim_cuda_templateIaEESt5tupleIJNS8_6TensorESD_SD_EERKSD_lbbbEUlllE1_EE10hipError_tPvRmT2_T3_mT4_P12ihipStream_tbEUlT_E_NS1_11comp_targetILNS1_3genE8ELNS1_11target_archE1030ELNS1_3gpuE2ELNS1_3repE0EEENS1_30default_config_static_selectorELNS0_4arch9wavefront6targetE0EEEvT1_,comdat
.Lfunc_end301:
	.size	_ZN7rocprim17ROCPRIM_400000_NS6detail17trampoline_kernelINS0_14default_configENS1_35adjacent_difference_config_selectorILb0ElEEZNS1_24adjacent_difference_implIS3_Lb0ELb0EPlS7_ZN2at6native12_GLOBAL__N_124unique_dim_cuda_templateIaEESt5tupleIJNS8_6TensorESD_SD_EERKSD_lbbbEUlllE1_EE10hipError_tPvRmT2_T3_mT4_P12ihipStream_tbEUlT_E_NS1_11comp_targetILNS1_3genE8ELNS1_11target_archE1030ELNS1_3gpuE2ELNS1_3repE0EEENS1_30default_config_static_selectorELNS0_4arch9wavefront6targetE0EEEvT1_, .Lfunc_end301-_ZN7rocprim17ROCPRIM_400000_NS6detail17trampoline_kernelINS0_14default_configENS1_35adjacent_difference_config_selectorILb0ElEEZNS1_24adjacent_difference_implIS3_Lb0ELb0EPlS7_ZN2at6native12_GLOBAL__N_124unique_dim_cuda_templateIaEESt5tupleIJNS8_6TensorESD_SD_EERKSD_lbbbEUlllE1_EE10hipError_tPvRmT2_T3_mT4_P12ihipStream_tbEUlT_E_NS1_11comp_targetILNS1_3genE8ELNS1_11target_archE1030ELNS1_3gpuE2ELNS1_3repE0EEENS1_30default_config_static_selectorELNS0_4arch9wavefront6targetE0EEEvT1_
                                        ; -- End function
	.section	.AMDGPU.csdata,"",@progbits
; Kernel info:
; codeLenInByte = 0
; NumSgprs: 0
; NumVgprs: 0
; ScratchSize: 0
; MemoryBound: 0
; FloatMode: 240
; IeeeMode: 1
; LDSByteSize: 0 bytes/workgroup (compile time only)
; SGPRBlocks: 0
; VGPRBlocks: 0
; NumSGPRsForWavesPerEU: 1
; NumVGPRsForWavesPerEU: 1
; Occupancy: 16
; WaveLimiterHint : 0
; COMPUTE_PGM_RSRC2:SCRATCH_EN: 0
; COMPUTE_PGM_RSRC2:USER_SGPR: 15
; COMPUTE_PGM_RSRC2:TRAP_HANDLER: 0
; COMPUTE_PGM_RSRC2:TGID_X_EN: 1
; COMPUTE_PGM_RSRC2:TGID_Y_EN: 0
; COMPUTE_PGM_RSRC2:TGID_Z_EN: 0
; COMPUTE_PGM_RSRC2:TIDIG_COMP_CNT: 0
	.section	.text._ZN7rocprim17ROCPRIM_400000_NS6detail17trampoline_kernelINS0_14default_configENS1_25transform_config_selectorIlLb0EEEZNS1_14transform_implILb0ES3_S5_NS0_18transform_iteratorINS0_17counting_iteratorImlEEZNS1_24adjacent_difference_implIS3_Lb1ELb0EPlSB_ZN2at6native12_GLOBAL__N_124unique_dim_cuda_templateIaEESt5tupleIJNSC_6TensorESH_SH_EERKSH_lbbbEUlllE1_EE10hipError_tPvRmT2_T3_mT4_P12ihipStream_tbEUlmE_lEESB_NS0_8identityIvEEEESM_SP_SQ_mSR_ST_bEUlT_E_NS1_11comp_targetILNS1_3genE0ELNS1_11target_archE4294967295ELNS1_3gpuE0ELNS1_3repE0EEENS1_30default_config_static_selectorELNS0_4arch9wavefront6targetE0EEEvT1_,"axG",@progbits,_ZN7rocprim17ROCPRIM_400000_NS6detail17trampoline_kernelINS0_14default_configENS1_25transform_config_selectorIlLb0EEEZNS1_14transform_implILb0ES3_S5_NS0_18transform_iteratorINS0_17counting_iteratorImlEEZNS1_24adjacent_difference_implIS3_Lb1ELb0EPlSB_ZN2at6native12_GLOBAL__N_124unique_dim_cuda_templateIaEESt5tupleIJNSC_6TensorESH_SH_EERKSH_lbbbEUlllE1_EE10hipError_tPvRmT2_T3_mT4_P12ihipStream_tbEUlmE_lEESB_NS0_8identityIvEEEESM_SP_SQ_mSR_ST_bEUlT_E_NS1_11comp_targetILNS1_3genE0ELNS1_11target_archE4294967295ELNS1_3gpuE0ELNS1_3repE0EEENS1_30default_config_static_selectorELNS0_4arch9wavefront6targetE0EEEvT1_,comdat
	.globl	_ZN7rocprim17ROCPRIM_400000_NS6detail17trampoline_kernelINS0_14default_configENS1_25transform_config_selectorIlLb0EEEZNS1_14transform_implILb0ES3_S5_NS0_18transform_iteratorINS0_17counting_iteratorImlEEZNS1_24adjacent_difference_implIS3_Lb1ELb0EPlSB_ZN2at6native12_GLOBAL__N_124unique_dim_cuda_templateIaEESt5tupleIJNSC_6TensorESH_SH_EERKSH_lbbbEUlllE1_EE10hipError_tPvRmT2_T3_mT4_P12ihipStream_tbEUlmE_lEESB_NS0_8identityIvEEEESM_SP_SQ_mSR_ST_bEUlT_E_NS1_11comp_targetILNS1_3genE0ELNS1_11target_archE4294967295ELNS1_3gpuE0ELNS1_3repE0EEENS1_30default_config_static_selectorELNS0_4arch9wavefront6targetE0EEEvT1_ ; -- Begin function _ZN7rocprim17ROCPRIM_400000_NS6detail17trampoline_kernelINS0_14default_configENS1_25transform_config_selectorIlLb0EEEZNS1_14transform_implILb0ES3_S5_NS0_18transform_iteratorINS0_17counting_iteratorImlEEZNS1_24adjacent_difference_implIS3_Lb1ELb0EPlSB_ZN2at6native12_GLOBAL__N_124unique_dim_cuda_templateIaEESt5tupleIJNSC_6TensorESH_SH_EERKSH_lbbbEUlllE1_EE10hipError_tPvRmT2_T3_mT4_P12ihipStream_tbEUlmE_lEESB_NS0_8identityIvEEEESM_SP_SQ_mSR_ST_bEUlT_E_NS1_11comp_targetILNS1_3genE0ELNS1_11target_archE4294967295ELNS1_3gpuE0ELNS1_3repE0EEENS1_30default_config_static_selectorELNS0_4arch9wavefront6targetE0EEEvT1_
	.p2align	8
	.type	_ZN7rocprim17ROCPRIM_400000_NS6detail17trampoline_kernelINS0_14default_configENS1_25transform_config_selectorIlLb0EEEZNS1_14transform_implILb0ES3_S5_NS0_18transform_iteratorINS0_17counting_iteratorImlEEZNS1_24adjacent_difference_implIS3_Lb1ELb0EPlSB_ZN2at6native12_GLOBAL__N_124unique_dim_cuda_templateIaEESt5tupleIJNSC_6TensorESH_SH_EERKSH_lbbbEUlllE1_EE10hipError_tPvRmT2_T3_mT4_P12ihipStream_tbEUlmE_lEESB_NS0_8identityIvEEEESM_SP_SQ_mSR_ST_bEUlT_E_NS1_11comp_targetILNS1_3genE0ELNS1_11target_archE4294967295ELNS1_3gpuE0ELNS1_3repE0EEENS1_30default_config_static_selectorELNS0_4arch9wavefront6targetE0EEEvT1_,@function
_ZN7rocprim17ROCPRIM_400000_NS6detail17trampoline_kernelINS0_14default_configENS1_25transform_config_selectorIlLb0EEEZNS1_14transform_implILb0ES3_S5_NS0_18transform_iteratorINS0_17counting_iteratorImlEEZNS1_24adjacent_difference_implIS3_Lb1ELb0EPlSB_ZN2at6native12_GLOBAL__N_124unique_dim_cuda_templateIaEESt5tupleIJNSC_6TensorESH_SH_EERKSH_lbbbEUlllE1_EE10hipError_tPvRmT2_T3_mT4_P12ihipStream_tbEUlmE_lEESB_NS0_8identityIvEEEESM_SP_SQ_mSR_ST_bEUlT_E_NS1_11comp_targetILNS1_3genE0ELNS1_11target_archE4294967295ELNS1_3gpuE0ELNS1_3repE0EEENS1_30default_config_static_selectorELNS0_4arch9wavefront6targetE0EEEvT1_: ; @_ZN7rocprim17ROCPRIM_400000_NS6detail17trampoline_kernelINS0_14default_configENS1_25transform_config_selectorIlLb0EEEZNS1_14transform_implILb0ES3_S5_NS0_18transform_iteratorINS0_17counting_iteratorImlEEZNS1_24adjacent_difference_implIS3_Lb1ELb0EPlSB_ZN2at6native12_GLOBAL__N_124unique_dim_cuda_templateIaEESt5tupleIJNSC_6TensorESH_SH_EERKSH_lbbbEUlllE1_EE10hipError_tPvRmT2_T3_mT4_P12ihipStream_tbEUlmE_lEESB_NS0_8identityIvEEEESM_SP_SQ_mSR_ST_bEUlT_E_NS1_11comp_targetILNS1_3genE0ELNS1_11target_archE4294967295ELNS1_3gpuE0ELNS1_3repE0EEENS1_30default_config_static_selectorELNS0_4arch9wavefront6targetE0EEEvT1_
; %bb.0:
	.section	.rodata,"a",@progbits
	.p2align	6, 0x0
	.amdhsa_kernel _ZN7rocprim17ROCPRIM_400000_NS6detail17trampoline_kernelINS0_14default_configENS1_25transform_config_selectorIlLb0EEEZNS1_14transform_implILb0ES3_S5_NS0_18transform_iteratorINS0_17counting_iteratorImlEEZNS1_24adjacent_difference_implIS3_Lb1ELb0EPlSB_ZN2at6native12_GLOBAL__N_124unique_dim_cuda_templateIaEESt5tupleIJNSC_6TensorESH_SH_EERKSH_lbbbEUlllE1_EE10hipError_tPvRmT2_T3_mT4_P12ihipStream_tbEUlmE_lEESB_NS0_8identityIvEEEESM_SP_SQ_mSR_ST_bEUlT_E_NS1_11comp_targetILNS1_3genE0ELNS1_11target_archE4294967295ELNS1_3gpuE0ELNS1_3repE0EEENS1_30default_config_static_selectorELNS0_4arch9wavefront6targetE0EEEvT1_
		.amdhsa_group_segment_fixed_size 0
		.amdhsa_private_segment_fixed_size 0
		.amdhsa_kernarg_size 56
		.amdhsa_user_sgpr_count 15
		.amdhsa_user_sgpr_dispatch_ptr 0
		.amdhsa_user_sgpr_queue_ptr 0
		.amdhsa_user_sgpr_kernarg_segment_ptr 1
		.amdhsa_user_sgpr_dispatch_id 0
		.amdhsa_user_sgpr_private_segment_size 0
		.amdhsa_wavefront_size32 1
		.amdhsa_uses_dynamic_stack 0
		.amdhsa_enable_private_segment 0
		.amdhsa_system_sgpr_workgroup_id_x 1
		.amdhsa_system_sgpr_workgroup_id_y 0
		.amdhsa_system_sgpr_workgroup_id_z 0
		.amdhsa_system_sgpr_workgroup_info 0
		.amdhsa_system_vgpr_workitem_id 0
		.amdhsa_next_free_vgpr 1
		.amdhsa_next_free_sgpr 1
		.amdhsa_reserve_vcc 0
		.amdhsa_float_round_mode_32 0
		.amdhsa_float_round_mode_16_64 0
		.amdhsa_float_denorm_mode_32 3
		.amdhsa_float_denorm_mode_16_64 3
		.amdhsa_dx10_clamp 1
		.amdhsa_ieee_mode 1
		.amdhsa_fp16_overflow 0
		.amdhsa_workgroup_processor_mode 1
		.amdhsa_memory_ordered 1
		.amdhsa_forward_progress 0
		.amdhsa_shared_vgpr_count 0
		.amdhsa_exception_fp_ieee_invalid_op 0
		.amdhsa_exception_fp_denorm_src 0
		.amdhsa_exception_fp_ieee_div_zero 0
		.amdhsa_exception_fp_ieee_overflow 0
		.amdhsa_exception_fp_ieee_underflow 0
		.amdhsa_exception_fp_ieee_inexact 0
		.amdhsa_exception_int_div_zero 0
	.end_amdhsa_kernel
	.section	.text._ZN7rocprim17ROCPRIM_400000_NS6detail17trampoline_kernelINS0_14default_configENS1_25transform_config_selectorIlLb0EEEZNS1_14transform_implILb0ES3_S5_NS0_18transform_iteratorINS0_17counting_iteratorImlEEZNS1_24adjacent_difference_implIS3_Lb1ELb0EPlSB_ZN2at6native12_GLOBAL__N_124unique_dim_cuda_templateIaEESt5tupleIJNSC_6TensorESH_SH_EERKSH_lbbbEUlllE1_EE10hipError_tPvRmT2_T3_mT4_P12ihipStream_tbEUlmE_lEESB_NS0_8identityIvEEEESM_SP_SQ_mSR_ST_bEUlT_E_NS1_11comp_targetILNS1_3genE0ELNS1_11target_archE4294967295ELNS1_3gpuE0ELNS1_3repE0EEENS1_30default_config_static_selectorELNS0_4arch9wavefront6targetE0EEEvT1_,"axG",@progbits,_ZN7rocprim17ROCPRIM_400000_NS6detail17trampoline_kernelINS0_14default_configENS1_25transform_config_selectorIlLb0EEEZNS1_14transform_implILb0ES3_S5_NS0_18transform_iteratorINS0_17counting_iteratorImlEEZNS1_24adjacent_difference_implIS3_Lb1ELb0EPlSB_ZN2at6native12_GLOBAL__N_124unique_dim_cuda_templateIaEESt5tupleIJNSC_6TensorESH_SH_EERKSH_lbbbEUlllE1_EE10hipError_tPvRmT2_T3_mT4_P12ihipStream_tbEUlmE_lEESB_NS0_8identityIvEEEESM_SP_SQ_mSR_ST_bEUlT_E_NS1_11comp_targetILNS1_3genE0ELNS1_11target_archE4294967295ELNS1_3gpuE0ELNS1_3repE0EEENS1_30default_config_static_selectorELNS0_4arch9wavefront6targetE0EEEvT1_,comdat
.Lfunc_end302:
	.size	_ZN7rocprim17ROCPRIM_400000_NS6detail17trampoline_kernelINS0_14default_configENS1_25transform_config_selectorIlLb0EEEZNS1_14transform_implILb0ES3_S5_NS0_18transform_iteratorINS0_17counting_iteratorImlEEZNS1_24adjacent_difference_implIS3_Lb1ELb0EPlSB_ZN2at6native12_GLOBAL__N_124unique_dim_cuda_templateIaEESt5tupleIJNSC_6TensorESH_SH_EERKSH_lbbbEUlllE1_EE10hipError_tPvRmT2_T3_mT4_P12ihipStream_tbEUlmE_lEESB_NS0_8identityIvEEEESM_SP_SQ_mSR_ST_bEUlT_E_NS1_11comp_targetILNS1_3genE0ELNS1_11target_archE4294967295ELNS1_3gpuE0ELNS1_3repE0EEENS1_30default_config_static_selectorELNS0_4arch9wavefront6targetE0EEEvT1_, .Lfunc_end302-_ZN7rocprim17ROCPRIM_400000_NS6detail17trampoline_kernelINS0_14default_configENS1_25transform_config_selectorIlLb0EEEZNS1_14transform_implILb0ES3_S5_NS0_18transform_iteratorINS0_17counting_iteratorImlEEZNS1_24adjacent_difference_implIS3_Lb1ELb0EPlSB_ZN2at6native12_GLOBAL__N_124unique_dim_cuda_templateIaEESt5tupleIJNSC_6TensorESH_SH_EERKSH_lbbbEUlllE1_EE10hipError_tPvRmT2_T3_mT4_P12ihipStream_tbEUlmE_lEESB_NS0_8identityIvEEEESM_SP_SQ_mSR_ST_bEUlT_E_NS1_11comp_targetILNS1_3genE0ELNS1_11target_archE4294967295ELNS1_3gpuE0ELNS1_3repE0EEENS1_30default_config_static_selectorELNS0_4arch9wavefront6targetE0EEEvT1_
                                        ; -- End function
	.section	.AMDGPU.csdata,"",@progbits
; Kernel info:
; codeLenInByte = 0
; NumSgprs: 0
; NumVgprs: 0
; ScratchSize: 0
; MemoryBound: 0
; FloatMode: 240
; IeeeMode: 1
; LDSByteSize: 0 bytes/workgroup (compile time only)
; SGPRBlocks: 0
; VGPRBlocks: 0
; NumSGPRsForWavesPerEU: 1
; NumVGPRsForWavesPerEU: 1
; Occupancy: 16
; WaveLimiterHint : 0
; COMPUTE_PGM_RSRC2:SCRATCH_EN: 0
; COMPUTE_PGM_RSRC2:USER_SGPR: 15
; COMPUTE_PGM_RSRC2:TRAP_HANDLER: 0
; COMPUTE_PGM_RSRC2:TGID_X_EN: 1
; COMPUTE_PGM_RSRC2:TGID_Y_EN: 0
; COMPUTE_PGM_RSRC2:TGID_Z_EN: 0
; COMPUTE_PGM_RSRC2:TIDIG_COMP_CNT: 0
	.section	.text._ZN7rocprim17ROCPRIM_400000_NS6detail17trampoline_kernelINS0_14default_configENS1_25transform_config_selectorIlLb0EEEZNS1_14transform_implILb0ES3_S5_NS0_18transform_iteratorINS0_17counting_iteratorImlEEZNS1_24adjacent_difference_implIS3_Lb1ELb0EPlSB_ZN2at6native12_GLOBAL__N_124unique_dim_cuda_templateIaEESt5tupleIJNSC_6TensorESH_SH_EERKSH_lbbbEUlllE1_EE10hipError_tPvRmT2_T3_mT4_P12ihipStream_tbEUlmE_lEESB_NS0_8identityIvEEEESM_SP_SQ_mSR_ST_bEUlT_E_NS1_11comp_targetILNS1_3genE5ELNS1_11target_archE942ELNS1_3gpuE9ELNS1_3repE0EEENS1_30default_config_static_selectorELNS0_4arch9wavefront6targetE0EEEvT1_,"axG",@progbits,_ZN7rocprim17ROCPRIM_400000_NS6detail17trampoline_kernelINS0_14default_configENS1_25transform_config_selectorIlLb0EEEZNS1_14transform_implILb0ES3_S5_NS0_18transform_iteratorINS0_17counting_iteratorImlEEZNS1_24adjacent_difference_implIS3_Lb1ELb0EPlSB_ZN2at6native12_GLOBAL__N_124unique_dim_cuda_templateIaEESt5tupleIJNSC_6TensorESH_SH_EERKSH_lbbbEUlllE1_EE10hipError_tPvRmT2_T3_mT4_P12ihipStream_tbEUlmE_lEESB_NS0_8identityIvEEEESM_SP_SQ_mSR_ST_bEUlT_E_NS1_11comp_targetILNS1_3genE5ELNS1_11target_archE942ELNS1_3gpuE9ELNS1_3repE0EEENS1_30default_config_static_selectorELNS0_4arch9wavefront6targetE0EEEvT1_,comdat
	.globl	_ZN7rocprim17ROCPRIM_400000_NS6detail17trampoline_kernelINS0_14default_configENS1_25transform_config_selectorIlLb0EEEZNS1_14transform_implILb0ES3_S5_NS0_18transform_iteratorINS0_17counting_iteratorImlEEZNS1_24adjacent_difference_implIS3_Lb1ELb0EPlSB_ZN2at6native12_GLOBAL__N_124unique_dim_cuda_templateIaEESt5tupleIJNSC_6TensorESH_SH_EERKSH_lbbbEUlllE1_EE10hipError_tPvRmT2_T3_mT4_P12ihipStream_tbEUlmE_lEESB_NS0_8identityIvEEEESM_SP_SQ_mSR_ST_bEUlT_E_NS1_11comp_targetILNS1_3genE5ELNS1_11target_archE942ELNS1_3gpuE9ELNS1_3repE0EEENS1_30default_config_static_selectorELNS0_4arch9wavefront6targetE0EEEvT1_ ; -- Begin function _ZN7rocprim17ROCPRIM_400000_NS6detail17trampoline_kernelINS0_14default_configENS1_25transform_config_selectorIlLb0EEEZNS1_14transform_implILb0ES3_S5_NS0_18transform_iteratorINS0_17counting_iteratorImlEEZNS1_24adjacent_difference_implIS3_Lb1ELb0EPlSB_ZN2at6native12_GLOBAL__N_124unique_dim_cuda_templateIaEESt5tupleIJNSC_6TensorESH_SH_EERKSH_lbbbEUlllE1_EE10hipError_tPvRmT2_T3_mT4_P12ihipStream_tbEUlmE_lEESB_NS0_8identityIvEEEESM_SP_SQ_mSR_ST_bEUlT_E_NS1_11comp_targetILNS1_3genE5ELNS1_11target_archE942ELNS1_3gpuE9ELNS1_3repE0EEENS1_30default_config_static_selectorELNS0_4arch9wavefront6targetE0EEEvT1_
	.p2align	8
	.type	_ZN7rocprim17ROCPRIM_400000_NS6detail17trampoline_kernelINS0_14default_configENS1_25transform_config_selectorIlLb0EEEZNS1_14transform_implILb0ES3_S5_NS0_18transform_iteratorINS0_17counting_iteratorImlEEZNS1_24adjacent_difference_implIS3_Lb1ELb0EPlSB_ZN2at6native12_GLOBAL__N_124unique_dim_cuda_templateIaEESt5tupleIJNSC_6TensorESH_SH_EERKSH_lbbbEUlllE1_EE10hipError_tPvRmT2_T3_mT4_P12ihipStream_tbEUlmE_lEESB_NS0_8identityIvEEEESM_SP_SQ_mSR_ST_bEUlT_E_NS1_11comp_targetILNS1_3genE5ELNS1_11target_archE942ELNS1_3gpuE9ELNS1_3repE0EEENS1_30default_config_static_selectorELNS0_4arch9wavefront6targetE0EEEvT1_,@function
_ZN7rocprim17ROCPRIM_400000_NS6detail17trampoline_kernelINS0_14default_configENS1_25transform_config_selectorIlLb0EEEZNS1_14transform_implILb0ES3_S5_NS0_18transform_iteratorINS0_17counting_iteratorImlEEZNS1_24adjacent_difference_implIS3_Lb1ELb0EPlSB_ZN2at6native12_GLOBAL__N_124unique_dim_cuda_templateIaEESt5tupleIJNSC_6TensorESH_SH_EERKSH_lbbbEUlllE1_EE10hipError_tPvRmT2_T3_mT4_P12ihipStream_tbEUlmE_lEESB_NS0_8identityIvEEEESM_SP_SQ_mSR_ST_bEUlT_E_NS1_11comp_targetILNS1_3genE5ELNS1_11target_archE942ELNS1_3gpuE9ELNS1_3repE0EEENS1_30default_config_static_selectorELNS0_4arch9wavefront6targetE0EEEvT1_: ; @_ZN7rocprim17ROCPRIM_400000_NS6detail17trampoline_kernelINS0_14default_configENS1_25transform_config_selectorIlLb0EEEZNS1_14transform_implILb0ES3_S5_NS0_18transform_iteratorINS0_17counting_iteratorImlEEZNS1_24adjacent_difference_implIS3_Lb1ELb0EPlSB_ZN2at6native12_GLOBAL__N_124unique_dim_cuda_templateIaEESt5tupleIJNSC_6TensorESH_SH_EERKSH_lbbbEUlllE1_EE10hipError_tPvRmT2_T3_mT4_P12ihipStream_tbEUlmE_lEESB_NS0_8identityIvEEEESM_SP_SQ_mSR_ST_bEUlT_E_NS1_11comp_targetILNS1_3genE5ELNS1_11target_archE942ELNS1_3gpuE9ELNS1_3repE0EEENS1_30default_config_static_selectorELNS0_4arch9wavefront6targetE0EEEvT1_
; %bb.0:
	.section	.rodata,"a",@progbits
	.p2align	6, 0x0
	.amdhsa_kernel _ZN7rocprim17ROCPRIM_400000_NS6detail17trampoline_kernelINS0_14default_configENS1_25transform_config_selectorIlLb0EEEZNS1_14transform_implILb0ES3_S5_NS0_18transform_iteratorINS0_17counting_iteratorImlEEZNS1_24adjacent_difference_implIS3_Lb1ELb0EPlSB_ZN2at6native12_GLOBAL__N_124unique_dim_cuda_templateIaEESt5tupleIJNSC_6TensorESH_SH_EERKSH_lbbbEUlllE1_EE10hipError_tPvRmT2_T3_mT4_P12ihipStream_tbEUlmE_lEESB_NS0_8identityIvEEEESM_SP_SQ_mSR_ST_bEUlT_E_NS1_11comp_targetILNS1_3genE5ELNS1_11target_archE942ELNS1_3gpuE9ELNS1_3repE0EEENS1_30default_config_static_selectorELNS0_4arch9wavefront6targetE0EEEvT1_
		.amdhsa_group_segment_fixed_size 0
		.amdhsa_private_segment_fixed_size 0
		.amdhsa_kernarg_size 56
		.amdhsa_user_sgpr_count 15
		.amdhsa_user_sgpr_dispatch_ptr 0
		.amdhsa_user_sgpr_queue_ptr 0
		.amdhsa_user_sgpr_kernarg_segment_ptr 1
		.amdhsa_user_sgpr_dispatch_id 0
		.amdhsa_user_sgpr_private_segment_size 0
		.amdhsa_wavefront_size32 1
		.amdhsa_uses_dynamic_stack 0
		.amdhsa_enable_private_segment 0
		.amdhsa_system_sgpr_workgroup_id_x 1
		.amdhsa_system_sgpr_workgroup_id_y 0
		.amdhsa_system_sgpr_workgroup_id_z 0
		.amdhsa_system_sgpr_workgroup_info 0
		.amdhsa_system_vgpr_workitem_id 0
		.amdhsa_next_free_vgpr 1
		.amdhsa_next_free_sgpr 1
		.amdhsa_reserve_vcc 0
		.amdhsa_float_round_mode_32 0
		.amdhsa_float_round_mode_16_64 0
		.amdhsa_float_denorm_mode_32 3
		.amdhsa_float_denorm_mode_16_64 3
		.amdhsa_dx10_clamp 1
		.amdhsa_ieee_mode 1
		.amdhsa_fp16_overflow 0
		.amdhsa_workgroup_processor_mode 1
		.amdhsa_memory_ordered 1
		.amdhsa_forward_progress 0
		.amdhsa_shared_vgpr_count 0
		.amdhsa_exception_fp_ieee_invalid_op 0
		.amdhsa_exception_fp_denorm_src 0
		.amdhsa_exception_fp_ieee_div_zero 0
		.amdhsa_exception_fp_ieee_overflow 0
		.amdhsa_exception_fp_ieee_underflow 0
		.amdhsa_exception_fp_ieee_inexact 0
		.amdhsa_exception_int_div_zero 0
	.end_amdhsa_kernel
	.section	.text._ZN7rocprim17ROCPRIM_400000_NS6detail17trampoline_kernelINS0_14default_configENS1_25transform_config_selectorIlLb0EEEZNS1_14transform_implILb0ES3_S5_NS0_18transform_iteratorINS0_17counting_iteratorImlEEZNS1_24adjacent_difference_implIS3_Lb1ELb0EPlSB_ZN2at6native12_GLOBAL__N_124unique_dim_cuda_templateIaEESt5tupleIJNSC_6TensorESH_SH_EERKSH_lbbbEUlllE1_EE10hipError_tPvRmT2_T3_mT4_P12ihipStream_tbEUlmE_lEESB_NS0_8identityIvEEEESM_SP_SQ_mSR_ST_bEUlT_E_NS1_11comp_targetILNS1_3genE5ELNS1_11target_archE942ELNS1_3gpuE9ELNS1_3repE0EEENS1_30default_config_static_selectorELNS0_4arch9wavefront6targetE0EEEvT1_,"axG",@progbits,_ZN7rocprim17ROCPRIM_400000_NS6detail17trampoline_kernelINS0_14default_configENS1_25transform_config_selectorIlLb0EEEZNS1_14transform_implILb0ES3_S5_NS0_18transform_iteratorINS0_17counting_iteratorImlEEZNS1_24adjacent_difference_implIS3_Lb1ELb0EPlSB_ZN2at6native12_GLOBAL__N_124unique_dim_cuda_templateIaEESt5tupleIJNSC_6TensorESH_SH_EERKSH_lbbbEUlllE1_EE10hipError_tPvRmT2_T3_mT4_P12ihipStream_tbEUlmE_lEESB_NS0_8identityIvEEEESM_SP_SQ_mSR_ST_bEUlT_E_NS1_11comp_targetILNS1_3genE5ELNS1_11target_archE942ELNS1_3gpuE9ELNS1_3repE0EEENS1_30default_config_static_selectorELNS0_4arch9wavefront6targetE0EEEvT1_,comdat
.Lfunc_end303:
	.size	_ZN7rocprim17ROCPRIM_400000_NS6detail17trampoline_kernelINS0_14default_configENS1_25transform_config_selectorIlLb0EEEZNS1_14transform_implILb0ES3_S5_NS0_18transform_iteratorINS0_17counting_iteratorImlEEZNS1_24adjacent_difference_implIS3_Lb1ELb0EPlSB_ZN2at6native12_GLOBAL__N_124unique_dim_cuda_templateIaEESt5tupleIJNSC_6TensorESH_SH_EERKSH_lbbbEUlllE1_EE10hipError_tPvRmT2_T3_mT4_P12ihipStream_tbEUlmE_lEESB_NS0_8identityIvEEEESM_SP_SQ_mSR_ST_bEUlT_E_NS1_11comp_targetILNS1_3genE5ELNS1_11target_archE942ELNS1_3gpuE9ELNS1_3repE0EEENS1_30default_config_static_selectorELNS0_4arch9wavefront6targetE0EEEvT1_, .Lfunc_end303-_ZN7rocprim17ROCPRIM_400000_NS6detail17trampoline_kernelINS0_14default_configENS1_25transform_config_selectorIlLb0EEEZNS1_14transform_implILb0ES3_S5_NS0_18transform_iteratorINS0_17counting_iteratorImlEEZNS1_24adjacent_difference_implIS3_Lb1ELb0EPlSB_ZN2at6native12_GLOBAL__N_124unique_dim_cuda_templateIaEESt5tupleIJNSC_6TensorESH_SH_EERKSH_lbbbEUlllE1_EE10hipError_tPvRmT2_T3_mT4_P12ihipStream_tbEUlmE_lEESB_NS0_8identityIvEEEESM_SP_SQ_mSR_ST_bEUlT_E_NS1_11comp_targetILNS1_3genE5ELNS1_11target_archE942ELNS1_3gpuE9ELNS1_3repE0EEENS1_30default_config_static_selectorELNS0_4arch9wavefront6targetE0EEEvT1_
                                        ; -- End function
	.section	.AMDGPU.csdata,"",@progbits
; Kernel info:
; codeLenInByte = 0
; NumSgprs: 0
; NumVgprs: 0
; ScratchSize: 0
; MemoryBound: 0
; FloatMode: 240
; IeeeMode: 1
; LDSByteSize: 0 bytes/workgroup (compile time only)
; SGPRBlocks: 0
; VGPRBlocks: 0
; NumSGPRsForWavesPerEU: 1
; NumVGPRsForWavesPerEU: 1
; Occupancy: 16
; WaveLimiterHint : 0
; COMPUTE_PGM_RSRC2:SCRATCH_EN: 0
; COMPUTE_PGM_RSRC2:USER_SGPR: 15
; COMPUTE_PGM_RSRC2:TRAP_HANDLER: 0
; COMPUTE_PGM_RSRC2:TGID_X_EN: 1
; COMPUTE_PGM_RSRC2:TGID_Y_EN: 0
; COMPUTE_PGM_RSRC2:TGID_Z_EN: 0
; COMPUTE_PGM_RSRC2:TIDIG_COMP_CNT: 0
	.section	.text._ZN7rocprim17ROCPRIM_400000_NS6detail17trampoline_kernelINS0_14default_configENS1_25transform_config_selectorIlLb0EEEZNS1_14transform_implILb0ES3_S5_NS0_18transform_iteratorINS0_17counting_iteratorImlEEZNS1_24adjacent_difference_implIS3_Lb1ELb0EPlSB_ZN2at6native12_GLOBAL__N_124unique_dim_cuda_templateIaEESt5tupleIJNSC_6TensorESH_SH_EERKSH_lbbbEUlllE1_EE10hipError_tPvRmT2_T3_mT4_P12ihipStream_tbEUlmE_lEESB_NS0_8identityIvEEEESM_SP_SQ_mSR_ST_bEUlT_E_NS1_11comp_targetILNS1_3genE4ELNS1_11target_archE910ELNS1_3gpuE8ELNS1_3repE0EEENS1_30default_config_static_selectorELNS0_4arch9wavefront6targetE0EEEvT1_,"axG",@progbits,_ZN7rocprim17ROCPRIM_400000_NS6detail17trampoline_kernelINS0_14default_configENS1_25transform_config_selectorIlLb0EEEZNS1_14transform_implILb0ES3_S5_NS0_18transform_iteratorINS0_17counting_iteratorImlEEZNS1_24adjacent_difference_implIS3_Lb1ELb0EPlSB_ZN2at6native12_GLOBAL__N_124unique_dim_cuda_templateIaEESt5tupleIJNSC_6TensorESH_SH_EERKSH_lbbbEUlllE1_EE10hipError_tPvRmT2_T3_mT4_P12ihipStream_tbEUlmE_lEESB_NS0_8identityIvEEEESM_SP_SQ_mSR_ST_bEUlT_E_NS1_11comp_targetILNS1_3genE4ELNS1_11target_archE910ELNS1_3gpuE8ELNS1_3repE0EEENS1_30default_config_static_selectorELNS0_4arch9wavefront6targetE0EEEvT1_,comdat
	.globl	_ZN7rocprim17ROCPRIM_400000_NS6detail17trampoline_kernelINS0_14default_configENS1_25transform_config_selectorIlLb0EEEZNS1_14transform_implILb0ES3_S5_NS0_18transform_iteratorINS0_17counting_iteratorImlEEZNS1_24adjacent_difference_implIS3_Lb1ELb0EPlSB_ZN2at6native12_GLOBAL__N_124unique_dim_cuda_templateIaEESt5tupleIJNSC_6TensorESH_SH_EERKSH_lbbbEUlllE1_EE10hipError_tPvRmT2_T3_mT4_P12ihipStream_tbEUlmE_lEESB_NS0_8identityIvEEEESM_SP_SQ_mSR_ST_bEUlT_E_NS1_11comp_targetILNS1_3genE4ELNS1_11target_archE910ELNS1_3gpuE8ELNS1_3repE0EEENS1_30default_config_static_selectorELNS0_4arch9wavefront6targetE0EEEvT1_ ; -- Begin function _ZN7rocprim17ROCPRIM_400000_NS6detail17trampoline_kernelINS0_14default_configENS1_25transform_config_selectorIlLb0EEEZNS1_14transform_implILb0ES3_S5_NS0_18transform_iteratorINS0_17counting_iteratorImlEEZNS1_24adjacent_difference_implIS3_Lb1ELb0EPlSB_ZN2at6native12_GLOBAL__N_124unique_dim_cuda_templateIaEESt5tupleIJNSC_6TensorESH_SH_EERKSH_lbbbEUlllE1_EE10hipError_tPvRmT2_T3_mT4_P12ihipStream_tbEUlmE_lEESB_NS0_8identityIvEEEESM_SP_SQ_mSR_ST_bEUlT_E_NS1_11comp_targetILNS1_3genE4ELNS1_11target_archE910ELNS1_3gpuE8ELNS1_3repE0EEENS1_30default_config_static_selectorELNS0_4arch9wavefront6targetE0EEEvT1_
	.p2align	8
	.type	_ZN7rocprim17ROCPRIM_400000_NS6detail17trampoline_kernelINS0_14default_configENS1_25transform_config_selectorIlLb0EEEZNS1_14transform_implILb0ES3_S5_NS0_18transform_iteratorINS0_17counting_iteratorImlEEZNS1_24adjacent_difference_implIS3_Lb1ELb0EPlSB_ZN2at6native12_GLOBAL__N_124unique_dim_cuda_templateIaEESt5tupleIJNSC_6TensorESH_SH_EERKSH_lbbbEUlllE1_EE10hipError_tPvRmT2_T3_mT4_P12ihipStream_tbEUlmE_lEESB_NS0_8identityIvEEEESM_SP_SQ_mSR_ST_bEUlT_E_NS1_11comp_targetILNS1_3genE4ELNS1_11target_archE910ELNS1_3gpuE8ELNS1_3repE0EEENS1_30default_config_static_selectorELNS0_4arch9wavefront6targetE0EEEvT1_,@function
_ZN7rocprim17ROCPRIM_400000_NS6detail17trampoline_kernelINS0_14default_configENS1_25transform_config_selectorIlLb0EEEZNS1_14transform_implILb0ES3_S5_NS0_18transform_iteratorINS0_17counting_iteratorImlEEZNS1_24adjacent_difference_implIS3_Lb1ELb0EPlSB_ZN2at6native12_GLOBAL__N_124unique_dim_cuda_templateIaEESt5tupleIJNSC_6TensorESH_SH_EERKSH_lbbbEUlllE1_EE10hipError_tPvRmT2_T3_mT4_P12ihipStream_tbEUlmE_lEESB_NS0_8identityIvEEEESM_SP_SQ_mSR_ST_bEUlT_E_NS1_11comp_targetILNS1_3genE4ELNS1_11target_archE910ELNS1_3gpuE8ELNS1_3repE0EEENS1_30default_config_static_selectorELNS0_4arch9wavefront6targetE0EEEvT1_: ; @_ZN7rocprim17ROCPRIM_400000_NS6detail17trampoline_kernelINS0_14default_configENS1_25transform_config_selectorIlLb0EEEZNS1_14transform_implILb0ES3_S5_NS0_18transform_iteratorINS0_17counting_iteratorImlEEZNS1_24adjacent_difference_implIS3_Lb1ELb0EPlSB_ZN2at6native12_GLOBAL__N_124unique_dim_cuda_templateIaEESt5tupleIJNSC_6TensorESH_SH_EERKSH_lbbbEUlllE1_EE10hipError_tPvRmT2_T3_mT4_P12ihipStream_tbEUlmE_lEESB_NS0_8identityIvEEEESM_SP_SQ_mSR_ST_bEUlT_E_NS1_11comp_targetILNS1_3genE4ELNS1_11target_archE910ELNS1_3gpuE8ELNS1_3repE0EEENS1_30default_config_static_selectorELNS0_4arch9wavefront6targetE0EEEvT1_
; %bb.0:
	.section	.rodata,"a",@progbits
	.p2align	6, 0x0
	.amdhsa_kernel _ZN7rocprim17ROCPRIM_400000_NS6detail17trampoline_kernelINS0_14default_configENS1_25transform_config_selectorIlLb0EEEZNS1_14transform_implILb0ES3_S5_NS0_18transform_iteratorINS0_17counting_iteratorImlEEZNS1_24adjacent_difference_implIS3_Lb1ELb0EPlSB_ZN2at6native12_GLOBAL__N_124unique_dim_cuda_templateIaEESt5tupleIJNSC_6TensorESH_SH_EERKSH_lbbbEUlllE1_EE10hipError_tPvRmT2_T3_mT4_P12ihipStream_tbEUlmE_lEESB_NS0_8identityIvEEEESM_SP_SQ_mSR_ST_bEUlT_E_NS1_11comp_targetILNS1_3genE4ELNS1_11target_archE910ELNS1_3gpuE8ELNS1_3repE0EEENS1_30default_config_static_selectorELNS0_4arch9wavefront6targetE0EEEvT1_
		.amdhsa_group_segment_fixed_size 0
		.amdhsa_private_segment_fixed_size 0
		.amdhsa_kernarg_size 56
		.amdhsa_user_sgpr_count 15
		.amdhsa_user_sgpr_dispatch_ptr 0
		.amdhsa_user_sgpr_queue_ptr 0
		.amdhsa_user_sgpr_kernarg_segment_ptr 1
		.amdhsa_user_sgpr_dispatch_id 0
		.amdhsa_user_sgpr_private_segment_size 0
		.amdhsa_wavefront_size32 1
		.amdhsa_uses_dynamic_stack 0
		.amdhsa_enable_private_segment 0
		.amdhsa_system_sgpr_workgroup_id_x 1
		.amdhsa_system_sgpr_workgroup_id_y 0
		.amdhsa_system_sgpr_workgroup_id_z 0
		.amdhsa_system_sgpr_workgroup_info 0
		.amdhsa_system_vgpr_workitem_id 0
		.amdhsa_next_free_vgpr 1
		.amdhsa_next_free_sgpr 1
		.amdhsa_reserve_vcc 0
		.amdhsa_float_round_mode_32 0
		.amdhsa_float_round_mode_16_64 0
		.amdhsa_float_denorm_mode_32 3
		.amdhsa_float_denorm_mode_16_64 3
		.amdhsa_dx10_clamp 1
		.amdhsa_ieee_mode 1
		.amdhsa_fp16_overflow 0
		.amdhsa_workgroup_processor_mode 1
		.amdhsa_memory_ordered 1
		.amdhsa_forward_progress 0
		.amdhsa_shared_vgpr_count 0
		.amdhsa_exception_fp_ieee_invalid_op 0
		.amdhsa_exception_fp_denorm_src 0
		.amdhsa_exception_fp_ieee_div_zero 0
		.amdhsa_exception_fp_ieee_overflow 0
		.amdhsa_exception_fp_ieee_underflow 0
		.amdhsa_exception_fp_ieee_inexact 0
		.amdhsa_exception_int_div_zero 0
	.end_amdhsa_kernel
	.section	.text._ZN7rocprim17ROCPRIM_400000_NS6detail17trampoline_kernelINS0_14default_configENS1_25transform_config_selectorIlLb0EEEZNS1_14transform_implILb0ES3_S5_NS0_18transform_iteratorINS0_17counting_iteratorImlEEZNS1_24adjacent_difference_implIS3_Lb1ELb0EPlSB_ZN2at6native12_GLOBAL__N_124unique_dim_cuda_templateIaEESt5tupleIJNSC_6TensorESH_SH_EERKSH_lbbbEUlllE1_EE10hipError_tPvRmT2_T3_mT4_P12ihipStream_tbEUlmE_lEESB_NS0_8identityIvEEEESM_SP_SQ_mSR_ST_bEUlT_E_NS1_11comp_targetILNS1_3genE4ELNS1_11target_archE910ELNS1_3gpuE8ELNS1_3repE0EEENS1_30default_config_static_selectorELNS0_4arch9wavefront6targetE0EEEvT1_,"axG",@progbits,_ZN7rocprim17ROCPRIM_400000_NS6detail17trampoline_kernelINS0_14default_configENS1_25transform_config_selectorIlLb0EEEZNS1_14transform_implILb0ES3_S5_NS0_18transform_iteratorINS0_17counting_iteratorImlEEZNS1_24adjacent_difference_implIS3_Lb1ELb0EPlSB_ZN2at6native12_GLOBAL__N_124unique_dim_cuda_templateIaEESt5tupleIJNSC_6TensorESH_SH_EERKSH_lbbbEUlllE1_EE10hipError_tPvRmT2_T3_mT4_P12ihipStream_tbEUlmE_lEESB_NS0_8identityIvEEEESM_SP_SQ_mSR_ST_bEUlT_E_NS1_11comp_targetILNS1_3genE4ELNS1_11target_archE910ELNS1_3gpuE8ELNS1_3repE0EEENS1_30default_config_static_selectorELNS0_4arch9wavefront6targetE0EEEvT1_,comdat
.Lfunc_end304:
	.size	_ZN7rocprim17ROCPRIM_400000_NS6detail17trampoline_kernelINS0_14default_configENS1_25transform_config_selectorIlLb0EEEZNS1_14transform_implILb0ES3_S5_NS0_18transform_iteratorINS0_17counting_iteratorImlEEZNS1_24adjacent_difference_implIS3_Lb1ELb0EPlSB_ZN2at6native12_GLOBAL__N_124unique_dim_cuda_templateIaEESt5tupleIJNSC_6TensorESH_SH_EERKSH_lbbbEUlllE1_EE10hipError_tPvRmT2_T3_mT4_P12ihipStream_tbEUlmE_lEESB_NS0_8identityIvEEEESM_SP_SQ_mSR_ST_bEUlT_E_NS1_11comp_targetILNS1_3genE4ELNS1_11target_archE910ELNS1_3gpuE8ELNS1_3repE0EEENS1_30default_config_static_selectorELNS0_4arch9wavefront6targetE0EEEvT1_, .Lfunc_end304-_ZN7rocprim17ROCPRIM_400000_NS6detail17trampoline_kernelINS0_14default_configENS1_25transform_config_selectorIlLb0EEEZNS1_14transform_implILb0ES3_S5_NS0_18transform_iteratorINS0_17counting_iteratorImlEEZNS1_24adjacent_difference_implIS3_Lb1ELb0EPlSB_ZN2at6native12_GLOBAL__N_124unique_dim_cuda_templateIaEESt5tupleIJNSC_6TensorESH_SH_EERKSH_lbbbEUlllE1_EE10hipError_tPvRmT2_T3_mT4_P12ihipStream_tbEUlmE_lEESB_NS0_8identityIvEEEESM_SP_SQ_mSR_ST_bEUlT_E_NS1_11comp_targetILNS1_3genE4ELNS1_11target_archE910ELNS1_3gpuE8ELNS1_3repE0EEENS1_30default_config_static_selectorELNS0_4arch9wavefront6targetE0EEEvT1_
                                        ; -- End function
	.section	.AMDGPU.csdata,"",@progbits
; Kernel info:
; codeLenInByte = 0
; NumSgprs: 0
; NumVgprs: 0
; ScratchSize: 0
; MemoryBound: 0
; FloatMode: 240
; IeeeMode: 1
; LDSByteSize: 0 bytes/workgroup (compile time only)
; SGPRBlocks: 0
; VGPRBlocks: 0
; NumSGPRsForWavesPerEU: 1
; NumVGPRsForWavesPerEU: 1
; Occupancy: 16
; WaveLimiterHint : 0
; COMPUTE_PGM_RSRC2:SCRATCH_EN: 0
; COMPUTE_PGM_RSRC2:USER_SGPR: 15
; COMPUTE_PGM_RSRC2:TRAP_HANDLER: 0
; COMPUTE_PGM_RSRC2:TGID_X_EN: 1
; COMPUTE_PGM_RSRC2:TGID_Y_EN: 0
; COMPUTE_PGM_RSRC2:TGID_Z_EN: 0
; COMPUTE_PGM_RSRC2:TIDIG_COMP_CNT: 0
	.section	.text._ZN7rocprim17ROCPRIM_400000_NS6detail17trampoline_kernelINS0_14default_configENS1_25transform_config_selectorIlLb0EEEZNS1_14transform_implILb0ES3_S5_NS0_18transform_iteratorINS0_17counting_iteratorImlEEZNS1_24adjacent_difference_implIS3_Lb1ELb0EPlSB_ZN2at6native12_GLOBAL__N_124unique_dim_cuda_templateIaEESt5tupleIJNSC_6TensorESH_SH_EERKSH_lbbbEUlllE1_EE10hipError_tPvRmT2_T3_mT4_P12ihipStream_tbEUlmE_lEESB_NS0_8identityIvEEEESM_SP_SQ_mSR_ST_bEUlT_E_NS1_11comp_targetILNS1_3genE3ELNS1_11target_archE908ELNS1_3gpuE7ELNS1_3repE0EEENS1_30default_config_static_selectorELNS0_4arch9wavefront6targetE0EEEvT1_,"axG",@progbits,_ZN7rocprim17ROCPRIM_400000_NS6detail17trampoline_kernelINS0_14default_configENS1_25transform_config_selectorIlLb0EEEZNS1_14transform_implILb0ES3_S5_NS0_18transform_iteratorINS0_17counting_iteratorImlEEZNS1_24adjacent_difference_implIS3_Lb1ELb0EPlSB_ZN2at6native12_GLOBAL__N_124unique_dim_cuda_templateIaEESt5tupleIJNSC_6TensorESH_SH_EERKSH_lbbbEUlllE1_EE10hipError_tPvRmT2_T3_mT4_P12ihipStream_tbEUlmE_lEESB_NS0_8identityIvEEEESM_SP_SQ_mSR_ST_bEUlT_E_NS1_11comp_targetILNS1_3genE3ELNS1_11target_archE908ELNS1_3gpuE7ELNS1_3repE0EEENS1_30default_config_static_selectorELNS0_4arch9wavefront6targetE0EEEvT1_,comdat
	.globl	_ZN7rocprim17ROCPRIM_400000_NS6detail17trampoline_kernelINS0_14default_configENS1_25transform_config_selectorIlLb0EEEZNS1_14transform_implILb0ES3_S5_NS0_18transform_iteratorINS0_17counting_iteratorImlEEZNS1_24adjacent_difference_implIS3_Lb1ELb0EPlSB_ZN2at6native12_GLOBAL__N_124unique_dim_cuda_templateIaEESt5tupleIJNSC_6TensorESH_SH_EERKSH_lbbbEUlllE1_EE10hipError_tPvRmT2_T3_mT4_P12ihipStream_tbEUlmE_lEESB_NS0_8identityIvEEEESM_SP_SQ_mSR_ST_bEUlT_E_NS1_11comp_targetILNS1_3genE3ELNS1_11target_archE908ELNS1_3gpuE7ELNS1_3repE0EEENS1_30default_config_static_selectorELNS0_4arch9wavefront6targetE0EEEvT1_ ; -- Begin function _ZN7rocprim17ROCPRIM_400000_NS6detail17trampoline_kernelINS0_14default_configENS1_25transform_config_selectorIlLb0EEEZNS1_14transform_implILb0ES3_S5_NS0_18transform_iteratorINS0_17counting_iteratorImlEEZNS1_24adjacent_difference_implIS3_Lb1ELb0EPlSB_ZN2at6native12_GLOBAL__N_124unique_dim_cuda_templateIaEESt5tupleIJNSC_6TensorESH_SH_EERKSH_lbbbEUlllE1_EE10hipError_tPvRmT2_T3_mT4_P12ihipStream_tbEUlmE_lEESB_NS0_8identityIvEEEESM_SP_SQ_mSR_ST_bEUlT_E_NS1_11comp_targetILNS1_3genE3ELNS1_11target_archE908ELNS1_3gpuE7ELNS1_3repE0EEENS1_30default_config_static_selectorELNS0_4arch9wavefront6targetE0EEEvT1_
	.p2align	8
	.type	_ZN7rocprim17ROCPRIM_400000_NS6detail17trampoline_kernelINS0_14default_configENS1_25transform_config_selectorIlLb0EEEZNS1_14transform_implILb0ES3_S5_NS0_18transform_iteratorINS0_17counting_iteratorImlEEZNS1_24adjacent_difference_implIS3_Lb1ELb0EPlSB_ZN2at6native12_GLOBAL__N_124unique_dim_cuda_templateIaEESt5tupleIJNSC_6TensorESH_SH_EERKSH_lbbbEUlllE1_EE10hipError_tPvRmT2_T3_mT4_P12ihipStream_tbEUlmE_lEESB_NS0_8identityIvEEEESM_SP_SQ_mSR_ST_bEUlT_E_NS1_11comp_targetILNS1_3genE3ELNS1_11target_archE908ELNS1_3gpuE7ELNS1_3repE0EEENS1_30default_config_static_selectorELNS0_4arch9wavefront6targetE0EEEvT1_,@function
_ZN7rocprim17ROCPRIM_400000_NS6detail17trampoline_kernelINS0_14default_configENS1_25transform_config_selectorIlLb0EEEZNS1_14transform_implILb0ES3_S5_NS0_18transform_iteratorINS0_17counting_iteratorImlEEZNS1_24adjacent_difference_implIS3_Lb1ELb0EPlSB_ZN2at6native12_GLOBAL__N_124unique_dim_cuda_templateIaEESt5tupleIJNSC_6TensorESH_SH_EERKSH_lbbbEUlllE1_EE10hipError_tPvRmT2_T3_mT4_P12ihipStream_tbEUlmE_lEESB_NS0_8identityIvEEEESM_SP_SQ_mSR_ST_bEUlT_E_NS1_11comp_targetILNS1_3genE3ELNS1_11target_archE908ELNS1_3gpuE7ELNS1_3repE0EEENS1_30default_config_static_selectorELNS0_4arch9wavefront6targetE0EEEvT1_: ; @_ZN7rocprim17ROCPRIM_400000_NS6detail17trampoline_kernelINS0_14default_configENS1_25transform_config_selectorIlLb0EEEZNS1_14transform_implILb0ES3_S5_NS0_18transform_iteratorINS0_17counting_iteratorImlEEZNS1_24adjacent_difference_implIS3_Lb1ELb0EPlSB_ZN2at6native12_GLOBAL__N_124unique_dim_cuda_templateIaEESt5tupleIJNSC_6TensorESH_SH_EERKSH_lbbbEUlllE1_EE10hipError_tPvRmT2_T3_mT4_P12ihipStream_tbEUlmE_lEESB_NS0_8identityIvEEEESM_SP_SQ_mSR_ST_bEUlT_E_NS1_11comp_targetILNS1_3genE3ELNS1_11target_archE908ELNS1_3gpuE7ELNS1_3repE0EEENS1_30default_config_static_selectorELNS0_4arch9wavefront6targetE0EEEvT1_
; %bb.0:
	.section	.rodata,"a",@progbits
	.p2align	6, 0x0
	.amdhsa_kernel _ZN7rocprim17ROCPRIM_400000_NS6detail17trampoline_kernelINS0_14default_configENS1_25transform_config_selectorIlLb0EEEZNS1_14transform_implILb0ES3_S5_NS0_18transform_iteratorINS0_17counting_iteratorImlEEZNS1_24adjacent_difference_implIS3_Lb1ELb0EPlSB_ZN2at6native12_GLOBAL__N_124unique_dim_cuda_templateIaEESt5tupleIJNSC_6TensorESH_SH_EERKSH_lbbbEUlllE1_EE10hipError_tPvRmT2_T3_mT4_P12ihipStream_tbEUlmE_lEESB_NS0_8identityIvEEEESM_SP_SQ_mSR_ST_bEUlT_E_NS1_11comp_targetILNS1_3genE3ELNS1_11target_archE908ELNS1_3gpuE7ELNS1_3repE0EEENS1_30default_config_static_selectorELNS0_4arch9wavefront6targetE0EEEvT1_
		.amdhsa_group_segment_fixed_size 0
		.amdhsa_private_segment_fixed_size 0
		.amdhsa_kernarg_size 56
		.amdhsa_user_sgpr_count 15
		.amdhsa_user_sgpr_dispatch_ptr 0
		.amdhsa_user_sgpr_queue_ptr 0
		.amdhsa_user_sgpr_kernarg_segment_ptr 1
		.amdhsa_user_sgpr_dispatch_id 0
		.amdhsa_user_sgpr_private_segment_size 0
		.amdhsa_wavefront_size32 1
		.amdhsa_uses_dynamic_stack 0
		.amdhsa_enable_private_segment 0
		.amdhsa_system_sgpr_workgroup_id_x 1
		.amdhsa_system_sgpr_workgroup_id_y 0
		.amdhsa_system_sgpr_workgroup_id_z 0
		.amdhsa_system_sgpr_workgroup_info 0
		.amdhsa_system_vgpr_workitem_id 0
		.amdhsa_next_free_vgpr 1
		.amdhsa_next_free_sgpr 1
		.amdhsa_reserve_vcc 0
		.amdhsa_float_round_mode_32 0
		.amdhsa_float_round_mode_16_64 0
		.amdhsa_float_denorm_mode_32 3
		.amdhsa_float_denorm_mode_16_64 3
		.amdhsa_dx10_clamp 1
		.amdhsa_ieee_mode 1
		.amdhsa_fp16_overflow 0
		.amdhsa_workgroup_processor_mode 1
		.amdhsa_memory_ordered 1
		.amdhsa_forward_progress 0
		.amdhsa_shared_vgpr_count 0
		.amdhsa_exception_fp_ieee_invalid_op 0
		.amdhsa_exception_fp_denorm_src 0
		.amdhsa_exception_fp_ieee_div_zero 0
		.amdhsa_exception_fp_ieee_overflow 0
		.amdhsa_exception_fp_ieee_underflow 0
		.amdhsa_exception_fp_ieee_inexact 0
		.amdhsa_exception_int_div_zero 0
	.end_amdhsa_kernel
	.section	.text._ZN7rocprim17ROCPRIM_400000_NS6detail17trampoline_kernelINS0_14default_configENS1_25transform_config_selectorIlLb0EEEZNS1_14transform_implILb0ES3_S5_NS0_18transform_iteratorINS0_17counting_iteratorImlEEZNS1_24adjacent_difference_implIS3_Lb1ELb0EPlSB_ZN2at6native12_GLOBAL__N_124unique_dim_cuda_templateIaEESt5tupleIJNSC_6TensorESH_SH_EERKSH_lbbbEUlllE1_EE10hipError_tPvRmT2_T3_mT4_P12ihipStream_tbEUlmE_lEESB_NS0_8identityIvEEEESM_SP_SQ_mSR_ST_bEUlT_E_NS1_11comp_targetILNS1_3genE3ELNS1_11target_archE908ELNS1_3gpuE7ELNS1_3repE0EEENS1_30default_config_static_selectorELNS0_4arch9wavefront6targetE0EEEvT1_,"axG",@progbits,_ZN7rocprim17ROCPRIM_400000_NS6detail17trampoline_kernelINS0_14default_configENS1_25transform_config_selectorIlLb0EEEZNS1_14transform_implILb0ES3_S5_NS0_18transform_iteratorINS0_17counting_iteratorImlEEZNS1_24adjacent_difference_implIS3_Lb1ELb0EPlSB_ZN2at6native12_GLOBAL__N_124unique_dim_cuda_templateIaEESt5tupleIJNSC_6TensorESH_SH_EERKSH_lbbbEUlllE1_EE10hipError_tPvRmT2_T3_mT4_P12ihipStream_tbEUlmE_lEESB_NS0_8identityIvEEEESM_SP_SQ_mSR_ST_bEUlT_E_NS1_11comp_targetILNS1_3genE3ELNS1_11target_archE908ELNS1_3gpuE7ELNS1_3repE0EEENS1_30default_config_static_selectorELNS0_4arch9wavefront6targetE0EEEvT1_,comdat
.Lfunc_end305:
	.size	_ZN7rocprim17ROCPRIM_400000_NS6detail17trampoline_kernelINS0_14default_configENS1_25transform_config_selectorIlLb0EEEZNS1_14transform_implILb0ES3_S5_NS0_18transform_iteratorINS0_17counting_iteratorImlEEZNS1_24adjacent_difference_implIS3_Lb1ELb0EPlSB_ZN2at6native12_GLOBAL__N_124unique_dim_cuda_templateIaEESt5tupleIJNSC_6TensorESH_SH_EERKSH_lbbbEUlllE1_EE10hipError_tPvRmT2_T3_mT4_P12ihipStream_tbEUlmE_lEESB_NS0_8identityIvEEEESM_SP_SQ_mSR_ST_bEUlT_E_NS1_11comp_targetILNS1_3genE3ELNS1_11target_archE908ELNS1_3gpuE7ELNS1_3repE0EEENS1_30default_config_static_selectorELNS0_4arch9wavefront6targetE0EEEvT1_, .Lfunc_end305-_ZN7rocprim17ROCPRIM_400000_NS6detail17trampoline_kernelINS0_14default_configENS1_25transform_config_selectorIlLb0EEEZNS1_14transform_implILb0ES3_S5_NS0_18transform_iteratorINS0_17counting_iteratorImlEEZNS1_24adjacent_difference_implIS3_Lb1ELb0EPlSB_ZN2at6native12_GLOBAL__N_124unique_dim_cuda_templateIaEESt5tupleIJNSC_6TensorESH_SH_EERKSH_lbbbEUlllE1_EE10hipError_tPvRmT2_T3_mT4_P12ihipStream_tbEUlmE_lEESB_NS0_8identityIvEEEESM_SP_SQ_mSR_ST_bEUlT_E_NS1_11comp_targetILNS1_3genE3ELNS1_11target_archE908ELNS1_3gpuE7ELNS1_3repE0EEENS1_30default_config_static_selectorELNS0_4arch9wavefront6targetE0EEEvT1_
                                        ; -- End function
	.section	.AMDGPU.csdata,"",@progbits
; Kernel info:
; codeLenInByte = 0
; NumSgprs: 0
; NumVgprs: 0
; ScratchSize: 0
; MemoryBound: 0
; FloatMode: 240
; IeeeMode: 1
; LDSByteSize: 0 bytes/workgroup (compile time only)
; SGPRBlocks: 0
; VGPRBlocks: 0
; NumSGPRsForWavesPerEU: 1
; NumVGPRsForWavesPerEU: 1
; Occupancy: 16
; WaveLimiterHint : 0
; COMPUTE_PGM_RSRC2:SCRATCH_EN: 0
; COMPUTE_PGM_RSRC2:USER_SGPR: 15
; COMPUTE_PGM_RSRC2:TRAP_HANDLER: 0
; COMPUTE_PGM_RSRC2:TGID_X_EN: 1
; COMPUTE_PGM_RSRC2:TGID_Y_EN: 0
; COMPUTE_PGM_RSRC2:TGID_Z_EN: 0
; COMPUTE_PGM_RSRC2:TIDIG_COMP_CNT: 0
	.section	.text._ZN7rocprim17ROCPRIM_400000_NS6detail17trampoline_kernelINS0_14default_configENS1_25transform_config_selectorIlLb0EEEZNS1_14transform_implILb0ES3_S5_NS0_18transform_iteratorINS0_17counting_iteratorImlEEZNS1_24adjacent_difference_implIS3_Lb1ELb0EPlSB_ZN2at6native12_GLOBAL__N_124unique_dim_cuda_templateIaEESt5tupleIJNSC_6TensorESH_SH_EERKSH_lbbbEUlllE1_EE10hipError_tPvRmT2_T3_mT4_P12ihipStream_tbEUlmE_lEESB_NS0_8identityIvEEEESM_SP_SQ_mSR_ST_bEUlT_E_NS1_11comp_targetILNS1_3genE2ELNS1_11target_archE906ELNS1_3gpuE6ELNS1_3repE0EEENS1_30default_config_static_selectorELNS0_4arch9wavefront6targetE0EEEvT1_,"axG",@progbits,_ZN7rocprim17ROCPRIM_400000_NS6detail17trampoline_kernelINS0_14default_configENS1_25transform_config_selectorIlLb0EEEZNS1_14transform_implILb0ES3_S5_NS0_18transform_iteratorINS0_17counting_iteratorImlEEZNS1_24adjacent_difference_implIS3_Lb1ELb0EPlSB_ZN2at6native12_GLOBAL__N_124unique_dim_cuda_templateIaEESt5tupleIJNSC_6TensorESH_SH_EERKSH_lbbbEUlllE1_EE10hipError_tPvRmT2_T3_mT4_P12ihipStream_tbEUlmE_lEESB_NS0_8identityIvEEEESM_SP_SQ_mSR_ST_bEUlT_E_NS1_11comp_targetILNS1_3genE2ELNS1_11target_archE906ELNS1_3gpuE6ELNS1_3repE0EEENS1_30default_config_static_selectorELNS0_4arch9wavefront6targetE0EEEvT1_,comdat
	.globl	_ZN7rocprim17ROCPRIM_400000_NS6detail17trampoline_kernelINS0_14default_configENS1_25transform_config_selectorIlLb0EEEZNS1_14transform_implILb0ES3_S5_NS0_18transform_iteratorINS0_17counting_iteratorImlEEZNS1_24adjacent_difference_implIS3_Lb1ELb0EPlSB_ZN2at6native12_GLOBAL__N_124unique_dim_cuda_templateIaEESt5tupleIJNSC_6TensorESH_SH_EERKSH_lbbbEUlllE1_EE10hipError_tPvRmT2_T3_mT4_P12ihipStream_tbEUlmE_lEESB_NS0_8identityIvEEEESM_SP_SQ_mSR_ST_bEUlT_E_NS1_11comp_targetILNS1_3genE2ELNS1_11target_archE906ELNS1_3gpuE6ELNS1_3repE0EEENS1_30default_config_static_selectorELNS0_4arch9wavefront6targetE0EEEvT1_ ; -- Begin function _ZN7rocprim17ROCPRIM_400000_NS6detail17trampoline_kernelINS0_14default_configENS1_25transform_config_selectorIlLb0EEEZNS1_14transform_implILb0ES3_S5_NS0_18transform_iteratorINS0_17counting_iteratorImlEEZNS1_24adjacent_difference_implIS3_Lb1ELb0EPlSB_ZN2at6native12_GLOBAL__N_124unique_dim_cuda_templateIaEESt5tupleIJNSC_6TensorESH_SH_EERKSH_lbbbEUlllE1_EE10hipError_tPvRmT2_T3_mT4_P12ihipStream_tbEUlmE_lEESB_NS0_8identityIvEEEESM_SP_SQ_mSR_ST_bEUlT_E_NS1_11comp_targetILNS1_3genE2ELNS1_11target_archE906ELNS1_3gpuE6ELNS1_3repE0EEENS1_30default_config_static_selectorELNS0_4arch9wavefront6targetE0EEEvT1_
	.p2align	8
	.type	_ZN7rocprim17ROCPRIM_400000_NS6detail17trampoline_kernelINS0_14default_configENS1_25transform_config_selectorIlLb0EEEZNS1_14transform_implILb0ES3_S5_NS0_18transform_iteratorINS0_17counting_iteratorImlEEZNS1_24adjacent_difference_implIS3_Lb1ELb0EPlSB_ZN2at6native12_GLOBAL__N_124unique_dim_cuda_templateIaEESt5tupleIJNSC_6TensorESH_SH_EERKSH_lbbbEUlllE1_EE10hipError_tPvRmT2_T3_mT4_P12ihipStream_tbEUlmE_lEESB_NS0_8identityIvEEEESM_SP_SQ_mSR_ST_bEUlT_E_NS1_11comp_targetILNS1_3genE2ELNS1_11target_archE906ELNS1_3gpuE6ELNS1_3repE0EEENS1_30default_config_static_selectorELNS0_4arch9wavefront6targetE0EEEvT1_,@function
_ZN7rocprim17ROCPRIM_400000_NS6detail17trampoline_kernelINS0_14default_configENS1_25transform_config_selectorIlLb0EEEZNS1_14transform_implILb0ES3_S5_NS0_18transform_iteratorINS0_17counting_iteratorImlEEZNS1_24adjacent_difference_implIS3_Lb1ELb0EPlSB_ZN2at6native12_GLOBAL__N_124unique_dim_cuda_templateIaEESt5tupleIJNSC_6TensorESH_SH_EERKSH_lbbbEUlllE1_EE10hipError_tPvRmT2_T3_mT4_P12ihipStream_tbEUlmE_lEESB_NS0_8identityIvEEEESM_SP_SQ_mSR_ST_bEUlT_E_NS1_11comp_targetILNS1_3genE2ELNS1_11target_archE906ELNS1_3gpuE6ELNS1_3repE0EEENS1_30default_config_static_selectorELNS0_4arch9wavefront6targetE0EEEvT1_: ; @_ZN7rocprim17ROCPRIM_400000_NS6detail17trampoline_kernelINS0_14default_configENS1_25transform_config_selectorIlLb0EEEZNS1_14transform_implILb0ES3_S5_NS0_18transform_iteratorINS0_17counting_iteratorImlEEZNS1_24adjacent_difference_implIS3_Lb1ELb0EPlSB_ZN2at6native12_GLOBAL__N_124unique_dim_cuda_templateIaEESt5tupleIJNSC_6TensorESH_SH_EERKSH_lbbbEUlllE1_EE10hipError_tPvRmT2_T3_mT4_P12ihipStream_tbEUlmE_lEESB_NS0_8identityIvEEEESM_SP_SQ_mSR_ST_bEUlT_E_NS1_11comp_targetILNS1_3genE2ELNS1_11target_archE906ELNS1_3gpuE6ELNS1_3repE0EEENS1_30default_config_static_selectorELNS0_4arch9wavefront6targetE0EEEvT1_
; %bb.0:
	.section	.rodata,"a",@progbits
	.p2align	6, 0x0
	.amdhsa_kernel _ZN7rocprim17ROCPRIM_400000_NS6detail17trampoline_kernelINS0_14default_configENS1_25transform_config_selectorIlLb0EEEZNS1_14transform_implILb0ES3_S5_NS0_18transform_iteratorINS0_17counting_iteratorImlEEZNS1_24adjacent_difference_implIS3_Lb1ELb0EPlSB_ZN2at6native12_GLOBAL__N_124unique_dim_cuda_templateIaEESt5tupleIJNSC_6TensorESH_SH_EERKSH_lbbbEUlllE1_EE10hipError_tPvRmT2_T3_mT4_P12ihipStream_tbEUlmE_lEESB_NS0_8identityIvEEEESM_SP_SQ_mSR_ST_bEUlT_E_NS1_11comp_targetILNS1_3genE2ELNS1_11target_archE906ELNS1_3gpuE6ELNS1_3repE0EEENS1_30default_config_static_selectorELNS0_4arch9wavefront6targetE0EEEvT1_
		.amdhsa_group_segment_fixed_size 0
		.amdhsa_private_segment_fixed_size 0
		.amdhsa_kernarg_size 56
		.amdhsa_user_sgpr_count 15
		.amdhsa_user_sgpr_dispatch_ptr 0
		.amdhsa_user_sgpr_queue_ptr 0
		.amdhsa_user_sgpr_kernarg_segment_ptr 1
		.amdhsa_user_sgpr_dispatch_id 0
		.amdhsa_user_sgpr_private_segment_size 0
		.amdhsa_wavefront_size32 1
		.amdhsa_uses_dynamic_stack 0
		.amdhsa_enable_private_segment 0
		.amdhsa_system_sgpr_workgroup_id_x 1
		.amdhsa_system_sgpr_workgroup_id_y 0
		.amdhsa_system_sgpr_workgroup_id_z 0
		.amdhsa_system_sgpr_workgroup_info 0
		.amdhsa_system_vgpr_workitem_id 0
		.amdhsa_next_free_vgpr 1
		.amdhsa_next_free_sgpr 1
		.amdhsa_reserve_vcc 0
		.amdhsa_float_round_mode_32 0
		.amdhsa_float_round_mode_16_64 0
		.amdhsa_float_denorm_mode_32 3
		.amdhsa_float_denorm_mode_16_64 3
		.amdhsa_dx10_clamp 1
		.amdhsa_ieee_mode 1
		.amdhsa_fp16_overflow 0
		.amdhsa_workgroup_processor_mode 1
		.amdhsa_memory_ordered 1
		.amdhsa_forward_progress 0
		.amdhsa_shared_vgpr_count 0
		.amdhsa_exception_fp_ieee_invalid_op 0
		.amdhsa_exception_fp_denorm_src 0
		.amdhsa_exception_fp_ieee_div_zero 0
		.amdhsa_exception_fp_ieee_overflow 0
		.amdhsa_exception_fp_ieee_underflow 0
		.amdhsa_exception_fp_ieee_inexact 0
		.amdhsa_exception_int_div_zero 0
	.end_amdhsa_kernel
	.section	.text._ZN7rocprim17ROCPRIM_400000_NS6detail17trampoline_kernelINS0_14default_configENS1_25transform_config_selectorIlLb0EEEZNS1_14transform_implILb0ES3_S5_NS0_18transform_iteratorINS0_17counting_iteratorImlEEZNS1_24adjacent_difference_implIS3_Lb1ELb0EPlSB_ZN2at6native12_GLOBAL__N_124unique_dim_cuda_templateIaEESt5tupleIJNSC_6TensorESH_SH_EERKSH_lbbbEUlllE1_EE10hipError_tPvRmT2_T3_mT4_P12ihipStream_tbEUlmE_lEESB_NS0_8identityIvEEEESM_SP_SQ_mSR_ST_bEUlT_E_NS1_11comp_targetILNS1_3genE2ELNS1_11target_archE906ELNS1_3gpuE6ELNS1_3repE0EEENS1_30default_config_static_selectorELNS0_4arch9wavefront6targetE0EEEvT1_,"axG",@progbits,_ZN7rocprim17ROCPRIM_400000_NS6detail17trampoline_kernelINS0_14default_configENS1_25transform_config_selectorIlLb0EEEZNS1_14transform_implILb0ES3_S5_NS0_18transform_iteratorINS0_17counting_iteratorImlEEZNS1_24adjacent_difference_implIS3_Lb1ELb0EPlSB_ZN2at6native12_GLOBAL__N_124unique_dim_cuda_templateIaEESt5tupleIJNSC_6TensorESH_SH_EERKSH_lbbbEUlllE1_EE10hipError_tPvRmT2_T3_mT4_P12ihipStream_tbEUlmE_lEESB_NS0_8identityIvEEEESM_SP_SQ_mSR_ST_bEUlT_E_NS1_11comp_targetILNS1_3genE2ELNS1_11target_archE906ELNS1_3gpuE6ELNS1_3repE0EEENS1_30default_config_static_selectorELNS0_4arch9wavefront6targetE0EEEvT1_,comdat
.Lfunc_end306:
	.size	_ZN7rocprim17ROCPRIM_400000_NS6detail17trampoline_kernelINS0_14default_configENS1_25transform_config_selectorIlLb0EEEZNS1_14transform_implILb0ES3_S5_NS0_18transform_iteratorINS0_17counting_iteratorImlEEZNS1_24adjacent_difference_implIS3_Lb1ELb0EPlSB_ZN2at6native12_GLOBAL__N_124unique_dim_cuda_templateIaEESt5tupleIJNSC_6TensorESH_SH_EERKSH_lbbbEUlllE1_EE10hipError_tPvRmT2_T3_mT4_P12ihipStream_tbEUlmE_lEESB_NS0_8identityIvEEEESM_SP_SQ_mSR_ST_bEUlT_E_NS1_11comp_targetILNS1_3genE2ELNS1_11target_archE906ELNS1_3gpuE6ELNS1_3repE0EEENS1_30default_config_static_selectorELNS0_4arch9wavefront6targetE0EEEvT1_, .Lfunc_end306-_ZN7rocprim17ROCPRIM_400000_NS6detail17trampoline_kernelINS0_14default_configENS1_25transform_config_selectorIlLb0EEEZNS1_14transform_implILb0ES3_S5_NS0_18transform_iteratorINS0_17counting_iteratorImlEEZNS1_24adjacent_difference_implIS3_Lb1ELb0EPlSB_ZN2at6native12_GLOBAL__N_124unique_dim_cuda_templateIaEESt5tupleIJNSC_6TensorESH_SH_EERKSH_lbbbEUlllE1_EE10hipError_tPvRmT2_T3_mT4_P12ihipStream_tbEUlmE_lEESB_NS0_8identityIvEEEESM_SP_SQ_mSR_ST_bEUlT_E_NS1_11comp_targetILNS1_3genE2ELNS1_11target_archE906ELNS1_3gpuE6ELNS1_3repE0EEENS1_30default_config_static_selectorELNS0_4arch9wavefront6targetE0EEEvT1_
                                        ; -- End function
	.section	.AMDGPU.csdata,"",@progbits
; Kernel info:
; codeLenInByte = 0
; NumSgprs: 0
; NumVgprs: 0
; ScratchSize: 0
; MemoryBound: 0
; FloatMode: 240
; IeeeMode: 1
; LDSByteSize: 0 bytes/workgroup (compile time only)
; SGPRBlocks: 0
; VGPRBlocks: 0
; NumSGPRsForWavesPerEU: 1
; NumVGPRsForWavesPerEU: 1
; Occupancy: 16
; WaveLimiterHint : 0
; COMPUTE_PGM_RSRC2:SCRATCH_EN: 0
; COMPUTE_PGM_RSRC2:USER_SGPR: 15
; COMPUTE_PGM_RSRC2:TRAP_HANDLER: 0
; COMPUTE_PGM_RSRC2:TGID_X_EN: 1
; COMPUTE_PGM_RSRC2:TGID_Y_EN: 0
; COMPUTE_PGM_RSRC2:TGID_Z_EN: 0
; COMPUTE_PGM_RSRC2:TIDIG_COMP_CNT: 0
	.section	.text._ZN7rocprim17ROCPRIM_400000_NS6detail17trampoline_kernelINS0_14default_configENS1_25transform_config_selectorIlLb0EEEZNS1_14transform_implILb0ES3_S5_NS0_18transform_iteratorINS0_17counting_iteratorImlEEZNS1_24adjacent_difference_implIS3_Lb1ELb0EPlSB_ZN2at6native12_GLOBAL__N_124unique_dim_cuda_templateIaEESt5tupleIJNSC_6TensorESH_SH_EERKSH_lbbbEUlllE1_EE10hipError_tPvRmT2_T3_mT4_P12ihipStream_tbEUlmE_lEESB_NS0_8identityIvEEEESM_SP_SQ_mSR_ST_bEUlT_E_NS1_11comp_targetILNS1_3genE10ELNS1_11target_archE1201ELNS1_3gpuE5ELNS1_3repE0EEENS1_30default_config_static_selectorELNS0_4arch9wavefront6targetE0EEEvT1_,"axG",@progbits,_ZN7rocprim17ROCPRIM_400000_NS6detail17trampoline_kernelINS0_14default_configENS1_25transform_config_selectorIlLb0EEEZNS1_14transform_implILb0ES3_S5_NS0_18transform_iteratorINS0_17counting_iteratorImlEEZNS1_24adjacent_difference_implIS3_Lb1ELb0EPlSB_ZN2at6native12_GLOBAL__N_124unique_dim_cuda_templateIaEESt5tupleIJNSC_6TensorESH_SH_EERKSH_lbbbEUlllE1_EE10hipError_tPvRmT2_T3_mT4_P12ihipStream_tbEUlmE_lEESB_NS0_8identityIvEEEESM_SP_SQ_mSR_ST_bEUlT_E_NS1_11comp_targetILNS1_3genE10ELNS1_11target_archE1201ELNS1_3gpuE5ELNS1_3repE0EEENS1_30default_config_static_selectorELNS0_4arch9wavefront6targetE0EEEvT1_,comdat
	.globl	_ZN7rocprim17ROCPRIM_400000_NS6detail17trampoline_kernelINS0_14default_configENS1_25transform_config_selectorIlLb0EEEZNS1_14transform_implILb0ES3_S5_NS0_18transform_iteratorINS0_17counting_iteratorImlEEZNS1_24adjacent_difference_implIS3_Lb1ELb0EPlSB_ZN2at6native12_GLOBAL__N_124unique_dim_cuda_templateIaEESt5tupleIJNSC_6TensorESH_SH_EERKSH_lbbbEUlllE1_EE10hipError_tPvRmT2_T3_mT4_P12ihipStream_tbEUlmE_lEESB_NS0_8identityIvEEEESM_SP_SQ_mSR_ST_bEUlT_E_NS1_11comp_targetILNS1_3genE10ELNS1_11target_archE1201ELNS1_3gpuE5ELNS1_3repE0EEENS1_30default_config_static_selectorELNS0_4arch9wavefront6targetE0EEEvT1_ ; -- Begin function _ZN7rocprim17ROCPRIM_400000_NS6detail17trampoline_kernelINS0_14default_configENS1_25transform_config_selectorIlLb0EEEZNS1_14transform_implILb0ES3_S5_NS0_18transform_iteratorINS0_17counting_iteratorImlEEZNS1_24adjacent_difference_implIS3_Lb1ELb0EPlSB_ZN2at6native12_GLOBAL__N_124unique_dim_cuda_templateIaEESt5tupleIJNSC_6TensorESH_SH_EERKSH_lbbbEUlllE1_EE10hipError_tPvRmT2_T3_mT4_P12ihipStream_tbEUlmE_lEESB_NS0_8identityIvEEEESM_SP_SQ_mSR_ST_bEUlT_E_NS1_11comp_targetILNS1_3genE10ELNS1_11target_archE1201ELNS1_3gpuE5ELNS1_3repE0EEENS1_30default_config_static_selectorELNS0_4arch9wavefront6targetE0EEEvT1_
	.p2align	8
	.type	_ZN7rocprim17ROCPRIM_400000_NS6detail17trampoline_kernelINS0_14default_configENS1_25transform_config_selectorIlLb0EEEZNS1_14transform_implILb0ES3_S5_NS0_18transform_iteratorINS0_17counting_iteratorImlEEZNS1_24adjacent_difference_implIS3_Lb1ELb0EPlSB_ZN2at6native12_GLOBAL__N_124unique_dim_cuda_templateIaEESt5tupleIJNSC_6TensorESH_SH_EERKSH_lbbbEUlllE1_EE10hipError_tPvRmT2_T3_mT4_P12ihipStream_tbEUlmE_lEESB_NS0_8identityIvEEEESM_SP_SQ_mSR_ST_bEUlT_E_NS1_11comp_targetILNS1_3genE10ELNS1_11target_archE1201ELNS1_3gpuE5ELNS1_3repE0EEENS1_30default_config_static_selectorELNS0_4arch9wavefront6targetE0EEEvT1_,@function
_ZN7rocprim17ROCPRIM_400000_NS6detail17trampoline_kernelINS0_14default_configENS1_25transform_config_selectorIlLb0EEEZNS1_14transform_implILb0ES3_S5_NS0_18transform_iteratorINS0_17counting_iteratorImlEEZNS1_24adjacent_difference_implIS3_Lb1ELb0EPlSB_ZN2at6native12_GLOBAL__N_124unique_dim_cuda_templateIaEESt5tupleIJNSC_6TensorESH_SH_EERKSH_lbbbEUlllE1_EE10hipError_tPvRmT2_T3_mT4_P12ihipStream_tbEUlmE_lEESB_NS0_8identityIvEEEESM_SP_SQ_mSR_ST_bEUlT_E_NS1_11comp_targetILNS1_3genE10ELNS1_11target_archE1201ELNS1_3gpuE5ELNS1_3repE0EEENS1_30default_config_static_selectorELNS0_4arch9wavefront6targetE0EEEvT1_: ; @_ZN7rocprim17ROCPRIM_400000_NS6detail17trampoline_kernelINS0_14default_configENS1_25transform_config_selectorIlLb0EEEZNS1_14transform_implILb0ES3_S5_NS0_18transform_iteratorINS0_17counting_iteratorImlEEZNS1_24adjacent_difference_implIS3_Lb1ELb0EPlSB_ZN2at6native12_GLOBAL__N_124unique_dim_cuda_templateIaEESt5tupleIJNSC_6TensorESH_SH_EERKSH_lbbbEUlllE1_EE10hipError_tPvRmT2_T3_mT4_P12ihipStream_tbEUlmE_lEESB_NS0_8identityIvEEEESM_SP_SQ_mSR_ST_bEUlT_E_NS1_11comp_targetILNS1_3genE10ELNS1_11target_archE1201ELNS1_3gpuE5ELNS1_3repE0EEENS1_30default_config_static_selectorELNS0_4arch9wavefront6targetE0EEEvT1_
; %bb.0:
	.section	.rodata,"a",@progbits
	.p2align	6, 0x0
	.amdhsa_kernel _ZN7rocprim17ROCPRIM_400000_NS6detail17trampoline_kernelINS0_14default_configENS1_25transform_config_selectorIlLb0EEEZNS1_14transform_implILb0ES3_S5_NS0_18transform_iteratorINS0_17counting_iteratorImlEEZNS1_24adjacent_difference_implIS3_Lb1ELb0EPlSB_ZN2at6native12_GLOBAL__N_124unique_dim_cuda_templateIaEESt5tupleIJNSC_6TensorESH_SH_EERKSH_lbbbEUlllE1_EE10hipError_tPvRmT2_T3_mT4_P12ihipStream_tbEUlmE_lEESB_NS0_8identityIvEEEESM_SP_SQ_mSR_ST_bEUlT_E_NS1_11comp_targetILNS1_3genE10ELNS1_11target_archE1201ELNS1_3gpuE5ELNS1_3repE0EEENS1_30default_config_static_selectorELNS0_4arch9wavefront6targetE0EEEvT1_
		.amdhsa_group_segment_fixed_size 0
		.amdhsa_private_segment_fixed_size 0
		.amdhsa_kernarg_size 56
		.amdhsa_user_sgpr_count 15
		.amdhsa_user_sgpr_dispatch_ptr 0
		.amdhsa_user_sgpr_queue_ptr 0
		.amdhsa_user_sgpr_kernarg_segment_ptr 1
		.amdhsa_user_sgpr_dispatch_id 0
		.amdhsa_user_sgpr_private_segment_size 0
		.amdhsa_wavefront_size32 1
		.amdhsa_uses_dynamic_stack 0
		.amdhsa_enable_private_segment 0
		.amdhsa_system_sgpr_workgroup_id_x 1
		.amdhsa_system_sgpr_workgroup_id_y 0
		.amdhsa_system_sgpr_workgroup_id_z 0
		.amdhsa_system_sgpr_workgroup_info 0
		.amdhsa_system_vgpr_workitem_id 0
		.amdhsa_next_free_vgpr 1
		.amdhsa_next_free_sgpr 1
		.amdhsa_reserve_vcc 0
		.amdhsa_float_round_mode_32 0
		.amdhsa_float_round_mode_16_64 0
		.amdhsa_float_denorm_mode_32 3
		.amdhsa_float_denorm_mode_16_64 3
		.amdhsa_dx10_clamp 1
		.amdhsa_ieee_mode 1
		.amdhsa_fp16_overflow 0
		.amdhsa_workgroup_processor_mode 1
		.amdhsa_memory_ordered 1
		.amdhsa_forward_progress 0
		.amdhsa_shared_vgpr_count 0
		.amdhsa_exception_fp_ieee_invalid_op 0
		.amdhsa_exception_fp_denorm_src 0
		.amdhsa_exception_fp_ieee_div_zero 0
		.amdhsa_exception_fp_ieee_overflow 0
		.amdhsa_exception_fp_ieee_underflow 0
		.amdhsa_exception_fp_ieee_inexact 0
		.amdhsa_exception_int_div_zero 0
	.end_amdhsa_kernel
	.section	.text._ZN7rocprim17ROCPRIM_400000_NS6detail17trampoline_kernelINS0_14default_configENS1_25transform_config_selectorIlLb0EEEZNS1_14transform_implILb0ES3_S5_NS0_18transform_iteratorINS0_17counting_iteratorImlEEZNS1_24adjacent_difference_implIS3_Lb1ELb0EPlSB_ZN2at6native12_GLOBAL__N_124unique_dim_cuda_templateIaEESt5tupleIJNSC_6TensorESH_SH_EERKSH_lbbbEUlllE1_EE10hipError_tPvRmT2_T3_mT4_P12ihipStream_tbEUlmE_lEESB_NS0_8identityIvEEEESM_SP_SQ_mSR_ST_bEUlT_E_NS1_11comp_targetILNS1_3genE10ELNS1_11target_archE1201ELNS1_3gpuE5ELNS1_3repE0EEENS1_30default_config_static_selectorELNS0_4arch9wavefront6targetE0EEEvT1_,"axG",@progbits,_ZN7rocprim17ROCPRIM_400000_NS6detail17trampoline_kernelINS0_14default_configENS1_25transform_config_selectorIlLb0EEEZNS1_14transform_implILb0ES3_S5_NS0_18transform_iteratorINS0_17counting_iteratorImlEEZNS1_24adjacent_difference_implIS3_Lb1ELb0EPlSB_ZN2at6native12_GLOBAL__N_124unique_dim_cuda_templateIaEESt5tupleIJNSC_6TensorESH_SH_EERKSH_lbbbEUlllE1_EE10hipError_tPvRmT2_T3_mT4_P12ihipStream_tbEUlmE_lEESB_NS0_8identityIvEEEESM_SP_SQ_mSR_ST_bEUlT_E_NS1_11comp_targetILNS1_3genE10ELNS1_11target_archE1201ELNS1_3gpuE5ELNS1_3repE0EEENS1_30default_config_static_selectorELNS0_4arch9wavefront6targetE0EEEvT1_,comdat
.Lfunc_end307:
	.size	_ZN7rocprim17ROCPRIM_400000_NS6detail17trampoline_kernelINS0_14default_configENS1_25transform_config_selectorIlLb0EEEZNS1_14transform_implILb0ES3_S5_NS0_18transform_iteratorINS0_17counting_iteratorImlEEZNS1_24adjacent_difference_implIS3_Lb1ELb0EPlSB_ZN2at6native12_GLOBAL__N_124unique_dim_cuda_templateIaEESt5tupleIJNSC_6TensorESH_SH_EERKSH_lbbbEUlllE1_EE10hipError_tPvRmT2_T3_mT4_P12ihipStream_tbEUlmE_lEESB_NS0_8identityIvEEEESM_SP_SQ_mSR_ST_bEUlT_E_NS1_11comp_targetILNS1_3genE10ELNS1_11target_archE1201ELNS1_3gpuE5ELNS1_3repE0EEENS1_30default_config_static_selectorELNS0_4arch9wavefront6targetE0EEEvT1_, .Lfunc_end307-_ZN7rocprim17ROCPRIM_400000_NS6detail17trampoline_kernelINS0_14default_configENS1_25transform_config_selectorIlLb0EEEZNS1_14transform_implILb0ES3_S5_NS0_18transform_iteratorINS0_17counting_iteratorImlEEZNS1_24adjacent_difference_implIS3_Lb1ELb0EPlSB_ZN2at6native12_GLOBAL__N_124unique_dim_cuda_templateIaEESt5tupleIJNSC_6TensorESH_SH_EERKSH_lbbbEUlllE1_EE10hipError_tPvRmT2_T3_mT4_P12ihipStream_tbEUlmE_lEESB_NS0_8identityIvEEEESM_SP_SQ_mSR_ST_bEUlT_E_NS1_11comp_targetILNS1_3genE10ELNS1_11target_archE1201ELNS1_3gpuE5ELNS1_3repE0EEENS1_30default_config_static_selectorELNS0_4arch9wavefront6targetE0EEEvT1_
                                        ; -- End function
	.section	.AMDGPU.csdata,"",@progbits
; Kernel info:
; codeLenInByte = 0
; NumSgprs: 0
; NumVgprs: 0
; ScratchSize: 0
; MemoryBound: 0
; FloatMode: 240
; IeeeMode: 1
; LDSByteSize: 0 bytes/workgroup (compile time only)
; SGPRBlocks: 0
; VGPRBlocks: 0
; NumSGPRsForWavesPerEU: 1
; NumVGPRsForWavesPerEU: 1
; Occupancy: 16
; WaveLimiterHint : 0
; COMPUTE_PGM_RSRC2:SCRATCH_EN: 0
; COMPUTE_PGM_RSRC2:USER_SGPR: 15
; COMPUTE_PGM_RSRC2:TRAP_HANDLER: 0
; COMPUTE_PGM_RSRC2:TGID_X_EN: 1
; COMPUTE_PGM_RSRC2:TGID_Y_EN: 0
; COMPUTE_PGM_RSRC2:TGID_Z_EN: 0
; COMPUTE_PGM_RSRC2:TIDIG_COMP_CNT: 0
	.section	.text._ZN7rocprim17ROCPRIM_400000_NS6detail17trampoline_kernelINS0_14default_configENS1_25transform_config_selectorIlLb0EEEZNS1_14transform_implILb0ES3_S5_NS0_18transform_iteratorINS0_17counting_iteratorImlEEZNS1_24adjacent_difference_implIS3_Lb1ELb0EPlSB_ZN2at6native12_GLOBAL__N_124unique_dim_cuda_templateIaEESt5tupleIJNSC_6TensorESH_SH_EERKSH_lbbbEUlllE1_EE10hipError_tPvRmT2_T3_mT4_P12ihipStream_tbEUlmE_lEESB_NS0_8identityIvEEEESM_SP_SQ_mSR_ST_bEUlT_E_NS1_11comp_targetILNS1_3genE10ELNS1_11target_archE1200ELNS1_3gpuE4ELNS1_3repE0EEENS1_30default_config_static_selectorELNS0_4arch9wavefront6targetE0EEEvT1_,"axG",@progbits,_ZN7rocprim17ROCPRIM_400000_NS6detail17trampoline_kernelINS0_14default_configENS1_25transform_config_selectorIlLb0EEEZNS1_14transform_implILb0ES3_S5_NS0_18transform_iteratorINS0_17counting_iteratorImlEEZNS1_24adjacent_difference_implIS3_Lb1ELb0EPlSB_ZN2at6native12_GLOBAL__N_124unique_dim_cuda_templateIaEESt5tupleIJNSC_6TensorESH_SH_EERKSH_lbbbEUlllE1_EE10hipError_tPvRmT2_T3_mT4_P12ihipStream_tbEUlmE_lEESB_NS0_8identityIvEEEESM_SP_SQ_mSR_ST_bEUlT_E_NS1_11comp_targetILNS1_3genE10ELNS1_11target_archE1200ELNS1_3gpuE4ELNS1_3repE0EEENS1_30default_config_static_selectorELNS0_4arch9wavefront6targetE0EEEvT1_,comdat
	.globl	_ZN7rocprim17ROCPRIM_400000_NS6detail17trampoline_kernelINS0_14default_configENS1_25transform_config_selectorIlLb0EEEZNS1_14transform_implILb0ES3_S5_NS0_18transform_iteratorINS0_17counting_iteratorImlEEZNS1_24adjacent_difference_implIS3_Lb1ELb0EPlSB_ZN2at6native12_GLOBAL__N_124unique_dim_cuda_templateIaEESt5tupleIJNSC_6TensorESH_SH_EERKSH_lbbbEUlllE1_EE10hipError_tPvRmT2_T3_mT4_P12ihipStream_tbEUlmE_lEESB_NS0_8identityIvEEEESM_SP_SQ_mSR_ST_bEUlT_E_NS1_11comp_targetILNS1_3genE10ELNS1_11target_archE1200ELNS1_3gpuE4ELNS1_3repE0EEENS1_30default_config_static_selectorELNS0_4arch9wavefront6targetE0EEEvT1_ ; -- Begin function _ZN7rocprim17ROCPRIM_400000_NS6detail17trampoline_kernelINS0_14default_configENS1_25transform_config_selectorIlLb0EEEZNS1_14transform_implILb0ES3_S5_NS0_18transform_iteratorINS0_17counting_iteratorImlEEZNS1_24adjacent_difference_implIS3_Lb1ELb0EPlSB_ZN2at6native12_GLOBAL__N_124unique_dim_cuda_templateIaEESt5tupleIJNSC_6TensorESH_SH_EERKSH_lbbbEUlllE1_EE10hipError_tPvRmT2_T3_mT4_P12ihipStream_tbEUlmE_lEESB_NS0_8identityIvEEEESM_SP_SQ_mSR_ST_bEUlT_E_NS1_11comp_targetILNS1_3genE10ELNS1_11target_archE1200ELNS1_3gpuE4ELNS1_3repE0EEENS1_30default_config_static_selectorELNS0_4arch9wavefront6targetE0EEEvT1_
	.p2align	8
	.type	_ZN7rocprim17ROCPRIM_400000_NS6detail17trampoline_kernelINS0_14default_configENS1_25transform_config_selectorIlLb0EEEZNS1_14transform_implILb0ES3_S5_NS0_18transform_iteratorINS0_17counting_iteratorImlEEZNS1_24adjacent_difference_implIS3_Lb1ELb0EPlSB_ZN2at6native12_GLOBAL__N_124unique_dim_cuda_templateIaEESt5tupleIJNSC_6TensorESH_SH_EERKSH_lbbbEUlllE1_EE10hipError_tPvRmT2_T3_mT4_P12ihipStream_tbEUlmE_lEESB_NS0_8identityIvEEEESM_SP_SQ_mSR_ST_bEUlT_E_NS1_11comp_targetILNS1_3genE10ELNS1_11target_archE1200ELNS1_3gpuE4ELNS1_3repE0EEENS1_30default_config_static_selectorELNS0_4arch9wavefront6targetE0EEEvT1_,@function
_ZN7rocprim17ROCPRIM_400000_NS6detail17trampoline_kernelINS0_14default_configENS1_25transform_config_selectorIlLb0EEEZNS1_14transform_implILb0ES3_S5_NS0_18transform_iteratorINS0_17counting_iteratorImlEEZNS1_24adjacent_difference_implIS3_Lb1ELb0EPlSB_ZN2at6native12_GLOBAL__N_124unique_dim_cuda_templateIaEESt5tupleIJNSC_6TensorESH_SH_EERKSH_lbbbEUlllE1_EE10hipError_tPvRmT2_T3_mT4_P12ihipStream_tbEUlmE_lEESB_NS0_8identityIvEEEESM_SP_SQ_mSR_ST_bEUlT_E_NS1_11comp_targetILNS1_3genE10ELNS1_11target_archE1200ELNS1_3gpuE4ELNS1_3repE0EEENS1_30default_config_static_selectorELNS0_4arch9wavefront6targetE0EEEvT1_: ; @_ZN7rocprim17ROCPRIM_400000_NS6detail17trampoline_kernelINS0_14default_configENS1_25transform_config_selectorIlLb0EEEZNS1_14transform_implILb0ES3_S5_NS0_18transform_iteratorINS0_17counting_iteratorImlEEZNS1_24adjacent_difference_implIS3_Lb1ELb0EPlSB_ZN2at6native12_GLOBAL__N_124unique_dim_cuda_templateIaEESt5tupleIJNSC_6TensorESH_SH_EERKSH_lbbbEUlllE1_EE10hipError_tPvRmT2_T3_mT4_P12ihipStream_tbEUlmE_lEESB_NS0_8identityIvEEEESM_SP_SQ_mSR_ST_bEUlT_E_NS1_11comp_targetILNS1_3genE10ELNS1_11target_archE1200ELNS1_3gpuE4ELNS1_3repE0EEENS1_30default_config_static_selectorELNS0_4arch9wavefront6targetE0EEEvT1_
; %bb.0:
	.section	.rodata,"a",@progbits
	.p2align	6, 0x0
	.amdhsa_kernel _ZN7rocprim17ROCPRIM_400000_NS6detail17trampoline_kernelINS0_14default_configENS1_25transform_config_selectorIlLb0EEEZNS1_14transform_implILb0ES3_S5_NS0_18transform_iteratorINS0_17counting_iteratorImlEEZNS1_24adjacent_difference_implIS3_Lb1ELb0EPlSB_ZN2at6native12_GLOBAL__N_124unique_dim_cuda_templateIaEESt5tupleIJNSC_6TensorESH_SH_EERKSH_lbbbEUlllE1_EE10hipError_tPvRmT2_T3_mT4_P12ihipStream_tbEUlmE_lEESB_NS0_8identityIvEEEESM_SP_SQ_mSR_ST_bEUlT_E_NS1_11comp_targetILNS1_3genE10ELNS1_11target_archE1200ELNS1_3gpuE4ELNS1_3repE0EEENS1_30default_config_static_selectorELNS0_4arch9wavefront6targetE0EEEvT1_
		.amdhsa_group_segment_fixed_size 0
		.amdhsa_private_segment_fixed_size 0
		.amdhsa_kernarg_size 56
		.amdhsa_user_sgpr_count 15
		.amdhsa_user_sgpr_dispatch_ptr 0
		.amdhsa_user_sgpr_queue_ptr 0
		.amdhsa_user_sgpr_kernarg_segment_ptr 1
		.amdhsa_user_sgpr_dispatch_id 0
		.amdhsa_user_sgpr_private_segment_size 0
		.amdhsa_wavefront_size32 1
		.amdhsa_uses_dynamic_stack 0
		.amdhsa_enable_private_segment 0
		.amdhsa_system_sgpr_workgroup_id_x 1
		.amdhsa_system_sgpr_workgroup_id_y 0
		.amdhsa_system_sgpr_workgroup_id_z 0
		.amdhsa_system_sgpr_workgroup_info 0
		.amdhsa_system_vgpr_workitem_id 0
		.amdhsa_next_free_vgpr 1
		.amdhsa_next_free_sgpr 1
		.amdhsa_reserve_vcc 0
		.amdhsa_float_round_mode_32 0
		.amdhsa_float_round_mode_16_64 0
		.amdhsa_float_denorm_mode_32 3
		.amdhsa_float_denorm_mode_16_64 3
		.amdhsa_dx10_clamp 1
		.amdhsa_ieee_mode 1
		.amdhsa_fp16_overflow 0
		.amdhsa_workgroup_processor_mode 1
		.amdhsa_memory_ordered 1
		.amdhsa_forward_progress 0
		.amdhsa_shared_vgpr_count 0
		.amdhsa_exception_fp_ieee_invalid_op 0
		.amdhsa_exception_fp_denorm_src 0
		.amdhsa_exception_fp_ieee_div_zero 0
		.amdhsa_exception_fp_ieee_overflow 0
		.amdhsa_exception_fp_ieee_underflow 0
		.amdhsa_exception_fp_ieee_inexact 0
		.amdhsa_exception_int_div_zero 0
	.end_amdhsa_kernel
	.section	.text._ZN7rocprim17ROCPRIM_400000_NS6detail17trampoline_kernelINS0_14default_configENS1_25transform_config_selectorIlLb0EEEZNS1_14transform_implILb0ES3_S5_NS0_18transform_iteratorINS0_17counting_iteratorImlEEZNS1_24adjacent_difference_implIS3_Lb1ELb0EPlSB_ZN2at6native12_GLOBAL__N_124unique_dim_cuda_templateIaEESt5tupleIJNSC_6TensorESH_SH_EERKSH_lbbbEUlllE1_EE10hipError_tPvRmT2_T3_mT4_P12ihipStream_tbEUlmE_lEESB_NS0_8identityIvEEEESM_SP_SQ_mSR_ST_bEUlT_E_NS1_11comp_targetILNS1_3genE10ELNS1_11target_archE1200ELNS1_3gpuE4ELNS1_3repE0EEENS1_30default_config_static_selectorELNS0_4arch9wavefront6targetE0EEEvT1_,"axG",@progbits,_ZN7rocprim17ROCPRIM_400000_NS6detail17trampoline_kernelINS0_14default_configENS1_25transform_config_selectorIlLb0EEEZNS1_14transform_implILb0ES3_S5_NS0_18transform_iteratorINS0_17counting_iteratorImlEEZNS1_24adjacent_difference_implIS3_Lb1ELb0EPlSB_ZN2at6native12_GLOBAL__N_124unique_dim_cuda_templateIaEESt5tupleIJNSC_6TensorESH_SH_EERKSH_lbbbEUlllE1_EE10hipError_tPvRmT2_T3_mT4_P12ihipStream_tbEUlmE_lEESB_NS0_8identityIvEEEESM_SP_SQ_mSR_ST_bEUlT_E_NS1_11comp_targetILNS1_3genE10ELNS1_11target_archE1200ELNS1_3gpuE4ELNS1_3repE0EEENS1_30default_config_static_selectorELNS0_4arch9wavefront6targetE0EEEvT1_,comdat
.Lfunc_end308:
	.size	_ZN7rocprim17ROCPRIM_400000_NS6detail17trampoline_kernelINS0_14default_configENS1_25transform_config_selectorIlLb0EEEZNS1_14transform_implILb0ES3_S5_NS0_18transform_iteratorINS0_17counting_iteratorImlEEZNS1_24adjacent_difference_implIS3_Lb1ELb0EPlSB_ZN2at6native12_GLOBAL__N_124unique_dim_cuda_templateIaEESt5tupleIJNSC_6TensorESH_SH_EERKSH_lbbbEUlllE1_EE10hipError_tPvRmT2_T3_mT4_P12ihipStream_tbEUlmE_lEESB_NS0_8identityIvEEEESM_SP_SQ_mSR_ST_bEUlT_E_NS1_11comp_targetILNS1_3genE10ELNS1_11target_archE1200ELNS1_3gpuE4ELNS1_3repE0EEENS1_30default_config_static_selectorELNS0_4arch9wavefront6targetE0EEEvT1_, .Lfunc_end308-_ZN7rocprim17ROCPRIM_400000_NS6detail17trampoline_kernelINS0_14default_configENS1_25transform_config_selectorIlLb0EEEZNS1_14transform_implILb0ES3_S5_NS0_18transform_iteratorINS0_17counting_iteratorImlEEZNS1_24adjacent_difference_implIS3_Lb1ELb0EPlSB_ZN2at6native12_GLOBAL__N_124unique_dim_cuda_templateIaEESt5tupleIJNSC_6TensorESH_SH_EERKSH_lbbbEUlllE1_EE10hipError_tPvRmT2_T3_mT4_P12ihipStream_tbEUlmE_lEESB_NS0_8identityIvEEEESM_SP_SQ_mSR_ST_bEUlT_E_NS1_11comp_targetILNS1_3genE10ELNS1_11target_archE1200ELNS1_3gpuE4ELNS1_3repE0EEENS1_30default_config_static_selectorELNS0_4arch9wavefront6targetE0EEEvT1_
                                        ; -- End function
	.section	.AMDGPU.csdata,"",@progbits
; Kernel info:
; codeLenInByte = 0
; NumSgprs: 0
; NumVgprs: 0
; ScratchSize: 0
; MemoryBound: 0
; FloatMode: 240
; IeeeMode: 1
; LDSByteSize: 0 bytes/workgroup (compile time only)
; SGPRBlocks: 0
; VGPRBlocks: 0
; NumSGPRsForWavesPerEU: 1
; NumVGPRsForWavesPerEU: 1
; Occupancy: 16
; WaveLimiterHint : 0
; COMPUTE_PGM_RSRC2:SCRATCH_EN: 0
; COMPUTE_PGM_RSRC2:USER_SGPR: 15
; COMPUTE_PGM_RSRC2:TRAP_HANDLER: 0
; COMPUTE_PGM_RSRC2:TGID_X_EN: 1
; COMPUTE_PGM_RSRC2:TGID_Y_EN: 0
; COMPUTE_PGM_RSRC2:TGID_Z_EN: 0
; COMPUTE_PGM_RSRC2:TIDIG_COMP_CNT: 0
	.section	.text._ZN7rocprim17ROCPRIM_400000_NS6detail17trampoline_kernelINS0_14default_configENS1_25transform_config_selectorIlLb0EEEZNS1_14transform_implILb0ES3_S5_NS0_18transform_iteratorINS0_17counting_iteratorImlEEZNS1_24adjacent_difference_implIS3_Lb1ELb0EPlSB_ZN2at6native12_GLOBAL__N_124unique_dim_cuda_templateIaEESt5tupleIJNSC_6TensorESH_SH_EERKSH_lbbbEUlllE1_EE10hipError_tPvRmT2_T3_mT4_P12ihipStream_tbEUlmE_lEESB_NS0_8identityIvEEEESM_SP_SQ_mSR_ST_bEUlT_E_NS1_11comp_targetILNS1_3genE9ELNS1_11target_archE1100ELNS1_3gpuE3ELNS1_3repE0EEENS1_30default_config_static_selectorELNS0_4arch9wavefront6targetE0EEEvT1_,"axG",@progbits,_ZN7rocprim17ROCPRIM_400000_NS6detail17trampoline_kernelINS0_14default_configENS1_25transform_config_selectorIlLb0EEEZNS1_14transform_implILb0ES3_S5_NS0_18transform_iteratorINS0_17counting_iteratorImlEEZNS1_24adjacent_difference_implIS3_Lb1ELb0EPlSB_ZN2at6native12_GLOBAL__N_124unique_dim_cuda_templateIaEESt5tupleIJNSC_6TensorESH_SH_EERKSH_lbbbEUlllE1_EE10hipError_tPvRmT2_T3_mT4_P12ihipStream_tbEUlmE_lEESB_NS0_8identityIvEEEESM_SP_SQ_mSR_ST_bEUlT_E_NS1_11comp_targetILNS1_3genE9ELNS1_11target_archE1100ELNS1_3gpuE3ELNS1_3repE0EEENS1_30default_config_static_selectorELNS0_4arch9wavefront6targetE0EEEvT1_,comdat
	.globl	_ZN7rocprim17ROCPRIM_400000_NS6detail17trampoline_kernelINS0_14default_configENS1_25transform_config_selectorIlLb0EEEZNS1_14transform_implILb0ES3_S5_NS0_18transform_iteratorINS0_17counting_iteratorImlEEZNS1_24adjacent_difference_implIS3_Lb1ELb0EPlSB_ZN2at6native12_GLOBAL__N_124unique_dim_cuda_templateIaEESt5tupleIJNSC_6TensorESH_SH_EERKSH_lbbbEUlllE1_EE10hipError_tPvRmT2_T3_mT4_P12ihipStream_tbEUlmE_lEESB_NS0_8identityIvEEEESM_SP_SQ_mSR_ST_bEUlT_E_NS1_11comp_targetILNS1_3genE9ELNS1_11target_archE1100ELNS1_3gpuE3ELNS1_3repE0EEENS1_30default_config_static_selectorELNS0_4arch9wavefront6targetE0EEEvT1_ ; -- Begin function _ZN7rocprim17ROCPRIM_400000_NS6detail17trampoline_kernelINS0_14default_configENS1_25transform_config_selectorIlLb0EEEZNS1_14transform_implILb0ES3_S5_NS0_18transform_iteratorINS0_17counting_iteratorImlEEZNS1_24adjacent_difference_implIS3_Lb1ELb0EPlSB_ZN2at6native12_GLOBAL__N_124unique_dim_cuda_templateIaEESt5tupleIJNSC_6TensorESH_SH_EERKSH_lbbbEUlllE1_EE10hipError_tPvRmT2_T3_mT4_P12ihipStream_tbEUlmE_lEESB_NS0_8identityIvEEEESM_SP_SQ_mSR_ST_bEUlT_E_NS1_11comp_targetILNS1_3genE9ELNS1_11target_archE1100ELNS1_3gpuE3ELNS1_3repE0EEENS1_30default_config_static_selectorELNS0_4arch9wavefront6targetE0EEEvT1_
	.p2align	8
	.type	_ZN7rocprim17ROCPRIM_400000_NS6detail17trampoline_kernelINS0_14default_configENS1_25transform_config_selectorIlLb0EEEZNS1_14transform_implILb0ES3_S5_NS0_18transform_iteratorINS0_17counting_iteratorImlEEZNS1_24adjacent_difference_implIS3_Lb1ELb0EPlSB_ZN2at6native12_GLOBAL__N_124unique_dim_cuda_templateIaEESt5tupleIJNSC_6TensorESH_SH_EERKSH_lbbbEUlllE1_EE10hipError_tPvRmT2_T3_mT4_P12ihipStream_tbEUlmE_lEESB_NS0_8identityIvEEEESM_SP_SQ_mSR_ST_bEUlT_E_NS1_11comp_targetILNS1_3genE9ELNS1_11target_archE1100ELNS1_3gpuE3ELNS1_3repE0EEENS1_30default_config_static_selectorELNS0_4arch9wavefront6targetE0EEEvT1_,@function
_ZN7rocprim17ROCPRIM_400000_NS6detail17trampoline_kernelINS0_14default_configENS1_25transform_config_selectorIlLb0EEEZNS1_14transform_implILb0ES3_S5_NS0_18transform_iteratorINS0_17counting_iteratorImlEEZNS1_24adjacent_difference_implIS3_Lb1ELb0EPlSB_ZN2at6native12_GLOBAL__N_124unique_dim_cuda_templateIaEESt5tupleIJNSC_6TensorESH_SH_EERKSH_lbbbEUlllE1_EE10hipError_tPvRmT2_T3_mT4_P12ihipStream_tbEUlmE_lEESB_NS0_8identityIvEEEESM_SP_SQ_mSR_ST_bEUlT_E_NS1_11comp_targetILNS1_3genE9ELNS1_11target_archE1100ELNS1_3gpuE3ELNS1_3repE0EEENS1_30default_config_static_selectorELNS0_4arch9wavefront6targetE0EEEvT1_: ; @_ZN7rocprim17ROCPRIM_400000_NS6detail17trampoline_kernelINS0_14default_configENS1_25transform_config_selectorIlLb0EEEZNS1_14transform_implILb0ES3_S5_NS0_18transform_iteratorINS0_17counting_iteratorImlEEZNS1_24adjacent_difference_implIS3_Lb1ELb0EPlSB_ZN2at6native12_GLOBAL__N_124unique_dim_cuda_templateIaEESt5tupleIJNSC_6TensorESH_SH_EERKSH_lbbbEUlllE1_EE10hipError_tPvRmT2_T3_mT4_P12ihipStream_tbEUlmE_lEESB_NS0_8identityIvEEEESM_SP_SQ_mSR_ST_bEUlT_E_NS1_11comp_targetILNS1_3genE9ELNS1_11target_archE1100ELNS1_3gpuE3ELNS1_3repE0EEENS1_30default_config_static_selectorELNS0_4arch9wavefront6targetE0EEEvT1_
; %bb.0:
	s_clause 0x4
	s_load_b128 s[4:7], s[0:1], 0x0
	s_load_b64 s[2:3], s[0:1], 0x18
	s_load_b64 s[12:13], s[0:1], 0x28
	s_load_b32 s11, s[0:1], 0x38
	s_load_b32 s8, s[0:1], 0x10
	s_waitcnt lgkmcnt(0)
	s_add_u32 s9, s2, s4
	s_addc_u32 s10, s3, s5
	s_lshl_b64 s[2:3], s[2:3], 3
	s_delay_alu instid0(SALU_CYCLE_1)
	s_add_u32 s4, s12, s2
	s_addc_u32 s5, s13, s3
	s_add_i32 s11, s11, -1
	s_lshl_b32 s2, s15, 9
	s_mov_b32 s3, 0
	s_cmp_lg_u32 s15, s11
	s_mov_b32 s11, -1
	s_cbranch_scc0 .LBB309_2
; %bb.1:
	s_add_u32 s11, s9, s2
	s_addc_u32 s12, s10, 0
	v_add_co_u32 v3, s11, s11, v0
	s_delay_alu instid0(VALU_DEP_1) | instskip(SKIP_1) | instid1(VALU_DEP_2)
	v_add_co_ci_u32_e64 v5, null, s12, 0, s11
	s_lshl_b64 s[12:13], s[2:3], 3
	v_mad_u64_u32 v[1:2], null, v3, s8, 0
	s_add_u32 s12, s4, s12
	s_addc_u32 s13, s5, s13
	s_mov_b32 s11, s3
	s_delay_alu instid0(VALU_DEP_1) | instskip(NEXT) | instid1(VALU_DEP_1)
	v_mad_u64_u32 v[3:4], null, v5, s8, v[2:3]
	v_dual_mov_b32 v2, v3 :: v_dual_lshlrev_b32 v3, 3, v0
	s_delay_alu instid0(VALU_DEP_1) | instskip(NEXT) | instid1(VALU_DEP_1)
	v_lshlrev_b64 v[1:2], 3, v[1:2]
	v_add_co_u32 v1, vcc_lo, s6, v1
	s_delay_alu instid0(VALU_DEP_2)
	v_add_co_ci_u32_e32 v2, vcc_lo, s7, v2, vcc_lo
	global_load_b64 v[1:2], v[1:2], off
	s_waitcnt vmcnt(0)
	global_store_b64 v3, v[1:2], s[12:13]
.LBB309_2:
	s_and_not1_b32 vcc_lo, exec_lo, s11
	s_cbranch_vccnz .LBB309_7
; %bb.3:
	s_load_b32 s0, s[0:1], 0x20
                                        ; implicit-def: $vgpr1_vgpr2
	s_waitcnt lgkmcnt(0)
	s_sub_i32 s0, s0, s2
	s_delay_alu instid0(SALU_CYCLE_1)
	v_cmp_gt_u32_e32 vcc_lo, s0, v0
	s_and_saveexec_b32 s1, vcc_lo
	s_cbranch_execz .LBB309_5
; %bb.4:
	s_add_u32 s0, s9, s2
	s_addc_u32 s9, s10, 0
	v_add_co_u32 v3, s0, s0, v0
	s_delay_alu instid0(VALU_DEP_1) | instskip(NEXT) | instid1(VALU_DEP_2)
	v_add_co_ci_u32_e64 v5, null, s9, 0, s0
	v_mad_u64_u32 v[1:2], null, v3, s8, 0
	s_delay_alu instid0(VALU_DEP_1) | instskip(NEXT) | instid1(VALU_DEP_1)
	v_mad_u64_u32 v[3:4], null, v5, s8, v[2:3]
	v_mov_b32_e32 v2, v3
	s_delay_alu instid0(VALU_DEP_1) | instskip(NEXT) | instid1(VALU_DEP_1)
	v_lshlrev_b64 v[1:2], 3, v[1:2]
	v_add_co_u32 v1, s0, s6, v1
	s_delay_alu instid0(VALU_DEP_1)
	v_add_co_ci_u32_e64 v2, s0, s7, v2, s0
	global_load_b64 v[1:2], v[1:2], off
.LBB309_5:
	s_or_b32 exec_lo, exec_lo, s1
	s_and_saveexec_b32 s0, vcc_lo
	s_cbranch_execz .LBB309_7
; %bb.6:
	s_lshl_b64 s[0:1], s[2:3], 3
	v_lshlrev_b32_e32 v0, 3, v0
	s_add_u32 s0, s4, s0
	s_addc_u32 s1, s5, s1
	s_waitcnt vmcnt(0)
	global_store_b64 v0, v[1:2], s[0:1]
.LBB309_7:
	s_nop 0
	s_sendmsg sendmsg(MSG_DEALLOC_VGPRS)
	s_endpgm
	.section	.rodata,"a",@progbits
	.p2align	6, 0x0
	.amdhsa_kernel _ZN7rocprim17ROCPRIM_400000_NS6detail17trampoline_kernelINS0_14default_configENS1_25transform_config_selectorIlLb0EEEZNS1_14transform_implILb0ES3_S5_NS0_18transform_iteratorINS0_17counting_iteratorImlEEZNS1_24adjacent_difference_implIS3_Lb1ELb0EPlSB_ZN2at6native12_GLOBAL__N_124unique_dim_cuda_templateIaEESt5tupleIJNSC_6TensorESH_SH_EERKSH_lbbbEUlllE1_EE10hipError_tPvRmT2_T3_mT4_P12ihipStream_tbEUlmE_lEESB_NS0_8identityIvEEEESM_SP_SQ_mSR_ST_bEUlT_E_NS1_11comp_targetILNS1_3genE9ELNS1_11target_archE1100ELNS1_3gpuE3ELNS1_3repE0EEENS1_30default_config_static_selectorELNS0_4arch9wavefront6targetE0EEEvT1_
		.amdhsa_group_segment_fixed_size 0
		.amdhsa_private_segment_fixed_size 0
		.amdhsa_kernarg_size 312
		.amdhsa_user_sgpr_count 15
		.amdhsa_user_sgpr_dispatch_ptr 0
		.amdhsa_user_sgpr_queue_ptr 0
		.amdhsa_user_sgpr_kernarg_segment_ptr 1
		.amdhsa_user_sgpr_dispatch_id 0
		.amdhsa_user_sgpr_private_segment_size 0
		.amdhsa_wavefront_size32 1
		.amdhsa_uses_dynamic_stack 0
		.amdhsa_enable_private_segment 0
		.amdhsa_system_sgpr_workgroup_id_x 1
		.amdhsa_system_sgpr_workgroup_id_y 0
		.amdhsa_system_sgpr_workgroup_id_z 0
		.amdhsa_system_sgpr_workgroup_info 0
		.amdhsa_system_vgpr_workitem_id 0
		.amdhsa_next_free_vgpr 6
		.amdhsa_next_free_sgpr 16
		.amdhsa_reserve_vcc 1
		.amdhsa_float_round_mode_32 0
		.amdhsa_float_round_mode_16_64 0
		.amdhsa_float_denorm_mode_32 3
		.amdhsa_float_denorm_mode_16_64 3
		.amdhsa_dx10_clamp 1
		.amdhsa_ieee_mode 1
		.amdhsa_fp16_overflow 0
		.amdhsa_workgroup_processor_mode 1
		.amdhsa_memory_ordered 1
		.amdhsa_forward_progress 0
		.amdhsa_shared_vgpr_count 0
		.amdhsa_exception_fp_ieee_invalid_op 0
		.amdhsa_exception_fp_denorm_src 0
		.amdhsa_exception_fp_ieee_div_zero 0
		.amdhsa_exception_fp_ieee_overflow 0
		.amdhsa_exception_fp_ieee_underflow 0
		.amdhsa_exception_fp_ieee_inexact 0
		.amdhsa_exception_int_div_zero 0
	.end_amdhsa_kernel
	.section	.text._ZN7rocprim17ROCPRIM_400000_NS6detail17trampoline_kernelINS0_14default_configENS1_25transform_config_selectorIlLb0EEEZNS1_14transform_implILb0ES3_S5_NS0_18transform_iteratorINS0_17counting_iteratorImlEEZNS1_24adjacent_difference_implIS3_Lb1ELb0EPlSB_ZN2at6native12_GLOBAL__N_124unique_dim_cuda_templateIaEESt5tupleIJNSC_6TensorESH_SH_EERKSH_lbbbEUlllE1_EE10hipError_tPvRmT2_T3_mT4_P12ihipStream_tbEUlmE_lEESB_NS0_8identityIvEEEESM_SP_SQ_mSR_ST_bEUlT_E_NS1_11comp_targetILNS1_3genE9ELNS1_11target_archE1100ELNS1_3gpuE3ELNS1_3repE0EEENS1_30default_config_static_selectorELNS0_4arch9wavefront6targetE0EEEvT1_,"axG",@progbits,_ZN7rocprim17ROCPRIM_400000_NS6detail17trampoline_kernelINS0_14default_configENS1_25transform_config_selectorIlLb0EEEZNS1_14transform_implILb0ES3_S5_NS0_18transform_iteratorINS0_17counting_iteratorImlEEZNS1_24adjacent_difference_implIS3_Lb1ELb0EPlSB_ZN2at6native12_GLOBAL__N_124unique_dim_cuda_templateIaEESt5tupleIJNSC_6TensorESH_SH_EERKSH_lbbbEUlllE1_EE10hipError_tPvRmT2_T3_mT4_P12ihipStream_tbEUlmE_lEESB_NS0_8identityIvEEEESM_SP_SQ_mSR_ST_bEUlT_E_NS1_11comp_targetILNS1_3genE9ELNS1_11target_archE1100ELNS1_3gpuE3ELNS1_3repE0EEENS1_30default_config_static_selectorELNS0_4arch9wavefront6targetE0EEEvT1_,comdat
.Lfunc_end309:
	.size	_ZN7rocprim17ROCPRIM_400000_NS6detail17trampoline_kernelINS0_14default_configENS1_25transform_config_selectorIlLb0EEEZNS1_14transform_implILb0ES3_S5_NS0_18transform_iteratorINS0_17counting_iteratorImlEEZNS1_24adjacent_difference_implIS3_Lb1ELb0EPlSB_ZN2at6native12_GLOBAL__N_124unique_dim_cuda_templateIaEESt5tupleIJNSC_6TensorESH_SH_EERKSH_lbbbEUlllE1_EE10hipError_tPvRmT2_T3_mT4_P12ihipStream_tbEUlmE_lEESB_NS0_8identityIvEEEESM_SP_SQ_mSR_ST_bEUlT_E_NS1_11comp_targetILNS1_3genE9ELNS1_11target_archE1100ELNS1_3gpuE3ELNS1_3repE0EEENS1_30default_config_static_selectorELNS0_4arch9wavefront6targetE0EEEvT1_, .Lfunc_end309-_ZN7rocprim17ROCPRIM_400000_NS6detail17trampoline_kernelINS0_14default_configENS1_25transform_config_selectorIlLb0EEEZNS1_14transform_implILb0ES3_S5_NS0_18transform_iteratorINS0_17counting_iteratorImlEEZNS1_24adjacent_difference_implIS3_Lb1ELb0EPlSB_ZN2at6native12_GLOBAL__N_124unique_dim_cuda_templateIaEESt5tupleIJNSC_6TensorESH_SH_EERKSH_lbbbEUlllE1_EE10hipError_tPvRmT2_T3_mT4_P12ihipStream_tbEUlmE_lEESB_NS0_8identityIvEEEESM_SP_SQ_mSR_ST_bEUlT_E_NS1_11comp_targetILNS1_3genE9ELNS1_11target_archE1100ELNS1_3gpuE3ELNS1_3repE0EEENS1_30default_config_static_selectorELNS0_4arch9wavefront6targetE0EEEvT1_
                                        ; -- End function
	.section	.AMDGPU.csdata,"",@progbits
; Kernel info:
; codeLenInByte = 400
; NumSgprs: 18
; NumVgprs: 6
; ScratchSize: 0
; MemoryBound: 0
; FloatMode: 240
; IeeeMode: 1
; LDSByteSize: 0 bytes/workgroup (compile time only)
; SGPRBlocks: 2
; VGPRBlocks: 0
; NumSGPRsForWavesPerEU: 18
; NumVGPRsForWavesPerEU: 6
; Occupancy: 16
; WaveLimiterHint : 0
; COMPUTE_PGM_RSRC2:SCRATCH_EN: 0
; COMPUTE_PGM_RSRC2:USER_SGPR: 15
; COMPUTE_PGM_RSRC2:TRAP_HANDLER: 0
; COMPUTE_PGM_RSRC2:TGID_X_EN: 1
; COMPUTE_PGM_RSRC2:TGID_Y_EN: 0
; COMPUTE_PGM_RSRC2:TGID_Z_EN: 0
; COMPUTE_PGM_RSRC2:TIDIG_COMP_CNT: 0
	.section	.text._ZN7rocprim17ROCPRIM_400000_NS6detail17trampoline_kernelINS0_14default_configENS1_25transform_config_selectorIlLb0EEEZNS1_14transform_implILb0ES3_S5_NS0_18transform_iteratorINS0_17counting_iteratorImlEEZNS1_24adjacent_difference_implIS3_Lb1ELb0EPlSB_ZN2at6native12_GLOBAL__N_124unique_dim_cuda_templateIaEESt5tupleIJNSC_6TensorESH_SH_EERKSH_lbbbEUlllE1_EE10hipError_tPvRmT2_T3_mT4_P12ihipStream_tbEUlmE_lEESB_NS0_8identityIvEEEESM_SP_SQ_mSR_ST_bEUlT_E_NS1_11comp_targetILNS1_3genE8ELNS1_11target_archE1030ELNS1_3gpuE2ELNS1_3repE0EEENS1_30default_config_static_selectorELNS0_4arch9wavefront6targetE0EEEvT1_,"axG",@progbits,_ZN7rocprim17ROCPRIM_400000_NS6detail17trampoline_kernelINS0_14default_configENS1_25transform_config_selectorIlLb0EEEZNS1_14transform_implILb0ES3_S5_NS0_18transform_iteratorINS0_17counting_iteratorImlEEZNS1_24adjacent_difference_implIS3_Lb1ELb0EPlSB_ZN2at6native12_GLOBAL__N_124unique_dim_cuda_templateIaEESt5tupleIJNSC_6TensorESH_SH_EERKSH_lbbbEUlllE1_EE10hipError_tPvRmT2_T3_mT4_P12ihipStream_tbEUlmE_lEESB_NS0_8identityIvEEEESM_SP_SQ_mSR_ST_bEUlT_E_NS1_11comp_targetILNS1_3genE8ELNS1_11target_archE1030ELNS1_3gpuE2ELNS1_3repE0EEENS1_30default_config_static_selectorELNS0_4arch9wavefront6targetE0EEEvT1_,comdat
	.globl	_ZN7rocprim17ROCPRIM_400000_NS6detail17trampoline_kernelINS0_14default_configENS1_25transform_config_selectorIlLb0EEEZNS1_14transform_implILb0ES3_S5_NS0_18transform_iteratorINS0_17counting_iteratorImlEEZNS1_24adjacent_difference_implIS3_Lb1ELb0EPlSB_ZN2at6native12_GLOBAL__N_124unique_dim_cuda_templateIaEESt5tupleIJNSC_6TensorESH_SH_EERKSH_lbbbEUlllE1_EE10hipError_tPvRmT2_T3_mT4_P12ihipStream_tbEUlmE_lEESB_NS0_8identityIvEEEESM_SP_SQ_mSR_ST_bEUlT_E_NS1_11comp_targetILNS1_3genE8ELNS1_11target_archE1030ELNS1_3gpuE2ELNS1_3repE0EEENS1_30default_config_static_selectorELNS0_4arch9wavefront6targetE0EEEvT1_ ; -- Begin function _ZN7rocprim17ROCPRIM_400000_NS6detail17trampoline_kernelINS0_14default_configENS1_25transform_config_selectorIlLb0EEEZNS1_14transform_implILb0ES3_S5_NS0_18transform_iteratorINS0_17counting_iteratorImlEEZNS1_24adjacent_difference_implIS3_Lb1ELb0EPlSB_ZN2at6native12_GLOBAL__N_124unique_dim_cuda_templateIaEESt5tupleIJNSC_6TensorESH_SH_EERKSH_lbbbEUlllE1_EE10hipError_tPvRmT2_T3_mT4_P12ihipStream_tbEUlmE_lEESB_NS0_8identityIvEEEESM_SP_SQ_mSR_ST_bEUlT_E_NS1_11comp_targetILNS1_3genE8ELNS1_11target_archE1030ELNS1_3gpuE2ELNS1_3repE0EEENS1_30default_config_static_selectorELNS0_4arch9wavefront6targetE0EEEvT1_
	.p2align	8
	.type	_ZN7rocprim17ROCPRIM_400000_NS6detail17trampoline_kernelINS0_14default_configENS1_25transform_config_selectorIlLb0EEEZNS1_14transform_implILb0ES3_S5_NS0_18transform_iteratorINS0_17counting_iteratorImlEEZNS1_24adjacent_difference_implIS3_Lb1ELb0EPlSB_ZN2at6native12_GLOBAL__N_124unique_dim_cuda_templateIaEESt5tupleIJNSC_6TensorESH_SH_EERKSH_lbbbEUlllE1_EE10hipError_tPvRmT2_T3_mT4_P12ihipStream_tbEUlmE_lEESB_NS0_8identityIvEEEESM_SP_SQ_mSR_ST_bEUlT_E_NS1_11comp_targetILNS1_3genE8ELNS1_11target_archE1030ELNS1_3gpuE2ELNS1_3repE0EEENS1_30default_config_static_selectorELNS0_4arch9wavefront6targetE0EEEvT1_,@function
_ZN7rocprim17ROCPRIM_400000_NS6detail17trampoline_kernelINS0_14default_configENS1_25transform_config_selectorIlLb0EEEZNS1_14transform_implILb0ES3_S5_NS0_18transform_iteratorINS0_17counting_iteratorImlEEZNS1_24adjacent_difference_implIS3_Lb1ELb0EPlSB_ZN2at6native12_GLOBAL__N_124unique_dim_cuda_templateIaEESt5tupleIJNSC_6TensorESH_SH_EERKSH_lbbbEUlllE1_EE10hipError_tPvRmT2_T3_mT4_P12ihipStream_tbEUlmE_lEESB_NS0_8identityIvEEEESM_SP_SQ_mSR_ST_bEUlT_E_NS1_11comp_targetILNS1_3genE8ELNS1_11target_archE1030ELNS1_3gpuE2ELNS1_3repE0EEENS1_30default_config_static_selectorELNS0_4arch9wavefront6targetE0EEEvT1_: ; @_ZN7rocprim17ROCPRIM_400000_NS6detail17trampoline_kernelINS0_14default_configENS1_25transform_config_selectorIlLb0EEEZNS1_14transform_implILb0ES3_S5_NS0_18transform_iteratorINS0_17counting_iteratorImlEEZNS1_24adjacent_difference_implIS3_Lb1ELb0EPlSB_ZN2at6native12_GLOBAL__N_124unique_dim_cuda_templateIaEESt5tupleIJNSC_6TensorESH_SH_EERKSH_lbbbEUlllE1_EE10hipError_tPvRmT2_T3_mT4_P12ihipStream_tbEUlmE_lEESB_NS0_8identityIvEEEESM_SP_SQ_mSR_ST_bEUlT_E_NS1_11comp_targetILNS1_3genE8ELNS1_11target_archE1030ELNS1_3gpuE2ELNS1_3repE0EEENS1_30default_config_static_selectorELNS0_4arch9wavefront6targetE0EEEvT1_
; %bb.0:
	.section	.rodata,"a",@progbits
	.p2align	6, 0x0
	.amdhsa_kernel _ZN7rocprim17ROCPRIM_400000_NS6detail17trampoline_kernelINS0_14default_configENS1_25transform_config_selectorIlLb0EEEZNS1_14transform_implILb0ES3_S5_NS0_18transform_iteratorINS0_17counting_iteratorImlEEZNS1_24adjacent_difference_implIS3_Lb1ELb0EPlSB_ZN2at6native12_GLOBAL__N_124unique_dim_cuda_templateIaEESt5tupleIJNSC_6TensorESH_SH_EERKSH_lbbbEUlllE1_EE10hipError_tPvRmT2_T3_mT4_P12ihipStream_tbEUlmE_lEESB_NS0_8identityIvEEEESM_SP_SQ_mSR_ST_bEUlT_E_NS1_11comp_targetILNS1_3genE8ELNS1_11target_archE1030ELNS1_3gpuE2ELNS1_3repE0EEENS1_30default_config_static_selectorELNS0_4arch9wavefront6targetE0EEEvT1_
		.amdhsa_group_segment_fixed_size 0
		.amdhsa_private_segment_fixed_size 0
		.amdhsa_kernarg_size 56
		.amdhsa_user_sgpr_count 15
		.amdhsa_user_sgpr_dispatch_ptr 0
		.amdhsa_user_sgpr_queue_ptr 0
		.amdhsa_user_sgpr_kernarg_segment_ptr 1
		.amdhsa_user_sgpr_dispatch_id 0
		.amdhsa_user_sgpr_private_segment_size 0
		.amdhsa_wavefront_size32 1
		.amdhsa_uses_dynamic_stack 0
		.amdhsa_enable_private_segment 0
		.amdhsa_system_sgpr_workgroup_id_x 1
		.amdhsa_system_sgpr_workgroup_id_y 0
		.amdhsa_system_sgpr_workgroup_id_z 0
		.amdhsa_system_sgpr_workgroup_info 0
		.amdhsa_system_vgpr_workitem_id 0
		.amdhsa_next_free_vgpr 1
		.amdhsa_next_free_sgpr 1
		.amdhsa_reserve_vcc 0
		.amdhsa_float_round_mode_32 0
		.amdhsa_float_round_mode_16_64 0
		.amdhsa_float_denorm_mode_32 3
		.amdhsa_float_denorm_mode_16_64 3
		.amdhsa_dx10_clamp 1
		.amdhsa_ieee_mode 1
		.amdhsa_fp16_overflow 0
		.amdhsa_workgroup_processor_mode 1
		.amdhsa_memory_ordered 1
		.amdhsa_forward_progress 0
		.amdhsa_shared_vgpr_count 0
		.amdhsa_exception_fp_ieee_invalid_op 0
		.amdhsa_exception_fp_denorm_src 0
		.amdhsa_exception_fp_ieee_div_zero 0
		.amdhsa_exception_fp_ieee_overflow 0
		.amdhsa_exception_fp_ieee_underflow 0
		.amdhsa_exception_fp_ieee_inexact 0
		.amdhsa_exception_int_div_zero 0
	.end_amdhsa_kernel
	.section	.text._ZN7rocprim17ROCPRIM_400000_NS6detail17trampoline_kernelINS0_14default_configENS1_25transform_config_selectorIlLb0EEEZNS1_14transform_implILb0ES3_S5_NS0_18transform_iteratorINS0_17counting_iteratorImlEEZNS1_24adjacent_difference_implIS3_Lb1ELb0EPlSB_ZN2at6native12_GLOBAL__N_124unique_dim_cuda_templateIaEESt5tupleIJNSC_6TensorESH_SH_EERKSH_lbbbEUlllE1_EE10hipError_tPvRmT2_T3_mT4_P12ihipStream_tbEUlmE_lEESB_NS0_8identityIvEEEESM_SP_SQ_mSR_ST_bEUlT_E_NS1_11comp_targetILNS1_3genE8ELNS1_11target_archE1030ELNS1_3gpuE2ELNS1_3repE0EEENS1_30default_config_static_selectorELNS0_4arch9wavefront6targetE0EEEvT1_,"axG",@progbits,_ZN7rocprim17ROCPRIM_400000_NS6detail17trampoline_kernelINS0_14default_configENS1_25transform_config_selectorIlLb0EEEZNS1_14transform_implILb0ES3_S5_NS0_18transform_iteratorINS0_17counting_iteratorImlEEZNS1_24adjacent_difference_implIS3_Lb1ELb0EPlSB_ZN2at6native12_GLOBAL__N_124unique_dim_cuda_templateIaEESt5tupleIJNSC_6TensorESH_SH_EERKSH_lbbbEUlllE1_EE10hipError_tPvRmT2_T3_mT4_P12ihipStream_tbEUlmE_lEESB_NS0_8identityIvEEEESM_SP_SQ_mSR_ST_bEUlT_E_NS1_11comp_targetILNS1_3genE8ELNS1_11target_archE1030ELNS1_3gpuE2ELNS1_3repE0EEENS1_30default_config_static_selectorELNS0_4arch9wavefront6targetE0EEEvT1_,comdat
.Lfunc_end310:
	.size	_ZN7rocprim17ROCPRIM_400000_NS6detail17trampoline_kernelINS0_14default_configENS1_25transform_config_selectorIlLb0EEEZNS1_14transform_implILb0ES3_S5_NS0_18transform_iteratorINS0_17counting_iteratorImlEEZNS1_24adjacent_difference_implIS3_Lb1ELb0EPlSB_ZN2at6native12_GLOBAL__N_124unique_dim_cuda_templateIaEESt5tupleIJNSC_6TensorESH_SH_EERKSH_lbbbEUlllE1_EE10hipError_tPvRmT2_T3_mT4_P12ihipStream_tbEUlmE_lEESB_NS0_8identityIvEEEESM_SP_SQ_mSR_ST_bEUlT_E_NS1_11comp_targetILNS1_3genE8ELNS1_11target_archE1030ELNS1_3gpuE2ELNS1_3repE0EEENS1_30default_config_static_selectorELNS0_4arch9wavefront6targetE0EEEvT1_, .Lfunc_end310-_ZN7rocprim17ROCPRIM_400000_NS6detail17trampoline_kernelINS0_14default_configENS1_25transform_config_selectorIlLb0EEEZNS1_14transform_implILb0ES3_S5_NS0_18transform_iteratorINS0_17counting_iteratorImlEEZNS1_24adjacent_difference_implIS3_Lb1ELb0EPlSB_ZN2at6native12_GLOBAL__N_124unique_dim_cuda_templateIaEESt5tupleIJNSC_6TensorESH_SH_EERKSH_lbbbEUlllE1_EE10hipError_tPvRmT2_T3_mT4_P12ihipStream_tbEUlmE_lEESB_NS0_8identityIvEEEESM_SP_SQ_mSR_ST_bEUlT_E_NS1_11comp_targetILNS1_3genE8ELNS1_11target_archE1030ELNS1_3gpuE2ELNS1_3repE0EEENS1_30default_config_static_selectorELNS0_4arch9wavefront6targetE0EEEvT1_
                                        ; -- End function
	.section	.AMDGPU.csdata,"",@progbits
; Kernel info:
; codeLenInByte = 0
; NumSgprs: 0
; NumVgprs: 0
; ScratchSize: 0
; MemoryBound: 0
; FloatMode: 240
; IeeeMode: 1
; LDSByteSize: 0 bytes/workgroup (compile time only)
; SGPRBlocks: 0
; VGPRBlocks: 0
; NumSGPRsForWavesPerEU: 1
; NumVGPRsForWavesPerEU: 1
; Occupancy: 16
; WaveLimiterHint : 0
; COMPUTE_PGM_RSRC2:SCRATCH_EN: 0
; COMPUTE_PGM_RSRC2:USER_SGPR: 15
; COMPUTE_PGM_RSRC2:TRAP_HANDLER: 0
; COMPUTE_PGM_RSRC2:TGID_X_EN: 1
; COMPUTE_PGM_RSRC2:TGID_Y_EN: 0
; COMPUTE_PGM_RSRC2:TGID_Z_EN: 0
; COMPUTE_PGM_RSRC2:TIDIG_COMP_CNT: 0
	.section	.text._ZN7rocprim17ROCPRIM_400000_NS6detail17trampoline_kernelINS0_14default_configENS1_35adjacent_difference_config_selectorILb1ElEEZNS1_24adjacent_difference_implIS3_Lb1ELb0EPlS7_ZN2at6native12_GLOBAL__N_124unique_dim_cuda_templateIaEESt5tupleIJNS8_6TensorESD_SD_EERKSD_lbbbEUlllE1_EE10hipError_tPvRmT2_T3_mT4_P12ihipStream_tbEUlT_E_NS1_11comp_targetILNS1_3genE0ELNS1_11target_archE4294967295ELNS1_3gpuE0ELNS1_3repE0EEENS1_30default_config_static_selectorELNS0_4arch9wavefront6targetE0EEEvT1_,"axG",@progbits,_ZN7rocprim17ROCPRIM_400000_NS6detail17trampoline_kernelINS0_14default_configENS1_35adjacent_difference_config_selectorILb1ElEEZNS1_24adjacent_difference_implIS3_Lb1ELb0EPlS7_ZN2at6native12_GLOBAL__N_124unique_dim_cuda_templateIaEESt5tupleIJNS8_6TensorESD_SD_EERKSD_lbbbEUlllE1_EE10hipError_tPvRmT2_T3_mT4_P12ihipStream_tbEUlT_E_NS1_11comp_targetILNS1_3genE0ELNS1_11target_archE4294967295ELNS1_3gpuE0ELNS1_3repE0EEENS1_30default_config_static_selectorELNS0_4arch9wavefront6targetE0EEEvT1_,comdat
	.globl	_ZN7rocprim17ROCPRIM_400000_NS6detail17trampoline_kernelINS0_14default_configENS1_35adjacent_difference_config_selectorILb1ElEEZNS1_24adjacent_difference_implIS3_Lb1ELb0EPlS7_ZN2at6native12_GLOBAL__N_124unique_dim_cuda_templateIaEESt5tupleIJNS8_6TensorESD_SD_EERKSD_lbbbEUlllE1_EE10hipError_tPvRmT2_T3_mT4_P12ihipStream_tbEUlT_E_NS1_11comp_targetILNS1_3genE0ELNS1_11target_archE4294967295ELNS1_3gpuE0ELNS1_3repE0EEENS1_30default_config_static_selectorELNS0_4arch9wavefront6targetE0EEEvT1_ ; -- Begin function _ZN7rocprim17ROCPRIM_400000_NS6detail17trampoline_kernelINS0_14default_configENS1_35adjacent_difference_config_selectorILb1ElEEZNS1_24adjacent_difference_implIS3_Lb1ELb0EPlS7_ZN2at6native12_GLOBAL__N_124unique_dim_cuda_templateIaEESt5tupleIJNS8_6TensorESD_SD_EERKSD_lbbbEUlllE1_EE10hipError_tPvRmT2_T3_mT4_P12ihipStream_tbEUlT_E_NS1_11comp_targetILNS1_3genE0ELNS1_11target_archE4294967295ELNS1_3gpuE0ELNS1_3repE0EEENS1_30default_config_static_selectorELNS0_4arch9wavefront6targetE0EEEvT1_
	.p2align	8
	.type	_ZN7rocprim17ROCPRIM_400000_NS6detail17trampoline_kernelINS0_14default_configENS1_35adjacent_difference_config_selectorILb1ElEEZNS1_24adjacent_difference_implIS3_Lb1ELb0EPlS7_ZN2at6native12_GLOBAL__N_124unique_dim_cuda_templateIaEESt5tupleIJNS8_6TensorESD_SD_EERKSD_lbbbEUlllE1_EE10hipError_tPvRmT2_T3_mT4_P12ihipStream_tbEUlT_E_NS1_11comp_targetILNS1_3genE0ELNS1_11target_archE4294967295ELNS1_3gpuE0ELNS1_3repE0EEENS1_30default_config_static_selectorELNS0_4arch9wavefront6targetE0EEEvT1_,@function
_ZN7rocprim17ROCPRIM_400000_NS6detail17trampoline_kernelINS0_14default_configENS1_35adjacent_difference_config_selectorILb1ElEEZNS1_24adjacent_difference_implIS3_Lb1ELb0EPlS7_ZN2at6native12_GLOBAL__N_124unique_dim_cuda_templateIaEESt5tupleIJNS8_6TensorESD_SD_EERKSD_lbbbEUlllE1_EE10hipError_tPvRmT2_T3_mT4_P12ihipStream_tbEUlT_E_NS1_11comp_targetILNS1_3genE0ELNS1_11target_archE4294967295ELNS1_3gpuE0ELNS1_3repE0EEENS1_30default_config_static_selectorELNS0_4arch9wavefront6targetE0EEEvT1_: ; @_ZN7rocprim17ROCPRIM_400000_NS6detail17trampoline_kernelINS0_14default_configENS1_35adjacent_difference_config_selectorILb1ElEEZNS1_24adjacent_difference_implIS3_Lb1ELb0EPlS7_ZN2at6native12_GLOBAL__N_124unique_dim_cuda_templateIaEESt5tupleIJNS8_6TensorESD_SD_EERKSD_lbbbEUlllE1_EE10hipError_tPvRmT2_T3_mT4_P12ihipStream_tbEUlT_E_NS1_11comp_targetILNS1_3genE0ELNS1_11target_archE4294967295ELNS1_3gpuE0ELNS1_3repE0EEENS1_30default_config_static_selectorELNS0_4arch9wavefront6targetE0EEEvT1_
; %bb.0:
	.section	.rodata,"a",@progbits
	.p2align	6, 0x0
	.amdhsa_kernel _ZN7rocprim17ROCPRIM_400000_NS6detail17trampoline_kernelINS0_14default_configENS1_35adjacent_difference_config_selectorILb1ElEEZNS1_24adjacent_difference_implIS3_Lb1ELb0EPlS7_ZN2at6native12_GLOBAL__N_124unique_dim_cuda_templateIaEESt5tupleIJNS8_6TensorESD_SD_EERKSD_lbbbEUlllE1_EE10hipError_tPvRmT2_T3_mT4_P12ihipStream_tbEUlT_E_NS1_11comp_targetILNS1_3genE0ELNS1_11target_archE4294967295ELNS1_3gpuE0ELNS1_3repE0EEENS1_30default_config_static_selectorELNS0_4arch9wavefront6targetE0EEEvT1_
		.amdhsa_group_segment_fixed_size 0
		.amdhsa_private_segment_fixed_size 0
		.amdhsa_kernarg_size 64
		.amdhsa_user_sgpr_count 15
		.amdhsa_user_sgpr_dispatch_ptr 0
		.amdhsa_user_sgpr_queue_ptr 0
		.amdhsa_user_sgpr_kernarg_segment_ptr 1
		.amdhsa_user_sgpr_dispatch_id 0
		.amdhsa_user_sgpr_private_segment_size 0
		.amdhsa_wavefront_size32 1
		.amdhsa_uses_dynamic_stack 0
		.amdhsa_enable_private_segment 0
		.amdhsa_system_sgpr_workgroup_id_x 1
		.amdhsa_system_sgpr_workgroup_id_y 0
		.amdhsa_system_sgpr_workgroup_id_z 0
		.amdhsa_system_sgpr_workgroup_info 0
		.amdhsa_system_vgpr_workitem_id 0
		.amdhsa_next_free_vgpr 1
		.amdhsa_next_free_sgpr 1
		.amdhsa_reserve_vcc 0
		.amdhsa_float_round_mode_32 0
		.amdhsa_float_round_mode_16_64 0
		.amdhsa_float_denorm_mode_32 3
		.amdhsa_float_denorm_mode_16_64 3
		.amdhsa_dx10_clamp 1
		.amdhsa_ieee_mode 1
		.amdhsa_fp16_overflow 0
		.amdhsa_workgroup_processor_mode 1
		.amdhsa_memory_ordered 1
		.amdhsa_forward_progress 0
		.amdhsa_shared_vgpr_count 0
		.amdhsa_exception_fp_ieee_invalid_op 0
		.amdhsa_exception_fp_denorm_src 0
		.amdhsa_exception_fp_ieee_div_zero 0
		.amdhsa_exception_fp_ieee_overflow 0
		.amdhsa_exception_fp_ieee_underflow 0
		.amdhsa_exception_fp_ieee_inexact 0
		.amdhsa_exception_int_div_zero 0
	.end_amdhsa_kernel
	.section	.text._ZN7rocprim17ROCPRIM_400000_NS6detail17trampoline_kernelINS0_14default_configENS1_35adjacent_difference_config_selectorILb1ElEEZNS1_24adjacent_difference_implIS3_Lb1ELb0EPlS7_ZN2at6native12_GLOBAL__N_124unique_dim_cuda_templateIaEESt5tupleIJNS8_6TensorESD_SD_EERKSD_lbbbEUlllE1_EE10hipError_tPvRmT2_T3_mT4_P12ihipStream_tbEUlT_E_NS1_11comp_targetILNS1_3genE0ELNS1_11target_archE4294967295ELNS1_3gpuE0ELNS1_3repE0EEENS1_30default_config_static_selectorELNS0_4arch9wavefront6targetE0EEEvT1_,"axG",@progbits,_ZN7rocprim17ROCPRIM_400000_NS6detail17trampoline_kernelINS0_14default_configENS1_35adjacent_difference_config_selectorILb1ElEEZNS1_24adjacent_difference_implIS3_Lb1ELb0EPlS7_ZN2at6native12_GLOBAL__N_124unique_dim_cuda_templateIaEESt5tupleIJNS8_6TensorESD_SD_EERKSD_lbbbEUlllE1_EE10hipError_tPvRmT2_T3_mT4_P12ihipStream_tbEUlT_E_NS1_11comp_targetILNS1_3genE0ELNS1_11target_archE4294967295ELNS1_3gpuE0ELNS1_3repE0EEENS1_30default_config_static_selectorELNS0_4arch9wavefront6targetE0EEEvT1_,comdat
.Lfunc_end311:
	.size	_ZN7rocprim17ROCPRIM_400000_NS6detail17trampoline_kernelINS0_14default_configENS1_35adjacent_difference_config_selectorILb1ElEEZNS1_24adjacent_difference_implIS3_Lb1ELb0EPlS7_ZN2at6native12_GLOBAL__N_124unique_dim_cuda_templateIaEESt5tupleIJNS8_6TensorESD_SD_EERKSD_lbbbEUlllE1_EE10hipError_tPvRmT2_T3_mT4_P12ihipStream_tbEUlT_E_NS1_11comp_targetILNS1_3genE0ELNS1_11target_archE4294967295ELNS1_3gpuE0ELNS1_3repE0EEENS1_30default_config_static_selectorELNS0_4arch9wavefront6targetE0EEEvT1_, .Lfunc_end311-_ZN7rocprim17ROCPRIM_400000_NS6detail17trampoline_kernelINS0_14default_configENS1_35adjacent_difference_config_selectorILb1ElEEZNS1_24adjacent_difference_implIS3_Lb1ELb0EPlS7_ZN2at6native12_GLOBAL__N_124unique_dim_cuda_templateIaEESt5tupleIJNS8_6TensorESD_SD_EERKSD_lbbbEUlllE1_EE10hipError_tPvRmT2_T3_mT4_P12ihipStream_tbEUlT_E_NS1_11comp_targetILNS1_3genE0ELNS1_11target_archE4294967295ELNS1_3gpuE0ELNS1_3repE0EEENS1_30default_config_static_selectorELNS0_4arch9wavefront6targetE0EEEvT1_
                                        ; -- End function
	.section	.AMDGPU.csdata,"",@progbits
; Kernel info:
; codeLenInByte = 0
; NumSgprs: 0
; NumVgprs: 0
; ScratchSize: 0
; MemoryBound: 0
; FloatMode: 240
; IeeeMode: 1
; LDSByteSize: 0 bytes/workgroup (compile time only)
; SGPRBlocks: 0
; VGPRBlocks: 0
; NumSGPRsForWavesPerEU: 1
; NumVGPRsForWavesPerEU: 1
; Occupancy: 16
; WaveLimiterHint : 0
; COMPUTE_PGM_RSRC2:SCRATCH_EN: 0
; COMPUTE_PGM_RSRC2:USER_SGPR: 15
; COMPUTE_PGM_RSRC2:TRAP_HANDLER: 0
; COMPUTE_PGM_RSRC2:TGID_X_EN: 1
; COMPUTE_PGM_RSRC2:TGID_Y_EN: 0
; COMPUTE_PGM_RSRC2:TGID_Z_EN: 0
; COMPUTE_PGM_RSRC2:TIDIG_COMP_CNT: 0
	.section	.text._ZN7rocprim17ROCPRIM_400000_NS6detail17trampoline_kernelINS0_14default_configENS1_35adjacent_difference_config_selectorILb1ElEEZNS1_24adjacent_difference_implIS3_Lb1ELb0EPlS7_ZN2at6native12_GLOBAL__N_124unique_dim_cuda_templateIaEESt5tupleIJNS8_6TensorESD_SD_EERKSD_lbbbEUlllE1_EE10hipError_tPvRmT2_T3_mT4_P12ihipStream_tbEUlT_E_NS1_11comp_targetILNS1_3genE10ELNS1_11target_archE1201ELNS1_3gpuE5ELNS1_3repE0EEENS1_30default_config_static_selectorELNS0_4arch9wavefront6targetE0EEEvT1_,"axG",@progbits,_ZN7rocprim17ROCPRIM_400000_NS6detail17trampoline_kernelINS0_14default_configENS1_35adjacent_difference_config_selectorILb1ElEEZNS1_24adjacent_difference_implIS3_Lb1ELb0EPlS7_ZN2at6native12_GLOBAL__N_124unique_dim_cuda_templateIaEESt5tupleIJNS8_6TensorESD_SD_EERKSD_lbbbEUlllE1_EE10hipError_tPvRmT2_T3_mT4_P12ihipStream_tbEUlT_E_NS1_11comp_targetILNS1_3genE10ELNS1_11target_archE1201ELNS1_3gpuE5ELNS1_3repE0EEENS1_30default_config_static_selectorELNS0_4arch9wavefront6targetE0EEEvT1_,comdat
	.globl	_ZN7rocprim17ROCPRIM_400000_NS6detail17trampoline_kernelINS0_14default_configENS1_35adjacent_difference_config_selectorILb1ElEEZNS1_24adjacent_difference_implIS3_Lb1ELb0EPlS7_ZN2at6native12_GLOBAL__N_124unique_dim_cuda_templateIaEESt5tupleIJNS8_6TensorESD_SD_EERKSD_lbbbEUlllE1_EE10hipError_tPvRmT2_T3_mT4_P12ihipStream_tbEUlT_E_NS1_11comp_targetILNS1_3genE10ELNS1_11target_archE1201ELNS1_3gpuE5ELNS1_3repE0EEENS1_30default_config_static_selectorELNS0_4arch9wavefront6targetE0EEEvT1_ ; -- Begin function _ZN7rocprim17ROCPRIM_400000_NS6detail17trampoline_kernelINS0_14default_configENS1_35adjacent_difference_config_selectorILb1ElEEZNS1_24adjacent_difference_implIS3_Lb1ELb0EPlS7_ZN2at6native12_GLOBAL__N_124unique_dim_cuda_templateIaEESt5tupleIJNS8_6TensorESD_SD_EERKSD_lbbbEUlllE1_EE10hipError_tPvRmT2_T3_mT4_P12ihipStream_tbEUlT_E_NS1_11comp_targetILNS1_3genE10ELNS1_11target_archE1201ELNS1_3gpuE5ELNS1_3repE0EEENS1_30default_config_static_selectorELNS0_4arch9wavefront6targetE0EEEvT1_
	.p2align	8
	.type	_ZN7rocprim17ROCPRIM_400000_NS6detail17trampoline_kernelINS0_14default_configENS1_35adjacent_difference_config_selectorILb1ElEEZNS1_24adjacent_difference_implIS3_Lb1ELb0EPlS7_ZN2at6native12_GLOBAL__N_124unique_dim_cuda_templateIaEESt5tupleIJNS8_6TensorESD_SD_EERKSD_lbbbEUlllE1_EE10hipError_tPvRmT2_T3_mT4_P12ihipStream_tbEUlT_E_NS1_11comp_targetILNS1_3genE10ELNS1_11target_archE1201ELNS1_3gpuE5ELNS1_3repE0EEENS1_30default_config_static_selectorELNS0_4arch9wavefront6targetE0EEEvT1_,@function
_ZN7rocprim17ROCPRIM_400000_NS6detail17trampoline_kernelINS0_14default_configENS1_35adjacent_difference_config_selectorILb1ElEEZNS1_24adjacent_difference_implIS3_Lb1ELb0EPlS7_ZN2at6native12_GLOBAL__N_124unique_dim_cuda_templateIaEESt5tupleIJNS8_6TensorESD_SD_EERKSD_lbbbEUlllE1_EE10hipError_tPvRmT2_T3_mT4_P12ihipStream_tbEUlT_E_NS1_11comp_targetILNS1_3genE10ELNS1_11target_archE1201ELNS1_3gpuE5ELNS1_3repE0EEENS1_30default_config_static_selectorELNS0_4arch9wavefront6targetE0EEEvT1_: ; @_ZN7rocprim17ROCPRIM_400000_NS6detail17trampoline_kernelINS0_14default_configENS1_35adjacent_difference_config_selectorILb1ElEEZNS1_24adjacent_difference_implIS3_Lb1ELb0EPlS7_ZN2at6native12_GLOBAL__N_124unique_dim_cuda_templateIaEESt5tupleIJNS8_6TensorESD_SD_EERKSD_lbbbEUlllE1_EE10hipError_tPvRmT2_T3_mT4_P12ihipStream_tbEUlT_E_NS1_11comp_targetILNS1_3genE10ELNS1_11target_archE1201ELNS1_3gpuE5ELNS1_3repE0EEENS1_30default_config_static_selectorELNS0_4arch9wavefront6targetE0EEEvT1_
; %bb.0:
	.section	.rodata,"a",@progbits
	.p2align	6, 0x0
	.amdhsa_kernel _ZN7rocprim17ROCPRIM_400000_NS6detail17trampoline_kernelINS0_14default_configENS1_35adjacent_difference_config_selectorILb1ElEEZNS1_24adjacent_difference_implIS3_Lb1ELb0EPlS7_ZN2at6native12_GLOBAL__N_124unique_dim_cuda_templateIaEESt5tupleIJNS8_6TensorESD_SD_EERKSD_lbbbEUlllE1_EE10hipError_tPvRmT2_T3_mT4_P12ihipStream_tbEUlT_E_NS1_11comp_targetILNS1_3genE10ELNS1_11target_archE1201ELNS1_3gpuE5ELNS1_3repE0EEENS1_30default_config_static_selectorELNS0_4arch9wavefront6targetE0EEEvT1_
		.amdhsa_group_segment_fixed_size 0
		.amdhsa_private_segment_fixed_size 0
		.amdhsa_kernarg_size 64
		.amdhsa_user_sgpr_count 15
		.amdhsa_user_sgpr_dispatch_ptr 0
		.amdhsa_user_sgpr_queue_ptr 0
		.amdhsa_user_sgpr_kernarg_segment_ptr 1
		.amdhsa_user_sgpr_dispatch_id 0
		.amdhsa_user_sgpr_private_segment_size 0
		.amdhsa_wavefront_size32 1
		.amdhsa_uses_dynamic_stack 0
		.amdhsa_enable_private_segment 0
		.amdhsa_system_sgpr_workgroup_id_x 1
		.amdhsa_system_sgpr_workgroup_id_y 0
		.amdhsa_system_sgpr_workgroup_id_z 0
		.amdhsa_system_sgpr_workgroup_info 0
		.amdhsa_system_vgpr_workitem_id 0
		.amdhsa_next_free_vgpr 1
		.amdhsa_next_free_sgpr 1
		.amdhsa_reserve_vcc 0
		.amdhsa_float_round_mode_32 0
		.amdhsa_float_round_mode_16_64 0
		.amdhsa_float_denorm_mode_32 3
		.amdhsa_float_denorm_mode_16_64 3
		.amdhsa_dx10_clamp 1
		.amdhsa_ieee_mode 1
		.amdhsa_fp16_overflow 0
		.amdhsa_workgroup_processor_mode 1
		.amdhsa_memory_ordered 1
		.amdhsa_forward_progress 0
		.amdhsa_shared_vgpr_count 0
		.amdhsa_exception_fp_ieee_invalid_op 0
		.amdhsa_exception_fp_denorm_src 0
		.amdhsa_exception_fp_ieee_div_zero 0
		.amdhsa_exception_fp_ieee_overflow 0
		.amdhsa_exception_fp_ieee_underflow 0
		.amdhsa_exception_fp_ieee_inexact 0
		.amdhsa_exception_int_div_zero 0
	.end_amdhsa_kernel
	.section	.text._ZN7rocprim17ROCPRIM_400000_NS6detail17trampoline_kernelINS0_14default_configENS1_35adjacent_difference_config_selectorILb1ElEEZNS1_24adjacent_difference_implIS3_Lb1ELb0EPlS7_ZN2at6native12_GLOBAL__N_124unique_dim_cuda_templateIaEESt5tupleIJNS8_6TensorESD_SD_EERKSD_lbbbEUlllE1_EE10hipError_tPvRmT2_T3_mT4_P12ihipStream_tbEUlT_E_NS1_11comp_targetILNS1_3genE10ELNS1_11target_archE1201ELNS1_3gpuE5ELNS1_3repE0EEENS1_30default_config_static_selectorELNS0_4arch9wavefront6targetE0EEEvT1_,"axG",@progbits,_ZN7rocprim17ROCPRIM_400000_NS6detail17trampoline_kernelINS0_14default_configENS1_35adjacent_difference_config_selectorILb1ElEEZNS1_24adjacent_difference_implIS3_Lb1ELb0EPlS7_ZN2at6native12_GLOBAL__N_124unique_dim_cuda_templateIaEESt5tupleIJNS8_6TensorESD_SD_EERKSD_lbbbEUlllE1_EE10hipError_tPvRmT2_T3_mT4_P12ihipStream_tbEUlT_E_NS1_11comp_targetILNS1_3genE10ELNS1_11target_archE1201ELNS1_3gpuE5ELNS1_3repE0EEENS1_30default_config_static_selectorELNS0_4arch9wavefront6targetE0EEEvT1_,comdat
.Lfunc_end312:
	.size	_ZN7rocprim17ROCPRIM_400000_NS6detail17trampoline_kernelINS0_14default_configENS1_35adjacent_difference_config_selectorILb1ElEEZNS1_24adjacent_difference_implIS3_Lb1ELb0EPlS7_ZN2at6native12_GLOBAL__N_124unique_dim_cuda_templateIaEESt5tupleIJNS8_6TensorESD_SD_EERKSD_lbbbEUlllE1_EE10hipError_tPvRmT2_T3_mT4_P12ihipStream_tbEUlT_E_NS1_11comp_targetILNS1_3genE10ELNS1_11target_archE1201ELNS1_3gpuE5ELNS1_3repE0EEENS1_30default_config_static_selectorELNS0_4arch9wavefront6targetE0EEEvT1_, .Lfunc_end312-_ZN7rocprim17ROCPRIM_400000_NS6detail17trampoline_kernelINS0_14default_configENS1_35adjacent_difference_config_selectorILb1ElEEZNS1_24adjacent_difference_implIS3_Lb1ELb0EPlS7_ZN2at6native12_GLOBAL__N_124unique_dim_cuda_templateIaEESt5tupleIJNS8_6TensorESD_SD_EERKSD_lbbbEUlllE1_EE10hipError_tPvRmT2_T3_mT4_P12ihipStream_tbEUlT_E_NS1_11comp_targetILNS1_3genE10ELNS1_11target_archE1201ELNS1_3gpuE5ELNS1_3repE0EEENS1_30default_config_static_selectorELNS0_4arch9wavefront6targetE0EEEvT1_
                                        ; -- End function
	.section	.AMDGPU.csdata,"",@progbits
; Kernel info:
; codeLenInByte = 0
; NumSgprs: 0
; NumVgprs: 0
; ScratchSize: 0
; MemoryBound: 0
; FloatMode: 240
; IeeeMode: 1
; LDSByteSize: 0 bytes/workgroup (compile time only)
; SGPRBlocks: 0
; VGPRBlocks: 0
; NumSGPRsForWavesPerEU: 1
; NumVGPRsForWavesPerEU: 1
; Occupancy: 16
; WaveLimiterHint : 0
; COMPUTE_PGM_RSRC2:SCRATCH_EN: 0
; COMPUTE_PGM_RSRC2:USER_SGPR: 15
; COMPUTE_PGM_RSRC2:TRAP_HANDLER: 0
; COMPUTE_PGM_RSRC2:TGID_X_EN: 1
; COMPUTE_PGM_RSRC2:TGID_Y_EN: 0
; COMPUTE_PGM_RSRC2:TGID_Z_EN: 0
; COMPUTE_PGM_RSRC2:TIDIG_COMP_CNT: 0
	.section	.text._ZN7rocprim17ROCPRIM_400000_NS6detail17trampoline_kernelINS0_14default_configENS1_35adjacent_difference_config_selectorILb1ElEEZNS1_24adjacent_difference_implIS3_Lb1ELb0EPlS7_ZN2at6native12_GLOBAL__N_124unique_dim_cuda_templateIaEESt5tupleIJNS8_6TensorESD_SD_EERKSD_lbbbEUlllE1_EE10hipError_tPvRmT2_T3_mT4_P12ihipStream_tbEUlT_E_NS1_11comp_targetILNS1_3genE5ELNS1_11target_archE942ELNS1_3gpuE9ELNS1_3repE0EEENS1_30default_config_static_selectorELNS0_4arch9wavefront6targetE0EEEvT1_,"axG",@progbits,_ZN7rocprim17ROCPRIM_400000_NS6detail17trampoline_kernelINS0_14default_configENS1_35adjacent_difference_config_selectorILb1ElEEZNS1_24adjacent_difference_implIS3_Lb1ELb0EPlS7_ZN2at6native12_GLOBAL__N_124unique_dim_cuda_templateIaEESt5tupleIJNS8_6TensorESD_SD_EERKSD_lbbbEUlllE1_EE10hipError_tPvRmT2_T3_mT4_P12ihipStream_tbEUlT_E_NS1_11comp_targetILNS1_3genE5ELNS1_11target_archE942ELNS1_3gpuE9ELNS1_3repE0EEENS1_30default_config_static_selectorELNS0_4arch9wavefront6targetE0EEEvT1_,comdat
	.globl	_ZN7rocprim17ROCPRIM_400000_NS6detail17trampoline_kernelINS0_14default_configENS1_35adjacent_difference_config_selectorILb1ElEEZNS1_24adjacent_difference_implIS3_Lb1ELb0EPlS7_ZN2at6native12_GLOBAL__N_124unique_dim_cuda_templateIaEESt5tupleIJNS8_6TensorESD_SD_EERKSD_lbbbEUlllE1_EE10hipError_tPvRmT2_T3_mT4_P12ihipStream_tbEUlT_E_NS1_11comp_targetILNS1_3genE5ELNS1_11target_archE942ELNS1_3gpuE9ELNS1_3repE0EEENS1_30default_config_static_selectorELNS0_4arch9wavefront6targetE0EEEvT1_ ; -- Begin function _ZN7rocprim17ROCPRIM_400000_NS6detail17trampoline_kernelINS0_14default_configENS1_35adjacent_difference_config_selectorILb1ElEEZNS1_24adjacent_difference_implIS3_Lb1ELb0EPlS7_ZN2at6native12_GLOBAL__N_124unique_dim_cuda_templateIaEESt5tupleIJNS8_6TensorESD_SD_EERKSD_lbbbEUlllE1_EE10hipError_tPvRmT2_T3_mT4_P12ihipStream_tbEUlT_E_NS1_11comp_targetILNS1_3genE5ELNS1_11target_archE942ELNS1_3gpuE9ELNS1_3repE0EEENS1_30default_config_static_selectorELNS0_4arch9wavefront6targetE0EEEvT1_
	.p2align	8
	.type	_ZN7rocprim17ROCPRIM_400000_NS6detail17trampoline_kernelINS0_14default_configENS1_35adjacent_difference_config_selectorILb1ElEEZNS1_24adjacent_difference_implIS3_Lb1ELb0EPlS7_ZN2at6native12_GLOBAL__N_124unique_dim_cuda_templateIaEESt5tupleIJNS8_6TensorESD_SD_EERKSD_lbbbEUlllE1_EE10hipError_tPvRmT2_T3_mT4_P12ihipStream_tbEUlT_E_NS1_11comp_targetILNS1_3genE5ELNS1_11target_archE942ELNS1_3gpuE9ELNS1_3repE0EEENS1_30default_config_static_selectorELNS0_4arch9wavefront6targetE0EEEvT1_,@function
_ZN7rocprim17ROCPRIM_400000_NS6detail17trampoline_kernelINS0_14default_configENS1_35adjacent_difference_config_selectorILb1ElEEZNS1_24adjacent_difference_implIS3_Lb1ELb0EPlS7_ZN2at6native12_GLOBAL__N_124unique_dim_cuda_templateIaEESt5tupleIJNS8_6TensorESD_SD_EERKSD_lbbbEUlllE1_EE10hipError_tPvRmT2_T3_mT4_P12ihipStream_tbEUlT_E_NS1_11comp_targetILNS1_3genE5ELNS1_11target_archE942ELNS1_3gpuE9ELNS1_3repE0EEENS1_30default_config_static_selectorELNS0_4arch9wavefront6targetE0EEEvT1_: ; @_ZN7rocprim17ROCPRIM_400000_NS6detail17trampoline_kernelINS0_14default_configENS1_35adjacent_difference_config_selectorILb1ElEEZNS1_24adjacent_difference_implIS3_Lb1ELb0EPlS7_ZN2at6native12_GLOBAL__N_124unique_dim_cuda_templateIaEESt5tupleIJNS8_6TensorESD_SD_EERKSD_lbbbEUlllE1_EE10hipError_tPvRmT2_T3_mT4_P12ihipStream_tbEUlT_E_NS1_11comp_targetILNS1_3genE5ELNS1_11target_archE942ELNS1_3gpuE9ELNS1_3repE0EEENS1_30default_config_static_selectorELNS0_4arch9wavefront6targetE0EEEvT1_
; %bb.0:
	.section	.rodata,"a",@progbits
	.p2align	6, 0x0
	.amdhsa_kernel _ZN7rocprim17ROCPRIM_400000_NS6detail17trampoline_kernelINS0_14default_configENS1_35adjacent_difference_config_selectorILb1ElEEZNS1_24adjacent_difference_implIS3_Lb1ELb0EPlS7_ZN2at6native12_GLOBAL__N_124unique_dim_cuda_templateIaEESt5tupleIJNS8_6TensorESD_SD_EERKSD_lbbbEUlllE1_EE10hipError_tPvRmT2_T3_mT4_P12ihipStream_tbEUlT_E_NS1_11comp_targetILNS1_3genE5ELNS1_11target_archE942ELNS1_3gpuE9ELNS1_3repE0EEENS1_30default_config_static_selectorELNS0_4arch9wavefront6targetE0EEEvT1_
		.amdhsa_group_segment_fixed_size 0
		.amdhsa_private_segment_fixed_size 0
		.amdhsa_kernarg_size 64
		.amdhsa_user_sgpr_count 15
		.amdhsa_user_sgpr_dispatch_ptr 0
		.amdhsa_user_sgpr_queue_ptr 0
		.amdhsa_user_sgpr_kernarg_segment_ptr 1
		.amdhsa_user_sgpr_dispatch_id 0
		.amdhsa_user_sgpr_private_segment_size 0
		.amdhsa_wavefront_size32 1
		.amdhsa_uses_dynamic_stack 0
		.amdhsa_enable_private_segment 0
		.amdhsa_system_sgpr_workgroup_id_x 1
		.amdhsa_system_sgpr_workgroup_id_y 0
		.amdhsa_system_sgpr_workgroup_id_z 0
		.amdhsa_system_sgpr_workgroup_info 0
		.amdhsa_system_vgpr_workitem_id 0
		.amdhsa_next_free_vgpr 1
		.amdhsa_next_free_sgpr 1
		.amdhsa_reserve_vcc 0
		.amdhsa_float_round_mode_32 0
		.amdhsa_float_round_mode_16_64 0
		.amdhsa_float_denorm_mode_32 3
		.amdhsa_float_denorm_mode_16_64 3
		.amdhsa_dx10_clamp 1
		.amdhsa_ieee_mode 1
		.amdhsa_fp16_overflow 0
		.amdhsa_workgroup_processor_mode 1
		.amdhsa_memory_ordered 1
		.amdhsa_forward_progress 0
		.amdhsa_shared_vgpr_count 0
		.amdhsa_exception_fp_ieee_invalid_op 0
		.amdhsa_exception_fp_denorm_src 0
		.amdhsa_exception_fp_ieee_div_zero 0
		.amdhsa_exception_fp_ieee_overflow 0
		.amdhsa_exception_fp_ieee_underflow 0
		.amdhsa_exception_fp_ieee_inexact 0
		.amdhsa_exception_int_div_zero 0
	.end_amdhsa_kernel
	.section	.text._ZN7rocprim17ROCPRIM_400000_NS6detail17trampoline_kernelINS0_14default_configENS1_35adjacent_difference_config_selectorILb1ElEEZNS1_24adjacent_difference_implIS3_Lb1ELb0EPlS7_ZN2at6native12_GLOBAL__N_124unique_dim_cuda_templateIaEESt5tupleIJNS8_6TensorESD_SD_EERKSD_lbbbEUlllE1_EE10hipError_tPvRmT2_T3_mT4_P12ihipStream_tbEUlT_E_NS1_11comp_targetILNS1_3genE5ELNS1_11target_archE942ELNS1_3gpuE9ELNS1_3repE0EEENS1_30default_config_static_selectorELNS0_4arch9wavefront6targetE0EEEvT1_,"axG",@progbits,_ZN7rocprim17ROCPRIM_400000_NS6detail17trampoline_kernelINS0_14default_configENS1_35adjacent_difference_config_selectorILb1ElEEZNS1_24adjacent_difference_implIS3_Lb1ELb0EPlS7_ZN2at6native12_GLOBAL__N_124unique_dim_cuda_templateIaEESt5tupleIJNS8_6TensorESD_SD_EERKSD_lbbbEUlllE1_EE10hipError_tPvRmT2_T3_mT4_P12ihipStream_tbEUlT_E_NS1_11comp_targetILNS1_3genE5ELNS1_11target_archE942ELNS1_3gpuE9ELNS1_3repE0EEENS1_30default_config_static_selectorELNS0_4arch9wavefront6targetE0EEEvT1_,comdat
.Lfunc_end313:
	.size	_ZN7rocprim17ROCPRIM_400000_NS6detail17trampoline_kernelINS0_14default_configENS1_35adjacent_difference_config_selectorILb1ElEEZNS1_24adjacent_difference_implIS3_Lb1ELb0EPlS7_ZN2at6native12_GLOBAL__N_124unique_dim_cuda_templateIaEESt5tupleIJNS8_6TensorESD_SD_EERKSD_lbbbEUlllE1_EE10hipError_tPvRmT2_T3_mT4_P12ihipStream_tbEUlT_E_NS1_11comp_targetILNS1_3genE5ELNS1_11target_archE942ELNS1_3gpuE9ELNS1_3repE0EEENS1_30default_config_static_selectorELNS0_4arch9wavefront6targetE0EEEvT1_, .Lfunc_end313-_ZN7rocprim17ROCPRIM_400000_NS6detail17trampoline_kernelINS0_14default_configENS1_35adjacent_difference_config_selectorILb1ElEEZNS1_24adjacent_difference_implIS3_Lb1ELb0EPlS7_ZN2at6native12_GLOBAL__N_124unique_dim_cuda_templateIaEESt5tupleIJNS8_6TensorESD_SD_EERKSD_lbbbEUlllE1_EE10hipError_tPvRmT2_T3_mT4_P12ihipStream_tbEUlT_E_NS1_11comp_targetILNS1_3genE5ELNS1_11target_archE942ELNS1_3gpuE9ELNS1_3repE0EEENS1_30default_config_static_selectorELNS0_4arch9wavefront6targetE0EEEvT1_
                                        ; -- End function
	.section	.AMDGPU.csdata,"",@progbits
; Kernel info:
; codeLenInByte = 0
; NumSgprs: 0
; NumVgprs: 0
; ScratchSize: 0
; MemoryBound: 0
; FloatMode: 240
; IeeeMode: 1
; LDSByteSize: 0 bytes/workgroup (compile time only)
; SGPRBlocks: 0
; VGPRBlocks: 0
; NumSGPRsForWavesPerEU: 1
; NumVGPRsForWavesPerEU: 1
; Occupancy: 16
; WaveLimiterHint : 0
; COMPUTE_PGM_RSRC2:SCRATCH_EN: 0
; COMPUTE_PGM_RSRC2:USER_SGPR: 15
; COMPUTE_PGM_RSRC2:TRAP_HANDLER: 0
; COMPUTE_PGM_RSRC2:TGID_X_EN: 1
; COMPUTE_PGM_RSRC2:TGID_Y_EN: 0
; COMPUTE_PGM_RSRC2:TGID_Z_EN: 0
; COMPUTE_PGM_RSRC2:TIDIG_COMP_CNT: 0
	.section	.text._ZN7rocprim17ROCPRIM_400000_NS6detail17trampoline_kernelINS0_14default_configENS1_35adjacent_difference_config_selectorILb1ElEEZNS1_24adjacent_difference_implIS3_Lb1ELb0EPlS7_ZN2at6native12_GLOBAL__N_124unique_dim_cuda_templateIaEESt5tupleIJNS8_6TensorESD_SD_EERKSD_lbbbEUlllE1_EE10hipError_tPvRmT2_T3_mT4_P12ihipStream_tbEUlT_E_NS1_11comp_targetILNS1_3genE4ELNS1_11target_archE910ELNS1_3gpuE8ELNS1_3repE0EEENS1_30default_config_static_selectorELNS0_4arch9wavefront6targetE0EEEvT1_,"axG",@progbits,_ZN7rocprim17ROCPRIM_400000_NS6detail17trampoline_kernelINS0_14default_configENS1_35adjacent_difference_config_selectorILb1ElEEZNS1_24adjacent_difference_implIS3_Lb1ELb0EPlS7_ZN2at6native12_GLOBAL__N_124unique_dim_cuda_templateIaEESt5tupleIJNS8_6TensorESD_SD_EERKSD_lbbbEUlllE1_EE10hipError_tPvRmT2_T3_mT4_P12ihipStream_tbEUlT_E_NS1_11comp_targetILNS1_3genE4ELNS1_11target_archE910ELNS1_3gpuE8ELNS1_3repE0EEENS1_30default_config_static_selectorELNS0_4arch9wavefront6targetE0EEEvT1_,comdat
	.globl	_ZN7rocprim17ROCPRIM_400000_NS6detail17trampoline_kernelINS0_14default_configENS1_35adjacent_difference_config_selectorILb1ElEEZNS1_24adjacent_difference_implIS3_Lb1ELb0EPlS7_ZN2at6native12_GLOBAL__N_124unique_dim_cuda_templateIaEESt5tupleIJNS8_6TensorESD_SD_EERKSD_lbbbEUlllE1_EE10hipError_tPvRmT2_T3_mT4_P12ihipStream_tbEUlT_E_NS1_11comp_targetILNS1_3genE4ELNS1_11target_archE910ELNS1_3gpuE8ELNS1_3repE0EEENS1_30default_config_static_selectorELNS0_4arch9wavefront6targetE0EEEvT1_ ; -- Begin function _ZN7rocprim17ROCPRIM_400000_NS6detail17trampoline_kernelINS0_14default_configENS1_35adjacent_difference_config_selectorILb1ElEEZNS1_24adjacent_difference_implIS3_Lb1ELb0EPlS7_ZN2at6native12_GLOBAL__N_124unique_dim_cuda_templateIaEESt5tupleIJNS8_6TensorESD_SD_EERKSD_lbbbEUlllE1_EE10hipError_tPvRmT2_T3_mT4_P12ihipStream_tbEUlT_E_NS1_11comp_targetILNS1_3genE4ELNS1_11target_archE910ELNS1_3gpuE8ELNS1_3repE0EEENS1_30default_config_static_selectorELNS0_4arch9wavefront6targetE0EEEvT1_
	.p2align	8
	.type	_ZN7rocprim17ROCPRIM_400000_NS6detail17trampoline_kernelINS0_14default_configENS1_35adjacent_difference_config_selectorILb1ElEEZNS1_24adjacent_difference_implIS3_Lb1ELb0EPlS7_ZN2at6native12_GLOBAL__N_124unique_dim_cuda_templateIaEESt5tupleIJNS8_6TensorESD_SD_EERKSD_lbbbEUlllE1_EE10hipError_tPvRmT2_T3_mT4_P12ihipStream_tbEUlT_E_NS1_11comp_targetILNS1_3genE4ELNS1_11target_archE910ELNS1_3gpuE8ELNS1_3repE0EEENS1_30default_config_static_selectorELNS0_4arch9wavefront6targetE0EEEvT1_,@function
_ZN7rocprim17ROCPRIM_400000_NS6detail17trampoline_kernelINS0_14default_configENS1_35adjacent_difference_config_selectorILb1ElEEZNS1_24adjacent_difference_implIS3_Lb1ELb0EPlS7_ZN2at6native12_GLOBAL__N_124unique_dim_cuda_templateIaEESt5tupleIJNS8_6TensorESD_SD_EERKSD_lbbbEUlllE1_EE10hipError_tPvRmT2_T3_mT4_P12ihipStream_tbEUlT_E_NS1_11comp_targetILNS1_3genE4ELNS1_11target_archE910ELNS1_3gpuE8ELNS1_3repE0EEENS1_30default_config_static_selectorELNS0_4arch9wavefront6targetE0EEEvT1_: ; @_ZN7rocprim17ROCPRIM_400000_NS6detail17trampoline_kernelINS0_14default_configENS1_35adjacent_difference_config_selectorILb1ElEEZNS1_24adjacent_difference_implIS3_Lb1ELb0EPlS7_ZN2at6native12_GLOBAL__N_124unique_dim_cuda_templateIaEESt5tupleIJNS8_6TensorESD_SD_EERKSD_lbbbEUlllE1_EE10hipError_tPvRmT2_T3_mT4_P12ihipStream_tbEUlT_E_NS1_11comp_targetILNS1_3genE4ELNS1_11target_archE910ELNS1_3gpuE8ELNS1_3repE0EEENS1_30default_config_static_selectorELNS0_4arch9wavefront6targetE0EEEvT1_
; %bb.0:
	.section	.rodata,"a",@progbits
	.p2align	6, 0x0
	.amdhsa_kernel _ZN7rocprim17ROCPRIM_400000_NS6detail17trampoline_kernelINS0_14default_configENS1_35adjacent_difference_config_selectorILb1ElEEZNS1_24adjacent_difference_implIS3_Lb1ELb0EPlS7_ZN2at6native12_GLOBAL__N_124unique_dim_cuda_templateIaEESt5tupleIJNS8_6TensorESD_SD_EERKSD_lbbbEUlllE1_EE10hipError_tPvRmT2_T3_mT4_P12ihipStream_tbEUlT_E_NS1_11comp_targetILNS1_3genE4ELNS1_11target_archE910ELNS1_3gpuE8ELNS1_3repE0EEENS1_30default_config_static_selectorELNS0_4arch9wavefront6targetE0EEEvT1_
		.amdhsa_group_segment_fixed_size 0
		.amdhsa_private_segment_fixed_size 0
		.amdhsa_kernarg_size 64
		.amdhsa_user_sgpr_count 15
		.amdhsa_user_sgpr_dispatch_ptr 0
		.amdhsa_user_sgpr_queue_ptr 0
		.amdhsa_user_sgpr_kernarg_segment_ptr 1
		.amdhsa_user_sgpr_dispatch_id 0
		.amdhsa_user_sgpr_private_segment_size 0
		.amdhsa_wavefront_size32 1
		.amdhsa_uses_dynamic_stack 0
		.amdhsa_enable_private_segment 0
		.amdhsa_system_sgpr_workgroup_id_x 1
		.amdhsa_system_sgpr_workgroup_id_y 0
		.amdhsa_system_sgpr_workgroup_id_z 0
		.amdhsa_system_sgpr_workgroup_info 0
		.amdhsa_system_vgpr_workitem_id 0
		.amdhsa_next_free_vgpr 1
		.amdhsa_next_free_sgpr 1
		.amdhsa_reserve_vcc 0
		.amdhsa_float_round_mode_32 0
		.amdhsa_float_round_mode_16_64 0
		.amdhsa_float_denorm_mode_32 3
		.amdhsa_float_denorm_mode_16_64 3
		.amdhsa_dx10_clamp 1
		.amdhsa_ieee_mode 1
		.amdhsa_fp16_overflow 0
		.amdhsa_workgroup_processor_mode 1
		.amdhsa_memory_ordered 1
		.amdhsa_forward_progress 0
		.amdhsa_shared_vgpr_count 0
		.amdhsa_exception_fp_ieee_invalid_op 0
		.amdhsa_exception_fp_denorm_src 0
		.amdhsa_exception_fp_ieee_div_zero 0
		.amdhsa_exception_fp_ieee_overflow 0
		.amdhsa_exception_fp_ieee_underflow 0
		.amdhsa_exception_fp_ieee_inexact 0
		.amdhsa_exception_int_div_zero 0
	.end_amdhsa_kernel
	.section	.text._ZN7rocprim17ROCPRIM_400000_NS6detail17trampoline_kernelINS0_14default_configENS1_35adjacent_difference_config_selectorILb1ElEEZNS1_24adjacent_difference_implIS3_Lb1ELb0EPlS7_ZN2at6native12_GLOBAL__N_124unique_dim_cuda_templateIaEESt5tupleIJNS8_6TensorESD_SD_EERKSD_lbbbEUlllE1_EE10hipError_tPvRmT2_T3_mT4_P12ihipStream_tbEUlT_E_NS1_11comp_targetILNS1_3genE4ELNS1_11target_archE910ELNS1_3gpuE8ELNS1_3repE0EEENS1_30default_config_static_selectorELNS0_4arch9wavefront6targetE0EEEvT1_,"axG",@progbits,_ZN7rocprim17ROCPRIM_400000_NS6detail17trampoline_kernelINS0_14default_configENS1_35adjacent_difference_config_selectorILb1ElEEZNS1_24adjacent_difference_implIS3_Lb1ELb0EPlS7_ZN2at6native12_GLOBAL__N_124unique_dim_cuda_templateIaEESt5tupleIJNS8_6TensorESD_SD_EERKSD_lbbbEUlllE1_EE10hipError_tPvRmT2_T3_mT4_P12ihipStream_tbEUlT_E_NS1_11comp_targetILNS1_3genE4ELNS1_11target_archE910ELNS1_3gpuE8ELNS1_3repE0EEENS1_30default_config_static_selectorELNS0_4arch9wavefront6targetE0EEEvT1_,comdat
.Lfunc_end314:
	.size	_ZN7rocprim17ROCPRIM_400000_NS6detail17trampoline_kernelINS0_14default_configENS1_35adjacent_difference_config_selectorILb1ElEEZNS1_24adjacent_difference_implIS3_Lb1ELb0EPlS7_ZN2at6native12_GLOBAL__N_124unique_dim_cuda_templateIaEESt5tupleIJNS8_6TensorESD_SD_EERKSD_lbbbEUlllE1_EE10hipError_tPvRmT2_T3_mT4_P12ihipStream_tbEUlT_E_NS1_11comp_targetILNS1_3genE4ELNS1_11target_archE910ELNS1_3gpuE8ELNS1_3repE0EEENS1_30default_config_static_selectorELNS0_4arch9wavefront6targetE0EEEvT1_, .Lfunc_end314-_ZN7rocprim17ROCPRIM_400000_NS6detail17trampoline_kernelINS0_14default_configENS1_35adjacent_difference_config_selectorILb1ElEEZNS1_24adjacent_difference_implIS3_Lb1ELb0EPlS7_ZN2at6native12_GLOBAL__N_124unique_dim_cuda_templateIaEESt5tupleIJNS8_6TensorESD_SD_EERKSD_lbbbEUlllE1_EE10hipError_tPvRmT2_T3_mT4_P12ihipStream_tbEUlT_E_NS1_11comp_targetILNS1_3genE4ELNS1_11target_archE910ELNS1_3gpuE8ELNS1_3repE0EEENS1_30default_config_static_selectorELNS0_4arch9wavefront6targetE0EEEvT1_
                                        ; -- End function
	.section	.AMDGPU.csdata,"",@progbits
; Kernel info:
; codeLenInByte = 0
; NumSgprs: 0
; NumVgprs: 0
; ScratchSize: 0
; MemoryBound: 0
; FloatMode: 240
; IeeeMode: 1
; LDSByteSize: 0 bytes/workgroup (compile time only)
; SGPRBlocks: 0
; VGPRBlocks: 0
; NumSGPRsForWavesPerEU: 1
; NumVGPRsForWavesPerEU: 1
; Occupancy: 16
; WaveLimiterHint : 0
; COMPUTE_PGM_RSRC2:SCRATCH_EN: 0
; COMPUTE_PGM_RSRC2:USER_SGPR: 15
; COMPUTE_PGM_RSRC2:TRAP_HANDLER: 0
; COMPUTE_PGM_RSRC2:TGID_X_EN: 1
; COMPUTE_PGM_RSRC2:TGID_Y_EN: 0
; COMPUTE_PGM_RSRC2:TGID_Z_EN: 0
; COMPUTE_PGM_RSRC2:TIDIG_COMP_CNT: 0
	.section	.text._ZN7rocprim17ROCPRIM_400000_NS6detail17trampoline_kernelINS0_14default_configENS1_35adjacent_difference_config_selectorILb1ElEEZNS1_24adjacent_difference_implIS3_Lb1ELb0EPlS7_ZN2at6native12_GLOBAL__N_124unique_dim_cuda_templateIaEESt5tupleIJNS8_6TensorESD_SD_EERKSD_lbbbEUlllE1_EE10hipError_tPvRmT2_T3_mT4_P12ihipStream_tbEUlT_E_NS1_11comp_targetILNS1_3genE3ELNS1_11target_archE908ELNS1_3gpuE7ELNS1_3repE0EEENS1_30default_config_static_selectorELNS0_4arch9wavefront6targetE0EEEvT1_,"axG",@progbits,_ZN7rocprim17ROCPRIM_400000_NS6detail17trampoline_kernelINS0_14default_configENS1_35adjacent_difference_config_selectorILb1ElEEZNS1_24adjacent_difference_implIS3_Lb1ELb0EPlS7_ZN2at6native12_GLOBAL__N_124unique_dim_cuda_templateIaEESt5tupleIJNS8_6TensorESD_SD_EERKSD_lbbbEUlllE1_EE10hipError_tPvRmT2_T3_mT4_P12ihipStream_tbEUlT_E_NS1_11comp_targetILNS1_3genE3ELNS1_11target_archE908ELNS1_3gpuE7ELNS1_3repE0EEENS1_30default_config_static_selectorELNS0_4arch9wavefront6targetE0EEEvT1_,comdat
	.globl	_ZN7rocprim17ROCPRIM_400000_NS6detail17trampoline_kernelINS0_14default_configENS1_35adjacent_difference_config_selectorILb1ElEEZNS1_24adjacent_difference_implIS3_Lb1ELb0EPlS7_ZN2at6native12_GLOBAL__N_124unique_dim_cuda_templateIaEESt5tupleIJNS8_6TensorESD_SD_EERKSD_lbbbEUlllE1_EE10hipError_tPvRmT2_T3_mT4_P12ihipStream_tbEUlT_E_NS1_11comp_targetILNS1_3genE3ELNS1_11target_archE908ELNS1_3gpuE7ELNS1_3repE0EEENS1_30default_config_static_selectorELNS0_4arch9wavefront6targetE0EEEvT1_ ; -- Begin function _ZN7rocprim17ROCPRIM_400000_NS6detail17trampoline_kernelINS0_14default_configENS1_35adjacent_difference_config_selectorILb1ElEEZNS1_24adjacent_difference_implIS3_Lb1ELb0EPlS7_ZN2at6native12_GLOBAL__N_124unique_dim_cuda_templateIaEESt5tupleIJNS8_6TensorESD_SD_EERKSD_lbbbEUlllE1_EE10hipError_tPvRmT2_T3_mT4_P12ihipStream_tbEUlT_E_NS1_11comp_targetILNS1_3genE3ELNS1_11target_archE908ELNS1_3gpuE7ELNS1_3repE0EEENS1_30default_config_static_selectorELNS0_4arch9wavefront6targetE0EEEvT1_
	.p2align	8
	.type	_ZN7rocprim17ROCPRIM_400000_NS6detail17trampoline_kernelINS0_14default_configENS1_35adjacent_difference_config_selectorILb1ElEEZNS1_24adjacent_difference_implIS3_Lb1ELb0EPlS7_ZN2at6native12_GLOBAL__N_124unique_dim_cuda_templateIaEESt5tupleIJNS8_6TensorESD_SD_EERKSD_lbbbEUlllE1_EE10hipError_tPvRmT2_T3_mT4_P12ihipStream_tbEUlT_E_NS1_11comp_targetILNS1_3genE3ELNS1_11target_archE908ELNS1_3gpuE7ELNS1_3repE0EEENS1_30default_config_static_selectorELNS0_4arch9wavefront6targetE0EEEvT1_,@function
_ZN7rocprim17ROCPRIM_400000_NS6detail17trampoline_kernelINS0_14default_configENS1_35adjacent_difference_config_selectorILb1ElEEZNS1_24adjacent_difference_implIS3_Lb1ELb0EPlS7_ZN2at6native12_GLOBAL__N_124unique_dim_cuda_templateIaEESt5tupleIJNS8_6TensorESD_SD_EERKSD_lbbbEUlllE1_EE10hipError_tPvRmT2_T3_mT4_P12ihipStream_tbEUlT_E_NS1_11comp_targetILNS1_3genE3ELNS1_11target_archE908ELNS1_3gpuE7ELNS1_3repE0EEENS1_30default_config_static_selectorELNS0_4arch9wavefront6targetE0EEEvT1_: ; @_ZN7rocprim17ROCPRIM_400000_NS6detail17trampoline_kernelINS0_14default_configENS1_35adjacent_difference_config_selectorILb1ElEEZNS1_24adjacent_difference_implIS3_Lb1ELb0EPlS7_ZN2at6native12_GLOBAL__N_124unique_dim_cuda_templateIaEESt5tupleIJNS8_6TensorESD_SD_EERKSD_lbbbEUlllE1_EE10hipError_tPvRmT2_T3_mT4_P12ihipStream_tbEUlT_E_NS1_11comp_targetILNS1_3genE3ELNS1_11target_archE908ELNS1_3gpuE7ELNS1_3repE0EEENS1_30default_config_static_selectorELNS0_4arch9wavefront6targetE0EEEvT1_
; %bb.0:
	.section	.rodata,"a",@progbits
	.p2align	6, 0x0
	.amdhsa_kernel _ZN7rocprim17ROCPRIM_400000_NS6detail17trampoline_kernelINS0_14default_configENS1_35adjacent_difference_config_selectorILb1ElEEZNS1_24adjacent_difference_implIS3_Lb1ELb0EPlS7_ZN2at6native12_GLOBAL__N_124unique_dim_cuda_templateIaEESt5tupleIJNS8_6TensorESD_SD_EERKSD_lbbbEUlllE1_EE10hipError_tPvRmT2_T3_mT4_P12ihipStream_tbEUlT_E_NS1_11comp_targetILNS1_3genE3ELNS1_11target_archE908ELNS1_3gpuE7ELNS1_3repE0EEENS1_30default_config_static_selectorELNS0_4arch9wavefront6targetE0EEEvT1_
		.amdhsa_group_segment_fixed_size 0
		.amdhsa_private_segment_fixed_size 0
		.amdhsa_kernarg_size 64
		.amdhsa_user_sgpr_count 15
		.amdhsa_user_sgpr_dispatch_ptr 0
		.amdhsa_user_sgpr_queue_ptr 0
		.amdhsa_user_sgpr_kernarg_segment_ptr 1
		.amdhsa_user_sgpr_dispatch_id 0
		.amdhsa_user_sgpr_private_segment_size 0
		.amdhsa_wavefront_size32 1
		.amdhsa_uses_dynamic_stack 0
		.amdhsa_enable_private_segment 0
		.amdhsa_system_sgpr_workgroup_id_x 1
		.amdhsa_system_sgpr_workgroup_id_y 0
		.amdhsa_system_sgpr_workgroup_id_z 0
		.amdhsa_system_sgpr_workgroup_info 0
		.amdhsa_system_vgpr_workitem_id 0
		.amdhsa_next_free_vgpr 1
		.amdhsa_next_free_sgpr 1
		.amdhsa_reserve_vcc 0
		.amdhsa_float_round_mode_32 0
		.amdhsa_float_round_mode_16_64 0
		.amdhsa_float_denorm_mode_32 3
		.amdhsa_float_denorm_mode_16_64 3
		.amdhsa_dx10_clamp 1
		.amdhsa_ieee_mode 1
		.amdhsa_fp16_overflow 0
		.amdhsa_workgroup_processor_mode 1
		.amdhsa_memory_ordered 1
		.amdhsa_forward_progress 0
		.amdhsa_shared_vgpr_count 0
		.amdhsa_exception_fp_ieee_invalid_op 0
		.amdhsa_exception_fp_denorm_src 0
		.amdhsa_exception_fp_ieee_div_zero 0
		.amdhsa_exception_fp_ieee_overflow 0
		.amdhsa_exception_fp_ieee_underflow 0
		.amdhsa_exception_fp_ieee_inexact 0
		.amdhsa_exception_int_div_zero 0
	.end_amdhsa_kernel
	.section	.text._ZN7rocprim17ROCPRIM_400000_NS6detail17trampoline_kernelINS0_14default_configENS1_35adjacent_difference_config_selectorILb1ElEEZNS1_24adjacent_difference_implIS3_Lb1ELb0EPlS7_ZN2at6native12_GLOBAL__N_124unique_dim_cuda_templateIaEESt5tupleIJNS8_6TensorESD_SD_EERKSD_lbbbEUlllE1_EE10hipError_tPvRmT2_T3_mT4_P12ihipStream_tbEUlT_E_NS1_11comp_targetILNS1_3genE3ELNS1_11target_archE908ELNS1_3gpuE7ELNS1_3repE0EEENS1_30default_config_static_selectorELNS0_4arch9wavefront6targetE0EEEvT1_,"axG",@progbits,_ZN7rocprim17ROCPRIM_400000_NS6detail17trampoline_kernelINS0_14default_configENS1_35adjacent_difference_config_selectorILb1ElEEZNS1_24adjacent_difference_implIS3_Lb1ELb0EPlS7_ZN2at6native12_GLOBAL__N_124unique_dim_cuda_templateIaEESt5tupleIJNS8_6TensorESD_SD_EERKSD_lbbbEUlllE1_EE10hipError_tPvRmT2_T3_mT4_P12ihipStream_tbEUlT_E_NS1_11comp_targetILNS1_3genE3ELNS1_11target_archE908ELNS1_3gpuE7ELNS1_3repE0EEENS1_30default_config_static_selectorELNS0_4arch9wavefront6targetE0EEEvT1_,comdat
.Lfunc_end315:
	.size	_ZN7rocprim17ROCPRIM_400000_NS6detail17trampoline_kernelINS0_14default_configENS1_35adjacent_difference_config_selectorILb1ElEEZNS1_24adjacent_difference_implIS3_Lb1ELb0EPlS7_ZN2at6native12_GLOBAL__N_124unique_dim_cuda_templateIaEESt5tupleIJNS8_6TensorESD_SD_EERKSD_lbbbEUlllE1_EE10hipError_tPvRmT2_T3_mT4_P12ihipStream_tbEUlT_E_NS1_11comp_targetILNS1_3genE3ELNS1_11target_archE908ELNS1_3gpuE7ELNS1_3repE0EEENS1_30default_config_static_selectorELNS0_4arch9wavefront6targetE0EEEvT1_, .Lfunc_end315-_ZN7rocprim17ROCPRIM_400000_NS6detail17trampoline_kernelINS0_14default_configENS1_35adjacent_difference_config_selectorILb1ElEEZNS1_24adjacent_difference_implIS3_Lb1ELb0EPlS7_ZN2at6native12_GLOBAL__N_124unique_dim_cuda_templateIaEESt5tupleIJNS8_6TensorESD_SD_EERKSD_lbbbEUlllE1_EE10hipError_tPvRmT2_T3_mT4_P12ihipStream_tbEUlT_E_NS1_11comp_targetILNS1_3genE3ELNS1_11target_archE908ELNS1_3gpuE7ELNS1_3repE0EEENS1_30default_config_static_selectorELNS0_4arch9wavefront6targetE0EEEvT1_
                                        ; -- End function
	.section	.AMDGPU.csdata,"",@progbits
; Kernel info:
; codeLenInByte = 0
; NumSgprs: 0
; NumVgprs: 0
; ScratchSize: 0
; MemoryBound: 0
; FloatMode: 240
; IeeeMode: 1
; LDSByteSize: 0 bytes/workgroup (compile time only)
; SGPRBlocks: 0
; VGPRBlocks: 0
; NumSGPRsForWavesPerEU: 1
; NumVGPRsForWavesPerEU: 1
; Occupancy: 16
; WaveLimiterHint : 0
; COMPUTE_PGM_RSRC2:SCRATCH_EN: 0
; COMPUTE_PGM_RSRC2:USER_SGPR: 15
; COMPUTE_PGM_RSRC2:TRAP_HANDLER: 0
; COMPUTE_PGM_RSRC2:TGID_X_EN: 1
; COMPUTE_PGM_RSRC2:TGID_Y_EN: 0
; COMPUTE_PGM_RSRC2:TGID_Z_EN: 0
; COMPUTE_PGM_RSRC2:TIDIG_COMP_CNT: 0
	.section	.text._ZN7rocprim17ROCPRIM_400000_NS6detail17trampoline_kernelINS0_14default_configENS1_35adjacent_difference_config_selectorILb1ElEEZNS1_24adjacent_difference_implIS3_Lb1ELb0EPlS7_ZN2at6native12_GLOBAL__N_124unique_dim_cuda_templateIaEESt5tupleIJNS8_6TensorESD_SD_EERKSD_lbbbEUlllE1_EE10hipError_tPvRmT2_T3_mT4_P12ihipStream_tbEUlT_E_NS1_11comp_targetILNS1_3genE2ELNS1_11target_archE906ELNS1_3gpuE6ELNS1_3repE0EEENS1_30default_config_static_selectorELNS0_4arch9wavefront6targetE0EEEvT1_,"axG",@progbits,_ZN7rocprim17ROCPRIM_400000_NS6detail17trampoline_kernelINS0_14default_configENS1_35adjacent_difference_config_selectorILb1ElEEZNS1_24adjacent_difference_implIS3_Lb1ELb0EPlS7_ZN2at6native12_GLOBAL__N_124unique_dim_cuda_templateIaEESt5tupleIJNS8_6TensorESD_SD_EERKSD_lbbbEUlllE1_EE10hipError_tPvRmT2_T3_mT4_P12ihipStream_tbEUlT_E_NS1_11comp_targetILNS1_3genE2ELNS1_11target_archE906ELNS1_3gpuE6ELNS1_3repE0EEENS1_30default_config_static_selectorELNS0_4arch9wavefront6targetE0EEEvT1_,comdat
	.globl	_ZN7rocprim17ROCPRIM_400000_NS6detail17trampoline_kernelINS0_14default_configENS1_35adjacent_difference_config_selectorILb1ElEEZNS1_24adjacent_difference_implIS3_Lb1ELb0EPlS7_ZN2at6native12_GLOBAL__N_124unique_dim_cuda_templateIaEESt5tupleIJNS8_6TensorESD_SD_EERKSD_lbbbEUlllE1_EE10hipError_tPvRmT2_T3_mT4_P12ihipStream_tbEUlT_E_NS1_11comp_targetILNS1_3genE2ELNS1_11target_archE906ELNS1_3gpuE6ELNS1_3repE0EEENS1_30default_config_static_selectorELNS0_4arch9wavefront6targetE0EEEvT1_ ; -- Begin function _ZN7rocprim17ROCPRIM_400000_NS6detail17trampoline_kernelINS0_14default_configENS1_35adjacent_difference_config_selectorILb1ElEEZNS1_24adjacent_difference_implIS3_Lb1ELb0EPlS7_ZN2at6native12_GLOBAL__N_124unique_dim_cuda_templateIaEESt5tupleIJNS8_6TensorESD_SD_EERKSD_lbbbEUlllE1_EE10hipError_tPvRmT2_T3_mT4_P12ihipStream_tbEUlT_E_NS1_11comp_targetILNS1_3genE2ELNS1_11target_archE906ELNS1_3gpuE6ELNS1_3repE0EEENS1_30default_config_static_selectorELNS0_4arch9wavefront6targetE0EEEvT1_
	.p2align	8
	.type	_ZN7rocprim17ROCPRIM_400000_NS6detail17trampoline_kernelINS0_14default_configENS1_35adjacent_difference_config_selectorILb1ElEEZNS1_24adjacent_difference_implIS3_Lb1ELb0EPlS7_ZN2at6native12_GLOBAL__N_124unique_dim_cuda_templateIaEESt5tupleIJNS8_6TensorESD_SD_EERKSD_lbbbEUlllE1_EE10hipError_tPvRmT2_T3_mT4_P12ihipStream_tbEUlT_E_NS1_11comp_targetILNS1_3genE2ELNS1_11target_archE906ELNS1_3gpuE6ELNS1_3repE0EEENS1_30default_config_static_selectorELNS0_4arch9wavefront6targetE0EEEvT1_,@function
_ZN7rocprim17ROCPRIM_400000_NS6detail17trampoline_kernelINS0_14default_configENS1_35adjacent_difference_config_selectorILb1ElEEZNS1_24adjacent_difference_implIS3_Lb1ELb0EPlS7_ZN2at6native12_GLOBAL__N_124unique_dim_cuda_templateIaEESt5tupleIJNS8_6TensorESD_SD_EERKSD_lbbbEUlllE1_EE10hipError_tPvRmT2_T3_mT4_P12ihipStream_tbEUlT_E_NS1_11comp_targetILNS1_3genE2ELNS1_11target_archE906ELNS1_3gpuE6ELNS1_3repE0EEENS1_30default_config_static_selectorELNS0_4arch9wavefront6targetE0EEEvT1_: ; @_ZN7rocprim17ROCPRIM_400000_NS6detail17trampoline_kernelINS0_14default_configENS1_35adjacent_difference_config_selectorILb1ElEEZNS1_24adjacent_difference_implIS3_Lb1ELb0EPlS7_ZN2at6native12_GLOBAL__N_124unique_dim_cuda_templateIaEESt5tupleIJNS8_6TensorESD_SD_EERKSD_lbbbEUlllE1_EE10hipError_tPvRmT2_T3_mT4_P12ihipStream_tbEUlT_E_NS1_11comp_targetILNS1_3genE2ELNS1_11target_archE906ELNS1_3gpuE6ELNS1_3repE0EEENS1_30default_config_static_selectorELNS0_4arch9wavefront6targetE0EEEvT1_
; %bb.0:
	.section	.rodata,"a",@progbits
	.p2align	6, 0x0
	.amdhsa_kernel _ZN7rocprim17ROCPRIM_400000_NS6detail17trampoline_kernelINS0_14default_configENS1_35adjacent_difference_config_selectorILb1ElEEZNS1_24adjacent_difference_implIS3_Lb1ELb0EPlS7_ZN2at6native12_GLOBAL__N_124unique_dim_cuda_templateIaEESt5tupleIJNS8_6TensorESD_SD_EERKSD_lbbbEUlllE1_EE10hipError_tPvRmT2_T3_mT4_P12ihipStream_tbEUlT_E_NS1_11comp_targetILNS1_3genE2ELNS1_11target_archE906ELNS1_3gpuE6ELNS1_3repE0EEENS1_30default_config_static_selectorELNS0_4arch9wavefront6targetE0EEEvT1_
		.amdhsa_group_segment_fixed_size 0
		.amdhsa_private_segment_fixed_size 0
		.amdhsa_kernarg_size 64
		.amdhsa_user_sgpr_count 15
		.amdhsa_user_sgpr_dispatch_ptr 0
		.amdhsa_user_sgpr_queue_ptr 0
		.amdhsa_user_sgpr_kernarg_segment_ptr 1
		.amdhsa_user_sgpr_dispatch_id 0
		.amdhsa_user_sgpr_private_segment_size 0
		.amdhsa_wavefront_size32 1
		.amdhsa_uses_dynamic_stack 0
		.amdhsa_enable_private_segment 0
		.amdhsa_system_sgpr_workgroup_id_x 1
		.amdhsa_system_sgpr_workgroup_id_y 0
		.amdhsa_system_sgpr_workgroup_id_z 0
		.amdhsa_system_sgpr_workgroup_info 0
		.amdhsa_system_vgpr_workitem_id 0
		.amdhsa_next_free_vgpr 1
		.amdhsa_next_free_sgpr 1
		.amdhsa_reserve_vcc 0
		.amdhsa_float_round_mode_32 0
		.amdhsa_float_round_mode_16_64 0
		.amdhsa_float_denorm_mode_32 3
		.amdhsa_float_denorm_mode_16_64 3
		.amdhsa_dx10_clamp 1
		.amdhsa_ieee_mode 1
		.amdhsa_fp16_overflow 0
		.amdhsa_workgroup_processor_mode 1
		.amdhsa_memory_ordered 1
		.amdhsa_forward_progress 0
		.amdhsa_shared_vgpr_count 0
		.amdhsa_exception_fp_ieee_invalid_op 0
		.amdhsa_exception_fp_denorm_src 0
		.amdhsa_exception_fp_ieee_div_zero 0
		.amdhsa_exception_fp_ieee_overflow 0
		.amdhsa_exception_fp_ieee_underflow 0
		.amdhsa_exception_fp_ieee_inexact 0
		.amdhsa_exception_int_div_zero 0
	.end_amdhsa_kernel
	.section	.text._ZN7rocprim17ROCPRIM_400000_NS6detail17trampoline_kernelINS0_14default_configENS1_35adjacent_difference_config_selectorILb1ElEEZNS1_24adjacent_difference_implIS3_Lb1ELb0EPlS7_ZN2at6native12_GLOBAL__N_124unique_dim_cuda_templateIaEESt5tupleIJNS8_6TensorESD_SD_EERKSD_lbbbEUlllE1_EE10hipError_tPvRmT2_T3_mT4_P12ihipStream_tbEUlT_E_NS1_11comp_targetILNS1_3genE2ELNS1_11target_archE906ELNS1_3gpuE6ELNS1_3repE0EEENS1_30default_config_static_selectorELNS0_4arch9wavefront6targetE0EEEvT1_,"axG",@progbits,_ZN7rocprim17ROCPRIM_400000_NS6detail17trampoline_kernelINS0_14default_configENS1_35adjacent_difference_config_selectorILb1ElEEZNS1_24adjacent_difference_implIS3_Lb1ELb0EPlS7_ZN2at6native12_GLOBAL__N_124unique_dim_cuda_templateIaEESt5tupleIJNS8_6TensorESD_SD_EERKSD_lbbbEUlllE1_EE10hipError_tPvRmT2_T3_mT4_P12ihipStream_tbEUlT_E_NS1_11comp_targetILNS1_3genE2ELNS1_11target_archE906ELNS1_3gpuE6ELNS1_3repE0EEENS1_30default_config_static_selectorELNS0_4arch9wavefront6targetE0EEEvT1_,comdat
.Lfunc_end316:
	.size	_ZN7rocprim17ROCPRIM_400000_NS6detail17trampoline_kernelINS0_14default_configENS1_35adjacent_difference_config_selectorILb1ElEEZNS1_24adjacent_difference_implIS3_Lb1ELb0EPlS7_ZN2at6native12_GLOBAL__N_124unique_dim_cuda_templateIaEESt5tupleIJNS8_6TensorESD_SD_EERKSD_lbbbEUlllE1_EE10hipError_tPvRmT2_T3_mT4_P12ihipStream_tbEUlT_E_NS1_11comp_targetILNS1_3genE2ELNS1_11target_archE906ELNS1_3gpuE6ELNS1_3repE0EEENS1_30default_config_static_selectorELNS0_4arch9wavefront6targetE0EEEvT1_, .Lfunc_end316-_ZN7rocprim17ROCPRIM_400000_NS6detail17trampoline_kernelINS0_14default_configENS1_35adjacent_difference_config_selectorILb1ElEEZNS1_24adjacent_difference_implIS3_Lb1ELb0EPlS7_ZN2at6native12_GLOBAL__N_124unique_dim_cuda_templateIaEESt5tupleIJNS8_6TensorESD_SD_EERKSD_lbbbEUlllE1_EE10hipError_tPvRmT2_T3_mT4_P12ihipStream_tbEUlT_E_NS1_11comp_targetILNS1_3genE2ELNS1_11target_archE906ELNS1_3gpuE6ELNS1_3repE0EEENS1_30default_config_static_selectorELNS0_4arch9wavefront6targetE0EEEvT1_
                                        ; -- End function
	.section	.AMDGPU.csdata,"",@progbits
; Kernel info:
; codeLenInByte = 0
; NumSgprs: 0
; NumVgprs: 0
; ScratchSize: 0
; MemoryBound: 0
; FloatMode: 240
; IeeeMode: 1
; LDSByteSize: 0 bytes/workgroup (compile time only)
; SGPRBlocks: 0
; VGPRBlocks: 0
; NumSGPRsForWavesPerEU: 1
; NumVGPRsForWavesPerEU: 1
; Occupancy: 16
; WaveLimiterHint : 0
; COMPUTE_PGM_RSRC2:SCRATCH_EN: 0
; COMPUTE_PGM_RSRC2:USER_SGPR: 15
; COMPUTE_PGM_RSRC2:TRAP_HANDLER: 0
; COMPUTE_PGM_RSRC2:TGID_X_EN: 1
; COMPUTE_PGM_RSRC2:TGID_Y_EN: 0
; COMPUTE_PGM_RSRC2:TGID_Z_EN: 0
; COMPUTE_PGM_RSRC2:TIDIG_COMP_CNT: 0
	.section	.text._ZN7rocprim17ROCPRIM_400000_NS6detail17trampoline_kernelINS0_14default_configENS1_35adjacent_difference_config_selectorILb1ElEEZNS1_24adjacent_difference_implIS3_Lb1ELb0EPlS7_ZN2at6native12_GLOBAL__N_124unique_dim_cuda_templateIaEESt5tupleIJNS8_6TensorESD_SD_EERKSD_lbbbEUlllE1_EE10hipError_tPvRmT2_T3_mT4_P12ihipStream_tbEUlT_E_NS1_11comp_targetILNS1_3genE9ELNS1_11target_archE1100ELNS1_3gpuE3ELNS1_3repE0EEENS1_30default_config_static_selectorELNS0_4arch9wavefront6targetE0EEEvT1_,"axG",@progbits,_ZN7rocprim17ROCPRIM_400000_NS6detail17trampoline_kernelINS0_14default_configENS1_35adjacent_difference_config_selectorILb1ElEEZNS1_24adjacent_difference_implIS3_Lb1ELb0EPlS7_ZN2at6native12_GLOBAL__N_124unique_dim_cuda_templateIaEESt5tupleIJNS8_6TensorESD_SD_EERKSD_lbbbEUlllE1_EE10hipError_tPvRmT2_T3_mT4_P12ihipStream_tbEUlT_E_NS1_11comp_targetILNS1_3genE9ELNS1_11target_archE1100ELNS1_3gpuE3ELNS1_3repE0EEENS1_30default_config_static_selectorELNS0_4arch9wavefront6targetE0EEEvT1_,comdat
	.globl	_ZN7rocprim17ROCPRIM_400000_NS6detail17trampoline_kernelINS0_14default_configENS1_35adjacent_difference_config_selectorILb1ElEEZNS1_24adjacent_difference_implIS3_Lb1ELb0EPlS7_ZN2at6native12_GLOBAL__N_124unique_dim_cuda_templateIaEESt5tupleIJNS8_6TensorESD_SD_EERKSD_lbbbEUlllE1_EE10hipError_tPvRmT2_T3_mT4_P12ihipStream_tbEUlT_E_NS1_11comp_targetILNS1_3genE9ELNS1_11target_archE1100ELNS1_3gpuE3ELNS1_3repE0EEENS1_30default_config_static_selectorELNS0_4arch9wavefront6targetE0EEEvT1_ ; -- Begin function _ZN7rocprim17ROCPRIM_400000_NS6detail17trampoline_kernelINS0_14default_configENS1_35adjacent_difference_config_selectorILb1ElEEZNS1_24adjacent_difference_implIS3_Lb1ELb0EPlS7_ZN2at6native12_GLOBAL__N_124unique_dim_cuda_templateIaEESt5tupleIJNS8_6TensorESD_SD_EERKSD_lbbbEUlllE1_EE10hipError_tPvRmT2_T3_mT4_P12ihipStream_tbEUlT_E_NS1_11comp_targetILNS1_3genE9ELNS1_11target_archE1100ELNS1_3gpuE3ELNS1_3repE0EEENS1_30default_config_static_selectorELNS0_4arch9wavefront6targetE0EEEvT1_
	.p2align	8
	.type	_ZN7rocprim17ROCPRIM_400000_NS6detail17trampoline_kernelINS0_14default_configENS1_35adjacent_difference_config_selectorILb1ElEEZNS1_24adjacent_difference_implIS3_Lb1ELb0EPlS7_ZN2at6native12_GLOBAL__N_124unique_dim_cuda_templateIaEESt5tupleIJNS8_6TensorESD_SD_EERKSD_lbbbEUlllE1_EE10hipError_tPvRmT2_T3_mT4_P12ihipStream_tbEUlT_E_NS1_11comp_targetILNS1_3genE9ELNS1_11target_archE1100ELNS1_3gpuE3ELNS1_3repE0EEENS1_30default_config_static_selectorELNS0_4arch9wavefront6targetE0EEEvT1_,@function
_ZN7rocprim17ROCPRIM_400000_NS6detail17trampoline_kernelINS0_14default_configENS1_35adjacent_difference_config_selectorILb1ElEEZNS1_24adjacent_difference_implIS3_Lb1ELb0EPlS7_ZN2at6native12_GLOBAL__N_124unique_dim_cuda_templateIaEESt5tupleIJNS8_6TensorESD_SD_EERKSD_lbbbEUlllE1_EE10hipError_tPvRmT2_T3_mT4_P12ihipStream_tbEUlT_E_NS1_11comp_targetILNS1_3genE9ELNS1_11target_archE1100ELNS1_3gpuE3ELNS1_3repE0EEENS1_30default_config_static_selectorELNS0_4arch9wavefront6targetE0EEEvT1_: ; @_ZN7rocprim17ROCPRIM_400000_NS6detail17trampoline_kernelINS0_14default_configENS1_35adjacent_difference_config_selectorILb1ElEEZNS1_24adjacent_difference_implIS3_Lb1ELb0EPlS7_ZN2at6native12_GLOBAL__N_124unique_dim_cuda_templateIaEESt5tupleIJNS8_6TensorESD_SD_EERKSD_lbbbEUlllE1_EE10hipError_tPvRmT2_T3_mT4_P12ihipStream_tbEUlT_E_NS1_11comp_targetILNS1_3genE9ELNS1_11target_archE1100ELNS1_3gpuE3ELNS1_3repE0EEENS1_30default_config_static_selectorELNS0_4arch9wavefront6targetE0EEEvT1_
; %bb.0:
	s_mov_b32 s20, s15
	s_load_b512 s[0:15], s[0:1], 0x0
	s_waitcnt lgkmcnt(0)
	s_lshl_b64 s[16:17], s[2:3], 3
	s_mov_b32 s2, 0x411a7a30
	s_add_u32 s27, s0, s16
	s_addc_u32 s28, s1, s17
	s_add_u32 s0, 0x76, s2
	s_addc_u32 s1, 0, 0
	v_add_co_u32 v1, s0, 0x20000000, s0
	s_delay_alu instid0(VALU_DEP_1) | instskip(SKIP_1) | instid1(VALU_DEP_1)
	s_cmp_lg_u32 s0, 0
	s_addc_u32 s1, s1, 0x11a7b9
	v_readfirstlane_b32 s0, v1
	s_mul_i32 s2, s1, 0xfffff180
	s_delay_alu instid0(VALU_DEP_1)
	s_mul_hi_u32 s3, s0, 0xfffff180
	s_mul_i32 s18, s0, 0xfffff180
	s_sub_i32 s3, s3, s0
	s_mul_hi_u32 s19, s0, s18
	s_add_i32 s3, s3, s2
	s_mul_hi_u32 s21, s1, s18
	s_mul_i32 s2, s1, s18
	s_mul_hi_u32 s18, s0, s3
	s_mul_i32 s0, s0, s3
	s_mul_hi_u32 s22, s1, s3
	s_add_u32 s0, s19, s0
	s_addc_u32 s18, 0, s18
	s_add_u32 s0, s0, s2
	s_mul_i32 s3, s1, s3
	s_addc_u32 s0, s18, s21
	s_addc_u32 s2, s22, 0
	s_add_u32 s0, s0, s3
	s_addc_u32 s2, 0, s2
	v_add_co_u32 v1, s0, v1, s0
	s_delay_alu instid0(VALU_DEP_1) | instskip(SKIP_1) | instid1(VALU_DEP_1)
	s_cmp_lg_u32 s0, 0
	s_addc_u32 s0, s1, s2
	v_readfirstlane_b32 s1, v1
	s_mul_i32 s3, s6, s0
	s_mul_hi_u32 s2, s6, s0
	s_mul_hi_u32 s18, s7, s0
	s_mul_i32 s0, s7, s0
	s_mul_hi_u32 s19, s6, s1
	s_mul_hi_u32 s21, s7, s1
	s_mul_i32 s1, s7, s1
	s_add_u32 s3, s19, s3
	s_addc_u32 s2, 0, s2
	s_add_u32 s1, s3, s1
	s_addc_u32 s1, s2, s21
	s_addc_u32 s2, s18, 0
	s_add_u32 s0, s1, s0
	s_addc_u32 s1, 0, s2
	s_mul_i32 s3, s0, 0xe80
	s_add_u32 s2, s0, 1
	v_sub_co_u32 v1, s3, s6, s3
	s_mul_hi_u32 s18, s0, 0xe80
	s_addc_u32 s19, s1, 0
	s_mul_i32 s21, s1, 0xe80
	s_delay_alu instid0(VALU_DEP_1)
	v_subrev_co_u32 v2, s22, 0xe80, v1
	s_add_u32 s23, s0, 2
	s_addc_u32 s24, s1, 0
	s_add_i32 s18, s18, s21
	s_cmp_lg_u32 s3, 0
	v_readfirstlane_b32 s3, v2
	s_subb_u32 s18, s7, s18
	s_cmp_lg_u32 s22, 0
	s_subb_u32 s21, s18, 0
	s_delay_alu instid0(VALU_DEP_1) | instskip(SKIP_4) | instid1(SALU_CYCLE_1)
	s_cmpk_gt_u32 s3, 0xe7f
	s_cselect_b32 s3, -1, 0
	s_cmp_eq_u32 s21, 0
	v_readfirstlane_b32 s21, v1
	s_cselect_b32 s3, s3, -1
	s_cmp_lg_u32 s3, 0
	s_cselect_b32 s2, s23, s2
	s_cselect_b32 s3, s24, s19
	s_cmpk_gt_u32 s21, 0xe7f
	s_mov_b32 s21, 0
	s_cselect_b32 s19, -1, 0
	s_cmp_eq_u32 s18, 0
	s_cselect_b32 s18, s19, -1
	s_delay_alu instid0(SALU_CYCLE_1)
	s_cmp_lg_u32 s18, 0
	s_cselect_b32 s3, s3, s1
	s_cselect_b32 s2, s2, s0
	s_mul_i32 s0, s3, 0xe80
	s_mul_hi_u32 s1, s2, 0xe80
	s_mul_i32 s18, s2, 0xe80
	s_add_i32 s1, s1, s0
	s_sub_u32 s0, s6, s18
	s_subb_u32 s1, s7, s1
	s_delay_alu instid0(SALU_CYCLE_1) | instskip(SKIP_1) | instid1(SALU_CYCLE_1)
	s_cmp_lg_u64 s[0:1], 0
	s_cselect_b32 s0, -1, 0
	v_cndmask_b32_e64 v1, 0, 1, s0
	s_delay_alu instid0(VALU_DEP_1) | instskip(NEXT) | instid1(VALU_DEP_1)
	v_readfirstlane_b32 s0, v1
	s_add_u32 s0, s2, s0
	s_addc_u32 s1, s3, 0
	s_add_u32 s18, s14, s20
	s_addc_u32 s19, s15, 0
	s_add_u32 s22, s0, -1
	s_addc_u32 s23, s1, -1
	s_mul_i32 s2, s20, 0xe80
	v_cmp_ge_u64_e64 s26, s[18:19], s[22:23]
	s_mov_b32 s3, -1
	s_mul_i32 s7, s22, 0xfffff180
	s_delay_alu instid0(VALU_DEP_1)
	s_and_b32 vcc_lo, exec_lo, s26
	s_cbranch_vccz .LBB317_60
; %bb.1:
	s_mov_b32 s3, s21
	s_add_i32 s29, s7, s6
	s_lshl_b64 s[24:25], s[2:3], 3
	s_mov_b32 s3, exec_lo
	s_add_u32 s24, s27, s24
	s_addc_u32 s25, s28, s25
                                        ; implicit-def: $vgpr1_vgpr2
	v_cmpx_gt_u32_e64 s29, v0
	s_cbranch_execz .LBB317_3
; %bb.2:
	v_lshlrev_b32_e32 v1, 3, v0
	global_load_b64 v[1:2], v1, s[24:25]
.LBB317_3:
	s_or_b32 exec_lo, exec_lo, s3
	v_or_b32_e32 v3, 0x80, v0
	s_delay_alu instid0(VALU_DEP_1)
	v_cmp_gt_u32_e32 vcc_lo, s29, v3
                                        ; implicit-def: $vgpr3_vgpr4
	s_and_saveexec_b32 s3, vcc_lo
	s_cbranch_execz .LBB317_5
; %bb.4:
	v_lshlrev_b32_e32 v3, 3, v0
	global_load_b64 v[3:4], v3, s[24:25] offset:1024
.LBB317_5:
	s_or_b32 exec_lo, exec_lo, s3
	v_or_b32_e32 v5, 0x100, v0
	s_delay_alu instid0(VALU_DEP_1)
	v_cmp_gt_u32_e32 vcc_lo, s29, v5
                                        ; implicit-def: $vgpr5_vgpr6
	s_and_saveexec_b32 s3, vcc_lo
	s_cbranch_execz .LBB317_7
; %bb.6:
	v_lshlrev_b32_e32 v5, 3, v0
	global_load_b64 v[5:6], v5, s[24:25] offset:2048
.LBB317_7:
	s_or_b32 exec_lo, exec_lo, s3
	v_or_b32_e32 v7, 0x180, v0
	s_delay_alu instid0(VALU_DEP_1)
	v_cmp_gt_u32_e32 vcc_lo, s29, v7
                                        ; implicit-def: $vgpr7_vgpr8
	s_and_saveexec_b32 s3, vcc_lo
	s_cbranch_execz .LBB317_9
; %bb.8:
	v_lshlrev_b32_e32 v7, 3, v0
	global_load_b64 v[7:8], v7, s[24:25] offset:3072
.LBB317_9:
	s_or_b32 exec_lo, exec_lo, s3
	v_or_b32_e32 v11, 0x200, v0
	s_mov_b32 s3, exec_lo
                                        ; implicit-def: $vgpr9_vgpr10
	s_delay_alu instid0(VALU_DEP_1)
	v_cmpx_gt_u32_e64 s29, v11
	s_cbranch_execz .LBB317_11
; %bb.10:
	v_lshlrev_b32_e32 v9, 3, v11
	global_load_b64 v[9:10], v9, s[24:25]
.LBB317_11:
	s_or_b32 exec_lo, exec_lo, s3
	v_or_b32_e32 v13, 0x280, v0
	s_mov_b32 s3, exec_lo
                                        ; implicit-def: $vgpr11_vgpr12
	s_delay_alu instid0(VALU_DEP_1)
	v_cmpx_gt_u32_e64 s29, v13
	s_cbranch_execz .LBB317_13
; %bb.12:
	v_lshlrev_b32_e32 v11, 3, v13
	global_load_b64 v[11:12], v11, s[24:25]
.LBB317_13:
	s_or_b32 exec_lo, exec_lo, s3
	v_or_b32_e32 v15, 0x300, v0
	s_mov_b32 s3, exec_lo
                                        ; implicit-def: $vgpr13_vgpr14
	s_delay_alu instid0(VALU_DEP_1)
	v_cmpx_gt_u32_e64 s29, v15
	s_cbranch_execz .LBB317_15
; %bb.14:
	v_lshlrev_b32_e32 v13, 3, v15
	global_load_b64 v[13:14], v13, s[24:25]
.LBB317_15:
	s_or_b32 exec_lo, exec_lo, s3
	v_or_b32_e32 v17, 0x380, v0
	s_mov_b32 s3, exec_lo
                                        ; implicit-def: $vgpr15_vgpr16
	s_delay_alu instid0(VALU_DEP_1)
	v_cmpx_gt_u32_e64 s29, v17
	s_cbranch_execz .LBB317_17
; %bb.16:
	v_lshlrev_b32_e32 v15, 3, v17
	global_load_b64 v[15:16], v15, s[24:25]
.LBB317_17:
	s_or_b32 exec_lo, exec_lo, s3
	v_or_b32_e32 v19, 0x400, v0
	s_mov_b32 s3, exec_lo
                                        ; implicit-def: $vgpr17_vgpr18
	s_delay_alu instid0(VALU_DEP_1)
	v_cmpx_gt_u32_e64 s29, v19
	s_cbranch_execz .LBB317_19
; %bb.18:
	v_lshlrev_b32_e32 v17, 3, v19
	global_load_b64 v[17:18], v17, s[24:25]
.LBB317_19:
	s_or_b32 exec_lo, exec_lo, s3
	v_or_b32_e32 v21, 0x480, v0
	s_mov_b32 s3, exec_lo
                                        ; implicit-def: $vgpr19_vgpr20
	s_delay_alu instid0(VALU_DEP_1)
	v_cmpx_gt_u32_e64 s29, v21
	s_cbranch_execz .LBB317_21
; %bb.20:
	v_lshlrev_b32_e32 v19, 3, v21
	global_load_b64 v[19:20], v19, s[24:25]
.LBB317_21:
	s_or_b32 exec_lo, exec_lo, s3
	v_or_b32_e32 v23, 0x500, v0
	s_mov_b32 s3, exec_lo
                                        ; implicit-def: $vgpr21_vgpr22
	s_delay_alu instid0(VALU_DEP_1)
	v_cmpx_gt_u32_e64 s29, v23
	s_cbranch_execz .LBB317_23
; %bb.22:
	v_lshlrev_b32_e32 v21, 3, v23
	global_load_b64 v[21:22], v21, s[24:25]
.LBB317_23:
	s_or_b32 exec_lo, exec_lo, s3
	v_or_b32_e32 v25, 0x580, v0
	s_mov_b32 s3, exec_lo
                                        ; implicit-def: $vgpr23_vgpr24
	s_delay_alu instid0(VALU_DEP_1)
	v_cmpx_gt_u32_e64 s29, v25
	s_cbranch_execz .LBB317_25
; %bb.24:
	v_lshlrev_b32_e32 v23, 3, v25
	global_load_b64 v[23:24], v23, s[24:25]
.LBB317_25:
	s_or_b32 exec_lo, exec_lo, s3
	v_or_b32_e32 v27, 0x600, v0
	s_mov_b32 s3, exec_lo
                                        ; implicit-def: $vgpr25_vgpr26
	s_delay_alu instid0(VALU_DEP_1)
	v_cmpx_gt_u32_e64 s29, v27
	s_cbranch_execz .LBB317_27
; %bb.26:
	v_lshlrev_b32_e32 v25, 3, v27
	global_load_b64 v[25:26], v25, s[24:25]
.LBB317_27:
	s_or_b32 exec_lo, exec_lo, s3
	v_or_b32_e32 v29, 0x680, v0
	s_mov_b32 s3, exec_lo
                                        ; implicit-def: $vgpr27_vgpr28
	s_delay_alu instid0(VALU_DEP_1)
	v_cmpx_gt_u32_e64 s29, v29
	s_cbranch_execz .LBB317_29
; %bb.28:
	v_lshlrev_b32_e32 v27, 3, v29
	global_load_b64 v[27:28], v27, s[24:25]
.LBB317_29:
	s_or_b32 exec_lo, exec_lo, s3
	v_or_b32_e32 v31, 0x700, v0
	s_mov_b32 s3, exec_lo
                                        ; implicit-def: $vgpr29_vgpr30
	s_delay_alu instid0(VALU_DEP_1)
	v_cmpx_gt_u32_e64 s29, v31
	s_cbranch_execz .LBB317_31
; %bb.30:
	v_lshlrev_b32_e32 v29, 3, v31
	global_load_b64 v[29:30], v29, s[24:25]
.LBB317_31:
	s_or_b32 exec_lo, exec_lo, s3
	v_or_b32_e32 v33, 0x780, v0
	s_mov_b32 s3, exec_lo
                                        ; implicit-def: $vgpr31_vgpr32
	s_delay_alu instid0(VALU_DEP_1)
	v_cmpx_gt_u32_e64 s29, v33
	s_cbranch_execz .LBB317_33
; %bb.32:
	v_lshlrev_b32_e32 v31, 3, v33
	global_load_b64 v[31:32], v31, s[24:25]
.LBB317_33:
	s_or_b32 exec_lo, exec_lo, s3
	v_or_b32_e32 v35, 0x800, v0
	s_mov_b32 s3, exec_lo
                                        ; implicit-def: $vgpr33_vgpr34
	s_delay_alu instid0(VALU_DEP_1)
	v_cmpx_gt_u32_e64 s29, v35
	s_cbranch_execz .LBB317_35
; %bb.34:
	v_lshlrev_b32_e32 v33, 3, v35
	global_load_b64 v[33:34], v33, s[24:25]
.LBB317_35:
	s_or_b32 exec_lo, exec_lo, s3
	v_or_b32_e32 v37, 0x880, v0
	s_mov_b32 s3, exec_lo
                                        ; implicit-def: $vgpr35_vgpr36
	s_delay_alu instid0(VALU_DEP_1)
	v_cmpx_gt_u32_e64 s29, v37
	s_cbranch_execz .LBB317_37
; %bb.36:
	v_lshlrev_b32_e32 v35, 3, v37
	global_load_b64 v[35:36], v35, s[24:25]
.LBB317_37:
	s_or_b32 exec_lo, exec_lo, s3
	v_or_b32_e32 v39, 0x900, v0
	s_mov_b32 s3, exec_lo
                                        ; implicit-def: $vgpr37_vgpr38
	s_delay_alu instid0(VALU_DEP_1)
	v_cmpx_gt_u32_e64 s29, v39
	s_cbranch_execz .LBB317_39
; %bb.38:
	v_lshlrev_b32_e32 v37, 3, v39
	global_load_b64 v[37:38], v37, s[24:25]
.LBB317_39:
	s_or_b32 exec_lo, exec_lo, s3
	v_or_b32_e32 v41, 0x980, v0
	s_mov_b32 s3, exec_lo
                                        ; implicit-def: $vgpr39_vgpr40
	s_delay_alu instid0(VALU_DEP_1)
	v_cmpx_gt_u32_e64 s29, v41
	s_cbranch_execz .LBB317_41
; %bb.40:
	v_lshlrev_b32_e32 v39, 3, v41
	global_load_b64 v[39:40], v39, s[24:25]
.LBB317_41:
	s_or_b32 exec_lo, exec_lo, s3
	v_or_b32_e32 v43, 0xa00, v0
	s_mov_b32 s3, exec_lo
                                        ; implicit-def: $vgpr41_vgpr42
	s_delay_alu instid0(VALU_DEP_1)
	v_cmpx_gt_u32_e64 s29, v43
	s_cbranch_execz .LBB317_43
; %bb.42:
	v_lshlrev_b32_e32 v41, 3, v43
	global_load_b64 v[41:42], v41, s[24:25]
.LBB317_43:
	s_or_b32 exec_lo, exec_lo, s3
	v_or_b32_e32 v45, 0xa80, v0
	s_mov_b32 s3, exec_lo
                                        ; implicit-def: $vgpr43_vgpr44
	s_delay_alu instid0(VALU_DEP_1)
	v_cmpx_gt_u32_e64 s29, v45
	s_cbranch_execz .LBB317_45
; %bb.44:
	v_lshlrev_b32_e32 v43, 3, v45
	global_load_b64 v[43:44], v43, s[24:25]
.LBB317_45:
	s_or_b32 exec_lo, exec_lo, s3
	v_or_b32_e32 v47, 0xb00, v0
	s_mov_b32 s3, exec_lo
                                        ; implicit-def: $vgpr45_vgpr46
	s_delay_alu instid0(VALU_DEP_1)
	v_cmpx_gt_u32_e64 s29, v47
	s_cbranch_execz .LBB317_47
; %bb.46:
	v_lshlrev_b32_e32 v45, 3, v47
	global_load_b64 v[45:46], v45, s[24:25]
.LBB317_47:
	s_or_b32 exec_lo, exec_lo, s3
	v_or_b32_e32 v49, 0xb80, v0
	s_mov_b32 s3, exec_lo
                                        ; implicit-def: $vgpr47_vgpr48
	s_delay_alu instid0(VALU_DEP_1)
	v_cmpx_gt_u32_e64 s29, v49
	s_cbranch_execz .LBB317_49
; %bb.48:
	v_lshlrev_b32_e32 v47, 3, v49
	global_load_b64 v[47:48], v47, s[24:25]
.LBB317_49:
	s_or_b32 exec_lo, exec_lo, s3
	v_or_b32_e32 v51, 0xc00, v0
	s_mov_b32 s3, exec_lo
                                        ; implicit-def: $vgpr49_vgpr50
	s_delay_alu instid0(VALU_DEP_1)
	v_cmpx_gt_u32_e64 s29, v51
	s_cbranch_execz .LBB317_51
; %bb.50:
	v_lshlrev_b32_e32 v49, 3, v51
	global_load_b64 v[49:50], v49, s[24:25]
.LBB317_51:
	s_or_b32 exec_lo, exec_lo, s3
	v_or_b32_e32 v53, 0xc80, v0
	s_mov_b32 s3, exec_lo
                                        ; implicit-def: $vgpr51_vgpr52
	s_delay_alu instid0(VALU_DEP_1)
	v_cmpx_gt_u32_e64 s29, v53
	s_cbranch_execz .LBB317_53
; %bb.52:
	v_lshlrev_b32_e32 v51, 3, v53
	global_load_b64 v[51:52], v51, s[24:25]
.LBB317_53:
	s_or_b32 exec_lo, exec_lo, s3
	v_or_b32_e32 v55, 0xd00, v0
	s_mov_b32 s3, exec_lo
                                        ; implicit-def: $vgpr53_vgpr54
	s_delay_alu instid0(VALU_DEP_1)
	v_cmpx_gt_u32_e64 s29, v55
	s_cbranch_execz .LBB317_55
; %bb.54:
	v_lshlrev_b32_e32 v53, 3, v55
	global_load_b64 v[53:54], v53, s[24:25]
.LBB317_55:
	s_or_b32 exec_lo, exec_lo, s3
	v_or_b32_e32 v57, 0xd80, v0
	s_mov_b32 s3, exec_lo
                                        ; implicit-def: $vgpr55_vgpr56
	s_delay_alu instid0(VALU_DEP_1)
	v_cmpx_gt_u32_e64 s29, v57
	s_cbranch_execz .LBB317_57
; %bb.56:
	v_lshlrev_b32_e32 v55, 3, v57
	global_load_b64 v[55:56], v55, s[24:25]
.LBB317_57:
	s_or_b32 exec_lo, exec_lo, s3
	v_or_b32_e32 v59, 0xe00, v0
	s_mov_b32 s3, exec_lo
                                        ; implicit-def: $vgpr57_vgpr58
	s_delay_alu instid0(VALU_DEP_1)
	v_cmpx_gt_u32_e64 s29, v59
	s_cbranch_execz .LBB317_59
; %bb.58:
	v_lshlrev_b32_e32 v57, 3, v59
	global_load_b64 v[57:58], v57, s[24:25]
.LBB317_59:
	s_or_b32 exec_lo, exec_lo, s3
	v_lshlrev_b32_e32 v59, 3, v0
	s_mov_b32 s3, 0
	s_waitcnt vmcnt(0)
	ds_store_2addr_stride64_b64 v59, v[1:2], v[3:4] offset1:2
	ds_store_2addr_stride64_b64 v59, v[5:6], v[7:8] offset0:4 offset1:6
	ds_store_2addr_stride64_b64 v59, v[9:10], v[11:12] offset0:8 offset1:10
	ds_store_2addr_stride64_b64 v59, v[13:14], v[15:16] offset0:12 offset1:14
	ds_store_2addr_stride64_b64 v59, v[17:18], v[19:20] offset0:16 offset1:18
	ds_store_2addr_stride64_b64 v59, v[21:22], v[23:24] offset0:20 offset1:22
	ds_store_2addr_stride64_b64 v59, v[25:26], v[27:28] offset0:24 offset1:26
	ds_store_2addr_stride64_b64 v59, v[29:30], v[31:32] offset0:28 offset1:30
	ds_store_2addr_stride64_b64 v59, v[33:34], v[35:36] offset0:32 offset1:34
	ds_store_2addr_stride64_b64 v59, v[37:38], v[39:40] offset0:36 offset1:38
	ds_store_2addr_stride64_b64 v59, v[41:42], v[43:44] offset0:40 offset1:42
	ds_store_2addr_stride64_b64 v59, v[45:46], v[47:48] offset0:44 offset1:46
	ds_store_2addr_stride64_b64 v59, v[49:50], v[51:52] offset0:48 offset1:50
	ds_store_2addr_stride64_b64 v59, v[53:54], v[55:56] offset0:52 offset1:54
	ds_store_b64 v59, v[57:58] offset:28672
	s_waitcnt lgkmcnt(0)
	s_barrier
.LBB317_60:
	v_lshlrev_b32_e32 v195, 3, v0
	s_and_b32 vcc_lo, exec_lo, s3
	s_cbranch_vccz .LBB317_62
; %bb.61:
	s_mov_b32 s3, 0
	s_delay_alu instid0(SALU_CYCLE_1) | instskip(NEXT) | instid1(SALU_CYCLE_1)
	s_lshl_b64 s[24:25], s[2:3], 3
	s_add_u32 s24, s27, s24
	s_addc_u32 s25, s28, s25
	v_add_co_u32 v49, s3, s24, v195
	s_delay_alu instid0(VALU_DEP_1)
	v_add_co_ci_u32_e64 v50, null, s25, 0, s3
	s_clause 0x3
	global_load_b64 v[1:2], v195, s[24:25]
	global_load_b64 v[3:4], v195, s[24:25] offset:1024
	global_load_b64 v[5:6], v195, s[24:25] offset:2048
	global_load_b64 v[7:8], v195, s[24:25] offset:3072
	v_add_co_u32 v9, vcc_lo, 0x1000, v49
	v_add_co_ci_u32_e32 v10, vcc_lo, 0, v50, vcc_lo
	v_add_co_u32 v11, vcc_lo, v49, 0x2000
	v_add_co_ci_u32_e32 v12, vcc_lo, 0, v50, vcc_lo
	;; [unrolled: 2-line block ×10, first 2 shown]
	s_clause 0x18
	global_load_b64 v[15:16], v[11:12], off offset:-4096
	global_load_b64 v[17:18], v[9:10], off offset:1024
	global_load_b64 v[19:20], v[9:10], off offset:2048
	;; [unrolled: 1-line block ×12, first 2 shown]
	global_load_b64 v[11:12], v[11:12], off
	global_load_b64 v[43:44], v[25:26], off offset:-4096
	global_load_b64 v[25:26], v[25:26], off
	global_load_b64 v[45:46], v[39:40], off offset:-4096
	global_load_b64 v[39:40], v[39:40], off
	global_load_b64 v[51:52], v[41:42], off offset:1024
	global_load_b64 v[53:54], v[41:42], off offset:2048
	;; [unrolled: 1-line block ×6, first 2 shown]
	global_load_b64 v[49:50], v[49:50], off
	s_waitcnt vmcnt(27)
	ds_store_2addr_stride64_b64 v195, v[1:2], v[3:4] offset1:2
	s_waitcnt vmcnt(25)
	ds_store_2addr_stride64_b64 v195, v[5:6], v[7:8] offset0:4 offset1:6
	s_waitcnt vmcnt(23)
	ds_store_2addr_stride64_b64 v195, v[15:16], v[17:18] offset0:8 offset1:10
	s_waitcnt vmcnt(21)
	ds_store_2addr_stride64_b64 v195, v[19:20], v[9:10] offset0:12 offset1:14
	s_waitcnt vmcnt(11)
	ds_store_2addr_stride64_b64 v195, v[11:12], v[21:22] offset0:16 offset1:18
	ds_store_2addr_stride64_b64 v195, v[29:30], v[13:14] offset0:20 offset1:22
	s_waitcnt vmcnt(10)
	ds_store_2addr_stride64_b64 v195, v[43:44], v[31:32] offset0:24 offset1:26
	ds_store_2addr_stride64_b64 v195, v[33:34], v[23:24] offset0:28 offset1:30
	s_waitcnt vmcnt(9)
	ds_store_2addr_stride64_b64 v195, v[25:26], v[35:36] offset0:32 offset1:34
	;; [unrolled: 3-line block ×3, first 2 shown]
	s_waitcnt vmcnt(4)
	ds_store_2addr_stride64_b64 v195, v[53:54], v[41:42] offset0:44 offset1:46
	s_waitcnt vmcnt(3)
	ds_store_2addr_stride64_b64 v195, v[39:40], v[55:56] offset0:48 offset1:50
	;; [unrolled: 2-line block ×3, first 2 shown]
	s_waitcnt vmcnt(0)
	ds_store_b64 v195, v[49:50] offset:28672
	s_waitcnt lgkmcnt(0)
	s_barrier
.LBB317_62:
	v_mul_u32_u24_e32 v1, 29, v0
	buffer_gl0_inv
	s_cmp_eq_u64 s[18:19], 0
	v_lshlrev_b32_e32 v53, 3, v1
	ds_load_b64 v[109:110], v53 offset:224
	ds_load_2addr_b64 v[5:8], v53 offset0:26 offset1:27
	ds_load_2addr_b64 v[9:12], v53 offset0:24 offset1:25
	ds_load_2addr_b64 v[1:4], v53 offset1:1
	ds_load_2addr_b64 v[13:16], v53 offset0:2 offset1:3
	ds_load_2addr_b64 v[17:20], v53 offset0:4 offset1:5
	;; [unrolled: 1-line block ×11, first 2 shown]
	s_waitcnt lgkmcnt(0)
	s_barrier
	buffer_gl0_inv
	s_cbranch_scc1 .LBB317_71
; %bb.63:
	s_lshl_b64 s[14:15], s[14:15], 3
	s_delay_alu instid0(SALU_CYCLE_1) | instskip(SKIP_2) | instid1(SALU_CYCLE_1)
	s_add_u32 s3, s12, s14
	s_addc_u32 s14, s13, s15
	s_lshl_b64 s[12:13], s[20:21], 3
	s_add_u32 s3, s3, s12
	s_addc_u32 s13, s14, s13
	s_add_u32 s12, s3, -8
	s_addc_u32 s13, s13, -1
	s_cmp_lg_u64 s[18:19], s[22:23]
	s_load_b64 s[12:13], s[12:13], 0x0
	s_cbranch_scc0 .LBB317_72
; %bb.64:
	v_mul_lo_u32 v59, v8, s8
	v_mul_lo_u32 v60, v7, s9
	v_mad_u64_u32 v[57:58], null, v7, s8, 0
	v_mov_b32_e32 v113, 0
	v_mov_b32_e32 v114, 0
	v_cmp_lt_i64_e64 s14, s[8:9], 1
	v_cmp_gt_i64_e64 s3, s[8:9], 0
	s_delay_alu instid0(VALU_DEP_4)
	v_mov_b32_e32 v111, v113
	ds_store_b64 v195, v[109:110]
	v_mov_b32_e32 v112, v114
	v_add3_u32 v64, v58, v60, v59
	s_and_b32 vcc_lo, exec_lo, s14
	s_cbranch_vccnz .LBB317_76
; %bb.65:
	v_mad_u64_u32 v[58:59], null, v109, s8, s[10:11]
	v_mul_lo_u32 v60, v109, s9
	v_mul_lo_u32 v61, v110, s8
	v_mov_b32_e32 v111, 1
	v_mov_b32_e32 v112, 0
	s_mov_b32 s19, exec_lo
	s_delay_alu instid0(VALU_DEP_3)
	v_add3_u32 v59, v61, v59, v60
	v_add_co_u32 v60, vcc_lo, s10, v57
	v_add_co_ci_u32_e32 v61, vcc_lo, s11, v64, vcc_lo
	s_clause 0x1
	global_load_u8 v62, v[58:59], off
	global_load_u8 v63, v[60:61], off
	s_waitcnt vmcnt(0)
	v_cmpx_eq_u16_e64 v62, v63
	s_cbranch_execz .LBB317_75
; %bb.66:
	s_mov_b64 s[14:15], 1
	s_mov_b32 s22, 0
                                        ; implicit-def: $sgpr23
	s_set_inst_prefetch_distance 0x1
	s_branch .LBB317_69
	.p2align	6
.LBB317_67:                             ;   in Loop: Header=BB317_69 Depth=1
	v_add_co_u32 v62, vcc_lo, v58, s14
	v_add_co_ci_u32_e32 v63, vcc_lo, s15, v59, vcc_lo
	v_add_co_u32 v65, vcc_lo, v60, s14
	v_add_co_ci_u32_e32 v66, vcc_lo, s15, v61, vcc_lo
	s_add_u32 s20, s14, 1
	s_clause 0x1
	global_load_u8 v62, v[62:63], off
	global_load_u8 v63, v[65:66], off
	s_addc_u32 s21, s15, 0
	s_and_not1_b32 s23, s23, exec_lo
	s_waitcnt vmcnt(0)
	v_cmp_ne_u16_e32 vcc_lo, v62, v63
	s_and_b32 s24, vcc_lo, exec_lo
	s_delay_alu instid0(SALU_CYCLE_1)
	s_or_b32 s23, s23, s24
.LBB317_68:                             ;   in Loop: Header=BB317_69 Depth=1
	v_dual_mov_b32 v63, s15 :: v_dual_mov_b32 v62, s14
	s_and_b32 s24, exec_lo, s23
	s_mov_b64 s[14:15], s[20:21]
	s_or_b32 s22, s24, s22
	s_delay_alu instid0(SALU_CYCLE_1)
	s_and_not1_b32 exec_lo, exec_lo, s22
	s_cbranch_execz .LBB317_74
.LBB317_69:                             ; =>This Inner Loop Header: Depth=1
	s_or_b32 s23, s23, exec_lo
	s_cmp_eq_u64 s[8:9], s[14:15]
	s_cbranch_scc0 .LBB317_67
; %bb.70:                               ;   in Loop: Header=BB317_69 Depth=1
	s_mov_b64 s[14:15], s[8:9]
                                        ; implicit-def: $sgpr20_sgpr21
	s_branch .LBB317_68
.LBB317_71:
	s_mov_b32 s3, 0
                                        ; implicit-def: $sgpr14
                                        ; implicit-def: $vgpr165_vgpr166
                                        ; implicit-def: $vgpr163_vgpr164
                                        ; implicit-def: $vgpr161_vgpr162
                                        ; implicit-def: $vgpr159_vgpr160
                                        ; implicit-def: $vgpr157_vgpr158
                                        ; implicit-def: $vgpr155_vgpr156
                                        ; implicit-def: $vgpr153_vgpr154
                                        ; implicit-def: $vgpr151_vgpr152
                                        ; implicit-def: $vgpr149_vgpr150
                                        ; implicit-def: $vgpr147_vgpr148
                                        ; implicit-def: $vgpr145_vgpr146
                                        ; implicit-def: $vgpr143_vgpr144
                                        ; implicit-def: $vgpr141_vgpr142
                                        ; implicit-def: $vgpr139_vgpr140
                                        ; implicit-def: $vgpr137_vgpr138
                                        ; implicit-def: $vgpr135_vgpr136
                                        ; implicit-def: $vgpr133_vgpr134
                                        ; implicit-def: $vgpr131_vgpr132
                                        ; implicit-def: $vgpr129_vgpr130
                                        ; implicit-def: $vgpr127_vgpr128
                                        ; implicit-def: $vgpr125_vgpr126
                                        ; implicit-def: $vgpr123_vgpr124
                                        ; implicit-def: $vgpr121_vgpr122
                                        ; implicit-def: $vgpr119_vgpr120
                                        ; implicit-def: $vgpr117_vgpr118
                                        ; implicit-def: $vgpr113_vgpr114
                                        ; implicit-def: $vgpr115_vgpr116
                                        ; implicit-def: $vgpr111_vgpr112
                                        ; implicit-def: $vgpr181_vgpr182
                                        ; implicit-def: $vgpr167_vgpr168
                                        ; implicit-def: $vgpr169_vgpr170
                                        ; implicit-def: $vgpr171_vgpr172
                                        ; implicit-def: $vgpr173_vgpr174
                                        ; implicit-def: $vgpr175_vgpr176
                                        ; implicit-def: $vgpr177_vgpr178
                                        ; implicit-def: $vgpr179_vgpr180
                                        ; implicit-def: $vgpr183_vgpr184
                                        ; implicit-def: $vgpr185_vgpr186
                                        ; implicit-def: $vgpr187_vgpr188
                                        ; implicit-def: $vgpr189_vgpr190
                                        ; implicit-def: $vgpr191_vgpr192
                                        ; implicit-def: $vgpr193_vgpr194
                                        ; implicit-def: $vgpr57_vgpr58_vgpr59_vgpr60
                                        ; implicit-def: $vgpr61_vgpr62_vgpr63_vgpr64
                                        ; implicit-def: $vgpr65_vgpr66_vgpr67_vgpr68
                                        ; implicit-def: $vgpr69_vgpr70_vgpr71_vgpr72
                                        ; implicit-def: $vgpr73_vgpr74_vgpr75_vgpr76
                                        ; implicit-def: $vgpr77_vgpr78_vgpr79_vgpr80
                                        ; implicit-def: $vgpr81_vgpr82_vgpr83_vgpr84
                                        ; implicit-def: $vgpr85_vgpr86_vgpr87_vgpr88
                                        ; implicit-def: $vgpr89_vgpr90_vgpr91_vgpr92
                                        ; implicit-def: $vgpr93_vgpr94_vgpr95_vgpr96
                                        ; implicit-def: $vgpr97_vgpr98_vgpr99_vgpr100
                                        ; implicit-def: $vgpr101_vgpr102_vgpr103_vgpr104
                                        ; implicit-def: $vgpr105_vgpr106_vgpr107_vgpr108
	s_cbranch_execnz .LBB317_655
	s_branch .LBB317_1243
.LBB317_72:
	s_mov_b32 s3, 0
                                        ; implicit-def: $sgpr14
                                        ; implicit-def: $vgpr165_vgpr166
                                        ; implicit-def: $vgpr163_vgpr164
                                        ; implicit-def: $vgpr161_vgpr162
                                        ; implicit-def: $vgpr159_vgpr160
                                        ; implicit-def: $vgpr157_vgpr158
                                        ; implicit-def: $vgpr155_vgpr156
                                        ; implicit-def: $vgpr153_vgpr154
                                        ; implicit-def: $vgpr151_vgpr152
                                        ; implicit-def: $vgpr149_vgpr150
                                        ; implicit-def: $vgpr147_vgpr148
                                        ; implicit-def: $vgpr145_vgpr146
                                        ; implicit-def: $vgpr143_vgpr144
                                        ; implicit-def: $vgpr141_vgpr142
                                        ; implicit-def: $vgpr139_vgpr140
                                        ; implicit-def: $vgpr137_vgpr138
                                        ; implicit-def: $vgpr135_vgpr136
                                        ; implicit-def: $vgpr133_vgpr134
                                        ; implicit-def: $vgpr131_vgpr132
                                        ; implicit-def: $vgpr129_vgpr130
                                        ; implicit-def: $vgpr127_vgpr128
                                        ; implicit-def: $vgpr125_vgpr126
                                        ; implicit-def: $vgpr123_vgpr124
                                        ; implicit-def: $vgpr121_vgpr122
                                        ; implicit-def: $vgpr119_vgpr120
                                        ; implicit-def: $vgpr117_vgpr118
                                        ; implicit-def: $vgpr113_vgpr114
                                        ; implicit-def: $vgpr115_vgpr116
                                        ; implicit-def: $vgpr111_vgpr112
	s_cbranch_execnz .LBB317_332
.LBB317_73:
                                        ; implicit-def: $vgpr181_vgpr182
                                        ; implicit-def: $vgpr167_vgpr168
                                        ; implicit-def: $vgpr169_vgpr170
                                        ; implicit-def: $vgpr171_vgpr172
                                        ; implicit-def: $vgpr173_vgpr174
                                        ; implicit-def: $vgpr175_vgpr176
                                        ; implicit-def: $vgpr177_vgpr178
                                        ; implicit-def: $vgpr179_vgpr180
                                        ; implicit-def: $vgpr183_vgpr184
                                        ; implicit-def: $vgpr185_vgpr186
                                        ; implicit-def: $vgpr187_vgpr188
                                        ; implicit-def: $vgpr189_vgpr190
                                        ; implicit-def: $vgpr191_vgpr192
                                        ; implicit-def: $vgpr193_vgpr194
                                        ; implicit-def: $vgpr57_vgpr58_vgpr59_vgpr60
                                        ; implicit-def: $vgpr61_vgpr62_vgpr63_vgpr64
                                        ; implicit-def: $vgpr65_vgpr66_vgpr67_vgpr68
                                        ; implicit-def: $vgpr69_vgpr70_vgpr71_vgpr72
                                        ; implicit-def: $vgpr73_vgpr74_vgpr75_vgpr76
                                        ; implicit-def: $vgpr77_vgpr78_vgpr79_vgpr80
                                        ; implicit-def: $vgpr81_vgpr82_vgpr83_vgpr84
                                        ; implicit-def: $vgpr85_vgpr86_vgpr87_vgpr88
                                        ; implicit-def: $vgpr89_vgpr90_vgpr91_vgpr92
                                        ; implicit-def: $vgpr93_vgpr94_vgpr95_vgpr96
                                        ; implicit-def: $vgpr97_vgpr98_vgpr99_vgpr100
                                        ; implicit-def: $vgpr101_vgpr102_vgpr103_vgpr104
                                        ; implicit-def: $vgpr105_vgpr106_vgpr107_vgpr108
	s_waitcnt lgkmcnt(0)
	s_branch .LBB317_1243
.LBB317_74:
	s_set_inst_prefetch_distance 0x2
	s_or_b32 exec_lo, exec_lo, s22
	v_cmp_gt_i64_e32 vcc_lo, s[8:9], v[62:63]
	s_mov_b32 s14, 0
	s_delay_alu instid0(SALU_CYCLE_1)
	v_mov_b32_e32 v112, s14
	v_cndmask_b32_e64 v111, 0, 1, vcc_lo
.LBB317_75:
	s_or_b32 exec_lo, exec_lo, s19
.LBB317_76:
	v_mul_lo_u32 v60, v6, s8
	v_mul_lo_u32 v61, v5, s9
	v_mad_u64_u32 v[58:59], null, v5, s8, 0
	v_cndmask_b32_e64 v65, 0, 1, s3
	v_dual_mov_b32 v116, v114 :: v_dual_mov_b32 v115, v113
	s_and_not1_b32 vcc_lo, exec_lo, s3
	s_delay_alu instid0(VALU_DEP_3)
	v_add3_u32 v66, v59, v61, v60
	s_cbranch_vccnz .LBB317_85
; %bb.77:
	v_add_co_u32 v59, vcc_lo, s10, v57
	v_add_co_ci_u32_e32 v60, vcc_lo, s11, v64, vcc_lo
	v_add_co_u32 v61, vcc_lo, s10, v58
	v_add_co_ci_u32_e32 v62, vcc_lo, s11, v66, vcc_lo
	v_mov_b32_e32 v115, 1
	s_clause 0x1
	global_load_u8 v57, v[59:60], off
	global_load_u8 v63, v[61:62], off
	v_mov_b32_e32 v116, 0
	s_mov_b32 s3, exec_lo
	s_waitcnt vmcnt(0)
	v_cmpx_eq_u16_e64 v57, v63
	s_cbranch_execz .LBB317_84
; %bb.78:
	s_mov_b64 s[14:15], 1
	s_mov_b32 s19, 0
                                        ; implicit-def: $sgpr22
	s_set_inst_prefetch_distance 0x1
	s_branch .LBB317_81
	.p2align	6
.LBB317_79:                             ;   in Loop: Header=BB317_81 Depth=1
	v_add_co_u32 v63, vcc_lo, v59, s14
	v_add_co_ci_u32_e32 v64, vcc_lo, s15, v60, vcc_lo
	v_add_co_u32 v67, vcc_lo, v61, s14
	v_add_co_ci_u32_e32 v68, vcc_lo, s15, v62, vcc_lo
	s_add_u32 s20, s14, 1
	s_clause 0x1
	global_load_u8 v57, v[63:64], off
	global_load_u8 v63, v[67:68], off
	s_addc_u32 s21, s15, 0
	s_and_not1_b32 s22, s22, exec_lo
	s_waitcnt vmcnt(0)
	v_cmp_ne_u16_e32 vcc_lo, v57, v63
	s_and_b32 s23, vcc_lo, exec_lo
	s_delay_alu instid0(SALU_CYCLE_1)
	s_or_b32 s22, s22, s23
.LBB317_80:                             ;   in Loop: Header=BB317_81 Depth=1
	v_dual_mov_b32 v64, s15 :: v_dual_mov_b32 v63, s14
	s_and_b32 s23, exec_lo, s22
	s_mov_b64 s[14:15], s[20:21]
	s_or_b32 s19, s23, s19
	s_delay_alu instid0(SALU_CYCLE_1)
	s_and_not1_b32 exec_lo, exec_lo, s19
	s_cbranch_execz .LBB317_83
.LBB317_81:                             ; =>This Inner Loop Header: Depth=1
	s_or_b32 s22, s22, exec_lo
	s_cmp_eq_u64 s[8:9], s[14:15]
	s_cbranch_scc0 .LBB317_79
; %bb.82:                               ;   in Loop: Header=BB317_81 Depth=1
	s_mov_b64 s[14:15], s[8:9]
                                        ; implicit-def: $sgpr20_sgpr21
	s_branch .LBB317_80
.LBB317_83:
	s_set_inst_prefetch_distance 0x2
	s_or_b32 exec_lo, exec_lo, s19
	v_cmp_gt_i64_e32 vcc_lo, s[8:9], v[63:64]
	s_mov_b32 s14, 0
	s_delay_alu instid0(SALU_CYCLE_1)
	v_mov_b32_e32 v116, s14
	v_cndmask_b32_e64 v115, 0, 1, vcc_lo
.LBB317_84:
	s_or_b32 exec_lo, exec_lo, s3
.LBB317_85:
	v_mul_lo_u32 v57, v12, s8
	v_mul_lo_u32 v61, v11, s9
	v_mad_u64_u32 v[59:60], null, v11, s8, 0
	v_cmp_ne_u32_e32 vcc_lo, 1, v65
	s_delay_alu instid0(VALU_DEP_2)
	v_add3_u32 v64, v60, v61, v57
	s_cbranch_vccnz .LBB317_94
; %bb.86:
	v_add_co_u32 v57, vcc_lo, s10, v58
	v_add_co_ci_u32_e32 v58, vcc_lo, s11, v66, vcc_lo
	v_add_co_u32 v60, vcc_lo, s10, v59
	v_add_co_ci_u32_e32 v61, vcc_lo, s11, v64, vcc_lo
	v_mov_b32_e32 v113, 1
	s_clause 0x1
	global_load_u8 v62, v[57:58], off
	global_load_u8 v63, v[60:61], off
	v_mov_b32_e32 v114, 0
	s_mov_b32 s3, exec_lo
	s_waitcnt vmcnt(0)
	v_cmpx_eq_u16_e64 v62, v63
	s_cbranch_execz .LBB317_93
; %bb.87:
	s_mov_b64 s[14:15], 1
	s_mov_b32 s19, 0
                                        ; implicit-def: $sgpr22
	s_set_inst_prefetch_distance 0x1
	s_branch .LBB317_90
	.p2align	6
.LBB317_88:                             ;   in Loop: Header=BB317_90 Depth=1
	v_add_co_u32 v62, vcc_lo, v57, s14
	v_add_co_ci_u32_e32 v63, vcc_lo, s15, v58, vcc_lo
	v_add_co_u32 v66, vcc_lo, v60, s14
	v_add_co_ci_u32_e32 v67, vcc_lo, s15, v61, vcc_lo
	s_add_u32 s20, s14, 1
	s_clause 0x1
	global_load_u8 v62, v[62:63], off
	global_load_u8 v63, v[66:67], off
	s_addc_u32 s21, s15, 0
	s_and_not1_b32 s22, s22, exec_lo
	s_waitcnt vmcnt(0)
	v_cmp_ne_u16_e32 vcc_lo, v62, v63
	s_and_b32 s23, vcc_lo, exec_lo
	s_delay_alu instid0(SALU_CYCLE_1)
	s_or_b32 s22, s22, s23
.LBB317_89:                             ;   in Loop: Header=BB317_90 Depth=1
	v_dual_mov_b32 v63, s15 :: v_dual_mov_b32 v62, s14
	s_and_b32 s23, exec_lo, s22
	s_mov_b64 s[14:15], s[20:21]
	s_or_b32 s19, s23, s19
	s_delay_alu instid0(SALU_CYCLE_1)
	s_and_not1_b32 exec_lo, exec_lo, s19
	s_cbranch_execz .LBB317_92
.LBB317_90:                             ; =>This Inner Loop Header: Depth=1
	s_or_b32 s22, s22, exec_lo
	s_cmp_eq_u64 s[8:9], s[14:15]
	s_cbranch_scc0 .LBB317_88
; %bb.91:                               ;   in Loop: Header=BB317_90 Depth=1
	s_mov_b64 s[14:15], s[8:9]
                                        ; implicit-def: $sgpr20_sgpr21
	s_branch .LBB317_89
.LBB317_92:
	s_set_inst_prefetch_distance 0x2
	s_or_b32 exec_lo, exec_lo, s19
	v_cmp_gt_i64_e32 vcc_lo, s[8:9], v[62:63]
	s_mov_b32 s14, 0
	s_delay_alu instid0(SALU_CYCLE_1)
	v_mov_b32_e32 v114, s14
	v_cndmask_b32_e64 v113, 0, 1, vcc_lo
.LBB317_93:
	s_or_b32 exec_lo, exec_lo, s3
.LBB317_94:
	v_mul_lo_u32 v60, v10, s8
	v_mul_lo_u32 v61, v9, s9
	v_mad_u64_u32 v[57:58], null, v9, s8, 0
	v_mov_b32_e32 v119, 0
	v_mov_b32_e32 v120, 0
	v_cmp_ne_u32_e32 vcc_lo, 1, v65
	s_delay_alu instid0(VALU_DEP_2)
	v_dual_mov_b32 v117, v119 :: v_dual_mov_b32 v118, v120
	v_add3_u32 v66, v58, v61, v60
	s_cbranch_vccnz .LBB317_103
; %bb.95:
	v_add_co_u32 v58, vcc_lo, s10, v59
	v_add_co_ci_u32_e32 v59, vcc_lo, s11, v64, vcc_lo
	v_add_co_u32 v60, vcc_lo, s10, v57
	v_add_co_ci_u32_e32 v61, vcc_lo, s11, v66, vcc_lo
	v_mov_b32_e32 v117, 1
	s_clause 0x1
	global_load_u8 v62, v[58:59], off
	global_load_u8 v63, v[60:61], off
	v_mov_b32_e32 v118, 0
	s_mov_b32 s3, exec_lo
	s_waitcnt vmcnt(0)
	v_cmpx_eq_u16_e64 v62, v63
	s_cbranch_execz .LBB317_102
; %bb.96:
	s_mov_b64 s[14:15], 1
	s_mov_b32 s19, 0
                                        ; implicit-def: $sgpr22
	s_set_inst_prefetch_distance 0x1
	s_branch .LBB317_99
	.p2align	6
.LBB317_97:                             ;   in Loop: Header=BB317_99 Depth=1
	v_add_co_u32 v62, vcc_lo, v58, s14
	v_add_co_ci_u32_e32 v63, vcc_lo, s15, v59, vcc_lo
	v_add_co_u32 v67, vcc_lo, v60, s14
	v_add_co_ci_u32_e32 v68, vcc_lo, s15, v61, vcc_lo
	s_add_u32 s20, s14, 1
	s_clause 0x1
	global_load_u8 v62, v[62:63], off
	global_load_u8 v63, v[67:68], off
	s_addc_u32 s21, s15, 0
	s_and_not1_b32 s22, s22, exec_lo
	s_waitcnt vmcnt(0)
	v_cmp_ne_u16_e32 vcc_lo, v62, v63
	s_and_b32 s23, vcc_lo, exec_lo
	s_delay_alu instid0(SALU_CYCLE_1)
	s_or_b32 s22, s22, s23
.LBB317_98:                             ;   in Loop: Header=BB317_99 Depth=1
	v_dual_mov_b32 v63, s15 :: v_dual_mov_b32 v62, s14
	s_and_b32 s23, exec_lo, s22
	s_mov_b64 s[14:15], s[20:21]
	s_or_b32 s19, s23, s19
	s_delay_alu instid0(SALU_CYCLE_1)
	s_and_not1_b32 exec_lo, exec_lo, s19
	s_cbranch_execz .LBB317_101
.LBB317_99:                             ; =>This Inner Loop Header: Depth=1
	s_or_b32 s22, s22, exec_lo
	s_cmp_eq_u64 s[8:9], s[14:15]
	s_cbranch_scc0 .LBB317_97
; %bb.100:                              ;   in Loop: Header=BB317_99 Depth=1
	s_mov_b64 s[14:15], s[8:9]
                                        ; implicit-def: $sgpr20_sgpr21
	s_branch .LBB317_98
.LBB317_101:
	s_set_inst_prefetch_distance 0x2
	s_or_b32 exec_lo, exec_lo, s19
	v_cmp_gt_i64_e32 vcc_lo, s[8:9], v[62:63]
	s_mov_b32 s14, 0
	s_delay_alu instid0(SALU_CYCLE_1)
	v_mov_b32_e32 v118, s14
	v_cndmask_b32_e64 v117, 0, 1, vcc_lo
.LBB317_102:
	s_or_b32 exec_lo, exec_lo, s3
.LBB317_103:
	v_mul_lo_u32 v58, v56, s8
	v_mul_lo_u32 v61, v55, s9
	v_mad_u64_u32 v[59:60], null, v55, s8, 0
	v_cmp_ne_u32_e32 vcc_lo, 1, v65
	s_delay_alu instid0(VALU_DEP_2)
	v_add3_u32 v64, v60, v61, v58
	s_cbranch_vccnz .LBB317_112
; %bb.104:
	v_add_co_u32 v57, vcc_lo, s10, v57
	v_add_co_ci_u32_e32 v58, vcc_lo, s11, v66, vcc_lo
	v_add_co_u32 v60, vcc_lo, s10, v59
	v_add_co_ci_u32_e32 v61, vcc_lo, s11, v64, vcc_lo
	v_mov_b32_e32 v119, 1
	s_clause 0x1
	global_load_u8 v62, v[57:58], off
	global_load_u8 v63, v[60:61], off
	v_mov_b32_e32 v120, 0
	s_mov_b32 s3, exec_lo
	s_waitcnt vmcnt(0)
	v_cmpx_eq_u16_e64 v62, v63
	s_cbranch_execz .LBB317_111
; %bb.105:
	s_mov_b64 s[14:15], 1
	s_mov_b32 s19, 0
                                        ; implicit-def: $sgpr22
	s_set_inst_prefetch_distance 0x1
	s_branch .LBB317_108
	.p2align	6
.LBB317_106:                            ;   in Loop: Header=BB317_108 Depth=1
	v_add_co_u32 v62, vcc_lo, v57, s14
	v_add_co_ci_u32_e32 v63, vcc_lo, s15, v58, vcc_lo
	v_add_co_u32 v66, vcc_lo, v60, s14
	v_add_co_ci_u32_e32 v67, vcc_lo, s15, v61, vcc_lo
	s_add_u32 s20, s14, 1
	s_clause 0x1
	global_load_u8 v62, v[62:63], off
	global_load_u8 v63, v[66:67], off
	s_addc_u32 s21, s15, 0
	s_and_not1_b32 s22, s22, exec_lo
	s_waitcnt vmcnt(0)
	v_cmp_ne_u16_e32 vcc_lo, v62, v63
	s_and_b32 s23, vcc_lo, exec_lo
	s_delay_alu instid0(SALU_CYCLE_1)
	s_or_b32 s22, s22, s23
.LBB317_107:                            ;   in Loop: Header=BB317_108 Depth=1
	v_dual_mov_b32 v63, s15 :: v_dual_mov_b32 v62, s14
	s_and_b32 s23, exec_lo, s22
	s_mov_b64 s[14:15], s[20:21]
	s_or_b32 s19, s23, s19
	s_delay_alu instid0(SALU_CYCLE_1)
	s_and_not1_b32 exec_lo, exec_lo, s19
	s_cbranch_execz .LBB317_110
.LBB317_108:                            ; =>This Inner Loop Header: Depth=1
	s_or_b32 s22, s22, exec_lo
	s_cmp_eq_u64 s[8:9], s[14:15]
	s_cbranch_scc0 .LBB317_106
; %bb.109:                              ;   in Loop: Header=BB317_108 Depth=1
	s_mov_b64 s[14:15], s[8:9]
                                        ; implicit-def: $sgpr20_sgpr21
	s_branch .LBB317_107
.LBB317_110:
	s_set_inst_prefetch_distance 0x2
	s_or_b32 exec_lo, exec_lo, s19
	v_cmp_gt_i64_e32 vcc_lo, s[8:9], v[62:63]
	s_mov_b32 s14, 0
	s_delay_alu instid0(SALU_CYCLE_1)
	v_mov_b32_e32 v120, s14
	v_cndmask_b32_e64 v119, 0, 1, vcc_lo
.LBB317_111:
	s_or_b32 exec_lo, exec_lo, s3
.LBB317_112:
	v_mul_lo_u32 v60, v54, s8
	v_mul_lo_u32 v61, v53, s9
	v_mad_u64_u32 v[57:58], null, v53, s8, 0
	v_mov_b32_e32 v123, 0
	v_mov_b32_e32 v124, 0
	v_cmp_ne_u32_e32 vcc_lo, 1, v65
	s_delay_alu instid0(VALU_DEP_2)
	v_dual_mov_b32 v121, v123 :: v_dual_mov_b32 v122, v124
	v_add3_u32 v66, v58, v61, v60
	s_cbranch_vccnz .LBB317_121
; %bb.113:
	v_add_co_u32 v58, vcc_lo, s10, v59
	v_add_co_ci_u32_e32 v59, vcc_lo, s11, v64, vcc_lo
	v_add_co_u32 v60, vcc_lo, s10, v57
	v_add_co_ci_u32_e32 v61, vcc_lo, s11, v66, vcc_lo
	v_mov_b32_e32 v121, 1
	s_clause 0x1
	global_load_u8 v62, v[58:59], off
	global_load_u8 v63, v[60:61], off
	v_mov_b32_e32 v122, 0
	s_mov_b32 s3, exec_lo
	s_waitcnt vmcnt(0)
	v_cmpx_eq_u16_e64 v62, v63
	s_cbranch_execz .LBB317_120
; %bb.114:
	s_mov_b64 s[14:15], 1
	s_mov_b32 s19, 0
                                        ; implicit-def: $sgpr22
	s_set_inst_prefetch_distance 0x1
	s_branch .LBB317_117
	.p2align	6
.LBB317_115:                            ;   in Loop: Header=BB317_117 Depth=1
	v_add_co_u32 v62, vcc_lo, v58, s14
	v_add_co_ci_u32_e32 v63, vcc_lo, s15, v59, vcc_lo
	v_add_co_u32 v67, vcc_lo, v60, s14
	v_add_co_ci_u32_e32 v68, vcc_lo, s15, v61, vcc_lo
	s_add_u32 s20, s14, 1
	s_clause 0x1
	global_load_u8 v62, v[62:63], off
	global_load_u8 v63, v[67:68], off
	s_addc_u32 s21, s15, 0
	s_and_not1_b32 s22, s22, exec_lo
	s_waitcnt vmcnt(0)
	v_cmp_ne_u16_e32 vcc_lo, v62, v63
	s_and_b32 s23, vcc_lo, exec_lo
	s_delay_alu instid0(SALU_CYCLE_1)
	s_or_b32 s22, s22, s23
.LBB317_116:                            ;   in Loop: Header=BB317_117 Depth=1
	v_dual_mov_b32 v63, s15 :: v_dual_mov_b32 v62, s14
	s_and_b32 s23, exec_lo, s22
	s_mov_b64 s[14:15], s[20:21]
	s_or_b32 s19, s23, s19
	s_delay_alu instid0(SALU_CYCLE_1)
	s_and_not1_b32 exec_lo, exec_lo, s19
	s_cbranch_execz .LBB317_119
.LBB317_117:                            ; =>This Inner Loop Header: Depth=1
	s_or_b32 s22, s22, exec_lo
	s_cmp_eq_u64 s[8:9], s[14:15]
	s_cbranch_scc0 .LBB317_115
; %bb.118:                              ;   in Loop: Header=BB317_117 Depth=1
	s_mov_b64 s[14:15], s[8:9]
                                        ; implicit-def: $sgpr20_sgpr21
	s_branch .LBB317_116
.LBB317_119:
	s_set_inst_prefetch_distance 0x2
	s_or_b32 exec_lo, exec_lo, s19
	v_cmp_gt_i64_e32 vcc_lo, s[8:9], v[62:63]
	s_mov_b32 s14, 0
	s_delay_alu instid0(SALU_CYCLE_1)
	v_mov_b32_e32 v122, s14
	v_cndmask_b32_e64 v121, 0, 1, vcc_lo
.LBB317_120:
	s_or_b32 exec_lo, exec_lo, s3
.LBB317_121:
	v_mul_lo_u32 v58, v52, s8
	v_mul_lo_u32 v61, v51, s9
	v_mad_u64_u32 v[59:60], null, v51, s8, 0
	v_cmp_ne_u32_e32 vcc_lo, 1, v65
	s_delay_alu instid0(VALU_DEP_2)
	v_add3_u32 v64, v60, v61, v58
	s_cbranch_vccnz .LBB317_130
; %bb.122:
	v_add_co_u32 v57, vcc_lo, s10, v57
	v_add_co_ci_u32_e32 v58, vcc_lo, s11, v66, vcc_lo
	v_add_co_u32 v60, vcc_lo, s10, v59
	v_add_co_ci_u32_e32 v61, vcc_lo, s11, v64, vcc_lo
	v_mov_b32_e32 v123, 1
	s_clause 0x1
	global_load_u8 v62, v[57:58], off
	global_load_u8 v63, v[60:61], off
	v_mov_b32_e32 v124, 0
	s_mov_b32 s3, exec_lo
	s_waitcnt vmcnt(0)
	v_cmpx_eq_u16_e64 v62, v63
	s_cbranch_execz .LBB317_129
; %bb.123:
	s_mov_b64 s[14:15], 1
	s_mov_b32 s19, 0
                                        ; implicit-def: $sgpr22
	s_set_inst_prefetch_distance 0x1
	s_branch .LBB317_126
	.p2align	6
.LBB317_124:                            ;   in Loop: Header=BB317_126 Depth=1
	v_add_co_u32 v62, vcc_lo, v57, s14
	v_add_co_ci_u32_e32 v63, vcc_lo, s15, v58, vcc_lo
	v_add_co_u32 v66, vcc_lo, v60, s14
	v_add_co_ci_u32_e32 v67, vcc_lo, s15, v61, vcc_lo
	s_add_u32 s20, s14, 1
	s_clause 0x1
	global_load_u8 v62, v[62:63], off
	global_load_u8 v63, v[66:67], off
	s_addc_u32 s21, s15, 0
	s_and_not1_b32 s22, s22, exec_lo
	s_waitcnt vmcnt(0)
	v_cmp_ne_u16_e32 vcc_lo, v62, v63
	s_and_b32 s23, vcc_lo, exec_lo
	s_delay_alu instid0(SALU_CYCLE_1)
	s_or_b32 s22, s22, s23
.LBB317_125:                            ;   in Loop: Header=BB317_126 Depth=1
	v_dual_mov_b32 v63, s15 :: v_dual_mov_b32 v62, s14
	s_and_b32 s23, exec_lo, s22
	s_mov_b64 s[14:15], s[20:21]
	s_or_b32 s19, s23, s19
	s_delay_alu instid0(SALU_CYCLE_1)
	s_and_not1_b32 exec_lo, exec_lo, s19
	s_cbranch_execz .LBB317_128
.LBB317_126:                            ; =>This Inner Loop Header: Depth=1
	s_or_b32 s22, s22, exec_lo
	s_cmp_eq_u64 s[8:9], s[14:15]
	s_cbranch_scc0 .LBB317_124
; %bb.127:                              ;   in Loop: Header=BB317_126 Depth=1
	s_mov_b64 s[14:15], s[8:9]
                                        ; implicit-def: $sgpr20_sgpr21
	s_branch .LBB317_125
.LBB317_128:
	s_set_inst_prefetch_distance 0x2
	s_or_b32 exec_lo, exec_lo, s19
	v_cmp_gt_i64_e32 vcc_lo, s[8:9], v[62:63]
	s_mov_b32 s14, 0
	s_delay_alu instid0(SALU_CYCLE_1)
	v_mov_b32_e32 v124, s14
	v_cndmask_b32_e64 v123, 0, 1, vcc_lo
.LBB317_129:
	s_or_b32 exec_lo, exec_lo, s3
.LBB317_130:
	v_mul_lo_u32 v60, v50, s8
	v_mul_lo_u32 v61, v49, s9
	v_mad_u64_u32 v[57:58], null, v49, s8, 0
	v_mov_b32_e32 v127, 0
	v_mov_b32_e32 v128, 0
	v_cmp_ne_u32_e32 vcc_lo, 1, v65
	s_delay_alu instid0(VALU_DEP_2)
	v_dual_mov_b32 v125, v127 :: v_dual_mov_b32 v126, v128
	v_add3_u32 v66, v58, v61, v60
	s_cbranch_vccnz .LBB317_139
; %bb.131:
	v_add_co_u32 v58, vcc_lo, s10, v59
	v_add_co_ci_u32_e32 v59, vcc_lo, s11, v64, vcc_lo
	v_add_co_u32 v60, vcc_lo, s10, v57
	v_add_co_ci_u32_e32 v61, vcc_lo, s11, v66, vcc_lo
	v_mov_b32_e32 v125, 1
	s_clause 0x1
	global_load_u8 v62, v[58:59], off
	global_load_u8 v63, v[60:61], off
	v_mov_b32_e32 v126, 0
	s_mov_b32 s3, exec_lo
	s_waitcnt vmcnt(0)
	v_cmpx_eq_u16_e64 v62, v63
	s_cbranch_execz .LBB317_138
; %bb.132:
	s_mov_b64 s[14:15], 1
	s_mov_b32 s19, 0
                                        ; implicit-def: $sgpr22
	s_set_inst_prefetch_distance 0x1
	s_branch .LBB317_135
	.p2align	6
.LBB317_133:                            ;   in Loop: Header=BB317_135 Depth=1
	v_add_co_u32 v62, vcc_lo, v58, s14
	v_add_co_ci_u32_e32 v63, vcc_lo, s15, v59, vcc_lo
	v_add_co_u32 v67, vcc_lo, v60, s14
	v_add_co_ci_u32_e32 v68, vcc_lo, s15, v61, vcc_lo
	s_add_u32 s20, s14, 1
	s_clause 0x1
	global_load_u8 v62, v[62:63], off
	global_load_u8 v63, v[67:68], off
	s_addc_u32 s21, s15, 0
	s_and_not1_b32 s22, s22, exec_lo
	s_waitcnt vmcnt(0)
	v_cmp_ne_u16_e32 vcc_lo, v62, v63
	s_and_b32 s23, vcc_lo, exec_lo
	s_delay_alu instid0(SALU_CYCLE_1)
	s_or_b32 s22, s22, s23
.LBB317_134:                            ;   in Loop: Header=BB317_135 Depth=1
	v_dual_mov_b32 v63, s15 :: v_dual_mov_b32 v62, s14
	s_and_b32 s23, exec_lo, s22
	s_mov_b64 s[14:15], s[20:21]
	s_or_b32 s19, s23, s19
	s_delay_alu instid0(SALU_CYCLE_1)
	s_and_not1_b32 exec_lo, exec_lo, s19
	s_cbranch_execz .LBB317_137
.LBB317_135:                            ; =>This Inner Loop Header: Depth=1
	s_or_b32 s22, s22, exec_lo
	s_cmp_eq_u64 s[8:9], s[14:15]
	s_cbranch_scc0 .LBB317_133
; %bb.136:                              ;   in Loop: Header=BB317_135 Depth=1
	s_mov_b64 s[14:15], s[8:9]
                                        ; implicit-def: $sgpr20_sgpr21
	s_branch .LBB317_134
.LBB317_137:
	s_set_inst_prefetch_distance 0x2
	s_or_b32 exec_lo, exec_lo, s19
	v_cmp_gt_i64_e32 vcc_lo, s[8:9], v[62:63]
	s_mov_b32 s14, 0
	s_delay_alu instid0(SALU_CYCLE_1)
	v_mov_b32_e32 v126, s14
	v_cndmask_b32_e64 v125, 0, 1, vcc_lo
.LBB317_138:
	s_or_b32 exec_lo, exec_lo, s3
.LBB317_139:
	v_mul_lo_u32 v58, v48, s8
	v_mul_lo_u32 v61, v47, s9
	v_mad_u64_u32 v[59:60], null, v47, s8, 0
	v_cmp_ne_u32_e32 vcc_lo, 1, v65
	s_delay_alu instid0(VALU_DEP_2)
	v_add3_u32 v64, v60, v61, v58
	s_cbranch_vccnz .LBB317_148
; %bb.140:
	v_add_co_u32 v57, vcc_lo, s10, v57
	v_add_co_ci_u32_e32 v58, vcc_lo, s11, v66, vcc_lo
	v_add_co_u32 v60, vcc_lo, s10, v59
	v_add_co_ci_u32_e32 v61, vcc_lo, s11, v64, vcc_lo
	v_mov_b32_e32 v127, 1
	s_clause 0x1
	global_load_u8 v62, v[57:58], off
	global_load_u8 v63, v[60:61], off
	v_mov_b32_e32 v128, 0
	s_mov_b32 s3, exec_lo
	s_waitcnt vmcnt(0)
	v_cmpx_eq_u16_e64 v62, v63
	s_cbranch_execz .LBB317_147
; %bb.141:
	s_mov_b64 s[14:15], 1
	s_mov_b32 s19, 0
                                        ; implicit-def: $sgpr22
	s_set_inst_prefetch_distance 0x1
	s_branch .LBB317_144
	.p2align	6
.LBB317_142:                            ;   in Loop: Header=BB317_144 Depth=1
	v_add_co_u32 v62, vcc_lo, v57, s14
	v_add_co_ci_u32_e32 v63, vcc_lo, s15, v58, vcc_lo
	v_add_co_u32 v66, vcc_lo, v60, s14
	v_add_co_ci_u32_e32 v67, vcc_lo, s15, v61, vcc_lo
	s_add_u32 s20, s14, 1
	s_clause 0x1
	global_load_u8 v62, v[62:63], off
	global_load_u8 v63, v[66:67], off
	s_addc_u32 s21, s15, 0
	s_and_not1_b32 s22, s22, exec_lo
	s_waitcnt vmcnt(0)
	v_cmp_ne_u16_e32 vcc_lo, v62, v63
	s_and_b32 s23, vcc_lo, exec_lo
	s_delay_alu instid0(SALU_CYCLE_1)
	s_or_b32 s22, s22, s23
.LBB317_143:                            ;   in Loop: Header=BB317_144 Depth=1
	v_dual_mov_b32 v63, s15 :: v_dual_mov_b32 v62, s14
	s_and_b32 s23, exec_lo, s22
	s_mov_b64 s[14:15], s[20:21]
	s_or_b32 s19, s23, s19
	s_delay_alu instid0(SALU_CYCLE_1)
	s_and_not1_b32 exec_lo, exec_lo, s19
	s_cbranch_execz .LBB317_146
.LBB317_144:                            ; =>This Inner Loop Header: Depth=1
	s_or_b32 s22, s22, exec_lo
	s_cmp_eq_u64 s[8:9], s[14:15]
	s_cbranch_scc0 .LBB317_142
; %bb.145:                              ;   in Loop: Header=BB317_144 Depth=1
	s_mov_b64 s[14:15], s[8:9]
                                        ; implicit-def: $sgpr20_sgpr21
	s_branch .LBB317_143
.LBB317_146:
	s_set_inst_prefetch_distance 0x2
	s_or_b32 exec_lo, exec_lo, s19
	v_cmp_gt_i64_e32 vcc_lo, s[8:9], v[62:63]
	s_mov_b32 s14, 0
	s_delay_alu instid0(SALU_CYCLE_1)
	v_mov_b32_e32 v128, s14
	v_cndmask_b32_e64 v127, 0, 1, vcc_lo
.LBB317_147:
	s_or_b32 exec_lo, exec_lo, s3
.LBB317_148:
	v_mul_lo_u32 v60, v46, s8
	v_mul_lo_u32 v61, v45, s9
	v_mad_u64_u32 v[57:58], null, v45, s8, 0
	v_mov_b32_e32 v131, 0
	v_mov_b32_e32 v132, 0
	v_cmp_ne_u32_e32 vcc_lo, 1, v65
	s_delay_alu instid0(VALU_DEP_2)
	v_dual_mov_b32 v129, v131 :: v_dual_mov_b32 v130, v132
	v_add3_u32 v66, v58, v61, v60
	s_cbranch_vccnz .LBB317_157
; %bb.149:
	v_add_co_u32 v58, vcc_lo, s10, v59
	v_add_co_ci_u32_e32 v59, vcc_lo, s11, v64, vcc_lo
	v_add_co_u32 v60, vcc_lo, s10, v57
	v_add_co_ci_u32_e32 v61, vcc_lo, s11, v66, vcc_lo
	v_mov_b32_e32 v129, 1
	s_clause 0x1
	global_load_u8 v62, v[58:59], off
	global_load_u8 v63, v[60:61], off
	v_mov_b32_e32 v130, 0
	s_mov_b32 s3, exec_lo
	s_waitcnt vmcnt(0)
	v_cmpx_eq_u16_e64 v62, v63
	s_cbranch_execz .LBB317_156
; %bb.150:
	s_mov_b64 s[14:15], 1
	s_mov_b32 s19, 0
                                        ; implicit-def: $sgpr22
	s_set_inst_prefetch_distance 0x1
	s_branch .LBB317_153
	.p2align	6
.LBB317_151:                            ;   in Loop: Header=BB317_153 Depth=1
	v_add_co_u32 v62, vcc_lo, v58, s14
	v_add_co_ci_u32_e32 v63, vcc_lo, s15, v59, vcc_lo
	v_add_co_u32 v67, vcc_lo, v60, s14
	v_add_co_ci_u32_e32 v68, vcc_lo, s15, v61, vcc_lo
	s_add_u32 s20, s14, 1
	s_clause 0x1
	global_load_u8 v62, v[62:63], off
	global_load_u8 v63, v[67:68], off
	s_addc_u32 s21, s15, 0
	s_and_not1_b32 s22, s22, exec_lo
	s_waitcnt vmcnt(0)
	v_cmp_ne_u16_e32 vcc_lo, v62, v63
	s_and_b32 s23, vcc_lo, exec_lo
	s_delay_alu instid0(SALU_CYCLE_1)
	s_or_b32 s22, s22, s23
.LBB317_152:                            ;   in Loop: Header=BB317_153 Depth=1
	v_dual_mov_b32 v63, s15 :: v_dual_mov_b32 v62, s14
	s_and_b32 s23, exec_lo, s22
	s_mov_b64 s[14:15], s[20:21]
	s_or_b32 s19, s23, s19
	s_delay_alu instid0(SALU_CYCLE_1)
	s_and_not1_b32 exec_lo, exec_lo, s19
	s_cbranch_execz .LBB317_155
.LBB317_153:                            ; =>This Inner Loop Header: Depth=1
	s_or_b32 s22, s22, exec_lo
	s_cmp_eq_u64 s[8:9], s[14:15]
	s_cbranch_scc0 .LBB317_151
; %bb.154:                              ;   in Loop: Header=BB317_153 Depth=1
	s_mov_b64 s[14:15], s[8:9]
                                        ; implicit-def: $sgpr20_sgpr21
	s_branch .LBB317_152
.LBB317_155:
	s_set_inst_prefetch_distance 0x2
	s_or_b32 exec_lo, exec_lo, s19
	v_cmp_gt_i64_e32 vcc_lo, s[8:9], v[62:63]
	s_mov_b32 s14, 0
	s_delay_alu instid0(SALU_CYCLE_1)
	v_mov_b32_e32 v130, s14
	v_cndmask_b32_e64 v129, 0, 1, vcc_lo
.LBB317_156:
	s_or_b32 exec_lo, exec_lo, s3
.LBB317_157:
	v_mul_lo_u32 v58, v44, s8
	v_mul_lo_u32 v61, v43, s9
	v_mad_u64_u32 v[59:60], null, v43, s8, 0
	v_cmp_ne_u32_e32 vcc_lo, 1, v65
	s_delay_alu instid0(VALU_DEP_2)
	v_add3_u32 v64, v60, v61, v58
	s_cbranch_vccnz .LBB317_166
; %bb.158:
	v_add_co_u32 v57, vcc_lo, s10, v57
	v_add_co_ci_u32_e32 v58, vcc_lo, s11, v66, vcc_lo
	v_add_co_u32 v60, vcc_lo, s10, v59
	v_add_co_ci_u32_e32 v61, vcc_lo, s11, v64, vcc_lo
	v_mov_b32_e32 v131, 1
	s_clause 0x1
	global_load_u8 v62, v[57:58], off
	global_load_u8 v63, v[60:61], off
	v_mov_b32_e32 v132, 0
	s_mov_b32 s3, exec_lo
	s_waitcnt vmcnt(0)
	v_cmpx_eq_u16_e64 v62, v63
	s_cbranch_execz .LBB317_165
; %bb.159:
	s_mov_b64 s[14:15], 1
	s_mov_b32 s19, 0
                                        ; implicit-def: $sgpr22
	s_set_inst_prefetch_distance 0x1
	s_branch .LBB317_162
	.p2align	6
.LBB317_160:                            ;   in Loop: Header=BB317_162 Depth=1
	v_add_co_u32 v62, vcc_lo, v57, s14
	v_add_co_ci_u32_e32 v63, vcc_lo, s15, v58, vcc_lo
	v_add_co_u32 v66, vcc_lo, v60, s14
	v_add_co_ci_u32_e32 v67, vcc_lo, s15, v61, vcc_lo
	s_add_u32 s20, s14, 1
	s_clause 0x1
	global_load_u8 v62, v[62:63], off
	global_load_u8 v63, v[66:67], off
	s_addc_u32 s21, s15, 0
	s_and_not1_b32 s22, s22, exec_lo
	s_waitcnt vmcnt(0)
	v_cmp_ne_u16_e32 vcc_lo, v62, v63
	s_and_b32 s23, vcc_lo, exec_lo
	s_delay_alu instid0(SALU_CYCLE_1)
	s_or_b32 s22, s22, s23
.LBB317_161:                            ;   in Loop: Header=BB317_162 Depth=1
	v_dual_mov_b32 v63, s15 :: v_dual_mov_b32 v62, s14
	s_and_b32 s23, exec_lo, s22
	s_mov_b64 s[14:15], s[20:21]
	s_or_b32 s19, s23, s19
	s_delay_alu instid0(SALU_CYCLE_1)
	s_and_not1_b32 exec_lo, exec_lo, s19
	s_cbranch_execz .LBB317_164
.LBB317_162:                            ; =>This Inner Loop Header: Depth=1
	s_or_b32 s22, s22, exec_lo
	s_cmp_eq_u64 s[8:9], s[14:15]
	s_cbranch_scc0 .LBB317_160
; %bb.163:                              ;   in Loop: Header=BB317_162 Depth=1
	s_mov_b64 s[14:15], s[8:9]
                                        ; implicit-def: $sgpr20_sgpr21
	s_branch .LBB317_161
.LBB317_164:
	s_set_inst_prefetch_distance 0x2
	s_or_b32 exec_lo, exec_lo, s19
	v_cmp_gt_i64_e32 vcc_lo, s[8:9], v[62:63]
	s_mov_b32 s14, 0
	s_delay_alu instid0(SALU_CYCLE_1)
	v_mov_b32_e32 v132, s14
	v_cndmask_b32_e64 v131, 0, 1, vcc_lo
.LBB317_165:
	s_or_b32 exec_lo, exec_lo, s3
.LBB317_166:
	v_mul_lo_u32 v60, v42, s8
	v_mul_lo_u32 v61, v41, s9
	v_mad_u64_u32 v[57:58], null, v41, s8, 0
	v_mov_b32_e32 v135, 0
	v_mov_b32_e32 v136, 0
	v_cmp_ne_u32_e32 vcc_lo, 1, v65
	s_delay_alu instid0(VALU_DEP_2)
	v_dual_mov_b32 v133, v135 :: v_dual_mov_b32 v134, v136
	v_add3_u32 v66, v58, v61, v60
	s_cbranch_vccnz .LBB317_175
; %bb.167:
	v_add_co_u32 v58, vcc_lo, s10, v59
	v_add_co_ci_u32_e32 v59, vcc_lo, s11, v64, vcc_lo
	v_add_co_u32 v60, vcc_lo, s10, v57
	v_add_co_ci_u32_e32 v61, vcc_lo, s11, v66, vcc_lo
	v_mov_b32_e32 v133, 1
	s_clause 0x1
	global_load_u8 v62, v[58:59], off
	global_load_u8 v63, v[60:61], off
	v_mov_b32_e32 v134, 0
	s_mov_b32 s3, exec_lo
	s_waitcnt vmcnt(0)
	v_cmpx_eq_u16_e64 v62, v63
	s_cbranch_execz .LBB317_174
; %bb.168:
	s_mov_b64 s[14:15], 1
	s_mov_b32 s19, 0
                                        ; implicit-def: $sgpr22
	s_set_inst_prefetch_distance 0x1
	s_branch .LBB317_171
	.p2align	6
.LBB317_169:                            ;   in Loop: Header=BB317_171 Depth=1
	v_add_co_u32 v62, vcc_lo, v58, s14
	v_add_co_ci_u32_e32 v63, vcc_lo, s15, v59, vcc_lo
	v_add_co_u32 v67, vcc_lo, v60, s14
	v_add_co_ci_u32_e32 v68, vcc_lo, s15, v61, vcc_lo
	s_add_u32 s20, s14, 1
	s_clause 0x1
	global_load_u8 v62, v[62:63], off
	global_load_u8 v63, v[67:68], off
	s_addc_u32 s21, s15, 0
	s_and_not1_b32 s22, s22, exec_lo
	s_waitcnt vmcnt(0)
	v_cmp_ne_u16_e32 vcc_lo, v62, v63
	s_and_b32 s23, vcc_lo, exec_lo
	s_delay_alu instid0(SALU_CYCLE_1)
	s_or_b32 s22, s22, s23
.LBB317_170:                            ;   in Loop: Header=BB317_171 Depth=1
	v_dual_mov_b32 v63, s15 :: v_dual_mov_b32 v62, s14
	s_and_b32 s23, exec_lo, s22
	s_mov_b64 s[14:15], s[20:21]
	s_or_b32 s19, s23, s19
	s_delay_alu instid0(SALU_CYCLE_1)
	s_and_not1_b32 exec_lo, exec_lo, s19
	s_cbranch_execz .LBB317_173
.LBB317_171:                            ; =>This Inner Loop Header: Depth=1
	s_or_b32 s22, s22, exec_lo
	s_cmp_eq_u64 s[8:9], s[14:15]
	s_cbranch_scc0 .LBB317_169
; %bb.172:                              ;   in Loop: Header=BB317_171 Depth=1
	s_mov_b64 s[14:15], s[8:9]
                                        ; implicit-def: $sgpr20_sgpr21
	s_branch .LBB317_170
.LBB317_173:
	s_set_inst_prefetch_distance 0x2
	s_or_b32 exec_lo, exec_lo, s19
	v_cmp_gt_i64_e32 vcc_lo, s[8:9], v[62:63]
	s_mov_b32 s14, 0
	s_delay_alu instid0(SALU_CYCLE_1)
	v_mov_b32_e32 v134, s14
	v_cndmask_b32_e64 v133, 0, 1, vcc_lo
.LBB317_174:
	s_or_b32 exec_lo, exec_lo, s3
.LBB317_175:
	v_mul_lo_u32 v58, v40, s8
	v_mul_lo_u32 v61, v39, s9
	v_mad_u64_u32 v[59:60], null, v39, s8, 0
	v_cmp_ne_u32_e32 vcc_lo, 1, v65
	s_delay_alu instid0(VALU_DEP_2)
	v_add3_u32 v64, v60, v61, v58
	s_cbranch_vccnz .LBB317_184
; %bb.176:
	v_add_co_u32 v57, vcc_lo, s10, v57
	v_add_co_ci_u32_e32 v58, vcc_lo, s11, v66, vcc_lo
	v_add_co_u32 v60, vcc_lo, s10, v59
	v_add_co_ci_u32_e32 v61, vcc_lo, s11, v64, vcc_lo
	v_mov_b32_e32 v135, 1
	s_clause 0x1
	global_load_u8 v62, v[57:58], off
	global_load_u8 v63, v[60:61], off
	v_mov_b32_e32 v136, 0
	s_mov_b32 s3, exec_lo
	s_waitcnt vmcnt(0)
	v_cmpx_eq_u16_e64 v62, v63
	s_cbranch_execz .LBB317_183
; %bb.177:
	s_mov_b64 s[14:15], 1
	s_mov_b32 s19, 0
                                        ; implicit-def: $sgpr22
	s_set_inst_prefetch_distance 0x1
	s_branch .LBB317_180
	.p2align	6
.LBB317_178:                            ;   in Loop: Header=BB317_180 Depth=1
	v_add_co_u32 v62, vcc_lo, v57, s14
	v_add_co_ci_u32_e32 v63, vcc_lo, s15, v58, vcc_lo
	v_add_co_u32 v66, vcc_lo, v60, s14
	v_add_co_ci_u32_e32 v67, vcc_lo, s15, v61, vcc_lo
	s_add_u32 s20, s14, 1
	s_clause 0x1
	global_load_u8 v62, v[62:63], off
	global_load_u8 v63, v[66:67], off
	s_addc_u32 s21, s15, 0
	s_and_not1_b32 s22, s22, exec_lo
	s_waitcnt vmcnt(0)
	v_cmp_ne_u16_e32 vcc_lo, v62, v63
	s_and_b32 s23, vcc_lo, exec_lo
	s_delay_alu instid0(SALU_CYCLE_1)
	s_or_b32 s22, s22, s23
.LBB317_179:                            ;   in Loop: Header=BB317_180 Depth=1
	v_dual_mov_b32 v63, s15 :: v_dual_mov_b32 v62, s14
	s_and_b32 s23, exec_lo, s22
	s_mov_b64 s[14:15], s[20:21]
	s_or_b32 s19, s23, s19
	s_delay_alu instid0(SALU_CYCLE_1)
	s_and_not1_b32 exec_lo, exec_lo, s19
	s_cbranch_execz .LBB317_182
.LBB317_180:                            ; =>This Inner Loop Header: Depth=1
	s_or_b32 s22, s22, exec_lo
	s_cmp_eq_u64 s[8:9], s[14:15]
	s_cbranch_scc0 .LBB317_178
; %bb.181:                              ;   in Loop: Header=BB317_180 Depth=1
	s_mov_b64 s[14:15], s[8:9]
                                        ; implicit-def: $sgpr20_sgpr21
	s_branch .LBB317_179
.LBB317_182:
	s_set_inst_prefetch_distance 0x2
	s_or_b32 exec_lo, exec_lo, s19
	v_cmp_gt_i64_e32 vcc_lo, s[8:9], v[62:63]
	s_mov_b32 s14, 0
	s_delay_alu instid0(SALU_CYCLE_1)
	v_mov_b32_e32 v136, s14
	v_cndmask_b32_e64 v135, 0, 1, vcc_lo
.LBB317_183:
	s_or_b32 exec_lo, exec_lo, s3
.LBB317_184:
	v_mul_lo_u32 v60, v38, s8
	v_mul_lo_u32 v61, v37, s9
	v_mad_u64_u32 v[57:58], null, v37, s8, 0
	v_mov_b32_e32 v139, 0
	v_mov_b32_e32 v140, 0
	v_cmp_ne_u32_e32 vcc_lo, 1, v65
	s_delay_alu instid0(VALU_DEP_2)
	v_dual_mov_b32 v137, v139 :: v_dual_mov_b32 v138, v140
	v_add3_u32 v66, v58, v61, v60
	s_cbranch_vccnz .LBB317_193
; %bb.185:
	v_add_co_u32 v58, vcc_lo, s10, v59
	v_add_co_ci_u32_e32 v59, vcc_lo, s11, v64, vcc_lo
	v_add_co_u32 v60, vcc_lo, s10, v57
	v_add_co_ci_u32_e32 v61, vcc_lo, s11, v66, vcc_lo
	v_mov_b32_e32 v137, 1
	s_clause 0x1
	global_load_u8 v62, v[58:59], off
	global_load_u8 v63, v[60:61], off
	v_mov_b32_e32 v138, 0
	s_mov_b32 s3, exec_lo
	s_waitcnt vmcnt(0)
	v_cmpx_eq_u16_e64 v62, v63
	s_cbranch_execz .LBB317_192
; %bb.186:
	s_mov_b64 s[14:15], 1
	s_mov_b32 s19, 0
                                        ; implicit-def: $sgpr22
	s_set_inst_prefetch_distance 0x1
	s_branch .LBB317_189
	.p2align	6
.LBB317_187:                            ;   in Loop: Header=BB317_189 Depth=1
	v_add_co_u32 v62, vcc_lo, v58, s14
	v_add_co_ci_u32_e32 v63, vcc_lo, s15, v59, vcc_lo
	v_add_co_u32 v67, vcc_lo, v60, s14
	v_add_co_ci_u32_e32 v68, vcc_lo, s15, v61, vcc_lo
	s_add_u32 s20, s14, 1
	s_clause 0x1
	global_load_u8 v62, v[62:63], off
	global_load_u8 v63, v[67:68], off
	s_addc_u32 s21, s15, 0
	s_and_not1_b32 s22, s22, exec_lo
	s_waitcnt vmcnt(0)
	v_cmp_ne_u16_e32 vcc_lo, v62, v63
	s_and_b32 s23, vcc_lo, exec_lo
	s_delay_alu instid0(SALU_CYCLE_1)
	s_or_b32 s22, s22, s23
.LBB317_188:                            ;   in Loop: Header=BB317_189 Depth=1
	v_dual_mov_b32 v63, s15 :: v_dual_mov_b32 v62, s14
	s_and_b32 s23, exec_lo, s22
	s_mov_b64 s[14:15], s[20:21]
	s_or_b32 s19, s23, s19
	s_delay_alu instid0(SALU_CYCLE_1)
	s_and_not1_b32 exec_lo, exec_lo, s19
	s_cbranch_execz .LBB317_191
.LBB317_189:                            ; =>This Inner Loop Header: Depth=1
	s_or_b32 s22, s22, exec_lo
	s_cmp_eq_u64 s[8:9], s[14:15]
	s_cbranch_scc0 .LBB317_187
; %bb.190:                              ;   in Loop: Header=BB317_189 Depth=1
	s_mov_b64 s[14:15], s[8:9]
                                        ; implicit-def: $sgpr20_sgpr21
	s_branch .LBB317_188
.LBB317_191:
	s_set_inst_prefetch_distance 0x2
	s_or_b32 exec_lo, exec_lo, s19
	v_cmp_gt_i64_e32 vcc_lo, s[8:9], v[62:63]
	s_mov_b32 s14, 0
	s_delay_alu instid0(SALU_CYCLE_1)
	v_mov_b32_e32 v138, s14
	v_cndmask_b32_e64 v137, 0, 1, vcc_lo
.LBB317_192:
	s_or_b32 exec_lo, exec_lo, s3
.LBB317_193:
	v_mul_lo_u32 v58, v36, s8
	v_mul_lo_u32 v61, v35, s9
	v_mad_u64_u32 v[59:60], null, v35, s8, 0
	v_cmp_ne_u32_e32 vcc_lo, 1, v65
	s_delay_alu instid0(VALU_DEP_2)
	v_add3_u32 v64, v60, v61, v58
	s_cbranch_vccnz .LBB317_202
; %bb.194:
	v_add_co_u32 v57, vcc_lo, s10, v57
	v_add_co_ci_u32_e32 v58, vcc_lo, s11, v66, vcc_lo
	v_add_co_u32 v60, vcc_lo, s10, v59
	v_add_co_ci_u32_e32 v61, vcc_lo, s11, v64, vcc_lo
	v_mov_b32_e32 v139, 1
	s_clause 0x1
	global_load_u8 v62, v[57:58], off
	global_load_u8 v63, v[60:61], off
	v_mov_b32_e32 v140, 0
	s_mov_b32 s3, exec_lo
	s_waitcnt vmcnt(0)
	v_cmpx_eq_u16_e64 v62, v63
	s_cbranch_execz .LBB317_201
; %bb.195:
	s_mov_b64 s[14:15], 1
	s_mov_b32 s19, 0
                                        ; implicit-def: $sgpr22
	s_set_inst_prefetch_distance 0x1
	s_branch .LBB317_198
	.p2align	6
.LBB317_196:                            ;   in Loop: Header=BB317_198 Depth=1
	v_add_co_u32 v62, vcc_lo, v57, s14
	v_add_co_ci_u32_e32 v63, vcc_lo, s15, v58, vcc_lo
	v_add_co_u32 v66, vcc_lo, v60, s14
	v_add_co_ci_u32_e32 v67, vcc_lo, s15, v61, vcc_lo
	s_add_u32 s20, s14, 1
	s_clause 0x1
	global_load_u8 v62, v[62:63], off
	global_load_u8 v63, v[66:67], off
	s_addc_u32 s21, s15, 0
	s_and_not1_b32 s22, s22, exec_lo
	s_waitcnt vmcnt(0)
	v_cmp_ne_u16_e32 vcc_lo, v62, v63
	s_and_b32 s23, vcc_lo, exec_lo
	s_delay_alu instid0(SALU_CYCLE_1)
	s_or_b32 s22, s22, s23
.LBB317_197:                            ;   in Loop: Header=BB317_198 Depth=1
	v_dual_mov_b32 v63, s15 :: v_dual_mov_b32 v62, s14
	s_and_b32 s23, exec_lo, s22
	s_mov_b64 s[14:15], s[20:21]
	s_or_b32 s19, s23, s19
	s_delay_alu instid0(SALU_CYCLE_1)
	s_and_not1_b32 exec_lo, exec_lo, s19
	s_cbranch_execz .LBB317_200
.LBB317_198:                            ; =>This Inner Loop Header: Depth=1
	s_or_b32 s22, s22, exec_lo
	s_cmp_eq_u64 s[8:9], s[14:15]
	s_cbranch_scc0 .LBB317_196
; %bb.199:                              ;   in Loop: Header=BB317_198 Depth=1
	s_mov_b64 s[14:15], s[8:9]
                                        ; implicit-def: $sgpr20_sgpr21
	s_branch .LBB317_197
.LBB317_200:
	s_set_inst_prefetch_distance 0x2
	s_or_b32 exec_lo, exec_lo, s19
	v_cmp_gt_i64_e32 vcc_lo, s[8:9], v[62:63]
	s_mov_b32 s14, 0
	s_delay_alu instid0(SALU_CYCLE_1)
	v_mov_b32_e32 v140, s14
	v_cndmask_b32_e64 v139, 0, 1, vcc_lo
.LBB317_201:
	s_or_b32 exec_lo, exec_lo, s3
.LBB317_202:
	v_mul_lo_u32 v60, v34, s8
	v_mul_lo_u32 v61, v33, s9
	v_mad_u64_u32 v[57:58], null, v33, s8, 0
	v_mov_b32_e32 v143, 0
	v_mov_b32_e32 v144, 0
	v_cmp_ne_u32_e32 vcc_lo, 1, v65
	s_delay_alu instid0(VALU_DEP_2)
	v_dual_mov_b32 v141, v143 :: v_dual_mov_b32 v142, v144
	v_add3_u32 v66, v58, v61, v60
	s_cbranch_vccnz .LBB317_211
; %bb.203:
	v_add_co_u32 v58, vcc_lo, s10, v59
	v_add_co_ci_u32_e32 v59, vcc_lo, s11, v64, vcc_lo
	v_add_co_u32 v60, vcc_lo, s10, v57
	v_add_co_ci_u32_e32 v61, vcc_lo, s11, v66, vcc_lo
	v_mov_b32_e32 v141, 1
	s_clause 0x1
	global_load_u8 v62, v[58:59], off
	global_load_u8 v63, v[60:61], off
	v_mov_b32_e32 v142, 0
	s_mov_b32 s3, exec_lo
	s_waitcnt vmcnt(0)
	v_cmpx_eq_u16_e64 v62, v63
	s_cbranch_execz .LBB317_210
; %bb.204:
	s_mov_b64 s[14:15], 1
	s_mov_b32 s19, 0
                                        ; implicit-def: $sgpr22
	s_set_inst_prefetch_distance 0x1
	s_branch .LBB317_207
	.p2align	6
.LBB317_205:                            ;   in Loop: Header=BB317_207 Depth=1
	v_add_co_u32 v62, vcc_lo, v58, s14
	v_add_co_ci_u32_e32 v63, vcc_lo, s15, v59, vcc_lo
	v_add_co_u32 v67, vcc_lo, v60, s14
	v_add_co_ci_u32_e32 v68, vcc_lo, s15, v61, vcc_lo
	s_add_u32 s20, s14, 1
	s_clause 0x1
	global_load_u8 v62, v[62:63], off
	global_load_u8 v63, v[67:68], off
	s_addc_u32 s21, s15, 0
	s_and_not1_b32 s22, s22, exec_lo
	s_waitcnt vmcnt(0)
	v_cmp_ne_u16_e32 vcc_lo, v62, v63
	s_and_b32 s23, vcc_lo, exec_lo
	s_delay_alu instid0(SALU_CYCLE_1)
	s_or_b32 s22, s22, s23
.LBB317_206:                            ;   in Loop: Header=BB317_207 Depth=1
	v_dual_mov_b32 v63, s15 :: v_dual_mov_b32 v62, s14
	s_and_b32 s23, exec_lo, s22
	s_mov_b64 s[14:15], s[20:21]
	s_or_b32 s19, s23, s19
	s_delay_alu instid0(SALU_CYCLE_1)
	s_and_not1_b32 exec_lo, exec_lo, s19
	s_cbranch_execz .LBB317_209
.LBB317_207:                            ; =>This Inner Loop Header: Depth=1
	s_or_b32 s22, s22, exec_lo
	s_cmp_eq_u64 s[8:9], s[14:15]
	s_cbranch_scc0 .LBB317_205
; %bb.208:                              ;   in Loop: Header=BB317_207 Depth=1
	s_mov_b64 s[14:15], s[8:9]
                                        ; implicit-def: $sgpr20_sgpr21
	s_branch .LBB317_206
.LBB317_209:
	s_set_inst_prefetch_distance 0x2
	s_or_b32 exec_lo, exec_lo, s19
	v_cmp_gt_i64_e32 vcc_lo, s[8:9], v[62:63]
	s_mov_b32 s14, 0
	s_delay_alu instid0(SALU_CYCLE_1)
	v_mov_b32_e32 v142, s14
	v_cndmask_b32_e64 v141, 0, 1, vcc_lo
.LBB317_210:
	s_or_b32 exec_lo, exec_lo, s3
.LBB317_211:
	v_mul_lo_u32 v58, v32, s8
	v_mul_lo_u32 v61, v31, s9
	v_mad_u64_u32 v[59:60], null, v31, s8, 0
	v_cmp_ne_u32_e32 vcc_lo, 1, v65
	s_delay_alu instid0(VALU_DEP_2)
	v_add3_u32 v64, v60, v61, v58
	s_cbranch_vccnz .LBB317_220
; %bb.212:
	v_add_co_u32 v57, vcc_lo, s10, v57
	v_add_co_ci_u32_e32 v58, vcc_lo, s11, v66, vcc_lo
	v_add_co_u32 v60, vcc_lo, s10, v59
	v_add_co_ci_u32_e32 v61, vcc_lo, s11, v64, vcc_lo
	v_mov_b32_e32 v143, 1
	s_clause 0x1
	global_load_u8 v62, v[57:58], off
	global_load_u8 v63, v[60:61], off
	v_mov_b32_e32 v144, 0
	s_mov_b32 s3, exec_lo
	s_waitcnt vmcnt(0)
	v_cmpx_eq_u16_e64 v62, v63
	s_cbranch_execz .LBB317_219
; %bb.213:
	s_mov_b64 s[14:15], 1
	s_mov_b32 s19, 0
                                        ; implicit-def: $sgpr22
	s_set_inst_prefetch_distance 0x1
	s_branch .LBB317_216
	.p2align	6
.LBB317_214:                            ;   in Loop: Header=BB317_216 Depth=1
	v_add_co_u32 v62, vcc_lo, v57, s14
	v_add_co_ci_u32_e32 v63, vcc_lo, s15, v58, vcc_lo
	v_add_co_u32 v66, vcc_lo, v60, s14
	v_add_co_ci_u32_e32 v67, vcc_lo, s15, v61, vcc_lo
	s_add_u32 s20, s14, 1
	s_clause 0x1
	global_load_u8 v62, v[62:63], off
	global_load_u8 v63, v[66:67], off
	s_addc_u32 s21, s15, 0
	s_and_not1_b32 s22, s22, exec_lo
	s_waitcnt vmcnt(0)
	v_cmp_ne_u16_e32 vcc_lo, v62, v63
	s_and_b32 s23, vcc_lo, exec_lo
	s_delay_alu instid0(SALU_CYCLE_1)
	s_or_b32 s22, s22, s23
.LBB317_215:                            ;   in Loop: Header=BB317_216 Depth=1
	v_dual_mov_b32 v63, s15 :: v_dual_mov_b32 v62, s14
	s_and_b32 s23, exec_lo, s22
	s_mov_b64 s[14:15], s[20:21]
	s_or_b32 s19, s23, s19
	s_delay_alu instid0(SALU_CYCLE_1)
	s_and_not1_b32 exec_lo, exec_lo, s19
	s_cbranch_execz .LBB317_218
.LBB317_216:                            ; =>This Inner Loop Header: Depth=1
	s_or_b32 s22, s22, exec_lo
	s_cmp_eq_u64 s[8:9], s[14:15]
	s_cbranch_scc0 .LBB317_214
; %bb.217:                              ;   in Loop: Header=BB317_216 Depth=1
	s_mov_b64 s[14:15], s[8:9]
                                        ; implicit-def: $sgpr20_sgpr21
	s_branch .LBB317_215
.LBB317_218:
	s_set_inst_prefetch_distance 0x2
	s_or_b32 exec_lo, exec_lo, s19
	v_cmp_gt_i64_e32 vcc_lo, s[8:9], v[62:63]
	s_mov_b32 s14, 0
	s_delay_alu instid0(SALU_CYCLE_1)
	v_mov_b32_e32 v144, s14
	v_cndmask_b32_e64 v143, 0, 1, vcc_lo
.LBB317_219:
	s_or_b32 exec_lo, exec_lo, s3
.LBB317_220:
	v_mul_lo_u32 v60, v30, s8
	v_mul_lo_u32 v61, v29, s9
	v_mad_u64_u32 v[57:58], null, v29, s8, 0
	v_mov_b32_e32 v147, 0
	v_mov_b32_e32 v148, 0
	v_cmp_ne_u32_e32 vcc_lo, 1, v65
	s_delay_alu instid0(VALU_DEP_2)
	v_dual_mov_b32 v145, v147 :: v_dual_mov_b32 v146, v148
	v_add3_u32 v66, v58, v61, v60
	s_cbranch_vccnz .LBB317_229
; %bb.221:
	v_add_co_u32 v58, vcc_lo, s10, v59
	v_add_co_ci_u32_e32 v59, vcc_lo, s11, v64, vcc_lo
	v_add_co_u32 v60, vcc_lo, s10, v57
	v_add_co_ci_u32_e32 v61, vcc_lo, s11, v66, vcc_lo
	v_mov_b32_e32 v145, 1
	s_clause 0x1
	global_load_u8 v62, v[58:59], off
	global_load_u8 v63, v[60:61], off
	v_mov_b32_e32 v146, 0
	s_mov_b32 s3, exec_lo
	s_waitcnt vmcnt(0)
	v_cmpx_eq_u16_e64 v62, v63
	s_cbranch_execz .LBB317_228
; %bb.222:
	s_mov_b64 s[14:15], 1
	s_mov_b32 s19, 0
                                        ; implicit-def: $sgpr22
	s_set_inst_prefetch_distance 0x1
	s_branch .LBB317_225
	.p2align	6
.LBB317_223:                            ;   in Loop: Header=BB317_225 Depth=1
	v_add_co_u32 v62, vcc_lo, v58, s14
	v_add_co_ci_u32_e32 v63, vcc_lo, s15, v59, vcc_lo
	v_add_co_u32 v67, vcc_lo, v60, s14
	v_add_co_ci_u32_e32 v68, vcc_lo, s15, v61, vcc_lo
	s_add_u32 s20, s14, 1
	s_clause 0x1
	global_load_u8 v62, v[62:63], off
	global_load_u8 v63, v[67:68], off
	s_addc_u32 s21, s15, 0
	s_and_not1_b32 s22, s22, exec_lo
	s_waitcnt vmcnt(0)
	v_cmp_ne_u16_e32 vcc_lo, v62, v63
	s_and_b32 s23, vcc_lo, exec_lo
	s_delay_alu instid0(SALU_CYCLE_1)
	s_or_b32 s22, s22, s23
.LBB317_224:                            ;   in Loop: Header=BB317_225 Depth=1
	v_dual_mov_b32 v63, s15 :: v_dual_mov_b32 v62, s14
	s_and_b32 s23, exec_lo, s22
	s_mov_b64 s[14:15], s[20:21]
	s_or_b32 s19, s23, s19
	s_delay_alu instid0(SALU_CYCLE_1)
	s_and_not1_b32 exec_lo, exec_lo, s19
	s_cbranch_execz .LBB317_227
.LBB317_225:                            ; =>This Inner Loop Header: Depth=1
	s_or_b32 s22, s22, exec_lo
	s_cmp_eq_u64 s[8:9], s[14:15]
	s_cbranch_scc0 .LBB317_223
; %bb.226:                              ;   in Loop: Header=BB317_225 Depth=1
	s_mov_b64 s[14:15], s[8:9]
                                        ; implicit-def: $sgpr20_sgpr21
	s_branch .LBB317_224
.LBB317_227:
	s_set_inst_prefetch_distance 0x2
	s_or_b32 exec_lo, exec_lo, s19
	v_cmp_gt_i64_e32 vcc_lo, s[8:9], v[62:63]
	s_mov_b32 s14, 0
	s_delay_alu instid0(SALU_CYCLE_1)
	v_mov_b32_e32 v146, s14
	v_cndmask_b32_e64 v145, 0, 1, vcc_lo
.LBB317_228:
	s_or_b32 exec_lo, exec_lo, s3
.LBB317_229:
	v_mul_lo_u32 v58, v28, s8
	v_mul_lo_u32 v61, v27, s9
	v_mad_u64_u32 v[59:60], null, v27, s8, 0
	v_cmp_ne_u32_e32 vcc_lo, 1, v65
	s_delay_alu instid0(VALU_DEP_2)
	v_add3_u32 v64, v60, v61, v58
	s_cbranch_vccnz .LBB317_238
; %bb.230:
	v_add_co_u32 v57, vcc_lo, s10, v57
	v_add_co_ci_u32_e32 v58, vcc_lo, s11, v66, vcc_lo
	v_add_co_u32 v60, vcc_lo, s10, v59
	v_add_co_ci_u32_e32 v61, vcc_lo, s11, v64, vcc_lo
	v_mov_b32_e32 v147, 1
	s_clause 0x1
	global_load_u8 v62, v[57:58], off
	global_load_u8 v63, v[60:61], off
	v_mov_b32_e32 v148, 0
	s_mov_b32 s3, exec_lo
	s_waitcnt vmcnt(0)
	v_cmpx_eq_u16_e64 v62, v63
	s_cbranch_execz .LBB317_237
; %bb.231:
	s_mov_b64 s[14:15], 1
	s_mov_b32 s19, 0
                                        ; implicit-def: $sgpr22
	s_set_inst_prefetch_distance 0x1
	s_branch .LBB317_234
	.p2align	6
.LBB317_232:                            ;   in Loop: Header=BB317_234 Depth=1
	v_add_co_u32 v62, vcc_lo, v57, s14
	v_add_co_ci_u32_e32 v63, vcc_lo, s15, v58, vcc_lo
	v_add_co_u32 v66, vcc_lo, v60, s14
	v_add_co_ci_u32_e32 v67, vcc_lo, s15, v61, vcc_lo
	s_add_u32 s20, s14, 1
	s_clause 0x1
	global_load_u8 v62, v[62:63], off
	global_load_u8 v63, v[66:67], off
	s_addc_u32 s21, s15, 0
	s_and_not1_b32 s22, s22, exec_lo
	s_waitcnt vmcnt(0)
	v_cmp_ne_u16_e32 vcc_lo, v62, v63
	s_and_b32 s23, vcc_lo, exec_lo
	s_delay_alu instid0(SALU_CYCLE_1)
	s_or_b32 s22, s22, s23
.LBB317_233:                            ;   in Loop: Header=BB317_234 Depth=1
	v_dual_mov_b32 v63, s15 :: v_dual_mov_b32 v62, s14
	s_and_b32 s23, exec_lo, s22
	s_mov_b64 s[14:15], s[20:21]
	s_or_b32 s19, s23, s19
	s_delay_alu instid0(SALU_CYCLE_1)
	s_and_not1_b32 exec_lo, exec_lo, s19
	s_cbranch_execz .LBB317_236
.LBB317_234:                            ; =>This Inner Loop Header: Depth=1
	s_or_b32 s22, s22, exec_lo
	s_cmp_eq_u64 s[8:9], s[14:15]
	s_cbranch_scc0 .LBB317_232
; %bb.235:                              ;   in Loop: Header=BB317_234 Depth=1
	s_mov_b64 s[14:15], s[8:9]
                                        ; implicit-def: $sgpr20_sgpr21
	s_branch .LBB317_233
.LBB317_236:
	s_set_inst_prefetch_distance 0x2
	s_or_b32 exec_lo, exec_lo, s19
	v_cmp_gt_i64_e32 vcc_lo, s[8:9], v[62:63]
	s_mov_b32 s14, 0
	s_delay_alu instid0(SALU_CYCLE_1)
	v_mov_b32_e32 v148, s14
	v_cndmask_b32_e64 v147, 0, 1, vcc_lo
.LBB317_237:
	s_or_b32 exec_lo, exec_lo, s3
.LBB317_238:
	v_mul_lo_u32 v60, v26, s8
	v_mul_lo_u32 v61, v25, s9
	v_mad_u64_u32 v[57:58], null, v25, s8, 0
	v_mov_b32_e32 v151, 0
	v_mov_b32_e32 v152, 0
	v_cmp_ne_u32_e32 vcc_lo, 1, v65
	s_delay_alu instid0(VALU_DEP_2)
	v_dual_mov_b32 v149, v151 :: v_dual_mov_b32 v150, v152
	v_add3_u32 v66, v58, v61, v60
	s_cbranch_vccnz .LBB317_247
; %bb.239:
	v_add_co_u32 v58, vcc_lo, s10, v59
	v_add_co_ci_u32_e32 v59, vcc_lo, s11, v64, vcc_lo
	v_add_co_u32 v60, vcc_lo, s10, v57
	v_add_co_ci_u32_e32 v61, vcc_lo, s11, v66, vcc_lo
	v_mov_b32_e32 v149, 1
	s_clause 0x1
	global_load_u8 v62, v[58:59], off
	global_load_u8 v63, v[60:61], off
	v_mov_b32_e32 v150, 0
	s_mov_b32 s3, exec_lo
	s_waitcnt vmcnt(0)
	v_cmpx_eq_u16_e64 v62, v63
	s_cbranch_execz .LBB317_246
; %bb.240:
	s_mov_b64 s[14:15], 1
	s_mov_b32 s19, 0
                                        ; implicit-def: $sgpr22
	s_set_inst_prefetch_distance 0x1
	s_branch .LBB317_243
	.p2align	6
.LBB317_241:                            ;   in Loop: Header=BB317_243 Depth=1
	v_add_co_u32 v62, vcc_lo, v58, s14
	v_add_co_ci_u32_e32 v63, vcc_lo, s15, v59, vcc_lo
	v_add_co_u32 v67, vcc_lo, v60, s14
	v_add_co_ci_u32_e32 v68, vcc_lo, s15, v61, vcc_lo
	s_add_u32 s20, s14, 1
	s_clause 0x1
	global_load_u8 v62, v[62:63], off
	global_load_u8 v63, v[67:68], off
	s_addc_u32 s21, s15, 0
	s_and_not1_b32 s22, s22, exec_lo
	s_waitcnt vmcnt(0)
	v_cmp_ne_u16_e32 vcc_lo, v62, v63
	s_and_b32 s23, vcc_lo, exec_lo
	s_delay_alu instid0(SALU_CYCLE_1)
	s_or_b32 s22, s22, s23
.LBB317_242:                            ;   in Loop: Header=BB317_243 Depth=1
	v_dual_mov_b32 v63, s15 :: v_dual_mov_b32 v62, s14
	s_and_b32 s23, exec_lo, s22
	s_mov_b64 s[14:15], s[20:21]
	s_or_b32 s19, s23, s19
	s_delay_alu instid0(SALU_CYCLE_1)
	s_and_not1_b32 exec_lo, exec_lo, s19
	s_cbranch_execz .LBB317_245
.LBB317_243:                            ; =>This Inner Loop Header: Depth=1
	s_or_b32 s22, s22, exec_lo
	s_cmp_eq_u64 s[8:9], s[14:15]
	s_cbranch_scc0 .LBB317_241
; %bb.244:                              ;   in Loop: Header=BB317_243 Depth=1
	s_mov_b64 s[14:15], s[8:9]
                                        ; implicit-def: $sgpr20_sgpr21
	s_branch .LBB317_242
.LBB317_245:
	s_set_inst_prefetch_distance 0x2
	s_or_b32 exec_lo, exec_lo, s19
	v_cmp_gt_i64_e32 vcc_lo, s[8:9], v[62:63]
	s_mov_b32 s14, 0
	s_delay_alu instid0(SALU_CYCLE_1)
	v_mov_b32_e32 v150, s14
	v_cndmask_b32_e64 v149, 0, 1, vcc_lo
.LBB317_246:
	s_or_b32 exec_lo, exec_lo, s3
.LBB317_247:
	v_mul_lo_u32 v58, v24, s8
	v_mul_lo_u32 v61, v23, s9
	v_mad_u64_u32 v[59:60], null, v23, s8, 0
	v_cmp_ne_u32_e32 vcc_lo, 1, v65
	s_delay_alu instid0(VALU_DEP_2)
	v_add3_u32 v64, v60, v61, v58
	s_cbranch_vccnz .LBB317_256
; %bb.248:
	v_add_co_u32 v57, vcc_lo, s10, v57
	v_add_co_ci_u32_e32 v58, vcc_lo, s11, v66, vcc_lo
	v_add_co_u32 v60, vcc_lo, s10, v59
	v_add_co_ci_u32_e32 v61, vcc_lo, s11, v64, vcc_lo
	v_mov_b32_e32 v151, 1
	s_clause 0x1
	global_load_u8 v62, v[57:58], off
	global_load_u8 v63, v[60:61], off
	v_mov_b32_e32 v152, 0
	s_mov_b32 s3, exec_lo
	s_waitcnt vmcnt(0)
	v_cmpx_eq_u16_e64 v62, v63
	s_cbranch_execz .LBB317_255
; %bb.249:
	s_mov_b64 s[14:15], 1
	s_mov_b32 s19, 0
                                        ; implicit-def: $sgpr22
	s_set_inst_prefetch_distance 0x1
	s_branch .LBB317_252
	.p2align	6
.LBB317_250:                            ;   in Loop: Header=BB317_252 Depth=1
	v_add_co_u32 v62, vcc_lo, v57, s14
	v_add_co_ci_u32_e32 v63, vcc_lo, s15, v58, vcc_lo
	v_add_co_u32 v66, vcc_lo, v60, s14
	v_add_co_ci_u32_e32 v67, vcc_lo, s15, v61, vcc_lo
	s_add_u32 s20, s14, 1
	s_clause 0x1
	global_load_u8 v62, v[62:63], off
	global_load_u8 v63, v[66:67], off
	s_addc_u32 s21, s15, 0
	s_and_not1_b32 s22, s22, exec_lo
	s_waitcnt vmcnt(0)
	v_cmp_ne_u16_e32 vcc_lo, v62, v63
	s_and_b32 s23, vcc_lo, exec_lo
	s_delay_alu instid0(SALU_CYCLE_1)
	s_or_b32 s22, s22, s23
.LBB317_251:                            ;   in Loop: Header=BB317_252 Depth=1
	v_dual_mov_b32 v63, s15 :: v_dual_mov_b32 v62, s14
	s_and_b32 s23, exec_lo, s22
	s_mov_b64 s[14:15], s[20:21]
	s_or_b32 s19, s23, s19
	s_delay_alu instid0(SALU_CYCLE_1)
	s_and_not1_b32 exec_lo, exec_lo, s19
	s_cbranch_execz .LBB317_254
.LBB317_252:                            ; =>This Inner Loop Header: Depth=1
	s_or_b32 s22, s22, exec_lo
	s_cmp_eq_u64 s[8:9], s[14:15]
	s_cbranch_scc0 .LBB317_250
; %bb.253:                              ;   in Loop: Header=BB317_252 Depth=1
	s_mov_b64 s[14:15], s[8:9]
                                        ; implicit-def: $sgpr20_sgpr21
	s_branch .LBB317_251
.LBB317_254:
	s_set_inst_prefetch_distance 0x2
	s_or_b32 exec_lo, exec_lo, s19
	v_cmp_gt_i64_e32 vcc_lo, s[8:9], v[62:63]
	s_mov_b32 s14, 0
	s_delay_alu instid0(SALU_CYCLE_1)
	v_mov_b32_e32 v152, s14
	v_cndmask_b32_e64 v151, 0, 1, vcc_lo
.LBB317_255:
	s_or_b32 exec_lo, exec_lo, s3
.LBB317_256:
	v_mul_lo_u32 v60, v22, s8
	v_mul_lo_u32 v61, v21, s9
	v_mad_u64_u32 v[57:58], null, v21, s8, 0
	v_mov_b32_e32 v155, 0
	v_mov_b32_e32 v156, 0
	v_cmp_ne_u32_e32 vcc_lo, 1, v65
	s_delay_alu instid0(VALU_DEP_2)
	v_dual_mov_b32 v153, v155 :: v_dual_mov_b32 v154, v156
	v_add3_u32 v66, v58, v61, v60
	s_cbranch_vccnz .LBB317_265
; %bb.257:
	v_add_co_u32 v58, vcc_lo, s10, v59
	v_add_co_ci_u32_e32 v59, vcc_lo, s11, v64, vcc_lo
	v_add_co_u32 v60, vcc_lo, s10, v57
	v_add_co_ci_u32_e32 v61, vcc_lo, s11, v66, vcc_lo
	v_mov_b32_e32 v153, 1
	s_clause 0x1
	global_load_u8 v62, v[58:59], off
	global_load_u8 v63, v[60:61], off
	v_mov_b32_e32 v154, 0
	s_mov_b32 s3, exec_lo
	s_waitcnt vmcnt(0)
	v_cmpx_eq_u16_e64 v62, v63
	s_cbranch_execz .LBB317_264
; %bb.258:
	s_mov_b64 s[14:15], 1
	s_mov_b32 s19, 0
                                        ; implicit-def: $sgpr22
	s_set_inst_prefetch_distance 0x1
	s_branch .LBB317_261
	.p2align	6
.LBB317_259:                            ;   in Loop: Header=BB317_261 Depth=1
	v_add_co_u32 v62, vcc_lo, v58, s14
	v_add_co_ci_u32_e32 v63, vcc_lo, s15, v59, vcc_lo
	v_add_co_u32 v67, vcc_lo, v60, s14
	v_add_co_ci_u32_e32 v68, vcc_lo, s15, v61, vcc_lo
	s_add_u32 s20, s14, 1
	s_clause 0x1
	global_load_u8 v62, v[62:63], off
	global_load_u8 v63, v[67:68], off
	s_addc_u32 s21, s15, 0
	s_and_not1_b32 s22, s22, exec_lo
	s_waitcnt vmcnt(0)
	v_cmp_ne_u16_e32 vcc_lo, v62, v63
	s_and_b32 s23, vcc_lo, exec_lo
	s_delay_alu instid0(SALU_CYCLE_1)
	s_or_b32 s22, s22, s23
.LBB317_260:                            ;   in Loop: Header=BB317_261 Depth=1
	v_dual_mov_b32 v63, s15 :: v_dual_mov_b32 v62, s14
	s_and_b32 s23, exec_lo, s22
	s_mov_b64 s[14:15], s[20:21]
	s_or_b32 s19, s23, s19
	s_delay_alu instid0(SALU_CYCLE_1)
	s_and_not1_b32 exec_lo, exec_lo, s19
	s_cbranch_execz .LBB317_263
.LBB317_261:                            ; =>This Inner Loop Header: Depth=1
	s_or_b32 s22, s22, exec_lo
	s_cmp_eq_u64 s[8:9], s[14:15]
	s_cbranch_scc0 .LBB317_259
; %bb.262:                              ;   in Loop: Header=BB317_261 Depth=1
	s_mov_b64 s[14:15], s[8:9]
                                        ; implicit-def: $sgpr20_sgpr21
	s_branch .LBB317_260
.LBB317_263:
	s_set_inst_prefetch_distance 0x2
	s_or_b32 exec_lo, exec_lo, s19
	v_cmp_gt_i64_e32 vcc_lo, s[8:9], v[62:63]
	s_mov_b32 s14, 0
	s_delay_alu instid0(SALU_CYCLE_1)
	v_mov_b32_e32 v154, s14
	v_cndmask_b32_e64 v153, 0, 1, vcc_lo
.LBB317_264:
	s_or_b32 exec_lo, exec_lo, s3
.LBB317_265:
	v_mul_lo_u32 v58, v20, s8
	v_mul_lo_u32 v61, v19, s9
	v_mad_u64_u32 v[59:60], null, v19, s8, 0
	v_cmp_ne_u32_e32 vcc_lo, 1, v65
	s_delay_alu instid0(VALU_DEP_2)
	v_add3_u32 v64, v60, v61, v58
	s_cbranch_vccnz .LBB317_274
; %bb.266:
	v_add_co_u32 v57, vcc_lo, s10, v57
	v_add_co_ci_u32_e32 v58, vcc_lo, s11, v66, vcc_lo
	v_add_co_u32 v60, vcc_lo, s10, v59
	v_add_co_ci_u32_e32 v61, vcc_lo, s11, v64, vcc_lo
	v_mov_b32_e32 v155, 1
	s_clause 0x1
	global_load_u8 v62, v[57:58], off
	global_load_u8 v63, v[60:61], off
	v_mov_b32_e32 v156, 0
	s_mov_b32 s3, exec_lo
	s_waitcnt vmcnt(0)
	v_cmpx_eq_u16_e64 v62, v63
	s_cbranch_execz .LBB317_273
; %bb.267:
	s_mov_b64 s[14:15], 1
	s_mov_b32 s19, 0
                                        ; implicit-def: $sgpr22
	s_set_inst_prefetch_distance 0x1
	s_branch .LBB317_270
	.p2align	6
.LBB317_268:                            ;   in Loop: Header=BB317_270 Depth=1
	v_add_co_u32 v62, vcc_lo, v57, s14
	v_add_co_ci_u32_e32 v63, vcc_lo, s15, v58, vcc_lo
	v_add_co_u32 v66, vcc_lo, v60, s14
	v_add_co_ci_u32_e32 v67, vcc_lo, s15, v61, vcc_lo
	s_add_u32 s20, s14, 1
	s_clause 0x1
	global_load_u8 v62, v[62:63], off
	global_load_u8 v63, v[66:67], off
	s_addc_u32 s21, s15, 0
	s_and_not1_b32 s22, s22, exec_lo
	s_waitcnt vmcnt(0)
	v_cmp_ne_u16_e32 vcc_lo, v62, v63
	s_and_b32 s23, vcc_lo, exec_lo
	s_delay_alu instid0(SALU_CYCLE_1)
	s_or_b32 s22, s22, s23
.LBB317_269:                            ;   in Loop: Header=BB317_270 Depth=1
	v_dual_mov_b32 v63, s15 :: v_dual_mov_b32 v62, s14
	s_and_b32 s23, exec_lo, s22
	s_mov_b64 s[14:15], s[20:21]
	s_or_b32 s19, s23, s19
	s_delay_alu instid0(SALU_CYCLE_1)
	s_and_not1_b32 exec_lo, exec_lo, s19
	s_cbranch_execz .LBB317_272
.LBB317_270:                            ; =>This Inner Loop Header: Depth=1
	s_or_b32 s22, s22, exec_lo
	s_cmp_eq_u64 s[8:9], s[14:15]
	s_cbranch_scc0 .LBB317_268
; %bb.271:                              ;   in Loop: Header=BB317_270 Depth=1
	s_mov_b64 s[14:15], s[8:9]
                                        ; implicit-def: $sgpr20_sgpr21
	s_branch .LBB317_269
.LBB317_272:
	s_set_inst_prefetch_distance 0x2
	s_or_b32 exec_lo, exec_lo, s19
	v_cmp_gt_i64_e32 vcc_lo, s[8:9], v[62:63]
	s_mov_b32 s14, 0
	s_delay_alu instid0(SALU_CYCLE_1)
	v_mov_b32_e32 v156, s14
	v_cndmask_b32_e64 v155, 0, 1, vcc_lo
.LBB317_273:
	s_or_b32 exec_lo, exec_lo, s3
.LBB317_274:
	v_mul_lo_u32 v60, v18, s8
	v_mul_lo_u32 v61, v17, s9
	v_mad_u64_u32 v[57:58], null, v17, s8, 0
	v_mov_b32_e32 v159, 0
	v_mov_b32_e32 v160, 0
	v_cmp_ne_u32_e32 vcc_lo, 1, v65
	s_delay_alu instid0(VALU_DEP_2)
	v_dual_mov_b32 v157, v159 :: v_dual_mov_b32 v158, v160
	v_add3_u32 v66, v58, v61, v60
	s_cbranch_vccnz .LBB317_283
; %bb.275:
	v_add_co_u32 v58, vcc_lo, s10, v59
	v_add_co_ci_u32_e32 v59, vcc_lo, s11, v64, vcc_lo
	v_add_co_u32 v60, vcc_lo, s10, v57
	v_add_co_ci_u32_e32 v61, vcc_lo, s11, v66, vcc_lo
	v_mov_b32_e32 v157, 1
	s_clause 0x1
	global_load_u8 v62, v[58:59], off
	global_load_u8 v63, v[60:61], off
	v_mov_b32_e32 v158, 0
	s_mov_b32 s3, exec_lo
	s_waitcnt vmcnt(0)
	v_cmpx_eq_u16_e64 v62, v63
	s_cbranch_execz .LBB317_282
; %bb.276:
	s_mov_b64 s[14:15], 1
	s_mov_b32 s19, 0
                                        ; implicit-def: $sgpr22
	s_set_inst_prefetch_distance 0x1
	s_branch .LBB317_279
	.p2align	6
.LBB317_277:                            ;   in Loop: Header=BB317_279 Depth=1
	v_add_co_u32 v62, vcc_lo, v58, s14
	v_add_co_ci_u32_e32 v63, vcc_lo, s15, v59, vcc_lo
	v_add_co_u32 v67, vcc_lo, v60, s14
	v_add_co_ci_u32_e32 v68, vcc_lo, s15, v61, vcc_lo
	s_add_u32 s20, s14, 1
	s_clause 0x1
	global_load_u8 v62, v[62:63], off
	global_load_u8 v63, v[67:68], off
	s_addc_u32 s21, s15, 0
	s_and_not1_b32 s22, s22, exec_lo
	s_waitcnt vmcnt(0)
	v_cmp_ne_u16_e32 vcc_lo, v62, v63
	s_and_b32 s23, vcc_lo, exec_lo
	s_delay_alu instid0(SALU_CYCLE_1)
	s_or_b32 s22, s22, s23
.LBB317_278:                            ;   in Loop: Header=BB317_279 Depth=1
	v_dual_mov_b32 v63, s15 :: v_dual_mov_b32 v62, s14
	s_and_b32 s23, exec_lo, s22
	s_mov_b64 s[14:15], s[20:21]
	s_or_b32 s19, s23, s19
	s_delay_alu instid0(SALU_CYCLE_1)
	s_and_not1_b32 exec_lo, exec_lo, s19
	s_cbranch_execz .LBB317_281
.LBB317_279:                            ; =>This Inner Loop Header: Depth=1
	s_or_b32 s22, s22, exec_lo
	s_cmp_eq_u64 s[8:9], s[14:15]
	s_cbranch_scc0 .LBB317_277
; %bb.280:                              ;   in Loop: Header=BB317_279 Depth=1
	s_mov_b64 s[14:15], s[8:9]
                                        ; implicit-def: $sgpr20_sgpr21
	s_branch .LBB317_278
.LBB317_281:
	s_set_inst_prefetch_distance 0x2
	s_or_b32 exec_lo, exec_lo, s19
	v_cmp_gt_i64_e32 vcc_lo, s[8:9], v[62:63]
	s_mov_b32 s14, 0
	s_delay_alu instid0(SALU_CYCLE_1)
	v_mov_b32_e32 v158, s14
	v_cndmask_b32_e64 v157, 0, 1, vcc_lo
.LBB317_282:
	s_or_b32 exec_lo, exec_lo, s3
.LBB317_283:
	v_mul_lo_u32 v58, v16, s8
	v_mul_lo_u32 v61, v15, s9
	v_mad_u64_u32 v[59:60], null, v15, s8, 0
	v_cmp_ne_u32_e32 vcc_lo, 1, v65
	s_delay_alu instid0(VALU_DEP_2)
	v_add3_u32 v64, v60, v61, v58
	s_cbranch_vccnz .LBB317_292
; %bb.284:
	v_add_co_u32 v57, vcc_lo, s10, v57
	v_add_co_ci_u32_e32 v58, vcc_lo, s11, v66, vcc_lo
	v_add_co_u32 v60, vcc_lo, s10, v59
	v_add_co_ci_u32_e32 v61, vcc_lo, s11, v64, vcc_lo
	v_mov_b32_e32 v159, 1
	s_clause 0x1
	global_load_u8 v62, v[57:58], off
	global_load_u8 v63, v[60:61], off
	v_mov_b32_e32 v160, 0
	s_mov_b32 s3, exec_lo
	s_waitcnt vmcnt(0)
	v_cmpx_eq_u16_e64 v62, v63
	s_cbranch_execz .LBB317_291
; %bb.285:
	s_mov_b64 s[14:15], 1
	s_mov_b32 s19, 0
                                        ; implicit-def: $sgpr22
	s_set_inst_prefetch_distance 0x1
	s_branch .LBB317_288
	.p2align	6
.LBB317_286:                            ;   in Loop: Header=BB317_288 Depth=1
	v_add_co_u32 v62, vcc_lo, v57, s14
	v_add_co_ci_u32_e32 v63, vcc_lo, s15, v58, vcc_lo
	v_add_co_u32 v66, vcc_lo, v60, s14
	v_add_co_ci_u32_e32 v67, vcc_lo, s15, v61, vcc_lo
	s_add_u32 s20, s14, 1
	s_clause 0x1
	global_load_u8 v62, v[62:63], off
	global_load_u8 v63, v[66:67], off
	s_addc_u32 s21, s15, 0
	s_and_not1_b32 s22, s22, exec_lo
	s_waitcnt vmcnt(0)
	v_cmp_ne_u16_e32 vcc_lo, v62, v63
	s_and_b32 s23, vcc_lo, exec_lo
	s_delay_alu instid0(SALU_CYCLE_1)
	s_or_b32 s22, s22, s23
.LBB317_287:                            ;   in Loop: Header=BB317_288 Depth=1
	v_dual_mov_b32 v63, s15 :: v_dual_mov_b32 v62, s14
	s_and_b32 s23, exec_lo, s22
	s_mov_b64 s[14:15], s[20:21]
	s_or_b32 s19, s23, s19
	s_delay_alu instid0(SALU_CYCLE_1)
	s_and_not1_b32 exec_lo, exec_lo, s19
	s_cbranch_execz .LBB317_290
.LBB317_288:                            ; =>This Inner Loop Header: Depth=1
	s_or_b32 s22, s22, exec_lo
	s_cmp_eq_u64 s[8:9], s[14:15]
	s_cbranch_scc0 .LBB317_286
; %bb.289:                              ;   in Loop: Header=BB317_288 Depth=1
	s_mov_b64 s[14:15], s[8:9]
                                        ; implicit-def: $sgpr20_sgpr21
	s_branch .LBB317_287
.LBB317_290:
	s_set_inst_prefetch_distance 0x2
	s_or_b32 exec_lo, exec_lo, s19
	v_cmp_gt_i64_e32 vcc_lo, s[8:9], v[62:63]
	s_mov_b32 s14, 0
	s_delay_alu instid0(SALU_CYCLE_1)
	v_mov_b32_e32 v160, s14
	v_cndmask_b32_e64 v159, 0, 1, vcc_lo
.LBB317_291:
	s_or_b32 exec_lo, exec_lo, s3
.LBB317_292:
	v_mul_lo_u32 v60, v14, s8
	v_mul_lo_u32 v61, v13, s9
	v_mad_u64_u32 v[57:58], null, v13, s8, 0
	v_mov_b32_e32 v163, 0
	v_mov_b32_e32 v164, 0
	v_cmp_ne_u32_e32 vcc_lo, 1, v65
	s_delay_alu instid0(VALU_DEP_2)
	v_dual_mov_b32 v161, v163 :: v_dual_mov_b32 v162, v164
	v_add3_u32 v66, v58, v61, v60
	s_cbranch_vccnz .LBB317_301
; %bb.293:
	v_add_co_u32 v58, vcc_lo, s10, v59
	v_add_co_ci_u32_e32 v59, vcc_lo, s11, v64, vcc_lo
	v_add_co_u32 v60, vcc_lo, s10, v57
	v_add_co_ci_u32_e32 v61, vcc_lo, s11, v66, vcc_lo
	v_mov_b32_e32 v161, 1
	s_clause 0x1
	global_load_u8 v62, v[58:59], off
	global_load_u8 v63, v[60:61], off
	v_mov_b32_e32 v162, 0
	s_mov_b32 s3, exec_lo
	s_waitcnt vmcnt(0)
	v_cmpx_eq_u16_e64 v62, v63
	s_cbranch_execz .LBB317_300
; %bb.294:
	s_mov_b64 s[14:15], 1
	s_mov_b32 s19, 0
                                        ; implicit-def: $sgpr22
	s_set_inst_prefetch_distance 0x1
	s_branch .LBB317_297
	.p2align	6
.LBB317_295:                            ;   in Loop: Header=BB317_297 Depth=1
	v_add_co_u32 v62, vcc_lo, v58, s14
	v_add_co_ci_u32_e32 v63, vcc_lo, s15, v59, vcc_lo
	v_add_co_u32 v67, vcc_lo, v60, s14
	v_add_co_ci_u32_e32 v68, vcc_lo, s15, v61, vcc_lo
	s_add_u32 s20, s14, 1
	s_clause 0x1
	global_load_u8 v62, v[62:63], off
	global_load_u8 v63, v[67:68], off
	s_addc_u32 s21, s15, 0
	s_and_not1_b32 s22, s22, exec_lo
	s_waitcnt vmcnt(0)
	v_cmp_ne_u16_e32 vcc_lo, v62, v63
	s_and_b32 s23, vcc_lo, exec_lo
	s_delay_alu instid0(SALU_CYCLE_1)
	s_or_b32 s22, s22, s23
.LBB317_296:                            ;   in Loop: Header=BB317_297 Depth=1
	v_dual_mov_b32 v63, s15 :: v_dual_mov_b32 v62, s14
	s_and_b32 s23, exec_lo, s22
	s_mov_b64 s[14:15], s[20:21]
	s_or_b32 s19, s23, s19
	s_delay_alu instid0(SALU_CYCLE_1)
	s_and_not1_b32 exec_lo, exec_lo, s19
	s_cbranch_execz .LBB317_299
.LBB317_297:                            ; =>This Inner Loop Header: Depth=1
	s_or_b32 s22, s22, exec_lo
	s_cmp_eq_u64 s[8:9], s[14:15]
	s_cbranch_scc0 .LBB317_295
; %bb.298:                              ;   in Loop: Header=BB317_297 Depth=1
	s_mov_b64 s[14:15], s[8:9]
                                        ; implicit-def: $sgpr20_sgpr21
	s_branch .LBB317_296
.LBB317_299:
	s_set_inst_prefetch_distance 0x2
	s_or_b32 exec_lo, exec_lo, s19
	v_cmp_gt_i64_e32 vcc_lo, s[8:9], v[62:63]
	s_mov_b32 s14, 0
	s_delay_alu instid0(SALU_CYCLE_1)
	v_mov_b32_e32 v162, s14
	v_cndmask_b32_e64 v161, 0, 1, vcc_lo
.LBB317_300:
	s_or_b32 exec_lo, exec_lo, s3
.LBB317_301:
	v_mul_lo_u32 v60, v4, s8
	v_mul_lo_u32 v61, v3, s9
	v_mad_u64_u32 v[58:59], null, v3, s8, 0
	v_cmp_ne_u32_e32 vcc_lo, 1, v65
	s_delay_alu instid0(VALU_DEP_2)
	v_add3_u32 v67, v59, v61, v60
	s_cbranch_vccnz .LBB317_310
; %bb.302:
	v_add_co_u32 v59, vcc_lo, s10, v57
	v_add_co_ci_u32_e32 v60, vcc_lo, s11, v66, vcc_lo
	v_add_co_u32 v61, vcc_lo, s10, v58
	v_add_co_ci_u32_e32 v62, vcc_lo, s11, v67, vcc_lo
	v_mov_b32_e32 v163, 1
	s_clause 0x1
	global_load_u8 v57, v[59:60], off
	global_load_u8 v63, v[61:62], off
	v_mov_b32_e32 v164, 0
	s_mov_b32 s3, exec_lo
	s_waitcnt vmcnt(0)
	v_cmpx_eq_u16_e64 v57, v63
	s_cbranch_execz .LBB317_309
; %bb.303:
	s_mov_b64 s[14:15], 1
	s_mov_b32 s19, 0
                                        ; implicit-def: $sgpr22
	s_set_inst_prefetch_distance 0x1
	s_branch .LBB317_306
	.p2align	6
.LBB317_304:                            ;   in Loop: Header=BB317_306 Depth=1
	v_add_co_u32 v63, vcc_lo, v59, s14
	v_add_co_ci_u32_e32 v64, vcc_lo, s15, v60, vcc_lo
	v_add_co_u32 v68, vcc_lo, v61, s14
	v_add_co_ci_u32_e32 v69, vcc_lo, s15, v62, vcc_lo
	s_add_u32 s20, s14, 1
	s_clause 0x1
	global_load_u8 v57, v[63:64], off
	global_load_u8 v63, v[68:69], off
	s_addc_u32 s21, s15, 0
	s_and_not1_b32 s22, s22, exec_lo
	s_waitcnt vmcnt(0)
	v_cmp_ne_u16_e32 vcc_lo, v57, v63
	s_and_b32 s23, vcc_lo, exec_lo
	s_delay_alu instid0(SALU_CYCLE_1)
	s_or_b32 s22, s22, s23
.LBB317_305:                            ;   in Loop: Header=BB317_306 Depth=1
	v_dual_mov_b32 v64, s15 :: v_dual_mov_b32 v63, s14
	s_and_b32 s23, exec_lo, s22
	s_mov_b64 s[14:15], s[20:21]
	s_or_b32 s19, s23, s19
	s_delay_alu instid0(SALU_CYCLE_1)
	s_and_not1_b32 exec_lo, exec_lo, s19
	s_cbranch_execz .LBB317_308
.LBB317_306:                            ; =>This Inner Loop Header: Depth=1
	s_or_b32 s22, s22, exec_lo
	s_cmp_eq_u64 s[8:9], s[14:15]
	s_cbranch_scc0 .LBB317_304
; %bb.307:                              ;   in Loop: Header=BB317_306 Depth=1
	s_mov_b64 s[14:15], s[8:9]
                                        ; implicit-def: $sgpr20_sgpr21
	s_branch .LBB317_305
.LBB317_308:
	s_set_inst_prefetch_distance 0x2
	s_or_b32 exec_lo, exec_lo, s19
	v_cmp_gt_i64_e32 vcc_lo, s[8:9], v[63:64]
	s_mov_b32 s14, 0
	s_delay_alu instid0(SALU_CYCLE_1)
	v_mov_b32_e32 v164, s14
	v_cndmask_b32_e64 v163, 0, 1, vcc_lo
.LBB317_309:
	s_or_b32 exec_lo, exec_lo, s3
.LBB317_310:
	v_cmp_ne_u32_e32 vcc_lo, 1, v65
	s_cbranch_vccnz .LBB317_317
; %bb.311:
	v_mad_u64_u32 v[59:60], null, v1, s8, s[10:11]
	v_mul_lo_u32 v61, v1, s9
	v_mul_lo_u32 v62, v2, s8
	v_add_co_u32 v57, vcc_lo, s10, v58
	v_add_co_ci_u32_e32 v58, vcc_lo, s11, v67, vcc_lo
	v_mov_b32_e32 v165, 1
	v_mov_b32_e32 v166, 0
	s_mov_b32 s3, exec_lo
	v_add3_u32 v60, v62, v60, v61
	s_clause 0x1
	global_load_u8 v61, v[57:58], off
	global_load_u8 v62, v[59:60], off
	s_waitcnt vmcnt(0)
	v_cmpx_eq_u16_e64 v61, v62
	s_cbranch_execz .LBB317_319
; %bb.312:
	s_mov_b64 s[14:15], 1
	s_mov_b32 s19, 0
                                        ; implicit-def: $sgpr22
	s_set_inst_prefetch_distance 0x1
	s_branch .LBB317_315
	.p2align	6
.LBB317_313:                            ;   in Loop: Header=BB317_315 Depth=1
	v_add_co_u32 v61, vcc_lo, v57, s14
	v_add_co_ci_u32_e32 v62, vcc_lo, s15, v58, vcc_lo
	v_add_co_u32 v63, vcc_lo, v59, s14
	v_add_co_ci_u32_e32 v64, vcc_lo, s15, v60, vcc_lo
	s_add_u32 s20, s14, 1
	s_clause 0x1
	global_load_u8 v61, v[61:62], off
	global_load_u8 v62, v[63:64], off
	s_addc_u32 s21, s15, 0
	s_and_not1_b32 s22, s22, exec_lo
	s_waitcnt vmcnt(0)
	v_cmp_ne_u16_e32 vcc_lo, v61, v62
	s_and_b32 s23, vcc_lo, exec_lo
	s_delay_alu instid0(SALU_CYCLE_1)
	s_or_b32 s22, s22, s23
.LBB317_314:                            ;   in Loop: Header=BB317_315 Depth=1
	v_dual_mov_b32 v62, s15 :: v_dual_mov_b32 v61, s14
	s_and_b32 s23, exec_lo, s22
	s_mov_b64 s[14:15], s[20:21]
	s_or_b32 s19, s23, s19
	s_delay_alu instid0(SALU_CYCLE_1)
	s_and_not1_b32 exec_lo, exec_lo, s19
	s_cbranch_execz .LBB317_318
.LBB317_315:                            ; =>This Inner Loop Header: Depth=1
	s_or_b32 s22, s22, exec_lo
	s_cmp_eq_u64 s[8:9], s[14:15]
	s_cbranch_scc0 .LBB317_313
; %bb.316:                              ;   in Loop: Header=BB317_315 Depth=1
	s_mov_b64 s[14:15], s[8:9]
                                        ; implicit-def: $sgpr20_sgpr21
	s_branch .LBB317_314
.LBB317_317:
	v_mov_b32_e32 v165, 0
	v_mov_b32_e32 v166, 0
	s_branch .LBB317_320
.LBB317_318:
	s_set_inst_prefetch_distance 0x2
	s_or_b32 exec_lo, exec_lo, s19
	v_cmp_gt_i64_e32 vcc_lo, s[8:9], v[61:62]
	s_mov_b32 s14, 0
	s_delay_alu instid0(SALU_CYCLE_1)
	v_mov_b32_e32 v166, s14
	v_cndmask_b32_e64 v165, 0, 1, vcc_lo
.LBB317_319:
	s_or_b32 exec_lo, exec_lo, s3
.LBB317_320:
	s_waitcnt lgkmcnt(0)
	v_dual_mov_b32 v62, s13 :: v_dual_mov_b32 v61, s12
	s_mov_b32 s14, 0
	s_mov_b32 s3, exec_lo
	s_barrier
	buffer_gl0_inv
	v_cmpx_ne_u32_e32 0, v0
	s_cbranch_execz .LBB317_322
; %bb.321:
	v_add_nc_u32_e32 v57, -8, v195
	ds_load_b64 v[61:62], v57
.LBB317_322:
	s_or_b32 exec_lo, exec_lo, s3
	v_cmp_ne_u32_e32 vcc_lo, 1, v65
	s_cbranch_vccnz .LBB317_331
; %bb.323:
	v_mad_u64_u32 v[57:58], null, v1, s8, s[10:11]
	v_mul_lo_u32 v63, v1, s9
	v_mul_lo_u32 v64, v2, s8
	s_waitcnt lgkmcnt(0)
	v_mad_u64_u32 v[59:60], null, v61, s8, s[10:11]
	v_mul_lo_u32 v61, v61, s9
	v_mul_lo_u32 v62, v62, s8
	s_mov_b32 s14, -1
	s_mov_b32 s3, exec_lo
	s_delay_alu instid0(VALU_DEP_4) | instskip(NEXT) | instid1(VALU_DEP_2)
	v_add3_u32 v58, v64, v58, v63
	v_add3_u32 v60, v62, v60, v61
	s_clause 0x1
	global_load_u8 v61, v[57:58], off
	global_load_u8 v62, v[59:60], off
	s_waitcnt vmcnt(0)
	v_cmpx_eq_u16_e64 v61, v62
	s_cbranch_execz .LBB317_330
; %bb.324:
	s_mov_b64 s[14:15], 1
	s_mov_b32 s19, 0
                                        ; implicit-def: $sgpr22
	s_set_inst_prefetch_distance 0x1
	s_branch .LBB317_327
	.p2align	6
.LBB317_325:                            ;   in Loop: Header=BB317_327 Depth=1
	v_add_co_u32 v61, vcc_lo, v57, s14
	v_add_co_ci_u32_e32 v62, vcc_lo, s15, v58, vcc_lo
	v_add_co_u32 v63, vcc_lo, v59, s14
	v_add_co_ci_u32_e32 v64, vcc_lo, s15, v60, vcc_lo
	s_add_u32 s20, s14, 1
	s_clause 0x1
	global_load_u8 v61, v[61:62], off
	global_load_u8 v62, v[63:64], off
	s_addc_u32 s21, s15, 0
	s_and_not1_b32 s22, s22, exec_lo
	s_waitcnt vmcnt(0)
	v_cmp_ne_u16_e32 vcc_lo, v61, v62
	s_and_b32 s23, vcc_lo, exec_lo
	s_delay_alu instid0(SALU_CYCLE_1)
	s_or_b32 s22, s22, s23
.LBB317_326:                            ;   in Loop: Header=BB317_327 Depth=1
	v_dual_mov_b32 v62, s15 :: v_dual_mov_b32 v61, s14
	s_and_b32 s23, exec_lo, s22
	s_mov_b64 s[14:15], s[20:21]
	s_or_b32 s19, s23, s19
	s_delay_alu instid0(SALU_CYCLE_1)
	s_and_not1_b32 exec_lo, exec_lo, s19
	s_cbranch_execz .LBB317_329
.LBB317_327:                            ; =>This Inner Loop Header: Depth=1
	s_or_b32 s22, s22, exec_lo
	s_cmp_eq_u64 s[8:9], s[14:15]
	s_cbranch_scc0 .LBB317_325
; %bb.328:                              ;   in Loop: Header=BB317_327 Depth=1
	s_mov_b64 s[14:15], s[8:9]
                                        ; implicit-def: $sgpr20_sgpr21
	s_branch .LBB317_326
.LBB317_329:
	s_set_inst_prefetch_distance 0x2
	s_or_b32 exec_lo, exec_lo, s19
	v_cmp_gt_i64_e32 vcc_lo, s[8:9], v[61:62]
	s_or_not1_b32 s14, vcc_lo, exec_lo
.LBB317_330:
	s_or_b32 exec_lo, exec_lo, s3
.LBB317_331:
	s_mov_b32 s3, -1
	s_branch .LBB317_73
.LBB317_332:
	v_cmp_gt_i64_e64 s14, s[8:9], 0
	v_mad_u32_u24 v57, v0, 29, 28
	v_mul_u32_u24_e32 v64, 29, v0
	v_dual_mov_b32 v112, v110 :: v_dual_mov_b32 v111, v109
	s_mul_i32 s20, s18, 0xfffff180
	s_delay_alu instid0(VALU_DEP_4)
	v_cndmask_b32_e64 v63, 0, 1, s14
	s_add_i32 s20, s20, s6
	s_mov_b32 s21, exec_lo
	ds_store_b64 v195, v[109:110]
	v_cmpx_gt_u32_e64 s20, v57
	s_cbranch_execz .LBB317_343
; %bb.333:
	s_and_not1_b32 vcc_lo, exec_lo, s14
	s_cbranch_vccnz .LBB317_340
; %bb.334:
	v_mad_u64_u32 v[57:58], null, v109, s8, s[10:11]
	s_waitcnt lgkmcnt(0)
	v_mul_lo_u32 v61, v109, s9
	v_mul_lo_u32 v62, v110, s8
	v_mad_u64_u32 v[59:60], null, v7, s8, s[10:11]
	v_mul_lo_u32 v65, v7, s9
	v_mul_lo_u32 v66, v8, s8
	v_mov_b32_e32 v111, 1
	v_mov_b32_e32 v112, 0
	s_mov_b32 s22, exec_lo
	v_add3_u32 v58, v62, v58, v61
	s_delay_alu instid0(VALU_DEP_4)
	v_add3_u32 v60, v66, v60, v65
	s_clause 0x1
	global_load_u8 v61, v[57:58], off
	global_load_u8 v62, v[59:60], off
	s_waitcnt vmcnt(0)
	v_cmpx_eq_u16_e64 v61, v62
	s_cbranch_execz .LBB317_342
; %bb.335:
	s_mov_b64 s[14:15], 1
	s_mov_b32 s23, 0
                                        ; implicit-def: $sgpr24
	s_set_inst_prefetch_distance 0x1
	s_branch .LBB317_338
	.p2align	6
.LBB317_336:                            ;   in Loop: Header=BB317_338 Depth=1
	v_add_co_u32 v61, vcc_lo, v57, s14
	v_add_co_ci_u32_e32 v62, vcc_lo, s15, v58, vcc_lo
	v_add_co_u32 v65, vcc_lo, v59, s14
	v_add_co_ci_u32_e32 v66, vcc_lo, s15, v60, vcc_lo
	s_add_u32 s18, s14, 1
	s_clause 0x1
	global_load_u8 v61, v[61:62], off
	global_load_u8 v62, v[65:66], off
	s_addc_u32 s19, s15, 0
	s_and_not1_b32 s24, s24, exec_lo
	s_waitcnt vmcnt(0)
	v_cmp_ne_u16_e32 vcc_lo, v61, v62
	s_and_b32 s25, vcc_lo, exec_lo
	s_delay_alu instid0(SALU_CYCLE_1)
	s_or_b32 s24, s24, s25
.LBB317_337:                            ;   in Loop: Header=BB317_338 Depth=1
	v_dual_mov_b32 v62, s15 :: v_dual_mov_b32 v61, s14
	s_and_b32 s25, exec_lo, s24
	s_mov_b64 s[14:15], s[18:19]
	s_or_b32 s23, s25, s23
	s_delay_alu instid0(SALU_CYCLE_1)
	s_and_not1_b32 exec_lo, exec_lo, s23
	s_cbranch_execz .LBB317_341
.LBB317_338:                            ; =>This Inner Loop Header: Depth=1
	s_or_b32 s24, s24, exec_lo
	s_cmp_eq_u64 s[8:9], s[14:15]
	s_cbranch_scc0 .LBB317_336
; %bb.339:                              ;   in Loop: Header=BB317_338 Depth=1
	s_mov_b64 s[14:15], s[8:9]
                                        ; implicit-def: $sgpr18_sgpr19
	s_branch .LBB317_337
.LBB317_340:
	v_mov_b32_e32 v111, 0
	v_mov_b32_e32 v112, 0
	s_branch .LBB317_343
.LBB317_341:
	s_set_inst_prefetch_distance 0x2
	s_or_b32 exec_lo, exec_lo, s23
	v_cmp_gt_i64_e32 vcc_lo, s[8:9], v[61:62]
	s_mov_b32 s14, 0
	s_delay_alu instid0(SALU_CYCLE_1)
	v_mov_b32_e32 v112, s14
	v_cndmask_b32_e64 v111, 0, 1, vcc_lo
.LBB317_342:
	s_or_b32 exec_lo, exec_lo, s22
.LBB317_343:
	s_delay_alu instid0(SALU_CYCLE_1) | instskip(SKIP_3) | instid1(VALU_DEP_2)
	s_or_b32 exec_lo, exec_lo, s21
	v_dual_mov_b32 v116, v8 :: v_dual_add_nc_u32 v57, 27, v64
	v_mov_b32_e32 v115, v7
	s_mov_b32 s21, exec_lo
	v_cmpx_gt_u32_e64 s20, v57
	s_cbranch_execz .LBB317_354
; %bb.344:
	v_cmp_ne_u32_e32 vcc_lo, 1, v63
	s_cbranch_vccnz .LBB317_351
; %bb.345:
	v_mad_u64_u32 v[57:58], null, v7, s8, s[10:11]
	s_waitcnt lgkmcnt(0)
	v_mul_lo_u32 v61, v7, s9
	v_mul_lo_u32 v62, v8, s8
	v_mad_u64_u32 v[59:60], null, v5, s8, s[10:11]
	v_mul_lo_u32 v65, v5, s9
	v_mul_lo_u32 v66, v6, s8
	v_mov_b32_e32 v115, 1
	v_mov_b32_e32 v116, 0
	s_mov_b32 s22, exec_lo
	v_add3_u32 v58, v62, v58, v61
	s_delay_alu instid0(VALU_DEP_4)
	v_add3_u32 v60, v66, v60, v65
	s_clause 0x1
	global_load_u8 v61, v[57:58], off
	global_load_u8 v62, v[59:60], off
	s_waitcnt vmcnt(0)
	v_cmpx_eq_u16_e64 v61, v62
	s_cbranch_execz .LBB317_353
; %bb.346:
	s_mov_b64 s[14:15], 1
	s_mov_b32 s23, 0
                                        ; implicit-def: $sgpr24
	s_set_inst_prefetch_distance 0x1
	s_branch .LBB317_349
	.p2align	6
.LBB317_347:                            ;   in Loop: Header=BB317_349 Depth=1
	v_add_co_u32 v61, vcc_lo, v57, s14
	v_add_co_ci_u32_e32 v62, vcc_lo, s15, v58, vcc_lo
	v_add_co_u32 v65, vcc_lo, v59, s14
	v_add_co_ci_u32_e32 v66, vcc_lo, s15, v60, vcc_lo
	s_add_u32 s18, s14, 1
	s_clause 0x1
	global_load_u8 v61, v[61:62], off
	global_load_u8 v62, v[65:66], off
	s_addc_u32 s19, s15, 0
	s_and_not1_b32 s24, s24, exec_lo
	s_waitcnt vmcnt(0)
	v_cmp_ne_u16_e32 vcc_lo, v61, v62
	s_and_b32 s25, vcc_lo, exec_lo
	s_delay_alu instid0(SALU_CYCLE_1)
	s_or_b32 s24, s24, s25
.LBB317_348:                            ;   in Loop: Header=BB317_349 Depth=1
	v_dual_mov_b32 v62, s15 :: v_dual_mov_b32 v61, s14
	s_and_b32 s25, exec_lo, s24
	s_mov_b64 s[14:15], s[18:19]
	s_or_b32 s23, s25, s23
	s_delay_alu instid0(SALU_CYCLE_1)
	s_and_not1_b32 exec_lo, exec_lo, s23
	s_cbranch_execz .LBB317_352
.LBB317_349:                            ; =>This Inner Loop Header: Depth=1
	s_or_b32 s24, s24, exec_lo
	s_cmp_eq_u64 s[8:9], s[14:15]
	s_cbranch_scc0 .LBB317_347
; %bb.350:                              ;   in Loop: Header=BB317_349 Depth=1
	s_mov_b64 s[14:15], s[8:9]
                                        ; implicit-def: $sgpr18_sgpr19
	s_branch .LBB317_348
.LBB317_351:
	v_mov_b32_e32 v115, 0
	v_mov_b32_e32 v116, 0
	s_branch .LBB317_354
.LBB317_352:
	s_set_inst_prefetch_distance 0x2
	s_or_b32 exec_lo, exec_lo, s23
	v_cmp_gt_i64_e32 vcc_lo, s[8:9], v[61:62]
	s_mov_b32 s14, 0
	s_delay_alu instid0(SALU_CYCLE_1)
	v_mov_b32_e32 v116, s14
	v_cndmask_b32_e64 v115, 0, 1, vcc_lo
.LBB317_353:
	s_or_b32 exec_lo, exec_lo, s22
.LBB317_354:
	s_delay_alu instid0(SALU_CYCLE_1) | instskip(SKIP_3) | instid1(VALU_DEP_2)
	s_or_b32 exec_lo, exec_lo, s21
	v_dual_mov_b32 v114, v6 :: v_dual_add_nc_u32 v57, 26, v64
	v_mov_b32_e32 v113, v5
	s_mov_b32 s21, exec_lo
	v_cmpx_gt_u32_e64 s20, v57
	s_cbranch_execz .LBB317_365
; %bb.355:
	v_cmp_ne_u32_e32 vcc_lo, 1, v63
	s_cbranch_vccnz .LBB317_362
; %bb.356:
	v_mad_u64_u32 v[57:58], null, v5, s8, s[10:11]
	s_waitcnt lgkmcnt(0)
	v_mul_lo_u32 v61, v5, s9
	v_mul_lo_u32 v62, v6, s8
	v_mad_u64_u32 v[59:60], null, v11, s8, s[10:11]
	v_mul_lo_u32 v65, v11, s9
	v_mul_lo_u32 v66, v12, s8
	v_mov_b32_e32 v113, 1
	v_mov_b32_e32 v114, 0
	s_mov_b32 s22, exec_lo
	v_add3_u32 v58, v62, v58, v61
	s_delay_alu instid0(VALU_DEP_4)
	v_add3_u32 v60, v66, v60, v65
	s_clause 0x1
	global_load_u8 v61, v[57:58], off
	global_load_u8 v62, v[59:60], off
	s_waitcnt vmcnt(0)
	v_cmpx_eq_u16_e64 v61, v62
	s_cbranch_execz .LBB317_364
; %bb.357:
	s_mov_b64 s[14:15], 1
	s_mov_b32 s23, 0
                                        ; implicit-def: $sgpr24
	s_set_inst_prefetch_distance 0x1
	s_branch .LBB317_360
	.p2align	6
.LBB317_358:                            ;   in Loop: Header=BB317_360 Depth=1
	v_add_co_u32 v61, vcc_lo, v57, s14
	v_add_co_ci_u32_e32 v62, vcc_lo, s15, v58, vcc_lo
	v_add_co_u32 v65, vcc_lo, v59, s14
	v_add_co_ci_u32_e32 v66, vcc_lo, s15, v60, vcc_lo
	s_add_u32 s18, s14, 1
	s_clause 0x1
	global_load_u8 v61, v[61:62], off
	global_load_u8 v62, v[65:66], off
	s_addc_u32 s19, s15, 0
	s_and_not1_b32 s24, s24, exec_lo
	s_waitcnt vmcnt(0)
	v_cmp_ne_u16_e32 vcc_lo, v61, v62
	s_and_b32 s25, vcc_lo, exec_lo
	s_delay_alu instid0(SALU_CYCLE_1)
	s_or_b32 s24, s24, s25
.LBB317_359:                            ;   in Loop: Header=BB317_360 Depth=1
	v_dual_mov_b32 v62, s15 :: v_dual_mov_b32 v61, s14
	s_and_b32 s25, exec_lo, s24
	s_mov_b64 s[14:15], s[18:19]
	s_or_b32 s23, s25, s23
	s_delay_alu instid0(SALU_CYCLE_1)
	s_and_not1_b32 exec_lo, exec_lo, s23
	s_cbranch_execz .LBB317_363
.LBB317_360:                            ; =>This Inner Loop Header: Depth=1
	s_or_b32 s24, s24, exec_lo
	s_cmp_eq_u64 s[8:9], s[14:15]
	s_cbranch_scc0 .LBB317_358
; %bb.361:                              ;   in Loop: Header=BB317_360 Depth=1
	s_mov_b64 s[14:15], s[8:9]
                                        ; implicit-def: $sgpr18_sgpr19
	s_branch .LBB317_359
.LBB317_362:
	v_mov_b32_e32 v113, 0
	v_mov_b32_e32 v114, 0
	s_branch .LBB317_365
.LBB317_363:
	s_set_inst_prefetch_distance 0x2
	s_or_b32 exec_lo, exec_lo, s23
	v_cmp_gt_i64_e32 vcc_lo, s[8:9], v[61:62]
	s_mov_b32 s14, 0
	s_delay_alu instid0(SALU_CYCLE_1)
	v_mov_b32_e32 v114, s14
	v_cndmask_b32_e64 v113, 0, 1, vcc_lo
.LBB317_364:
	s_or_b32 exec_lo, exec_lo, s22
.LBB317_365:
	s_delay_alu instid0(SALU_CYCLE_1) | instskip(SKIP_3) | instid1(VALU_DEP_2)
	s_or_b32 exec_lo, exec_lo, s21
	v_dual_mov_b32 v118, v12 :: v_dual_add_nc_u32 v57, 25, v64
	v_mov_b32_e32 v117, v11
	s_mov_b32 s21, exec_lo
	v_cmpx_gt_u32_e64 s20, v57
	s_cbranch_execz .LBB317_376
; %bb.366:
	v_cmp_ne_u32_e32 vcc_lo, 1, v63
	s_cbranch_vccnz .LBB317_373
; %bb.367:
	v_mad_u64_u32 v[57:58], null, v11, s8, s[10:11]
	s_waitcnt lgkmcnt(0)
	v_mul_lo_u32 v61, v11, s9
	v_mul_lo_u32 v62, v12, s8
	v_mad_u64_u32 v[59:60], null, v9, s8, s[10:11]
	v_mul_lo_u32 v65, v9, s9
	v_mul_lo_u32 v66, v10, s8
	v_mov_b32_e32 v117, 1
	v_mov_b32_e32 v118, 0
	s_mov_b32 s22, exec_lo
	v_add3_u32 v58, v62, v58, v61
	s_delay_alu instid0(VALU_DEP_4)
	v_add3_u32 v60, v66, v60, v65
	s_clause 0x1
	global_load_u8 v61, v[57:58], off
	global_load_u8 v62, v[59:60], off
	s_waitcnt vmcnt(0)
	v_cmpx_eq_u16_e64 v61, v62
	s_cbranch_execz .LBB317_375
; %bb.368:
	s_mov_b64 s[14:15], 1
	s_mov_b32 s23, 0
                                        ; implicit-def: $sgpr24
	s_set_inst_prefetch_distance 0x1
	s_branch .LBB317_371
	.p2align	6
.LBB317_369:                            ;   in Loop: Header=BB317_371 Depth=1
	v_add_co_u32 v61, vcc_lo, v57, s14
	v_add_co_ci_u32_e32 v62, vcc_lo, s15, v58, vcc_lo
	v_add_co_u32 v65, vcc_lo, v59, s14
	v_add_co_ci_u32_e32 v66, vcc_lo, s15, v60, vcc_lo
	s_add_u32 s18, s14, 1
	s_clause 0x1
	global_load_u8 v61, v[61:62], off
	global_load_u8 v62, v[65:66], off
	s_addc_u32 s19, s15, 0
	s_and_not1_b32 s24, s24, exec_lo
	s_waitcnt vmcnt(0)
	v_cmp_ne_u16_e32 vcc_lo, v61, v62
	s_and_b32 s25, vcc_lo, exec_lo
	s_delay_alu instid0(SALU_CYCLE_1)
	s_or_b32 s24, s24, s25
.LBB317_370:                            ;   in Loop: Header=BB317_371 Depth=1
	v_dual_mov_b32 v62, s15 :: v_dual_mov_b32 v61, s14
	s_and_b32 s25, exec_lo, s24
	s_mov_b64 s[14:15], s[18:19]
	s_or_b32 s23, s25, s23
	s_delay_alu instid0(SALU_CYCLE_1)
	s_and_not1_b32 exec_lo, exec_lo, s23
	s_cbranch_execz .LBB317_374
.LBB317_371:                            ; =>This Inner Loop Header: Depth=1
	s_or_b32 s24, s24, exec_lo
	s_cmp_eq_u64 s[8:9], s[14:15]
	s_cbranch_scc0 .LBB317_369
; %bb.372:                              ;   in Loop: Header=BB317_371 Depth=1
	s_mov_b64 s[14:15], s[8:9]
                                        ; implicit-def: $sgpr18_sgpr19
	s_branch .LBB317_370
.LBB317_373:
	v_mov_b32_e32 v117, 0
	v_mov_b32_e32 v118, 0
	s_branch .LBB317_376
.LBB317_374:
	s_set_inst_prefetch_distance 0x2
	s_or_b32 exec_lo, exec_lo, s23
	v_cmp_gt_i64_e32 vcc_lo, s[8:9], v[61:62]
	s_mov_b32 s14, 0
	s_delay_alu instid0(SALU_CYCLE_1)
	v_mov_b32_e32 v118, s14
	v_cndmask_b32_e64 v117, 0, 1, vcc_lo
.LBB317_375:
	s_or_b32 exec_lo, exec_lo, s22
.LBB317_376:
	s_delay_alu instid0(SALU_CYCLE_1) | instskip(SKIP_3) | instid1(VALU_DEP_2)
	s_or_b32 exec_lo, exec_lo, s21
	v_dual_mov_b32 v120, v10 :: v_dual_add_nc_u32 v57, 24, v64
	v_mov_b32_e32 v119, v9
	s_mov_b32 s21, exec_lo
	v_cmpx_gt_u32_e64 s20, v57
	s_cbranch_execz .LBB317_387
; %bb.377:
	v_cmp_ne_u32_e32 vcc_lo, 1, v63
	s_cbranch_vccnz .LBB317_384
; %bb.378:
	v_mad_u64_u32 v[57:58], null, v9, s8, s[10:11]
	s_waitcnt lgkmcnt(0)
	v_mul_lo_u32 v61, v9, s9
	v_mul_lo_u32 v62, v10, s8
	v_mad_u64_u32 v[59:60], null, v55, s8, s[10:11]
	v_mul_lo_u32 v65, v55, s9
	v_mul_lo_u32 v66, v56, s8
	v_mov_b32_e32 v119, 1
	v_mov_b32_e32 v120, 0
	s_mov_b32 s22, exec_lo
	v_add3_u32 v58, v62, v58, v61
	s_delay_alu instid0(VALU_DEP_4)
	v_add3_u32 v60, v66, v60, v65
	s_clause 0x1
	global_load_u8 v61, v[57:58], off
	global_load_u8 v62, v[59:60], off
	s_waitcnt vmcnt(0)
	v_cmpx_eq_u16_e64 v61, v62
	s_cbranch_execz .LBB317_386
; %bb.379:
	s_mov_b64 s[14:15], 1
	s_mov_b32 s23, 0
                                        ; implicit-def: $sgpr24
	s_set_inst_prefetch_distance 0x1
	s_branch .LBB317_382
	.p2align	6
.LBB317_380:                            ;   in Loop: Header=BB317_382 Depth=1
	v_add_co_u32 v61, vcc_lo, v57, s14
	v_add_co_ci_u32_e32 v62, vcc_lo, s15, v58, vcc_lo
	v_add_co_u32 v65, vcc_lo, v59, s14
	v_add_co_ci_u32_e32 v66, vcc_lo, s15, v60, vcc_lo
	s_add_u32 s18, s14, 1
	s_clause 0x1
	global_load_u8 v61, v[61:62], off
	global_load_u8 v62, v[65:66], off
	s_addc_u32 s19, s15, 0
	s_and_not1_b32 s24, s24, exec_lo
	s_waitcnt vmcnt(0)
	v_cmp_ne_u16_e32 vcc_lo, v61, v62
	s_and_b32 s25, vcc_lo, exec_lo
	s_delay_alu instid0(SALU_CYCLE_1)
	s_or_b32 s24, s24, s25
.LBB317_381:                            ;   in Loop: Header=BB317_382 Depth=1
	v_dual_mov_b32 v62, s15 :: v_dual_mov_b32 v61, s14
	s_and_b32 s25, exec_lo, s24
	s_mov_b64 s[14:15], s[18:19]
	s_or_b32 s23, s25, s23
	s_delay_alu instid0(SALU_CYCLE_1)
	s_and_not1_b32 exec_lo, exec_lo, s23
	s_cbranch_execz .LBB317_385
.LBB317_382:                            ; =>This Inner Loop Header: Depth=1
	s_or_b32 s24, s24, exec_lo
	s_cmp_eq_u64 s[8:9], s[14:15]
	s_cbranch_scc0 .LBB317_380
; %bb.383:                              ;   in Loop: Header=BB317_382 Depth=1
	s_mov_b64 s[14:15], s[8:9]
                                        ; implicit-def: $sgpr18_sgpr19
	s_branch .LBB317_381
.LBB317_384:
	v_mov_b32_e32 v119, 0
	v_mov_b32_e32 v120, 0
	s_branch .LBB317_387
.LBB317_385:
	s_set_inst_prefetch_distance 0x2
	s_or_b32 exec_lo, exec_lo, s23
	v_cmp_gt_i64_e32 vcc_lo, s[8:9], v[61:62]
	s_mov_b32 s14, 0
	s_delay_alu instid0(SALU_CYCLE_1)
	v_mov_b32_e32 v120, s14
	v_cndmask_b32_e64 v119, 0, 1, vcc_lo
.LBB317_386:
	s_or_b32 exec_lo, exec_lo, s22
.LBB317_387:
	s_delay_alu instid0(SALU_CYCLE_1) | instskip(SKIP_3) | instid1(VALU_DEP_2)
	s_or_b32 exec_lo, exec_lo, s21
	v_dual_mov_b32 v122, v56 :: v_dual_add_nc_u32 v57, 23, v64
	v_mov_b32_e32 v121, v55
	s_mov_b32 s21, exec_lo
	v_cmpx_gt_u32_e64 s20, v57
	s_cbranch_execz .LBB317_398
; %bb.388:
	v_cmp_ne_u32_e32 vcc_lo, 1, v63
	s_cbranch_vccnz .LBB317_395
; %bb.389:
	v_mad_u64_u32 v[57:58], null, v55, s8, s[10:11]
	s_waitcnt lgkmcnt(0)
	v_mul_lo_u32 v61, v55, s9
	v_mul_lo_u32 v62, v56, s8
	v_mad_u64_u32 v[59:60], null, v53, s8, s[10:11]
	v_mul_lo_u32 v65, v53, s9
	v_mul_lo_u32 v66, v54, s8
	v_mov_b32_e32 v121, 1
	v_mov_b32_e32 v122, 0
	s_mov_b32 s22, exec_lo
	v_add3_u32 v58, v62, v58, v61
	s_delay_alu instid0(VALU_DEP_4)
	v_add3_u32 v60, v66, v60, v65
	s_clause 0x1
	global_load_u8 v61, v[57:58], off
	global_load_u8 v62, v[59:60], off
	s_waitcnt vmcnt(0)
	v_cmpx_eq_u16_e64 v61, v62
	s_cbranch_execz .LBB317_397
; %bb.390:
	s_mov_b64 s[14:15], 1
	s_mov_b32 s23, 0
                                        ; implicit-def: $sgpr24
	s_set_inst_prefetch_distance 0x1
	s_branch .LBB317_393
	.p2align	6
.LBB317_391:                            ;   in Loop: Header=BB317_393 Depth=1
	v_add_co_u32 v61, vcc_lo, v57, s14
	v_add_co_ci_u32_e32 v62, vcc_lo, s15, v58, vcc_lo
	v_add_co_u32 v65, vcc_lo, v59, s14
	v_add_co_ci_u32_e32 v66, vcc_lo, s15, v60, vcc_lo
	s_add_u32 s18, s14, 1
	s_clause 0x1
	global_load_u8 v61, v[61:62], off
	global_load_u8 v62, v[65:66], off
	s_addc_u32 s19, s15, 0
	s_and_not1_b32 s24, s24, exec_lo
	s_waitcnt vmcnt(0)
	v_cmp_ne_u16_e32 vcc_lo, v61, v62
	s_and_b32 s25, vcc_lo, exec_lo
	s_delay_alu instid0(SALU_CYCLE_1)
	s_or_b32 s24, s24, s25
.LBB317_392:                            ;   in Loop: Header=BB317_393 Depth=1
	v_dual_mov_b32 v62, s15 :: v_dual_mov_b32 v61, s14
	s_and_b32 s25, exec_lo, s24
	s_mov_b64 s[14:15], s[18:19]
	s_or_b32 s23, s25, s23
	s_delay_alu instid0(SALU_CYCLE_1)
	s_and_not1_b32 exec_lo, exec_lo, s23
	s_cbranch_execz .LBB317_396
.LBB317_393:                            ; =>This Inner Loop Header: Depth=1
	s_or_b32 s24, s24, exec_lo
	s_cmp_eq_u64 s[8:9], s[14:15]
	s_cbranch_scc0 .LBB317_391
; %bb.394:                              ;   in Loop: Header=BB317_393 Depth=1
	s_mov_b64 s[14:15], s[8:9]
                                        ; implicit-def: $sgpr18_sgpr19
	s_branch .LBB317_392
.LBB317_395:
	v_mov_b32_e32 v121, 0
	v_mov_b32_e32 v122, 0
	s_branch .LBB317_398
.LBB317_396:
	s_set_inst_prefetch_distance 0x2
	s_or_b32 exec_lo, exec_lo, s23
	v_cmp_gt_i64_e32 vcc_lo, s[8:9], v[61:62]
	s_mov_b32 s14, 0
	s_delay_alu instid0(SALU_CYCLE_1)
	v_mov_b32_e32 v122, s14
	v_cndmask_b32_e64 v121, 0, 1, vcc_lo
.LBB317_397:
	s_or_b32 exec_lo, exec_lo, s22
.LBB317_398:
	s_delay_alu instid0(SALU_CYCLE_1) | instskip(SKIP_3) | instid1(VALU_DEP_2)
	s_or_b32 exec_lo, exec_lo, s21
	v_dual_mov_b32 v124, v54 :: v_dual_add_nc_u32 v57, 22, v64
	v_mov_b32_e32 v123, v53
	s_mov_b32 s21, exec_lo
	v_cmpx_gt_u32_e64 s20, v57
	s_cbranch_execz .LBB317_409
; %bb.399:
	v_cmp_ne_u32_e32 vcc_lo, 1, v63
	s_cbranch_vccnz .LBB317_406
; %bb.400:
	v_mad_u64_u32 v[57:58], null, v53, s8, s[10:11]
	s_waitcnt lgkmcnt(0)
	v_mul_lo_u32 v61, v53, s9
	v_mul_lo_u32 v62, v54, s8
	v_mad_u64_u32 v[59:60], null, v51, s8, s[10:11]
	v_mul_lo_u32 v65, v51, s9
	v_mul_lo_u32 v66, v52, s8
	v_mov_b32_e32 v123, 1
	v_mov_b32_e32 v124, 0
	s_mov_b32 s22, exec_lo
	v_add3_u32 v58, v62, v58, v61
	s_delay_alu instid0(VALU_DEP_4)
	v_add3_u32 v60, v66, v60, v65
	s_clause 0x1
	global_load_u8 v61, v[57:58], off
	global_load_u8 v62, v[59:60], off
	s_waitcnt vmcnt(0)
	v_cmpx_eq_u16_e64 v61, v62
	s_cbranch_execz .LBB317_408
; %bb.401:
	s_mov_b64 s[14:15], 1
	s_mov_b32 s23, 0
                                        ; implicit-def: $sgpr24
	s_set_inst_prefetch_distance 0x1
	s_branch .LBB317_404
	.p2align	6
.LBB317_402:                            ;   in Loop: Header=BB317_404 Depth=1
	v_add_co_u32 v61, vcc_lo, v57, s14
	v_add_co_ci_u32_e32 v62, vcc_lo, s15, v58, vcc_lo
	v_add_co_u32 v65, vcc_lo, v59, s14
	v_add_co_ci_u32_e32 v66, vcc_lo, s15, v60, vcc_lo
	s_add_u32 s18, s14, 1
	s_clause 0x1
	global_load_u8 v61, v[61:62], off
	global_load_u8 v62, v[65:66], off
	s_addc_u32 s19, s15, 0
	s_and_not1_b32 s24, s24, exec_lo
	s_waitcnt vmcnt(0)
	v_cmp_ne_u16_e32 vcc_lo, v61, v62
	s_and_b32 s25, vcc_lo, exec_lo
	s_delay_alu instid0(SALU_CYCLE_1)
	s_or_b32 s24, s24, s25
.LBB317_403:                            ;   in Loop: Header=BB317_404 Depth=1
	v_dual_mov_b32 v62, s15 :: v_dual_mov_b32 v61, s14
	s_and_b32 s25, exec_lo, s24
	s_mov_b64 s[14:15], s[18:19]
	s_or_b32 s23, s25, s23
	s_delay_alu instid0(SALU_CYCLE_1)
	s_and_not1_b32 exec_lo, exec_lo, s23
	s_cbranch_execz .LBB317_407
.LBB317_404:                            ; =>This Inner Loop Header: Depth=1
	s_or_b32 s24, s24, exec_lo
	s_cmp_eq_u64 s[8:9], s[14:15]
	s_cbranch_scc0 .LBB317_402
; %bb.405:                              ;   in Loop: Header=BB317_404 Depth=1
	s_mov_b64 s[14:15], s[8:9]
                                        ; implicit-def: $sgpr18_sgpr19
	s_branch .LBB317_403
.LBB317_406:
	v_mov_b32_e32 v123, 0
	v_mov_b32_e32 v124, 0
	s_branch .LBB317_409
.LBB317_407:
	s_set_inst_prefetch_distance 0x2
	s_or_b32 exec_lo, exec_lo, s23
	v_cmp_gt_i64_e32 vcc_lo, s[8:9], v[61:62]
	s_mov_b32 s14, 0
	s_delay_alu instid0(SALU_CYCLE_1)
	v_mov_b32_e32 v124, s14
	v_cndmask_b32_e64 v123, 0, 1, vcc_lo
.LBB317_408:
	s_or_b32 exec_lo, exec_lo, s22
.LBB317_409:
	s_delay_alu instid0(SALU_CYCLE_1) | instskip(SKIP_3) | instid1(VALU_DEP_2)
	s_or_b32 exec_lo, exec_lo, s21
	v_dual_mov_b32 v126, v52 :: v_dual_add_nc_u32 v57, 21, v64
	v_mov_b32_e32 v125, v51
	s_mov_b32 s21, exec_lo
	v_cmpx_gt_u32_e64 s20, v57
	s_cbranch_execz .LBB317_420
; %bb.410:
	v_cmp_ne_u32_e32 vcc_lo, 1, v63
	s_cbranch_vccnz .LBB317_417
; %bb.411:
	v_mad_u64_u32 v[57:58], null, v51, s8, s[10:11]
	s_waitcnt lgkmcnt(0)
	v_mul_lo_u32 v61, v51, s9
	v_mul_lo_u32 v62, v52, s8
	v_mad_u64_u32 v[59:60], null, v49, s8, s[10:11]
	v_mul_lo_u32 v65, v49, s9
	v_mul_lo_u32 v66, v50, s8
	v_mov_b32_e32 v125, 1
	v_mov_b32_e32 v126, 0
	s_mov_b32 s22, exec_lo
	v_add3_u32 v58, v62, v58, v61
	s_delay_alu instid0(VALU_DEP_4)
	v_add3_u32 v60, v66, v60, v65
	s_clause 0x1
	global_load_u8 v61, v[57:58], off
	global_load_u8 v62, v[59:60], off
	s_waitcnt vmcnt(0)
	v_cmpx_eq_u16_e64 v61, v62
	s_cbranch_execz .LBB317_419
; %bb.412:
	s_mov_b64 s[14:15], 1
	s_mov_b32 s23, 0
                                        ; implicit-def: $sgpr24
	s_set_inst_prefetch_distance 0x1
	s_branch .LBB317_415
	.p2align	6
.LBB317_413:                            ;   in Loop: Header=BB317_415 Depth=1
	v_add_co_u32 v61, vcc_lo, v57, s14
	v_add_co_ci_u32_e32 v62, vcc_lo, s15, v58, vcc_lo
	v_add_co_u32 v65, vcc_lo, v59, s14
	v_add_co_ci_u32_e32 v66, vcc_lo, s15, v60, vcc_lo
	s_add_u32 s18, s14, 1
	s_clause 0x1
	global_load_u8 v61, v[61:62], off
	global_load_u8 v62, v[65:66], off
	s_addc_u32 s19, s15, 0
	s_and_not1_b32 s24, s24, exec_lo
	s_waitcnt vmcnt(0)
	v_cmp_ne_u16_e32 vcc_lo, v61, v62
	s_and_b32 s25, vcc_lo, exec_lo
	s_delay_alu instid0(SALU_CYCLE_1)
	s_or_b32 s24, s24, s25
.LBB317_414:                            ;   in Loop: Header=BB317_415 Depth=1
	v_dual_mov_b32 v62, s15 :: v_dual_mov_b32 v61, s14
	s_and_b32 s25, exec_lo, s24
	s_mov_b64 s[14:15], s[18:19]
	s_or_b32 s23, s25, s23
	s_delay_alu instid0(SALU_CYCLE_1)
	s_and_not1_b32 exec_lo, exec_lo, s23
	s_cbranch_execz .LBB317_418
.LBB317_415:                            ; =>This Inner Loop Header: Depth=1
	s_or_b32 s24, s24, exec_lo
	s_cmp_eq_u64 s[8:9], s[14:15]
	s_cbranch_scc0 .LBB317_413
; %bb.416:                              ;   in Loop: Header=BB317_415 Depth=1
	s_mov_b64 s[14:15], s[8:9]
                                        ; implicit-def: $sgpr18_sgpr19
	s_branch .LBB317_414
.LBB317_417:
	v_mov_b32_e32 v125, 0
	v_mov_b32_e32 v126, 0
	s_branch .LBB317_420
.LBB317_418:
	s_set_inst_prefetch_distance 0x2
	s_or_b32 exec_lo, exec_lo, s23
	v_cmp_gt_i64_e32 vcc_lo, s[8:9], v[61:62]
	s_mov_b32 s14, 0
	s_delay_alu instid0(SALU_CYCLE_1)
	v_mov_b32_e32 v126, s14
	v_cndmask_b32_e64 v125, 0, 1, vcc_lo
.LBB317_419:
	s_or_b32 exec_lo, exec_lo, s22
.LBB317_420:
	s_delay_alu instid0(SALU_CYCLE_1) | instskip(SKIP_3) | instid1(VALU_DEP_2)
	s_or_b32 exec_lo, exec_lo, s21
	v_dual_mov_b32 v128, v50 :: v_dual_add_nc_u32 v57, 20, v64
	v_mov_b32_e32 v127, v49
	s_mov_b32 s21, exec_lo
	v_cmpx_gt_u32_e64 s20, v57
	s_cbranch_execz .LBB317_431
; %bb.421:
	v_cmp_ne_u32_e32 vcc_lo, 1, v63
	s_cbranch_vccnz .LBB317_428
; %bb.422:
	v_mad_u64_u32 v[57:58], null, v49, s8, s[10:11]
	s_waitcnt lgkmcnt(0)
	v_mul_lo_u32 v61, v49, s9
	v_mul_lo_u32 v62, v50, s8
	v_mad_u64_u32 v[59:60], null, v47, s8, s[10:11]
	v_mul_lo_u32 v65, v47, s9
	v_mul_lo_u32 v66, v48, s8
	v_mov_b32_e32 v127, 1
	v_mov_b32_e32 v128, 0
	s_mov_b32 s22, exec_lo
	v_add3_u32 v58, v62, v58, v61
	s_delay_alu instid0(VALU_DEP_4)
	v_add3_u32 v60, v66, v60, v65
	s_clause 0x1
	global_load_u8 v61, v[57:58], off
	global_load_u8 v62, v[59:60], off
	s_waitcnt vmcnt(0)
	v_cmpx_eq_u16_e64 v61, v62
	s_cbranch_execz .LBB317_430
; %bb.423:
	s_mov_b64 s[14:15], 1
	s_mov_b32 s23, 0
                                        ; implicit-def: $sgpr24
	s_set_inst_prefetch_distance 0x1
	s_branch .LBB317_426
	.p2align	6
.LBB317_424:                            ;   in Loop: Header=BB317_426 Depth=1
	v_add_co_u32 v61, vcc_lo, v57, s14
	v_add_co_ci_u32_e32 v62, vcc_lo, s15, v58, vcc_lo
	v_add_co_u32 v65, vcc_lo, v59, s14
	v_add_co_ci_u32_e32 v66, vcc_lo, s15, v60, vcc_lo
	s_add_u32 s18, s14, 1
	s_clause 0x1
	global_load_u8 v61, v[61:62], off
	global_load_u8 v62, v[65:66], off
	s_addc_u32 s19, s15, 0
	s_and_not1_b32 s24, s24, exec_lo
	s_waitcnt vmcnt(0)
	v_cmp_ne_u16_e32 vcc_lo, v61, v62
	s_and_b32 s25, vcc_lo, exec_lo
	s_delay_alu instid0(SALU_CYCLE_1)
	s_or_b32 s24, s24, s25
.LBB317_425:                            ;   in Loop: Header=BB317_426 Depth=1
	v_dual_mov_b32 v62, s15 :: v_dual_mov_b32 v61, s14
	s_and_b32 s25, exec_lo, s24
	s_mov_b64 s[14:15], s[18:19]
	s_or_b32 s23, s25, s23
	s_delay_alu instid0(SALU_CYCLE_1)
	s_and_not1_b32 exec_lo, exec_lo, s23
	s_cbranch_execz .LBB317_429
.LBB317_426:                            ; =>This Inner Loop Header: Depth=1
	s_or_b32 s24, s24, exec_lo
	s_cmp_eq_u64 s[8:9], s[14:15]
	s_cbranch_scc0 .LBB317_424
; %bb.427:                              ;   in Loop: Header=BB317_426 Depth=1
	s_mov_b64 s[14:15], s[8:9]
                                        ; implicit-def: $sgpr18_sgpr19
	s_branch .LBB317_425
.LBB317_428:
	v_mov_b32_e32 v127, 0
	v_mov_b32_e32 v128, 0
	s_branch .LBB317_431
.LBB317_429:
	s_set_inst_prefetch_distance 0x2
	s_or_b32 exec_lo, exec_lo, s23
	v_cmp_gt_i64_e32 vcc_lo, s[8:9], v[61:62]
	s_mov_b32 s14, 0
	s_delay_alu instid0(SALU_CYCLE_1)
	v_mov_b32_e32 v128, s14
	v_cndmask_b32_e64 v127, 0, 1, vcc_lo
.LBB317_430:
	s_or_b32 exec_lo, exec_lo, s22
.LBB317_431:
	s_delay_alu instid0(SALU_CYCLE_1) | instskip(SKIP_3) | instid1(VALU_DEP_2)
	s_or_b32 exec_lo, exec_lo, s21
	v_dual_mov_b32 v130, v48 :: v_dual_add_nc_u32 v57, 19, v64
	v_mov_b32_e32 v129, v47
	s_mov_b32 s21, exec_lo
	v_cmpx_gt_u32_e64 s20, v57
	s_cbranch_execz .LBB317_442
; %bb.432:
	v_cmp_ne_u32_e32 vcc_lo, 1, v63
	s_cbranch_vccnz .LBB317_439
; %bb.433:
	v_mad_u64_u32 v[57:58], null, v47, s8, s[10:11]
	s_waitcnt lgkmcnt(0)
	v_mul_lo_u32 v61, v47, s9
	v_mul_lo_u32 v62, v48, s8
	v_mad_u64_u32 v[59:60], null, v45, s8, s[10:11]
	v_mul_lo_u32 v65, v45, s9
	v_mul_lo_u32 v66, v46, s8
	v_mov_b32_e32 v129, 1
	v_mov_b32_e32 v130, 0
	s_mov_b32 s22, exec_lo
	v_add3_u32 v58, v62, v58, v61
	s_delay_alu instid0(VALU_DEP_4)
	v_add3_u32 v60, v66, v60, v65
	s_clause 0x1
	global_load_u8 v61, v[57:58], off
	global_load_u8 v62, v[59:60], off
	s_waitcnt vmcnt(0)
	v_cmpx_eq_u16_e64 v61, v62
	s_cbranch_execz .LBB317_441
; %bb.434:
	s_mov_b64 s[14:15], 1
	s_mov_b32 s23, 0
                                        ; implicit-def: $sgpr24
	s_set_inst_prefetch_distance 0x1
	s_branch .LBB317_437
	.p2align	6
.LBB317_435:                            ;   in Loop: Header=BB317_437 Depth=1
	v_add_co_u32 v61, vcc_lo, v57, s14
	v_add_co_ci_u32_e32 v62, vcc_lo, s15, v58, vcc_lo
	v_add_co_u32 v65, vcc_lo, v59, s14
	v_add_co_ci_u32_e32 v66, vcc_lo, s15, v60, vcc_lo
	s_add_u32 s18, s14, 1
	s_clause 0x1
	global_load_u8 v61, v[61:62], off
	global_load_u8 v62, v[65:66], off
	s_addc_u32 s19, s15, 0
	s_and_not1_b32 s24, s24, exec_lo
	s_waitcnt vmcnt(0)
	v_cmp_ne_u16_e32 vcc_lo, v61, v62
	s_and_b32 s25, vcc_lo, exec_lo
	s_delay_alu instid0(SALU_CYCLE_1)
	s_or_b32 s24, s24, s25
.LBB317_436:                            ;   in Loop: Header=BB317_437 Depth=1
	v_dual_mov_b32 v62, s15 :: v_dual_mov_b32 v61, s14
	s_and_b32 s25, exec_lo, s24
	s_mov_b64 s[14:15], s[18:19]
	s_or_b32 s23, s25, s23
	s_delay_alu instid0(SALU_CYCLE_1)
	s_and_not1_b32 exec_lo, exec_lo, s23
	s_cbranch_execz .LBB317_440
.LBB317_437:                            ; =>This Inner Loop Header: Depth=1
	s_or_b32 s24, s24, exec_lo
	s_cmp_eq_u64 s[8:9], s[14:15]
	s_cbranch_scc0 .LBB317_435
; %bb.438:                              ;   in Loop: Header=BB317_437 Depth=1
	s_mov_b64 s[14:15], s[8:9]
                                        ; implicit-def: $sgpr18_sgpr19
	s_branch .LBB317_436
.LBB317_439:
	v_mov_b32_e32 v129, 0
	v_mov_b32_e32 v130, 0
	s_branch .LBB317_442
.LBB317_440:
	s_set_inst_prefetch_distance 0x2
	s_or_b32 exec_lo, exec_lo, s23
	v_cmp_gt_i64_e32 vcc_lo, s[8:9], v[61:62]
	s_mov_b32 s14, 0
	s_delay_alu instid0(SALU_CYCLE_1)
	v_mov_b32_e32 v130, s14
	v_cndmask_b32_e64 v129, 0, 1, vcc_lo
.LBB317_441:
	s_or_b32 exec_lo, exec_lo, s22
.LBB317_442:
	s_delay_alu instid0(SALU_CYCLE_1) | instskip(SKIP_3) | instid1(VALU_DEP_2)
	s_or_b32 exec_lo, exec_lo, s21
	v_dual_mov_b32 v132, v46 :: v_dual_add_nc_u32 v57, 18, v64
	v_mov_b32_e32 v131, v45
	s_mov_b32 s21, exec_lo
	v_cmpx_gt_u32_e64 s20, v57
	s_cbranch_execz .LBB317_453
; %bb.443:
	v_cmp_ne_u32_e32 vcc_lo, 1, v63
	s_cbranch_vccnz .LBB317_450
; %bb.444:
	v_mad_u64_u32 v[57:58], null, v45, s8, s[10:11]
	s_waitcnt lgkmcnt(0)
	v_mul_lo_u32 v61, v45, s9
	v_mul_lo_u32 v62, v46, s8
	v_mad_u64_u32 v[59:60], null, v43, s8, s[10:11]
	v_mul_lo_u32 v65, v43, s9
	v_mul_lo_u32 v66, v44, s8
	v_mov_b32_e32 v131, 1
	v_mov_b32_e32 v132, 0
	s_mov_b32 s22, exec_lo
	v_add3_u32 v58, v62, v58, v61
	s_delay_alu instid0(VALU_DEP_4)
	v_add3_u32 v60, v66, v60, v65
	s_clause 0x1
	global_load_u8 v61, v[57:58], off
	global_load_u8 v62, v[59:60], off
	s_waitcnt vmcnt(0)
	v_cmpx_eq_u16_e64 v61, v62
	s_cbranch_execz .LBB317_452
; %bb.445:
	s_mov_b64 s[14:15], 1
	s_mov_b32 s23, 0
                                        ; implicit-def: $sgpr24
	s_set_inst_prefetch_distance 0x1
	s_branch .LBB317_448
	.p2align	6
.LBB317_446:                            ;   in Loop: Header=BB317_448 Depth=1
	v_add_co_u32 v61, vcc_lo, v57, s14
	v_add_co_ci_u32_e32 v62, vcc_lo, s15, v58, vcc_lo
	v_add_co_u32 v65, vcc_lo, v59, s14
	v_add_co_ci_u32_e32 v66, vcc_lo, s15, v60, vcc_lo
	s_add_u32 s18, s14, 1
	s_clause 0x1
	global_load_u8 v61, v[61:62], off
	global_load_u8 v62, v[65:66], off
	s_addc_u32 s19, s15, 0
	s_and_not1_b32 s24, s24, exec_lo
	s_waitcnt vmcnt(0)
	v_cmp_ne_u16_e32 vcc_lo, v61, v62
	s_and_b32 s25, vcc_lo, exec_lo
	s_delay_alu instid0(SALU_CYCLE_1)
	s_or_b32 s24, s24, s25
.LBB317_447:                            ;   in Loop: Header=BB317_448 Depth=1
	v_dual_mov_b32 v62, s15 :: v_dual_mov_b32 v61, s14
	s_and_b32 s25, exec_lo, s24
	s_mov_b64 s[14:15], s[18:19]
	s_or_b32 s23, s25, s23
	s_delay_alu instid0(SALU_CYCLE_1)
	s_and_not1_b32 exec_lo, exec_lo, s23
	s_cbranch_execz .LBB317_451
.LBB317_448:                            ; =>This Inner Loop Header: Depth=1
	s_or_b32 s24, s24, exec_lo
	s_cmp_eq_u64 s[8:9], s[14:15]
	s_cbranch_scc0 .LBB317_446
; %bb.449:                              ;   in Loop: Header=BB317_448 Depth=1
	s_mov_b64 s[14:15], s[8:9]
                                        ; implicit-def: $sgpr18_sgpr19
	s_branch .LBB317_447
.LBB317_450:
	v_mov_b32_e32 v131, 0
	v_mov_b32_e32 v132, 0
	s_branch .LBB317_453
.LBB317_451:
	s_set_inst_prefetch_distance 0x2
	s_or_b32 exec_lo, exec_lo, s23
	v_cmp_gt_i64_e32 vcc_lo, s[8:9], v[61:62]
	s_mov_b32 s14, 0
	s_delay_alu instid0(SALU_CYCLE_1)
	v_mov_b32_e32 v132, s14
	v_cndmask_b32_e64 v131, 0, 1, vcc_lo
.LBB317_452:
	s_or_b32 exec_lo, exec_lo, s22
.LBB317_453:
	s_delay_alu instid0(SALU_CYCLE_1) | instskip(SKIP_3) | instid1(VALU_DEP_2)
	s_or_b32 exec_lo, exec_lo, s21
	v_dual_mov_b32 v134, v44 :: v_dual_add_nc_u32 v57, 17, v64
	v_mov_b32_e32 v133, v43
	s_mov_b32 s21, exec_lo
	v_cmpx_gt_u32_e64 s20, v57
	s_cbranch_execz .LBB317_464
; %bb.454:
	v_cmp_ne_u32_e32 vcc_lo, 1, v63
	s_cbranch_vccnz .LBB317_461
; %bb.455:
	v_mad_u64_u32 v[57:58], null, v43, s8, s[10:11]
	s_waitcnt lgkmcnt(0)
	v_mul_lo_u32 v61, v43, s9
	v_mul_lo_u32 v62, v44, s8
	v_mad_u64_u32 v[59:60], null, v41, s8, s[10:11]
	v_mul_lo_u32 v65, v41, s9
	v_mul_lo_u32 v66, v42, s8
	v_mov_b32_e32 v133, 1
	v_mov_b32_e32 v134, 0
	s_mov_b32 s22, exec_lo
	v_add3_u32 v58, v62, v58, v61
	s_delay_alu instid0(VALU_DEP_4)
	v_add3_u32 v60, v66, v60, v65
	s_clause 0x1
	global_load_u8 v61, v[57:58], off
	global_load_u8 v62, v[59:60], off
	s_waitcnt vmcnt(0)
	v_cmpx_eq_u16_e64 v61, v62
	s_cbranch_execz .LBB317_463
; %bb.456:
	s_mov_b64 s[14:15], 1
	s_mov_b32 s23, 0
                                        ; implicit-def: $sgpr24
	s_set_inst_prefetch_distance 0x1
	s_branch .LBB317_459
	.p2align	6
.LBB317_457:                            ;   in Loop: Header=BB317_459 Depth=1
	v_add_co_u32 v61, vcc_lo, v57, s14
	v_add_co_ci_u32_e32 v62, vcc_lo, s15, v58, vcc_lo
	v_add_co_u32 v65, vcc_lo, v59, s14
	v_add_co_ci_u32_e32 v66, vcc_lo, s15, v60, vcc_lo
	s_add_u32 s18, s14, 1
	s_clause 0x1
	global_load_u8 v61, v[61:62], off
	global_load_u8 v62, v[65:66], off
	s_addc_u32 s19, s15, 0
	s_and_not1_b32 s24, s24, exec_lo
	s_waitcnt vmcnt(0)
	v_cmp_ne_u16_e32 vcc_lo, v61, v62
	s_and_b32 s25, vcc_lo, exec_lo
	s_delay_alu instid0(SALU_CYCLE_1)
	s_or_b32 s24, s24, s25
.LBB317_458:                            ;   in Loop: Header=BB317_459 Depth=1
	v_dual_mov_b32 v62, s15 :: v_dual_mov_b32 v61, s14
	s_and_b32 s25, exec_lo, s24
	s_mov_b64 s[14:15], s[18:19]
	s_or_b32 s23, s25, s23
	s_delay_alu instid0(SALU_CYCLE_1)
	s_and_not1_b32 exec_lo, exec_lo, s23
	s_cbranch_execz .LBB317_462
.LBB317_459:                            ; =>This Inner Loop Header: Depth=1
	s_or_b32 s24, s24, exec_lo
	s_cmp_eq_u64 s[8:9], s[14:15]
	s_cbranch_scc0 .LBB317_457
; %bb.460:                              ;   in Loop: Header=BB317_459 Depth=1
	s_mov_b64 s[14:15], s[8:9]
                                        ; implicit-def: $sgpr18_sgpr19
	s_branch .LBB317_458
.LBB317_461:
	v_mov_b32_e32 v133, 0
	v_mov_b32_e32 v134, 0
	s_branch .LBB317_464
.LBB317_462:
	s_set_inst_prefetch_distance 0x2
	s_or_b32 exec_lo, exec_lo, s23
	v_cmp_gt_i64_e32 vcc_lo, s[8:9], v[61:62]
	s_mov_b32 s14, 0
	s_delay_alu instid0(SALU_CYCLE_1)
	v_mov_b32_e32 v134, s14
	v_cndmask_b32_e64 v133, 0, 1, vcc_lo
.LBB317_463:
	s_or_b32 exec_lo, exec_lo, s22
.LBB317_464:
	s_delay_alu instid0(SALU_CYCLE_1) | instskip(SKIP_3) | instid1(VALU_DEP_2)
	s_or_b32 exec_lo, exec_lo, s21
	v_dual_mov_b32 v136, v42 :: v_dual_add_nc_u32 v57, 16, v64
	v_mov_b32_e32 v135, v41
	s_mov_b32 s21, exec_lo
	v_cmpx_gt_u32_e64 s20, v57
	s_cbranch_execz .LBB317_475
; %bb.465:
	v_cmp_ne_u32_e32 vcc_lo, 1, v63
	s_cbranch_vccnz .LBB317_472
; %bb.466:
	v_mad_u64_u32 v[57:58], null, v41, s8, s[10:11]
	s_waitcnt lgkmcnt(0)
	v_mul_lo_u32 v61, v41, s9
	v_mul_lo_u32 v62, v42, s8
	v_mad_u64_u32 v[59:60], null, v39, s8, s[10:11]
	v_mul_lo_u32 v65, v39, s9
	v_mul_lo_u32 v66, v40, s8
	v_mov_b32_e32 v135, 1
	v_mov_b32_e32 v136, 0
	s_mov_b32 s22, exec_lo
	v_add3_u32 v58, v62, v58, v61
	s_delay_alu instid0(VALU_DEP_4)
	v_add3_u32 v60, v66, v60, v65
	s_clause 0x1
	global_load_u8 v61, v[57:58], off
	global_load_u8 v62, v[59:60], off
	s_waitcnt vmcnt(0)
	v_cmpx_eq_u16_e64 v61, v62
	s_cbranch_execz .LBB317_474
; %bb.467:
	s_mov_b64 s[14:15], 1
	s_mov_b32 s23, 0
                                        ; implicit-def: $sgpr24
	s_set_inst_prefetch_distance 0x1
	s_branch .LBB317_470
	.p2align	6
.LBB317_468:                            ;   in Loop: Header=BB317_470 Depth=1
	v_add_co_u32 v61, vcc_lo, v57, s14
	v_add_co_ci_u32_e32 v62, vcc_lo, s15, v58, vcc_lo
	v_add_co_u32 v65, vcc_lo, v59, s14
	v_add_co_ci_u32_e32 v66, vcc_lo, s15, v60, vcc_lo
	s_add_u32 s18, s14, 1
	s_clause 0x1
	global_load_u8 v61, v[61:62], off
	global_load_u8 v62, v[65:66], off
	s_addc_u32 s19, s15, 0
	s_and_not1_b32 s24, s24, exec_lo
	s_waitcnt vmcnt(0)
	v_cmp_ne_u16_e32 vcc_lo, v61, v62
	s_and_b32 s25, vcc_lo, exec_lo
	s_delay_alu instid0(SALU_CYCLE_1)
	s_or_b32 s24, s24, s25
.LBB317_469:                            ;   in Loop: Header=BB317_470 Depth=1
	v_dual_mov_b32 v62, s15 :: v_dual_mov_b32 v61, s14
	s_and_b32 s25, exec_lo, s24
	s_mov_b64 s[14:15], s[18:19]
	s_or_b32 s23, s25, s23
	s_delay_alu instid0(SALU_CYCLE_1)
	s_and_not1_b32 exec_lo, exec_lo, s23
	s_cbranch_execz .LBB317_473
.LBB317_470:                            ; =>This Inner Loop Header: Depth=1
	s_or_b32 s24, s24, exec_lo
	s_cmp_eq_u64 s[8:9], s[14:15]
	s_cbranch_scc0 .LBB317_468
; %bb.471:                              ;   in Loop: Header=BB317_470 Depth=1
	s_mov_b64 s[14:15], s[8:9]
                                        ; implicit-def: $sgpr18_sgpr19
	s_branch .LBB317_469
.LBB317_472:
	v_mov_b32_e32 v135, 0
	v_mov_b32_e32 v136, 0
	s_branch .LBB317_475
.LBB317_473:
	s_set_inst_prefetch_distance 0x2
	s_or_b32 exec_lo, exec_lo, s23
	v_cmp_gt_i64_e32 vcc_lo, s[8:9], v[61:62]
	s_mov_b32 s14, 0
	s_delay_alu instid0(SALU_CYCLE_1)
	v_mov_b32_e32 v136, s14
	v_cndmask_b32_e64 v135, 0, 1, vcc_lo
.LBB317_474:
	s_or_b32 exec_lo, exec_lo, s22
.LBB317_475:
	s_delay_alu instid0(SALU_CYCLE_1) | instskip(SKIP_3) | instid1(VALU_DEP_2)
	s_or_b32 exec_lo, exec_lo, s21
	v_dual_mov_b32 v138, v40 :: v_dual_add_nc_u32 v57, 15, v64
	v_mov_b32_e32 v137, v39
	s_mov_b32 s21, exec_lo
	v_cmpx_gt_u32_e64 s20, v57
	s_cbranch_execz .LBB317_486
; %bb.476:
	v_cmp_ne_u32_e32 vcc_lo, 1, v63
	s_cbranch_vccnz .LBB317_483
; %bb.477:
	v_mad_u64_u32 v[57:58], null, v39, s8, s[10:11]
	s_waitcnt lgkmcnt(0)
	v_mul_lo_u32 v61, v39, s9
	v_mul_lo_u32 v62, v40, s8
	v_mad_u64_u32 v[59:60], null, v37, s8, s[10:11]
	v_mul_lo_u32 v65, v37, s9
	v_mul_lo_u32 v66, v38, s8
	v_mov_b32_e32 v137, 1
	v_mov_b32_e32 v138, 0
	s_mov_b32 s22, exec_lo
	v_add3_u32 v58, v62, v58, v61
	s_delay_alu instid0(VALU_DEP_4)
	v_add3_u32 v60, v66, v60, v65
	s_clause 0x1
	global_load_u8 v61, v[57:58], off
	global_load_u8 v62, v[59:60], off
	s_waitcnt vmcnt(0)
	v_cmpx_eq_u16_e64 v61, v62
	s_cbranch_execz .LBB317_485
; %bb.478:
	s_mov_b64 s[14:15], 1
	s_mov_b32 s23, 0
                                        ; implicit-def: $sgpr24
	s_set_inst_prefetch_distance 0x1
	s_branch .LBB317_481
	.p2align	6
.LBB317_479:                            ;   in Loop: Header=BB317_481 Depth=1
	v_add_co_u32 v61, vcc_lo, v57, s14
	v_add_co_ci_u32_e32 v62, vcc_lo, s15, v58, vcc_lo
	v_add_co_u32 v65, vcc_lo, v59, s14
	v_add_co_ci_u32_e32 v66, vcc_lo, s15, v60, vcc_lo
	s_add_u32 s18, s14, 1
	s_clause 0x1
	global_load_u8 v61, v[61:62], off
	global_load_u8 v62, v[65:66], off
	s_addc_u32 s19, s15, 0
	s_and_not1_b32 s24, s24, exec_lo
	s_waitcnt vmcnt(0)
	v_cmp_ne_u16_e32 vcc_lo, v61, v62
	s_and_b32 s25, vcc_lo, exec_lo
	s_delay_alu instid0(SALU_CYCLE_1)
	s_or_b32 s24, s24, s25
.LBB317_480:                            ;   in Loop: Header=BB317_481 Depth=1
	v_dual_mov_b32 v62, s15 :: v_dual_mov_b32 v61, s14
	s_and_b32 s25, exec_lo, s24
	s_mov_b64 s[14:15], s[18:19]
	s_or_b32 s23, s25, s23
	s_delay_alu instid0(SALU_CYCLE_1)
	s_and_not1_b32 exec_lo, exec_lo, s23
	s_cbranch_execz .LBB317_484
.LBB317_481:                            ; =>This Inner Loop Header: Depth=1
	s_or_b32 s24, s24, exec_lo
	s_cmp_eq_u64 s[8:9], s[14:15]
	s_cbranch_scc0 .LBB317_479
; %bb.482:                              ;   in Loop: Header=BB317_481 Depth=1
	s_mov_b64 s[14:15], s[8:9]
                                        ; implicit-def: $sgpr18_sgpr19
	s_branch .LBB317_480
.LBB317_483:
	v_mov_b32_e32 v137, 0
	v_mov_b32_e32 v138, 0
	s_branch .LBB317_486
.LBB317_484:
	s_set_inst_prefetch_distance 0x2
	s_or_b32 exec_lo, exec_lo, s23
	v_cmp_gt_i64_e32 vcc_lo, s[8:9], v[61:62]
	s_mov_b32 s14, 0
	s_delay_alu instid0(SALU_CYCLE_1)
	v_mov_b32_e32 v138, s14
	v_cndmask_b32_e64 v137, 0, 1, vcc_lo
.LBB317_485:
	s_or_b32 exec_lo, exec_lo, s22
.LBB317_486:
	s_delay_alu instid0(SALU_CYCLE_1) | instskip(SKIP_3) | instid1(VALU_DEP_2)
	s_or_b32 exec_lo, exec_lo, s21
	v_dual_mov_b32 v140, v38 :: v_dual_add_nc_u32 v57, 14, v64
	v_mov_b32_e32 v139, v37
	s_mov_b32 s21, exec_lo
	v_cmpx_gt_u32_e64 s20, v57
	s_cbranch_execz .LBB317_497
; %bb.487:
	v_cmp_ne_u32_e32 vcc_lo, 1, v63
	s_cbranch_vccnz .LBB317_494
; %bb.488:
	v_mad_u64_u32 v[57:58], null, v37, s8, s[10:11]
	s_waitcnt lgkmcnt(0)
	v_mul_lo_u32 v61, v37, s9
	v_mul_lo_u32 v62, v38, s8
	v_mad_u64_u32 v[59:60], null, v35, s8, s[10:11]
	v_mul_lo_u32 v65, v35, s9
	v_mul_lo_u32 v66, v36, s8
	v_mov_b32_e32 v139, 1
	v_mov_b32_e32 v140, 0
	s_mov_b32 s22, exec_lo
	v_add3_u32 v58, v62, v58, v61
	s_delay_alu instid0(VALU_DEP_4)
	v_add3_u32 v60, v66, v60, v65
	s_clause 0x1
	global_load_u8 v61, v[57:58], off
	global_load_u8 v62, v[59:60], off
	s_waitcnt vmcnt(0)
	v_cmpx_eq_u16_e64 v61, v62
	s_cbranch_execz .LBB317_496
; %bb.489:
	s_mov_b64 s[14:15], 1
	s_mov_b32 s23, 0
                                        ; implicit-def: $sgpr24
	s_set_inst_prefetch_distance 0x1
	s_branch .LBB317_492
	.p2align	6
.LBB317_490:                            ;   in Loop: Header=BB317_492 Depth=1
	v_add_co_u32 v61, vcc_lo, v57, s14
	v_add_co_ci_u32_e32 v62, vcc_lo, s15, v58, vcc_lo
	v_add_co_u32 v65, vcc_lo, v59, s14
	v_add_co_ci_u32_e32 v66, vcc_lo, s15, v60, vcc_lo
	s_add_u32 s18, s14, 1
	s_clause 0x1
	global_load_u8 v61, v[61:62], off
	global_load_u8 v62, v[65:66], off
	s_addc_u32 s19, s15, 0
	s_and_not1_b32 s24, s24, exec_lo
	s_waitcnt vmcnt(0)
	v_cmp_ne_u16_e32 vcc_lo, v61, v62
	s_and_b32 s25, vcc_lo, exec_lo
	s_delay_alu instid0(SALU_CYCLE_1)
	s_or_b32 s24, s24, s25
.LBB317_491:                            ;   in Loop: Header=BB317_492 Depth=1
	v_dual_mov_b32 v62, s15 :: v_dual_mov_b32 v61, s14
	s_and_b32 s25, exec_lo, s24
	s_mov_b64 s[14:15], s[18:19]
	s_or_b32 s23, s25, s23
	s_delay_alu instid0(SALU_CYCLE_1)
	s_and_not1_b32 exec_lo, exec_lo, s23
	s_cbranch_execz .LBB317_495
.LBB317_492:                            ; =>This Inner Loop Header: Depth=1
	s_or_b32 s24, s24, exec_lo
	s_cmp_eq_u64 s[8:9], s[14:15]
	s_cbranch_scc0 .LBB317_490
; %bb.493:                              ;   in Loop: Header=BB317_492 Depth=1
	s_mov_b64 s[14:15], s[8:9]
                                        ; implicit-def: $sgpr18_sgpr19
	s_branch .LBB317_491
.LBB317_494:
	v_mov_b32_e32 v139, 0
	v_mov_b32_e32 v140, 0
	s_branch .LBB317_497
.LBB317_495:
	s_set_inst_prefetch_distance 0x2
	s_or_b32 exec_lo, exec_lo, s23
	v_cmp_gt_i64_e32 vcc_lo, s[8:9], v[61:62]
	s_mov_b32 s14, 0
	s_delay_alu instid0(SALU_CYCLE_1)
	v_mov_b32_e32 v140, s14
	v_cndmask_b32_e64 v139, 0, 1, vcc_lo
.LBB317_496:
	s_or_b32 exec_lo, exec_lo, s22
.LBB317_497:
	s_delay_alu instid0(SALU_CYCLE_1) | instskip(SKIP_3) | instid1(VALU_DEP_2)
	s_or_b32 exec_lo, exec_lo, s21
	v_dual_mov_b32 v142, v36 :: v_dual_add_nc_u32 v57, 13, v64
	v_mov_b32_e32 v141, v35
	s_mov_b32 s21, exec_lo
	v_cmpx_gt_u32_e64 s20, v57
	s_cbranch_execz .LBB317_508
; %bb.498:
	v_cmp_ne_u32_e32 vcc_lo, 1, v63
	s_cbranch_vccnz .LBB317_505
; %bb.499:
	v_mad_u64_u32 v[57:58], null, v35, s8, s[10:11]
	s_waitcnt lgkmcnt(0)
	v_mul_lo_u32 v61, v35, s9
	v_mul_lo_u32 v62, v36, s8
	v_mad_u64_u32 v[59:60], null, v33, s8, s[10:11]
	v_mul_lo_u32 v65, v33, s9
	v_mul_lo_u32 v66, v34, s8
	v_mov_b32_e32 v141, 1
	v_mov_b32_e32 v142, 0
	s_mov_b32 s22, exec_lo
	v_add3_u32 v58, v62, v58, v61
	s_delay_alu instid0(VALU_DEP_4)
	v_add3_u32 v60, v66, v60, v65
	s_clause 0x1
	global_load_u8 v61, v[57:58], off
	global_load_u8 v62, v[59:60], off
	s_waitcnt vmcnt(0)
	v_cmpx_eq_u16_e64 v61, v62
	s_cbranch_execz .LBB317_507
; %bb.500:
	s_mov_b64 s[14:15], 1
	s_mov_b32 s23, 0
                                        ; implicit-def: $sgpr24
	s_set_inst_prefetch_distance 0x1
	s_branch .LBB317_503
	.p2align	6
.LBB317_501:                            ;   in Loop: Header=BB317_503 Depth=1
	v_add_co_u32 v61, vcc_lo, v57, s14
	v_add_co_ci_u32_e32 v62, vcc_lo, s15, v58, vcc_lo
	v_add_co_u32 v65, vcc_lo, v59, s14
	v_add_co_ci_u32_e32 v66, vcc_lo, s15, v60, vcc_lo
	s_add_u32 s18, s14, 1
	s_clause 0x1
	global_load_u8 v61, v[61:62], off
	global_load_u8 v62, v[65:66], off
	s_addc_u32 s19, s15, 0
	s_and_not1_b32 s24, s24, exec_lo
	s_waitcnt vmcnt(0)
	v_cmp_ne_u16_e32 vcc_lo, v61, v62
	s_and_b32 s25, vcc_lo, exec_lo
	s_delay_alu instid0(SALU_CYCLE_1)
	s_or_b32 s24, s24, s25
.LBB317_502:                            ;   in Loop: Header=BB317_503 Depth=1
	v_dual_mov_b32 v62, s15 :: v_dual_mov_b32 v61, s14
	s_and_b32 s25, exec_lo, s24
	s_mov_b64 s[14:15], s[18:19]
	s_or_b32 s23, s25, s23
	s_delay_alu instid0(SALU_CYCLE_1)
	s_and_not1_b32 exec_lo, exec_lo, s23
	s_cbranch_execz .LBB317_506
.LBB317_503:                            ; =>This Inner Loop Header: Depth=1
	s_or_b32 s24, s24, exec_lo
	s_cmp_eq_u64 s[8:9], s[14:15]
	s_cbranch_scc0 .LBB317_501
; %bb.504:                              ;   in Loop: Header=BB317_503 Depth=1
	s_mov_b64 s[14:15], s[8:9]
                                        ; implicit-def: $sgpr18_sgpr19
	s_branch .LBB317_502
.LBB317_505:
	v_mov_b32_e32 v141, 0
	v_mov_b32_e32 v142, 0
	s_branch .LBB317_508
.LBB317_506:
	s_set_inst_prefetch_distance 0x2
	s_or_b32 exec_lo, exec_lo, s23
	v_cmp_gt_i64_e32 vcc_lo, s[8:9], v[61:62]
	s_mov_b32 s14, 0
	s_delay_alu instid0(SALU_CYCLE_1)
	v_mov_b32_e32 v142, s14
	v_cndmask_b32_e64 v141, 0, 1, vcc_lo
.LBB317_507:
	s_or_b32 exec_lo, exec_lo, s22
.LBB317_508:
	s_delay_alu instid0(SALU_CYCLE_1) | instskip(SKIP_3) | instid1(VALU_DEP_2)
	s_or_b32 exec_lo, exec_lo, s21
	v_dual_mov_b32 v144, v34 :: v_dual_add_nc_u32 v57, 12, v64
	v_mov_b32_e32 v143, v33
	s_mov_b32 s21, exec_lo
	v_cmpx_gt_u32_e64 s20, v57
	s_cbranch_execz .LBB317_519
; %bb.509:
	v_cmp_ne_u32_e32 vcc_lo, 1, v63
	s_cbranch_vccnz .LBB317_516
; %bb.510:
	v_mad_u64_u32 v[57:58], null, v33, s8, s[10:11]
	s_waitcnt lgkmcnt(0)
	v_mul_lo_u32 v61, v33, s9
	v_mul_lo_u32 v62, v34, s8
	v_mad_u64_u32 v[59:60], null, v31, s8, s[10:11]
	v_mul_lo_u32 v65, v31, s9
	v_mul_lo_u32 v66, v32, s8
	v_mov_b32_e32 v143, 1
	v_mov_b32_e32 v144, 0
	s_mov_b32 s22, exec_lo
	v_add3_u32 v58, v62, v58, v61
	s_delay_alu instid0(VALU_DEP_4)
	v_add3_u32 v60, v66, v60, v65
	s_clause 0x1
	global_load_u8 v61, v[57:58], off
	global_load_u8 v62, v[59:60], off
	s_waitcnt vmcnt(0)
	v_cmpx_eq_u16_e64 v61, v62
	s_cbranch_execz .LBB317_518
; %bb.511:
	s_mov_b64 s[14:15], 1
	s_mov_b32 s23, 0
                                        ; implicit-def: $sgpr24
	s_set_inst_prefetch_distance 0x1
	s_branch .LBB317_514
	.p2align	6
.LBB317_512:                            ;   in Loop: Header=BB317_514 Depth=1
	v_add_co_u32 v61, vcc_lo, v57, s14
	v_add_co_ci_u32_e32 v62, vcc_lo, s15, v58, vcc_lo
	v_add_co_u32 v65, vcc_lo, v59, s14
	v_add_co_ci_u32_e32 v66, vcc_lo, s15, v60, vcc_lo
	s_add_u32 s18, s14, 1
	s_clause 0x1
	global_load_u8 v61, v[61:62], off
	global_load_u8 v62, v[65:66], off
	s_addc_u32 s19, s15, 0
	s_and_not1_b32 s24, s24, exec_lo
	s_waitcnt vmcnt(0)
	v_cmp_ne_u16_e32 vcc_lo, v61, v62
	s_and_b32 s25, vcc_lo, exec_lo
	s_delay_alu instid0(SALU_CYCLE_1)
	s_or_b32 s24, s24, s25
.LBB317_513:                            ;   in Loop: Header=BB317_514 Depth=1
	v_dual_mov_b32 v62, s15 :: v_dual_mov_b32 v61, s14
	s_and_b32 s25, exec_lo, s24
	s_mov_b64 s[14:15], s[18:19]
	s_or_b32 s23, s25, s23
	s_delay_alu instid0(SALU_CYCLE_1)
	s_and_not1_b32 exec_lo, exec_lo, s23
	s_cbranch_execz .LBB317_517
.LBB317_514:                            ; =>This Inner Loop Header: Depth=1
	s_or_b32 s24, s24, exec_lo
	s_cmp_eq_u64 s[8:9], s[14:15]
	s_cbranch_scc0 .LBB317_512
; %bb.515:                              ;   in Loop: Header=BB317_514 Depth=1
	s_mov_b64 s[14:15], s[8:9]
                                        ; implicit-def: $sgpr18_sgpr19
	s_branch .LBB317_513
.LBB317_516:
	v_mov_b32_e32 v143, 0
	v_mov_b32_e32 v144, 0
	s_branch .LBB317_519
.LBB317_517:
	s_set_inst_prefetch_distance 0x2
	s_or_b32 exec_lo, exec_lo, s23
	v_cmp_gt_i64_e32 vcc_lo, s[8:9], v[61:62]
	s_mov_b32 s14, 0
	s_delay_alu instid0(SALU_CYCLE_1)
	v_mov_b32_e32 v144, s14
	v_cndmask_b32_e64 v143, 0, 1, vcc_lo
.LBB317_518:
	s_or_b32 exec_lo, exec_lo, s22
.LBB317_519:
	s_delay_alu instid0(SALU_CYCLE_1) | instskip(SKIP_3) | instid1(VALU_DEP_2)
	s_or_b32 exec_lo, exec_lo, s21
	v_dual_mov_b32 v146, v32 :: v_dual_add_nc_u32 v57, 11, v64
	v_mov_b32_e32 v145, v31
	s_mov_b32 s21, exec_lo
	v_cmpx_gt_u32_e64 s20, v57
	s_cbranch_execz .LBB317_530
; %bb.520:
	v_cmp_ne_u32_e32 vcc_lo, 1, v63
	s_cbranch_vccnz .LBB317_527
; %bb.521:
	v_mad_u64_u32 v[57:58], null, v31, s8, s[10:11]
	s_waitcnt lgkmcnt(0)
	v_mul_lo_u32 v61, v31, s9
	v_mul_lo_u32 v62, v32, s8
	v_mad_u64_u32 v[59:60], null, v29, s8, s[10:11]
	v_mul_lo_u32 v65, v29, s9
	v_mul_lo_u32 v66, v30, s8
	v_mov_b32_e32 v145, 1
	v_mov_b32_e32 v146, 0
	s_mov_b32 s22, exec_lo
	v_add3_u32 v58, v62, v58, v61
	s_delay_alu instid0(VALU_DEP_4)
	v_add3_u32 v60, v66, v60, v65
	s_clause 0x1
	global_load_u8 v61, v[57:58], off
	global_load_u8 v62, v[59:60], off
	s_waitcnt vmcnt(0)
	v_cmpx_eq_u16_e64 v61, v62
	s_cbranch_execz .LBB317_529
; %bb.522:
	s_mov_b64 s[14:15], 1
	s_mov_b32 s23, 0
                                        ; implicit-def: $sgpr24
	s_set_inst_prefetch_distance 0x1
	s_branch .LBB317_525
	.p2align	6
.LBB317_523:                            ;   in Loop: Header=BB317_525 Depth=1
	v_add_co_u32 v61, vcc_lo, v57, s14
	v_add_co_ci_u32_e32 v62, vcc_lo, s15, v58, vcc_lo
	v_add_co_u32 v65, vcc_lo, v59, s14
	v_add_co_ci_u32_e32 v66, vcc_lo, s15, v60, vcc_lo
	s_add_u32 s18, s14, 1
	s_clause 0x1
	global_load_u8 v61, v[61:62], off
	global_load_u8 v62, v[65:66], off
	s_addc_u32 s19, s15, 0
	s_and_not1_b32 s24, s24, exec_lo
	s_waitcnt vmcnt(0)
	v_cmp_ne_u16_e32 vcc_lo, v61, v62
	s_and_b32 s25, vcc_lo, exec_lo
	s_delay_alu instid0(SALU_CYCLE_1)
	s_or_b32 s24, s24, s25
.LBB317_524:                            ;   in Loop: Header=BB317_525 Depth=1
	v_dual_mov_b32 v62, s15 :: v_dual_mov_b32 v61, s14
	s_and_b32 s25, exec_lo, s24
	s_mov_b64 s[14:15], s[18:19]
	s_or_b32 s23, s25, s23
	s_delay_alu instid0(SALU_CYCLE_1)
	s_and_not1_b32 exec_lo, exec_lo, s23
	s_cbranch_execz .LBB317_528
.LBB317_525:                            ; =>This Inner Loop Header: Depth=1
	s_or_b32 s24, s24, exec_lo
	s_cmp_eq_u64 s[8:9], s[14:15]
	s_cbranch_scc0 .LBB317_523
; %bb.526:                              ;   in Loop: Header=BB317_525 Depth=1
	s_mov_b64 s[14:15], s[8:9]
                                        ; implicit-def: $sgpr18_sgpr19
	s_branch .LBB317_524
.LBB317_527:
	v_mov_b32_e32 v145, 0
	v_mov_b32_e32 v146, 0
	s_branch .LBB317_530
.LBB317_528:
	s_set_inst_prefetch_distance 0x2
	s_or_b32 exec_lo, exec_lo, s23
	v_cmp_gt_i64_e32 vcc_lo, s[8:9], v[61:62]
	s_mov_b32 s14, 0
	s_delay_alu instid0(SALU_CYCLE_1)
	v_mov_b32_e32 v146, s14
	v_cndmask_b32_e64 v145, 0, 1, vcc_lo
.LBB317_529:
	s_or_b32 exec_lo, exec_lo, s22
.LBB317_530:
	s_delay_alu instid0(SALU_CYCLE_1) | instskip(SKIP_3) | instid1(VALU_DEP_2)
	s_or_b32 exec_lo, exec_lo, s21
	v_dual_mov_b32 v148, v30 :: v_dual_add_nc_u32 v57, 10, v64
	v_mov_b32_e32 v147, v29
	s_mov_b32 s21, exec_lo
	v_cmpx_gt_u32_e64 s20, v57
	s_cbranch_execz .LBB317_541
; %bb.531:
	v_cmp_ne_u32_e32 vcc_lo, 1, v63
	s_cbranch_vccnz .LBB317_538
; %bb.532:
	v_mad_u64_u32 v[57:58], null, v29, s8, s[10:11]
	s_waitcnt lgkmcnt(0)
	v_mul_lo_u32 v61, v29, s9
	v_mul_lo_u32 v62, v30, s8
	v_mad_u64_u32 v[59:60], null, v27, s8, s[10:11]
	v_mul_lo_u32 v65, v27, s9
	v_mul_lo_u32 v66, v28, s8
	v_mov_b32_e32 v147, 1
	v_mov_b32_e32 v148, 0
	s_mov_b32 s22, exec_lo
	v_add3_u32 v58, v62, v58, v61
	s_delay_alu instid0(VALU_DEP_4)
	v_add3_u32 v60, v66, v60, v65
	s_clause 0x1
	global_load_u8 v61, v[57:58], off
	global_load_u8 v62, v[59:60], off
	s_waitcnt vmcnt(0)
	v_cmpx_eq_u16_e64 v61, v62
	s_cbranch_execz .LBB317_540
; %bb.533:
	s_mov_b64 s[14:15], 1
	s_mov_b32 s23, 0
                                        ; implicit-def: $sgpr24
	s_set_inst_prefetch_distance 0x1
	s_branch .LBB317_536
	.p2align	6
.LBB317_534:                            ;   in Loop: Header=BB317_536 Depth=1
	v_add_co_u32 v61, vcc_lo, v57, s14
	v_add_co_ci_u32_e32 v62, vcc_lo, s15, v58, vcc_lo
	v_add_co_u32 v65, vcc_lo, v59, s14
	v_add_co_ci_u32_e32 v66, vcc_lo, s15, v60, vcc_lo
	s_add_u32 s18, s14, 1
	s_clause 0x1
	global_load_u8 v61, v[61:62], off
	global_load_u8 v62, v[65:66], off
	s_addc_u32 s19, s15, 0
	s_and_not1_b32 s24, s24, exec_lo
	s_waitcnt vmcnt(0)
	v_cmp_ne_u16_e32 vcc_lo, v61, v62
	s_and_b32 s25, vcc_lo, exec_lo
	s_delay_alu instid0(SALU_CYCLE_1)
	s_or_b32 s24, s24, s25
.LBB317_535:                            ;   in Loop: Header=BB317_536 Depth=1
	v_dual_mov_b32 v62, s15 :: v_dual_mov_b32 v61, s14
	s_and_b32 s25, exec_lo, s24
	s_mov_b64 s[14:15], s[18:19]
	s_or_b32 s23, s25, s23
	s_delay_alu instid0(SALU_CYCLE_1)
	s_and_not1_b32 exec_lo, exec_lo, s23
	s_cbranch_execz .LBB317_539
.LBB317_536:                            ; =>This Inner Loop Header: Depth=1
	s_or_b32 s24, s24, exec_lo
	s_cmp_eq_u64 s[8:9], s[14:15]
	s_cbranch_scc0 .LBB317_534
; %bb.537:                              ;   in Loop: Header=BB317_536 Depth=1
	s_mov_b64 s[14:15], s[8:9]
                                        ; implicit-def: $sgpr18_sgpr19
	s_branch .LBB317_535
.LBB317_538:
	v_mov_b32_e32 v147, 0
	v_mov_b32_e32 v148, 0
	s_branch .LBB317_541
.LBB317_539:
	s_set_inst_prefetch_distance 0x2
	s_or_b32 exec_lo, exec_lo, s23
	v_cmp_gt_i64_e32 vcc_lo, s[8:9], v[61:62]
	s_mov_b32 s14, 0
	s_delay_alu instid0(SALU_CYCLE_1)
	v_mov_b32_e32 v148, s14
	v_cndmask_b32_e64 v147, 0, 1, vcc_lo
.LBB317_540:
	s_or_b32 exec_lo, exec_lo, s22
.LBB317_541:
	s_delay_alu instid0(SALU_CYCLE_1) | instskip(SKIP_3) | instid1(VALU_DEP_2)
	s_or_b32 exec_lo, exec_lo, s21
	v_dual_mov_b32 v150, v28 :: v_dual_add_nc_u32 v57, 9, v64
	v_mov_b32_e32 v149, v27
	s_mov_b32 s21, exec_lo
	v_cmpx_gt_u32_e64 s20, v57
	s_cbranch_execz .LBB317_552
; %bb.542:
	v_cmp_ne_u32_e32 vcc_lo, 1, v63
	s_cbranch_vccnz .LBB317_549
; %bb.543:
	v_mad_u64_u32 v[57:58], null, v27, s8, s[10:11]
	s_waitcnt lgkmcnt(0)
	v_mul_lo_u32 v61, v27, s9
	v_mul_lo_u32 v62, v28, s8
	v_mad_u64_u32 v[59:60], null, v25, s8, s[10:11]
	v_mul_lo_u32 v65, v25, s9
	v_mul_lo_u32 v66, v26, s8
	v_mov_b32_e32 v149, 1
	v_mov_b32_e32 v150, 0
	s_mov_b32 s22, exec_lo
	v_add3_u32 v58, v62, v58, v61
	s_delay_alu instid0(VALU_DEP_4)
	v_add3_u32 v60, v66, v60, v65
	s_clause 0x1
	global_load_u8 v61, v[57:58], off
	global_load_u8 v62, v[59:60], off
	s_waitcnt vmcnt(0)
	v_cmpx_eq_u16_e64 v61, v62
	s_cbranch_execz .LBB317_551
; %bb.544:
	s_mov_b64 s[14:15], 1
	s_mov_b32 s23, 0
                                        ; implicit-def: $sgpr24
	s_set_inst_prefetch_distance 0x1
	s_branch .LBB317_547
	.p2align	6
.LBB317_545:                            ;   in Loop: Header=BB317_547 Depth=1
	v_add_co_u32 v61, vcc_lo, v57, s14
	v_add_co_ci_u32_e32 v62, vcc_lo, s15, v58, vcc_lo
	v_add_co_u32 v65, vcc_lo, v59, s14
	v_add_co_ci_u32_e32 v66, vcc_lo, s15, v60, vcc_lo
	s_add_u32 s18, s14, 1
	s_clause 0x1
	global_load_u8 v61, v[61:62], off
	global_load_u8 v62, v[65:66], off
	s_addc_u32 s19, s15, 0
	s_and_not1_b32 s24, s24, exec_lo
	s_waitcnt vmcnt(0)
	v_cmp_ne_u16_e32 vcc_lo, v61, v62
	s_and_b32 s25, vcc_lo, exec_lo
	s_delay_alu instid0(SALU_CYCLE_1)
	s_or_b32 s24, s24, s25
.LBB317_546:                            ;   in Loop: Header=BB317_547 Depth=1
	v_dual_mov_b32 v62, s15 :: v_dual_mov_b32 v61, s14
	s_and_b32 s25, exec_lo, s24
	s_mov_b64 s[14:15], s[18:19]
	s_or_b32 s23, s25, s23
	s_delay_alu instid0(SALU_CYCLE_1)
	s_and_not1_b32 exec_lo, exec_lo, s23
	s_cbranch_execz .LBB317_550
.LBB317_547:                            ; =>This Inner Loop Header: Depth=1
	s_or_b32 s24, s24, exec_lo
	s_cmp_eq_u64 s[8:9], s[14:15]
	s_cbranch_scc0 .LBB317_545
; %bb.548:                              ;   in Loop: Header=BB317_547 Depth=1
	s_mov_b64 s[14:15], s[8:9]
                                        ; implicit-def: $sgpr18_sgpr19
	s_branch .LBB317_546
.LBB317_549:
	v_mov_b32_e32 v149, 0
	v_mov_b32_e32 v150, 0
	s_branch .LBB317_552
.LBB317_550:
	s_set_inst_prefetch_distance 0x2
	s_or_b32 exec_lo, exec_lo, s23
	v_cmp_gt_i64_e32 vcc_lo, s[8:9], v[61:62]
	s_mov_b32 s14, 0
	s_delay_alu instid0(SALU_CYCLE_1)
	v_mov_b32_e32 v150, s14
	v_cndmask_b32_e64 v149, 0, 1, vcc_lo
.LBB317_551:
	s_or_b32 exec_lo, exec_lo, s22
.LBB317_552:
	s_delay_alu instid0(SALU_CYCLE_1) | instskip(SKIP_3) | instid1(VALU_DEP_2)
	s_or_b32 exec_lo, exec_lo, s21
	v_dual_mov_b32 v152, v26 :: v_dual_add_nc_u32 v57, 8, v64
	v_mov_b32_e32 v151, v25
	s_mov_b32 s21, exec_lo
	v_cmpx_gt_u32_e64 s20, v57
	s_cbranch_execz .LBB317_563
; %bb.553:
	v_cmp_ne_u32_e32 vcc_lo, 1, v63
	s_cbranch_vccnz .LBB317_560
; %bb.554:
	v_mad_u64_u32 v[57:58], null, v25, s8, s[10:11]
	s_waitcnt lgkmcnt(0)
	v_mul_lo_u32 v61, v25, s9
	v_mul_lo_u32 v62, v26, s8
	v_mad_u64_u32 v[59:60], null, v23, s8, s[10:11]
	v_mul_lo_u32 v65, v23, s9
	v_mul_lo_u32 v66, v24, s8
	v_mov_b32_e32 v151, 1
	v_mov_b32_e32 v152, 0
	s_mov_b32 s22, exec_lo
	v_add3_u32 v58, v62, v58, v61
	s_delay_alu instid0(VALU_DEP_4)
	v_add3_u32 v60, v66, v60, v65
	s_clause 0x1
	global_load_u8 v61, v[57:58], off
	global_load_u8 v62, v[59:60], off
	s_waitcnt vmcnt(0)
	v_cmpx_eq_u16_e64 v61, v62
	s_cbranch_execz .LBB317_562
; %bb.555:
	s_mov_b64 s[14:15], 1
	s_mov_b32 s23, 0
                                        ; implicit-def: $sgpr24
	s_set_inst_prefetch_distance 0x1
	s_branch .LBB317_558
	.p2align	6
.LBB317_556:                            ;   in Loop: Header=BB317_558 Depth=1
	v_add_co_u32 v61, vcc_lo, v57, s14
	v_add_co_ci_u32_e32 v62, vcc_lo, s15, v58, vcc_lo
	v_add_co_u32 v65, vcc_lo, v59, s14
	v_add_co_ci_u32_e32 v66, vcc_lo, s15, v60, vcc_lo
	s_add_u32 s18, s14, 1
	s_clause 0x1
	global_load_u8 v61, v[61:62], off
	global_load_u8 v62, v[65:66], off
	s_addc_u32 s19, s15, 0
	s_and_not1_b32 s24, s24, exec_lo
	s_waitcnt vmcnt(0)
	v_cmp_ne_u16_e32 vcc_lo, v61, v62
	s_and_b32 s25, vcc_lo, exec_lo
	s_delay_alu instid0(SALU_CYCLE_1)
	s_or_b32 s24, s24, s25
.LBB317_557:                            ;   in Loop: Header=BB317_558 Depth=1
	v_dual_mov_b32 v62, s15 :: v_dual_mov_b32 v61, s14
	s_and_b32 s25, exec_lo, s24
	s_mov_b64 s[14:15], s[18:19]
	s_or_b32 s23, s25, s23
	s_delay_alu instid0(SALU_CYCLE_1)
	s_and_not1_b32 exec_lo, exec_lo, s23
	s_cbranch_execz .LBB317_561
.LBB317_558:                            ; =>This Inner Loop Header: Depth=1
	s_or_b32 s24, s24, exec_lo
	s_cmp_eq_u64 s[8:9], s[14:15]
	s_cbranch_scc0 .LBB317_556
; %bb.559:                              ;   in Loop: Header=BB317_558 Depth=1
	s_mov_b64 s[14:15], s[8:9]
                                        ; implicit-def: $sgpr18_sgpr19
	s_branch .LBB317_557
.LBB317_560:
	v_mov_b32_e32 v151, 0
	v_mov_b32_e32 v152, 0
	s_branch .LBB317_563
.LBB317_561:
	s_set_inst_prefetch_distance 0x2
	s_or_b32 exec_lo, exec_lo, s23
	v_cmp_gt_i64_e32 vcc_lo, s[8:9], v[61:62]
	s_mov_b32 s14, 0
	s_delay_alu instid0(SALU_CYCLE_1)
	v_mov_b32_e32 v152, s14
	v_cndmask_b32_e64 v151, 0, 1, vcc_lo
.LBB317_562:
	s_or_b32 exec_lo, exec_lo, s22
.LBB317_563:
	s_delay_alu instid0(SALU_CYCLE_1) | instskip(SKIP_3) | instid1(VALU_DEP_2)
	s_or_b32 exec_lo, exec_lo, s21
	v_dual_mov_b32 v154, v24 :: v_dual_add_nc_u32 v57, 7, v64
	v_mov_b32_e32 v153, v23
	s_mov_b32 s21, exec_lo
	v_cmpx_gt_u32_e64 s20, v57
	s_cbranch_execz .LBB317_574
; %bb.564:
	v_cmp_ne_u32_e32 vcc_lo, 1, v63
	s_cbranch_vccnz .LBB317_571
; %bb.565:
	v_mad_u64_u32 v[57:58], null, v23, s8, s[10:11]
	s_waitcnt lgkmcnt(0)
	v_mul_lo_u32 v61, v23, s9
	v_mul_lo_u32 v62, v24, s8
	v_mad_u64_u32 v[59:60], null, v21, s8, s[10:11]
	v_mul_lo_u32 v65, v21, s9
	v_mul_lo_u32 v66, v22, s8
	v_mov_b32_e32 v153, 1
	v_mov_b32_e32 v154, 0
	s_mov_b32 s22, exec_lo
	v_add3_u32 v58, v62, v58, v61
	s_delay_alu instid0(VALU_DEP_4)
	v_add3_u32 v60, v66, v60, v65
	s_clause 0x1
	global_load_u8 v61, v[57:58], off
	global_load_u8 v62, v[59:60], off
	s_waitcnt vmcnt(0)
	v_cmpx_eq_u16_e64 v61, v62
	s_cbranch_execz .LBB317_573
; %bb.566:
	s_mov_b64 s[14:15], 1
	s_mov_b32 s23, 0
                                        ; implicit-def: $sgpr24
	s_set_inst_prefetch_distance 0x1
	s_branch .LBB317_569
	.p2align	6
.LBB317_567:                            ;   in Loop: Header=BB317_569 Depth=1
	v_add_co_u32 v61, vcc_lo, v57, s14
	v_add_co_ci_u32_e32 v62, vcc_lo, s15, v58, vcc_lo
	v_add_co_u32 v65, vcc_lo, v59, s14
	v_add_co_ci_u32_e32 v66, vcc_lo, s15, v60, vcc_lo
	s_add_u32 s18, s14, 1
	s_clause 0x1
	global_load_u8 v61, v[61:62], off
	global_load_u8 v62, v[65:66], off
	s_addc_u32 s19, s15, 0
	s_and_not1_b32 s24, s24, exec_lo
	s_waitcnt vmcnt(0)
	v_cmp_ne_u16_e32 vcc_lo, v61, v62
	s_and_b32 s25, vcc_lo, exec_lo
	s_delay_alu instid0(SALU_CYCLE_1)
	s_or_b32 s24, s24, s25
.LBB317_568:                            ;   in Loop: Header=BB317_569 Depth=1
	v_dual_mov_b32 v62, s15 :: v_dual_mov_b32 v61, s14
	s_and_b32 s25, exec_lo, s24
	s_mov_b64 s[14:15], s[18:19]
	s_or_b32 s23, s25, s23
	s_delay_alu instid0(SALU_CYCLE_1)
	s_and_not1_b32 exec_lo, exec_lo, s23
	s_cbranch_execz .LBB317_572
.LBB317_569:                            ; =>This Inner Loop Header: Depth=1
	s_or_b32 s24, s24, exec_lo
	s_cmp_eq_u64 s[8:9], s[14:15]
	s_cbranch_scc0 .LBB317_567
; %bb.570:                              ;   in Loop: Header=BB317_569 Depth=1
	s_mov_b64 s[14:15], s[8:9]
                                        ; implicit-def: $sgpr18_sgpr19
	s_branch .LBB317_568
.LBB317_571:
	v_mov_b32_e32 v153, 0
	v_mov_b32_e32 v154, 0
	s_branch .LBB317_574
.LBB317_572:
	s_set_inst_prefetch_distance 0x2
	s_or_b32 exec_lo, exec_lo, s23
	v_cmp_gt_i64_e32 vcc_lo, s[8:9], v[61:62]
	s_mov_b32 s14, 0
	s_delay_alu instid0(SALU_CYCLE_1)
	v_mov_b32_e32 v154, s14
	v_cndmask_b32_e64 v153, 0, 1, vcc_lo
.LBB317_573:
	s_or_b32 exec_lo, exec_lo, s22
.LBB317_574:
	s_delay_alu instid0(SALU_CYCLE_1) | instskip(SKIP_3) | instid1(VALU_DEP_2)
	s_or_b32 exec_lo, exec_lo, s21
	v_dual_mov_b32 v156, v22 :: v_dual_add_nc_u32 v57, 6, v64
	v_mov_b32_e32 v155, v21
	s_mov_b32 s21, exec_lo
	v_cmpx_gt_u32_e64 s20, v57
	s_cbranch_execz .LBB317_585
; %bb.575:
	v_cmp_ne_u32_e32 vcc_lo, 1, v63
	s_cbranch_vccnz .LBB317_582
; %bb.576:
	v_mad_u64_u32 v[57:58], null, v21, s8, s[10:11]
	s_waitcnt lgkmcnt(0)
	v_mul_lo_u32 v61, v21, s9
	v_mul_lo_u32 v62, v22, s8
	v_mad_u64_u32 v[59:60], null, v19, s8, s[10:11]
	v_mul_lo_u32 v65, v19, s9
	v_mul_lo_u32 v66, v20, s8
	v_mov_b32_e32 v155, 1
	v_mov_b32_e32 v156, 0
	s_mov_b32 s22, exec_lo
	v_add3_u32 v58, v62, v58, v61
	s_delay_alu instid0(VALU_DEP_4)
	v_add3_u32 v60, v66, v60, v65
	s_clause 0x1
	global_load_u8 v61, v[57:58], off
	global_load_u8 v62, v[59:60], off
	s_waitcnt vmcnt(0)
	v_cmpx_eq_u16_e64 v61, v62
	s_cbranch_execz .LBB317_584
; %bb.577:
	s_mov_b64 s[14:15], 1
	s_mov_b32 s23, 0
                                        ; implicit-def: $sgpr24
	s_set_inst_prefetch_distance 0x1
	s_branch .LBB317_580
	.p2align	6
.LBB317_578:                            ;   in Loop: Header=BB317_580 Depth=1
	v_add_co_u32 v61, vcc_lo, v57, s14
	v_add_co_ci_u32_e32 v62, vcc_lo, s15, v58, vcc_lo
	v_add_co_u32 v65, vcc_lo, v59, s14
	v_add_co_ci_u32_e32 v66, vcc_lo, s15, v60, vcc_lo
	s_add_u32 s18, s14, 1
	s_clause 0x1
	global_load_u8 v61, v[61:62], off
	global_load_u8 v62, v[65:66], off
	s_addc_u32 s19, s15, 0
	s_and_not1_b32 s24, s24, exec_lo
	s_waitcnt vmcnt(0)
	v_cmp_ne_u16_e32 vcc_lo, v61, v62
	s_and_b32 s25, vcc_lo, exec_lo
	s_delay_alu instid0(SALU_CYCLE_1)
	s_or_b32 s24, s24, s25
.LBB317_579:                            ;   in Loop: Header=BB317_580 Depth=1
	v_dual_mov_b32 v62, s15 :: v_dual_mov_b32 v61, s14
	s_and_b32 s25, exec_lo, s24
	s_mov_b64 s[14:15], s[18:19]
	s_or_b32 s23, s25, s23
	s_delay_alu instid0(SALU_CYCLE_1)
	s_and_not1_b32 exec_lo, exec_lo, s23
	s_cbranch_execz .LBB317_583
.LBB317_580:                            ; =>This Inner Loop Header: Depth=1
	s_or_b32 s24, s24, exec_lo
	s_cmp_eq_u64 s[8:9], s[14:15]
	s_cbranch_scc0 .LBB317_578
; %bb.581:                              ;   in Loop: Header=BB317_580 Depth=1
	s_mov_b64 s[14:15], s[8:9]
                                        ; implicit-def: $sgpr18_sgpr19
	s_branch .LBB317_579
.LBB317_582:
	v_mov_b32_e32 v155, 0
	v_mov_b32_e32 v156, 0
	s_branch .LBB317_585
.LBB317_583:
	s_set_inst_prefetch_distance 0x2
	s_or_b32 exec_lo, exec_lo, s23
	v_cmp_gt_i64_e32 vcc_lo, s[8:9], v[61:62]
	s_mov_b32 s14, 0
	s_delay_alu instid0(SALU_CYCLE_1)
	v_mov_b32_e32 v156, s14
	v_cndmask_b32_e64 v155, 0, 1, vcc_lo
.LBB317_584:
	s_or_b32 exec_lo, exec_lo, s22
.LBB317_585:
	s_delay_alu instid0(SALU_CYCLE_1) | instskip(SKIP_3) | instid1(VALU_DEP_2)
	s_or_b32 exec_lo, exec_lo, s21
	v_dual_mov_b32 v158, v20 :: v_dual_add_nc_u32 v57, 5, v64
	v_mov_b32_e32 v157, v19
	s_mov_b32 s21, exec_lo
	v_cmpx_gt_u32_e64 s20, v57
	s_cbranch_execz .LBB317_596
; %bb.586:
	v_cmp_ne_u32_e32 vcc_lo, 1, v63
	s_cbranch_vccnz .LBB317_593
; %bb.587:
	v_mad_u64_u32 v[57:58], null, v19, s8, s[10:11]
	s_waitcnt lgkmcnt(0)
	v_mul_lo_u32 v61, v19, s9
	v_mul_lo_u32 v62, v20, s8
	v_mad_u64_u32 v[59:60], null, v17, s8, s[10:11]
	v_mul_lo_u32 v65, v17, s9
	v_mul_lo_u32 v66, v18, s8
	v_mov_b32_e32 v157, 1
	v_mov_b32_e32 v158, 0
	s_mov_b32 s22, exec_lo
	v_add3_u32 v58, v62, v58, v61
	s_delay_alu instid0(VALU_DEP_4)
	v_add3_u32 v60, v66, v60, v65
	s_clause 0x1
	global_load_u8 v61, v[57:58], off
	global_load_u8 v62, v[59:60], off
	s_waitcnt vmcnt(0)
	v_cmpx_eq_u16_e64 v61, v62
	s_cbranch_execz .LBB317_595
; %bb.588:
	s_mov_b64 s[14:15], 1
	s_mov_b32 s23, 0
                                        ; implicit-def: $sgpr24
	s_set_inst_prefetch_distance 0x1
	s_branch .LBB317_591
	.p2align	6
.LBB317_589:                            ;   in Loop: Header=BB317_591 Depth=1
	v_add_co_u32 v61, vcc_lo, v57, s14
	v_add_co_ci_u32_e32 v62, vcc_lo, s15, v58, vcc_lo
	v_add_co_u32 v65, vcc_lo, v59, s14
	v_add_co_ci_u32_e32 v66, vcc_lo, s15, v60, vcc_lo
	s_add_u32 s18, s14, 1
	s_clause 0x1
	global_load_u8 v61, v[61:62], off
	global_load_u8 v62, v[65:66], off
	s_addc_u32 s19, s15, 0
	s_and_not1_b32 s24, s24, exec_lo
	s_waitcnt vmcnt(0)
	v_cmp_ne_u16_e32 vcc_lo, v61, v62
	s_and_b32 s25, vcc_lo, exec_lo
	s_delay_alu instid0(SALU_CYCLE_1)
	s_or_b32 s24, s24, s25
.LBB317_590:                            ;   in Loop: Header=BB317_591 Depth=1
	v_dual_mov_b32 v62, s15 :: v_dual_mov_b32 v61, s14
	s_and_b32 s25, exec_lo, s24
	s_mov_b64 s[14:15], s[18:19]
	s_or_b32 s23, s25, s23
	s_delay_alu instid0(SALU_CYCLE_1)
	s_and_not1_b32 exec_lo, exec_lo, s23
	s_cbranch_execz .LBB317_594
.LBB317_591:                            ; =>This Inner Loop Header: Depth=1
	s_or_b32 s24, s24, exec_lo
	s_cmp_eq_u64 s[8:9], s[14:15]
	s_cbranch_scc0 .LBB317_589
; %bb.592:                              ;   in Loop: Header=BB317_591 Depth=1
	s_mov_b64 s[14:15], s[8:9]
                                        ; implicit-def: $sgpr18_sgpr19
	s_branch .LBB317_590
.LBB317_593:
	v_mov_b32_e32 v157, 0
	v_mov_b32_e32 v158, 0
	s_branch .LBB317_596
.LBB317_594:
	s_set_inst_prefetch_distance 0x2
	s_or_b32 exec_lo, exec_lo, s23
	v_cmp_gt_i64_e32 vcc_lo, s[8:9], v[61:62]
	s_mov_b32 s14, 0
	s_delay_alu instid0(SALU_CYCLE_1)
	v_mov_b32_e32 v158, s14
	v_cndmask_b32_e64 v157, 0, 1, vcc_lo
.LBB317_595:
	s_or_b32 exec_lo, exec_lo, s22
.LBB317_596:
	s_delay_alu instid0(SALU_CYCLE_1) | instskip(SKIP_3) | instid1(VALU_DEP_2)
	s_or_b32 exec_lo, exec_lo, s21
	v_dual_mov_b32 v160, v18 :: v_dual_add_nc_u32 v57, 4, v64
	v_mov_b32_e32 v159, v17
	s_mov_b32 s21, exec_lo
	v_cmpx_gt_u32_e64 s20, v57
	s_cbranch_execz .LBB317_607
; %bb.597:
	v_cmp_ne_u32_e32 vcc_lo, 1, v63
	s_cbranch_vccnz .LBB317_604
; %bb.598:
	v_mad_u64_u32 v[57:58], null, v17, s8, s[10:11]
	s_waitcnt lgkmcnt(0)
	v_mul_lo_u32 v61, v17, s9
	v_mul_lo_u32 v62, v18, s8
	v_mad_u64_u32 v[59:60], null, v15, s8, s[10:11]
	v_mul_lo_u32 v65, v15, s9
	v_mul_lo_u32 v66, v16, s8
	v_mov_b32_e32 v159, 1
	v_mov_b32_e32 v160, 0
	s_mov_b32 s22, exec_lo
	v_add3_u32 v58, v62, v58, v61
	s_delay_alu instid0(VALU_DEP_4)
	v_add3_u32 v60, v66, v60, v65
	s_clause 0x1
	global_load_u8 v61, v[57:58], off
	global_load_u8 v62, v[59:60], off
	s_waitcnt vmcnt(0)
	v_cmpx_eq_u16_e64 v61, v62
	s_cbranch_execz .LBB317_606
; %bb.599:
	s_mov_b64 s[14:15], 1
	s_mov_b32 s23, 0
                                        ; implicit-def: $sgpr24
	s_set_inst_prefetch_distance 0x1
	s_branch .LBB317_602
	.p2align	6
.LBB317_600:                            ;   in Loop: Header=BB317_602 Depth=1
	v_add_co_u32 v61, vcc_lo, v57, s14
	v_add_co_ci_u32_e32 v62, vcc_lo, s15, v58, vcc_lo
	v_add_co_u32 v65, vcc_lo, v59, s14
	v_add_co_ci_u32_e32 v66, vcc_lo, s15, v60, vcc_lo
	s_add_u32 s18, s14, 1
	s_clause 0x1
	global_load_u8 v61, v[61:62], off
	global_load_u8 v62, v[65:66], off
	s_addc_u32 s19, s15, 0
	s_and_not1_b32 s24, s24, exec_lo
	s_waitcnt vmcnt(0)
	v_cmp_ne_u16_e32 vcc_lo, v61, v62
	s_and_b32 s25, vcc_lo, exec_lo
	s_delay_alu instid0(SALU_CYCLE_1)
	s_or_b32 s24, s24, s25
.LBB317_601:                            ;   in Loop: Header=BB317_602 Depth=1
	v_dual_mov_b32 v62, s15 :: v_dual_mov_b32 v61, s14
	s_and_b32 s25, exec_lo, s24
	s_mov_b64 s[14:15], s[18:19]
	s_or_b32 s23, s25, s23
	s_delay_alu instid0(SALU_CYCLE_1)
	s_and_not1_b32 exec_lo, exec_lo, s23
	s_cbranch_execz .LBB317_605
.LBB317_602:                            ; =>This Inner Loop Header: Depth=1
	s_or_b32 s24, s24, exec_lo
	s_cmp_eq_u64 s[8:9], s[14:15]
	s_cbranch_scc0 .LBB317_600
; %bb.603:                              ;   in Loop: Header=BB317_602 Depth=1
	s_mov_b64 s[14:15], s[8:9]
                                        ; implicit-def: $sgpr18_sgpr19
	s_branch .LBB317_601
.LBB317_604:
	v_mov_b32_e32 v159, 0
	v_mov_b32_e32 v160, 0
	s_branch .LBB317_607
.LBB317_605:
	s_set_inst_prefetch_distance 0x2
	s_or_b32 exec_lo, exec_lo, s23
	v_cmp_gt_i64_e32 vcc_lo, s[8:9], v[61:62]
	s_mov_b32 s14, 0
	s_delay_alu instid0(SALU_CYCLE_1)
	v_mov_b32_e32 v160, s14
	v_cndmask_b32_e64 v159, 0, 1, vcc_lo
.LBB317_606:
	s_or_b32 exec_lo, exec_lo, s22
.LBB317_607:
	s_delay_alu instid0(SALU_CYCLE_1) | instskip(SKIP_3) | instid1(VALU_DEP_2)
	s_or_b32 exec_lo, exec_lo, s21
	v_dual_mov_b32 v162, v16 :: v_dual_add_nc_u32 v57, 3, v64
	v_mov_b32_e32 v161, v15
	s_mov_b32 s21, exec_lo
	v_cmpx_gt_u32_e64 s20, v57
	s_cbranch_execz .LBB317_618
; %bb.608:
	v_cmp_ne_u32_e32 vcc_lo, 1, v63
	s_cbranch_vccnz .LBB317_615
; %bb.609:
	v_mad_u64_u32 v[57:58], null, v15, s8, s[10:11]
	s_waitcnt lgkmcnt(0)
	v_mul_lo_u32 v61, v15, s9
	v_mul_lo_u32 v62, v16, s8
	v_mad_u64_u32 v[59:60], null, v13, s8, s[10:11]
	v_mul_lo_u32 v65, v13, s9
	v_mul_lo_u32 v66, v14, s8
	v_mov_b32_e32 v161, 1
	v_mov_b32_e32 v162, 0
	s_mov_b32 s22, exec_lo
	v_add3_u32 v58, v62, v58, v61
	s_delay_alu instid0(VALU_DEP_4)
	v_add3_u32 v60, v66, v60, v65
	s_clause 0x1
	global_load_u8 v61, v[57:58], off
	global_load_u8 v62, v[59:60], off
	s_waitcnt vmcnt(0)
	v_cmpx_eq_u16_e64 v61, v62
	s_cbranch_execz .LBB317_617
; %bb.610:
	s_mov_b64 s[14:15], 1
	s_mov_b32 s23, 0
                                        ; implicit-def: $sgpr24
	s_set_inst_prefetch_distance 0x1
	s_branch .LBB317_613
	.p2align	6
.LBB317_611:                            ;   in Loop: Header=BB317_613 Depth=1
	v_add_co_u32 v61, vcc_lo, v57, s14
	v_add_co_ci_u32_e32 v62, vcc_lo, s15, v58, vcc_lo
	v_add_co_u32 v65, vcc_lo, v59, s14
	v_add_co_ci_u32_e32 v66, vcc_lo, s15, v60, vcc_lo
	s_add_u32 s18, s14, 1
	s_clause 0x1
	global_load_u8 v61, v[61:62], off
	global_load_u8 v62, v[65:66], off
	s_addc_u32 s19, s15, 0
	s_and_not1_b32 s24, s24, exec_lo
	s_waitcnt vmcnt(0)
	v_cmp_ne_u16_e32 vcc_lo, v61, v62
	s_and_b32 s25, vcc_lo, exec_lo
	s_delay_alu instid0(SALU_CYCLE_1)
	s_or_b32 s24, s24, s25
.LBB317_612:                            ;   in Loop: Header=BB317_613 Depth=1
	v_dual_mov_b32 v62, s15 :: v_dual_mov_b32 v61, s14
	s_and_b32 s25, exec_lo, s24
	s_mov_b64 s[14:15], s[18:19]
	s_or_b32 s23, s25, s23
	s_delay_alu instid0(SALU_CYCLE_1)
	s_and_not1_b32 exec_lo, exec_lo, s23
	s_cbranch_execz .LBB317_616
.LBB317_613:                            ; =>This Inner Loop Header: Depth=1
	s_or_b32 s24, s24, exec_lo
	s_cmp_eq_u64 s[8:9], s[14:15]
	s_cbranch_scc0 .LBB317_611
; %bb.614:                              ;   in Loop: Header=BB317_613 Depth=1
	s_mov_b64 s[14:15], s[8:9]
                                        ; implicit-def: $sgpr18_sgpr19
	s_branch .LBB317_612
.LBB317_615:
	v_mov_b32_e32 v161, 0
	v_mov_b32_e32 v162, 0
	s_branch .LBB317_618
.LBB317_616:
	s_set_inst_prefetch_distance 0x2
	s_or_b32 exec_lo, exec_lo, s23
	v_cmp_gt_i64_e32 vcc_lo, s[8:9], v[61:62]
	s_mov_b32 s14, 0
	s_delay_alu instid0(SALU_CYCLE_1)
	v_mov_b32_e32 v162, s14
	v_cndmask_b32_e64 v161, 0, 1, vcc_lo
.LBB317_617:
	s_or_b32 exec_lo, exec_lo, s22
.LBB317_618:
	s_delay_alu instid0(SALU_CYCLE_1) | instskip(SKIP_3) | instid1(VALU_DEP_2)
	s_or_b32 exec_lo, exec_lo, s21
	v_dual_mov_b32 v164, v14 :: v_dual_add_nc_u32 v57, 2, v64
	v_mov_b32_e32 v163, v13
	s_mov_b32 s21, exec_lo
	v_cmpx_gt_u32_e64 s20, v57
	s_cbranch_execz .LBB317_629
; %bb.619:
	v_cmp_ne_u32_e32 vcc_lo, 1, v63
	s_cbranch_vccnz .LBB317_626
; %bb.620:
	v_mad_u64_u32 v[57:58], null, v13, s8, s[10:11]
	s_waitcnt lgkmcnt(0)
	v_mul_lo_u32 v61, v13, s9
	v_mul_lo_u32 v62, v14, s8
	v_mad_u64_u32 v[59:60], null, v3, s8, s[10:11]
	v_mul_lo_u32 v65, v3, s9
	v_mul_lo_u32 v66, v4, s8
	v_mov_b32_e32 v163, 1
	v_mov_b32_e32 v164, 0
	s_mov_b32 s22, exec_lo
	v_add3_u32 v58, v62, v58, v61
	s_delay_alu instid0(VALU_DEP_4)
	v_add3_u32 v60, v66, v60, v65
	s_clause 0x1
	global_load_u8 v61, v[57:58], off
	global_load_u8 v62, v[59:60], off
	s_waitcnt vmcnt(0)
	v_cmpx_eq_u16_e64 v61, v62
	s_cbranch_execz .LBB317_628
; %bb.621:
	s_mov_b64 s[14:15], 1
	s_mov_b32 s23, 0
                                        ; implicit-def: $sgpr24
	s_set_inst_prefetch_distance 0x1
	s_branch .LBB317_624
	.p2align	6
.LBB317_622:                            ;   in Loop: Header=BB317_624 Depth=1
	v_add_co_u32 v61, vcc_lo, v57, s14
	v_add_co_ci_u32_e32 v62, vcc_lo, s15, v58, vcc_lo
	v_add_co_u32 v65, vcc_lo, v59, s14
	v_add_co_ci_u32_e32 v66, vcc_lo, s15, v60, vcc_lo
	s_add_u32 s18, s14, 1
	s_clause 0x1
	global_load_u8 v61, v[61:62], off
	global_load_u8 v62, v[65:66], off
	s_addc_u32 s19, s15, 0
	s_and_not1_b32 s24, s24, exec_lo
	s_waitcnt vmcnt(0)
	v_cmp_ne_u16_e32 vcc_lo, v61, v62
	s_and_b32 s25, vcc_lo, exec_lo
	s_delay_alu instid0(SALU_CYCLE_1)
	s_or_b32 s24, s24, s25
.LBB317_623:                            ;   in Loop: Header=BB317_624 Depth=1
	v_dual_mov_b32 v62, s15 :: v_dual_mov_b32 v61, s14
	s_and_b32 s25, exec_lo, s24
	s_mov_b64 s[14:15], s[18:19]
	s_or_b32 s23, s25, s23
	s_delay_alu instid0(SALU_CYCLE_1)
	s_and_not1_b32 exec_lo, exec_lo, s23
	s_cbranch_execz .LBB317_627
.LBB317_624:                            ; =>This Inner Loop Header: Depth=1
	s_or_b32 s24, s24, exec_lo
	s_cmp_eq_u64 s[8:9], s[14:15]
	s_cbranch_scc0 .LBB317_622
; %bb.625:                              ;   in Loop: Header=BB317_624 Depth=1
	s_mov_b64 s[14:15], s[8:9]
                                        ; implicit-def: $sgpr18_sgpr19
	s_branch .LBB317_623
.LBB317_626:
	v_mov_b32_e32 v163, 0
	v_mov_b32_e32 v164, 0
	s_branch .LBB317_629
.LBB317_627:
	s_set_inst_prefetch_distance 0x2
	s_or_b32 exec_lo, exec_lo, s23
	v_cmp_gt_i64_e32 vcc_lo, s[8:9], v[61:62]
	s_mov_b32 s14, 0
	s_delay_alu instid0(SALU_CYCLE_1)
	v_mov_b32_e32 v164, s14
	v_cndmask_b32_e64 v163, 0, 1, vcc_lo
.LBB317_628:
	s_or_b32 exec_lo, exec_lo, s22
.LBB317_629:
	s_delay_alu instid0(SALU_CYCLE_1) | instskip(SKIP_3) | instid1(VALU_DEP_2)
	s_or_b32 exec_lo, exec_lo, s21
	v_dual_mov_b32 v166, v4 :: v_dual_add_nc_u32 v57, 1, v64
	v_mov_b32_e32 v165, v3
	s_mov_b32 s21, exec_lo
	v_cmpx_gt_u32_e64 s20, v57
	s_cbranch_execz .LBB317_640
; %bb.630:
	v_cmp_ne_u32_e32 vcc_lo, 1, v63
	s_cbranch_vccnz .LBB317_637
; %bb.631:
	v_mad_u64_u32 v[57:58], null, v3, s8, s[10:11]
	s_waitcnt lgkmcnt(0)
	v_mul_lo_u32 v61, v3, s9
	v_mul_lo_u32 v62, v4, s8
	v_mad_u64_u32 v[59:60], null, v1, s8, s[10:11]
	v_mul_lo_u32 v65, v1, s9
	v_mul_lo_u32 v66, v2, s8
	v_mov_b32_e32 v165, 1
	v_mov_b32_e32 v166, 0
	s_mov_b32 s22, exec_lo
	v_add3_u32 v58, v62, v58, v61
	s_delay_alu instid0(VALU_DEP_4)
	v_add3_u32 v60, v66, v60, v65
	s_clause 0x1
	global_load_u8 v61, v[57:58], off
	global_load_u8 v62, v[59:60], off
	s_waitcnt vmcnt(0)
	v_cmpx_eq_u16_e64 v61, v62
	s_cbranch_execz .LBB317_639
; %bb.632:
	s_mov_b64 s[14:15], 1
	s_mov_b32 s23, 0
                                        ; implicit-def: $sgpr24
	s_set_inst_prefetch_distance 0x1
	s_branch .LBB317_635
	.p2align	6
.LBB317_633:                            ;   in Loop: Header=BB317_635 Depth=1
	v_add_co_u32 v61, vcc_lo, v57, s14
	v_add_co_ci_u32_e32 v62, vcc_lo, s15, v58, vcc_lo
	v_add_co_u32 v65, vcc_lo, v59, s14
	v_add_co_ci_u32_e32 v66, vcc_lo, s15, v60, vcc_lo
	s_add_u32 s18, s14, 1
	s_clause 0x1
	global_load_u8 v61, v[61:62], off
	global_load_u8 v62, v[65:66], off
	s_addc_u32 s19, s15, 0
	s_and_not1_b32 s24, s24, exec_lo
	s_waitcnt vmcnt(0)
	v_cmp_ne_u16_e32 vcc_lo, v61, v62
	s_and_b32 s25, vcc_lo, exec_lo
	s_delay_alu instid0(SALU_CYCLE_1)
	s_or_b32 s24, s24, s25
.LBB317_634:                            ;   in Loop: Header=BB317_635 Depth=1
	v_dual_mov_b32 v62, s15 :: v_dual_mov_b32 v61, s14
	s_and_b32 s25, exec_lo, s24
	s_mov_b64 s[14:15], s[18:19]
	s_or_b32 s23, s25, s23
	s_delay_alu instid0(SALU_CYCLE_1)
	s_and_not1_b32 exec_lo, exec_lo, s23
	s_cbranch_execz .LBB317_638
.LBB317_635:                            ; =>This Inner Loop Header: Depth=1
	s_or_b32 s24, s24, exec_lo
	s_cmp_eq_u64 s[8:9], s[14:15]
	s_cbranch_scc0 .LBB317_633
; %bb.636:                              ;   in Loop: Header=BB317_635 Depth=1
	s_mov_b64 s[14:15], s[8:9]
                                        ; implicit-def: $sgpr18_sgpr19
	s_branch .LBB317_634
.LBB317_637:
	v_mov_b32_e32 v165, 0
	v_mov_b32_e32 v166, 0
	s_branch .LBB317_640
.LBB317_638:
	s_set_inst_prefetch_distance 0x2
	s_or_b32 exec_lo, exec_lo, s23
	v_cmp_gt_i64_e32 vcc_lo, s[8:9], v[61:62]
	s_mov_b32 s14, 0
	s_delay_alu instid0(SALU_CYCLE_1)
	v_mov_b32_e32 v166, s14
	v_cndmask_b32_e64 v165, 0, 1, vcc_lo
.LBB317_639:
	s_or_b32 exec_lo, exec_lo, s22
.LBB317_640:
	s_delay_alu instid0(SALU_CYCLE_1)
	s_or_b32 exec_lo, exec_lo, s21
	s_waitcnt lgkmcnt(0)
	v_dual_mov_b32 v58, s13 :: v_dual_mov_b32 v57, s12
	s_mov_b32 s12, exec_lo
	s_barrier
	buffer_gl0_inv
	v_cmpx_ne_u32_e32 0, v0
	s_cbranch_execz .LBB317_642
; %bb.641:
	v_add_nc_u32_e32 v57, -8, v195
	ds_load_b64 v[57:58], v57
.LBB317_642:
	s_or_b32 exec_lo, exec_lo, s12
	s_delay_alu instid0(SALU_CYCLE_1)
	s_mov_b32 s18, exec_lo
                                        ; implicit-def: $sgpr14
	v_cmpx_gt_u32_e64 s20, v64
	s_cbranch_execz .LBB317_654
; %bb.643:
	v_cmp_ne_u32_e32 vcc_lo, 1, v63
	s_cbranch_vccnz .LBB317_650
; %bb.644:
	v_mad_u64_u32 v[59:60], null, v1, s8, s[10:11]
	v_mul_lo_u32 v63, v1, s9
	v_mul_lo_u32 v64, v2, s8
	s_waitcnt lgkmcnt(0)
	v_mad_u64_u32 v[61:62], null, v57, s8, s[10:11]
	v_mul_lo_u32 v57, v57, s9
	v_mul_lo_u32 v58, v58, s8
	s_mov_b32 s12, -1
	s_mov_b32 s19, exec_lo
	s_delay_alu instid0(VALU_DEP_4) | instskip(NEXT) | instid1(VALU_DEP_2)
	v_add3_u32 v60, v64, v60, v63
	v_add3_u32 v62, v58, v62, v57
	s_clause 0x1
	global_load_u8 v57, v[59:60], off
	global_load_u8 v58, v[61:62], off
	s_waitcnt vmcnt(0)
	v_cmpx_eq_u16_e64 v57, v58
	s_cbranch_execz .LBB317_652
; %bb.645:
	s_mov_b64 s[12:13], 1
	s_mov_b32 s20, 0
                                        ; implicit-def: $sgpr21
	s_set_inst_prefetch_distance 0x1
	s_branch .LBB317_648
	.p2align	6
.LBB317_646:                            ;   in Loop: Header=BB317_648 Depth=1
	v_add_co_u32 v57, vcc_lo, v59, s12
	v_add_co_ci_u32_e32 v58, vcc_lo, s13, v60, vcc_lo
	v_add_co_u32 v63, vcc_lo, v61, s12
	v_add_co_ci_u32_e32 v64, vcc_lo, s13, v62, vcc_lo
	s_add_u32 s14, s12, 1
	s_clause 0x1
	global_load_u8 v57, v[57:58], off
	global_load_u8 v58, v[63:64], off
	s_addc_u32 s15, s13, 0
	s_and_not1_b32 s21, s21, exec_lo
	s_waitcnt vmcnt(0)
	v_cmp_ne_u16_e32 vcc_lo, v57, v58
	s_and_b32 s22, vcc_lo, exec_lo
	s_delay_alu instid0(SALU_CYCLE_1)
	s_or_b32 s21, s21, s22
.LBB317_647:                            ;   in Loop: Header=BB317_648 Depth=1
	v_dual_mov_b32 v58, s13 :: v_dual_mov_b32 v57, s12
	s_and_b32 s22, exec_lo, s21
	s_mov_b64 s[12:13], s[14:15]
	s_or_b32 s20, s22, s20
	s_delay_alu instid0(SALU_CYCLE_1)
	s_and_not1_b32 exec_lo, exec_lo, s20
	s_cbranch_execz .LBB317_651
.LBB317_648:                            ; =>This Inner Loop Header: Depth=1
	s_or_b32 s21, s21, exec_lo
	s_cmp_eq_u64 s[8:9], s[12:13]
	s_cbranch_scc0 .LBB317_646
; %bb.649:                              ;   in Loop: Header=BB317_648 Depth=1
	s_mov_b64 s[12:13], s[8:9]
                                        ; implicit-def: $sgpr14_sgpr15
	s_branch .LBB317_647
.LBB317_650:
	s_mov_b32 s12, 0
	s_branch .LBB317_653
.LBB317_651:
	s_set_inst_prefetch_distance 0x2
	s_or_b32 exec_lo, exec_lo, s20
	v_cmp_gt_i64_e32 vcc_lo, s[8:9], v[57:58]
	s_or_not1_b32 s12, vcc_lo, exec_lo
.LBB317_652:
	s_or_b32 exec_lo, exec_lo, s19
.LBB317_653:
	s_delay_alu instid0(SALU_CYCLE_1)
	s_and_b32 s14, s12, exec_lo
	s_or_b32 s3, s3, exec_lo
.LBB317_654:
	s_or_b32 exec_lo, exec_lo, s18
	v_dual_mov_b32 v182, v166 :: v_dual_mov_b32 v181, v165
	v_dual_mov_b32 v168, v164 :: v_dual_mov_b32 v167, v163
	;; [unrolled: 1-line block ×27, first 2 shown]
	s_branch .LBB317_1243
.LBB317_655:
	s_cmp_lg_u64 s[0:1], 1
	s_cbranch_scc0 .LBB317_663
; %bb.656:
	v_mul_lo_u32 v59, v8, s8
	v_mul_lo_u32 v60, v7, s9
	s_waitcnt lgkmcnt(0)
	v_mad_u64_u32 v[57:58], null, v7, s8, 0
	v_mov_b32_e32 v113, 0
	v_mov_b32_e32 v114, 0
	v_cmp_lt_i64_e64 s0, s[8:9], 1
	v_cmp_gt_i64_e64 s14, s[8:9], 0
	s_delay_alu instid0(VALU_DEP_4)
	v_mov_b32_e32 v111, v113
	ds_store_b64 v195, v[109:110]
	v_mov_b32_e32 v112, v114
	v_add3_u32 v64, v58, v60, v59
	s_and_b32 vcc_lo, exec_lo, s0
	s_cbranch_vccnz .LBB317_666
; %bb.657:
	v_mad_u64_u32 v[58:59], null, v109, s8, s[10:11]
	v_mul_lo_u32 v60, v109, s9
	v_mul_lo_u32 v61, v110, s8
	v_mov_b32_e32 v111, 1
	v_mov_b32_e32 v112, 0
	s_mov_b32 s15, exec_lo
	s_delay_alu instid0(VALU_DEP_3)
	v_add3_u32 v59, v61, v59, v60
	v_add_co_u32 v60, vcc_lo, s10, v57
	v_add_co_ci_u32_e32 v61, vcc_lo, s11, v64, vcc_lo
	s_clause 0x1
	global_load_u8 v62, v[58:59], off
	global_load_u8 v63, v[60:61], off
	s_waitcnt vmcnt(0)
	v_cmpx_eq_u16_e64 v62, v63
	s_cbranch_execz .LBB317_665
; %bb.658:
	s_mov_b64 s[0:1], 1
	s_mov_b32 s18, 0
                                        ; implicit-def: $sgpr19
	s_set_inst_prefetch_distance 0x1
	s_branch .LBB317_661
	.p2align	6
.LBB317_659:                            ;   in Loop: Header=BB317_661 Depth=1
	v_add_co_u32 v62, vcc_lo, v58, s0
	v_add_co_ci_u32_e32 v63, vcc_lo, s1, v59, vcc_lo
	v_add_co_u32 v65, vcc_lo, v60, s0
	v_add_co_ci_u32_e32 v66, vcc_lo, s1, v61, vcc_lo
	s_add_u32 s12, s0, 1
	s_clause 0x1
	global_load_u8 v62, v[62:63], off
	global_load_u8 v63, v[65:66], off
	s_addc_u32 s13, s1, 0
	s_and_not1_b32 s19, s19, exec_lo
	s_waitcnt vmcnt(0)
	v_cmp_ne_u16_e32 vcc_lo, v62, v63
	s_and_b32 s20, vcc_lo, exec_lo
	s_delay_alu instid0(SALU_CYCLE_1)
	s_or_b32 s19, s19, s20
.LBB317_660:                            ;   in Loop: Header=BB317_661 Depth=1
	v_dual_mov_b32 v63, s1 :: v_dual_mov_b32 v62, s0
	s_and_b32 s20, exec_lo, s19
	s_mov_b64 s[0:1], s[12:13]
	s_or_b32 s18, s20, s18
	s_delay_alu instid0(SALU_CYCLE_1)
	s_and_not1_b32 exec_lo, exec_lo, s18
	s_cbranch_execz .LBB317_664
.LBB317_661:                            ; =>This Inner Loop Header: Depth=1
	s_or_b32 s19, s19, exec_lo
	s_cmp_eq_u64 s[8:9], s[0:1]
	s_cbranch_scc0 .LBB317_659
; %bb.662:                              ;   in Loop: Header=BB317_661 Depth=1
	s_mov_b64 s[0:1], s[8:9]
                                        ; implicit-def: $sgpr12_sgpr13
	s_branch .LBB317_660
.LBB317_663:
                                        ; implicit-def: $sgpr14
                                        ; implicit-def: $vgpr165_vgpr166
                                        ; implicit-def: $vgpr163_vgpr164
                                        ; implicit-def: $vgpr161_vgpr162
                                        ; implicit-def: $vgpr159_vgpr160
                                        ; implicit-def: $vgpr157_vgpr158
                                        ; implicit-def: $vgpr155_vgpr156
                                        ; implicit-def: $vgpr153_vgpr154
                                        ; implicit-def: $vgpr151_vgpr152
                                        ; implicit-def: $vgpr149_vgpr150
                                        ; implicit-def: $vgpr147_vgpr148
                                        ; implicit-def: $vgpr145_vgpr146
                                        ; implicit-def: $vgpr143_vgpr144
                                        ; implicit-def: $vgpr141_vgpr142
                                        ; implicit-def: $vgpr139_vgpr140
                                        ; implicit-def: $vgpr137_vgpr138
                                        ; implicit-def: $vgpr135_vgpr136
                                        ; implicit-def: $vgpr133_vgpr134
                                        ; implicit-def: $vgpr131_vgpr132
                                        ; implicit-def: $vgpr129_vgpr130
                                        ; implicit-def: $vgpr127_vgpr128
                                        ; implicit-def: $vgpr125_vgpr126
                                        ; implicit-def: $vgpr123_vgpr124
                                        ; implicit-def: $vgpr121_vgpr122
                                        ; implicit-def: $vgpr119_vgpr120
                                        ; implicit-def: $vgpr117_vgpr118
                                        ; implicit-def: $vgpr113_vgpr114
                                        ; implicit-def: $vgpr115_vgpr116
                                        ; implicit-def: $vgpr111_vgpr112
                                        ; implicit-def: $vgpr181_vgpr182
                                        ; implicit-def: $vgpr167_vgpr168
                                        ; implicit-def: $vgpr169_vgpr170
                                        ; implicit-def: $vgpr171_vgpr172
                                        ; implicit-def: $vgpr173_vgpr174
                                        ; implicit-def: $vgpr175_vgpr176
                                        ; implicit-def: $vgpr177_vgpr178
                                        ; implicit-def: $vgpr179_vgpr180
                                        ; implicit-def: $vgpr183_vgpr184
                                        ; implicit-def: $vgpr185_vgpr186
                                        ; implicit-def: $vgpr187_vgpr188
                                        ; implicit-def: $vgpr189_vgpr190
                                        ; implicit-def: $vgpr191_vgpr192
                                        ; implicit-def: $vgpr193_vgpr194
                                        ; implicit-def: $vgpr57_vgpr58_vgpr59_vgpr60
                                        ; implicit-def: $vgpr61_vgpr62_vgpr63_vgpr64
                                        ; implicit-def: $vgpr65_vgpr66_vgpr67_vgpr68
                                        ; implicit-def: $vgpr69_vgpr70_vgpr71_vgpr72
                                        ; implicit-def: $vgpr73_vgpr74_vgpr75_vgpr76
                                        ; implicit-def: $vgpr77_vgpr78_vgpr79_vgpr80
                                        ; implicit-def: $vgpr81_vgpr82_vgpr83_vgpr84
                                        ; implicit-def: $vgpr85_vgpr86_vgpr87_vgpr88
                                        ; implicit-def: $vgpr89_vgpr90_vgpr91_vgpr92
                                        ; implicit-def: $vgpr93_vgpr94_vgpr95_vgpr96
                                        ; implicit-def: $vgpr97_vgpr98_vgpr99_vgpr100
                                        ; implicit-def: $vgpr101_vgpr102_vgpr103_vgpr104
                                        ; implicit-def: $vgpr105_vgpr106_vgpr107_vgpr108
	s_cbranch_execnz .LBB317_923
	s_branch .LBB317_1243
.LBB317_664:
	s_set_inst_prefetch_distance 0x2
	s_or_b32 exec_lo, exec_lo, s18
	v_cmp_gt_i64_e32 vcc_lo, s[8:9], v[62:63]
	s_mov_b32 s0, 0
	s_delay_alu instid0(SALU_CYCLE_1)
	v_mov_b32_e32 v112, s0
	v_cndmask_b32_e64 v111, 0, 1, vcc_lo
.LBB317_665:
	s_or_b32 exec_lo, exec_lo, s15
.LBB317_666:
	v_mul_lo_u32 v60, v6, s8
	v_mul_lo_u32 v61, v5, s9
	v_mad_u64_u32 v[58:59], null, v5, s8, 0
	v_cndmask_b32_e64 v65, 0, 1, s14
	v_dual_mov_b32 v116, v114 :: v_dual_mov_b32 v115, v113
	s_and_not1_b32 vcc_lo, exec_lo, s14
	s_delay_alu instid0(VALU_DEP_3)
	v_add3_u32 v66, v59, v61, v60
	s_cbranch_vccnz .LBB317_675
; %bb.667:
	v_add_co_u32 v59, vcc_lo, s10, v57
	v_add_co_ci_u32_e32 v60, vcc_lo, s11, v64, vcc_lo
	v_add_co_u32 v61, vcc_lo, s10, v58
	v_add_co_ci_u32_e32 v62, vcc_lo, s11, v66, vcc_lo
	v_mov_b32_e32 v115, 1
	s_clause 0x1
	global_load_u8 v57, v[59:60], off
	global_load_u8 v63, v[61:62], off
	v_mov_b32_e32 v116, 0
	s_mov_b32 s14, exec_lo
	s_waitcnt vmcnt(0)
	v_cmpx_eq_u16_e64 v57, v63
	s_cbranch_execz .LBB317_674
; %bb.668:
	s_mov_b64 s[0:1], 1
	s_mov_b32 s15, 0
                                        ; implicit-def: $sgpr18
	s_set_inst_prefetch_distance 0x1
	s_branch .LBB317_671
	.p2align	6
.LBB317_669:                            ;   in Loop: Header=BB317_671 Depth=1
	v_add_co_u32 v63, vcc_lo, v59, s0
	v_add_co_ci_u32_e32 v64, vcc_lo, s1, v60, vcc_lo
	v_add_co_u32 v67, vcc_lo, v61, s0
	v_add_co_ci_u32_e32 v68, vcc_lo, s1, v62, vcc_lo
	s_add_u32 s12, s0, 1
	s_clause 0x1
	global_load_u8 v57, v[63:64], off
	global_load_u8 v63, v[67:68], off
	s_addc_u32 s13, s1, 0
	s_and_not1_b32 s18, s18, exec_lo
	s_waitcnt vmcnt(0)
	v_cmp_ne_u16_e32 vcc_lo, v57, v63
	s_and_b32 s19, vcc_lo, exec_lo
	s_delay_alu instid0(SALU_CYCLE_1)
	s_or_b32 s18, s18, s19
.LBB317_670:                            ;   in Loop: Header=BB317_671 Depth=1
	v_dual_mov_b32 v64, s1 :: v_dual_mov_b32 v63, s0
	s_and_b32 s19, exec_lo, s18
	s_mov_b64 s[0:1], s[12:13]
	s_or_b32 s15, s19, s15
	s_delay_alu instid0(SALU_CYCLE_1)
	s_and_not1_b32 exec_lo, exec_lo, s15
	s_cbranch_execz .LBB317_673
.LBB317_671:                            ; =>This Inner Loop Header: Depth=1
	s_or_b32 s18, s18, exec_lo
	s_cmp_eq_u64 s[8:9], s[0:1]
	s_cbranch_scc0 .LBB317_669
; %bb.672:                              ;   in Loop: Header=BB317_671 Depth=1
	s_mov_b64 s[0:1], s[8:9]
                                        ; implicit-def: $sgpr12_sgpr13
	s_branch .LBB317_670
.LBB317_673:
	s_set_inst_prefetch_distance 0x2
	s_or_b32 exec_lo, exec_lo, s15
	v_cmp_gt_i64_e32 vcc_lo, s[8:9], v[63:64]
	s_mov_b32 s0, 0
	s_delay_alu instid0(SALU_CYCLE_1)
	v_mov_b32_e32 v116, s0
	v_cndmask_b32_e64 v115, 0, 1, vcc_lo
.LBB317_674:
	s_or_b32 exec_lo, exec_lo, s14
.LBB317_675:
	v_mul_lo_u32 v57, v12, s8
	v_mul_lo_u32 v61, v11, s9
	v_mad_u64_u32 v[59:60], null, v11, s8, 0
	v_cmp_ne_u32_e32 vcc_lo, 1, v65
	s_delay_alu instid0(VALU_DEP_2)
	v_add3_u32 v64, v60, v61, v57
	s_cbranch_vccnz .LBB317_684
; %bb.676:
	v_add_co_u32 v57, vcc_lo, s10, v58
	v_add_co_ci_u32_e32 v58, vcc_lo, s11, v66, vcc_lo
	v_add_co_u32 v60, vcc_lo, s10, v59
	v_add_co_ci_u32_e32 v61, vcc_lo, s11, v64, vcc_lo
	v_mov_b32_e32 v113, 1
	s_clause 0x1
	global_load_u8 v62, v[57:58], off
	global_load_u8 v63, v[60:61], off
	v_mov_b32_e32 v114, 0
	s_mov_b32 s14, exec_lo
	s_waitcnt vmcnt(0)
	v_cmpx_eq_u16_e64 v62, v63
	s_cbranch_execz .LBB317_683
; %bb.677:
	s_mov_b64 s[0:1], 1
	s_mov_b32 s15, 0
                                        ; implicit-def: $sgpr18
	s_set_inst_prefetch_distance 0x1
	s_branch .LBB317_680
	.p2align	6
.LBB317_678:                            ;   in Loop: Header=BB317_680 Depth=1
	v_add_co_u32 v62, vcc_lo, v57, s0
	v_add_co_ci_u32_e32 v63, vcc_lo, s1, v58, vcc_lo
	v_add_co_u32 v66, vcc_lo, v60, s0
	v_add_co_ci_u32_e32 v67, vcc_lo, s1, v61, vcc_lo
	s_add_u32 s12, s0, 1
	s_clause 0x1
	global_load_u8 v62, v[62:63], off
	global_load_u8 v63, v[66:67], off
	s_addc_u32 s13, s1, 0
	s_and_not1_b32 s18, s18, exec_lo
	s_waitcnt vmcnt(0)
	v_cmp_ne_u16_e32 vcc_lo, v62, v63
	s_and_b32 s19, vcc_lo, exec_lo
	s_delay_alu instid0(SALU_CYCLE_1)
	s_or_b32 s18, s18, s19
.LBB317_679:                            ;   in Loop: Header=BB317_680 Depth=1
	v_dual_mov_b32 v63, s1 :: v_dual_mov_b32 v62, s0
	s_and_b32 s19, exec_lo, s18
	s_mov_b64 s[0:1], s[12:13]
	s_or_b32 s15, s19, s15
	s_delay_alu instid0(SALU_CYCLE_1)
	s_and_not1_b32 exec_lo, exec_lo, s15
	s_cbranch_execz .LBB317_682
.LBB317_680:                            ; =>This Inner Loop Header: Depth=1
	s_or_b32 s18, s18, exec_lo
	s_cmp_eq_u64 s[8:9], s[0:1]
	s_cbranch_scc0 .LBB317_678
; %bb.681:                              ;   in Loop: Header=BB317_680 Depth=1
	s_mov_b64 s[0:1], s[8:9]
                                        ; implicit-def: $sgpr12_sgpr13
	s_branch .LBB317_679
.LBB317_682:
	s_set_inst_prefetch_distance 0x2
	s_or_b32 exec_lo, exec_lo, s15
	v_cmp_gt_i64_e32 vcc_lo, s[8:9], v[62:63]
	s_mov_b32 s0, 0
	s_delay_alu instid0(SALU_CYCLE_1)
	v_mov_b32_e32 v114, s0
	v_cndmask_b32_e64 v113, 0, 1, vcc_lo
.LBB317_683:
	s_or_b32 exec_lo, exec_lo, s14
.LBB317_684:
	v_mul_lo_u32 v60, v10, s8
	v_mul_lo_u32 v61, v9, s9
	v_mad_u64_u32 v[57:58], null, v9, s8, 0
	v_mov_b32_e32 v119, 0
	v_mov_b32_e32 v120, 0
	v_cmp_ne_u32_e32 vcc_lo, 1, v65
	s_delay_alu instid0(VALU_DEP_2)
	v_dual_mov_b32 v117, v119 :: v_dual_mov_b32 v118, v120
	v_add3_u32 v66, v58, v61, v60
	s_cbranch_vccnz .LBB317_693
; %bb.685:
	v_add_co_u32 v58, vcc_lo, s10, v59
	v_add_co_ci_u32_e32 v59, vcc_lo, s11, v64, vcc_lo
	v_add_co_u32 v60, vcc_lo, s10, v57
	v_add_co_ci_u32_e32 v61, vcc_lo, s11, v66, vcc_lo
	v_mov_b32_e32 v117, 1
	s_clause 0x1
	global_load_u8 v62, v[58:59], off
	global_load_u8 v63, v[60:61], off
	v_mov_b32_e32 v118, 0
	s_mov_b32 s14, exec_lo
	s_waitcnt vmcnt(0)
	v_cmpx_eq_u16_e64 v62, v63
	s_cbranch_execz .LBB317_692
; %bb.686:
	s_mov_b64 s[0:1], 1
	s_mov_b32 s15, 0
                                        ; implicit-def: $sgpr18
	s_set_inst_prefetch_distance 0x1
	s_branch .LBB317_689
	.p2align	6
.LBB317_687:                            ;   in Loop: Header=BB317_689 Depth=1
	v_add_co_u32 v62, vcc_lo, v58, s0
	v_add_co_ci_u32_e32 v63, vcc_lo, s1, v59, vcc_lo
	v_add_co_u32 v67, vcc_lo, v60, s0
	v_add_co_ci_u32_e32 v68, vcc_lo, s1, v61, vcc_lo
	s_add_u32 s12, s0, 1
	s_clause 0x1
	global_load_u8 v62, v[62:63], off
	global_load_u8 v63, v[67:68], off
	s_addc_u32 s13, s1, 0
	s_and_not1_b32 s18, s18, exec_lo
	s_waitcnt vmcnt(0)
	v_cmp_ne_u16_e32 vcc_lo, v62, v63
	s_and_b32 s19, vcc_lo, exec_lo
	s_delay_alu instid0(SALU_CYCLE_1)
	s_or_b32 s18, s18, s19
.LBB317_688:                            ;   in Loop: Header=BB317_689 Depth=1
	v_dual_mov_b32 v63, s1 :: v_dual_mov_b32 v62, s0
	s_and_b32 s19, exec_lo, s18
	s_mov_b64 s[0:1], s[12:13]
	s_or_b32 s15, s19, s15
	s_delay_alu instid0(SALU_CYCLE_1)
	s_and_not1_b32 exec_lo, exec_lo, s15
	s_cbranch_execz .LBB317_691
.LBB317_689:                            ; =>This Inner Loop Header: Depth=1
	s_or_b32 s18, s18, exec_lo
	s_cmp_eq_u64 s[8:9], s[0:1]
	s_cbranch_scc0 .LBB317_687
; %bb.690:                              ;   in Loop: Header=BB317_689 Depth=1
	s_mov_b64 s[0:1], s[8:9]
                                        ; implicit-def: $sgpr12_sgpr13
	s_branch .LBB317_688
.LBB317_691:
	s_set_inst_prefetch_distance 0x2
	s_or_b32 exec_lo, exec_lo, s15
	v_cmp_gt_i64_e32 vcc_lo, s[8:9], v[62:63]
	s_mov_b32 s0, 0
	s_delay_alu instid0(SALU_CYCLE_1)
	v_mov_b32_e32 v118, s0
	v_cndmask_b32_e64 v117, 0, 1, vcc_lo
.LBB317_692:
	s_or_b32 exec_lo, exec_lo, s14
.LBB317_693:
	v_mul_lo_u32 v58, v56, s8
	v_mul_lo_u32 v61, v55, s9
	v_mad_u64_u32 v[59:60], null, v55, s8, 0
	v_cmp_ne_u32_e32 vcc_lo, 1, v65
	s_delay_alu instid0(VALU_DEP_2)
	v_add3_u32 v64, v60, v61, v58
	s_cbranch_vccnz .LBB317_702
; %bb.694:
	v_add_co_u32 v57, vcc_lo, s10, v57
	v_add_co_ci_u32_e32 v58, vcc_lo, s11, v66, vcc_lo
	v_add_co_u32 v60, vcc_lo, s10, v59
	v_add_co_ci_u32_e32 v61, vcc_lo, s11, v64, vcc_lo
	v_mov_b32_e32 v119, 1
	s_clause 0x1
	global_load_u8 v62, v[57:58], off
	global_load_u8 v63, v[60:61], off
	v_mov_b32_e32 v120, 0
	s_mov_b32 s14, exec_lo
	s_waitcnt vmcnt(0)
	v_cmpx_eq_u16_e64 v62, v63
	s_cbranch_execz .LBB317_701
; %bb.695:
	s_mov_b64 s[0:1], 1
	s_mov_b32 s15, 0
                                        ; implicit-def: $sgpr18
	s_set_inst_prefetch_distance 0x1
	s_branch .LBB317_698
	.p2align	6
.LBB317_696:                            ;   in Loop: Header=BB317_698 Depth=1
	v_add_co_u32 v62, vcc_lo, v57, s0
	v_add_co_ci_u32_e32 v63, vcc_lo, s1, v58, vcc_lo
	v_add_co_u32 v66, vcc_lo, v60, s0
	v_add_co_ci_u32_e32 v67, vcc_lo, s1, v61, vcc_lo
	s_add_u32 s12, s0, 1
	s_clause 0x1
	global_load_u8 v62, v[62:63], off
	global_load_u8 v63, v[66:67], off
	s_addc_u32 s13, s1, 0
	s_and_not1_b32 s18, s18, exec_lo
	s_waitcnt vmcnt(0)
	v_cmp_ne_u16_e32 vcc_lo, v62, v63
	s_and_b32 s19, vcc_lo, exec_lo
	s_delay_alu instid0(SALU_CYCLE_1)
	s_or_b32 s18, s18, s19
.LBB317_697:                            ;   in Loop: Header=BB317_698 Depth=1
	v_dual_mov_b32 v63, s1 :: v_dual_mov_b32 v62, s0
	s_and_b32 s19, exec_lo, s18
	s_mov_b64 s[0:1], s[12:13]
	s_or_b32 s15, s19, s15
	s_delay_alu instid0(SALU_CYCLE_1)
	s_and_not1_b32 exec_lo, exec_lo, s15
	s_cbranch_execz .LBB317_700
.LBB317_698:                            ; =>This Inner Loop Header: Depth=1
	s_or_b32 s18, s18, exec_lo
	s_cmp_eq_u64 s[8:9], s[0:1]
	s_cbranch_scc0 .LBB317_696
; %bb.699:                              ;   in Loop: Header=BB317_698 Depth=1
	s_mov_b64 s[0:1], s[8:9]
                                        ; implicit-def: $sgpr12_sgpr13
	s_branch .LBB317_697
.LBB317_700:
	s_set_inst_prefetch_distance 0x2
	s_or_b32 exec_lo, exec_lo, s15
	v_cmp_gt_i64_e32 vcc_lo, s[8:9], v[62:63]
	s_mov_b32 s0, 0
	s_delay_alu instid0(SALU_CYCLE_1)
	v_mov_b32_e32 v120, s0
	v_cndmask_b32_e64 v119, 0, 1, vcc_lo
.LBB317_701:
	s_or_b32 exec_lo, exec_lo, s14
.LBB317_702:
	v_mul_lo_u32 v60, v54, s8
	v_mul_lo_u32 v61, v53, s9
	v_mad_u64_u32 v[57:58], null, v53, s8, 0
	v_mov_b32_e32 v123, 0
	v_mov_b32_e32 v124, 0
	v_cmp_ne_u32_e32 vcc_lo, 1, v65
	s_delay_alu instid0(VALU_DEP_2)
	v_dual_mov_b32 v121, v123 :: v_dual_mov_b32 v122, v124
	v_add3_u32 v66, v58, v61, v60
	s_cbranch_vccnz .LBB317_711
; %bb.703:
	v_add_co_u32 v58, vcc_lo, s10, v59
	v_add_co_ci_u32_e32 v59, vcc_lo, s11, v64, vcc_lo
	v_add_co_u32 v60, vcc_lo, s10, v57
	v_add_co_ci_u32_e32 v61, vcc_lo, s11, v66, vcc_lo
	v_mov_b32_e32 v121, 1
	s_clause 0x1
	global_load_u8 v62, v[58:59], off
	global_load_u8 v63, v[60:61], off
	v_mov_b32_e32 v122, 0
	s_mov_b32 s14, exec_lo
	s_waitcnt vmcnt(0)
	v_cmpx_eq_u16_e64 v62, v63
	s_cbranch_execz .LBB317_710
; %bb.704:
	s_mov_b64 s[0:1], 1
	s_mov_b32 s15, 0
                                        ; implicit-def: $sgpr18
	s_set_inst_prefetch_distance 0x1
	s_branch .LBB317_707
	.p2align	6
.LBB317_705:                            ;   in Loop: Header=BB317_707 Depth=1
	v_add_co_u32 v62, vcc_lo, v58, s0
	v_add_co_ci_u32_e32 v63, vcc_lo, s1, v59, vcc_lo
	v_add_co_u32 v67, vcc_lo, v60, s0
	v_add_co_ci_u32_e32 v68, vcc_lo, s1, v61, vcc_lo
	s_add_u32 s12, s0, 1
	s_clause 0x1
	global_load_u8 v62, v[62:63], off
	global_load_u8 v63, v[67:68], off
	s_addc_u32 s13, s1, 0
	s_and_not1_b32 s18, s18, exec_lo
	s_waitcnt vmcnt(0)
	v_cmp_ne_u16_e32 vcc_lo, v62, v63
	s_and_b32 s19, vcc_lo, exec_lo
	s_delay_alu instid0(SALU_CYCLE_1)
	s_or_b32 s18, s18, s19
.LBB317_706:                            ;   in Loop: Header=BB317_707 Depth=1
	v_dual_mov_b32 v63, s1 :: v_dual_mov_b32 v62, s0
	s_and_b32 s19, exec_lo, s18
	s_mov_b64 s[0:1], s[12:13]
	s_or_b32 s15, s19, s15
	s_delay_alu instid0(SALU_CYCLE_1)
	s_and_not1_b32 exec_lo, exec_lo, s15
	s_cbranch_execz .LBB317_709
.LBB317_707:                            ; =>This Inner Loop Header: Depth=1
	s_or_b32 s18, s18, exec_lo
	s_cmp_eq_u64 s[8:9], s[0:1]
	s_cbranch_scc0 .LBB317_705
; %bb.708:                              ;   in Loop: Header=BB317_707 Depth=1
	s_mov_b64 s[0:1], s[8:9]
                                        ; implicit-def: $sgpr12_sgpr13
	s_branch .LBB317_706
.LBB317_709:
	s_set_inst_prefetch_distance 0x2
	s_or_b32 exec_lo, exec_lo, s15
	v_cmp_gt_i64_e32 vcc_lo, s[8:9], v[62:63]
	s_mov_b32 s0, 0
	s_delay_alu instid0(SALU_CYCLE_1)
	v_mov_b32_e32 v122, s0
	v_cndmask_b32_e64 v121, 0, 1, vcc_lo
.LBB317_710:
	s_or_b32 exec_lo, exec_lo, s14
.LBB317_711:
	v_mul_lo_u32 v58, v52, s8
	v_mul_lo_u32 v61, v51, s9
	v_mad_u64_u32 v[59:60], null, v51, s8, 0
	v_cmp_ne_u32_e32 vcc_lo, 1, v65
	s_delay_alu instid0(VALU_DEP_2)
	v_add3_u32 v64, v60, v61, v58
	s_cbranch_vccnz .LBB317_720
; %bb.712:
	v_add_co_u32 v57, vcc_lo, s10, v57
	v_add_co_ci_u32_e32 v58, vcc_lo, s11, v66, vcc_lo
	v_add_co_u32 v60, vcc_lo, s10, v59
	v_add_co_ci_u32_e32 v61, vcc_lo, s11, v64, vcc_lo
	v_mov_b32_e32 v123, 1
	s_clause 0x1
	global_load_u8 v62, v[57:58], off
	global_load_u8 v63, v[60:61], off
	v_mov_b32_e32 v124, 0
	s_mov_b32 s14, exec_lo
	s_waitcnt vmcnt(0)
	v_cmpx_eq_u16_e64 v62, v63
	s_cbranch_execz .LBB317_719
; %bb.713:
	s_mov_b64 s[0:1], 1
	s_mov_b32 s15, 0
                                        ; implicit-def: $sgpr18
	s_set_inst_prefetch_distance 0x1
	s_branch .LBB317_716
	.p2align	6
.LBB317_714:                            ;   in Loop: Header=BB317_716 Depth=1
	v_add_co_u32 v62, vcc_lo, v57, s0
	v_add_co_ci_u32_e32 v63, vcc_lo, s1, v58, vcc_lo
	v_add_co_u32 v66, vcc_lo, v60, s0
	v_add_co_ci_u32_e32 v67, vcc_lo, s1, v61, vcc_lo
	s_add_u32 s12, s0, 1
	s_clause 0x1
	global_load_u8 v62, v[62:63], off
	global_load_u8 v63, v[66:67], off
	s_addc_u32 s13, s1, 0
	s_and_not1_b32 s18, s18, exec_lo
	s_waitcnt vmcnt(0)
	v_cmp_ne_u16_e32 vcc_lo, v62, v63
	s_and_b32 s19, vcc_lo, exec_lo
	s_delay_alu instid0(SALU_CYCLE_1)
	s_or_b32 s18, s18, s19
.LBB317_715:                            ;   in Loop: Header=BB317_716 Depth=1
	v_dual_mov_b32 v63, s1 :: v_dual_mov_b32 v62, s0
	s_and_b32 s19, exec_lo, s18
	s_mov_b64 s[0:1], s[12:13]
	s_or_b32 s15, s19, s15
	s_delay_alu instid0(SALU_CYCLE_1)
	s_and_not1_b32 exec_lo, exec_lo, s15
	s_cbranch_execz .LBB317_718
.LBB317_716:                            ; =>This Inner Loop Header: Depth=1
	s_or_b32 s18, s18, exec_lo
	s_cmp_eq_u64 s[8:9], s[0:1]
	s_cbranch_scc0 .LBB317_714
; %bb.717:                              ;   in Loop: Header=BB317_716 Depth=1
	s_mov_b64 s[0:1], s[8:9]
                                        ; implicit-def: $sgpr12_sgpr13
	s_branch .LBB317_715
.LBB317_718:
	s_set_inst_prefetch_distance 0x2
	s_or_b32 exec_lo, exec_lo, s15
	v_cmp_gt_i64_e32 vcc_lo, s[8:9], v[62:63]
	s_mov_b32 s0, 0
	s_delay_alu instid0(SALU_CYCLE_1)
	v_mov_b32_e32 v124, s0
	v_cndmask_b32_e64 v123, 0, 1, vcc_lo
.LBB317_719:
	s_or_b32 exec_lo, exec_lo, s14
.LBB317_720:
	v_mul_lo_u32 v60, v50, s8
	v_mul_lo_u32 v61, v49, s9
	v_mad_u64_u32 v[57:58], null, v49, s8, 0
	v_mov_b32_e32 v127, 0
	v_mov_b32_e32 v128, 0
	v_cmp_ne_u32_e32 vcc_lo, 1, v65
	s_delay_alu instid0(VALU_DEP_2)
	v_dual_mov_b32 v125, v127 :: v_dual_mov_b32 v126, v128
	v_add3_u32 v66, v58, v61, v60
	s_cbranch_vccnz .LBB317_729
; %bb.721:
	v_add_co_u32 v58, vcc_lo, s10, v59
	v_add_co_ci_u32_e32 v59, vcc_lo, s11, v64, vcc_lo
	v_add_co_u32 v60, vcc_lo, s10, v57
	v_add_co_ci_u32_e32 v61, vcc_lo, s11, v66, vcc_lo
	v_mov_b32_e32 v125, 1
	s_clause 0x1
	global_load_u8 v62, v[58:59], off
	global_load_u8 v63, v[60:61], off
	v_mov_b32_e32 v126, 0
	s_mov_b32 s14, exec_lo
	s_waitcnt vmcnt(0)
	v_cmpx_eq_u16_e64 v62, v63
	s_cbranch_execz .LBB317_728
; %bb.722:
	s_mov_b64 s[0:1], 1
	s_mov_b32 s15, 0
                                        ; implicit-def: $sgpr18
	s_set_inst_prefetch_distance 0x1
	s_branch .LBB317_725
	.p2align	6
.LBB317_723:                            ;   in Loop: Header=BB317_725 Depth=1
	v_add_co_u32 v62, vcc_lo, v58, s0
	v_add_co_ci_u32_e32 v63, vcc_lo, s1, v59, vcc_lo
	v_add_co_u32 v67, vcc_lo, v60, s0
	v_add_co_ci_u32_e32 v68, vcc_lo, s1, v61, vcc_lo
	s_add_u32 s12, s0, 1
	s_clause 0x1
	global_load_u8 v62, v[62:63], off
	global_load_u8 v63, v[67:68], off
	s_addc_u32 s13, s1, 0
	s_and_not1_b32 s18, s18, exec_lo
	s_waitcnt vmcnt(0)
	v_cmp_ne_u16_e32 vcc_lo, v62, v63
	s_and_b32 s19, vcc_lo, exec_lo
	s_delay_alu instid0(SALU_CYCLE_1)
	s_or_b32 s18, s18, s19
.LBB317_724:                            ;   in Loop: Header=BB317_725 Depth=1
	v_dual_mov_b32 v63, s1 :: v_dual_mov_b32 v62, s0
	s_and_b32 s19, exec_lo, s18
	s_mov_b64 s[0:1], s[12:13]
	s_or_b32 s15, s19, s15
	s_delay_alu instid0(SALU_CYCLE_1)
	s_and_not1_b32 exec_lo, exec_lo, s15
	s_cbranch_execz .LBB317_727
.LBB317_725:                            ; =>This Inner Loop Header: Depth=1
	s_or_b32 s18, s18, exec_lo
	s_cmp_eq_u64 s[8:9], s[0:1]
	s_cbranch_scc0 .LBB317_723
; %bb.726:                              ;   in Loop: Header=BB317_725 Depth=1
	s_mov_b64 s[0:1], s[8:9]
                                        ; implicit-def: $sgpr12_sgpr13
	s_branch .LBB317_724
.LBB317_727:
	s_set_inst_prefetch_distance 0x2
	s_or_b32 exec_lo, exec_lo, s15
	v_cmp_gt_i64_e32 vcc_lo, s[8:9], v[62:63]
	s_mov_b32 s0, 0
	s_delay_alu instid0(SALU_CYCLE_1)
	v_mov_b32_e32 v126, s0
	v_cndmask_b32_e64 v125, 0, 1, vcc_lo
.LBB317_728:
	s_or_b32 exec_lo, exec_lo, s14
.LBB317_729:
	v_mul_lo_u32 v58, v48, s8
	v_mul_lo_u32 v61, v47, s9
	v_mad_u64_u32 v[59:60], null, v47, s8, 0
	v_cmp_ne_u32_e32 vcc_lo, 1, v65
	s_delay_alu instid0(VALU_DEP_2)
	v_add3_u32 v64, v60, v61, v58
	s_cbranch_vccnz .LBB317_738
; %bb.730:
	v_add_co_u32 v57, vcc_lo, s10, v57
	v_add_co_ci_u32_e32 v58, vcc_lo, s11, v66, vcc_lo
	v_add_co_u32 v60, vcc_lo, s10, v59
	v_add_co_ci_u32_e32 v61, vcc_lo, s11, v64, vcc_lo
	v_mov_b32_e32 v127, 1
	s_clause 0x1
	global_load_u8 v62, v[57:58], off
	global_load_u8 v63, v[60:61], off
	v_mov_b32_e32 v128, 0
	s_mov_b32 s14, exec_lo
	s_waitcnt vmcnt(0)
	v_cmpx_eq_u16_e64 v62, v63
	s_cbranch_execz .LBB317_737
; %bb.731:
	s_mov_b64 s[0:1], 1
	s_mov_b32 s15, 0
                                        ; implicit-def: $sgpr18
	s_set_inst_prefetch_distance 0x1
	s_branch .LBB317_734
	.p2align	6
.LBB317_732:                            ;   in Loop: Header=BB317_734 Depth=1
	v_add_co_u32 v62, vcc_lo, v57, s0
	v_add_co_ci_u32_e32 v63, vcc_lo, s1, v58, vcc_lo
	v_add_co_u32 v66, vcc_lo, v60, s0
	v_add_co_ci_u32_e32 v67, vcc_lo, s1, v61, vcc_lo
	s_add_u32 s12, s0, 1
	s_clause 0x1
	global_load_u8 v62, v[62:63], off
	global_load_u8 v63, v[66:67], off
	s_addc_u32 s13, s1, 0
	s_and_not1_b32 s18, s18, exec_lo
	s_waitcnt vmcnt(0)
	v_cmp_ne_u16_e32 vcc_lo, v62, v63
	s_and_b32 s19, vcc_lo, exec_lo
	s_delay_alu instid0(SALU_CYCLE_1)
	s_or_b32 s18, s18, s19
.LBB317_733:                            ;   in Loop: Header=BB317_734 Depth=1
	v_dual_mov_b32 v63, s1 :: v_dual_mov_b32 v62, s0
	s_and_b32 s19, exec_lo, s18
	s_mov_b64 s[0:1], s[12:13]
	s_or_b32 s15, s19, s15
	s_delay_alu instid0(SALU_CYCLE_1)
	s_and_not1_b32 exec_lo, exec_lo, s15
	s_cbranch_execz .LBB317_736
.LBB317_734:                            ; =>This Inner Loop Header: Depth=1
	s_or_b32 s18, s18, exec_lo
	s_cmp_eq_u64 s[8:9], s[0:1]
	s_cbranch_scc0 .LBB317_732
; %bb.735:                              ;   in Loop: Header=BB317_734 Depth=1
	s_mov_b64 s[0:1], s[8:9]
                                        ; implicit-def: $sgpr12_sgpr13
	s_branch .LBB317_733
.LBB317_736:
	s_set_inst_prefetch_distance 0x2
	s_or_b32 exec_lo, exec_lo, s15
	v_cmp_gt_i64_e32 vcc_lo, s[8:9], v[62:63]
	s_mov_b32 s0, 0
	s_delay_alu instid0(SALU_CYCLE_1)
	v_mov_b32_e32 v128, s0
	v_cndmask_b32_e64 v127, 0, 1, vcc_lo
.LBB317_737:
	s_or_b32 exec_lo, exec_lo, s14
.LBB317_738:
	v_mul_lo_u32 v60, v46, s8
	v_mul_lo_u32 v61, v45, s9
	v_mad_u64_u32 v[57:58], null, v45, s8, 0
	v_mov_b32_e32 v131, 0
	v_mov_b32_e32 v132, 0
	v_cmp_ne_u32_e32 vcc_lo, 1, v65
	s_delay_alu instid0(VALU_DEP_2)
	v_dual_mov_b32 v129, v131 :: v_dual_mov_b32 v130, v132
	v_add3_u32 v66, v58, v61, v60
	s_cbranch_vccnz .LBB317_747
; %bb.739:
	v_add_co_u32 v58, vcc_lo, s10, v59
	v_add_co_ci_u32_e32 v59, vcc_lo, s11, v64, vcc_lo
	v_add_co_u32 v60, vcc_lo, s10, v57
	v_add_co_ci_u32_e32 v61, vcc_lo, s11, v66, vcc_lo
	v_mov_b32_e32 v129, 1
	s_clause 0x1
	global_load_u8 v62, v[58:59], off
	global_load_u8 v63, v[60:61], off
	v_mov_b32_e32 v130, 0
	s_mov_b32 s14, exec_lo
	s_waitcnt vmcnt(0)
	v_cmpx_eq_u16_e64 v62, v63
	s_cbranch_execz .LBB317_746
; %bb.740:
	s_mov_b64 s[0:1], 1
	s_mov_b32 s15, 0
                                        ; implicit-def: $sgpr18
	s_set_inst_prefetch_distance 0x1
	s_branch .LBB317_743
	.p2align	6
.LBB317_741:                            ;   in Loop: Header=BB317_743 Depth=1
	v_add_co_u32 v62, vcc_lo, v58, s0
	v_add_co_ci_u32_e32 v63, vcc_lo, s1, v59, vcc_lo
	v_add_co_u32 v67, vcc_lo, v60, s0
	v_add_co_ci_u32_e32 v68, vcc_lo, s1, v61, vcc_lo
	s_add_u32 s12, s0, 1
	s_clause 0x1
	global_load_u8 v62, v[62:63], off
	global_load_u8 v63, v[67:68], off
	s_addc_u32 s13, s1, 0
	s_and_not1_b32 s18, s18, exec_lo
	s_waitcnt vmcnt(0)
	v_cmp_ne_u16_e32 vcc_lo, v62, v63
	s_and_b32 s19, vcc_lo, exec_lo
	s_delay_alu instid0(SALU_CYCLE_1)
	s_or_b32 s18, s18, s19
.LBB317_742:                            ;   in Loop: Header=BB317_743 Depth=1
	v_dual_mov_b32 v63, s1 :: v_dual_mov_b32 v62, s0
	s_and_b32 s19, exec_lo, s18
	s_mov_b64 s[0:1], s[12:13]
	s_or_b32 s15, s19, s15
	s_delay_alu instid0(SALU_CYCLE_1)
	s_and_not1_b32 exec_lo, exec_lo, s15
	s_cbranch_execz .LBB317_745
.LBB317_743:                            ; =>This Inner Loop Header: Depth=1
	s_or_b32 s18, s18, exec_lo
	s_cmp_eq_u64 s[8:9], s[0:1]
	s_cbranch_scc0 .LBB317_741
; %bb.744:                              ;   in Loop: Header=BB317_743 Depth=1
	s_mov_b64 s[0:1], s[8:9]
                                        ; implicit-def: $sgpr12_sgpr13
	s_branch .LBB317_742
.LBB317_745:
	s_set_inst_prefetch_distance 0x2
	s_or_b32 exec_lo, exec_lo, s15
	v_cmp_gt_i64_e32 vcc_lo, s[8:9], v[62:63]
	s_mov_b32 s0, 0
	s_delay_alu instid0(SALU_CYCLE_1)
	v_mov_b32_e32 v130, s0
	v_cndmask_b32_e64 v129, 0, 1, vcc_lo
.LBB317_746:
	s_or_b32 exec_lo, exec_lo, s14
.LBB317_747:
	v_mul_lo_u32 v58, v44, s8
	v_mul_lo_u32 v61, v43, s9
	v_mad_u64_u32 v[59:60], null, v43, s8, 0
	v_cmp_ne_u32_e32 vcc_lo, 1, v65
	s_delay_alu instid0(VALU_DEP_2)
	v_add3_u32 v64, v60, v61, v58
	s_cbranch_vccnz .LBB317_756
; %bb.748:
	v_add_co_u32 v57, vcc_lo, s10, v57
	v_add_co_ci_u32_e32 v58, vcc_lo, s11, v66, vcc_lo
	v_add_co_u32 v60, vcc_lo, s10, v59
	v_add_co_ci_u32_e32 v61, vcc_lo, s11, v64, vcc_lo
	v_mov_b32_e32 v131, 1
	s_clause 0x1
	global_load_u8 v62, v[57:58], off
	global_load_u8 v63, v[60:61], off
	v_mov_b32_e32 v132, 0
	s_mov_b32 s14, exec_lo
	s_waitcnt vmcnt(0)
	v_cmpx_eq_u16_e64 v62, v63
	s_cbranch_execz .LBB317_755
; %bb.749:
	s_mov_b64 s[0:1], 1
	s_mov_b32 s15, 0
                                        ; implicit-def: $sgpr18
	s_set_inst_prefetch_distance 0x1
	s_branch .LBB317_752
	.p2align	6
.LBB317_750:                            ;   in Loop: Header=BB317_752 Depth=1
	v_add_co_u32 v62, vcc_lo, v57, s0
	v_add_co_ci_u32_e32 v63, vcc_lo, s1, v58, vcc_lo
	v_add_co_u32 v66, vcc_lo, v60, s0
	v_add_co_ci_u32_e32 v67, vcc_lo, s1, v61, vcc_lo
	s_add_u32 s12, s0, 1
	s_clause 0x1
	global_load_u8 v62, v[62:63], off
	global_load_u8 v63, v[66:67], off
	s_addc_u32 s13, s1, 0
	s_and_not1_b32 s18, s18, exec_lo
	s_waitcnt vmcnt(0)
	v_cmp_ne_u16_e32 vcc_lo, v62, v63
	s_and_b32 s19, vcc_lo, exec_lo
	s_delay_alu instid0(SALU_CYCLE_1)
	s_or_b32 s18, s18, s19
.LBB317_751:                            ;   in Loop: Header=BB317_752 Depth=1
	v_dual_mov_b32 v63, s1 :: v_dual_mov_b32 v62, s0
	s_and_b32 s19, exec_lo, s18
	s_mov_b64 s[0:1], s[12:13]
	s_or_b32 s15, s19, s15
	s_delay_alu instid0(SALU_CYCLE_1)
	s_and_not1_b32 exec_lo, exec_lo, s15
	s_cbranch_execz .LBB317_754
.LBB317_752:                            ; =>This Inner Loop Header: Depth=1
	s_or_b32 s18, s18, exec_lo
	s_cmp_eq_u64 s[8:9], s[0:1]
	s_cbranch_scc0 .LBB317_750
; %bb.753:                              ;   in Loop: Header=BB317_752 Depth=1
	s_mov_b64 s[0:1], s[8:9]
                                        ; implicit-def: $sgpr12_sgpr13
	s_branch .LBB317_751
.LBB317_754:
	s_set_inst_prefetch_distance 0x2
	s_or_b32 exec_lo, exec_lo, s15
	v_cmp_gt_i64_e32 vcc_lo, s[8:9], v[62:63]
	s_mov_b32 s0, 0
	s_delay_alu instid0(SALU_CYCLE_1)
	v_mov_b32_e32 v132, s0
	v_cndmask_b32_e64 v131, 0, 1, vcc_lo
.LBB317_755:
	s_or_b32 exec_lo, exec_lo, s14
.LBB317_756:
	v_mul_lo_u32 v60, v42, s8
	v_mul_lo_u32 v61, v41, s9
	v_mad_u64_u32 v[57:58], null, v41, s8, 0
	v_mov_b32_e32 v135, 0
	v_mov_b32_e32 v136, 0
	v_cmp_ne_u32_e32 vcc_lo, 1, v65
	s_delay_alu instid0(VALU_DEP_2)
	v_dual_mov_b32 v133, v135 :: v_dual_mov_b32 v134, v136
	v_add3_u32 v66, v58, v61, v60
	s_cbranch_vccnz .LBB317_765
; %bb.757:
	v_add_co_u32 v58, vcc_lo, s10, v59
	v_add_co_ci_u32_e32 v59, vcc_lo, s11, v64, vcc_lo
	v_add_co_u32 v60, vcc_lo, s10, v57
	v_add_co_ci_u32_e32 v61, vcc_lo, s11, v66, vcc_lo
	v_mov_b32_e32 v133, 1
	s_clause 0x1
	global_load_u8 v62, v[58:59], off
	global_load_u8 v63, v[60:61], off
	v_mov_b32_e32 v134, 0
	s_mov_b32 s14, exec_lo
	s_waitcnt vmcnt(0)
	v_cmpx_eq_u16_e64 v62, v63
	s_cbranch_execz .LBB317_764
; %bb.758:
	s_mov_b64 s[0:1], 1
	s_mov_b32 s15, 0
                                        ; implicit-def: $sgpr18
	s_set_inst_prefetch_distance 0x1
	s_branch .LBB317_761
	.p2align	6
.LBB317_759:                            ;   in Loop: Header=BB317_761 Depth=1
	v_add_co_u32 v62, vcc_lo, v58, s0
	v_add_co_ci_u32_e32 v63, vcc_lo, s1, v59, vcc_lo
	v_add_co_u32 v67, vcc_lo, v60, s0
	v_add_co_ci_u32_e32 v68, vcc_lo, s1, v61, vcc_lo
	s_add_u32 s12, s0, 1
	s_clause 0x1
	global_load_u8 v62, v[62:63], off
	global_load_u8 v63, v[67:68], off
	s_addc_u32 s13, s1, 0
	s_and_not1_b32 s18, s18, exec_lo
	s_waitcnt vmcnt(0)
	v_cmp_ne_u16_e32 vcc_lo, v62, v63
	s_and_b32 s19, vcc_lo, exec_lo
	s_delay_alu instid0(SALU_CYCLE_1)
	s_or_b32 s18, s18, s19
.LBB317_760:                            ;   in Loop: Header=BB317_761 Depth=1
	v_dual_mov_b32 v63, s1 :: v_dual_mov_b32 v62, s0
	s_and_b32 s19, exec_lo, s18
	s_mov_b64 s[0:1], s[12:13]
	s_or_b32 s15, s19, s15
	s_delay_alu instid0(SALU_CYCLE_1)
	s_and_not1_b32 exec_lo, exec_lo, s15
	s_cbranch_execz .LBB317_763
.LBB317_761:                            ; =>This Inner Loop Header: Depth=1
	s_or_b32 s18, s18, exec_lo
	s_cmp_eq_u64 s[8:9], s[0:1]
	s_cbranch_scc0 .LBB317_759
; %bb.762:                              ;   in Loop: Header=BB317_761 Depth=1
	s_mov_b64 s[0:1], s[8:9]
                                        ; implicit-def: $sgpr12_sgpr13
	s_branch .LBB317_760
.LBB317_763:
	s_set_inst_prefetch_distance 0x2
	s_or_b32 exec_lo, exec_lo, s15
	v_cmp_gt_i64_e32 vcc_lo, s[8:9], v[62:63]
	s_mov_b32 s0, 0
	s_delay_alu instid0(SALU_CYCLE_1)
	v_mov_b32_e32 v134, s0
	v_cndmask_b32_e64 v133, 0, 1, vcc_lo
.LBB317_764:
	s_or_b32 exec_lo, exec_lo, s14
.LBB317_765:
	v_mul_lo_u32 v58, v40, s8
	v_mul_lo_u32 v61, v39, s9
	v_mad_u64_u32 v[59:60], null, v39, s8, 0
	v_cmp_ne_u32_e32 vcc_lo, 1, v65
	s_delay_alu instid0(VALU_DEP_2)
	v_add3_u32 v64, v60, v61, v58
	s_cbranch_vccnz .LBB317_774
; %bb.766:
	v_add_co_u32 v57, vcc_lo, s10, v57
	v_add_co_ci_u32_e32 v58, vcc_lo, s11, v66, vcc_lo
	v_add_co_u32 v60, vcc_lo, s10, v59
	v_add_co_ci_u32_e32 v61, vcc_lo, s11, v64, vcc_lo
	v_mov_b32_e32 v135, 1
	s_clause 0x1
	global_load_u8 v62, v[57:58], off
	global_load_u8 v63, v[60:61], off
	v_mov_b32_e32 v136, 0
	s_mov_b32 s14, exec_lo
	s_waitcnt vmcnt(0)
	v_cmpx_eq_u16_e64 v62, v63
	s_cbranch_execz .LBB317_773
; %bb.767:
	s_mov_b64 s[0:1], 1
	s_mov_b32 s15, 0
                                        ; implicit-def: $sgpr18
	s_set_inst_prefetch_distance 0x1
	s_branch .LBB317_770
	.p2align	6
.LBB317_768:                            ;   in Loop: Header=BB317_770 Depth=1
	v_add_co_u32 v62, vcc_lo, v57, s0
	v_add_co_ci_u32_e32 v63, vcc_lo, s1, v58, vcc_lo
	v_add_co_u32 v66, vcc_lo, v60, s0
	v_add_co_ci_u32_e32 v67, vcc_lo, s1, v61, vcc_lo
	s_add_u32 s12, s0, 1
	s_clause 0x1
	global_load_u8 v62, v[62:63], off
	global_load_u8 v63, v[66:67], off
	s_addc_u32 s13, s1, 0
	s_and_not1_b32 s18, s18, exec_lo
	s_waitcnt vmcnt(0)
	v_cmp_ne_u16_e32 vcc_lo, v62, v63
	s_and_b32 s19, vcc_lo, exec_lo
	s_delay_alu instid0(SALU_CYCLE_1)
	s_or_b32 s18, s18, s19
.LBB317_769:                            ;   in Loop: Header=BB317_770 Depth=1
	v_dual_mov_b32 v63, s1 :: v_dual_mov_b32 v62, s0
	s_and_b32 s19, exec_lo, s18
	s_mov_b64 s[0:1], s[12:13]
	s_or_b32 s15, s19, s15
	s_delay_alu instid0(SALU_CYCLE_1)
	s_and_not1_b32 exec_lo, exec_lo, s15
	s_cbranch_execz .LBB317_772
.LBB317_770:                            ; =>This Inner Loop Header: Depth=1
	s_or_b32 s18, s18, exec_lo
	s_cmp_eq_u64 s[8:9], s[0:1]
	s_cbranch_scc0 .LBB317_768
; %bb.771:                              ;   in Loop: Header=BB317_770 Depth=1
	s_mov_b64 s[0:1], s[8:9]
                                        ; implicit-def: $sgpr12_sgpr13
	s_branch .LBB317_769
.LBB317_772:
	s_set_inst_prefetch_distance 0x2
	s_or_b32 exec_lo, exec_lo, s15
	v_cmp_gt_i64_e32 vcc_lo, s[8:9], v[62:63]
	s_mov_b32 s0, 0
	s_delay_alu instid0(SALU_CYCLE_1)
	v_mov_b32_e32 v136, s0
	v_cndmask_b32_e64 v135, 0, 1, vcc_lo
.LBB317_773:
	s_or_b32 exec_lo, exec_lo, s14
.LBB317_774:
	v_mul_lo_u32 v60, v38, s8
	v_mul_lo_u32 v61, v37, s9
	v_mad_u64_u32 v[57:58], null, v37, s8, 0
	v_mov_b32_e32 v139, 0
	v_mov_b32_e32 v140, 0
	v_cmp_ne_u32_e32 vcc_lo, 1, v65
	s_delay_alu instid0(VALU_DEP_2)
	v_dual_mov_b32 v137, v139 :: v_dual_mov_b32 v138, v140
	v_add3_u32 v66, v58, v61, v60
	s_cbranch_vccnz .LBB317_783
; %bb.775:
	v_add_co_u32 v58, vcc_lo, s10, v59
	v_add_co_ci_u32_e32 v59, vcc_lo, s11, v64, vcc_lo
	v_add_co_u32 v60, vcc_lo, s10, v57
	v_add_co_ci_u32_e32 v61, vcc_lo, s11, v66, vcc_lo
	v_mov_b32_e32 v137, 1
	s_clause 0x1
	global_load_u8 v62, v[58:59], off
	global_load_u8 v63, v[60:61], off
	v_mov_b32_e32 v138, 0
	s_mov_b32 s14, exec_lo
	s_waitcnt vmcnt(0)
	v_cmpx_eq_u16_e64 v62, v63
	s_cbranch_execz .LBB317_782
; %bb.776:
	s_mov_b64 s[0:1], 1
	s_mov_b32 s15, 0
                                        ; implicit-def: $sgpr18
	s_set_inst_prefetch_distance 0x1
	s_branch .LBB317_779
	.p2align	6
.LBB317_777:                            ;   in Loop: Header=BB317_779 Depth=1
	v_add_co_u32 v62, vcc_lo, v58, s0
	v_add_co_ci_u32_e32 v63, vcc_lo, s1, v59, vcc_lo
	v_add_co_u32 v67, vcc_lo, v60, s0
	v_add_co_ci_u32_e32 v68, vcc_lo, s1, v61, vcc_lo
	s_add_u32 s12, s0, 1
	s_clause 0x1
	global_load_u8 v62, v[62:63], off
	global_load_u8 v63, v[67:68], off
	s_addc_u32 s13, s1, 0
	s_and_not1_b32 s18, s18, exec_lo
	s_waitcnt vmcnt(0)
	v_cmp_ne_u16_e32 vcc_lo, v62, v63
	s_and_b32 s19, vcc_lo, exec_lo
	s_delay_alu instid0(SALU_CYCLE_1)
	s_or_b32 s18, s18, s19
.LBB317_778:                            ;   in Loop: Header=BB317_779 Depth=1
	v_dual_mov_b32 v63, s1 :: v_dual_mov_b32 v62, s0
	s_and_b32 s19, exec_lo, s18
	s_mov_b64 s[0:1], s[12:13]
	s_or_b32 s15, s19, s15
	s_delay_alu instid0(SALU_CYCLE_1)
	s_and_not1_b32 exec_lo, exec_lo, s15
	s_cbranch_execz .LBB317_781
.LBB317_779:                            ; =>This Inner Loop Header: Depth=1
	s_or_b32 s18, s18, exec_lo
	s_cmp_eq_u64 s[8:9], s[0:1]
	s_cbranch_scc0 .LBB317_777
; %bb.780:                              ;   in Loop: Header=BB317_779 Depth=1
	s_mov_b64 s[0:1], s[8:9]
                                        ; implicit-def: $sgpr12_sgpr13
	s_branch .LBB317_778
.LBB317_781:
	s_set_inst_prefetch_distance 0x2
	s_or_b32 exec_lo, exec_lo, s15
	v_cmp_gt_i64_e32 vcc_lo, s[8:9], v[62:63]
	s_mov_b32 s0, 0
	s_delay_alu instid0(SALU_CYCLE_1)
	v_mov_b32_e32 v138, s0
	v_cndmask_b32_e64 v137, 0, 1, vcc_lo
.LBB317_782:
	s_or_b32 exec_lo, exec_lo, s14
.LBB317_783:
	v_mul_lo_u32 v58, v36, s8
	v_mul_lo_u32 v61, v35, s9
	v_mad_u64_u32 v[59:60], null, v35, s8, 0
	v_cmp_ne_u32_e32 vcc_lo, 1, v65
	s_delay_alu instid0(VALU_DEP_2)
	v_add3_u32 v64, v60, v61, v58
	s_cbranch_vccnz .LBB317_792
; %bb.784:
	v_add_co_u32 v57, vcc_lo, s10, v57
	v_add_co_ci_u32_e32 v58, vcc_lo, s11, v66, vcc_lo
	v_add_co_u32 v60, vcc_lo, s10, v59
	v_add_co_ci_u32_e32 v61, vcc_lo, s11, v64, vcc_lo
	v_mov_b32_e32 v139, 1
	s_clause 0x1
	global_load_u8 v62, v[57:58], off
	global_load_u8 v63, v[60:61], off
	v_mov_b32_e32 v140, 0
	s_mov_b32 s14, exec_lo
	s_waitcnt vmcnt(0)
	v_cmpx_eq_u16_e64 v62, v63
	s_cbranch_execz .LBB317_791
; %bb.785:
	s_mov_b64 s[0:1], 1
	s_mov_b32 s15, 0
                                        ; implicit-def: $sgpr18
	s_set_inst_prefetch_distance 0x1
	s_branch .LBB317_788
	.p2align	6
.LBB317_786:                            ;   in Loop: Header=BB317_788 Depth=1
	v_add_co_u32 v62, vcc_lo, v57, s0
	v_add_co_ci_u32_e32 v63, vcc_lo, s1, v58, vcc_lo
	v_add_co_u32 v66, vcc_lo, v60, s0
	v_add_co_ci_u32_e32 v67, vcc_lo, s1, v61, vcc_lo
	s_add_u32 s12, s0, 1
	s_clause 0x1
	global_load_u8 v62, v[62:63], off
	global_load_u8 v63, v[66:67], off
	s_addc_u32 s13, s1, 0
	s_and_not1_b32 s18, s18, exec_lo
	s_waitcnt vmcnt(0)
	v_cmp_ne_u16_e32 vcc_lo, v62, v63
	s_and_b32 s19, vcc_lo, exec_lo
	s_delay_alu instid0(SALU_CYCLE_1)
	s_or_b32 s18, s18, s19
.LBB317_787:                            ;   in Loop: Header=BB317_788 Depth=1
	v_dual_mov_b32 v63, s1 :: v_dual_mov_b32 v62, s0
	s_and_b32 s19, exec_lo, s18
	s_mov_b64 s[0:1], s[12:13]
	s_or_b32 s15, s19, s15
	s_delay_alu instid0(SALU_CYCLE_1)
	s_and_not1_b32 exec_lo, exec_lo, s15
	s_cbranch_execz .LBB317_790
.LBB317_788:                            ; =>This Inner Loop Header: Depth=1
	s_or_b32 s18, s18, exec_lo
	s_cmp_eq_u64 s[8:9], s[0:1]
	s_cbranch_scc0 .LBB317_786
; %bb.789:                              ;   in Loop: Header=BB317_788 Depth=1
	s_mov_b64 s[0:1], s[8:9]
                                        ; implicit-def: $sgpr12_sgpr13
	s_branch .LBB317_787
.LBB317_790:
	s_set_inst_prefetch_distance 0x2
	s_or_b32 exec_lo, exec_lo, s15
	v_cmp_gt_i64_e32 vcc_lo, s[8:9], v[62:63]
	s_mov_b32 s0, 0
	s_delay_alu instid0(SALU_CYCLE_1)
	v_mov_b32_e32 v140, s0
	v_cndmask_b32_e64 v139, 0, 1, vcc_lo
.LBB317_791:
	s_or_b32 exec_lo, exec_lo, s14
.LBB317_792:
	v_mul_lo_u32 v60, v34, s8
	v_mul_lo_u32 v61, v33, s9
	v_mad_u64_u32 v[57:58], null, v33, s8, 0
	v_mov_b32_e32 v143, 0
	v_mov_b32_e32 v144, 0
	v_cmp_ne_u32_e32 vcc_lo, 1, v65
	s_delay_alu instid0(VALU_DEP_2)
	v_dual_mov_b32 v141, v143 :: v_dual_mov_b32 v142, v144
	v_add3_u32 v66, v58, v61, v60
	s_cbranch_vccnz .LBB317_801
; %bb.793:
	v_add_co_u32 v58, vcc_lo, s10, v59
	v_add_co_ci_u32_e32 v59, vcc_lo, s11, v64, vcc_lo
	v_add_co_u32 v60, vcc_lo, s10, v57
	v_add_co_ci_u32_e32 v61, vcc_lo, s11, v66, vcc_lo
	v_mov_b32_e32 v141, 1
	s_clause 0x1
	global_load_u8 v62, v[58:59], off
	global_load_u8 v63, v[60:61], off
	v_mov_b32_e32 v142, 0
	s_mov_b32 s14, exec_lo
	s_waitcnt vmcnt(0)
	v_cmpx_eq_u16_e64 v62, v63
	s_cbranch_execz .LBB317_800
; %bb.794:
	s_mov_b64 s[0:1], 1
	s_mov_b32 s15, 0
                                        ; implicit-def: $sgpr18
	s_set_inst_prefetch_distance 0x1
	s_branch .LBB317_797
	.p2align	6
.LBB317_795:                            ;   in Loop: Header=BB317_797 Depth=1
	v_add_co_u32 v62, vcc_lo, v58, s0
	v_add_co_ci_u32_e32 v63, vcc_lo, s1, v59, vcc_lo
	v_add_co_u32 v67, vcc_lo, v60, s0
	v_add_co_ci_u32_e32 v68, vcc_lo, s1, v61, vcc_lo
	s_add_u32 s12, s0, 1
	s_clause 0x1
	global_load_u8 v62, v[62:63], off
	global_load_u8 v63, v[67:68], off
	s_addc_u32 s13, s1, 0
	s_and_not1_b32 s18, s18, exec_lo
	s_waitcnt vmcnt(0)
	v_cmp_ne_u16_e32 vcc_lo, v62, v63
	s_and_b32 s19, vcc_lo, exec_lo
	s_delay_alu instid0(SALU_CYCLE_1)
	s_or_b32 s18, s18, s19
.LBB317_796:                            ;   in Loop: Header=BB317_797 Depth=1
	v_dual_mov_b32 v63, s1 :: v_dual_mov_b32 v62, s0
	s_and_b32 s19, exec_lo, s18
	s_mov_b64 s[0:1], s[12:13]
	s_or_b32 s15, s19, s15
	s_delay_alu instid0(SALU_CYCLE_1)
	s_and_not1_b32 exec_lo, exec_lo, s15
	s_cbranch_execz .LBB317_799
.LBB317_797:                            ; =>This Inner Loop Header: Depth=1
	s_or_b32 s18, s18, exec_lo
	s_cmp_eq_u64 s[8:9], s[0:1]
	s_cbranch_scc0 .LBB317_795
; %bb.798:                              ;   in Loop: Header=BB317_797 Depth=1
	s_mov_b64 s[0:1], s[8:9]
                                        ; implicit-def: $sgpr12_sgpr13
	s_branch .LBB317_796
.LBB317_799:
	s_set_inst_prefetch_distance 0x2
	s_or_b32 exec_lo, exec_lo, s15
	v_cmp_gt_i64_e32 vcc_lo, s[8:9], v[62:63]
	s_mov_b32 s0, 0
	s_delay_alu instid0(SALU_CYCLE_1)
	v_mov_b32_e32 v142, s0
	v_cndmask_b32_e64 v141, 0, 1, vcc_lo
.LBB317_800:
	s_or_b32 exec_lo, exec_lo, s14
.LBB317_801:
	v_mul_lo_u32 v58, v32, s8
	v_mul_lo_u32 v61, v31, s9
	v_mad_u64_u32 v[59:60], null, v31, s8, 0
	v_cmp_ne_u32_e32 vcc_lo, 1, v65
	s_delay_alu instid0(VALU_DEP_2)
	v_add3_u32 v64, v60, v61, v58
	s_cbranch_vccnz .LBB317_810
; %bb.802:
	v_add_co_u32 v57, vcc_lo, s10, v57
	v_add_co_ci_u32_e32 v58, vcc_lo, s11, v66, vcc_lo
	v_add_co_u32 v60, vcc_lo, s10, v59
	v_add_co_ci_u32_e32 v61, vcc_lo, s11, v64, vcc_lo
	v_mov_b32_e32 v143, 1
	s_clause 0x1
	global_load_u8 v62, v[57:58], off
	global_load_u8 v63, v[60:61], off
	v_mov_b32_e32 v144, 0
	s_mov_b32 s14, exec_lo
	s_waitcnt vmcnt(0)
	v_cmpx_eq_u16_e64 v62, v63
	s_cbranch_execz .LBB317_809
; %bb.803:
	s_mov_b64 s[0:1], 1
	s_mov_b32 s15, 0
                                        ; implicit-def: $sgpr18
	s_set_inst_prefetch_distance 0x1
	s_branch .LBB317_806
	.p2align	6
.LBB317_804:                            ;   in Loop: Header=BB317_806 Depth=1
	v_add_co_u32 v62, vcc_lo, v57, s0
	v_add_co_ci_u32_e32 v63, vcc_lo, s1, v58, vcc_lo
	v_add_co_u32 v66, vcc_lo, v60, s0
	v_add_co_ci_u32_e32 v67, vcc_lo, s1, v61, vcc_lo
	s_add_u32 s12, s0, 1
	s_clause 0x1
	global_load_u8 v62, v[62:63], off
	global_load_u8 v63, v[66:67], off
	s_addc_u32 s13, s1, 0
	s_and_not1_b32 s18, s18, exec_lo
	s_waitcnt vmcnt(0)
	v_cmp_ne_u16_e32 vcc_lo, v62, v63
	s_and_b32 s19, vcc_lo, exec_lo
	s_delay_alu instid0(SALU_CYCLE_1)
	s_or_b32 s18, s18, s19
.LBB317_805:                            ;   in Loop: Header=BB317_806 Depth=1
	v_dual_mov_b32 v63, s1 :: v_dual_mov_b32 v62, s0
	s_and_b32 s19, exec_lo, s18
	s_mov_b64 s[0:1], s[12:13]
	s_or_b32 s15, s19, s15
	s_delay_alu instid0(SALU_CYCLE_1)
	s_and_not1_b32 exec_lo, exec_lo, s15
	s_cbranch_execz .LBB317_808
.LBB317_806:                            ; =>This Inner Loop Header: Depth=1
	s_or_b32 s18, s18, exec_lo
	s_cmp_eq_u64 s[8:9], s[0:1]
	s_cbranch_scc0 .LBB317_804
; %bb.807:                              ;   in Loop: Header=BB317_806 Depth=1
	s_mov_b64 s[0:1], s[8:9]
                                        ; implicit-def: $sgpr12_sgpr13
	s_branch .LBB317_805
.LBB317_808:
	s_set_inst_prefetch_distance 0x2
	s_or_b32 exec_lo, exec_lo, s15
	v_cmp_gt_i64_e32 vcc_lo, s[8:9], v[62:63]
	s_mov_b32 s0, 0
	s_delay_alu instid0(SALU_CYCLE_1)
	v_mov_b32_e32 v144, s0
	v_cndmask_b32_e64 v143, 0, 1, vcc_lo
.LBB317_809:
	s_or_b32 exec_lo, exec_lo, s14
.LBB317_810:
	v_mul_lo_u32 v60, v30, s8
	v_mul_lo_u32 v61, v29, s9
	v_mad_u64_u32 v[57:58], null, v29, s8, 0
	v_mov_b32_e32 v147, 0
	v_mov_b32_e32 v148, 0
	v_cmp_ne_u32_e32 vcc_lo, 1, v65
	s_delay_alu instid0(VALU_DEP_2)
	v_dual_mov_b32 v145, v147 :: v_dual_mov_b32 v146, v148
	v_add3_u32 v66, v58, v61, v60
	s_cbranch_vccnz .LBB317_819
; %bb.811:
	v_add_co_u32 v58, vcc_lo, s10, v59
	v_add_co_ci_u32_e32 v59, vcc_lo, s11, v64, vcc_lo
	v_add_co_u32 v60, vcc_lo, s10, v57
	v_add_co_ci_u32_e32 v61, vcc_lo, s11, v66, vcc_lo
	v_mov_b32_e32 v145, 1
	s_clause 0x1
	global_load_u8 v62, v[58:59], off
	global_load_u8 v63, v[60:61], off
	v_mov_b32_e32 v146, 0
	s_mov_b32 s14, exec_lo
	s_waitcnt vmcnt(0)
	v_cmpx_eq_u16_e64 v62, v63
	s_cbranch_execz .LBB317_818
; %bb.812:
	s_mov_b64 s[0:1], 1
	s_mov_b32 s15, 0
                                        ; implicit-def: $sgpr18
	s_set_inst_prefetch_distance 0x1
	s_branch .LBB317_815
	.p2align	6
.LBB317_813:                            ;   in Loop: Header=BB317_815 Depth=1
	v_add_co_u32 v62, vcc_lo, v58, s0
	v_add_co_ci_u32_e32 v63, vcc_lo, s1, v59, vcc_lo
	v_add_co_u32 v67, vcc_lo, v60, s0
	v_add_co_ci_u32_e32 v68, vcc_lo, s1, v61, vcc_lo
	s_add_u32 s12, s0, 1
	s_clause 0x1
	global_load_u8 v62, v[62:63], off
	global_load_u8 v63, v[67:68], off
	s_addc_u32 s13, s1, 0
	s_and_not1_b32 s18, s18, exec_lo
	s_waitcnt vmcnt(0)
	v_cmp_ne_u16_e32 vcc_lo, v62, v63
	s_and_b32 s19, vcc_lo, exec_lo
	s_delay_alu instid0(SALU_CYCLE_1)
	s_or_b32 s18, s18, s19
.LBB317_814:                            ;   in Loop: Header=BB317_815 Depth=1
	v_dual_mov_b32 v63, s1 :: v_dual_mov_b32 v62, s0
	s_and_b32 s19, exec_lo, s18
	s_mov_b64 s[0:1], s[12:13]
	s_or_b32 s15, s19, s15
	s_delay_alu instid0(SALU_CYCLE_1)
	s_and_not1_b32 exec_lo, exec_lo, s15
	s_cbranch_execz .LBB317_817
.LBB317_815:                            ; =>This Inner Loop Header: Depth=1
	s_or_b32 s18, s18, exec_lo
	s_cmp_eq_u64 s[8:9], s[0:1]
	s_cbranch_scc0 .LBB317_813
; %bb.816:                              ;   in Loop: Header=BB317_815 Depth=1
	s_mov_b64 s[0:1], s[8:9]
                                        ; implicit-def: $sgpr12_sgpr13
	s_branch .LBB317_814
.LBB317_817:
	s_set_inst_prefetch_distance 0x2
	s_or_b32 exec_lo, exec_lo, s15
	v_cmp_gt_i64_e32 vcc_lo, s[8:9], v[62:63]
	s_mov_b32 s0, 0
	s_delay_alu instid0(SALU_CYCLE_1)
	v_mov_b32_e32 v146, s0
	v_cndmask_b32_e64 v145, 0, 1, vcc_lo
.LBB317_818:
	s_or_b32 exec_lo, exec_lo, s14
.LBB317_819:
	v_mul_lo_u32 v58, v28, s8
	v_mul_lo_u32 v61, v27, s9
	v_mad_u64_u32 v[59:60], null, v27, s8, 0
	v_cmp_ne_u32_e32 vcc_lo, 1, v65
	s_delay_alu instid0(VALU_DEP_2)
	v_add3_u32 v64, v60, v61, v58
	s_cbranch_vccnz .LBB317_828
; %bb.820:
	v_add_co_u32 v57, vcc_lo, s10, v57
	v_add_co_ci_u32_e32 v58, vcc_lo, s11, v66, vcc_lo
	v_add_co_u32 v60, vcc_lo, s10, v59
	v_add_co_ci_u32_e32 v61, vcc_lo, s11, v64, vcc_lo
	v_mov_b32_e32 v147, 1
	s_clause 0x1
	global_load_u8 v62, v[57:58], off
	global_load_u8 v63, v[60:61], off
	v_mov_b32_e32 v148, 0
	s_mov_b32 s14, exec_lo
	s_waitcnt vmcnt(0)
	v_cmpx_eq_u16_e64 v62, v63
	s_cbranch_execz .LBB317_827
; %bb.821:
	s_mov_b64 s[0:1], 1
	s_mov_b32 s15, 0
                                        ; implicit-def: $sgpr18
	s_set_inst_prefetch_distance 0x1
	s_branch .LBB317_824
	.p2align	6
.LBB317_822:                            ;   in Loop: Header=BB317_824 Depth=1
	v_add_co_u32 v62, vcc_lo, v57, s0
	v_add_co_ci_u32_e32 v63, vcc_lo, s1, v58, vcc_lo
	v_add_co_u32 v66, vcc_lo, v60, s0
	v_add_co_ci_u32_e32 v67, vcc_lo, s1, v61, vcc_lo
	s_add_u32 s12, s0, 1
	s_clause 0x1
	global_load_u8 v62, v[62:63], off
	global_load_u8 v63, v[66:67], off
	s_addc_u32 s13, s1, 0
	s_and_not1_b32 s18, s18, exec_lo
	s_waitcnt vmcnt(0)
	v_cmp_ne_u16_e32 vcc_lo, v62, v63
	s_and_b32 s19, vcc_lo, exec_lo
	s_delay_alu instid0(SALU_CYCLE_1)
	s_or_b32 s18, s18, s19
.LBB317_823:                            ;   in Loop: Header=BB317_824 Depth=1
	v_dual_mov_b32 v63, s1 :: v_dual_mov_b32 v62, s0
	s_and_b32 s19, exec_lo, s18
	s_mov_b64 s[0:1], s[12:13]
	s_or_b32 s15, s19, s15
	s_delay_alu instid0(SALU_CYCLE_1)
	s_and_not1_b32 exec_lo, exec_lo, s15
	s_cbranch_execz .LBB317_826
.LBB317_824:                            ; =>This Inner Loop Header: Depth=1
	s_or_b32 s18, s18, exec_lo
	s_cmp_eq_u64 s[8:9], s[0:1]
	s_cbranch_scc0 .LBB317_822
; %bb.825:                              ;   in Loop: Header=BB317_824 Depth=1
	s_mov_b64 s[0:1], s[8:9]
                                        ; implicit-def: $sgpr12_sgpr13
	s_branch .LBB317_823
.LBB317_826:
	s_set_inst_prefetch_distance 0x2
	s_or_b32 exec_lo, exec_lo, s15
	v_cmp_gt_i64_e32 vcc_lo, s[8:9], v[62:63]
	s_mov_b32 s0, 0
	s_delay_alu instid0(SALU_CYCLE_1)
	v_mov_b32_e32 v148, s0
	v_cndmask_b32_e64 v147, 0, 1, vcc_lo
.LBB317_827:
	s_or_b32 exec_lo, exec_lo, s14
.LBB317_828:
	v_mul_lo_u32 v60, v26, s8
	v_mul_lo_u32 v61, v25, s9
	v_mad_u64_u32 v[57:58], null, v25, s8, 0
	v_mov_b32_e32 v151, 0
	v_mov_b32_e32 v152, 0
	v_cmp_ne_u32_e32 vcc_lo, 1, v65
	s_delay_alu instid0(VALU_DEP_2)
	v_dual_mov_b32 v149, v151 :: v_dual_mov_b32 v150, v152
	v_add3_u32 v66, v58, v61, v60
	s_cbranch_vccnz .LBB317_837
; %bb.829:
	v_add_co_u32 v58, vcc_lo, s10, v59
	v_add_co_ci_u32_e32 v59, vcc_lo, s11, v64, vcc_lo
	v_add_co_u32 v60, vcc_lo, s10, v57
	v_add_co_ci_u32_e32 v61, vcc_lo, s11, v66, vcc_lo
	v_mov_b32_e32 v149, 1
	s_clause 0x1
	global_load_u8 v62, v[58:59], off
	global_load_u8 v63, v[60:61], off
	v_mov_b32_e32 v150, 0
	s_mov_b32 s14, exec_lo
	s_waitcnt vmcnt(0)
	v_cmpx_eq_u16_e64 v62, v63
	s_cbranch_execz .LBB317_836
; %bb.830:
	s_mov_b64 s[0:1], 1
	s_mov_b32 s15, 0
                                        ; implicit-def: $sgpr18
	s_set_inst_prefetch_distance 0x1
	s_branch .LBB317_833
	.p2align	6
.LBB317_831:                            ;   in Loop: Header=BB317_833 Depth=1
	v_add_co_u32 v62, vcc_lo, v58, s0
	v_add_co_ci_u32_e32 v63, vcc_lo, s1, v59, vcc_lo
	v_add_co_u32 v67, vcc_lo, v60, s0
	v_add_co_ci_u32_e32 v68, vcc_lo, s1, v61, vcc_lo
	s_add_u32 s12, s0, 1
	s_clause 0x1
	global_load_u8 v62, v[62:63], off
	global_load_u8 v63, v[67:68], off
	s_addc_u32 s13, s1, 0
	s_and_not1_b32 s18, s18, exec_lo
	s_waitcnt vmcnt(0)
	v_cmp_ne_u16_e32 vcc_lo, v62, v63
	s_and_b32 s19, vcc_lo, exec_lo
	s_delay_alu instid0(SALU_CYCLE_1)
	s_or_b32 s18, s18, s19
.LBB317_832:                            ;   in Loop: Header=BB317_833 Depth=1
	v_dual_mov_b32 v63, s1 :: v_dual_mov_b32 v62, s0
	s_and_b32 s19, exec_lo, s18
	s_mov_b64 s[0:1], s[12:13]
	s_or_b32 s15, s19, s15
	s_delay_alu instid0(SALU_CYCLE_1)
	s_and_not1_b32 exec_lo, exec_lo, s15
	s_cbranch_execz .LBB317_835
.LBB317_833:                            ; =>This Inner Loop Header: Depth=1
	s_or_b32 s18, s18, exec_lo
	s_cmp_eq_u64 s[8:9], s[0:1]
	s_cbranch_scc0 .LBB317_831
; %bb.834:                              ;   in Loop: Header=BB317_833 Depth=1
	s_mov_b64 s[0:1], s[8:9]
                                        ; implicit-def: $sgpr12_sgpr13
	s_branch .LBB317_832
.LBB317_835:
	s_set_inst_prefetch_distance 0x2
	s_or_b32 exec_lo, exec_lo, s15
	v_cmp_gt_i64_e32 vcc_lo, s[8:9], v[62:63]
	s_mov_b32 s0, 0
	s_delay_alu instid0(SALU_CYCLE_1)
	v_mov_b32_e32 v150, s0
	v_cndmask_b32_e64 v149, 0, 1, vcc_lo
.LBB317_836:
	s_or_b32 exec_lo, exec_lo, s14
.LBB317_837:
	v_mul_lo_u32 v58, v24, s8
	v_mul_lo_u32 v61, v23, s9
	v_mad_u64_u32 v[59:60], null, v23, s8, 0
	v_cmp_ne_u32_e32 vcc_lo, 1, v65
	s_delay_alu instid0(VALU_DEP_2)
	v_add3_u32 v64, v60, v61, v58
	s_cbranch_vccnz .LBB317_846
; %bb.838:
	v_add_co_u32 v57, vcc_lo, s10, v57
	v_add_co_ci_u32_e32 v58, vcc_lo, s11, v66, vcc_lo
	v_add_co_u32 v60, vcc_lo, s10, v59
	v_add_co_ci_u32_e32 v61, vcc_lo, s11, v64, vcc_lo
	v_mov_b32_e32 v151, 1
	s_clause 0x1
	global_load_u8 v62, v[57:58], off
	global_load_u8 v63, v[60:61], off
	v_mov_b32_e32 v152, 0
	s_mov_b32 s14, exec_lo
	s_waitcnt vmcnt(0)
	v_cmpx_eq_u16_e64 v62, v63
	s_cbranch_execz .LBB317_845
; %bb.839:
	s_mov_b64 s[0:1], 1
	s_mov_b32 s15, 0
                                        ; implicit-def: $sgpr18
	s_set_inst_prefetch_distance 0x1
	s_branch .LBB317_842
	.p2align	6
.LBB317_840:                            ;   in Loop: Header=BB317_842 Depth=1
	v_add_co_u32 v62, vcc_lo, v57, s0
	v_add_co_ci_u32_e32 v63, vcc_lo, s1, v58, vcc_lo
	v_add_co_u32 v66, vcc_lo, v60, s0
	v_add_co_ci_u32_e32 v67, vcc_lo, s1, v61, vcc_lo
	s_add_u32 s12, s0, 1
	s_clause 0x1
	global_load_u8 v62, v[62:63], off
	global_load_u8 v63, v[66:67], off
	s_addc_u32 s13, s1, 0
	s_and_not1_b32 s18, s18, exec_lo
	s_waitcnt vmcnt(0)
	v_cmp_ne_u16_e32 vcc_lo, v62, v63
	s_and_b32 s19, vcc_lo, exec_lo
	s_delay_alu instid0(SALU_CYCLE_1)
	s_or_b32 s18, s18, s19
.LBB317_841:                            ;   in Loop: Header=BB317_842 Depth=1
	v_dual_mov_b32 v63, s1 :: v_dual_mov_b32 v62, s0
	s_and_b32 s19, exec_lo, s18
	s_mov_b64 s[0:1], s[12:13]
	s_or_b32 s15, s19, s15
	s_delay_alu instid0(SALU_CYCLE_1)
	s_and_not1_b32 exec_lo, exec_lo, s15
	s_cbranch_execz .LBB317_844
.LBB317_842:                            ; =>This Inner Loop Header: Depth=1
	s_or_b32 s18, s18, exec_lo
	s_cmp_eq_u64 s[8:9], s[0:1]
	s_cbranch_scc0 .LBB317_840
; %bb.843:                              ;   in Loop: Header=BB317_842 Depth=1
	s_mov_b64 s[0:1], s[8:9]
                                        ; implicit-def: $sgpr12_sgpr13
	s_branch .LBB317_841
.LBB317_844:
	s_set_inst_prefetch_distance 0x2
	s_or_b32 exec_lo, exec_lo, s15
	v_cmp_gt_i64_e32 vcc_lo, s[8:9], v[62:63]
	s_mov_b32 s0, 0
	s_delay_alu instid0(SALU_CYCLE_1)
	v_mov_b32_e32 v152, s0
	v_cndmask_b32_e64 v151, 0, 1, vcc_lo
.LBB317_845:
	s_or_b32 exec_lo, exec_lo, s14
.LBB317_846:
	v_mul_lo_u32 v60, v22, s8
	v_mul_lo_u32 v61, v21, s9
	v_mad_u64_u32 v[57:58], null, v21, s8, 0
	v_mov_b32_e32 v155, 0
	v_mov_b32_e32 v156, 0
	v_cmp_ne_u32_e32 vcc_lo, 1, v65
	s_delay_alu instid0(VALU_DEP_2)
	v_dual_mov_b32 v153, v155 :: v_dual_mov_b32 v154, v156
	v_add3_u32 v66, v58, v61, v60
	s_cbranch_vccnz .LBB317_855
; %bb.847:
	v_add_co_u32 v58, vcc_lo, s10, v59
	v_add_co_ci_u32_e32 v59, vcc_lo, s11, v64, vcc_lo
	v_add_co_u32 v60, vcc_lo, s10, v57
	v_add_co_ci_u32_e32 v61, vcc_lo, s11, v66, vcc_lo
	v_mov_b32_e32 v153, 1
	s_clause 0x1
	global_load_u8 v62, v[58:59], off
	global_load_u8 v63, v[60:61], off
	v_mov_b32_e32 v154, 0
	s_mov_b32 s14, exec_lo
	s_waitcnt vmcnt(0)
	v_cmpx_eq_u16_e64 v62, v63
	s_cbranch_execz .LBB317_854
; %bb.848:
	s_mov_b64 s[0:1], 1
	s_mov_b32 s15, 0
                                        ; implicit-def: $sgpr18
	s_set_inst_prefetch_distance 0x1
	s_branch .LBB317_851
	.p2align	6
.LBB317_849:                            ;   in Loop: Header=BB317_851 Depth=1
	v_add_co_u32 v62, vcc_lo, v58, s0
	v_add_co_ci_u32_e32 v63, vcc_lo, s1, v59, vcc_lo
	v_add_co_u32 v67, vcc_lo, v60, s0
	v_add_co_ci_u32_e32 v68, vcc_lo, s1, v61, vcc_lo
	s_add_u32 s12, s0, 1
	s_clause 0x1
	global_load_u8 v62, v[62:63], off
	global_load_u8 v63, v[67:68], off
	s_addc_u32 s13, s1, 0
	s_and_not1_b32 s18, s18, exec_lo
	s_waitcnt vmcnt(0)
	v_cmp_ne_u16_e32 vcc_lo, v62, v63
	s_and_b32 s19, vcc_lo, exec_lo
	s_delay_alu instid0(SALU_CYCLE_1)
	s_or_b32 s18, s18, s19
.LBB317_850:                            ;   in Loop: Header=BB317_851 Depth=1
	v_dual_mov_b32 v63, s1 :: v_dual_mov_b32 v62, s0
	s_and_b32 s19, exec_lo, s18
	s_mov_b64 s[0:1], s[12:13]
	s_or_b32 s15, s19, s15
	s_delay_alu instid0(SALU_CYCLE_1)
	s_and_not1_b32 exec_lo, exec_lo, s15
	s_cbranch_execz .LBB317_853
.LBB317_851:                            ; =>This Inner Loop Header: Depth=1
	s_or_b32 s18, s18, exec_lo
	s_cmp_eq_u64 s[8:9], s[0:1]
	s_cbranch_scc0 .LBB317_849
; %bb.852:                              ;   in Loop: Header=BB317_851 Depth=1
	s_mov_b64 s[0:1], s[8:9]
                                        ; implicit-def: $sgpr12_sgpr13
	s_branch .LBB317_850
.LBB317_853:
	s_set_inst_prefetch_distance 0x2
	s_or_b32 exec_lo, exec_lo, s15
	v_cmp_gt_i64_e32 vcc_lo, s[8:9], v[62:63]
	s_mov_b32 s0, 0
	s_delay_alu instid0(SALU_CYCLE_1)
	v_mov_b32_e32 v154, s0
	v_cndmask_b32_e64 v153, 0, 1, vcc_lo
.LBB317_854:
	s_or_b32 exec_lo, exec_lo, s14
.LBB317_855:
	v_mul_lo_u32 v58, v20, s8
	v_mul_lo_u32 v61, v19, s9
	v_mad_u64_u32 v[59:60], null, v19, s8, 0
	v_cmp_ne_u32_e32 vcc_lo, 1, v65
	s_delay_alu instid0(VALU_DEP_2)
	v_add3_u32 v64, v60, v61, v58
	s_cbranch_vccnz .LBB317_864
; %bb.856:
	v_add_co_u32 v57, vcc_lo, s10, v57
	v_add_co_ci_u32_e32 v58, vcc_lo, s11, v66, vcc_lo
	v_add_co_u32 v60, vcc_lo, s10, v59
	v_add_co_ci_u32_e32 v61, vcc_lo, s11, v64, vcc_lo
	v_mov_b32_e32 v155, 1
	s_clause 0x1
	global_load_u8 v62, v[57:58], off
	global_load_u8 v63, v[60:61], off
	v_mov_b32_e32 v156, 0
	s_mov_b32 s14, exec_lo
	s_waitcnt vmcnt(0)
	v_cmpx_eq_u16_e64 v62, v63
	s_cbranch_execz .LBB317_863
; %bb.857:
	s_mov_b64 s[0:1], 1
	s_mov_b32 s15, 0
                                        ; implicit-def: $sgpr18
	s_set_inst_prefetch_distance 0x1
	s_branch .LBB317_860
	.p2align	6
.LBB317_858:                            ;   in Loop: Header=BB317_860 Depth=1
	v_add_co_u32 v62, vcc_lo, v57, s0
	v_add_co_ci_u32_e32 v63, vcc_lo, s1, v58, vcc_lo
	v_add_co_u32 v66, vcc_lo, v60, s0
	v_add_co_ci_u32_e32 v67, vcc_lo, s1, v61, vcc_lo
	s_add_u32 s12, s0, 1
	s_clause 0x1
	global_load_u8 v62, v[62:63], off
	global_load_u8 v63, v[66:67], off
	s_addc_u32 s13, s1, 0
	s_and_not1_b32 s18, s18, exec_lo
	s_waitcnt vmcnt(0)
	v_cmp_ne_u16_e32 vcc_lo, v62, v63
	s_and_b32 s19, vcc_lo, exec_lo
	s_delay_alu instid0(SALU_CYCLE_1)
	s_or_b32 s18, s18, s19
.LBB317_859:                            ;   in Loop: Header=BB317_860 Depth=1
	v_dual_mov_b32 v63, s1 :: v_dual_mov_b32 v62, s0
	s_and_b32 s19, exec_lo, s18
	s_mov_b64 s[0:1], s[12:13]
	s_or_b32 s15, s19, s15
	s_delay_alu instid0(SALU_CYCLE_1)
	s_and_not1_b32 exec_lo, exec_lo, s15
	s_cbranch_execz .LBB317_862
.LBB317_860:                            ; =>This Inner Loop Header: Depth=1
	s_or_b32 s18, s18, exec_lo
	s_cmp_eq_u64 s[8:9], s[0:1]
	s_cbranch_scc0 .LBB317_858
; %bb.861:                              ;   in Loop: Header=BB317_860 Depth=1
	s_mov_b64 s[0:1], s[8:9]
                                        ; implicit-def: $sgpr12_sgpr13
	s_branch .LBB317_859
.LBB317_862:
	s_set_inst_prefetch_distance 0x2
	s_or_b32 exec_lo, exec_lo, s15
	v_cmp_gt_i64_e32 vcc_lo, s[8:9], v[62:63]
	s_mov_b32 s0, 0
	s_delay_alu instid0(SALU_CYCLE_1)
	v_mov_b32_e32 v156, s0
	v_cndmask_b32_e64 v155, 0, 1, vcc_lo
.LBB317_863:
	s_or_b32 exec_lo, exec_lo, s14
.LBB317_864:
	v_mul_lo_u32 v60, v18, s8
	v_mul_lo_u32 v61, v17, s9
	v_mad_u64_u32 v[57:58], null, v17, s8, 0
	v_mov_b32_e32 v159, 0
	v_mov_b32_e32 v160, 0
	v_cmp_ne_u32_e32 vcc_lo, 1, v65
	s_delay_alu instid0(VALU_DEP_2)
	v_dual_mov_b32 v157, v159 :: v_dual_mov_b32 v158, v160
	v_add3_u32 v66, v58, v61, v60
	s_cbranch_vccnz .LBB317_873
; %bb.865:
	v_add_co_u32 v58, vcc_lo, s10, v59
	v_add_co_ci_u32_e32 v59, vcc_lo, s11, v64, vcc_lo
	v_add_co_u32 v60, vcc_lo, s10, v57
	v_add_co_ci_u32_e32 v61, vcc_lo, s11, v66, vcc_lo
	v_mov_b32_e32 v157, 1
	s_clause 0x1
	global_load_u8 v62, v[58:59], off
	global_load_u8 v63, v[60:61], off
	v_mov_b32_e32 v158, 0
	s_mov_b32 s14, exec_lo
	s_waitcnt vmcnt(0)
	v_cmpx_eq_u16_e64 v62, v63
	s_cbranch_execz .LBB317_872
; %bb.866:
	s_mov_b64 s[0:1], 1
	s_mov_b32 s15, 0
                                        ; implicit-def: $sgpr18
	s_set_inst_prefetch_distance 0x1
	s_branch .LBB317_869
	.p2align	6
.LBB317_867:                            ;   in Loop: Header=BB317_869 Depth=1
	v_add_co_u32 v62, vcc_lo, v58, s0
	v_add_co_ci_u32_e32 v63, vcc_lo, s1, v59, vcc_lo
	v_add_co_u32 v67, vcc_lo, v60, s0
	v_add_co_ci_u32_e32 v68, vcc_lo, s1, v61, vcc_lo
	s_add_u32 s12, s0, 1
	s_clause 0x1
	global_load_u8 v62, v[62:63], off
	global_load_u8 v63, v[67:68], off
	s_addc_u32 s13, s1, 0
	s_and_not1_b32 s18, s18, exec_lo
	s_waitcnt vmcnt(0)
	v_cmp_ne_u16_e32 vcc_lo, v62, v63
	s_and_b32 s19, vcc_lo, exec_lo
	s_delay_alu instid0(SALU_CYCLE_1)
	s_or_b32 s18, s18, s19
.LBB317_868:                            ;   in Loop: Header=BB317_869 Depth=1
	v_dual_mov_b32 v63, s1 :: v_dual_mov_b32 v62, s0
	s_and_b32 s19, exec_lo, s18
	s_mov_b64 s[0:1], s[12:13]
	s_or_b32 s15, s19, s15
	s_delay_alu instid0(SALU_CYCLE_1)
	s_and_not1_b32 exec_lo, exec_lo, s15
	s_cbranch_execz .LBB317_871
.LBB317_869:                            ; =>This Inner Loop Header: Depth=1
	s_or_b32 s18, s18, exec_lo
	s_cmp_eq_u64 s[8:9], s[0:1]
	s_cbranch_scc0 .LBB317_867
; %bb.870:                              ;   in Loop: Header=BB317_869 Depth=1
	s_mov_b64 s[0:1], s[8:9]
                                        ; implicit-def: $sgpr12_sgpr13
	s_branch .LBB317_868
.LBB317_871:
	s_set_inst_prefetch_distance 0x2
	s_or_b32 exec_lo, exec_lo, s15
	v_cmp_gt_i64_e32 vcc_lo, s[8:9], v[62:63]
	s_mov_b32 s0, 0
	s_delay_alu instid0(SALU_CYCLE_1)
	v_mov_b32_e32 v158, s0
	v_cndmask_b32_e64 v157, 0, 1, vcc_lo
.LBB317_872:
	s_or_b32 exec_lo, exec_lo, s14
.LBB317_873:
	v_mul_lo_u32 v58, v16, s8
	v_mul_lo_u32 v61, v15, s9
	v_mad_u64_u32 v[59:60], null, v15, s8, 0
	v_cmp_ne_u32_e32 vcc_lo, 1, v65
	s_delay_alu instid0(VALU_DEP_2)
	v_add3_u32 v64, v60, v61, v58
	s_cbranch_vccnz .LBB317_882
; %bb.874:
	v_add_co_u32 v57, vcc_lo, s10, v57
	v_add_co_ci_u32_e32 v58, vcc_lo, s11, v66, vcc_lo
	v_add_co_u32 v60, vcc_lo, s10, v59
	v_add_co_ci_u32_e32 v61, vcc_lo, s11, v64, vcc_lo
	v_mov_b32_e32 v159, 1
	s_clause 0x1
	global_load_u8 v62, v[57:58], off
	global_load_u8 v63, v[60:61], off
	v_mov_b32_e32 v160, 0
	s_mov_b32 s14, exec_lo
	s_waitcnt vmcnt(0)
	v_cmpx_eq_u16_e64 v62, v63
	s_cbranch_execz .LBB317_881
; %bb.875:
	s_mov_b64 s[0:1], 1
	s_mov_b32 s15, 0
                                        ; implicit-def: $sgpr18
	s_set_inst_prefetch_distance 0x1
	s_branch .LBB317_878
	.p2align	6
.LBB317_876:                            ;   in Loop: Header=BB317_878 Depth=1
	v_add_co_u32 v62, vcc_lo, v57, s0
	v_add_co_ci_u32_e32 v63, vcc_lo, s1, v58, vcc_lo
	v_add_co_u32 v66, vcc_lo, v60, s0
	v_add_co_ci_u32_e32 v67, vcc_lo, s1, v61, vcc_lo
	s_add_u32 s12, s0, 1
	s_clause 0x1
	global_load_u8 v62, v[62:63], off
	global_load_u8 v63, v[66:67], off
	s_addc_u32 s13, s1, 0
	s_and_not1_b32 s18, s18, exec_lo
	s_waitcnt vmcnt(0)
	v_cmp_ne_u16_e32 vcc_lo, v62, v63
	s_and_b32 s19, vcc_lo, exec_lo
	s_delay_alu instid0(SALU_CYCLE_1)
	s_or_b32 s18, s18, s19
.LBB317_877:                            ;   in Loop: Header=BB317_878 Depth=1
	v_dual_mov_b32 v63, s1 :: v_dual_mov_b32 v62, s0
	s_and_b32 s19, exec_lo, s18
	s_mov_b64 s[0:1], s[12:13]
	s_or_b32 s15, s19, s15
	s_delay_alu instid0(SALU_CYCLE_1)
	s_and_not1_b32 exec_lo, exec_lo, s15
	s_cbranch_execz .LBB317_880
.LBB317_878:                            ; =>This Inner Loop Header: Depth=1
	s_or_b32 s18, s18, exec_lo
	s_cmp_eq_u64 s[8:9], s[0:1]
	s_cbranch_scc0 .LBB317_876
; %bb.879:                              ;   in Loop: Header=BB317_878 Depth=1
	s_mov_b64 s[0:1], s[8:9]
                                        ; implicit-def: $sgpr12_sgpr13
	s_branch .LBB317_877
.LBB317_880:
	s_set_inst_prefetch_distance 0x2
	s_or_b32 exec_lo, exec_lo, s15
	v_cmp_gt_i64_e32 vcc_lo, s[8:9], v[62:63]
	s_mov_b32 s0, 0
	s_delay_alu instid0(SALU_CYCLE_1)
	v_mov_b32_e32 v160, s0
	v_cndmask_b32_e64 v159, 0, 1, vcc_lo
.LBB317_881:
	s_or_b32 exec_lo, exec_lo, s14
.LBB317_882:
	v_mul_lo_u32 v60, v14, s8
	v_mul_lo_u32 v61, v13, s9
	v_mad_u64_u32 v[57:58], null, v13, s8, 0
	v_mov_b32_e32 v163, 0
	v_mov_b32_e32 v164, 0
	v_cmp_ne_u32_e32 vcc_lo, 1, v65
	s_delay_alu instid0(VALU_DEP_2)
	v_dual_mov_b32 v161, v163 :: v_dual_mov_b32 v162, v164
	v_add3_u32 v66, v58, v61, v60
	s_cbranch_vccnz .LBB317_891
; %bb.883:
	v_add_co_u32 v58, vcc_lo, s10, v59
	v_add_co_ci_u32_e32 v59, vcc_lo, s11, v64, vcc_lo
	v_add_co_u32 v60, vcc_lo, s10, v57
	v_add_co_ci_u32_e32 v61, vcc_lo, s11, v66, vcc_lo
	v_mov_b32_e32 v161, 1
	s_clause 0x1
	global_load_u8 v62, v[58:59], off
	global_load_u8 v63, v[60:61], off
	v_mov_b32_e32 v162, 0
	s_mov_b32 s14, exec_lo
	s_waitcnt vmcnt(0)
	v_cmpx_eq_u16_e64 v62, v63
	s_cbranch_execz .LBB317_890
; %bb.884:
	s_mov_b64 s[0:1], 1
	s_mov_b32 s15, 0
                                        ; implicit-def: $sgpr18
	s_set_inst_prefetch_distance 0x1
	s_branch .LBB317_887
	.p2align	6
.LBB317_885:                            ;   in Loop: Header=BB317_887 Depth=1
	v_add_co_u32 v62, vcc_lo, v58, s0
	v_add_co_ci_u32_e32 v63, vcc_lo, s1, v59, vcc_lo
	v_add_co_u32 v67, vcc_lo, v60, s0
	v_add_co_ci_u32_e32 v68, vcc_lo, s1, v61, vcc_lo
	s_add_u32 s12, s0, 1
	s_clause 0x1
	global_load_u8 v62, v[62:63], off
	global_load_u8 v63, v[67:68], off
	s_addc_u32 s13, s1, 0
	s_and_not1_b32 s18, s18, exec_lo
	s_waitcnt vmcnt(0)
	v_cmp_ne_u16_e32 vcc_lo, v62, v63
	s_and_b32 s19, vcc_lo, exec_lo
	s_delay_alu instid0(SALU_CYCLE_1)
	s_or_b32 s18, s18, s19
.LBB317_886:                            ;   in Loop: Header=BB317_887 Depth=1
	v_dual_mov_b32 v63, s1 :: v_dual_mov_b32 v62, s0
	s_and_b32 s19, exec_lo, s18
	s_mov_b64 s[0:1], s[12:13]
	s_or_b32 s15, s19, s15
	s_delay_alu instid0(SALU_CYCLE_1)
	s_and_not1_b32 exec_lo, exec_lo, s15
	s_cbranch_execz .LBB317_889
.LBB317_887:                            ; =>This Inner Loop Header: Depth=1
	s_or_b32 s18, s18, exec_lo
	s_cmp_eq_u64 s[8:9], s[0:1]
	s_cbranch_scc0 .LBB317_885
; %bb.888:                              ;   in Loop: Header=BB317_887 Depth=1
	s_mov_b64 s[0:1], s[8:9]
                                        ; implicit-def: $sgpr12_sgpr13
	s_branch .LBB317_886
.LBB317_889:
	s_set_inst_prefetch_distance 0x2
	s_or_b32 exec_lo, exec_lo, s15
	v_cmp_gt_i64_e32 vcc_lo, s[8:9], v[62:63]
	s_mov_b32 s0, 0
	s_delay_alu instid0(SALU_CYCLE_1)
	v_mov_b32_e32 v162, s0
	v_cndmask_b32_e64 v161, 0, 1, vcc_lo
.LBB317_890:
	s_or_b32 exec_lo, exec_lo, s14
.LBB317_891:
	v_mul_lo_u32 v60, v4, s8
	v_mul_lo_u32 v61, v3, s9
	v_mad_u64_u32 v[58:59], null, v3, s8, 0
	v_cmp_ne_u32_e32 vcc_lo, 1, v65
	s_delay_alu instid0(VALU_DEP_2)
	v_add3_u32 v67, v59, v61, v60
	s_cbranch_vccnz .LBB317_900
; %bb.892:
	v_add_co_u32 v59, vcc_lo, s10, v57
	v_add_co_ci_u32_e32 v60, vcc_lo, s11, v66, vcc_lo
	v_add_co_u32 v61, vcc_lo, s10, v58
	v_add_co_ci_u32_e32 v62, vcc_lo, s11, v67, vcc_lo
	v_mov_b32_e32 v163, 1
	s_clause 0x1
	global_load_u8 v57, v[59:60], off
	global_load_u8 v63, v[61:62], off
	v_mov_b32_e32 v164, 0
	s_mov_b32 s14, exec_lo
	s_waitcnt vmcnt(0)
	v_cmpx_eq_u16_e64 v57, v63
	s_cbranch_execz .LBB317_899
; %bb.893:
	s_mov_b64 s[0:1], 1
	s_mov_b32 s15, 0
                                        ; implicit-def: $sgpr18
	s_set_inst_prefetch_distance 0x1
	s_branch .LBB317_896
	.p2align	6
.LBB317_894:                            ;   in Loop: Header=BB317_896 Depth=1
	v_add_co_u32 v63, vcc_lo, v59, s0
	v_add_co_ci_u32_e32 v64, vcc_lo, s1, v60, vcc_lo
	v_add_co_u32 v68, vcc_lo, v61, s0
	v_add_co_ci_u32_e32 v69, vcc_lo, s1, v62, vcc_lo
	s_add_u32 s12, s0, 1
	s_clause 0x1
	global_load_u8 v57, v[63:64], off
	global_load_u8 v63, v[68:69], off
	s_addc_u32 s13, s1, 0
	s_and_not1_b32 s18, s18, exec_lo
	s_waitcnt vmcnt(0)
	v_cmp_ne_u16_e32 vcc_lo, v57, v63
	s_and_b32 s19, vcc_lo, exec_lo
	s_delay_alu instid0(SALU_CYCLE_1)
	s_or_b32 s18, s18, s19
.LBB317_895:                            ;   in Loop: Header=BB317_896 Depth=1
	v_dual_mov_b32 v64, s1 :: v_dual_mov_b32 v63, s0
	s_and_b32 s19, exec_lo, s18
	s_mov_b64 s[0:1], s[12:13]
	s_or_b32 s15, s19, s15
	s_delay_alu instid0(SALU_CYCLE_1)
	s_and_not1_b32 exec_lo, exec_lo, s15
	s_cbranch_execz .LBB317_898
.LBB317_896:                            ; =>This Inner Loop Header: Depth=1
	s_or_b32 s18, s18, exec_lo
	s_cmp_eq_u64 s[8:9], s[0:1]
	s_cbranch_scc0 .LBB317_894
; %bb.897:                              ;   in Loop: Header=BB317_896 Depth=1
	s_mov_b64 s[0:1], s[8:9]
                                        ; implicit-def: $sgpr12_sgpr13
	s_branch .LBB317_895
.LBB317_898:
	s_set_inst_prefetch_distance 0x2
	s_or_b32 exec_lo, exec_lo, s15
	v_cmp_gt_i64_e32 vcc_lo, s[8:9], v[63:64]
	s_mov_b32 s0, 0
	s_delay_alu instid0(SALU_CYCLE_1)
	v_mov_b32_e32 v164, s0
	v_cndmask_b32_e64 v163, 0, 1, vcc_lo
.LBB317_899:
	s_or_b32 exec_lo, exec_lo, s14
.LBB317_900:
	v_cmp_ne_u32_e32 vcc_lo, 1, v65
	s_cbranch_vccnz .LBB317_907
; %bb.901:
	v_mad_u64_u32 v[59:60], null, v1, s8, s[10:11]
	v_mul_lo_u32 v61, v1, s9
	v_mul_lo_u32 v62, v2, s8
	v_add_co_u32 v57, vcc_lo, s10, v58
	v_add_co_ci_u32_e32 v58, vcc_lo, s11, v67, vcc_lo
	v_mov_b32_e32 v165, 1
	v_mov_b32_e32 v166, 0
	s_mov_b32 s14, exec_lo
	v_add3_u32 v60, v62, v60, v61
	s_clause 0x1
	global_load_u8 v61, v[57:58], off
	global_load_u8 v62, v[59:60], off
	s_waitcnt vmcnt(0)
	v_cmpx_eq_u16_e64 v61, v62
	s_cbranch_execz .LBB317_909
; %bb.902:
	s_mov_b64 s[0:1], 1
	s_mov_b32 s15, 0
                                        ; implicit-def: $sgpr18
	s_set_inst_prefetch_distance 0x1
	s_branch .LBB317_905
	.p2align	6
.LBB317_903:                            ;   in Loop: Header=BB317_905 Depth=1
	v_add_co_u32 v61, vcc_lo, v57, s0
	v_add_co_ci_u32_e32 v62, vcc_lo, s1, v58, vcc_lo
	v_add_co_u32 v63, vcc_lo, v59, s0
	v_add_co_ci_u32_e32 v64, vcc_lo, s1, v60, vcc_lo
	s_add_u32 s12, s0, 1
	s_clause 0x1
	global_load_u8 v61, v[61:62], off
	global_load_u8 v62, v[63:64], off
	s_addc_u32 s13, s1, 0
	s_and_not1_b32 s18, s18, exec_lo
	s_waitcnt vmcnt(0)
	v_cmp_ne_u16_e32 vcc_lo, v61, v62
	s_and_b32 s19, vcc_lo, exec_lo
	s_delay_alu instid0(SALU_CYCLE_1)
	s_or_b32 s18, s18, s19
.LBB317_904:                            ;   in Loop: Header=BB317_905 Depth=1
	v_dual_mov_b32 v62, s1 :: v_dual_mov_b32 v61, s0
	s_and_b32 s19, exec_lo, s18
	s_mov_b64 s[0:1], s[12:13]
	s_or_b32 s15, s19, s15
	s_delay_alu instid0(SALU_CYCLE_1)
	s_and_not1_b32 exec_lo, exec_lo, s15
	s_cbranch_execz .LBB317_908
.LBB317_905:                            ; =>This Inner Loop Header: Depth=1
	s_or_b32 s18, s18, exec_lo
	s_cmp_eq_u64 s[8:9], s[0:1]
	s_cbranch_scc0 .LBB317_903
; %bb.906:                              ;   in Loop: Header=BB317_905 Depth=1
	s_mov_b64 s[0:1], s[8:9]
                                        ; implicit-def: $sgpr12_sgpr13
	s_branch .LBB317_904
.LBB317_907:
	v_mov_b32_e32 v165, 0
	v_mov_b32_e32 v166, 0
	s_branch .LBB317_910
.LBB317_908:
	s_set_inst_prefetch_distance 0x2
	s_or_b32 exec_lo, exec_lo, s15
	v_cmp_gt_i64_e32 vcc_lo, s[8:9], v[61:62]
	s_mov_b32 s0, 0
	s_delay_alu instid0(SALU_CYCLE_1)
	v_mov_b32_e32 v166, s0
	v_cndmask_b32_e64 v165, 0, 1, vcc_lo
.LBB317_909:
	s_or_b32 exec_lo, exec_lo, s14
.LBB317_910:
	s_mov_b32 s15, 0
	s_mov_b32 s18, exec_lo
	s_waitcnt lgkmcnt(0)
	s_barrier
	buffer_gl0_inv
                                        ; implicit-def: $sgpr14
	v_cmpx_ne_u32_e32 0, v0
	s_cbranch_execz .LBB317_922
; %bb.911:
	v_cmp_ne_u32_e32 vcc_lo, 1, v65
	s_cbranch_vccnz .LBB317_918
; %bb.912:
	v_add_nc_u32_e32 v57, -8, v195
	v_mul_lo_u32 v63, v1, s9
	v_mul_lo_u32 v64, v2, s8
	s_mov_b32 s0, -1
	s_mov_b32 s14, exec_lo
	ds_load_b64 v[61:62], v57
	v_mad_u64_u32 v[57:58], null, v1, s8, s[10:11]
	s_delay_alu instid0(VALU_DEP_1) | instskip(SKIP_4) | instid1(VALU_DEP_1)
	v_add3_u32 v58, v64, v58, v63
	s_waitcnt lgkmcnt(0)
	v_mul_lo_u32 v65, v61, s9
	v_mul_lo_u32 v62, v62, s8
	v_mad_u64_u32 v[59:60], null, v61, s8, s[10:11]
	v_add3_u32 v60, v62, v60, v65
	s_clause 0x1
	global_load_u8 v61, v[57:58], off
	global_load_u8 v62, v[59:60], off
	s_waitcnt vmcnt(0)
	v_cmpx_eq_u16_e64 v61, v62
	s_cbranch_execz .LBB317_920
; %bb.913:
	s_mov_b64 s[0:1], 1
	s_mov_b32 s19, 0
                                        ; implicit-def: $sgpr20
	s_set_inst_prefetch_distance 0x1
	s_branch .LBB317_916
	.p2align	6
.LBB317_914:                            ;   in Loop: Header=BB317_916 Depth=1
	v_add_co_u32 v61, vcc_lo, v57, s0
	v_add_co_ci_u32_e32 v62, vcc_lo, s1, v58, vcc_lo
	v_add_co_u32 v63, vcc_lo, v59, s0
	v_add_co_ci_u32_e32 v64, vcc_lo, s1, v60, vcc_lo
	s_add_u32 s12, s0, 1
	s_clause 0x1
	global_load_u8 v61, v[61:62], off
	global_load_u8 v62, v[63:64], off
	s_addc_u32 s13, s1, 0
	s_and_not1_b32 s20, s20, exec_lo
	s_waitcnt vmcnt(0)
	v_cmp_ne_u16_e32 vcc_lo, v61, v62
	s_and_b32 s21, vcc_lo, exec_lo
	s_delay_alu instid0(SALU_CYCLE_1)
	s_or_b32 s20, s20, s21
.LBB317_915:                            ;   in Loop: Header=BB317_916 Depth=1
	v_dual_mov_b32 v62, s1 :: v_dual_mov_b32 v61, s0
	s_and_b32 s21, exec_lo, s20
	s_mov_b64 s[0:1], s[12:13]
	s_or_b32 s19, s21, s19
	s_delay_alu instid0(SALU_CYCLE_1)
	s_and_not1_b32 exec_lo, exec_lo, s19
	s_cbranch_execz .LBB317_919
.LBB317_916:                            ; =>This Inner Loop Header: Depth=1
	s_or_b32 s20, s20, exec_lo
	s_cmp_eq_u64 s[8:9], s[0:1]
	s_cbranch_scc0 .LBB317_914
; %bb.917:                              ;   in Loop: Header=BB317_916 Depth=1
	s_mov_b64 s[0:1], s[8:9]
                                        ; implicit-def: $sgpr12_sgpr13
	s_branch .LBB317_915
.LBB317_918:
	s_mov_b32 s0, 0
	s_branch .LBB317_921
.LBB317_919:
	s_set_inst_prefetch_distance 0x2
	s_or_b32 exec_lo, exec_lo, s19
	v_cmp_gt_i64_e32 vcc_lo, s[8:9], v[61:62]
	s_or_not1_b32 s0, vcc_lo, exec_lo
.LBB317_920:
	s_or_b32 exec_lo, exec_lo, s14
.LBB317_921:
	s_delay_alu instid0(SALU_CYCLE_1)
	s_and_b32 s14, s0, exec_lo
	s_or_b32 s3, s3, exec_lo
.LBB317_922:
	s_or_b32 exec_lo, exec_lo, s18
	v_dual_mov_b32 v182, v166 :: v_dual_mov_b32 v181, v165
	v_dual_mov_b32 v168, v164 :: v_dual_mov_b32 v167, v163
	;; [unrolled: 1-line block ×27, first 2 shown]
	s_and_b32 vcc_lo, exec_lo, s15
	s_cbranch_vccz .LBB317_1243
.LBB317_923:
	v_cmp_gt_i64_e64 s0, s[8:9], 0
	s_waitcnt lgkmcnt(0)
	v_mad_u32_u24 v57, v0, 29, 28
	v_mul_u32_u24_e32 v64, 29, v0
	s_mov_b32 s14, exec_lo
	ds_store_b64 v195, v[109:110]
	v_cndmask_b32_e64 v63, 0, 1, s0
	v_cmpx_gt_u32_e64 s6, v57
	s_cbranch_execz .LBB317_934
; %bb.924:
	s_and_not1_b32 vcc_lo, exec_lo, s0
	s_cbranch_vccnz .LBB317_931
; %bb.925:
	v_mad_u64_u32 v[57:58], null, v109, s8, s[10:11]
	v_mul_lo_u32 v61, v109, s9
	v_mul_lo_u32 v62, v110, s8
	v_mad_u64_u32 v[59:60], null, v7, s8, s[10:11]
	v_mul_lo_u32 v65, v7, s9
	v_mul_lo_u32 v66, v8, s8
	v_mov_b32_e32 v109, 1
	v_mov_b32_e32 v110, 0
	s_mov_b32 s15, exec_lo
	v_add3_u32 v58, v62, v58, v61
	s_delay_alu instid0(VALU_DEP_4)
	v_add3_u32 v60, v66, v60, v65
	s_clause 0x1
	global_load_u8 v61, v[57:58], off
	global_load_u8 v62, v[59:60], off
	s_waitcnt vmcnt(0)
	v_cmpx_eq_u16_e64 v61, v62
	s_cbranch_execz .LBB317_933
; %bb.926:
	s_mov_b64 s[0:1], 1
	s_mov_b32 s18, 0
                                        ; implicit-def: $sgpr19
	s_set_inst_prefetch_distance 0x1
	s_branch .LBB317_929
	.p2align	6
.LBB317_927:                            ;   in Loop: Header=BB317_929 Depth=1
	v_add_co_u32 v61, vcc_lo, v57, s0
	v_add_co_ci_u32_e32 v62, vcc_lo, s1, v58, vcc_lo
	v_add_co_u32 v65, vcc_lo, v59, s0
	v_add_co_ci_u32_e32 v66, vcc_lo, s1, v60, vcc_lo
	s_add_u32 s12, s0, 1
	s_clause 0x1
	global_load_u8 v61, v[61:62], off
	global_load_u8 v62, v[65:66], off
	s_addc_u32 s13, s1, 0
	s_and_not1_b32 s19, s19, exec_lo
	s_waitcnt vmcnt(0)
	v_cmp_ne_u16_e32 vcc_lo, v61, v62
	s_and_b32 s20, vcc_lo, exec_lo
	s_delay_alu instid0(SALU_CYCLE_1)
	s_or_b32 s19, s19, s20
.LBB317_928:                            ;   in Loop: Header=BB317_929 Depth=1
	v_dual_mov_b32 v62, s1 :: v_dual_mov_b32 v61, s0
	s_and_b32 s20, exec_lo, s19
	s_mov_b64 s[0:1], s[12:13]
	s_or_b32 s18, s20, s18
	s_delay_alu instid0(SALU_CYCLE_1)
	s_and_not1_b32 exec_lo, exec_lo, s18
	s_cbranch_execz .LBB317_932
.LBB317_929:                            ; =>This Inner Loop Header: Depth=1
	s_or_b32 s19, s19, exec_lo
	s_cmp_eq_u64 s[8:9], s[0:1]
	s_cbranch_scc0 .LBB317_927
; %bb.930:                              ;   in Loop: Header=BB317_929 Depth=1
	s_mov_b64 s[0:1], s[8:9]
                                        ; implicit-def: $sgpr12_sgpr13
	s_branch .LBB317_928
.LBB317_931:
	v_mov_b32_e32 v109, 0
	v_mov_b32_e32 v110, 0
	s_branch .LBB317_934
.LBB317_932:
	s_set_inst_prefetch_distance 0x2
	s_or_b32 exec_lo, exec_lo, s18
	v_cmp_gt_i64_e32 vcc_lo, s[8:9], v[61:62]
	s_mov_b32 s0, 0
	s_delay_alu instid0(SALU_CYCLE_1)
	v_mov_b32_e32 v110, s0
	v_cndmask_b32_e64 v109, 0, 1, vcc_lo
.LBB317_933:
	s_or_b32 exec_lo, exec_lo, s15
.LBB317_934:
	s_delay_alu instid0(SALU_CYCLE_1) | instskip(SKIP_2) | instid1(VALU_DEP_1)
	s_or_b32 exec_lo, exec_lo, s14
	v_add_nc_u32_e32 v57, 27, v64
	s_mov_b32 s14, exec_lo
	v_cmpx_gt_u32_e64 s6, v57
	s_cbranch_execz .LBB317_945
; %bb.935:
	v_cmp_ne_u32_e32 vcc_lo, 1, v63
	s_cbranch_vccnz .LBB317_942
; %bb.936:
	v_mad_u64_u32 v[57:58], null, v7, s8, s[10:11]
	v_mul_lo_u32 v7, v7, s9
	v_mul_lo_u32 v8, v8, s8
	v_mad_u64_u32 v[59:60], null, v5, s8, s[10:11]
	v_mul_lo_u32 v61, v5, s9
	v_mul_lo_u32 v62, v6, s8
	s_mov_b32 s15, exec_lo
	s_delay_alu instid0(VALU_DEP_4) | instskip(SKIP_2) | instid1(VALU_DEP_4)
	v_add3_u32 v58, v8, v58, v7
	v_mov_b32_e32 v7, 1
	v_mov_b32_e32 v8, 0
	v_add3_u32 v60, v62, v60, v61
	s_clause 0x1
	global_load_u8 v61, v[57:58], off
	global_load_u8 v62, v[59:60], off
	s_waitcnt vmcnt(0)
	v_cmpx_eq_u16_e64 v61, v62
	s_cbranch_execz .LBB317_944
; %bb.937:
	s_mov_b64 s[0:1], 1
	s_mov_b32 s18, 0
                                        ; implicit-def: $sgpr19
	s_set_inst_prefetch_distance 0x1
	s_branch .LBB317_940
	.p2align	6
.LBB317_938:                            ;   in Loop: Header=BB317_940 Depth=1
	v_add_co_u32 v7, vcc_lo, v57, s0
	v_add_co_ci_u32_e32 v8, vcc_lo, s1, v58, vcc_lo
	v_add_co_u32 v61, vcc_lo, v59, s0
	v_add_co_ci_u32_e32 v62, vcc_lo, s1, v60, vcc_lo
	s_add_u32 s12, s0, 1
	s_clause 0x1
	global_load_u8 v7, v[7:8], off
	global_load_u8 v8, v[61:62], off
	s_addc_u32 s13, s1, 0
	s_and_not1_b32 s19, s19, exec_lo
	s_waitcnt vmcnt(0)
	v_cmp_ne_u16_e32 vcc_lo, v7, v8
	s_and_b32 s20, vcc_lo, exec_lo
	s_delay_alu instid0(SALU_CYCLE_1)
	s_or_b32 s19, s19, s20
.LBB317_939:                            ;   in Loop: Header=BB317_940 Depth=1
	v_dual_mov_b32 v8, s1 :: v_dual_mov_b32 v7, s0
	s_and_b32 s20, exec_lo, s19
	s_mov_b64 s[0:1], s[12:13]
	s_or_b32 s18, s20, s18
	s_delay_alu instid0(SALU_CYCLE_1)
	s_and_not1_b32 exec_lo, exec_lo, s18
	s_cbranch_execz .LBB317_943
.LBB317_940:                            ; =>This Inner Loop Header: Depth=1
	s_or_b32 s19, s19, exec_lo
	s_cmp_eq_u64 s[8:9], s[0:1]
	s_cbranch_scc0 .LBB317_938
; %bb.941:                              ;   in Loop: Header=BB317_940 Depth=1
	s_mov_b64 s[0:1], s[8:9]
                                        ; implicit-def: $sgpr12_sgpr13
	s_branch .LBB317_939
.LBB317_942:
	v_mov_b32_e32 v7, 0
	v_mov_b32_e32 v8, 0
	s_branch .LBB317_945
.LBB317_943:
	s_set_inst_prefetch_distance 0x2
	s_or_b32 exec_lo, exec_lo, s18
	v_cmp_gt_i64_e32 vcc_lo, s[8:9], v[7:8]
	s_mov_b32 s0, 0
	s_delay_alu instid0(SALU_CYCLE_1)
	v_mov_b32_e32 v8, s0
	v_cndmask_b32_e64 v7, 0, 1, vcc_lo
.LBB317_944:
	s_or_b32 exec_lo, exec_lo, s15
.LBB317_945:
	s_delay_alu instid0(SALU_CYCLE_1) | instskip(SKIP_2) | instid1(VALU_DEP_1)
	s_or_b32 exec_lo, exec_lo, s14
	v_add_nc_u32_e32 v57, 26, v64
	s_mov_b32 s14, exec_lo
	v_cmpx_gt_u32_e64 s6, v57
	s_cbranch_execz .LBB317_956
; %bb.946:
	v_cmp_ne_u32_e32 vcc_lo, 1, v63
	s_cbranch_vccnz .LBB317_953
; %bb.947:
	v_mad_u64_u32 v[57:58], null, v5, s8, s[10:11]
	v_mul_lo_u32 v5, v5, s9
	v_mul_lo_u32 v6, v6, s8
	v_mad_u64_u32 v[59:60], null, v11, s8, s[10:11]
	v_mul_lo_u32 v61, v11, s9
	v_mul_lo_u32 v62, v12, s8
	s_mov_b32 s15, exec_lo
	s_delay_alu instid0(VALU_DEP_4) | instskip(SKIP_2) | instid1(VALU_DEP_4)
	v_add3_u32 v58, v6, v58, v5
	v_mov_b32_e32 v5, 1
	v_mov_b32_e32 v6, 0
	v_add3_u32 v60, v62, v60, v61
	s_clause 0x1
	global_load_u8 v61, v[57:58], off
	global_load_u8 v62, v[59:60], off
	s_waitcnt vmcnt(0)
	v_cmpx_eq_u16_e64 v61, v62
	s_cbranch_execz .LBB317_955
; %bb.948:
	s_mov_b64 s[0:1], 1
	s_mov_b32 s18, 0
                                        ; implicit-def: $sgpr19
	s_set_inst_prefetch_distance 0x1
	s_branch .LBB317_951
	.p2align	6
.LBB317_949:                            ;   in Loop: Header=BB317_951 Depth=1
	v_add_co_u32 v5, vcc_lo, v57, s0
	v_add_co_ci_u32_e32 v6, vcc_lo, s1, v58, vcc_lo
	v_add_co_u32 v61, vcc_lo, v59, s0
	v_add_co_ci_u32_e32 v62, vcc_lo, s1, v60, vcc_lo
	s_add_u32 s12, s0, 1
	s_clause 0x1
	global_load_u8 v5, v[5:6], off
	global_load_u8 v6, v[61:62], off
	s_addc_u32 s13, s1, 0
	s_and_not1_b32 s19, s19, exec_lo
	s_waitcnt vmcnt(0)
	v_cmp_ne_u16_e32 vcc_lo, v5, v6
	s_and_b32 s20, vcc_lo, exec_lo
	s_delay_alu instid0(SALU_CYCLE_1)
	s_or_b32 s19, s19, s20
.LBB317_950:                            ;   in Loop: Header=BB317_951 Depth=1
	v_dual_mov_b32 v6, s1 :: v_dual_mov_b32 v5, s0
	s_and_b32 s20, exec_lo, s19
	s_mov_b64 s[0:1], s[12:13]
	s_or_b32 s18, s20, s18
	s_delay_alu instid0(SALU_CYCLE_1)
	s_and_not1_b32 exec_lo, exec_lo, s18
	s_cbranch_execz .LBB317_954
.LBB317_951:                            ; =>This Inner Loop Header: Depth=1
	s_or_b32 s19, s19, exec_lo
	s_cmp_eq_u64 s[8:9], s[0:1]
	s_cbranch_scc0 .LBB317_949
; %bb.952:                              ;   in Loop: Header=BB317_951 Depth=1
	s_mov_b64 s[0:1], s[8:9]
                                        ; implicit-def: $sgpr12_sgpr13
	s_branch .LBB317_950
.LBB317_953:
	v_mov_b32_e32 v5, 0
	v_mov_b32_e32 v6, 0
	s_branch .LBB317_956
.LBB317_954:
	s_set_inst_prefetch_distance 0x2
	s_or_b32 exec_lo, exec_lo, s18
	v_cmp_gt_i64_e32 vcc_lo, s[8:9], v[5:6]
	s_mov_b32 s0, 0
	s_delay_alu instid0(SALU_CYCLE_1)
	v_mov_b32_e32 v6, s0
	v_cndmask_b32_e64 v5, 0, 1, vcc_lo
.LBB317_955:
	s_or_b32 exec_lo, exec_lo, s15
.LBB317_956:
	s_delay_alu instid0(SALU_CYCLE_1) | instskip(SKIP_2) | instid1(VALU_DEP_1)
	s_or_b32 exec_lo, exec_lo, s14
	v_add_nc_u32_e32 v57, 25, v64
	s_mov_b32 s14, exec_lo
	v_cmpx_gt_u32_e64 s6, v57
	s_cbranch_execz .LBB317_967
; %bb.957:
	v_cmp_ne_u32_e32 vcc_lo, 1, v63
	s_cbranch_vccnz .LBB317_964
; %bb.958:
	v_mad_u64_u32 v[57:58], null, v11, s8, s[10:11]
	v_mul_lo_u32 v11, v11, s9
	v_mul_lo_u32 v12, v12, s8
	v_mad_u64_u32 v[59:60], null, v9, s8, s[10:11]
	v_mul_lo_u32 v61, v9, s9
	v_mul_lo_u32 v62, v10, s8
	s_mov_b32 s15, exec_lo
	s_delay_alu instid0(VALU_DEP_4) | instskip(SKIP_2) | instid1(VALU_DEP_4)
	v_add3_u32 v58, v12, v58, v11
	v_mov_b32_e32 v11, 1
	v_mov_b32_e32 v12, 0
	v_add3_u32 v60, v62, v60, v61
	s_clause 0x1
	global_load_u8 v61, v[57:58], off
	global_load_u8 v62, v[59:60], off
	s_waitcnt vmcnt(0)
	v_cmpx_eq_u16_e64 v61, v62
	s_cbranch_execz .LBB317_966
; %bb.959:
	s_mov_b64 s[0:1], 1
	s_mov_b32 s18, 0
                                        ; implicit-def: $sgpr19
	s_set_inst_prefetch_distance 0x1
	s_branch .LBB317_962
	.p2align	6
.LBB317_960:                            ;   in Loop: Header=BB317_962 Depth=1
	v_add_co_u32 v11, vcc_lo, v57, s0
	v_add_co_ci_u32_e32 v12, vcc_lo, s1, v58, vcc_lo
	v_add_co_u32 v61, vcc_lo, v59, s0
	v_add_co_ci_u32_e32 v62, vcc_lo, s1, v60, vcc_lo
	s_add_u32 s12, s0, 1
	s_clause 0x1
	global_load_u8 v11, v[11:12], off
	global_load_u8 v12, v[61:62], off
	s_addc_u32 s13, s1, 0
	s_and_not1_b32 s19, s19, exec_lo
	s_waitcnt vmcnt(0)
	v_cmp_ne_u16_e32 vcc_lo, v11, v12
	s_and_b32 s20, vcc_lo, exec_lo
	s_delay_alu instid0(SALU_CYCLE_1)
	s_or_b32 s19, s19, s20
.LBB317_961:                            ;   in Loop: Header=BB317_962 Depth=1
	v_dual_mov_b32 v12, s1 :: v_dual_mov_b32 v11, s0
	s_and_b32 s20, exec_lo, s19
	s_mov_b64 s[0:1], s[12:13]
	s_or_b32 s18, s20, s18
	s_delay_alu instid0(SALU_CYCLE_1)
	s_and_not1_b32 exec_lo, exec_lo, s18
	s_cbranch_execz .LBB317_965
.LBB317_962:                            ; =>This Inner Loop Header: Depth=1
	s_or_b32 s19, s19, exec_lo
	s_cmp_eq_u64 s[8:9], s[0:1]
	s_cbranch_scc0 .LBB317_960
; %bb.963:                              ;   in Loop: Header=BB317_962 Depth=1
	s_mov_b64 s[0:1], s[8:9]
                                        ; implicit-def: $sgpr12_sgpr13
	s_branch .LBB317_961
.LBB317_964:
	v_mov_b32_e32 v11, 0
	v_mov_b32_e32 v12, 0
	s_branch .LBB317_967
.LBB317_965:
	s_set_inst_prefetch_distance 0x2
	s_or_b32 exec_lo, exec_lo, s18
	v_cmp_gt_i64_e32 vcc_lo, s[8:9], v[11:12]
	s_mov_b32 s0, 0
	s_delay_alu instid0(SALU_CYCLE_1)
	v_mov_b32_e32 v12, s0
	v_cndmask_b32_e64 v11, 0, 1, vcc_lo
.LBB317_966:
	s_or_b32 exec_lo, exec_lo, s15
.LBB317_967:
	s_delay_alu instid0(SALU_CYCLE_1) | instskip(SKIP_2) | instid1(VALU_DEP_1)
	s_or_b32 exec_lo, exec_lo, s14
	v_add_nc_u32_e32 v57, 24, v64
	s_mov_b32 s14, exec_lo
	v_cmpx_gt_u32_e64 s6, v57
	s_cbranch_execz .LBB317_978
; %bb.968:
	v_cmp_ne_u32_e32 vcc_lo, 1, v63
	s_cbranch_vccnz .LBB317_975
; %bb.969:
	v_mad_u64_u32 v[57:58], null, v9, s8, s[10:11]
	v_mul_lo_u32 v9, v9, s9
	v_mul_lo_u32 v10, v10, s8
	v_mad_u64_u32 v[59:60], null, v55, s8, s[10:11]
	v_mul_lo_u32 v61, v55, s9
	v_mul_lo_u32 v62, v56, s8
	s_mov_b32 s15, exec_lo
	s_delay_alu instid0(VALU_DEP_4) | instskip(SKIP_2) | instid1(VALU_DEP_4)
	v_add3_u32 v58, v10, v58, v9
	v_mov_b32_e32 v9, 1
	v_mov_b32_e32 v10, 0
	v_add3_u32 v60, v62, v60, v61
	s_clause 0x1
	global_load_u8 v61, v[57:58], off
	global_load_u8 v62, v[59:60], off
	s_waitcnt vmcnt(0)
	v_cmpx_eq_u16_e64 v61, v62
	s_cbranch_execz .LBB317_977
; %bb.970:
	s_mov_b64 s[0:1], 1
	s_mov_b32 s18, 0
                                        ; implicit-def: $sgpr19
	s_set_inst_prefetch_distance 0x1
	s_branch .LBB317_973
	.p2align	6
.LBB317_971:                            ;   in Loop: Header=BB317_973 Depth=1
	v_add_co_u32 v9, vcc_lo, v57, s0
	v_add_co_ci_u32_e32 v10, vcc_lo, s1, v58, vcc_lo
	v_add_co_u32 v61, vcc_lo, v59, s0
	v_add_co_ci_u32_e32 v62, vcc_lo, s1, v60, vcc_lo
	s_add_u32 s12, s0, 1
	s_clause 0x1
	global_load_u8 v9, v[9:10], off
	global_load_u8 v10, v[61:62], off
	s_addc_u32 s13, s1, 0
	s_and_not1_b32 s19, s19, exec_lo
	s_waitcnt vmcnt(0)
	v_cmp_ne_u16_e32 vcc_lo, v9, v10
	s_and_b32 s20, vcc_lo, exec_lo
	s_delay_alu instid0(SALU_CYCLE_1)
	s_or_b32 s19, s19, s20
.LBB317_972:                            ;   in Loop: Header=BB317_973 Depth=1
	v_dual_mov_b32 v10, s1 :: v_dual_mov_b32 v9, s0
	s_and_b32 s20, exec_lo, s19
	s_mov_b64 s[0:1], s[12:13]
	s_or_b32 s18, s20, s18
	s_delay_alu instid0(SALU_CYCLE_1)
	s_and_not1_b32 exec_lo, exec_lo, s18
	s_cbranch_execz .LBB317_976
.LBB317_973:                            ; =>This Inner Loop Header: Depth=1
	s_or_b32 s19, s19, exec_lo
	s_cmp_eq_u64 s[8:9], s[0:1]
	s_cbranch_scc0 .LBB317_971
; %bb.974:                              ;   in Loop: Header=BB317_973 Depth=1
	s_mov_b64 s[0:1], s[8:9]
                                        ; implicit-def: $sgpr12_sgpr13
	s_branch .LBB317_972
.LBB317_975:
	v_mov_b32_e32 v9, 0
	v_mov_b32_e32 v10, 0
	s_branch .LBB317_978
.LBB317_976:
	s_set_inst_prefetch_distance 0x2
	s_or_b32 exec_lo, exec_lo, s18
	v_cmp_gt_i64_e32 vcc_lo, s[8:9], v[9:10]
	s_mov_b32 s0, 0
	s_delay_alu instid0(SALU_CYCLE_1)
	v_mov_b32_e32 v10, s0
	v_cndmask_b32_e64 v9, 0, 1, vcc_lo
.LBB317_977:
	s_or_b32 exec_lo, exec_lo, s15
.LBB317_978:
	s_delay_alu instid0(SALU_CYCLE_1) | instskip(SKIP_2) | instid1(VALU_DEP_1)
	s_or_b32 exec_lo, exec_lo, s14
	v_add_nc_u32_e32 v57, 23, v64
	s_mov_b32 s14, exec_lo
	v_cmpx_gt_u32_e64 s6, v57
	s_cbranch_execz .LBB317_989
; %bb.979:
	v_cmp_ne_u32_e32 vcc_lo, 1, v63
	s_cbranch_vccnz .LBB317_986
; %bb.980:
	v_mad_u64_u32 v[57:58], null, v55, s8, s[10:11]
	v_mul_lo_u32 v55, v55, s9
	v_mul_lo_u32 v56, v56, s8
	v_mad_u64_u32 v[59:60], null, v53, s8, s[10:11]
	v_mul_lo_u32 v61, v53, s9
	v_mul_lo_u32 v62, v54, s8
	s_mov_b32 s15, exec_lo
	s_delay_alu instid0(VALU_DEP_4) | instskip(SKIP_2) | instid1(VALU_DEP_4)
	v_add3_u32 v58, v56, v58, v55
	v_mov_b32_e32 v55, 1
	v_mov_b32_e32 v56, 0
	v_add3_u32 v60, v62, v60, v61
	s_clause 0x1
	global_load_u8 v61, v[57:58], off
	global_load_u8 v62, v[59:60], off
	s_waitcnt vmcnt(0)
	v_cmpx_eq_u16_e64 v61, v62
	s_cbranch_execz .LBB317_988
; %bb.981:
	s_mov_b64 s[0:1], 1
	s_mov_b32 s18, 0
                                        ; implicit-def: $sgpr19
	s_set_inst_prefetch_distance 0x1
	s_branch .LBB317_984
	.p2align	6
.LBB317_982:                            ;   in Loop: Header=BB317_984 Depth=1
	v_add_co_u32 v55, vcc_lo, v57, s0
	v_add_co_ci_u32_e32 v56, vcc_lo, s1, v58, vcc_lo
	v_add_co_u32 v61, vcc_lo, v59, s0
	v_add_co_ci_u32_e32 v62, vcc_lo, s1, v60, vcc_lo
	s_add_u32 s12, s0, 1
	s_clause 0x1
	global_load_u8 v55, v[55:56], off
	global_load_u8 v56, v[61:62], off
	s_addc_u32 s13, s1, 0
	s_and_not1_b32 s19, s19, exec_lo
	s_waitcnt vmcnt(0)
	v_cmp_ne_u16_e32 vcc_lo, v55, v56
	s_and_b32 s20, vcc_lo, exec_lo
	s_delay_alu instid0(SALU_CYCLE_1)
	s_or_b32 s19, s19, s20
.LBB317_983:                            ;   in Loop: Header=BB317_984 Depth=1
	v_dual_mov_b32 v56, s1 :: v_dual_mov_b32 v55, s0
	s_and_b32 s20, exec_lo, s19
	s_mov_b64 s[0:1], s[12:13]
	s_or_b32 s18, s20, s18
	s_delay_alu instid0(SALU_CYCLE_1)
	s_and_not1_b32 exec_lo, exec_lo, s18
	s_cbranch_execz .LBB317_987
.LBB317_984:                            ; =>This Inner Loop Header: Depth=1
	s_or_b32 s19, s19, exec_lo
	s_cmp_eq_u64 s[8:9], s[0:1]
	s_cbranch_scc0 .LBB317_982
; %bb.985:                              ;   in Loop: Header=BB317_984 Depth=1
	s_mov_b64 s[0:1], s[8:9]
                                        ; implicit-def: $sgpr12_sgpr13
	s_branch .LBB317_983
.LBB317_986:
	v_mov_b32_e32 v55, 0
	v_mov_b32_e32 v56, 0
	s_branch .LBB317_989
.LBB317_987:
	s_set_inst_prefetch_distance 0x2
	s_or_b32 exec_lo, exec_lo, s18
	v_cmp_gt_i64_e32 vcc_lo, s[8:9], v[55:56]
	s_mov_b32 s0, 0
	s_delay_alu instid0(SALU_CYCLE_1)
	v_mov_b32_e32 v56, s0
	v_cndmask_b32_e64 v55, 0, 1, vcc_lo
.LBB317_988:
	s_or_b32 exec_lo, exec_lo, s15
.LBB317_989:
	s_delay_alu instid0(SALU_CYCLE_1) | instskip(SKIP_2) | instid1(VALU_DEP_1)
	s_or_b32 exec_lo, exec_lo, s14
	v_add_nc_u32_e32 v57, 22, v64
	s_mov_b32 s14, exec_lo
	v_cmpx_gt_u32_e64 s6, v57
	s_cbranch_execz .LBB317_1000
; %bb.990:
	v_cmp_ne_u32_e32 vcc_lo, 1, v63
	s_cbranch_vccnz .LBB317_997
; %bb.991:
	v_mad_u64_u32 v[57:58], null, v53, s8, s[10:11]
	v_mul_lo_u32 v53, v53, s9
	v_mul_lo_u32 v54, v54, s8
	v_mad_u64_u32 v[59:60], null, v51, s8, s[10:11]
	v_mul_lo_u32 v61, v51, s9
	v_mul_lo_u32 v62, v52, s8
	s_mov_b32 s15, exec_lo
	s_delay_alu instid0(VALU_DEP_4) | instskip(SKIP_2) | instid1(VALU_DEP_4)
	v_add3_u32 v58, v54, v58, v53
	v_mov_b32_e32 v53, 1
	v_mov_b32_e32 v54, 0
	v_add3_u32 v60, v62, v60, v61
	s_clause 0x1
	global_load_u8 v61, v[57:58], off
	global_load_u8 v62, v[59:60], off
	s_waitcnt vmcnt(0)
	v_cmpx_eq_u16_e64 v61, v62
	s_cbranch_execz .LBB317_999
; %bb.992:
	s_mov_b64 s[0:1], 1
	s_mov_b32 s18, 0
                                        ; implicit-def: $sgpr19
	s_set_inst_prefetch_distance 0x1
	s_branch .LBB317_995
	.p2align	6
.LBB317_993:                            ;   in Loop: Header=BB317_995 Depth=1
	v_add_co_u32 v53, vcc_lo, v57, s0
	v_add_co_ci_u32_e32 v54, vcc_lo, s1, v58, vcc_lo
	v_add_co_u32 v61, vcc_lo, v59, s0
	v_add_co_ci_u32_e32 v62, vcc_lo, s1, v60, vcc_lo
	s_add_u32 s12, s0, 1
	s_clause 0x1
	global_load_u8 v53, v[53:54], off
	global_load_u8 v54, v[61:62], off
	s_addc_u32 s13, s1, 0
	s_and_not1_b32 s19, s19, exec_lo
	s_waitcnt vmcnt(0)
	v_cmp_ne_u16_e32 vcc_lo, v53, v54
	s_and_b32 s20, vcc_lo, exec_lo
	s_delay_alu instid0(SALU_CYCLE_1)
	s_or_b32 s19, s19, s20
.LBB317_994:                            ;   in Loop: Header=BB317_995 Depth=1
	v_dual_mov_b32 v54, s1 :: v_dual_mov_b32 v53, s0
	s_and_b32 s20, exec_lo, s19
	s_mov_b64 s[0:1], s[12:13]
	s_or_b32 s18, s20, s18
	s_delay_alu instid0(SALU_CYCLE_1)
	s_and_not1_b32 exec_lo, exec_lo, s18
	s_cbranch_execz .LBB317_998
.LBB317_995:                            ; =>This Inner Loop Header: Depth=1
	s_or_b32 s19, s19, exec_lo
	s_cmp_eq_u64 s[8:9], s[0:1]
	s_cbranch_scc0 .LBB317_993
; %bb.996:                              ;   in Loop: Header=BB317_995 Depth=1
	s_mov_b64 s[0:1], s[8:9]
                                        ; implicit-def: $sgpr12_sgpr13
	s_branch .LBB317_994
.LBB317_997:
	v_mov_b32_e32 v53, 0
	v_mov_b32_e32 v54, 0
	s_branch .LBB317_1000
.LBB317_998:
	s_set_inst_prefetch_distance 0x2
	s_or_b32 exec_lo, exec_lo, s18
	v_cmp_gt_i64_e32 vcc_lo, s[8:9], v[53:54]
	s_mov_b32 s0, 0
	s_delay_alu instid0(SALU_CYCLE_1)
	v_mov_b32_e32 v54, s0
	v_cndmask_b32_e64 v53, 0, 1, vcc_lo
.LBB317_999:
	s_or_b32 exec_lo, exec_lo, s15
.LBB317_1000:
	s_delay_alu instid0(SALU_CYCLE_1) | instskip(SKIP_2) | instid1(VALU_DEP_1)
	s_or_b32 exec_lo, exec_lo, s14
	v_add_nc_u32_e32 v57, 21, v64
	s_mov_b32 s14, exec_lo
	v_cmpx_gt_u32_e64 s6, v57
	s_cbranch_execz .LBB317_1011
; %bb.1001:
	v_cmp_ne_u32_e32 vcc_lo, 1, v63
	s_cbranch_vccnz .LBB317_1008
; %bb.1002:
	v_mad_u64_u32 v[57:58], null, v51, s8, s[10:11]
	v_mul_lo_u32 v51, v51, s9
	v_mul_lo_u32 v52, v52, s8
	v_mad_u64_u32 v[59:60], null, v49, s8, s[10:11]
	v_mul_lo_u32 v61, v49, s9
	v_mul_lo_u32 v62, v50, s8
	s_mov_b32 s15, exec_lo
	s_delay_alu instid0(VALU_DEP_4) | instskip(SKIP_2) | instid1(VALU_DEP_4)
	v_add3_u32 v58, v52, v58, v51
	v_mov_b32_e32 v51, 1
	v_mov_b32_e32 v52, 0
	v_add3_u32 v60, v62, v60, v61
	s_clause 0x1
	global_load_u8 v61, v[57:58], off
	global_load_u8 v62, v[59:60], off
	s_waitcnt vmcnt(0)
	v_cmpx_eq_u16_e64 v61, v62
	s_cbranch_execz .LBB317_1010
; %bb.1003:
	s_mov_b64 s[0:1], 1
	s_mov_b32 s18, 0
                                        ; implicit-def: $sgpr19
	s_set_inst_prefetch_distance 0x1
	s_branch .LBB317_1006
	.p2align	6
.LBB317_1004:                           ;   in Loop: Header=BB317_1006 Depth=1
	v_add_co_u32 v51, vcc_lo, v57, s0
	v_add_co_ci_u32_e32 v52, vcc_lo, s1, v58, vcc_lo
	v_add_co_u32 v61, vcc_lo, v59, s0
	v_add_co_ci_u32_e32 v62, vcc_lo, s1, v60, vcc_lo
	s_add_u32 s12, s0, 1
	s_clause 0x1
	global_load_u8 v51, v[51:52], off
	global_load_u8 v52, v[61:62], off
	s_addc_u32 s13, s1, 0
	s_and_not1_b32 s19, s19, exec_lo
	s_waitcnt vmcnt(0)
	v_cmp_ne_u16_e32 vcc_lo, v51, v52
	s_and_b32 s20, vcc_lo, exec_lo
	s_delay_alu instid0(SALU_CYCLE_1)
	s_or_b32 s19, s19, s20
.LBB317_1005:                           ;   in Loop: Header=BB317_1006 Depth=1
	v_dual_mov_b32 v52, s1 :: v_dual_mov_b32 v51, s0
	s_and_b32 s20, exec_lo, s19
	s_mov_b64 s[0:1], s[12:13]
	s_or_b32 s18, s20, s18
	s_delay_alu instid0(SALU_CYCLE_1)
	s_and_not1_b32 exec_lo, exec_lo, s18
	s_cbranch_execz .LBB317_1009
.LBB317_1006:                           ; =>This Inner Loop Header: Depth=1
	s_or_b32 s19, s19, exec_lo
	s_cmp_eq_u64 s[8:9], s[0:1]
	s_cbranch_scc0 .LBB317_1004
; %bb.1007:                             ;   in Loop: Header=BB317_1006 Depth=1
	s_mov_b64 s[0:1], s[8:9]
                                        ; implicit-def: $sgpr12_sgpr13
	s_branch .LBB317_1005
.LBB317_1008:
	v_mov_b32_e32 v51, 0
	v_mov_b32_e32 v52, 0
	s_branch .LBB317_1011
.LBB317_1009:
	s_set_inst_prefetch_distance 0x2
	s_or_b32 exec_lo, exec_lo, s18
	v_cmp_gt_i64_e32 vcc_lo, s[8:9], v[51:52]
	s_mov_b32 s0, 0
	s_delay_alu instid0(SALU_CYCLE_1)
	v_mov_b32_e32 v52, s0
	v_cndmask_b32_e64 v51, 0, 1, vcc_lo
.LBB317_1010:
	s_or_b32 exec_lo, exec_lo, s15
.LBB317_1011:
	s_delay_alu instid0(SALU_CYCLE_1) | instskip(SKIP_2) | instid1(VALU_DEP_1)
	s_or_b32 exec_lo, exec_lo, s14
	v_add_nc_u32_e32 v57, 20, v64
	s_mov_b32 s14, exec_lo
	v_cmpx_gt_u32_e64 s6, v57
	s_cbranch_execz .LBB317_1022
; %bb.1012:
	v_cmp_ne_u32_e32 vcc_lo, 1, v63
	s_cbranch_vccnz .LBB317_1019
; %bb.1013:
	v_mad_u64_u32 v[57:58], null, v49, s8, s[10:11]
	v_mul_lo_u32 v49, v49, s9
	v_mul_lo_u32 v50, v50, s8
	v_mad_u64_u32 v[59:60], null, v47, s8, s[10:11]
	v_mul_lo_u32 v61, v47, s9
	v_mul_lo_u32 v62, v48, s8
	s_mov_b32 s15, exec_lo
	s_delay_alu instid0(VALU_DEP_4) | instskip(SKIP_2) | instid1(VALU_DEP_4)
	v_add3_u32 v58, v50, v58, v49
	v_mov_b32_e32 v49, 1
	v_mov_b32_e32 v50, 0
	v_add3_u32 v60, v62, v60, v61
	s_clause 0x1
	global_load_u8 v61, v[57:58], off
	global_load_u8 v62, v[59:60], off
	s_waitcnt vmcnt(0)
	v_cmpx_eq_u16_e64 v61, v62
	s_cbranch_execz .LBB317_1021
; %bb.1014:
	s_mov_b64 s[0:1], 1
	s_mov_b32 s18, 0
                                        ; implicit-def: $sgpr19
	s_set_inst_prefetch_distance 0x1
	s_branch .LBB317_1017
	.p2align	6
.LBB317_1015:                           ;   in Loop: Header=BB317_1017 Depth=1
	v_add_co_u32 v49, vcc_lo, v57, s0
	v_add_co_ci_u32_e32 v50, vcc_lo, s1, v58, vcc_lo
	v_add_co_u32 v61, vcc_lo, v59, s0
	v_add_co_ci_u32_e32 v62, vcc_lo, s1, v60, vcc_lo
	s_add_u32 s12, s0, 1
	s_clause 0x1
	global_load_u8 v49, v[49:50], off
	global_load_u8 v50, v[61:62], off
	s_addc_u32 s13, s1, 0
	s_and_not1_b32 s19, s19, exec_lo
	s_waitcnt vmcnt(0)
	v_cmp_ne_u16_e32 vcc_lo, v49, v50
	s_and_b32 s20, vcc_lo, exec_lo
	s_delay_alu instid0(SALU_CYCLE_1)
	s_or_b32 s19, s19, s20
.LBB317_1016:                           ;   in Loop: Header=BB317_1017 Depth=1
	v_dual_mov_b32 v50, s1 :: v_dual_mov_b32 v49, s0
	s_and_b32 s20, exec_lo, s19
	s_mov_b64 s[0:1], s[12:13]
	s_or_b32 s18, s20, s18
	s_delay_alu instid0(SALU_CYCLE_1)
	s_and_not1_b32 exec_lo, exec_lo, s18
	s_cbranch_execz .LBB317_1020
.LBB317_1017:                           ; =>This Inner Loop Header: Depth=1
	s_or_b32 s19, s19, exec_lo
	s_cmp_eq_u64 s[8:9], s[0:1]
	s_cbranch_scc0 .LBB317_1015
; %bb.1018:                             ;   in Loop: Header=BB317_1017 Depth=1
	s_mov_b64 s[0:1], s[8:9]
                                        ; implicit-def: $sgpr12_sgpr13
	s_branch .LBB317_1016
.LBB317_1019:
	v_mov_b32_e32 v49, 0
	v_mov_b32_e32 v50, 0
	s_branch .LBB317_1022
.LBB317_1020:
	s_set_inst_prefetch_distance 0x2
	s_or_b32 exec_lo, exec_lo, s18
	v_cmp_gt_i64_e32 vcc_lo, s[8:9], v[49:50]
	s_mov_b32 s0, 0
	s_delay_alu instid0(SALU_CYCLE_1)
	v_mov_b32_e32 v50, s0
	v_cndmask_b32_e64 v49, 0, 1, vcc_lo
.LBB317_1021:
	s_or_b32 exec_lo, exec_lo, s15
.LBB317_1022:
	s_delay_alu instid0(SALU_CYCLE_1) | instskip(SKIP_2) | instid1(VALU_DEP_1)
	s_or_b32 exec_lo, exec_lo, s14
	v_add_nc_u32_e32 v57, 19, v64
	s_mov_b32 s14, exec_lo
	v_cmpx_gt_u32_e64 s6, v57
	s_cbranch_execz .LBB317_1033
; %bb.1023:
	v_cmp_ne_u32_e32 vcc_lo, 1, v63
	s_cbranch_vccnz .LBB317_1030
; %bb.1024:
	v_mad_u64_u32 v[57:58], null, v47, s8, s[10:11]
	v_mul_lo_u32 v47, v47, s9
	v_mul_lo_u32 v48, v48, s8
	v_mad_u64_u32 v[59:60], null, v45, s8, s[10:11]
	v_mul_lo_u32 v61, v45, s9
	v_mul_lo_u32 v62, v46, s8
	s_mov_b32 s15, exec_lo
	s_delay_alu instid0(VALU_DEP_4) | instskip(SKIP_2) | instid1(VALU_DEP_4)
	v_add3_u32 v58, v48, v58, v47
	v_mov_b32_e32 v47, 1
	v_mov_b32_e32 v48, 0
	v_add3_u32 v60, v62, v60, v61
	s_clause 0x1
	global_load_u8 v61, v[57:58], off
	global_load_u8 v62, v[59:60], off
	s_waitcnt vmcnt(0)
	v_cmpx_eq_u16_e64 v61, v62
	s_cbranch_execz .LBB317_1032
; %bb.1025:
	s_mov_b64 s[0:1], 1
	s_mov_b32 s18, 0
                                        ; implicit-def: $sgpr19
	s_set_inst_prefetch_distance 0x1
	s_branch .LBB317_1028
	.p2align	6
.LBB317_1026:                           ;   in Loop: Header=BB317_1028 Depth=1
	v_add_co_u32 v47, vcc_lo, v57, s0
	v_add_co_ci_u32_e32 v48, vcc_lo, s1, v58, vcc_lo
	v_add_co_u32 v61, vcc_lo, v59, s0
	v_add_co_ci_u32_e32 v62, vcc_lo, s1, v60, vcc_lo
	s_add_u32 s12, s0, 1
	s_clause 0x1
	global_load_u8 v47, v[47:48], off
	global_load_u8 v48, v[61:62], off
	s_addc_u32 s13, s1, 0
	s_and_not1_b32 s19, s19, exec_lo
	s_waitcnt vmcnt(0)
	v_cmp_ne_u16_e32 vcc_lo, v47, v48
	s_and_b32 s20, vcc_lo, exec_lo
	s_delay_alu instid0(SALU_CYCLE_1)
	s_or_b32 s19, s19, s20
.LBB317_1027:                           ;   in Loop: Header=BB317_1028 Depth=1
	v_dual_mov_b32 v48, s1 :: v_dual_mov_b32 v47, s0
	s_and_b32 s20, exec_lo, s19
	s_mov_b64 s[0:1], s[12:13]
	s_or_b32 s18, s20, s18
	s_delay_alu instid0(SALU_CYCLE_1)
	s_and_not1_b32 exec_lo, exec_lo, s18
	s_cbranch_execz .LBB317_1031
.LBB317_1028:                           ; =>This Inner Loop Header: Depth=1
	s_or_b32 s19, s19, exec_lo
	s_cmp_eq_u64 s[8:9], s[0:1]
	s_cbranch_scc0 .LBB317_1026
; %bb.1029:                             ;   in Loop: Header=BB317_1028 Depth=1
	s_mov_b64 s[0:1], s[8:9]
                                        ; implicit-def: $sgpr12_sgpr13
	s_branch .LBB317_1027
.LBB317_1030:
	v_mov_b32_e32 v47, 0
	v_mov_b32_e32 v48, 0
	s_branch .LBB317_1033
.LBB317_1031:
	s_set_inst_prefetch_distance 0x2
	s_or_b32 exec_lo, exec_lo, s18
	v_cmp_gt_i64_e32 vcc_lo, s[8:9], v[47:48]
	s_mov_b32 s0, 0
	s_delay_alu instid0(SALU_CYCLE_1)
	v_mov_b32_e32 v48, s0
	v_cndmask_b32_e64 v47, 0, 1, vcc_lo
.LBB317_1032:
	s_or_b32 exec_lo, exec_lo, s15
.LBB317_1033:
	s_delay_alu instid0(SALU_CYCLE_1) | instskip(SKIP_2) | instid1(VALU_DEP_1)
	s_or_b32 exec_lo, exec_lo, s14
	v_add_nc_u32_e32 v57, 18, v64
	s_mov_b32 s14, exec_lo
	v_cmpx_gt_u32_e64 s6, v57
	s_cbranch_execz .LBB317_1044
; %bb.1034:
	v_cmp_ne_u32_e32 vcc_lo, 1, v63
	s_cbranch_vccnz .LBB317_1041
; %bb.1035:
	v_mad_u64_u32 v[57:58], null, v45, s8, s[10:11]
	v_mul_lo_u32 v45, v45, s9
	v_mul_lo_u32 v46, v46, s8
	v_mad_u64_u32 v[59:60], null, v43, s8, s[10:11]
	v_mul_lo_u32 v61, v43, s9
	v_mul_lo_u32 v62, v44, s8
	s_mov_b32 s15, exec_lo
	s_delay_alu instid0(VALU_DEP_4) | instskip(SKIP_2) | instid1(VALU_DEP_4)
	v_add3_u32 v58, v46, v58, v45
	v_mov_b32_e32 v45, 1
	v_mov_b32_e32 v46, 0
	v_add3_u32 v60, v62, v60, v61
	s_clause 0x1
	global_load_u8 v61, v[57:58], off
	global_load_u8 v62, v[59:60], off
	s_waitcnt vmcnt(0)
	v_cmpx_eq_u16_e64 v61, v62
	s_cbranch_execz .LBB317_1043
; %bb.1036:
	s_mov_b64 s[0:1], 1
	s_mov_b32 s18, 0
                                        ; implicit-def: $sgpr19
	s_set_inst_prefetch_distance 0x1
	s_branch .LBB317_1039
	.p2align	6
.LBB317_1037:                           ;   in Loop: Header=BB317_1039 Depth=1
	v_add_co_u32 v45, vcc_lo, v57, s0
	v_add_co_ci_u32_e32 v46, vcc_lo, s1, v58, vcc_lo
	v_add_co_u32 v61, vcc_lo, v59, s0
	v_add_co_ci_u32_e32 v62, vcc_lo, s1, v60, vcc_lo
	s_add_u32 s12, s0, 1
	s_clause 0x1
	global_load_u8 v45, v[45:46], off
	global_load_u8 v46, v[61:62], off
	s_addc_u32 s13, s1, 0
	s_and_not1_b32 s19, s19, exec_lo
	s_waitcnt vmcnt(0)
	v_cmp_ne_u16_e32 vcc_lo, v45, v46
	s_and_b32 s20, vcc_lo, exec_lo
	s_delay_alu instid0(SALU_CYCLE_1)
	s_or_b32 s19, s19, s20
.LBB317_1038:                           ;   in Loop: Header=BB317_1039 Depth=1
	v_dual_mov_b32 v46, s1 :: v_dual_mov_b32 v45, s0
	s_and_b32 s20, exec_lo, s19
	s_mov_b64 s[0:1], s[12:13]
	s_or_b32 s18, s20, s18
	s_delay_alu instid0(SALU_CYCLE_1)
	s_and_not1_b32 exec_lo, exec_lo, s18
	s_cbranch_execz .LBB317_1042
.LBB317_1039:                           ; =>This Inner Loop Header: Depth=1
	s_or_b32 s19, s19, exec_lo
	s_cmp_eq_u64 s[8:9], s[0:1]
	s_cbranch_scc0 .LBB317_1037
; %bb.1040:                             ;   in Loop: Header=BB317_1039 Depth=1
	s_mov_b64 s[0:1], s[8:9]
                                        ; implicit-def: $sgpr12_sgpr13
	s_branch .LBB317_1038
.LBB317_1041:
	v_mov_b32_e32 v45, 0
	v_mov_b32_e32 v46, 0
	s_branch .LBB317_1044
.LBB317_1042:
	s_set_inst_prefetch_distance 0x2
	s_or_b32 exec_lo, exec_lo, s18
	v_cmp_gt_i64_e32 vcc_lo, s[8:9], v[45:46]
	s_mov_b32 s0, 0
	s_delay_alu instid0(SALU_CYCLE_1)
	v_mov_b32_e32 v46, s0
	v_cndmask_b32_e64 v45, 0, 1, vcc_lo
.LBB317_1043:
	s_or_b32 exec_lo, exec_lo, s15
.LBB317_1044:
	s_delay_alu instid0(SALU_CYCLE_1) | instskip(SKIP_2) | instid1(VALU_DEP_1)
	s_or_b32 exec_lo, exec_lo, s14
	v_add_nc_u32_e32 v57, 17, v64
	s_mov_b32 s14, exec_lo
	v_cmpx_gt_u32_e64 s6, v57
	s_cbranch_execz .LBB317_1055
; %bb.1045:
	v_cmp_ne_u32_e32 vcc_lo, 1, v63
	s_cbranch_vccnz .LBB317_1052
; %bb.1046:
	v_mad_u64_u32 v[57:58], null, v43, s8, s[10:11]
	v_mul_lo_u32 v43, v43, s9
	v_mul_lo_u32 v44, v44, s8
	v_mad_u64_u32 v[59:60], null, v41, s8, s[10:11]
	v_mul_lo_u32 v61, v41, s9
	v_mul_lo_u32 v62, v42, s8
	s_mov_b32 s15, exec_lo
	s_delay_alu instid0(VALU_DEP_4) | instskip(SKIP_2) | instid1(VALU_DEP_4)
	v_add3_u32 v58, v44, v58, v43
	v_mov_b32_e32 v43, 1
	v_mov_b32_e32 v44, 0
	v_add3_u32 v60, v62, v60, v61
	s_clause 0x1
	global_load_u8 v61, v[57:58], off
	global_load_u8 v62, v[59:60], off
	s_waitcnt vmcnt(0)
	v_cmpx_eq_u16_e64 v61, v62
	s_cbranch_execz .LBB317_1054
; %bb.1047:
	s_mov_b64 s[0:1], 1
	s_mov_b32 s18, 0
                                        ; implicit-def: $sgpr19
	s_set_inst_prefetch_distance 0x1
	s_branch .LBB317_1050
	.p2align	6
.LBB317_1048:                           ;   in Loop: Header=BB317_1050 Depth=1
	v_add_co_u32 v43, vcc_lo, v57, s0
	v_add_co_ci_u32_e32 v44, vcc_lo, s1, v58, vcc_lo
	v_add_co_u32 v61, vcc_lo, v59, s0
	v_add_co_ci_u32_e32 v62, vcc_lo, s1, v60, vcc_lo
	s_add_u32 s12, s0, 1
	s_clause 0x1
	global_load_u8 v43, v[43:44], off
	global_load_u8 v44, v[61:62], off
	s_addc_u32 s13, s1, 0
	s_and_not1_b32 s19, s19, exec_lo
	s_waitcnt vmcnt(0)
	v_cmp_ne_u16_e32 vcc_lo, v43, v44
	s_and_b32 s20, vcc_lo, exec_lo
	s_delay_alu instid0(SALU_CYCLE_1)
	s_or_b32 s19, s19, s20
.LBB317_1049:                           ;   in Loop: Header=BB317_1050 Depth=1
	v_dual_mov_b32 v44, s1 :: v_dual_mov_b32 v43, s0
	s_and_b32 s20, exec_lo, s19
	s_mov_b64 s[0:1], s[12:13]
	s_or_b32 s18, s20, s18
	s_delay_alu instid0(SALU_CYCLE_1)
	s_and_not1_b32 exec_lo, exec_lo, s18
	s_cbranch_execz .LBB317_1053
.LBB317_1050:                           ; =>This Inner Loop Header: Depth=1
	s_or_b32 s19, s19, exec_lo
	s_cmp_eq_u64 s[8:9], s[0:1]
	s_cbranch_scc0 .LBB317_1048
; %bb.1051:                             ;   in Loop: Header=BB317_1050 Depth=1
	s_mov_b64 s[0:1], s[8:9]
                                        ; implicit-def: $sgpr12_sgpr13
	s_branch .LBB317_1049
.LBB317_1052:
	v_mov_b32_e32 v43, 0
	v_mov_b32_e32 v44, 0
	s_branch .LBB317_1055
.LBB317_1053:
	s_set_inst_prefetch_distance 0x2
	s_or_b32 exec_lo, exec_lo, s18
	v_cmp_gt_i64_e32 vcc_lo, s[8:9], v[43:44]
	s_mov_b32 s0, 0
	s_delay_alu instid0(SALU_CYCLE_1)
	v_mov_b32_e32 v44, s0
	v_cndmask_b32_e64 v43, 0, 1, vcc_lo
.LBB317_1054:
	s_or_b32 exec_lo, exec_lo, s15
.LBB317_1055:
	s_delay_alu instid0(SALU_CYCLE_1) | instskip(SKIP_2) | instid1(VALU_DEP_1)
	s_or_b32 exec_lo, exec_lo, s14
	v_add_nc_u32_e32 v57, 16, v64
	s_mov_b32 s14, exec_lo
	v_cmpx_gt_u32_e64 s6, v57
	s_cbranch_execz .LBB317_1066
; %bb.1056:
	v_cmp_ne_u32_e32 vcc_lo, 1, v63
	s_cbranch_vccnz .LBB317_1063
; %bb.1057:
	v_mad_u64_u32 v[57:58], null, v41, s8, s[10:11]
	v_mul_lo_u32 v41, v41, s9
	v_mul_lo_u32 v42, v42, s8
	v_mad_u64_u32 v[59:60], null, v39, s8, s[10:11]
	v_mul_lo_u32 v61, v39, s9
	v_mul_lo_u32 v62, v40, s8
	s_mov_b32 s15, exec_lo
	s_delay_alu instid0(VALU_DEP_4) | instskip(SKIP_2) | instid1(VALU_DEP_4)
	v_add3_u32 v58, v42, v58, v41
	v_mov_b32_e32 v41, 1
	v_mov_b32_e32 v42, 0
	v_add3_u32 v60, v62, v60, v61
	s_clause 0x1
	global_load_u8 v61, v[57:58], off
	global_load_u8 v62, v[59:60], off
	s_waitcnt vmcnt(0)
	v_cmpx_eq_u16_e64 v61, v62
	s_cbranch_execz .LBB317_1065
; %bb.1058:
	s_mov_b64 s[0:1], 1
	s_mov_b32 s18, 0
                                        ; implicit-def: $sgpr19
	s_set_inst_prefetch_distance 0x1
	s_branch .LBB317_1061
	.p2align	6
.LBB317_1059:                           ;   in Loop: Header=BB317_1061 Depth=1
	v_add_co_u32 v41, vcc_lo, v57, s0
	v_add_co_ci_u32_e32 v42, vcc_lo, s1, v58, vcc_lo
	v_add_co_u32 v61, vcc_lo, v59, s0
	v_add_co_ci_u32_e32 v62, vcc_lo, s1, v60, vcc_lo
	s_add_u32 s12, s0, 1
	s_clause 0x1
	global_load_u8 v41, v[41:42], off
	global_load_u8 v42, v[61:62], off
	s_addc_u32 s13, s1, 0
	s_and_not1_b32 s19, s19, exec_lo
	s_waitcnt vmcnt(0)
	v_cmp_ne_u16_e32 vcc_lo, v41, v42
	s_and_b32 s20, vcc_lo, exec_lo
	s_delay_alu instid0(SALU_CYCLE_1)
	s_or_b32 s19, s19, s20
.LBB317_1060:                           ;   in Loop: Header=BB317_1061 Depth=1
	v_dual_mov_b32 v42, s1 :: v_dual_mov_b32 v41, s0
	s_and_b32 s20, exec_lo, s19
	s_mov_b64 s[0:1], s[12:13]
	s_or_b32 s18, s20, s18
	s_delay_alu instid0(SALU_CYCLE_1)
	s_and_not1_b32 exec_lo, exec_lo, s18
	s_cbranch_execz .LBB317_1064
.LBB317_1061:                           ; =>This Inner Loop Header: Depth=1
	s_or_b32 s19, s19, exec_lo
	s_cmp_eq_u64 s[8:9], s[0:1]
	s_cbranch_scc0 .LBB317_1059
; %bb.1062:                             ;   in Loop: Header=BB317_1061 Depth=1
	s_mov_b64 s[0:1], s[8:9]
                                        ; implicit-def: $sgpr12_sgpr13
	s_branch .LBB317_1060
.LBB317_1063:
	v_mov_b32_e32 v41, 0
	v_mov_b32_e32 v42, 0
	s_branch .LBB317_1066
.LBB317_1064:
	s_set_inst_prefetch_distance 0x2
	s_or_b32 exec_lo, exec_lo, s18
	v_cmp_gt_i64_e32 vcc_lo, s[8:9], v[41:42]
	s_mov_b32 s0, 0
	s_delay_alu instid0(SALU_CYCLE_1)
	v_mov_b32_e32 v42, s0
	v_cndmask_b32_e64 v41, 0, 1, vcc_lo
.LBB317_1065:
	s_or_b32 exec_lo, exec_lo, s15
.LBB317_1066:
	s_delay_alu instid0(SALU_CYCLE_1) | instskip(SKIP_2) | instid1(VALU_DEP_1)
	s_or_b32 exec_lo, exec_lo, s14
	v_add_nc_u32_e32 v57, 15, v64
	s_mov_b32 s14, exec_lo
	v_cmpx_gt_u32_e64 s6, v57
	s_cbranch_execz .LBB317_1077
; %bb.1067:
	v_cmp_ne_u32_e32 vcc_lo, 1, v63
	s_cbranch_vccnz .LBB317_1074
; %bb.1068:
	v_mad_u64_u32 v[57:58], null, v39, s8, s[10:11]
	v_mul_lo_u32 v39, v39, s9
	v_mul_lo_u32 v40, v40, s8
	v_mad_u64_u32 v[59:60], null, v37, s8, s[10:11]
	v_mul_lo_u32 v61, v37, s9
	v_mul_lo_u32 v62, v38, s8
	s_mov_b32 s15, exec_lo
	s_delay_alu instid0(VALU_DEP_4) | instskip(SKIP_2) | instid1(VALU_DEP_4)
	v_add3_u32 v58, v40, v58, v39
	v_mov_b32_e32 v39, 1
	v_mov_b32_e32 v40, 0
	v_add3_u32 v60, v62, v60, v61
	s_clause 0x1
	global_load_u8 v61, v[57:58], off
	global_load_u8 v62, v[59:60], off
	s_waitcnt vmcnt(0)
	v_cmpx_eq_u16_e64 v61, v62
	s_cbranch_execz .LBB317_1076
; %bb.1069:
	s_mov_b64 s[0:1], 1
	s_mov_b32 s18, 0
                                        ; implicit-def: $sgpr19
	s_set_inst_prefetch_distance 0x1
	s_branch .LBB317_1072
	.p2align	6
.LBB317_1070:                           ;   in Loop: Header=BB317_1072 Depth=1
	v_add_co_u32 v39, vcc_lo, v57, s0
	v_add_co_ci_u32_e32 v40, vcc_lo, s1, v58, vcc_lo
	v_add_co_u32 v61, vcc_lo, v59, s0
	v_add_co_ci_u32_e32 v62, vcc_lo, s1, v60, vcc_lo
	s_add_u32 s12, s0, 1
	s_clause 0x1
	global_load_u8 v39, v[39:40], off
	global_load_u8 v40, v[61:62], off
	s_addc_u32 s13, s1, 0
	s_and_not1_b32 s19, s19, exec_lo
	s_waitcnt vmcnt(0)
	v_cmp_ne_u16_e32 vcc_lo, v39, v40
	s_and_b32 s20, vcc_lo, exec_lo
	s_delay_alu instid0(SALU_CYCLE_1)
	s_or_b32 s19, s19, s20
.LBB317_1071:                           ;   in Loop: Header=BB317_1072 Depth=1
	v_dual_mov_b32 v40, s1 :: v_dual_mov_b32 v39, s0
	s_and_b32 s20, exec_lo, s19
	s_mov_b64 s[0:1], s[12:13]
	s_or_b32 s18, s20, s18
	s_delay_alu instid0(SALU_CYCLE_1)
	s_and_not1_b32 exec_lo, exec_lo, s18
	s_cbranch_execz .LBB317_1075
.LBB317_1072:                           ; =>This Inner Loop Header: Depth=1
	s_or_b32 s19, s19, exec_lo
	s_cmp_eq_u64 s[8:9], s[0:1]
	s_cbranch_scc0 .LBB317_1070
; %bb.1073:                             ;   in Loop: Header=BB317_1072 Depth=1
	s_mov_b64 s[0:1], s[8:9]
                                        ; implicit-def: $sgpr12_sgpr13
	s_branch .LBB317_1071
.LBB317_1074:
	v_mov_b32_e32 v39, 0
	v_mov_b32_e32 v40, 0
	s_branch .LBB317_1077
.LBB317_1075:
	s_set_inst_prefetch_distance 0x2
	s_or_b32 exec_lo, exec_lo, s18
	v_cmp_gt_i64_e32 vcc_lo, s[8:9], v[39:40]
	s_mov_b32 s0, 0
	s_delay_alu instid0(SALU_CYCLE_1)
	v_mov_b32_e32 v40, s0
	v_cndmask_b32_e64 v39, 0, 1, vcc_lo
.LBB317_1076:
	s_or_b32 exec_lo, exec_lo, s15
.LBB317_1077:
	s_delay_alu instid0(SALU_CYCLE_1) | instskip(SKIP_2) | instid1(VALU_DEP_1)
	s_or_b32 exec_lo, exec_lo, s14
	v_add_nc_u32_e32 v57, 14, v64
	s_mov_b32 s14, exec_lo
	v_cmpx_gt_u32_e64 s6, v57
	s_cbranch_execz .LBB317_1088
; %bb.1078:
	v_cmp_ne_u32_e32 vcc_lo, 1, v63
	s_cbranch_vccnz .LBB317_1085
; %bb.1079:
	v_mad_u64_u32 v[57:58], null, v37, s8, s[10:11]
	v_mul_lo_u32 v37, v37, s9
	v_mul_lo_u32 v38, v38, s8
	v_mad_u64_u32 v[59:60], null, v35, s8, s[10:11]
	v_mul_lo_u32 v61, v35, s9
	v_mul_lo_u32 v62, v36, s8
	s_mov_b32 s15, exec_lo
	s_delay_alu instid0(VALU_DEP_4) | instskip(SKIP_2) | instid1(VALU_DEP_4)
	v_add3_u32 v58, v38, v58, v37
	v_mov_b32_e32 v37, 1
	v_mov_b32_e32 v38, 0
	v_add3_u32 v60, v62, v60, v61
	s_clause 0x1
	global_load_u8 v61, v[57:58], off
	global_load_u8 v62, v[59:60], off
	s_waitcnt vmcnt(0)
	v_cmpx_eq_u16_e64 v61, v62
	s_cbranch_execz .LBB317_1087
; %bb.1080:
	s_mov_b64 s[0:1], 1
	s_mov_b32 s18, 0
                                        ; implicit-def: $sgpr19
	s_set_inst_prefetch_distance 0x1
	s_branch .LBB317_1083
	.p2align	6
.LBB317_1081:                           ;   in Loop: Header=BB317_1083 Depth=1
	v_add_co_u32 v37, vcc_lo, v57, s0
	v_add_co_ci_u32_e32 v38, vcc_lo, s1, v58, vcc_lo
	v_add_co_u32 v61, vcc_lo, v59, s0
	v_add_co_ci_u32_e32 v62, vcc_lo, s1, v60, vcc_lo
	s_add_u32 s12, s0, 1
	s_clause 0x1
	global_load_u8 v37, v[37:38], off
	global_load_u8 v38, v[61:62], off
	s_addc_u32 s13, s1, 0
	s_and_not1_b32 s19, s19, exec_lo
	s_waitcnt vmcnt(0)
	v_cmp_ne_u16_e32 vcc_lo, v37, v38
	s_and_b32 s20, vcc_lo, exec_lo
	s_delay_alu instid0(SALU_CYCLE_1)
	s_or_b32 s19, s19, s20
.LBB317_1082:                           ;   in Loop: Header=BB317_1083 Depth=1
	v_dual_mov_b32 v38, s1 :: v_dual_mov_b32 v37, s0
	s_and_b32 s20, exec_lo, s19
	s_mov_b64 s[0:1], s[12:13]
	s_or_b32 s18, s20, s18
	s_delay_alu instid0(SALU_CYCLE_1)
	s_and_not1_b32 exec_lo, exec_lo, s18
	s_cbranch_execz .LBB317_1086
.LBB317_1083:                           ; =>This Inner Loop Header: Depth=1
	s_or_b32 s19, s19, exec_lo
	s_cmp_eq_u64 s[8:9], s[0:1]
	s_cbranch_scc0 .LBB317_1081
; %bb.1084:                             ;   in Loop: Header=BB317_1083 Depth=1
	s_mov_b64 s[0:1], s[8:9]
                                        ; implicit-def: $sgpr12_sgpr13
	s_branch .LBB317_1082
.LBB317_1085:
	v_mov_b32_e32 v37, 0
	v_mov_b32_e32 v38, 0
	s_branch .LBB317_1088
.LBB317_1086:
	s_set_inst_prefetch_distance 0x2
	s_or_b32 exec_lo, exec_lo, s18
	v_cmp_gt_i64_e32 vcc_lo, s[8:9], v[37:38]
	s_mov_b32 s0, 0
	s_delay_alu instid0(SALU_CYCLE_1)
	v_mov_b32_e32 v38, s0
	v_cndmask_b32_e64 v37, 0, 1, vcc_lo
.LBB317_1087:
	s_or_b32 exec_lo, exec_lo, s15
.LBB317_1088:
	s_delay_alu instid0(SALU_CYCLE_1) | instskip(SKIP_2) | instid1(VALU_DEP_1)
	s_or_b32 exec_lo, exec_lo, s14
	v_add_nc_u32_e32 v57, 13, v64
	s_mov_b32 s14, exec_lo
	v_cmpx_gt_u32_e64 s6, v57
	s_cbranch_execz .LBB317_1099
; %bb.1089:
	v_cmp_ne_u32_e32 vcc_lo, 1, v63
	s_cbranch_vccnz .LBB317_1096
; %bb.1090:
	v_mad_u64_u32 v[57:58], null, v35, s8, s[10:11]
	v_mul_lo_u32 v35, v35, s9
	v_mul_lo_u32 v36, v36, s8
	v_mad_u64_u32 v[59:60], null, v33, s8, s[10:11]
	v_mul_lo_u32 v61, v33, s9
	v_mul_lo_u32 v62, v34, s8
	s_mov_b32 s15, exec_lo
	s_delay_alu instid0(VALU_DEP_4) | instskip(SKIP_2) | instid1(VALU_DEP_4)
	v_add3_u32 v58, v36, v58, v35
	v_mov_b32_e32 v35, 1
	v_mov_b32_e32 v36, 0
	v_add3_u32 v60, v62, v60, v61
	s_clause 0x1
	global_load_u8 v61, v[57:58], off
	global_load_u8 v62, v[59:60], off
	s_waitcnt vmcnt(0)
	v_cmpx_eq_u16_e64 v61, v62
	s_cbranch_execz .LBB317_1098
; %bb.1091:
	s_mov_b64 s[0:1], 1
	s_mov_b32 s18, 0
                                        ; implicit-def: $sgpr19
	s_set_inst_prefetch_distance 0x1
	s_branch .LBB317_1094
	.p2align	6
.LBB317_1092:                           ;   in Loop: Header=BB317_1094 Depth=1
	v_add_co_u32 v35, vcc_lo, v57, s0
	v_add_co_ci_u32_e32 v36, vcc_lo, s1, v58, vcc_lo
	v_add_co_u32 v61, vcc_lo, v59, s0
	v_add_co_ci_u32_e32 v62, vcc_lo, s1, v60, vcc_lo
	s_add_u32 s12, s0, 1
	s_clause 0x1
	global_load_u8 v35, v[35:36], off
	global_load_u8 v36, v[61:62], off
	s_addc_u32 s13, s1, 0
	s_and_not1_b32 s19, s19, exec_lo
	s_waitcnt vmcnt(0)
	v_cmp_ne_u16_e32 vcc_lo, v35, v36
	s_and_b32 s20, vcc_lo, exec_lo
	s_delay_alu instid0(SALU_CYCLE_1)
	s_or_b32 s19, s19, s20
.LBB317_1093:                           ;   in Loop: Header=BB317_1094 Depth=1
	v_dual_mov_b32 v36, s1 :: v_dual_mov_b32 v35, s0
	s_and_b32 s20, exec_lo, s19
	s_mov_b64 s[0:1], s[12:13]
	s_or_b32 s18, s20, s18
	s_delay_alu instid0(SALU_CYCLE_1)
	s_and_not1_b32 exec_lo, exec_lo, s18
	s_cbranch_execz .LBB317_1097
.LBB317_1094:                           ; =>This Inner Loop Header: Depth=1
	s_or_b32 s19, s19, exec_lo
	s_cmp_eq_u64 s[8:9], s[0:1]
	s_cbranch_scc0 .LBB317_1092
; %bb.1095:                             ;   in Loop: Header=BB317_1094 Depth=1
	s_mov_b64 s[0:1], s[8:9]
                                        ; implicit-def: $sgpr12_sgpr13
	s_branch .LBB317_1093
.LBB317_1096:
	v_mov_b32_e32 v35, 0
	v_mov_b32_e32 v36, 0
	s_branch .LBB317_1099
.LBB317_1097:
	s_set_inst_prefetch_distance 0x2
	s_or_b32 exec_lo, exec_lo, s18
	v_cmp_gt_i64_e32 vcc_lo, s[8:9], v[35:36]
	s_mov_b32 s0, 0
	s_delay_alu instid0(SALU_CYCLE_1)
	v_mov_b32_e32 v36, s0
	v_cndmask_b32_e64 v35, 0, 1, vcc_lo
.LBB317_1098:
	s_or_b32 exec_lo, exec_lo, s15
.LBB317_1099:
	s_delay_alu instid0(SALU_CYCLE_1) | instskip(SKIP_2) | instid1(VALU_DEP_1)
	s_or_b32 exec_lo, exec_lo, s14
	v_add_nc_u32_e32 v57, 12, v64
	s_mov_b32 s14, exec_lo
	v_cmpx_gt_u32_e64 s6, v57
	s_cbranch_execz .LBB317_1110
; %bb.1100:
	v_cmp_ne_u32_e32 vcc_lo, 1, v63
	s_cbranch_vccnz .LBB317_1107
; %bb.1101:
	v_mad_u64_u32 v[57:58], null, v33, s8, s[10:11]
	v_mul_lo_u32 v33, v33, s9
	v_mul_lo_u32 v34, v34, s8
	v_mad_u64_u32 v[59:60], null, v31, s8, s[10:11]
	v_mul_lo_u32 v61, v31, s9
	v_mul_lo_u32 v62, v32, s8
	s_mov_b32 s15, exec_lo
	s_delay_alu instid0(VALU_DEP_4) | instskip(SKIP_2) | instid1(VALU_DEP_4)
	v_add3_u32 v58, v34, v58, v33
	v_mov_b32_e32 v33, 1
	v_mov_b32_e32 v34, 0
	v_add3_u32 v60, v62, v60, v61
	s_clause 0x1
	global_load_u8 v61, v[57:58], off
	global_load_u8 v62, v[59:60], off
	s_waitcnt vmcnt(0)
	v_cmpx_eq_u16_e64 v61, v62
	s_cbranch_execz .LBB317_1109
; %bb.1102:
	s_mov_b64 s[0:1], 1
	s_mov_b32 s18, 0
                                        ; implicit-def: $sgpr19
	s_set_inst_prefetch_distance 0x1
	s_branch .LBB317_1105
	.p2align	6
.LBB317_1103:                           ;   in Loop: Header=BB317_1105 Depth=1
	v_add_co_u32 v33, vcc_lo, v57, s0
	v_add_co_ci_u32_e32 v34, vcc_lo, s1, v58, vcc_lo
	v_add_co_u32 v61, vcc_lo, v59, s0
	v_add_co_ci_u32_e32 v62, vcc_lo, s1, v60, vcc_lo
	s_add_u32 s12, s0, 1
	s_clause 0x1
	global_load_u8 v33, v[33:34], off
	global_load_u8 v34, v[61:62], off
	s_addc_u32 s13, s1, 0
	s_and_not1_b32 s19, s19, exec_lo
	s_waitcnt vmcnt(0)
	v_cmp_ne_u16_e32 vcc_lo, v33, v34
	s_and_b32 s20, vcc_lo, exec_lo
	s_delay_alu instid0(SALU_CYCLE_1)
	s_or_b32 s19, s19, s20
.LBB317_1104:                           ;   in Loop: Header=BB317_1105 Depth=1
	v_dual_mov_b32 v34, s1 :: v_dual_mov_b32 v33, s0
	s_and_b32 s20, exec_lo, s19
	s_mov_b64 s[0:1], s[12:13]
	s_or_b32 s18, s20, s18
	s_delay_alu instid0(SALU_CYCLE_1)
	s_and_not1_b32 exec_lo, exec_lo, s18
	s_cbranch_execz .LBB317_1108
.LBB317_1105:                           ; =>This Inner Loop Header: Depth=1
	s_or_b32 s19, s19, exec_lo
	s_cmp_eq_u64 s[8:9], s[0:1]
	s_cbranch_scc0 .LBB317_1103
; %bb.1106:                             ;   in Loop: Header=BB317_1105 Depth=1
	s_mov_b64 s[0:1], s[8:9]
                                        ; implicit-def: $sgpr12_sgpr13
	s_branch .LBB317_1104
.LBB317_1107:
	v_mov_b32_e32 v33, 0
	v_mov_b32_e32 v34, 0
	s_branch .LBB317_1110
.LBB317_1108:
	s_set_inst_prefetch_distance 0x2
	s_or_b32 exec_lo, exec_lo, s18
	v_cmp_gt_i64_e32 vcc_lo, s[8:9], v[33:34]
	s_mov_b32 s0, 0
	s_delay_alu instid0(SALU_CYCLE_1)
	v_mov_b32_e32 v34, s0
	v_cndmask_b32_e64 v33, 0, 1, vcc_lo
.LBB317_1109:
	s_or_b32 exec_lo, exec_lo, s15
.LBB317_1110:
	s_delay_alu instid0(SALU_CYCLE_1) | instskip(SKIP_2) | instid1(VALU_DEP_1)
	s_or_b32 exec_lo, exec_lo, s14
	v_add_nc_u32_e32 v57, 11, v64
	s_mov_b32 s14, exec_lo
	v_cmpx_gt_u32_e64 s6, v57
	s_cbranch_execz .LBB317_1121
; %bb.1111:
	v_cmp_ne_u32_e32 vcc_lo, 1, v63
	s_cbranch_vccnz .LBB317_1118
; %bb.1112:
	v_mad_u64_u32 v[57:58], null, v31, s8, s[10:11]
	v_mul_lo_u32 v31, v31, s9
	v_mul_lo_u32 v32, v32, s8
	v_mad_u64_u32 v[59:60], null, v29, s8, s[10:11]
	v_mul_lo_u32 v61, v29, s9
	v_mul_lo_u32 v62, v30, s8
	s_mov_b32 s15, exec_lo
	s_delay_alu instid0(VALU_DEP_4) | instskip(SKIP_2) | instid1(VALU_DEP_4)
	v_add3_u32 v58, v32, v58, v31
	v_mov_b32_e32 v31, 1
	v_mov_b32_e32 v32, 0
	v_add3_u32 v60, v62, v60, v61
	s_clause 0x1
	global_load_u8 v61, v[57:58], off
	global_load_u8 v62, v[59:60], off
	s_waitcnt vmcnt(0)
	v_cmpx_eq_u16_e64 v61, v62
	s_cbranch_execz .LBB317_1120
; %bb.1113:
	s_mov_b64 s[0:1], 1
	s_mov_b32 s18, 0
                                        ; implicit-def: $sgpr19
	s_set_inst_prefetch_distance 0x1
	s_branch .LBB317_1116
	.p2align	6
.LBB317_1114:                           ;   in Loop: Header=BB317_1116 Depth=1
	v_add_co_u32 v31, vcc_lo, v57, s0
	v_add_co_ci_u32_e32 v32, vcc_lo, s1, v58, vcc_lo
	v_add_co_u32 v61, vcc_lo, v59, s0
	v_add_co_ci_u32_e32 v62, vcc_lo, s1, v60, vcc_lo
	s_add_u32 s12, s0, 1
	s_clause 0x1
	global_load_u8 v31, v[31:32], off
	global_load_u8 v32, v[61:62], off
	s_addc_u32 s13, s1, 0
	s_and_not1_b32 s19, s19, exec_lo
	s_waitcnt vmcnt(0)
	v_cmp_ne_u16_e32 vcc_lo, v31, v32
	s_and_b32 s20, vcc_lo, exec_lo
	s_delay_alu instid0(SALU_CYCLE_1)
	s_or_b32 s19, s19, s20
.LBB317_1115:                           ;   in Loop: Header=BB317_1116 Depth=1
	v_dual_mov_b32 v32, s1 :: v_dual_mov_b32 v31, s0
	s_and_b32 s20, exec_lo, s19
	s_mov_b64 s[0:1], s[12:13]
	s_or_b32 s18, s20, s18
	s_delay_alu instid0(SALU_CYCLE_1)
	s_and_not1_b32 exec_lo, exec_lo, s18
	s_cbranch_execz .LBB317_1119
.LBB317_1116:                           ; =>This Inner Loop Header: Depth=1
	s_or_b32 s19, s19, exec_lo
	s_cmp_eq_u64 s[8:9], s[0:1]
	s_cbranch_scc0 .LBB317_1114
; %bb.1117:                             ;   in Loop: Header=BB317_1116 Depth=1
	s_mov_b64 s[0:1], s[8:9]
                                        ; implicit-def: $sgpr12_sgpr13
	s_branch .LBB317_1115
.LBB317_1118:
	v_mov_b32_e32 v31, 0
	v_mov_b32_e32 v32, 0
	s_branch .LBB317_1121
.LBB317_1119:
	s_set_inst_prefetch_distance 0x2
	s_or_b32 exec_lo, exec_lo, s18
	v_cmp_gt_i64_e32 vcc_lo, s[8:9], v[31:32]
	s_mov_b32 s0, 0
	s_delay_alu instid0(SALU_CYCLE_1)
	v_mov_b32_e32 v32, s0
	v_cndmask_b32_e64 v31, 0, 1, vcc_lo
.LBB317_1120:
	s_or_b32 exec_lo, exec_lo, s15
.LBB317_1121:
	s_delay_alu instid0(SALU_CYCLE_1) | instskip(SKIP_2) | instid1(VALU_DEP_1)
	s_or_b32 exec_lo, exec_lo, s14
	v_add_nc_u32_e32 v57, 10, v64
	s_mov_b32 s14, exec_lo
	v_cmpx_gt_u32_e64 s6, v57
	s_cbranch_execz .LBB317_1132
; %bb.1122:
	v_cmp_ne_u32_e32 vcc_lo, 1, v63
	s_cbranch_vccnz .LBB317_1129
; %bb.1123:
	v_mad_u64_u32 v[57:58], null, v29, s8, s[10:11]
	v_mul_lo_u32 v29, v29, s9
	v_mul_lo_u32 v30, v30, s8
	v_mad_u64_u32 v[59:60], null, v27, s8, s[10:11]
	v_mul_lo_u32 v61, v27, s9
	v_mul_lo_u32 v62, v28, s8
	s_mov_b32 s15, exec_lo
	s_delay_alu instid0(VALU_DEP_4) | instskip(SKIP_2) | instid1(VALU_DEP_4)
	v_add3_u32 v58, v30, v58, v29
	v_mov_b32_e32 v29, 1
	v_mov_b32_e32 v30, 0
	v_add3_u32 v60, v62, v60, v61
	s_clause 0x1
	global_load_u8 v61, v[57:58], off
	global_load_u8 v62, v[59:60], off
	s_waitcnt vmcnt(0)
	v_cmpx_eq_u16_e64 v61, v62
	s_cbranch_execz .LBB317_1131
; %bb.1124:
	s_mov_b64 s[0:1], 1
	s_mov_b32 s18, 0
                                        ; implicit-def: $sgpr19
	s_set_inst_prefetch_distance 0x1
	s_branch .LBB317_1127
	.p2align	6
.LBB317_1125:                           ;   in Loop: Header=BB317_1127 Depth=1
	v_add_co_u32 v29, vcc_lo, v57, s0
	v_add_co_ci_u32_e32 v30, vcc_lo, s1, v58, vcc_lo
	v_add_co_u32 v61, vcc_lo, v59, s0
	v_add_co_ci_u32_e32 v62, vcc_lo, s1, v60, vcc_lo
	s_add_u32 s12, s0, 1
	s_clause 0x1
	global_load_u8 v29, v[29:30], off
	global_load_u8 v30, v[61:62], off
	s_addc_u32 s13, s1, 0
	s_and_not1_b32 s19, s19, exec_lo
	s_waitcnt vmcnt(0)
	v_cmp_ne_u16_e32 vcc_lo, v29, v30
	s_and_b32 s20, vcc_lo, exec_lo
	s_delay_alu instid0(SALU_CYCLE_1)
	s_or_b32 s19, s19, s20
.LBB317_1126:                           ;   in Loop: Header=BB317_1127 Depth=1
	v_dual_mov_b32 v30, s1 :: v_dual_mov_b32 v29, s0
	s_and_b32 s20, exec_lo, s19
	s_mov_b64 s[0:1], s[12:13]
	s_or_b32 s18, s20, s18
	s_delay_alu instid0(SALU_CYCLE_1)
	s_and_not1_b32 exec_lo, exec_lo, s18
	s_cbranch_execz .LBB317_1130
.LBB317_1127:                           ; =>This Inner Loop Header: Depth=1
	s_or_b32 s19, s19, exec_lo
	s_cmp_eq_u64 s[8:9], s[0:1]
	s_cbranch_scc0 .LBB317_1125
; %bb.1128:                             ;   in Loop: Header=BB317_1127 Depth=1
	s_mov_b64 s[0:1], s[8:9]
                                        ; implicit-def: $sgpr12_sgpr13
	s_branch .LBB317_1126
.LBB317_1129:
	v_mov_b32_e32 v29, 0
	v_mov_b32_e32 v30, 0
	s_branch .LBB317_1132
.LBB317_1130:
	s_set_inst_prefetch_distance 0x2
	s_or_b32 exec_lo, exec_lo, s18
	v_cmp_gt_i64_e32 vcc_lo, s[8:9], v[29:30]
	s_mov_b32 s0, 0
	s_delay_alu instid0(SALU_CYCLE_1)
	v_mov_b32_e32 v30, s0
	v_cndmask_b32_e64 v29, 0, 1, vcc_lo
.LBB317_1131:
	s_or_b32 exec_lo, exec_lo, s15
.LBB317_1132:
	s_delay_alu instid0(SALU_CYCLE_1) | instskip(SKIP_2) | instid1(VALU_DEP_1)
	s_or_b32 exec_lo, exec_lo, s14
	v_add_nc_u32_e32 v57, 9, v64
	s_mov_b32 s14, exec_lo
	v_cmpx_gt_u32_e64 s6, v57
	s_cbranch_execz .LBB317_1143
; %bb.1133:
	v_cmp_ne_u32_e32 vcc_lo, 1, v63
	s_cbranch_vccnz .LBB317_1140
; %bb.1134:
	v_mad_u64_u32 v[57:58], null, v27, s8, s[10:11]
	v_mul_lo_u32 v27, v27, s9
	v_mul_lo_u32 v28, v28, s8
	v_mad_u64_u32 v[59:60], null, v25, s8, s[10:11]
	v_mul_lo_u32 v61, v25, s9
	v_mul_lo_u32 v62, v26, s8
	s_mov_b32 s15, exec_lo
	s_delay_alu instid0(VALU_DEP_4) | instskip(SKIP_2) | instid1(VALU_DEP_4)
	v_add3_u32 v58, v28, v58, v27
	v_mov_b32_e32 v27, 1
	v_mov_b32_e32 v28, 0
	v_add3_u32 v60, v62, v60, v61
	s_clause 0x1
	global_load_u8 v61, v[57:58], off
	global_load_u8 v62, v[59:60], off
	s_waitcnt vmcnt(0)
	v_cmpx_eq_u16_e64 v61, v62
	s_cbranch_execz .LBB317_1142
; %bb.1135:
	s_mov_b64 s[0:1], 1
	s_mov_b32 s18, 0
                                        ; implicit-def: $sgpr19
	s_set_inst_prefetch_distance 0x1
	s_branch .LBB317_1138
	.p2align	6
.LBB317_1136:                           ;   in Loop: Header=BB317_1138 Depth=1
	v_add_co_u32 v27, vcc_lo, v57, s0
	v_add_co_ci_u32_e32 v28, vcc_lo, s1, v58, vcc_lo
	v_add_co_u32 v61, vcc_lo, v59, s0
	v_add_co_ci_u32_e32 v62, vcc_lo, s1, v60, vcc_lo
	s_add_u32 s12, s0, 1
	s_clause 0x1
	global_load_u8 v27, v[27:28], off
	global_load_u8 v28, v[61:62], off
	s_addc_u32 s13, s1, 0
	s_and_not1_b32 s19, s19, exec_lo
	s_waitcnt vmcnt(0)
	v_cmp_ne_u16_e32 vcc_lo, v27, v28
	s_and_b32 s20, vcc_lo, exec_lo
	s_delay_alu instid0(SALU_CYCLE_1)
	s_or_b32 s19, s19, s20
.LBB317_1137:                           ;   in Loop: Header=BB317_1138 Depth=1
	v_dual_mov_b32 v28, s1 :: v_dual_mov_b32 v27, s0
	s_and_b32 s20, exec_lo, s19
	s_mov_b64 s[0:1], s[12:13]
	s_or_b32 s18, s20, s18
	s_delay_alu instid0(SALU_CYCLE_1)
	s_and_not1_b32 exec_lo, exec_lo, s18
	s_cbranch_execz .LBB317_1141
.LBB317_1138:                           ; =>This Inner Loop Header: Depth=1
	s_or_b32 s19, s19, exec_lo
	s_cmp_eq_u64 s[8:9], s[0:1]
	s_cbranch_scc0 .LBB317_1136
; %bb.1139:                             ;   in Loop: Header=BB317_1138 Depth=1
	s_mov_b64 s[0:1], s[8:9]
                                        ; implicit-def: $sgpr12_sgpr13
	s_branch .LBB317_1137
.LBB317_1140:
	v_mov_b32_e32 v27, 0
	v_mov_b32_e32 v28, 0
	s_branch .LBB317_1143
.LBB317_1141:
	s_set_inst_prefetch_distance 0x2
	s_or_b32 exec_lo, exec_lo, s18
	v_cmp_gt_i64_e32 vcc_lo, s[8:9], v[27:28]
	s_mov_b32 s0, 0
	s_delay_alu instid0(SALU_CYCLE_1)
	v_mov_b32_e32 v28, s0
	v_cndmask_b32_e64 v27, 0, 1, vcc_lo
.LBB317_1142:
	s_or_b32 exec_lo, exec_lo, s15
.LBB317_1143:
	s_delay_alu instid0(SALU_CYCLE_1) | instskip(SKIP_2) | instid1(VALU_DEP_1)
	s_or_b32 exec_lo, exec_lo, s14
	v_add_nc_u32_e32 v57, 8, v64
	s_mov_b32 s14, exec_lo
	v_cmpx_gt_u32_e64 s6, v57
	s_cbranch_execz .LBB317_1154
; %bb.1144:
	v_cmp_ne_u32_e32 vcc_lo, 1, v63
	s_cbranch_vccnz .LBB317_1151
; %bb.1145:
	v_mad_u64_u32 v[57:58], null, v25, s8, s[10:11]
	v_mul_lo_u32 v25, v25, s9
	v_mul_lo_u32 v26, v26, s8
	v_mad_u64_u32 v[59:60], null, v23, s8, s[10:11]
	v_mul_lo_u32 v61, v23, s9
	v_mul_lo_u32 v62, v24, s8
	s_mov_b32 s15, exec_lo
	s_delay_alu instid0(VALU_DEP_4) | instskip(SKIP_2) | instid1(VALU_DEP_4)
	v_add3_u32 v58, v26, v58, v25
	v_mov_b32_e32 v25, 1
	v_mov_b32_e32 v26, 0
	v_add3_u32 v60, v62, v60, v61
	s_clause 0x1
	global_load_u8 v61, v[57:58], off
	global_load_u8 v62, v[59:60], off
	s_waitcnt vmcnt(0)
	v_cmpx_eq_u16_e64 v61, v62
	s_cbranch_execz .LBB317_1153
; %bb.1146:
	s_mov_b64 s[0:1], 1
	s_mov_b32 s18, 0
                                        ; implicit-def: $sgpr19
	s_set_inst_prefetch_distance 0x1
	s_branch .LBB317_1149
	.p2align	6
.LBB317_1147:                           ;   in Loop: Header=BB317_1149 Depth=1
	v_add_co_u32 v25, vcc_lo, v57, s0
	v_add_co_ci_u32_e32 v26, vcc_lo, s1, v58, vcc_lo
	v_add_co_u32 v61, vcc_lo, v59, s0
	v_add_co_ci_u32_e32 v62, vcc_lo, s1, v60, vcc_lo
	s_add_u32 s12, s0, 1
	s_clause 0x1
	global_load_u8 v25, v[25:26], off
	global_load_u8 v26, v[61:62], off
	s_addc_u32 s13, s1, 0
	s_and_not1_b32 s19, s19, exec_lo
	s_waitcnt vmcnt(0)
	v_cmp_ne_u16_e32 vcc_lo, v25, v26
	s_and_b32 s20, vcc_lo, exec_lo
	s_delay_alu instid0(SALU_CYCLE_1)
	s_or_b32 s19, s19, s20
.LBB317_1148:                           ;   in Loop: Header=BB317_1149 Depth=1
	v_dual_mov_b32 v26, s1 :: v_dual_mov_b32 v25, s0
	s_and_b32 s20, exec_lo, s19
	s_mov_b64 s[0:1], s[12:13]
	s_or_b32 s18, s20, s18
	s_delay_alu instid0(SALU_CYCLE_1)
	s_and_not1_b32 exec_lo, exec_lo, s18
	s_cbranch_execz .LBB317_1152
.LBB317_1149:                           ; =>This Inner Loop Header: Depth=1
	s_or_b32 s19, s19, exec_lo
	s_cmp_eq_u64 s[8:9], s[0:1]
	s_cbranch_scc0 .LBB317_1147
; %bb.1150:                             ;   in Loop: Header=BB317_1149 Depth=1
	s_mov_b64 s[0:1], s[8:9]
                                        ; implicit-def: $sgpr12_sgpr13
	s_branch .LBB317_1148
.LBB317_1151:
	v_mov_b32_e32 v25, 0
	v_mov_b32_e32 v26, 0
	s_branch .LBB317_1154
.LBB317_1152:
	s_set_inst_prefetch_distance 0x2
	s_or_b32 exec_lo, exec_lo, s18
	v_cmp_gt_i64_e32 vcc_lo, s[8:9], v[25:26]
	s_mov_b32 s0, 0
	s_delay_alu instid0(SALU_CYCLE_1)
	v_mov_b32_e32 v26, s0
	v_cndmask_b32_e64 v25, 0, 1, vcc_lo
.LBB317_1153:
	s_or_b32 exec_lo, exec_lo, s15
.LBB317_1154:
	s_delay_alu instid0(SALU_CYCLE_1) | instskip(SKIP_2) | instid1(VALU_DEP_1)
	s_or_b32 exec_lo, exec_lo, s14
	v_add_nc_u32_e32 v57, 7, v64
	s_mov_b32 s14, exec_lo
	v_cmpx_gt_u32_e64 s6, v57
	s_cbranch_execz .LBB317_1165
; %bb.1155:
	v_cmp_ne_u32_e32 vcc_lo, 1, v63
	s_cbranch_vccnz .LBB317_1162
; %bb.1156:
	v_mad_u64_u32 v[57:58], null, v23, s8, s[10:11]
	v_mul_lo_u32 v23, v23, s9
	v_mul_lo_u32 v24, v24, s8
	v_mad_u64_u32 v[59:60], null, v21, s8, s[10:11]
	v_mul_lo_u32 v61, v21, s9
	v_mul_lo_u32 v62, v22, s8
	s_mov_b32 s15, exec_lo
	s_delay_alu instid0(VALU_DEP_4) | instskip(SKIP_2) | instid1(VALU_DEP_4)
	v_add3_u32 v58, v24, v58, v23
	v_mov_b32_e32 v23, 1
	v_mov_b32_e32 v24, 0
	v_add3_u32 v60, v62, v60, v61
	s_clause 0x1
	global_load_u8 v61, v[57:58], off
	global_load_u8 v62, v[59:60], off
	s_waitcnt vmcnt(0)
	v_cmpx_eq_u16_e64 v61, v62
	s_cbranch_execz .LBB317_1164
; %bb.1157:
	s_mov_b64 s[0:1], 1
	s_mov_b32 s18, 0
                                        ; implicit-def: $sgpr19
	s_set_inst_prefetch_distance 0x1
	s_branch .LBB317_1160
	.p2align	6
.LBB317_1158:                           ;   in Loop: Header=BB317_1160 Depth=1
	v_add_co_u32 v23, vcc_lo, v57, s0
	v_add_co_ci_u32_e32 v24, vcc_lo, s1, v58, vcc_lo
	v_add_co_u32 v61, vcc_lo, v59, s0
	v_add_co_ci_u32_e32 v62, vcc_lo, s1, v60, vcc_lo
	s_add_u32 s12, s0, 1
	s_clause 0x1
	global_load_u8 v23, v[23:24], off
	global_load_u8 v24, v[61:62], off
	s_addc_u32 s13, s1, 0
	s_and_not1_b32 s19, s19, exec_lo
	s_waitcnt vmcnt(0)
	v_cmp_ne_u16_e32 vcc_lo, v23, v24
	s_and_b32 s20, vcc_lo, exec_lo
	s_delay_alu instid0(SALU_CYCLE_1)
	s_or_b32 s19, s19, s20
.LBB317_1159:                           ;   in Loop: Header=BB317_1160 Depth=1
	v_dual_mov_b32 v24, s1 :: v_dual_mov_b32 v23, s0
	s_and_b32 s20, exec_lo, s19
	s_mov_b64 s[0:1], s[12:13]
	s_or_b32 s18, s20, s18
	s_delay_alu instid0(SALU_CYCLE_1)
	s_and_not1_b32 exec_lo, exec_lo, s18
	s_cbranch_execz .LBB317_1163
.LBB317_1160:                           ; =>This Inner Loop Header: Depth=1
	s_or_b32 s19, s19, exec_lo
	s_cmp_eq_u64 s[8:9], s[0:1]
	s_cbranch_scc0 .LBB317_1158
; %bb.1161:                             ;   in Loop: Header=BB317_1160 Depth=1
	s_mov_b64 s[0:1], s[8:9]
                                        ; implicit-def: $sgpr12_sgpr13
	s_branch .LBB317_1159
.LBB317_1162:
	v_mov_b32_e32 v23, 0
	v_mov_b32_e32 v24, 0
	s_branch .LBB317_1165
.LBB317_1163:
	s_set_inst_prefetch_distance 0x2
	s_or_b32 exec_lo, exec_lo, s18
	v_cmp_gt_i64_e32 vcc_lo, s[8:9], v[23:24]
	s_mov_b32 s0, 0
	s_delay_alu instid0(SALU_CYCLE_1)
	v_mov_b32_e32 v24, s0
	v_cndmask_b32_e64 v23, 0, 1, vcc_lo
.LBB317_1164:
	s_or_b32 exec_lo, exec_lo, s15
.LBB317_1165:
	s_delay_alu instid0(SALU_CYCLE_1) | instskip(SKIP_2) | instid1(VALU_DEP_1)
	s_or_b32 exec_lo, exec_lo, s14
	v_add_nc_u32_e32 v57, 6, v64
	s_mov_b32 s14, exec_lo
	v_cmpx_gt_u32_e64 s6, v57
	s_cbranch_execz .LBB317_1176
; %bb.1166:
	v_cmp_ne_u32_e32 vcc_lo, 1, v63
	s_cbranch_vccnz .LBB317_1173
; %bb.1167:
	v_mad_u64_u32 v[57:58], null, v21, s8, s[10:11]
	v_mul_lo_u32 v21, v21, s9
	v_mul_lo_u32 v22, v22, s8
	v_mad_u64_u32 v[59:60], null, v19, s8, s[10:11]
	v_mul_lo_u32 v61, v19, s9
	v_mul_lo_u32 v62, v20, s8
	s_mov_b32 s15, exec_lo
	s_delay_alu instid0(VALU_DEP_4) | instskip(SKIP_2) | instid1(VALU_DEP_4)
	v_add3_u32 v58, v22, v58, v21
	v_mov_b32_e32 v21, 1
	v_mov_b32_e32 v22, 0
	v_add3_u32 v60, v62, v60, v61
	s_clause 0x1
	global_load_u8 v61, v[57:58], off
	global_load_u8 v62, v[59:60], off
	s_waitcnt vmcnt(0)
	v_cmpx_eq_u16_e64 v61, v62
	s_cbranch_execz .LBB317_1175
; %bb.1168:
	s_mov_b64 s[0:1], 1
	s_mov_b32 s18, 0
                                        ; implicit-def: $sgpr19
	s_set_inst_prefetch_distance 0x1
	s_branch .LBB317_1171
	.p2align	6
.LBB317_1169:                           ;   in Loop: Header=BB317_1171 Depth=1
	v_add_co_u32 v21, vcc_lo, v57, s0
	v_add_co_ci_u32_e32 v22, vcc_lo, s1, v58, vcc_lo
	v_add_co_u32 v61, vcc_lo, v59, s0
	v_add_co_ci_u32_e32 v62, vcc_lo, s1, v60, vcc_lo
	s_add_u32 s12, s0, 1
	s_clause 0x1
	global_load_u8 v21, v[21:22], off
	global_load_u8 v22, v[61:62], off
	s_addc_u32 s13, s1, 0
	s_and_not1_b32 s19, s19, exec_lo
	s_waitcnt vmcnt(0)
	v_cmp_ne_u16_e32 vcc_lo, v21, v22
	s_and_b32 s20, vcc_lo, exec_lo
	s_delay_alu instid0(SALU_CYCLE_1)
	s_or_b32 s19, s19, s20
.LBB317_1170:                           ;   in Loop: Header=BB317_1171 Depth=1
	v_dual_mov_b32 v22, s1 :: v_dual_mov_b32 v21, s0
	s_and_b32 s20, exec_lo, s19
	s_mov_b64 s[0:1], s[12:13]
	s_or_b32 s18, s20, s18
	s_delay_alu instid0(SALU_CYCLE_1)
	s_and_not1_b32 exec_lo, exec_lo, s18
	s_cbranch_execz .LBB317_1174
.LBB317_1171:                           ; =>This Inner Loop Header: Depth=1
	s_or_b32 s19, s19, exec_lo
	s_cmp_eq_u64 s[8:9], s[0:1]
	s_cbranch_scc0 .LBB317_1169
; %bb.1172:                             ;   in Loop: Header=BB317_1171 Depth=1
	s_mov_b64 s[0:1], s[8:9]
                                        ; implicit-def: $sgpr12_sgpr13
	s_branch .LBB317_1170
.LBB317_1173:
	v_mov_b32_e32 v21, 0
	v_mov_b32_e32 v22, 0
	s_branch .LBB317_1176
.LBB317_1174:
	s_set_inst_prefetch_distance 0x2
	s_or_b32 exec_lo, exec_lo, s18
	v_cmp_gt_i64_e32 vcc_lo, s[8:9], v[21:22]
	s_mov_b32 s0, 0
	s_delay_alu instid0(SALU_CYCLE_1)
	v_mov_b32_e32 v22, s0
	v_cndmask_b32_e64 v21, 0, 1, vcc_lo
.LBB317_1175:
	s_or_b32 exec_lo, exec_lo, s15
.LBB317_1176:
	s_delay_alu instid0(SALU_CYCLE_1) | instskip(SKIP_2) | instid1(VALU_DEP_1)
	s_or_b32 exec_lo, exec_lo, s14
	v_add_nc_u32_e32 v57, 5, v64
	s_mov_b32 s14, exec_lo
	v_cmpx_gt_u32_e64 s6, v57
	s_cbranch_execz .LBB317_1187
; %bb.1177:
	v_cmp_ne_u32_e32 vcc_lo, 1, v63
	s_cbranch_vccnz .LBB317_1184
; %bb.1178:
	v_mad_u64_u32 v[57:58], null, v19, s8, s[10:11]
	v_mul_lo_u32 v19, v19, s9
	v_mul_lo_u32 v20, v20, s8
	v_mad_u64_u32 v[59:60], null, v17, s8, s[10:11]
	v_mul_lo_u32 v61, v17, s9
	v_mul_lo_u32 v62, v18, s8
	s_mov_b32 s15, exec_lo
	s_delay_alu instid0(VALU_DEP_4) | instskip(SKIP_2) | instid1(VALU_DEP_4)
	v_add3_u32 v58, v20, v58, v19
	v_mov_b32_e32 v19, 1
	v_mov_b32_e32 v20, 0
	v_add3_u32 v60, v62, v60, v61
	s_clause 0x1
	global_load_u8 v61, v[57:58], off
	global_load_u8 v62, v[59:60], off
	s_waitcnt vmcnt(0)
	v_cmpx_eq_u16_e64 v61, v62
	s_cbranch_execz .LBB317_1186
; %bb.1179:
	s_mov_b64 s[0:1], 1
	s_mov_b32 s18, 0
                                        ; implicit-def: $sgpr19
	s_set_inst_prefetch_distance 0x1
	s_branch .LBB317_1182
	.p2align	6
.LBB317_1180:                           ;   in Loop: Header=BB317_1182 Depth=1
	v_add_co_u32 v19, vcc_lo, v57, s0
	v_add_co_ci_u32_e32 v20, vcc_lo, s1, v58, vcc_lo
	v_add_co_u32 v61, vcc_lo, v59, s0
	v_add_co_ci_u32_e32 v62, vcc_lo, s1, v60, vcc_lo
	s_add_u32 s12, s0, 1
	s_clause 0x1
	global_load_u8 v19, v[19:20], off
	global_load_u8 v20, v[61:62], off
	s_addc_u32 s13, s1, 0
	s_and_not1_b32 s19, s19, exec_lo
	s_waitcnt vmcnt(0)
	v_cmp_ne_u16_e32 vcc_lo, v19, v20
	s_and_b32 s20, vcc_lo, exec_lo
	s_delay_alu instid0(SALU_CYCLE_1)
	s_or_b32 s19, s19, s20
.LBB317_1181:                           ;   in Loop: Header=BB317_1182 Depth=1
	v_dual_mov_b32 v20, s1 :: v_dual_mov_b32 v19, s0
	s_and_b32 s20, exec_lo, s19
	s_mov_b64 s[0:1], s[12:13]
	s_or_b32 s18, s20, s18
	s_delay_alu instid0(SALU_CYCLE_1)
	s_and_not1_b32 exec_lo, exec_lo, s18
	s_cbranch_execz .LBB317_1185
.LBB317_1182:                           ; =>This Inner Loop Header: Depth=1
	s_or_b32 s19, s19, exec_lo
	s_cmp_eq_u64 s[8:9], s[0:1]
	s_cbranch_scc0 .LBB317_1180
; %bb.1183:                             ;   in Loop: Header=BB317_1182 Depth=1
	s_mov_b64 s[0:1], s[8:9]
                                        ; implicit-def: $sgpr12_sgpr13
	s_branch .LBB317_1181
.LBB317_1184:
	v_mov_b32_e32 v19, 0
	v_mov_b32_e32 v20, 0
	s_branch .LBB317_1187
.LBB317_1185:
	s_set_inst_prefetch_distance 0x2
	s_or_b32 exec_lo, exec_lo, s18
	v_cmp_gt_i64_e32 vcc_lo, s[8:9], v[19:20]
	s_mov_b32 s0, 0
	s_delay_alu instid0(SALU_CYCLE_1)
	v_mov_b32_e32 v20, s0
	v_cndmask_b32_e64 v19, 0, 1, vcc_lo
.LBB317_1186:
	s_or_b32 exec_lo, exec_lo, s15
.LBB317_1187:
	s_delay_alu instid0(SALU_CYCLE_1) | instskip(SKIP_2) | instid1(VALU_DEP_1)
	s_or_b32 exec_lo, exec_lo, s14
	v_add_nc_u32_e32 v57, 4, v64
	s_mov_b32 s14, exec_lo
	v_cmpx_gt_u32_e64 s6, v57
	s_cbranch_execz .LBB317_1198
; %bb.1188:
	v_cmp_ne_u32_e32 vcc_lo, 1, v63
	s_cbranch_vccnz .LBB317_1195
; %bb.1189:
	v_mad_u64_u32 v[57:58], null, v17, s8, s[10:11]
	v_mul_lo_u32 v17, v17, s9
	v_mul_lo_u32 v18, v18, s8
	v_mad_u64_u32 v[59:60], null, v15, s8, s[10:11]
	v_mul_lo_u32 v61, v15, s9
	v_mul_lo_u32 v62, v16, s8
	s_mov_b32 s15, exec_lo
	s_delay_alu instid0(VALU_DEP_4) | instskip(SKIP_2) | instid1(VALU_DEP_4)
	v_add3_u32 v58, v18, v58, v17
	v_mov_b32_e32 v17, 1
	v_mov_b32_e32 v18, 0
	v_add3_u32 v60, v62, v60, v61
	s_clause 0x1
	global_load_u8 v61, v[57:58], off
	global_load_u8 v62, v[59:60], off
	s_waitcnt vmcnt(0)
	v_cmpx_eq_u16_e64 v61, v62
	s_cbranch_execz .LBB317_1197
; %bb.1190:
	s_mov_b64 s[0:1], 1
	s_mov_b32 s18, 0
                                        ; implicit-def: $sgpr19
	s_set_inst_prefetch_distance 0x1
	s_branch .LBB317_1193
	.p2align	6
.LBB317_1191:                           ;   in Loop: Header=BB317_1193 Depth=1
	v_add_co_u32 v17, vcc_lo, v57, s0
	v_add_co_ci_u32_e32 v18, vcc_lo, s1, v58, vcc_lo
	v_add_co_u32 v61, vcc_lo, v59, s0
	v_add_co_ci_u32_e32 v62, vcc_lo, s1, v60, vcc_lo
	s_add_u32 s12, s0, 1
	s_clause 0x1
	global_load_u8 v17, v[17:18], off
	global_load_u8 v18, v[61:62], off
	s_addc_u32 s13, s1, 0
	s_and_not1_b32 s19, s19, exec_lo
	s_waitcnt vmcnt(0)
	v_cmp_ne_u16_e32 vcc_lo, v17, v18
	s_and_b32 s20, vcc_lo, exec_lo
	s_delay_alu instid0(SALU_CYCLE_1)
	s_or_b32 s19, s19, s20
.LBB317_1192:                           ;   in Loop: Header=BB317_1193 Depth=1
	v_dual_mov_b32 v18, s1 :: v_dual_mov_b32 v17, s0
	s_and_b32 s20, exec_lo, s19
	s_mov_b64 s[0:1], s[12:13]
	s_or_b32 s18, s20, s18
	s_delay_alu instid0(SALU_CYCLE_1)
	s_and_not1_b32 exec_lo, exec_lo, s18
	s_cbranch_execz .LBB317_1196
.LBB317_1193:                           ; =>This Inner Loop Header: Depth=1
	s_or_b32 s19, s19, exec_lo
	s_cmp_eq_u64 s[8:9], s[0:1]
	s_cbranch_scc0 .LBB317_1191
; %bb.1194:                             ;   in Loop: Header=BB317_1193 Depth=1
	s_mov_b64 s[0:1], s[8:9]
                                        ; implicit-def: $sgpr12_sgpr13
	s_branch .LBB317_1192
.LBB317_1195:
	v_mov_b32_e32 v17, 0
	v_mov_b32_e32 v18, 0
	s_branch .LBB317_1198
.LBB317_1196:
	s_set_inst_prefetch_distance 0x2
	s_or_b32 exec_lo, exec_lo, s18
	v_cmp_gt_i64_e32 vcc_lo, s[8:9], v[17:18]
	s_mov_b32 s0, 0
	s_delay_alu instid0(SALU_CYCLE_1)
	v_mov_b32_e32 v18, s0
	v_cndmask_b32_e64 v17, 0, 1, vcc_lo
.LBB317_1197:
	s_or_b32 exec_lo, exec_lo, s15
.LBB317_1198:
	s_delay_alu instid0(SALU_CYCLE_1) | instskip(SKIP_2) | instid1(VALU_DEP_1)
	s_or_b32 exec_lo, exec_lo, s14
	v_add_nc_u32_e32 v57, 3, v64
	s_mov_b32 s14, exec_lo
	v_cmpx_gt_u32_e64 s6, v57
	s_cbranch_execz .LBB317_1209
; %bb.1199:
	v_cmp_ne_u32_e32 vcc_lo, 1, v63
	s_cbranch_vccnz .LBB317_1206
; %bb.1200:
	v_mad_u64_u32 v[57:58], null, v15, s8, s[10:11]
	v_mul_lo_u32 v15, v15, s9
	v_mul_lo_u32 v16, v16, s8
	v_mad_u64_u32 v[59:60], null, v13, s8, s[10:11]
	v_mul_lo_u32 v61, v13, s9
	v_mul_lo_u32 v62, v14, s8
	s_mov_b32 s15, exec_lo
	s_delay_alu instid0(VALU_DEP_4) | instskip(SKIP_2) | instid1(VALU_DEP_4)
	v_add3_u32 v58, v16, v58, v15
	v_mov_b32_e32 v15, 1
	v_mov_b32_e32 v16, 0
	v_add3_u32 v60, v62, v60, v61
	s_clause 0x1
	global_load_u8 v61, v[57:58], off
	global_load_u8 v62, v[59:60], off
	s_waitcnt vmcnt(0)
	v_cmpx_eq_u16_e64 v61, v62
	s_cbranch_execz .LBB317_1208
; %bb.1201:
	s_mov_b64 s[0:1], 1
	s_mov_b32 s18, 0
                                        ; implicit-def: $sgpr19
	s_set_inst_prefetch_distance 0x1
	s_branch .LBB317_1204
	.p2align	6
.LBB317_1202:                           ;   in Loop: Header=BB317_1204 Depth=1
	v_add_co_u32 v15, vcc_lo, v57, s0
	v_add_co_ci_u32_e32 v16, vcc_lo, s1, v58, vcc_lo
	v_add_co_u32 v61, vcc_lo, v59, s0
	v_add_co_ci_u32_e32 v62, vcc_lo, s1, v60, vcc_lo
	s_add_u32 s12, s0, 1
	s_clause 0x1
	global_load_u8 v15, v[15:16], off
	global_load_u8 v16, v[61:62], off
	s_addc_u32 s13, s1, 0
	s_and_not1_b32 s19, s19, exec_lo
	s_waitcnt vmcnt(0)
	v_cmp_ne_u16_e32 vcc_lo, v15, v16
	s_and_b32 s20, vcc_lo, exec_lo
	s_delay_alu instid0(SALU_CYCLE_1)
	s_or_b32 s19, s19, s20
.LBB317_1203:                           ;   in Loop: Header=BB317_1204 Depth=1
	v_dual_mov_b32 v16, s1 :: v_dual_mov_b32 v15, s0
	s_and_b32 s20, exec_lo, s19
	s_mov_b64 s[0:1], s[12:13]
	s_or_b32 s18, s20, s18
	s_delay_alu instid0(SALU_CYCLE_1)
	s_and_not1_b32 exec_lo, exec_lo, s18
	s_cbranch_execz .LBB317_1207
.LBB317_1204:                           ; =>This Inner Loop Header: Depth=1
	s_or_b32 s19, s19, exec_lo
	s_cmp_eq_u64 s[8:9], s[0:1]
	s_cbranch_scc0 .LBB317_1202
; %bb.1205:                             ;   in Loop: Header=BB317_1204 Depth=1
	s_mov_b64 s[0:1], s[8:9]
                                        ; implicit-def: $sgpr12_sgpr13
	s_branch .LBB317_1203
.LBB317_1206:
	v_mov_b32_e32 v15, 0
	v_mov_b32_e32 v16, 0
	s_branch .LBB317_1209
.LBB317_1207:
	s_set_inst_prefetch_distance 0x2
	s_or_b32 exec_lo, exec_lo, s18
	v_cmp_gt_i64_e32 vcc_lo, s[8:9], v[15:16]
	s_mov_b32 s0, 0
	s_delay_alu instid0(SALU_CYCLE_1)
	v_mov_b32_e32 v16, s0
	v_cndmask_b32_e64 v15, 0, 1, vcc_lo
.LBB317_1208:
	s_or_b32 exec_lo, exec_lo, s15
.LBB317_1209:
	s_delay_alu instid0(SALU_CYCLE_1) | instskip(SKIP_2) | instid1(VALU_DEP_1)
	s_or_b32 exec_lo, exec_lo, s14
	v_add_nc_u32_e32 v57, 2, v64
	s_mov_b32 s14, exec_lo
	v_cmpx_gt_u32_e64 s6, v57
	s_cbranch_execz .LBB317_1220
; %bb.1210:
	v_cmp_ne_u32_e32 vcc_lo, 1, v63
	s_cbranch_vccnz .LBB317_1217
; %bb.1211:
	v_mad_u64_u32 v[57:58], null, v13, s8, s[10:11]
	v_mul_lo_u32 v13, v13, s9
	v_mul_lo_u32 v14, v14, s8
	v_mad_u64_u32 v[59:60], null, v3, s8, s[10:11]
	v_mul_lo_u32 v61, v3, s9
	v_mul_lo_u32 v62, v4, s8
	s_mov_b32 s15, exec_lo
	s_delay_alu instid0(VALU_DEP_4) | instskip(SKIP_2) | instid1(VALU_DEP_4)
	v_add3_u32 v58, v14, v58, v13
	v_mov_b32_e32 v13, 1
	v_mov_b32_e32 v14, 0
	v_add3_u32 v60, v62, v60, v61
	s_clause 0x1
	global_load_u8 v61, v[57:58], off
	global_load_u8 v62, v[59:60], off
	s_waitcnt vmcnt(0)
	v_cmpx_eq_u16_e64 v61, v62
	s_cbranch_execz .LBB317_1219
; %bb.1212:
	s_mov_b64 s[0:1], 1
	s_mov_b32 s18, 0
                                        ; implicit-def: $sgpr19
	s_set_inst_prefetch_distance 0x1
	s_branch .LBB317_1215
	.p2align	6
.LBB317_1213:                           ;   in Loop: Header=BB317_1215 Depth=1
	v_add_co_u32 v13, vcc_lo, v57, s0
	v_add_co_ci_u32_e32 v14, vcc_lo, s1, v58, vcc_lo
	v_add_co_u32 v61, vcc_lo, v59, s0
	v_add_co_ci_u32_e32 v62, vcc_lo, s1, v60, vcc_lo
	s_add_u32 s12, s0, 1
	s_clause 0x1
	global_load_u8 v13, v[13:14], off
	global_load_u8 v14, v[61:62], off
	s_addc_u32 s13, s1, 0
	s_and_not1_b32 s19, s19, exec_lo
	s_waitcnt vmcnt(0)
	v_cmp_ne_u16_e32 vcc_lo, v13, v14
	s_and_b32 s20, vcc_lo, exec_lo
	s_delay_alu instid0(SALU_CYCLE_1)
	s_or_b32 s19, s19, s20
.LBB317_1214:                           ;   in Loop: Header=BB317_1215 Depth=1
	v_dual_mov_b32 v14, s1 :: v_dual_mov_b32 v13, s0
	s_and_b32 s20, exec_lo, s19
	s_mov_b64 s[0:1], s[12:13]
	s_or_b32 s18, s20, s18
	s_delay_alu instid0(SALU_CYCLE_1)
	s_and_not1_b32 exec_lo, exec_lo, s18
	s_cbranch_execz .LBB317_1218
.LBB317_1215:                           ; =>This Inner Loop Header: Depth=1
	s_or_b32 s19, s19, exec_lo
	s_cmp_eq_u64 s[8:9], s[0:1]
	s_cbranch_scc0 .LBB317_1213
; %bb.1216:                             ;   in Loop: Header=BB317_1215 Depth=1
	s_mov_b64 s[0:1], s[8:9]
                                        ; implicit-def: $sgpr12_sgpr13
	s_branch .LBB317_1214
.LBB317_1217:
	v_mov_b32_e32 v13, 0
	v_mov_b32_e32 v14, 0
	s_branch .LBB317_1220
.LBB317_1218:
	s_set_inst_prefetch_distance 0x2
	s_or_b32 exec_lo, exec_lo, s18
	v_cmp_gt_i64_e32 vcc_lo, s[8:9], v[13:14]
	s_mov_b32 s0, 0
	s_delay_alu instid0(SALU_CYCLE_1)
	v_mov_b32_e32 v14, s0
	v_cndmask_b32_e64 v13, 0, 1, vcc_lo
.LBB317_1219:
	s_or_b32 exec_lo, exec_lo, s15
.LBB317_1220:
	s_delay_alu instid0(SALU_CYCLE_1) | instskip(SKIP_2) | instid1(VALU_DEP_1)
	s_or_b32 exec_lo, exec_lo, s14
	v_add_nc_u32_e32 v57, 1, v64
	s_mov_b32 s14, exec_lo
	v_cmpx_gt_u32_e64 s6, v57
	s_cbranch_execz .LBB317_1231
; %bb.1221:
	v_cmp_ne_u32_e32 vcc_lo, 1, v63
	s_cbranch_vccnz .LBB317_1228
; %bb.1222:
	v_mad_u64_u32 v[57:58], null, v3, s8, s[10:11]
	v_mul_lo_u32 v3, v3, s9
	v_mul_lo_u32 v4, v4, s8
	v_mad_u64_u32 v[59:60], null, v1, s8, s[10:11]
	v_mul_lo_u32 v61, v1, s9
	v_mul_lo_u32 v62, v2, s8
	s_mov_b32 s15, exec_lo
	s_delay_alu instid0(VALU_DEP_4) | instskip(SKIP_2) | instid1(VALU_DEP_4)
	v_add3_u32 v58, v4, v58, v3
	v_mov_b32_e32 v3, 1
	v_mov_b32_e32 v4, 0
	v_add3_u32 v60, v62, v60, v61
	s_clause 0x1
	global_load_u8 v61, v[57:58], off
	global_load_u8 v62, v[59:60], off
	s_waitcnt vmcnt(0)
	v_cmpx_eq_u16_e64 v61, v62
	s_cbranch_execz .LBB317_1230
; %bb.1223:
	s_mov_b64 s[0:1], 1
	s_mov_b32 s18, 0
                                        ; implicit-def: $sgpr19
	s_set_inst_prefetch_distance 0x1
	s_branch .LBB317_1226
	.p2align	6
.LBB317_1224:                           ;   in Loop: Header=BB317_1226 Depth=1
	v_add_co_u32 v3, vcc_lo, v57, s0
	v_add_co_ci_u32_e32 v4, vcc_lo, s1, v58, vcc_lo
	v_add_co_u32 v61, vcc_lo, v59, s0
	v_add_co_ci_u32_e32 v62, vcc_lo, s1, v60, vcc_lo
	s_add_u32 s12, s0, 1
	s_clause 0x1
	global_load_u8 v3, v[3:4], off
	global_load_u8 v4, v[61:62], off
	s_addc_u32 s13, s1, 0
	s_and_not1_b32 s19, s19, exec_lo
	s_waitcnt vmcnt(0)
	v_cmp_ne_u16_e32 vcc_lo, v3, v4
	s_and_b32 s20, vcc_lo, exec_lo
	s_delay_alu instid0(SALU_CYCLE_1)
	s_or_b32 s19, s19, s20
.LBB317_1225:                           ;   in Loop: Header=BB317_1226 Depth=1
	v_dual_mov_b32 v4, s1 :: v_dual_mov_b32 v3, s0
	s_and_b32 s20, exec_lo, s19
	s_mov_b64 s[0:1], s[12:13]
	s_or_b32 s18, s20, s18
	s_delay_alu instid0(SALU_CYCLE_1)
	s_and_not1_b32 exec_lo, exec_lo, s18
	s_cbranch_execz .LBB317_1229
.LBB317_1226:                           ; =>This Inner Loop Header: Depth=1
	s_or_b32 s19, s19, exec_lo
	s_cmp_eq_u64 s[8:9], s[0:1]
	s_cbranch_scc0 .LBB317_1224
; %bb.1227:                             ;   in Loop: Header=BB317_1226 Depth=1
	s_mov_b64 s[0:1], s[8:9]
                                        ; implicit-def: $sgpr12_sgpr13
	s_branch .LBB317_1225
.LBB317_1228:
	v_mov_b32_e32 v3, 0
	v_mov_b32_e32 v4, 0
	s_branch .LBB317_1231
.LBB317_1229:
	s_set_inst_prefetch_distance 0x2
	s_or_b32 exec_lo, exec_lo, s18
	v_cmp_gt_i64_e32 vcc_lo, s[8:9], v[3:4]
	s_mov_b32 s0, 0
	s_delay_alu instid0(SALU_CYCLE_1)
	v_mov_b32_e32 v4, s0
	v_cndmask_b32_e64 v3, 0, 1, vcc_lo
.LBB317_1230:
	s_or_b32 exec_lo, exec_lo, s15
.LBB317_1231:
	s_delay_alu instid0(SALU_CYCLE_1)
	s_or_b32 exec_lo, exec_lo, s14
	v_cmp_ne_u32_e32 vcc_lo, 0, v0
	v_cmp_gt_u32_e64 s0, s6, v64
	s_mov_b32 s1, 0
	s_waitcnt lgkmcnt(0)
	s_barrier
	buffer_gl0_inv
	s_and_b32 s0, vcc_lo, s0
                                        ; implicit-def: $sgpr14
	s_delay_alu instid0(SALU_CYCLE_1)
	s_and_saveexec_b32 s12, s0
	s_cbranch_execz .LBB317_1242
; %bb.1232:
	v_cmp_ne_u32_e32 vcc_lo, 1, v63
	s_cbranch_vccnz .LBB317_1241
; %bb.1233:
	v_add_nc_u32_e32 v57, -8, v195
	v_mul_lo_u32 v61, v1, s9
	v_mul_lo_u32 v62, v2, s8
	s_mov_b32 s1, -1
	s_mov_b32 s13, exec_lo
	ds_load_b64 v[59:60], v57
	v_mad_u64_u32 v[57:58], null, v1, s8, s[10:11]
	s_delay_alu instid0(VALU_DEP_1) | instskip(SKIP_4) | instid1(VALU_DEP_1)
	v_add3_u32 v58, v62, v58, v61
	s_waitcnt lgkmcnt(0)
	v_mul_lo_u32 v63, v59, s9
	v_mul_lo_u32 v60, v60, s8
	v_mad_u64_u32 v[1:2], null, v59, s8, s[10:11]
	v_add3_u32 v2, v60, v2, v63
	s_clause 0x1
	global_load_u8 v59, v[57:58], off
	global_load_u8 v60, v[1:2], off
	s_waitcnt vmcnt(0)
	v_cmpx_eq_u16_e64 v59, v60
	s_cbranch_execz .LBB317_1240
; %bb.1234:
	s_mov_b64 s[0:1], 1
	s_mov_b32 s14, 0
                                        ; implicit-def: $sgpr15
	s_set_inst_prefetch_distance 0x1
	s_branch .LBB317_1237
	.p2align	6
.LBB317_1235:                           ;   in Loop: Header=BB317_1237 Depth=1
	v_add_co_u32 v59, vcc_lo, v57, s0
	v_add_co_ci_u32_e32 v60, vcc_lo, s1, v58, vcc_lo
	v_add_co_u32 v61, vcc_lo, v1, s0
	v_add_co_ci_u32_e32 v62, vcc_lo, s1, v2, vcc_lo
	s_add_u32 s10, s0, 1
	s_clause 0x1
	global_load_u8 v59, v[59:60], off
	global_load_u8 v60, v[61:62], off
	s_addc_u32 s11, s1, 0
	s_and_not1_b32 s15, s15, exec_lo
	s_waitcnt vmcnt(0)
	v_cmp_ne_u16_e32 vcc_lo, v59, v60
	s_and_b32 s18, vcc_lo, exec_lo
	s_delay_alu instid0(SALU_CYCLE_1)
	s_or_b32 s15, s15, s18
.LBB317_1236:                           ;   in Loop: Header=BB317_1237 Depth=1
	v_dual_mov_b32 v60, s1 :: v_dual_mov_b32 v59, s0
	s_and_b32 s18, exec_lo, s15
	s_mov_b64 s[0:1], s[10:11]
	s_or_b32 s14, s18, s14
	s_delay_alu instid0(SALU_CYCLE_1)
	s_and_not1_b32 exec_lo, exec_lo, s14
	s_cbranch_execz .LBB317_1239
.LBB317_1237:                           ; =>This Inner Loop Header: Depth=1
	s_or_b32 s15, s15, exec_lo
	s_cmp_eq_u64 s[8:9], s[0:1]
	s_cbranch_scc0 .LBB317_1235
; %bb.1238:                             ;   in Loop: Header=BB317_1237 Depth=1
	s_mov_b64 s[0:1], s[8:9]
                                        ; implicit-def: $sgpr10_sgpr11
	s_branch .LBB317_1236
.LBB317_1239:
	s_set_inst_prefetch_distance 0x2
	s_or_b32 exec_lo, exec_lo, s14
	v_cmp_gt_i64_e32 vcc_lo, s[8:9], v[59:60]
	s_or_not1_b32 s1, vcc_lo, exec_lo
.LBB317_1240:
	s_or_b32 exec_lo, exec_lo, s13
.LBB317_1241:
	s_delay_alu instid0(SALU_CYCLE_1)
	s_and_b32 s14, s1, exec_lo
	s_or_b32 s3, s3, exec_lo
.LBB317_1242:
	s_or_b32 exec_lo, exec_lo, s12
	v_dual_mov_b32 v166, v4 :: v_dual_mov_b32 v165, v3
	v_dual_mov_b32 v164, v14 :: v_dual_mov_b32 v163, v13
	;; [unrolled: 1-line block ×55, first 2 shown]
.LBB317_1243:
	s_and_saveexec_b32 s0, s3
	s_cbranch_execz .LBB317_1245
; %bb.1244:
	s_mov_b32 s1, 0
	v_dual_mov_b32 v194, v114 :: v_dual_mov_b32 v63, v117
	v_dual_mov_b32 v2, s1 :: v_dual_mov_b32 v59, v115
	;; [unrolled: 1-line block ×13, first 2 shown]
	v_mov_b32_e32 v168, v164
	v_dual_mov_b32 v182, v166 :: v_dual_mov_b32 v181, v165
	v_cndmask_b32_e64 v1, 0, 1, s14
	v_dual_mov_b32 v60, v116 :: v_dual_mov_b32 v193, v113
	v_dual_mov_b32 v64, v118 :: v_dual_mov_b32 v191, v119
	;; [unrolled: 1-line block ×13, first 2 shown]
.LBB317_1245:
	s_or_b32 exec_lo, exec_lo, s0
	v_mul_u32_u24_e32 v65, 0xe8, v0
	v_mul_i32_i24_e32 v66, 0xffffff20, v0
	s_add_u32 s8, s4, s16
	s_addc_u32 s4, s5, s17
	s_and_b32 vcc_lo, exec_lo, s26
	s_waitcnt lgkmcnt(0)
	s_barrier
	buffer_gl0_inv
	s_cbranch_vccz .LBB317_1303
; %bb.1246:
	v_dual_mov_b32 v3, v181 :: v_dual_mov_b32 v4, v182
	s_mov_b32 s3, 0
	ds_store_2addr_b64 v65, v[169:170], v[103:104] offset0:4 offset1:5
	ds_store_2addr_b64 v65, v[171:172], v[99:100] offset0:6 offset1:7
	ds_store_2addr_b64 v65, v[1:2], v[3:4] offset1:1
	ds_store_2addr_b64 v65, v[167:168], v[107:108] offset0:2 offset1:3
	ds_store_2addr_b64 v65, v[173:174], v[95:96] offset0:8 offset1:9
	;; [unrolled: 1-line block ×11, first 2 shown]
	v_mad_u32_u24 v3, 0xe8, v0, v66
	ds_store_b64 v65, v[111:112] offset:224
	s_waitcnt lgkmcnt(0)
	s_barrier
	buffer_gl0_inv
	ds_load_2addr_stride64_b64 v[55:58], v3 offset0:2 offset1:4
	ds_load_2addr_stride64_b64 v[51:54], v3 offset0:6 offset1:8
	ds_load_2addr_stride64_b64 v[47:50], v3 offset0:10 offset1:12
	ds_load_2addr_stride64_b64 v[43:46], v3 offset0:14 offset1:16
	ds_load_2addr_stride64_b64 v[39:42], v3 offset0:18 offset1:20
	ds_load_2addr_stride64_b64 v[35:38], v3 offset0:22 offset1:24
	ds_load_2addr_stride64_b64 v[31:34], v3 offset0:26 offset1:28
	ds_load_2addr_stride64_b64 v[27:30], v3 offset0:30 offset1:32
	ds_load_2addr_stride64_b64 v[23:26], v3 offset0:34 offset1:36
	ds_load_2addr_stride64_b64 v[19:22], v3 offset0:38 offset1:40
	ds_load_2addr_stride64_b64 v[15:18], v3 offset0:42 offset1:44
	ds_load_2addr_stride64_b64 v[11:14], v3 offset0:46 offset1:48
	ds_load_2addr_stride64_b64 v[7:10], v3 offset0:50 offset1:52
	ds_load_2addr_stride64_b64 v[3:6], v3 offset0:54 offset1:56
	s_lshl_b64 s[0:1], s[2:3], 3
	s_add_i32 s7, s7, s6
	s_add_u32 s0, s8, s0
	s_addc_u32 s1, s4, s1
	v_add_co_u32 v61, s0, s0, v195
	s_delay_alu instid0(VALU_DEP_1)
	v_add_co_ci_u32_e64 v62, null, s1, 0, s0
	s_mov_b32 s0, exec_lo
	v_cmpx_gt_u32_e64 s7, v0
	s_cbranch_execz .LBB317_1248
; %bb.1247:
	v_add_nc_u32_e32 v69, v65, v66
	ds_load_b64 v[69:70], v69
	s_waitcnt lgkmcnt(0)
	global_store_b64 v[61:62], v[69:70], off
.LBB317_1248:
	s_or_b32 exec_lo, exec_lo, s0
	v_or_b32_e32 v69, 0x80, v0
	s_mov_b32 s0, exec_lo
	s_delay_alu instid0(VALU_DEP_1)
	v_cmpx_gt_u32_e64 s7, v69
	s_cbranch_execz .LBB317_1250
; %bb.1249:
	s_waitcnt lgkmcnt(13)
	global_store_b64 v[61:62], v[55:56], off offset:1024
.LBB317_1250:
	s_or_b32 exec_lo, exec_lo, s0
	s_waitcnt lgkmcnt(13)
	v_or_b32_e32 v55, 0x100, v0
	s_mov_b32 s0, exec_lo
	s_delay_alu instid0(VALU_DEP_1)
	v_cmpx_gt_u32_e64 s7, v55
	s_cbranch_execz .LBB317_1252
; %bb.1251:
	global_store_b64 v[61:62], v[57:58], off offset:2048
.LBB317_1252:
	s_or_b32 exec_lo, exec_lo, s0
	v_or_b32_e32 v55, 0x180, v0
	s_mov_b32 s0, exec_lo
	s_delay_alu instid0(VALU_DEP_1)
	v_cmpx_gt_u32_e64 s7, v55
	s_cbranch_execz .LBB317_1254
; %bb.1253:
	s_waitcnt lgkmcnt(12)
	global_store_b64 v[61:62], v[51:52], off offset:3072
.LBB317_1254:
	s_or_b32 exec_lo, exec_lo, s0
	s_waitcnt lgkmcnt(12)
	v_or_b32_e32 v51, 0x200, v0
	s_mov_b32 s0, exec_lo
	s_delay_alu instid0(VALU_DEP_1)
	v_cmpx_gt_u32_e64 s7, v51
	s_cbranch_execz .LBB317_1256
; %bb.1255:
	v_add_co_u32 v51, vcc_lo, 0x1000, v61
	v_add_co_ci_u32_e32 v52, vcc_lo, 0, v62, vcc_lo
	global_store_b64 v[51:52], v[53:54], off
.LBB317_1256:
	s_or_b32 exec_lo, exec_lo, s0
	v_or_b32_e32 v51, 0x280, v0
	s_mov_b32 s0, exec_lo
	s_delay_alu instid0(VALU_DEP_1)
	v_cmpx_gt_u32_e64 s7, v51
	s_cbranch_execz .LBB317_1258
; %bb.1257:
	v_add_co_u32 v51, vcc_lo, 0x1000, v61
	v_add_co_ci_u32_e32 v52, vcc_lo, 0, v62, vcc_lo
	s_waitcnt lgkmcnt(11)
	global_store_b64 v[51:52], v[47:48], off offset:1024
.LBB317_1258:
	s_or_b32 exec_lo, exec_lo, s0
	s_waitcnt lgkmcnt(11)
	v_or_b32_e32 v47, 0x300, v0
	s_mov_b32 s0, exec_lo
	s_delay_alu instid0(VALU_DEP_1)
	v_cmpx_gt_u32_e64 s7, v47
	s_cbranch_execz .LBB317_1260
; %bb.1259:
	v_add_co_u32 v47, vcc_lo, 0x1000, v61
	v_add_co_ci_u32_e32 v48, vcc_lo, 0, v62, vcc_lo
	global_store_b64 v[47:48], v[49:50], off offset:2048
.LBB317_1260:
	s_or_b32 exec_lo, exec_lo, s0
	v_or_b32_e32 v47, 0x380, v0
	s_mov_b32 s0, exec_lo
	s_delay_alu instid0(VALU_DEP_1)
	v_cmpx_gt_u32_e64 s7, v47
	s_cbranch_execz .LBB317_1262
; %bb.1261:
	v_add_co_u32 v47, vcc_lo, 0x1000, v61
	v_add_co_ci_u32_e32 v48, vcc_lo, 0, v62, vcc_lo
	s_waitcnt lgkmcnt(10)
	global_store_b64 v[47:48], v[43:44], off offset:3072
.LBB317_1262:
	s_or_b32 exec_lo, exec_lo, s0
	s_waitcnt lgkmcnt(10)
	v_or_b32_e32 v43, 0x400, v0
	s_mov_b32 s0, exec_lo
	s_delay_alu instid0(VALU_DEP_1)
	v_cmpx_gt_u32_e64 s7, v43
	s_cbranch_execz .LBB317_1264
; %bb.1263:
	v_add_co_u32 v43, vcc_lo, 0x2000, v61
	v_add_co_ci_u32_e32 v44, vcc_lo, 0, v62, vcc_lo
	global_store_b64 v[43:44], v[45:46], off
.LBB317_1264:
	s_or_b32 exec_lo, exec_lo, s0
	v_or_b32_e32 v43, 0x480, v0
	s_mov_b32 s0, exec_lo
	s_delay_alu instid0(VALU_DEP_1)
	v_cmpx_gt_u32_e64 s7, v43
	s_cbranch_execz .LBB317_1266
; %bb.1265:
	v_add_co_u32 v43, vcc_lo, 0x2000, v61
	v_add_co_ci_u32_e32 v44, vcc_lo, 0, v62, vcc_lo
	s_waitcnt lgkmcnt(9)
	global_store_b64 v[43:44], v[39:40], off offset:1024
.LBB317_1266:
	s_or_b32 exec_lo, exec_lo, s0
	s_waitcnt lgkmcnt(9)
	v_or_b32_e32 v39, 0x500, v0
	s_mov_b32 s0, exec_lo
	s_delay_alu instid0(VALU_DEP_1)
	v_cmpx_gt_u32_e64 s7, v39
	s_cbranch_execz .LBB317_1268
; %bb.1267:
	v_add_co_u32 v39, vcc_lo, 0x2000, v61
	v_add_co_ci_u32_e32 v40, vcc_lo, 0, v62, vcc_lo
	global_store_b64 v[39:40], v[41:42], off offset:2048
.LBB317_1268:
	s_or_b32 exec_lo, exec_lo, s0
	v_or_b32_e32 v39, 0x580, v0
	s_mov_b32 s0, exec_lo
	s_delay_alu instid0(VALU_DEP_1)
	v_cmpx_gt_u32_e64 s7, v39
	s_cbranch_execz .LBB317_1270
; %bb.1269:
	v_add_co_u32 v39, vcc_lo, 0x2000, v61
	v_add_co_ci_u32_e32 v40, vcc_lo, 0, v62, vcc_lo
	s_waitcnt lgkmcnt(8)
	global_store_b64 v[39:40], v[35:36], off offset:3072
.LBB317_1270:
	;; [unrolled: 48-line block ×6, first 2 shown]
	s_or_b32 exec_lo, exec_lo, s0
	s_waitcnt lgkmcnt(0)
	v_or_b32_e32 v3, 0xe00, v0
	s_delay_alu instid0(VALU_DEP_1)
	v_cmp_gt_u32_e64 s5, s7, v3
	s_branch .LBB317_1305
.LBB317_1303:
	s_mov_b32 s5, 0
                                        ; implicit-def: $vgpr5_vgpr6
                                        ; implicit-def: $vgpr61_vgpr62
	s_cbranch_execz .LBB317_1305
; %bb.1304:
	v_mad_u32_u24 v4, 0xe8, v0, v66
	ds_store_2addr_b64 v65, v[1:2], v[181:182] offset1:1
	ds_store_2addr_b64 v65, v[167:168], v[107:108] offset0:2 offset1:3
	ds_store_2addr_b64 v65, v[169:170], v[103:104] offset0:4 offset1:5
	;; [unrolled: 1-line block ×13, first 2 shown]
	ds_store_b64 v65, v[111:112] offset:224
	s_waitcnt lgkmcnt(0)
	s_waitcnt_vscnt null, 0x0
	s_barrier
	buffer_gl0_inv
	ds_load_2addr_stride64_b64 v[0:3], v4 offset1:2
	s_mov_b32 s3, 0
	ds_load_2addr_stride64_b64 v[7:10], v4 offset0:4 offset1:6
	ds_load_2addr_stride64_b64 v[11:14], v4 offset0:8 offset1:10
	;; [unrolled: 1-line block ×13, first 2 shown]
	ds_load_b64 v[5:6], v4 offset:28672
	s_lshl_b64 s[0:1], s[2:3], 3
	s_delay_alu instid0(SALU_CYCLE_1) | instskip(SKIP_2) | instid1(VALU_DEP_1)
	s_add_u32 s0, s8, s0
	s_addc_u32 s1, s4, s1
	v_add_co_u32 v61, s2, s0, v195
	v_add_co_ci_u32_e64 v62, null, s1, 0, s2
	s_or_b32 s5, s5, exec_lo
	s_waitcnt lgkmcnt(14)
	s_clause 0x1
	global_store_b64 v195, v[0:1], s[0:1]
	global_store_b64 v195, v[2:3], s[0:1] offset:1024
	s_waitcnt lgkmcnt(13)
	s_clause 0x1
	global_store_b64 v195, v[7:8], s[0:1] offset:2048
	global_store_b64 v195, v[9:10], s[0:1] offset:3072
	v_add_co_u32 v0, vcc_lo, 0x1000, v61
	v_add_co_ci_u32_e32 v1, vcc_lo, 0, v62, vcc_lo
	v_add_co_u32 v2, vcc_lo, v61, 0x2000
	v_add_co_ci_u32_e32 v3, vcc_lo, 0, v62, vcc_lo
	;; [unrolled: 2-line block ×3, first 2 shown]
	s_waitcnt lgkmcnt(10)
	s_clause 0x4
	global_store_b64 v[2:3], v[19:20], off
	global_store_b64 v[0:1], v[13:14], off offset:1024
	global_store_b64 v[0:1], v[15:16], off offset:2048
	;; [unrolled: 1-line block ×4, first 2 shown]
	v_add_co_u32 v0, vcc_lo, 0x3000, v61
	v_add_co_ci_u32_e32 v1, vcc_lo, 0, v62, vcc_lo
	v_add_co_u32 v9, vcc_lo, v61, 0x4000
	v_add_co_ci_u32_e32 v10, vcc_lo, 0, v62, vcc_lo
	;; [unrolled: 2-line block ×3, first 2 shown]
	s_waitcnt lgkmcnt(9)
	s_clause 0x1
	global_store_b64 v[7:8], v[23:24], off offset:2048
	global_store_b64 v[7:8], v[25:26], off offset:3072
	s_waitcnt lgkmcnt(8)
	global_store_b64 v[0:1], v[29:30], off offset:1024
	s_waitcnt lgkmcnt(7)
	s_clause 0x1
	global_store_b64 v[0:1], v[31:32], off offset:2048
	global_store_b64 v[0:1], v[33:34], off offset:3072
	s_waitcnt lgkmcnt(6)
	global_store_b64 v[13:14], v[37:38], off offset:1024
	s_waitcnt lgkmcnt(5)
	s_clause 0x1
	global_store_b64 v[13:14], v[39:40], off offset:2048
	global_store_b64 v[13:14], v[41:42], off offset:3072
	v_add_co_u32 v0, vcc_lo, 0x5000, v61
	v_add_co_ci_u32_e32 v1, vcc_lo, 0, v62, vcc_lo
	v_add_co_u32 v7, vcc_lo, v61, 0x6000
	v_add_co_ci_u32_e32 v8, vcc_lo, 0, v62, vcc_lo
	;; [unrolled: 2-line block ×3, first 2 shown]
	s_clause 0x1
	global_store_b64 v[9:10], v[27:28], off offset:-4096
	global_store_b64 v[9:10], v[35:36], off
	s_waitcnt lgkmcnt(4)
	global_store_b64 v[7:8], v[43:44], off offset:-4096
	s_waitcnt lgkmcnt(2)
	s_clause 0x4
	global_store_b64 v[7:8], v[51:52], off
	global_store_b64 v[0:1], v[45:46], off offset:1024
	global_store_b64 v[0:1], v[47:48], off offset:2048
	;; [unrolled: 1-line block ×4, first 2 shown]
	s_waitcnt lgkmcnt(1)
	s_clause 0x2
	global_store_b64 v[13:14], v[55:56], off offset:2048
	global_store_b64 v[2:3], v[11:12], off offset:-4096
	global_store_b64 v[13:14], v[57:58], off offset:3072
.LBB317_1305:
	s_delay_alu instid0(VALU_DEP_1)
	s_and_saveexec_b32 s0, s5
	s_cbranch_execnz .LBB317_1307
; %bb.1306:
	s_nop 0
	s_sendmsg sendmsg(MSG_DEALLOC_VGPRS)
	s_endpgm
.LBB317_1307:
	v_add_co_u32 v0, vcc_lo, 0x7000, v61
	v_add_co_ci_u32_e32 v1, vcc_lo, 0, v62, vcc_lo
	s_waitcnt lgkmcnt(0)
	global_store_b64 v[0:1], v[5:6], off
	s_nop 0
	s_sendmsg sendmsg(MSG_DEALLOC_VGPRS)
	s_endpgm
	.section	.rodata,"a",@progbits
	.p2align	6, 0x0
	.amdhsa_kernel _ZN7rocprim17ROCPRIM_400000_NS6detail17trampoline_kernelINS0_14default_configENS1_35adjacent_difference_config_selectorILb1ElEEZNS1_24adjacent_difference_implIS3_Lb1ELb0EPlS7_ZN2at6native12_GLOBAL__N_124unique_dim_cuda_templateIaEESt5tupleIJNS8_6TensorESD_SD_EERKSD_lbbbEUlllE1_EE10hipError_tPvRmT2_T3_mT4_P12ihipStream_tbEUlT_E_NS1_11comp_targetILNS1_3genE9ELNS1_11target_archE1100ELNS1_3gpuE3ELNS1_3repE0EEENS1_30default_config_static_selectorELNS0_4arch9wavefront6targetE0EEEvT1_
		.amdhsa_group_segment_fixed_size 29696
		.amdhsa_private_segment_fixed_size 0
		.amdhsa_kernarg_size 64
		.amdhsa_user_sgpr_count 15
		.amdhsa_user_sgpr_dispatch_ptr 0
		.amdhsa_user_sgpr_queue_ptr 0
		.amdhsa_user_sgpr_kernarg_segment_ptr 1
		.amdhsa_user_sgpr_dispatch_id 0
		.amdhsa_user_sgpr_private_segment_size 0
		.amdhsa_wavefront_size32 1
		.amdhsa_uses_dynamic_stack 0
		.amdhsa_enable_private_segment 0
		.amdhsa_system_sgpr_workgroup_id_x 1
		.amdhsa_system_sgpr_workgroup_id_y 0
		.amdhsa_system_sgpr_workgroup_id_z 0
		.amdhsa_system_sgpr_workgroup_info 0
		.amdhsa_system_vgpr_workitem_id 0
		.amdhsa_next_free_vgpr 196
		.amdhsa_next_free_sgpr 30
		.amdhsa_reserve_vcc 1
		.amdhsa_float_round_mode_32 0
		.amdhsa_float_round_mode_16_64 0
		.amdhsa_float_denorm_mode_32 3
		.amdhsa_float_denorm_mode_16_64 3
		.amdhsa_dx10_clamp 1
		.amdhsa_ieee_mode 1
		.amdhsa_fp16_overflow 0
		.amdhsa_workgroup_processor_mode 1
		.amdhsa_memory_ordered 1
		.amdhsa_forward_progress 0
		.amdhsa_shared_vgpr_count 0
		.amdhsa_exception_fp_ieee_invalid_op 0
		.amdhsa_exception_fp_denorm_src 0
		.amdhsa_exception_fp_ieee_div_zero 0
		.amdhsa_exception_fp_ieee_overflow 0
		.amdhsa_exception_fp_ieee_underflow 0
		.amdhsa_exception_fp_ieee_inexact 0
		.amdhsa_exception_int_div_zero 0
	.end_amdhsa_kernel
	.section	.text._ZN7rocprim17ROCPRIM_400000_NS6detail17trampoline_kernelINS0_14default_configENS1_35adjacent_difference_config_selectorILb1ElEEZNS1_24adjacent_difference_implIS3_Lb1ELb0EPlS7_ZN2at6native12_GLOBAL__N_124unique_dim_cuda_templateIaEESt5tupleIJNS8_6TensorESD_SD_EERKSD_lbbbEUlllE1_EE10hipError_tPvRmT2_T3_mT4_P12ihipStream_tbEUlT_E_NS1_11comp_targetILNS1_3genE9ELNS1_11target_archE1100ELNS1_3gpuE3ELNS1_3repE0EEENS1_30default_config_static_selectorELNS0_4arch9wavefront6targetE0EEEvT1_,"axG",@progbits,_ZN7rocprim17ROCPRIM_400000_NS6detail17trampoline_kernelINS0_14default_configENS1_35adjacent_difference_config_selectorILb1ElEEZNS1_24adjacent_difference_implIS3_Lb1ELb0EPlS7_ZN2at6native12_GLOBAL__N_124unique_dim_cuda_templateIaEESt5tupleIJNS8_6TensorESD_SD_EERKSD_lbbbEUlllE1_EE10hipError_tPvRmT2_T3_mT4_P12ihipStream_tbEUlT_E_NS1_11comp_targetILNS1_3genE9ELNS1_11target_archE1100ELNS1_3gpuE3ELNS1_3repE0EEENS1_30default_config_static_selectorELNS0_4arch9wavefront6targetE0EEEvT1_,comdat
.Lfunc_end317:
	.size	_ZN7rocprim17ROCPRIM_400000_NS6detail17trampoline_kernelINS0_14default_configENS1_35adjacent_difference_config_selectorILb1ElEEZNS1_24adjacent_difference_implIS3_Lb1ELb0EPlS7_ZN2at6native12_GLOBAL__N_124unique_dim_cuda_templateIaEESt5tupleIJNS8_6TensorESD_SD_EERKSD_lbbbEUlllE1_EE10hipError_tPvRmT2_T3_mT4_P12ihipStream_tbEUlT_E_NS1_11comp_targetILNS1_3genE9ELNS1_11target_archE1100ELNS1_3gpuE3ELNS1_3repE0EEENS1_30default_config_static_selectorELNS0_4arch9wavefront6targetE0EEEvT1_, .Lfunc_end317-_ZN7rocprim17ROCPRIM_400000_NS6detail17trampoline_kernelINS0_14default_configENS1_35adjacent_difference_config_selectorILb1ElEEZNS1_24adjacent_difference_implIS3_Lb1ELb0EPlS7_ZN2at6native12_GLOBAL__N_124unique_dim_cuda_templateIaEESt5tupleIJNS8_6TensorESD_SD_EERKSD_lbbbEUlllE1_EE10hipError_tPvRmT2_T3_mT4_P12ihipStream_tbEUlT_E_NS1_11comp_targetILNS1_3genE9ELNS1_11target_archE1100ELNS1_3gpuE3ELNS1_3repE0EEENS1_30default_config_static_selectorELNS0_4arch9wavefront6targetE0EEEvT1_
                                        ; -- End function
	.section	.AMDGPU.csdata,"",@progbits
; Kernel info:
; codeLenInByte = 45052
; NumSgprs: 32
; NumVgprs: 196
; ScratchSize: 0
; MemoryBound: 0
; FloatMode: 240
; IeeeMode: 1
; LDSByteSize: 29696 bytes/workgroup (compile time only)
; SGPRBlocks: 3
; VGPRBlocks: 24
; NumSGPRsForWavesPerEU: 32
; NumVGPRsForWavesPerEU: 196
; Occupancy: 4
; WaveLimiterHint : 1
; COMPUTE_PGM_RSRC2:SCRATCH_EN: 0
; COMPUTE_PGM_RSRC2:USER_SGPR: 15
; COMPUTE_PGM_RSRC2:TRAP_HANDLER: 0
; COMPUTE_PGM_RSRC2:TGID_X_EN: 1
; COMPUTE_PGM_RSRC2:TGID_Y_EN: 0
; COMPUTE_PGM_RSRC2:TGID_Z_EN: 0
; COMPUTE_PGM_RSRC2:TIDIG_COMP_CNT: 0
	.section	.text._ZN7rocprim17ROCPRIM_400000_NS6detail17trampoline_kernelINS0_14default_configENS1_35adjacent_difference_config_selectorILb1ElEEZNS1_24adjacent_difference_implIS3_Lb1ELb0EPlS7_ZN2at6native12_GLOBAL__N_124unique_dim_cuda_templateIaEESt5tupleIJNS8_6TensorESD_SD_EERKSD_lbbbEUlllE1_EE10hipError_tPvRmT2_T3_mT4_P12ihipStream_tbEUlT_E_NS1_11comp_targetILNS1_3genE8ELNS1_11target_archE1030ELNS1_3gpuE2ELNS1_3repE0EEENS1_30default_config_static_selectorELNS0_4arch9wavefront6targetE0EEEvT1_,"axG",@progbits,_ZN7rocprim17ROCPRIM_400000_NS6detail17trampoline_kernelINS0_14default_configENS1_35adjacent_difference_config_selectorILb1ElEEZNS1_24adjacent_difference_implIS3_Lb1ELb0EPlS7_ZN2at6native12_GLOBAL__N_124unique_dim_cuda_templateIaEESt5tupleIJNS8_6TensorESD_SD_EERKSD_lbbbEUlllE1_EE10hipError_tPvRmT2_T3_mT4_P12ihipStream_tbEUlT_E_NS1_11comp_targetILNS1_3genE8ELNS1_11target_archE1030ELNS1_3gpuE2ELNS1_3repE0EEENS1_30default_config_static_selectorELNS0_4arch9wavefront6targetE0EEEvT1_,comdat
	.globl	_ZN7rocprim17ROCPRIM_400000_NS6detail17trampoline_kernelINS0_14default_configENS1_35adjacent_difference_config_selectorILb1ElEEZNS1_24adjacent_difference_implIS3_Lb1ELb0EPlS7_ZN2at6native12_GLOBAL__N_124unique_dim_cuda_templateIaEESt5tupleIJNS8_6TensorESD_SD_EERKSD_lbbbEUlllE1_EE10hipError_tPvRmT2_T3_mT4_P12ihipStream_tbEUlT_E_NS1_11comp_targetILNS1_3genE8ELNS1_11target_archE1030ELNS1_3gpuE2ELNS1_3repE0EEENS1_30default_config_static_selectorELNS0_4arch9wavefront6targetE0EEEvT1_ ; -- Begin function _ZN7rocprim17ROCPRIM_400000_NS6detail17trampoline_kernelINS0_14default_configENS1_35adjacent_difference_config_selectorILb1ElEEZNS1_24adjacent_difference_implIS3_Lb1ELb0EPlS7_ZN2at6native12_GLOBAL__N_124unique_dim_cuda_templateIaEESt5tupleIJNS8_6TensorESD_SD_EERKSD_lbbbEUlllE1_EE10hipError_tPvRmT2_T3_mT4_P12ihipStream_tbEUlT_E_NS1_11comp_targetILNS1_3genE8ELNS1_11target_archE1030ELNS1_3gpuE2ELNS1_3repE0EEENS1_30default_config_static_selectorELNS0_4arch9wavefront6targetE0EEEvT1_
	.p2align	8
	.type	_ZN7rocprim17ROCPRIM_400000_NS6detail17trampoline_kernelINS0_14default_configENS1_35adjacent_difference_config_selectorILb1ElEEZNS1_24adjacent_difference_implIS3_Lb1ELb0EPlS7_ZN2at6native12_GLOBAL__N_124unique_dim_cuda_templateIaEESt5tupleIJNS8_6TensorESD_SD_EERKSD_lbbbEUlllE1_EE10hipError_tPvRmT2_T3_mT4_P12ihipStream_tbEUlT_E_NS1_11comp_targetILNS1_3genE8ELNS1_11target_archE1030ELNS1_3gpuE2ELNS1_3repE0EEENS1_30default_config_static_selectorELNS0_4arch9wavefront6targetE0EEEvT1_,@function
_ZN7rocprim17ROCPRIM_400000_NS6detail17trampoline_kernelINS0_14default_configENS1_35adjacent_difference_config_selectorILb1ElEEZNS1_24adjacent_difference_implIS3_Lb1ELb0EPlS7_ZN2at6native12_GLOBAL__N_124unique_dim_cuda_templateIaEESt5tupleIJNS8_6TensorESD_SD_EERKSD_lbbbEUlllE1_EE10hipError_tPvRmT2_T3_mT4_P12ihipStream_tbEUlT_E_NS1_11comp_targetILNS1_3genE8ELNS1_11target_archE1030ELNS1_3gpuE2ELNS1_3repE0EEENS1_30default_config_static_selectorELNS0_4arch9wavefront6targetE0EEEvT1_: ; @_ZN7rocprim17ROCPRIM_400000_NS6detail17trampoline_kernelINS0_14default_configENS1_35adjacent_difference_config_selectorILb1ElEEZNS1_24adjacent_difference_implIS3_Lb1ELb0EPlS7_ZN2at6native12_GLOBAL__N_124unique_dim_cuda_templateIaEESt5tupleIJNS8_6TensorESD_SD_EERKSD_lbbbEUlllE1_EE10hipError_tPvRmT2_T3_mT4_P12ihipStream_tbEUlT_E_NS1_11comp_targetILNS1_3genE8ELNS1_11target_archE1030ELNS1_3gpuE2ELNS1_3repE0EEENS1_30default_config_static_selectorELNS0_4arch9wavefront6targetE0EEEvT1_
; %bb.0:
	.section	.rodata,"a",@progbits
	.p2align	6, 0x0
	.amdhsa_kernel _ZN7rocprim17ROCPRIM_400000_NS6detail17trampoline_kernelINS0_14default_configENS1_35adjacent_difference_config_selectorILb1ElEEZNS1_24adjacent_difference_implIS3_Lb1ELb0EPlS7_ZN2at6native12_GLOBAL__N_124unique_dim_cuda_templateIaEESt5tupleIJNS8_6TensorESD_SD_EERKSD_lbbbEUlllE1_EE10hipError_tPvRmT2_T3_mT4_P12ihipStream_tbEUlT_E_NS1_11comp_targetILNS1_3genE8ELNS1_11target_archE1030ELNS1_3gpuE2ELNS1_3repE0EEENS1_30default_config_static_selectorELNS0_4arch9wavefront6targetE0EEEvT1_
		.amdhsa_group_segment_fixed_size 0
		.amdhsa_private_segment_fixed_size 0
		.amdhsa_kernarg_size 64
		.amdhsa_user_sgpr_count 15
		.amdhsa_user_sgpr_dispatch_ptr 0
		.amdhsa_user_sgpr_queue_ptr 0
		.amdhsa_user_sgpr_kernarg_segment_ptr 1
		.amdhsa_user_sgpr_dispatch_id 0
		.amdhsa_user_sgpr_private_segment_size 0
		.amdhsa_wavefront_size32 1
		.amdhsa_uses_dynamic_stack 0
		.amdhsa_enable_private_segment 0
		.amdhsa_system_sgpr_workgroup_id_x 1
		.amdhsa_system_sgpr_workgroup_id_y 0
		.amdhsa_system_sgpr_workgroup_id_z 0
		.amdhsa_system_sgpr_workgroup_info 0
		.amdhsa_system_vgpr_workitem_id 0
		.amdhsa_next_free_vgpr 1
		.amdhsa_next_free_sgpr 1
		.amdhsa_reserve_vcc 0
		.amdhsa_float_round_mode_32 0
		.amdhsa_float_round_mode_16_64 0
		.amdhsa_float_denorm_mode_32 3
		.amdhsa_float_denorm_mode_16_64 3
		.amdhsa_dx10_clamp 1
		.amdhsa_ieee_mode 1
		.amdhsa_fp16_overflow 0
		.amdhsa_workgroup_processor_mode 1
		.amdhsa_memory_ordered 1
		.amdhsa_forward_progress 0
		.amdhsa_shared_vgpr_count 0
		.amdhsa_exception_fp_ieee_invalid_op 0
		.amdhsa_exception_fp_denorm_src 0
		.amdhsa_exception_fp_ieee_div_zero 0
		.amdhsa_exception_fp_ieee_overflow 0
		.amdhsa_exception_fp_ieee_underflow 0
		.amdhsa_exception_fp_ieee_inexact 0
		.amdhsa_exception_int_div_zero 0
	.end_amdhsa_kernel
	.section	.text._ZN7rocprim17ROCPRIM_400000_NS6detail17trampoline_kernelINS0_14default_configENS1_35adjacent_difference_config_selectorILb1ElEEZNS1_24adjacent_difference_implIS3_Lb1ELb0EPlS7_ZN2at6native12_GLOBAL__N_124unique_dim_cuda_templateIaEESt5tupleIJNS8_6TensorESD_SD_EERKSD_lbbbEUlllE1_EE10hipError_tPvRmT2_T3_mT4_P12ihipStream_tbEUlT_E_NS1_11comp_targetILNS1_3genE8ELNS1_11target_archE1030ELNS1_3gpuE2ELNS1_3repE0EEENS1_30default_config_static_selectorELNS0_4arch9wavefront6targetE0EEEvT1_,"axG",@progbits,_ZN7rocprim17ROCPRIM_400000_NS6detail17trampoline_kernelINS0_14default_configENS1_35adjacent_difference_config_selectorILb1ElEEZNS1_24adjacent_difference_implIS3_Lb1ELb0EPlS7_ZN2at6native12_GLOBAL__N_124unique_dim_cuda_templateIaEESt5tupleIJNS8_6TensorESD_SD_EERKSD_lbbbEUlllE1_EE10hipError_tPvRmT2_T3_mT4_P12ihipStream_tbEUlT_E_NS1_11comp_targetILNS1_3genE8ELNS1_11target_archE1030ELNS1_3gpuE2ELNS1_3repE0EEENS1_30default_config_static_selectorELNS0_4arch9wavefront6targetE0EEEvT1_,comdat
.Lfunc_end318:
	.size	_ZN7rocprim17ROCPRIM_400000_NS6detail17trampoline_kernelINS0_14default_configENS1_35adjacent_difference_config_selectorILb1ElEEZNS1_24adjacent_difference_implIS3_Lb1ELb0EPlS7_ZN2at6native12_GLOBAL__N_124unique_dim_cuda_templateIaEESt5tupleIJNS8_6TensorESD_SD_EERKSD_lbbbEUlllE1_EE10hipError_tPvRmT2_T3_mT4_P12ihipStream_tbEUlT_E_NS1_11comp_targetILNS1_3genE8ELNS1_11target_archE1030ELNS1_3gpuE2ELNS1_3repE0EEENS1_30default_config_static_selectorELNS0_4arch9wavefront6targetE0EEEvT1_, .Lfunc_end318-_ZN7rocprim17ROCPRIM_400000_NS6detail17trampoline_kernelINS0_14default_configENS1_35adjacent_difference_config_selectorILb1ElEEZNS1_24adjacent_difference_implIS3_Lb1ELb0EPlS7_ZN2at6native12_GLOBAL__N_124unique_dim_cuda_templateIaEESt5tupleIJNS8_6TensorESD_SD_EERKSD_lbbbEUlllE1_EE10hipError_tPvRmT2_T3_mT4_P12ihipStream_tbEUlT_E_NS1_11comp_targetILNS1_3genE8ELNS1_11target_archE1030ELNS1_3gpuE2ELNS1_3repE0EEENS1_30default_config_static_selectorELNS0_4arch9wavefront6targetE0EEEvT1_
                                        ; -- End function
	.section	.AMDGPU.csdata,"",@progbits
; Kernel info:
; codeLenInByte = 0
; NumSgprs: 0
; NumVgprs: 0
; ScratchSize: 0
; MemoryBound: 0
; FloatMode: 240
; IeeeMode: 1
; LDSByteSize: 0 bytes/workgroup (compile time only)
; SGPRBlocks: 0
; VGPRBlocks: 0
; NumSGPRsForWavesPerEU: 1
; NumVGPRsForWavesPerEU: 1
; Occupancy: 16
; WaveLimiterHint : 0
; COMPUTE_PGM_RSRC2:SCRATCH_EN: 0
; COMPUTE_PGM_RSRC2:USER_SGPR: 15
; COMPUTE_PGM_RSRC2:TRAP_HANDLER: 0
; COMPUTE_PGM_RSRC2:TGID_X_EN: 1
; COMPUTE_PGM_RSRC2:TGID_Y_EN: 0
; COMPUTE_PGM_RSRC2:TGID_Z_EN: 0
; COMPUTE_PGM_RSRC2:TIDIG_COMP_CNT: 0
	.section	.text._ZN7rocprim17ROCPRIM_400000_NS6detail17trampoline_kernelINS0_14default_configENS1_25partition_config_selectorILNS1_17partition_subalgoE8ElNS0_10empty_typeEbEEZZNS1_14partition_implILS5_8ELb0ES3_jPlPS6_PKS6_NS0_5tupleIJS9_S6_EEENSD_IJSA_SA_EEENS0_18inequality_wrapperIZN2at6native12_GLOBAL__N_124unique_dim_cuda_templateIaEESt5tupleIJNSH_6TensorESM_SM_EERKSM_lbbbEUlllE0_EEPmJS6_EEE10hipError_tPvRmT3_T4_T5_T6_T7_T9_mT8_P12ihipStream_tbDpT10_ENKUlT_T0_E_clISt17integral_constantIbLb0EES1C_EEDaS17_S18_EUlS17_E_NS1_11comp_targetILNS1_3genE0ELNS1_11target_archE4294967295ELNS1_3gpuE0ELNS1_3repE0EEENS1_30default_config_static_selectorELNS0_4arch9wavefront6targetE0EEEvT1_,"axG",@progbits,_ZN7rocprim17ROCPRIM_400000_NS6detail17trampoline_kernelINS0_14default_configENS1_25partition_config_selectorILNS1_17partition_subalgoE8ElNS0_10empty_typeEbEEZZNS1_14partition_implILS5_8ELb0ES3_jPlPS6_PKS6_NS0_5tupleIJS9_S6_EEENSD_IJSA_SA_EEENS0_18inequality_wrapperIZN2at6native12_GLOBAL__N_124unique_dim_cuda_templateIaEESt5tupleIJNSH_6TensorESM_SM_EERKSM_lbbbEUlllE0_EEPmJS6_EEE10hipError_tPvRmT3_T4_T5_T6_T7_T9_mT8_P12ihipStream_tbDpT10_ENKUlT_T0_E_clISt17integral_constantIbLb0EES1C_EEDaS17_S18_EUlS17_E_NS1_11comp_targetILNS1_3genE0ELNS1_11target_archE4294967295ELNS1_3gpuE0ELNS1_3repE0EEENS1_30default_config_static_selectorELNS0_4arch9wavefront6targetE0EEEvT1_,comdat
	.globl	_ZN7rocprim17ROCPRIM_400000_NS6detail17trampoline_kernelINS0_14default_configENS1_25partition_config_selectorILNS1_17partition_subalgoE8ElNS0_10empty_typeEbEEZZNS1_14partition_implILS5_8ELb0ES3_jPlPS6_PKS6_NS0_5tupleIJS9_S6_EEENSD_IJSA_SA_EEENS0_18inequality_wrapperIZN2at6native12_GLOBAL__N_124unique_dim_cuda_templateIaEESt5tupleIJNSH_6TensorESM_SM_EERKSM_lbbbEUlllE0_EEPmJS6_EEE10hipError_tPvRmT3_T4_T5_T6_T7_T9_mT8_P12ihipStream_tbDpT10_ENKUlT_T0_E_clISt17integral_constantIbLb0EES1C_EEDaS17_S18_EUlS17_E_NS1_11comp_targetILNS1_3genE0ELNS1_11target_archE4294967295ELNS1_3gpuE0ELNS1_3repE0EEENS1_30default_config_static_selectorELNS0_4arch9wavefront6targetE0EEEvT1_ ; -- Begin function _ZN7rocprim17ROCPRIM_400000_NS6detail17trampoline_kernelINS0_14default_configENS1_25partition_config_selectorILNS1_17partition_subalgoE8ElNS0_10empty_typeEbEEZZNS1_14partition_implILS5_8ELb0ES3_jPlPS6_PKS6_NS0_5tupleIJS9_S6_EEENSD_IJSA_SA_EEENS0_18inequality_wrapperIZN2at6native12_GLOBAL__N_124unique_dim_cuda_templateIaEESt5tupleIJNSH_6TensorESM_SM_EERKSM_lbbbEUlllE0_EEPmJS6_EEE10hipError_tPvRmT3_T4_T5_T6_T7_T9_mT8_P12ihipStream_tbDpT10_ENKUlT_T0_E_clISt17integral_constantIbLb0EES1C_EEDaS17_S18_EUlS17_E_NS1_11comp_targetILNS1_3genE0ELNS1_11target_archE4294967295ELNS1_3gpuE0ELNS1_3repE0EEENS1_30default_config_static_selectorELNS0_4arch9wavefront6targetE0EEEvT1_
	.p2align	8
	.type	_ZN7rocprim17ROCPRIM_400000_NS6detail17trampoline_kernelINS0_14default_configENS1_25partition_config_selectorILNS1_17partition_subalgoE8ElNS0_10empty_typeEbEEZZNS1_14partition_implILS5_8ELb0ES3_jPlPS6_PKS6_NS0_5tupleIJS9_S6_EEENSD_IJSA_SA_EEENS0_18inequality_wrapperIZN2at6native12_GLOBAL__N_124unique_dim_cuda_templateIaEESt5tupleIJNSH_6TensorESM_SM_EERKSM_lbbbEUlllE0_EEPmJS6_EEE10hipError_tPvRmT3_T4_T5_T6_T7_T9_mT8_P12ihipStream_tbDpT10_ENKUlT_T0_E_clISt17integral_constantIbLb0EES1C_EEDaS17_S18_EUlS17_E_NS1_11comp_targetILNS1_3genE0ELNS1_11target_archE4294967295ELNS1_3gpuE0ELNS1_3repE0EEENS1_30default_config_static_selectorELNS0_4arch9wavefront6targetE0EEEvT1_,@function
_ZN7rocprim17ROCPRIM_400000_NS6detail17trampoline_kernelINS0_14default_configENS1_25partition_config_selectorILNS1_17partition_subalgoE8ElNS0_10empty_typeEbEEZZNS1_14partition_implILS5_8ELb0ES3_jPlPS6_PKS6_NS0_5tupleIJS9_S6_EEENSD_IJSA_SA_EEENS0_18inequality_wrapperIZN2at6native12_GLOBAL__N_124unique_dim_cuda_templateIaEESt5tupleIJNSH_6TensorESM_SM_EERKSM_lbbbEUlllE0_EEPmJS6_EEE10hipError_tPvRmT3_T4_T5_T6_T7_T9_mT8_P12ihipStream_tbDpT10_ENKUlT_T0_E_clISt17integral_constantIbLb0EES1C_EEDaS17_S18_EUlS17_E_NS1_11comp_targetILNS1_3genE0ELNS1_11target_archE4294967295ELNS1_3gpuE0ELNS1_3repE0EEENS1_30default_config_static_selectorELNS0_4arch9wavefront6targetE0EEEvT1_: ; @_ZN7rocprim17ROCPRIM_400000_NS6detail17trampoline_kernelINS0_14default_configENS1_25partition_config_selectorILNS1_17partition_subalgoE8ElNS0_10empty_typeEbEEZZNS1_14partition_implILS5_8ELb0ES3_jPlPS6_PKS6_NS0_5tupleIJS9_S6_EEENSD_IJSA_SA_EEENS0_18inequality_wrapperIZN2at6native12_GLOBAL__N_124unique_dim_cuda_templateIaEESt5tupleIJNSH_6TensorESM_SM_EERKSM_lbbbEUlllE0_EEPmJS6_EEE10hipError_tPvRmT3_T4_T5_T6_T7_T9_mT8_P12ihipStream_tbDpT10_ENKUlT_T0_E_clISt17integral_constantIbLb0EES1C_EEDaS17_S18_EUlS17_E_NS1_11comp_targetILNS1_3genE0ELNS1_11target_archE4294967295ELNS1_3gpuE0ELNS1_3repE0EEENS1_30default_config_static_selectorELNS0_4arch9wavefront6targetE0EEEvT1_
; %bb.0:
	.section	.rodata,"a",@progbits
	.p2align	6, 0x0
	.amdhsa_kernel _ZN7rocprim17ROCPRIM_400000_NS6detail17trampoline_kernelINS0_14default_configENS1_25partition_config_selectorILNS1_17partition_subalgoE8ElNS0_10empty_typeEbEEZZNS1_14partition_implILS5_8ELb0ES3_jPlPS6_PKS6_NS0_5tupleIJS9_S6_EEENSD_IJSA_SA_EEENS0_18inequality_wrapperIZN2at6native12_GLOBAL__N_124unique_dim_cuda_templateIaEESt5tupleIJNSH_6TensorESM_SM_EERKSM_lbbbEUlllE0_EEPmJS6_EEE10hipError_tPvRmT3_T4_T5_T6_T7_T9_mT8_P12ihipStream_tbDpT10_ENKUlT_T0_E_clISt17integral_constantIbLb0EES1C_EEDaS17_S18_EUlS17_E_NS1_11comp_targetILNS1_3genE0ELNS1_11target_archE4294967295ELNS1_3gpuE0ELNS1_3repE0EEENS1_30default_config_static_selectorELNS0_4arch9wavefront6targetE0EEEvT1_
		.amdhsa_group_segment_fixed_size 0
		.amdhsa_private_segment_fixed_size 0
		.amdhsa_kernarg_size 120
		.amdhsa_user_sgpr_count 15
		.amdhsa_user_sgpr_dispatch_ptr 0
		.amdhsa_user_sgpr_queue_ptr 0
		.amdhsa_user_sgpr_kernarg_segment_ptr 1
		.amdhsa_user_sgpr_dispatch_id 0
		.amdhsa_user_sgpr_private_segment_size 0
		.amdhsa_wavefront_size32 1
		.amdhsa_uses_dynamic_stack 0
		.amdhsa_enable_private_segment 0
		.amdhsa_system_sgpr_workgroup_id_x 1
		.amdhsa_system_sgpr_workgroup_id_y 0
		.amdhsa_system_sgpr_workgroup_id_z 0
		.amdhsa_system_sgpr_workgroup_info 0
		.amdhsa_system_vgpr_workitem_id 0
		.amdhsa_next_free_vgpr 1
		.amdhsa_next_free_sgpr 1
		.amdhsa_reserve_vcc 0
		.amdhsa_float_round_mode_32 0
		.amdhsa_float_round_mode_16_64 0
		.amdhsa_float_denorm_mode_32 3
		.amdhsa_float_denorm_mode_16_64 3
		.amdhsa_dx10_clamp 1
		.amdhsa_ieee_mode 1
		.amdhsa_fp16_overflow 0
		.amdhsa_workgroup_processor_mode 1
		.amdhsa_memory_ordered 1
		.amdhsa_forward_progress 0
		.amdhsa_shared_vgpr_count 0
		.amdhsa_exception_fp_ieee_invalid_op 0
		.amdhsa_exception_fp_denorm_src 0
		.amdhsa_exception_fp_ieee_div_zero 0
		.amdhsa_exception_fp_ieee_overflow 0
		.amdhsa_exception_fp_ieee_underflow 0
		.amdhsa_exception_fp_ieee_inexact 0
		.amdhsa_exception_int_div_zero 0
	.end_amdhsa_kernel
	.section	.text._ZN7rocprim17ROCPRIM_400000_NS6detail17trampoline_kernelINS0_14default_configENS1_25partition_config_selectorILNS1_17partition_subalgoE8ElNS0_10empty_typeEbEEZZNS1_14partition_implILS5_8ELb0ES3_jPlPS6_PKS6_NS0_5tupleIJS9_S6_EEENSD_IJSA_SA_EEENS0_18inequality_wrapperIZN2at6native12_GLOBAL__N_124unique_dim_cuda_templateIaEESt5tupleIJNSH_6TensorESM_SM_EERKSM_lbbbEUlllE0_EEPmJS6_EEE10hipError_tPvRmT3_T4_T5_T6_T7_T9_mT8_P12ihipStream_tbDpT10_ENKUlT_T0_E_clISt17integral_constantIbLb0EES1C_EEDaS17_S18_EUlS17_E_NS1_11comp_targetILNS1_3genE0ELNS1_11target_archE4294967295ELNS1_3gpuE0ELNS1_3repE0EEENS1_30default_config_static_selectorELNS0_4arch9wavefront6targetE0EEEvT1_,"axG",@progbits,_ZN7rocprim17ROCPRIM_400000_NS6detail17trampoline_kernelINS0_14default_configENS1_25partition_config_selectorILNS1_17partition_subalgoE8ElNS0_10empty_typeEbEEZZNS1_14partition_implILS5_8ELb0ES3_jPlPS6_PKS6_NS0_5tupleIJS9_S6_EEENSD_IJSA_SA_EEENS0_18inequality_wrapperIZN2at6native12_GLOBAL__N_124unique_dim_cuda_templateIaEESt5tupleIJNSH_6TensorESM_SM_EERKSM_lbbbEUlllE0_EEPmJS6_EEE10hipError_tPvRmT3_T4_T5_T6_T7_T9_mT8_P12ihipStream_tbDpT10_ENKUlT_T0_E_clISt17integral_constantIbLb0EES1C_EEDaS17_S18_EUlS17_E_NS1_11comp_targetILNS1_3genE0ELNS1_11target_archE4294967295ELNS1_3gpuE0ELNS1_3repE0EEENS1_30default_config_static_selectorELNS0_4arch9wavefront6targetE0EEEvT1_,comdat
.Lfunc_end319:
	.size	_ZN7rocprim17ROCPRIM_400000_NS6detail17trampoline_kernelINS0_14default_configENS1_25partition_config_selectorILNS1_17partition_subalgoE8ElNS0_10empty_typeEbEEZZNS1_14partition_implILS5_8ELb0ES3_jPlPS6_PKS6_NS0_5tupleIJS9_S6_EEENSD_IJSA_SA_EEENS0_18inequality_wrapperIZN2at6native12_GLOBAL__N_124unique_dim_cuda_templateIaEESt5tupleIJNSH_6TensorESM_SM_EERKSM_lbbbEUlllE0_EEPmJS6_EEE10hipError_tPvRmT3_T4_T5_T6_T7_T9_mT8_P12ihipStream_tbDpT10_ENKUlT_T0_E_clISt17integral_constantIbLb0EES1C_EEDaS17_S18_EUlS17_E_NS1_11comp_targetILNS1_3genE0ELNS1_11target_archE4294967295ELNS1_3gpuE0ELNS1_3repE0EEENS1_30default_config_static_selectorELNS0_4arch9wavefront6targetE0EEEvT1_, .Lfunc_end319-_ZN7rocprim17ROCPRIM_400000_NS6detail17trampoline_kernelINS0_14default_configENS1_25partition_config_selectorILNS1_17partition_subalgoE8ElNS0_10empty_typeEbEEZZNS1_14partition_implILS5_8ELb0ES3_jPlPS6_PKS6_NS0_5tupleIJS9_S6_EEENSD_IJSA_SA_EEENS0_18inequality_wrapperIZN2at6native12_GLOBAL__N_124unique_dim_cuda_templateIaEESt5tupleIJNSH_6TensorESM_SM_EERKSM_lbbbEUlllE0_EEPmJS6_EEE10hipError_tPvRmT3_T4_T5_T6_T7_T9_mT8_P12ihipStream_tbDpT10_ENKUlT_T0_E_clISt17integral_constantIbLb0EES1C_EEDaS17_S18_EUlS17_E_NS1_11comp_targetILNS1_3genE0ELNS1_11target_archE4294967295ELNS1_3gpuE0ELNS1_3repE0EEENS1_30default_config_static_selectorELNS0_4arch9wavefront6targetE0EEEvT1_
                                        ; -- End function
	.section	.AMDGPU.csdata,"",@progbits
; Kernel info:
; codeLenInByte = 0
; NumSgprs: 0
; NumVgprs: 0
; ScratchSize: 0
; MemoryBound: 0
; FloatMode: 240
; IeeeMode: 1
; LDSByteSize: 0 bytes/workgroup (compile time only)
; SGPRBlocks: 0
; VGPRBlocks: 0
; NumSGPRsForWavesPerEU: 1
; NumVGPRsForWavesPerEU: 1
; Occupancy: 16
; WaveLimiterHint : 0
; COMPUTE_PGM_RSRC2:SCRATCH_EN: 0
; COMPUTE_PGM_RSRC2:USER_SGPR: 15
; COMPUTE_PGM_RSRC2:TRAP_HANDLER: 0
; COMPUTE_PGM_RSRC2:TGID_X_EN: 1
; COMPUTE_PGM_RSRC2:TGID_Y_EN: 0
; COMPUTE_PGM_RSRC2:TGID_Z_EN: 0
; COMPUTE_PGM_RSRC2:TIDIG_COMP_CNT: 0
	.section	.text._ZN7rocprim17ROCPRIM_400000_NS6detail17trampoline_kernelINS0_14default_configENS1_25partition_config_selectorILNS1_17partition_subalgoE8ElNS0_10empty_typeEbEEZZNS1_14partition_implILS5_8ELb0ES3_jPlPS6_PKS6_NS0_5tupleIJS9_S6_EEENSD_IJSA_SA_EEENS0_18inequality_wrapperIZN2at6native12_GLOBAL__N_124unique_dim_cuda_templateIaEESt5tupleIJNSH_6TensorESM_SM_EERKSM_lbbbEUlllE0_EEPmJS6_EEE10hipError_tPvRmT3_T4_T5_T6_T7_T9_mT8_P12ihipStream_tbDpT10_ENKUlT_T0_E_clISt17integral_constantIbLb0EES1C_EEDaS17_S18_EUlS17_E_NS1_11comp_targetILNS1_3genE5ELNS1_11target_archE942ELNS1_3gpuE9ELNS1_3repE0EEENS1_30default_config_static_selectorELNS0_4arch9wavefront6targetE0EEEvT1_,"axG",@progbits,_ZN7rocprim17ROCPRIM_400000_NS6detail17trampoline_kernelINS0_14default_configENS1_25partition_config_selectorILNS1_17partition_subalgoE8ElNS0_10empty_typeEbEEZZNS1_14partition_implILS5_8ELb0ES3_jPlPS6_PKS6_NS0_5tupleIJS9_S6_EEENSD_IJSA_SA_EEENS0_18inequality_wrapperIZN2at6native12_GLOBAL__N_124unique_dim_cuda_templateIaEESt5tupleIJNSH_6TensorESM_SM_EERKSM_lbbbEUlllE0_EEPmJS6_EEE10hipError_tPvRmT3_T4_T5_T6_T7_T9_mT8_P12ihipStream_tbDpT10_ENKUlT_T0_E_clISt17integral_constantIbLb0EES1C_EEDaS17_S18_EUlS17_E_NS1_11comp_targetILNS1_3genE5ELNS1_11target_archE942ELNS1_3gpuE9ELNS1_3repE0EEENS1_30default_config_static_selectorELNS0_4arch9wavefront6targetE0EEEvT1_,comdat
	.globl	_ZN7rocprim17ROCPRIM_400000_NS6detail17trampoline_kernelINS0_14default_configENS1_25partition_config_selectorILNS1_17partition_subalgoE8ElNS0_10empty_typeEbEEZZNS1_14partition_implILS5_8ELb0ES3_jPlPS6_PKS6_NS0_5tupleIJS9_S6_EEENSD_IJSA_SA_EEENS0_18inequality_wrapperIZN2at6native12_GLOBAL__N_124unique_dim_cuda_templateIaEESt5tupleIJNSH_6TensorESM_SM_EERKSM_lbbbEUlllE0_EEPmJS6_EEE10hipError_tPvRmT3_T4_T5_T6_T7_T9_mT8_P12ihipStream_tbDpT10_ENKUlT_T0_E_clISt17integral_constantIbLb0EES1C_EEDaS17_S18_EUlS17_E_NS1_11comp_targetILNS1_3genE5ELNS1_11target_archE942ELNS1_3gpuE9ELNS1_3repE0EEENS1_30default_config_static_selectorELNS0_4arch9wavefront6targetE0EEEvT1_ ; -- Begin function _ZN7rocprim17ROCPRIM_400000_NS6detail17trampoline_kernelINS0_14default_configENS1_25partition_config_selectorILNS1_17partition_subalgoE8ElNS0_10empty_typeEbEEZZNS1_14partition_implILS5_8ELb0ES3_jPlPS6_PKS6_NS0_5tupleIJS9_S6_EEENSD_IJSA_SA_EEENS0_18inequality_wrapperIZN2at6native12_GLOBAL__N_124unique_dim_cuda_templateIaEESt5tupleIJNSH_6TensorESM_SM_EERKSM_lbbbEUlllE0_EEPmJS6_EEE10hipError_tPvRmT3_T4_T5_T6_T7_T9_mT8_P12ihipStream_tbDpT10_ENKUlT_T0_E_clISt17integral_constantIbLb0EES1C_EEDaS17_S18_EUlS17_E_NS1_11comp_targetILNS1_3genE5ELNS1_11target_archE942ELNS1_3gpuE9ELNS1_3repE0EEENS1_30default_config_static_selectorELNS0_4arch9wavefront6targetE0EEEvT1_
	.p2align	8
	.type	_ZN7rocprim17ROCPRIM_400000_NS6detail17trampoline_kernelINS0_14default_configENS1_25partition_config_selectorILNS1_17partition_subalgoE8ElNS0_10empty_typeEbEEZZNS1_14partition_implILS5_8ELb0ES3_jPlPS6_PKS6_NS0_5tupleIJS9_S6_EEENSD_IJSA_SA_EEENS0_18inequality_wrapperIZN2at6native12_GLOBAL__N_124unique_dim_cuda_templateIaEESt5tupleIJNSH_6TensorESM_SM_EERKSM_lbbbEUlllE0_EEPmJS6_EEE10hipError_tPvRmT3_T4_T5_T6_T7_T9_mT8_P12ihipStream_tbDpT10_ENKUlT_T0_E_clISt17integral_constantIbLb0EES1C_EEDaS17_S18_EUlS17_E_NS1_11comp_targetILNS1_3genE5ELNS1_11target_archE942ELNS1_3gpuE9ELNS1_3repE0EEENS1_30default_config_static_selectorELNS0_4arch9wavefront6targetE0EEEvT1_,@function
_ZN7rocprim17ROCPRIM_400000_NS6detail17trampoline_kernelINS0_14default_configENS1_25partition_config_selectorILNS1_17partition_subalgoE8ElNS0_10empty_typeEbEEZZNS1_14partition_implILS5_8ELb0ES3_jPlPS6_PKS6_NS0_5tupleIJS9_S6_EEENSD_IJSA_SA_EEENS0_18inequality_wrapperIZN2at6native12_GLOBAL__N_124unique_dim_cuda_templateIaEESt5tupleIJNSH_6TensorESM_SM_EERKSM_lbbbEUlllE0_EEPmJS6_EEE10hipError_tPvRmT3_T4_T5_T6_T7_T9_mT8_P12ihipStream_tbDpT10_ENKUlT_T0_E_clISt17integral_constantIbLb0EES1C_EEDaS17_S18_EUlS17_E_NS1_11comp_targetILNS1_3genE5ELNS1_11target_archE942ELNS1_3gpuE9ELNS1_3repE0EEENS1_30default_config_static_selectorELNS0_4arch9wavefront6targetE0EEEvT1_: ; @_ZN7rocprim17ROCPRIM_400000_NS6detail17trampoline_kernelINS0_14default_configENS1_25partition_config_selectorILNS1_17partition_subalgoE8ElNS0_10empty_typeEbEEZZNS1_14partition_implILS5_8ELb0ES3_jPlPS6_PKS6_NS0_5tupleIJS9_S6_EEENSD_IJSA_SA_EEENS0_18inequality_wrapperIZN2at6native12_GLOBAL__N_124unique_dim_cuda_templateIaEESt5tupleIJNSH_6TensorESM_SM_EERKSM_lbbbEUlllE0_EEPmJS6_EEE10hipError_tPvRmT3_T4_T5_T6_T7_T9_mT8_P12ihipStream_tbDpT10_ENKUlT_T0_E_clISt17integral_constantIbLb0EES1C_EEDaS17_S18_EUlS17_E_NS1_11comp_targetILNS1_3genE5ELNS1_11target_archE942ELNS1_3gpuE9ELNS1_3repE0EEENS1_30default_config_static_selectorELNS0_4arch9wavefront6targetE0EEEvT1_
; %bb.0:
	.section	.rodata,"a",@progbits
	.p2align	6, 0x0
	.amdhsa_kernel _ZN7rocprim17ROCPRIM_400000_NS6detail17trampoline_kernelINS0_14default_configENS1_25partition_config_selectorILNS1_17partition_subalgoE8ElNS0_10empty_typeEbEEZZNS1_14partition_implILS5_8ELb0ES3_jPlPS6_PKS6_NS0_5tupleIJS9_S6_EEENSD_IJSA_SA_EEENS0_18inequality_wrapperIZN2at6native12_GLOBAL__N_124unique_dim_cuda_templateIaEESt5tupleIJNSH_6TensorESM_SM_EERKSM_lbbbEUlllE0_EEPmJS6_EEE10hipError_tPvRmT3_T4_T5_T6_T7_T9_mT8_P12ihipStream_tbDpT10_ENKUlT_T0_E_clISt17integral_constantIbLb0EES1C_EEDaS17_S18_EUlS17_E_NS1_11comp_targetILNS1_3genE5ELNS1_11target_archE942ELNS1_3gpuE9ELNS1_3repE0EEENS1_30default_config_static_selectorELNS0_4arch9wavefront6targetE0EEEvT1_
		.amdhsa_group_segment_fixed_size 0
		.amdhsa_private_segment_fixed_size 0
		.amdhsa_kernarg_size 120
		.amdhsa_user_sgpr_count 15
		.amdhsa_user_sgpr_dispatch_ptr 0
		.amdhsa_user_sgpr_queue_ptr 0
		.amdhsa_user_sgpr_kernarg_segment_ptr 1
		.amdhsa_user_sgpr_dispatch_id 0
		.amdhsa_user_sgpr_private_segment_size 0
		.amdhsa_wavefront_size32 1
		.amdhsa_uses_dynamic_stack 0
		.amdhsa_enable_private_segment 0
		.amdhsa_system_sgpr_workgroup_id_x 1
		.amdhsa_system_sgpr_workgroup_id_y 0
		.amdhsa_system_sgpr_workgroup_id_z 0
		.amdhsa_system_sgpr_workgroup_info 0
		.amdhsa_system_vgpr_workitem_id 0
		.amdhsa_next_free_vgpr 1
		.amdhsa_next_free_sgpr 1
		.amdhsa_reserve_vcc 0
		.amdhsa_float_round_mode_32 0
		.amdhsa_float_round_mode_16_64 0
		.amdhsa_float_denorm_mode_32 3
		.amdhsa_float_denorm_mode_16_64 3
		.amdhsa_dx10_clamp 1
		.amdhsa_ieee_mode 1
		.amdhsa_fp16_overflow 0
		.amdhsa_workgroup_processor_mode 1
		.amdhsa_memory_ordered 1
		.amdhsa_forward_progress 0
		.amdhsa_shared_vgpr_count 0
		.amdhsa_exception_fp_ieee_invalid_op 0
		.amdhsa_exception_fp_denorm_src 0
		.amdhsa_exception_fp_ieee_div_zero 0
		.amdhsa_exception_fp_ieee_overflow 0
		.amdhsa_exception_fp_ieee_underflow 0
		.amdhsa_exception_fp_ieee_inexact 0
		.amdhsa_exception_int_div_zero 0
	.end_amdhsa_kernel
	.section	.text._ZN7rocprim17ROCPRIM_400000_NS6detail17trampoline_kernelINS0_14default_configENS1_25partition_config_selectorILNS1_17partition_subalgoE8ElNS0_10empty_typeEbEEZZNS1_14partition_implILS5_8ELb0ES3_jPlPS6_PKS6_NS0_5tupleIJS9_S6_EEENSD_IJSA_SA_EEENS0_18inequality_wrapperIZN2at6native12_GLOBAL__N_124unique_dim_cuda_templateIaEESt5tupleIJNSH_6TensorESM_SM_EERKSM_lbbbEUlllE0_EEPmJS6_EEE10hipError_tPvRmT3_T4_T5_T6_T7_T9_mT8_P12ihipStream_tbDpT10_ENKUlT_T0_E_clISt17integral_constantIbLb0EES1C_EEDaS17_S18_EUlS17_E_NS1_11comp_targetILNS1_3genE5ELNS1_11target_archE942ELNS1_3gpuE9ELNS1_3repE0EEENS1_30default_config_static_selectorELNS0_4arch9wavefront6targetE0EEEvT1_,"axG",@progbits,_ZN7rocprim17ROCPRIM_400000_NS6detail17trampoline_kernelINS0_14default_configENS1_25partition_config_selectorILNS1_17partition_subalgoE8ElNS0_10empty_typeEbEEZZNS1_14partition_implILS5_8ELb0ES3_jPlPS6_PKS6_NS0_5tupleIJS9_S6_EEENSD_IJSA_SA_EEENS0_18inequality_wrapperIZN2at6native12_GLOBAL__N_124unique_dim_cuda_templateIaEESt5tupleIJNSH_6TensorESM_SM_EERKSM_lbbbEUlllE0_EEPmJS6_EEE10hipError_tPvRmT3_T4_T5_T6_T7_T9_mT8_P12ihipStream_tbDpT10_ENKUlT_T0_E_clISt17integral_constantIbLb0EES1C_EEDaS17_S18_EUlS17_E_NS1_11comp_targetILNS1_3genE5ELNS1_11target_archE942ELNS1_3gpuE9ELNS1_3repE0EEENS1_30default_config_static_selectorELNS0_4arch9wavefront6targetE0EEEvT1_,comdat
.Lfunc_end320:
	.size	_ZN7rocprim17ROCPRIM_400000_NS6detail17trampoline_kernelINS0_14default_configENS1_25partition_config_selectorILNS1_17partition_subalgoE8ElNS0_10empty_typeEbEEZZNS1_14partition_implILS5_8ELb0ES3_jPlPS6_PKS6_NS0_5tupleIJS9_S6_EEENSD_IJSA_SA_EEENS0_18inequality_wrapperIZN2at6native12_GLOBAL__N_124unique_dim_cuda_templateIaEESt5tupleIJNSH_6TensorESM_SM_EERKSM_lbbbEUlllE0_EEPmJS6_EEE10hipError_tPvRmT3_T4_T5_T6_T7_T9_mT8_P12ihipStream_tbDpT10_ENKUlT_T0_E_clISt17integral_constantIbLb0EES1C_EEDaS17_S18_EUlS17_E_NS1_11comp_targetILNS1_3genE5ELNS1_11target_archE942ELNS1_3gpuE9ELNS1_3repE0EEENS1_30default_config_static_selectorELNS0_4arch9wavefront6targetE0EEEvT1_, .Lfunc_end320-_ZN7rocprim17ROCPRIM_400000_NS6detail17trampoline_kernelINS0_14default_configENS1_25partition_config_selectorILNS1_17partition_subalgoE8ElNS0_10empty_typeEbEEZZNS1_14partition_implILS5_8ELb0ES3_jPlPS6_PKS6_NS0_5tupleIJS9_S6_EEENSD_IJSA_SA_EEENS0_18inequality_wrapperIZN2at6native12_GLOBAL__N_124unique_dim_cuda_templateIaEESt5tupleIJNSH_6TensorESM_SM_EERKSM_lbbbEUlllE0_EEPmJS6_EEE10hipError_tPvRmT3_T4_T5_T6_T7_T9_mT8_P12ihipStream_tbDpT10_ENKUlT_T0_E_clISt17integral_constantIbLb0EES1C_EEDaS17_S18_EUlS17_E_NS1_11comp_targetILNS1_3genE5ELNS1_11target_archE942ELNS1_3gpuE9ELNS1_3repE0EEENS1_30default_config_static_selectorELNS0_4arch9wavefront6targetE0EEEvT1_
                                        ; -- End function
	.section	.AMDGPU.csdata,"",@progbits
; Kernel info:
; codeLenInByte = 0
; NumSgprs: 0
; NumVgprs: 0
; ScratchSize: 0
; MemoryBound: 0
; FloatMode: 240
; IeeeMode: 1
; LDSByteSize: 0 bytes/workgroup (compile time only)
; SGPRBlocks: 0
; VGPRBlocks: 0
; NumSGPRsForWavesPerEU: 1
; NumVGPRsForWavesPerEU: 1
; Occupancy: 16
; WaveLimiterHint : 0
; COMPUTE_PGM_RSRC2:SCRATCH_EN: 0
; COMPUTE_PGM_RSRC2:USER_SGPR: 15
; COMPUTE_PGM_RSRC2:TRAP_HANDLER: 0
; COMPUTE_PGM_RSRC2:TGID_X_EN: 1
; COMPUTE_PGM_RSRC2:TGID_Y_EN: 0
; COMPUTE_PGM_RSRC2:TGID_Z_EN: 0
; COMPUTE_PGM_RSRC2:TIDIG_COMP_CNT: 0
	.section	.text._ZN7rocprim17ROCPRIM_400000_NS6detail17trampoline_kernelINS0_14default_configENS1_25partition_config_selectorILNS1_17partition_subalgoE8ElNS0_10empty_typeEbEEZZNS1_14partition_implILS5_8ELb0ES3_jPlPS6_PKS6_NS0_5tupleIJS9_S6_EEENSD_IJSA_SA_EEENS0_18inequality_wrapperIZN2at6native12_GLOBAL__N_124unique_dim_cuda_templateIaEESt5tupleIJNSH_6TensorESM_SM_EERKSM_lbbbEUlllE0_EEPmJS6_EEE10hipError_tPvRmT3_T4_T5_T6_T7_T9_mT8_P12ihipStream_tbDpT10_ENKUlT_T0_E_clISt17integral_constantIbLb0EES1C_EEDaS17_S18_EUlS17_E_NS1_11comp_targetILNS1_3genE4ELNS1_11target_archE910ELNS1_3gpuE8ELNS1_3repE0EEENS1_30default_config_static_selectorELNS0_4arch9wavefront6targetE0EEEvT1_,"axG",@progbits,_ZN7rocprim17ROCPRIM_400000_NS6detail17trampoline_kernelINS0_14default_configENS1_25partition_config_selectorILNS1_17partition_subalgoE8ElNS0_10empty_typeEbEEZZNS1_14partition_implILS5_8ELb0ES3_jPlPS6_PKS6_NS0_5tupleIJS9_S6_EEENSD_IJSA_SA_EEENS0_18inequality_wrapperIZN2at6native12_GLOBAL__N_124unique_dim_cuda_templateIaEESt5tupleIJNSH_6TensorESM_SM_EERKSM_lbbbEUlllE0_EEPmJS6_EEE10hipError_tPvRmT3_T4_T5_T6_T7_T9_mT8_P12ihipStream_tbDpT10_ENKUlT_T0_E_clISt17integral_constantIbLb0EES1C_EEDaS17_S18_EUlS17_E_NS1_11comp_targetILNS1_3genE4ELNS1_11target_archE910ELNS1_3gpuE8ELNS1_3repE0EEENS1_30default_config_static_selectorELNS0_4arch9wavefront6targetE0EEEvT1_,comdat
	.globl	_ZN7rocprim17ROCPRIM_400000_NS6detail17trampoline_kernelINS0_14default_configENS1_25partition_config_selectorILNS1_17partition_subalgoE8ElNS0_10empty_typeEbEEZZNS1_14partition_implILS5_8ELb0ES3_jPlPS6_PKS6_NS0_5tupleIJS9_S6_EEENSD_IJSA_SA_EEENS0_18inequality_wrapperIZN2at6native12_GLOBAL__N_124unique_dim_cuda_templateIaEESt5tupleIJNSH_6TensorESM_SM_EERKSM_lbbbEUlllE0_EEPmJS6_EEE10hipError_tPvRmT3_T4_T5_T6_T7_T9_mT8_P12ihipStream_tbDpT10_ENKUlT_T0_E_clISt17integral_constantIbLb0EES1C_EEDaS17_S18_EUlS17_E_NS1_11comp_targetILNS1_3genE4ELNS1_11target_archE910ELNS1_3gpuE8ELNS1_3repE0EEENS1_30default_config_static_selectorELNS0_4arch9wavefront6targetE0EEEvT1_ ; -- Begin function _ZN7rocprim17ROCPRIM_400000_NS6detail17trampoline_kernelINS0_14default_configENS1_25partition_config_selectorILNS1_17partition_subalgoE8ElNS0_10empty_typeEbEEZZNS1_14partition_implILS5_8ELb0ES3_jPlPS6_PKS6_NS0_5tupleIJS9_S6_EEENSD_IJSA_SA_EEENS0_18inequality_wrapperIZN2at6native12_GLOBAL__N_124unique_dim_cuda_templateIaEESt5tupleIJNSH_6TensorESM_SM_EERKSM_lbbbEUlllE0_EEPmJS6_EEE10hipError_tPvRmT3_T4_T5_T6_T7_T9_mT8_P12ihipStream_tbDpT10_ENKUlT_T0_E_clISt17integral_constantIbLb0EES1C_EEDaS17_S18_EUlS17_E_NS1_11comp_targetILNS1_3genE4ELNS1_11target_archE910ELNS1_3gpuE8ELNS1_3repE0EEENS1_30default_config_static_selectorELNS0_4arch9wavefront6targetE0EEEvT1_
	.p2align	8
	.type	_ZN7rocprim17ROCPRIM_400000_NS6detail17trampoline_kernelINS0_14default_configENS1_25partition_config_selectorILNS1_17partition_subalgoE8ElNS0_10empty_typeEbEEZZNS1_14partition_implILS5_8ELb0ES3_jPlPS6_PKS6_NS0_5tupleIJS9_S6_EEENSD_IJSA_SA_EEENS0_18inequality_wrapperIZN2at6native12_GLOBAL__N_124unique_dim_cuda_templateIaEESt5tupleIJNSH_6TensorESM_SM_EERKSM_lbbbEUlllE0_EEPmJS6_EEE10hipError_tPvRmT3_T4_T5_T6_T7_T9_mT8_P12ihipStream_tbDpT10_ENKUlT_T0_E_clISt17integral_constantIbLb0EES1C_EEDaS17_S18_EUlS17_E_NS1_11comp_targetILNS1_3genE4ELNS1_11target_archE910ELNS1_3gpuE8ELNS1_3repE0EEENS1_30default_config_static_selectorELNS0_4arch9wavefront6targetE0EEEvT1_,@function
_ZN7rocprim17ROCPRIM_400000_NS6detail17trampoline_kernelINS0_14default_configENS1_25partition_config_selectorILNS1_17partition_subalgoE8ElNS0_10empty_typeEbEEZZNS1_14partition_implILS5_8ELb0ES3_jPlPS6_PKS6_NS0_5tupleIJS9_S6_EEENSD_IJSA_SA_EEENS0_18inequality_wrapperIZN2at6native12_GLOBAL__N_124unique_dim_cuda_templateIaEESt5tupleIJNSH_6TensorESM_SM_EERKSM_lbbbEUlllE0_EEPmJS6_EEE10hipError_tPvRmT3_T4_T5_T6_T7_T9_mT8_P12ihipStream_tbDpT10_ENKUlT_T0_E_clISt17integral_constantIbLb0EES1C_EEDaS17_S18_EUlS17_E_NS1_11comp_targetILNS1_3genE4ELNS1_11target_archE910ELNS1_3gpuE8ELNS1_3repE0EEENS1_30default_config_static_selectorELNS0_4arch9wavefront6targetE0EEEvT1_: ; @_ZN7rocprim17ROCPRIM_400000_NS6detail17trampoline_kernelINS0_14default_configENS1_25partition_config_selectorILNS1_17partition_subalgoE8ElNS0_10empty_typeEbEEZZNS1_14partition_implILS5_8ELb0ES3_jPlPS6_PKS6_NS0_5tupleIJS9_S6_EEENSD_IJSA_SA_EEENS0_18inequality_wrapperIZN2at6native12_GLOBAL__N_124unique_dim_cuda_templateIaEESt5tupleIJNSH_6TensorESM_SM_EERKSM_lbbbEUlllE0_EEPmJS6_EEE10hipError_tPvRmT3_T4_T5_T6_T7_T9_mT8_P12ihipStream_tbDpT10_ENKUlT_T0_E_clISt17integral_constantIbLb0EES1C_EEDaS17_S18_EUlS17_E_NS1_11comp_targetILNS1_3genE4ELNS1_11target_archE910ELNS1_3gpuE8ELNS1_3repE0EEENS1_30default_config_static_selectorELNS0_4arch9wavefront6targetE0EEEvT1_
; %bb.0:
	.section	.rodata,"a",@progbits
	.p2align	6, 0x0
	.amdhsa_kernel _ZN7rocprim17ROCPRIM_400000_NS6detail17trampoline_kernelINS0_14default_configENS1_25partition_config_selectorILNS1_17partition_subalgoE8ElNS0_10empty_typeEbEEZZNS1_14partition_implILS5_8ELb0ES3_jPlPS6_PKS6_NS0_5tupleIJS9_S6_EEENSD_IJSA_SA_EEENS0_18inequality_wrapperIZN2at6native12_GLOBAL__N_124unique_dim_cuda_templateIaEESt5tupleIJNSH_6TensorESM_SM_EERKSM_lbbbEUlllE0_EEPmJS6_EEE10hipError_tPvRmT3_T4_T5_T6_T7_T9_mT8_P12ihipStream_tbDpT10_ENKUlT_T0_E_clISt17integral_constantIbLb0EES1C_EEDaS17_S18_EUlS17_E_NS1_11comp_targetILNS1_3genE4ELNS1_11target_archE910ELNS1_3gpuE8ELNS1_3repE0EEENS1_30default_config_static_selectorELNS0_4arch9wavefront6targetE0EEEvT1_
		.amdhsa_group_segment_fixed_size 0
		.amdhsa_private_segment_fixed_size 0
		.amdhsa_kernarg_size 120
		.amdhsa_user_sgpr_count 15
		.amdhsa_user_sgpr_dispatch_ptr 0
		.amdhsa_user_sgpr_queue_ptr 0
		.amdhsa_user_sgpr_kernarg_segment_ptr 1
		.amdhsa_user_sgpr_dispatch_id 0
		.amdhsa_user_sgpr_private_segment_size 0
		.amdhsa_wavefront_size32 1
		.amdhsa_uses_dynamic_stack 0
		.amdhsa_enable_private_segment 0
		.amdhsa_system_sgpr_workgroup_id_x 1
		.amdhsa_system_sgpr_workgroup_id_y 0
		.amdhsa_system_sgpr_workgroup_id_z 0
		.amdhsa_system_sgpr_workgroup_info 0
		.amdhsa_system_vgpr_workitem_id 0
		.amdhsa_next_free_vgpr 1
		.amdhsa_next_free_sgpr 1
		.amdhsa_reserve_vcc 0
		.amdhsa_float_round_mode_32 0
		.amdhsa_float_round_mode_16_64 0
		.amdhsa_float_denorm_mode_32 3
		.amdhsa_float_denorm_mode_16_64 3
		.amdhsa_dx10_clamp 1
		.amdhsa_ieee_mode 1
		.amdhsa_fp16_overflow 0
		.amdhsa_workgroup_processor_mode 1
		.amdhsa_memory_ordered 1
		.amdhsa_forward_progress 0
		.amdhsa_shared_vgpr_count 0
		.amdhsa_exception_fp_ieee_invalid_op 0
		.amdhsa_exception_fp_denorm_src 0
		.amdhsa_exception_fp_ieee_div_zero 0
		.amdhsa_exception_fp_ieee_overflow 0
		.amdhsa_exception_fp_ieee_underflow 0
		.amdhsa_exception_fp_ieee_inexact 0
		.amdhsa_exception_int_div_zero 0
	.end_amdhsa_kernel
	.section	.text._ZN7rocprim17ROCPRIM_400000_NS6detail17trampoline_kernelINS0_14default_configENS1_25partition_config_selectorILNS1_17partition_subalgoE8ElNS0_10empty_typeEbEEZZNS1_14partition_implILS5_8ELb0ES3_jPlPS6_PKS6_NS0_5tupleIJS9_S6_EEENSD_IJSA_SA_EEENS0_18inequality_wrapperIZN2at6native12_GLOBAL__N_124unique_dim_cuda_templateIaEESt5tupleIJNSH_6TensorESM_SM_EERKSM_lbbbEUlllE0_EEPmJS6_EEE10hipError_tPvRmT3_T4_T5_T6_T7_T9_mT8_P12ihipStream_tbDpT10_ENKUlT_T0_E_clISt17integral_constantIbLb0EES1C_EEDaS17_S18_EUlS17_E_NS1_11comp_targetILNS1_3genE4ELNS1_11target_archE910ELNS1_3gpuE8ELNS1_3repE0EEENS1_30default_config_static_selectorELNS0_4arch9wavefront6targetE0EEEvT1_,"axG",@progbits,_ZN7rocprim17ROCPRIM_400000_NS6detail17trampoline_kernelINS0_14default_configENS1_25partition_config_selectorILNS1_17partition_subalgoE8ElNS0_10empty_typeEbEEZZNS1_14partition_implILS5_8ELb0ES3_jPlPS6_PKS6_NS0_5tupleIJS9_S6_EEENSD_IJSA_SA_EEENS0_18inequality_wrapperIZN2at6native12_GLOBAL__N_124unique_dim_cuda_templateIaEESt5tupleIJNSH_6TensorESM_SM_EERKSM_lbbbEUlllE0_EEPmJS6_EEE10hipError_tPvRmT3_T4_T5_T6_T7_T9_mT8_P12ihipStream_tbDpT10_ENKUlT_T0_E_clISt17integral_constantIbLb0EES1C_EEDaS17_S18_EUlS17_E_NS1_11comp_targetILNS1_3genE4ELNS1_11target_archE910ELNS1_3gpuE8ELNS1_3repE0EEENS1_30default_config_static_selectorELNS0_4arch9wavefront6targetE0EEEvT1_,comdat
.Lfunc_end321:
	.size	_ZN7rocprim17ROCPRIM_400000_NS6detail17trampoline_kernelINS0_14default_configENS1_25partition_config_selectorILNS1_17partition_subalgoE8ElNS0_10empty_typeEbEEZZNS1_14partition_implILS5_8ELb0ES3_jPlPS6_PKS6_NS0_5tupleIJS9_S6_EEENSD_IJSA_SA_EEENS0_18inequality_wrapperIZN2at6native12_GLOBAL__N_124unique_dim_cuda_templateIaEESt5tupleIJNSH_6TensorESM_SM_EERKSM_lbbbEUlllE0_EEPmJS6_EEE10hipError_tPvRmT3_T4_T5_T6_T7_T9_mT8_P12ihipStream_tbDpT10_ENKUlT_T0_E_clISt17integral_constantIbLb0EES1C_EEDaS17_S18_EUlS17_E_NS1_11comp_targetILNS1_3genE4ELNS1_11target_archE910ELNS1_3gpuE8ELNS1_3repE0EEENS1_30default_config_static_selectorELNS0_4arch9wavefront6targetE0EEEvT1_, .Lfunc_end321-_ZN7rocprim17ROCPRIM_400000_NS6detail17trampoline_kernelINS0_14default_configENS1_25partition_config_selectorILNS1_17partition_subalgoE8ElNS0_10empty_typeEbEEZZNS1_14partition_implILS5_8ELb0ES3_jPlPS6_PKS6_NS0_5tupleIJS9_S6_EEENSD_IJSA_SA_EEENS0_18inequality_wrapperIZN2at6native12_GLOBAL__N_124unique_dim_cuda_templateIaEESt5tupleIJNSH_6TensorESM_SM_EERKSM_lbbbEUlllE0_EEPmJS6_EEE10hipError_tPvRmT3_T4_T5_T6_T7_T9_mT8_P12ihipStream_tbDpT10_ENKUlT_T0_E_clISt17integral_constantIbLb0EES1C_EEDaS17_S18_EUlS17_E_NS1_11comp_targetILNS1_3genE4ELNS1_11target_archE910ELNS1_3gpuE8ELNS1_3repE0EEENS1_30default_config_static_selectorELNS0_4arch9wavefront6targetE0EEEvT1_
                                        ; -- End function
	.section	.AMDGPU.csdata,"",@progbits
; Kernel info:
; codeLenInByte = 0
; NumSgprs: 0
; NumVgprs: 0
; ScratchSize: 0
; MemoryBound: 0
; FloatMode: 240
; IeeeMode: 1
; LDSByteSize: 0 bytes/workgroup (compile time only)
; SGPRBlocks: 0
; VGPRBlocks: 0
; NumSGPRsForWavesPerEU: 1
; NumVGPRsForWavesPerEU: 1
; Occupancy: 16
; WaveLimiterHint : 0
; COMPUTE_PGM_RSRC2:SCRATCH_EN: 0
; COMPUTE_PGM_RSRC2:USER_SGPR: 15
; COMPUTE_PGM_RSRC2:TRAP_HANDLER: 0
; COMPUTE_PGM_RSRC2:TGID_X_EN: 1
; COMPUTE_PGM_RSRC2:TGID_Y_EN: 0
; COMPUTE_PGM_RSRC2:TGID_Z_EN: 0
; COMPUTE_PGM_RSRC2:TIDIG_COMP_CNT: 0
	.section	.text._ZN7rocprim17ROCPRIM_400000_NS6detail17trampoline_kernelINS0_14default_configENS1_25partition_config_selectorILNS1_17partition_subalgoE8ElNS0_10empty_typeEbEEZZNS1_14partition_implILS5_8ELb0ES3_jPlPS6_PKS6_NS0_5tupleIJS9_S6_EEENSD_IJSA_SA_EEENS0_18inequality_wrapperIZN2at6native12_GLOBAL__N_124unique_dim_cuda_templateIaEESt5tupleIJNSH_6TensorESM_SM_EERKSM_lbbbEUlllE0_EEPmJS6_EEE10hipError_tPvRmT3_T4_T5_T6_T7_T9_mT8_P12ihipStream_tbDpT10_ENKUlT_T0_E_clISt17integral_constantIbLb0EES1C_EEDaS17_S18_EUlS17_E_NS1_11comp_targetILNS1_3genE3ELNS1_11target_archE908ELNS1_3gpuE7ELNS1_3repE0EEENS1_30default_config_static_selectorELNS0_4arch9wavefront6targetE0EEEvT1_,"axG",@progbits,_ZN7rocprim17ROCPRIM_400000_NS6detail17trampoline_kernelINS0_14default_configENS1_25partition_config_selectorILNS1_17partition_subalgoE8ElNS0_10empty_typeEbEEZZNS1_14partition_implILS5_8ELb0ES3_jPlPS6_PKS6_NS0_5tupleIJS9_S6_EEENSD_IJSA_SA_EEENS0_18inequality_wrapperIZN2at6native12_GLOBAL__N_124unique_dim_cuda_templateIaEESt5tupleIJNSH_6TensorESM_SM_EERKSM_lbbbEUlllE0_EEPmJS6_EEE10hipError_tPvRmT3_T4_T5_T6_T7_T9_mT8_P12ihipStream_tbDpT10_ENKUlT_T0_E_clISt17integral_constantIbLb0EES1C_EEDaS17_S18_EUlS17_E_NS1_11comp_targetILNS1_3genE3ELNS1_11target_archE908ELNS1_3gpuE7ELNS1_3repE0EEENS1_30default_config_static_selectorELNS0_4arch9wavefront6targetE0EEEvT1_,comdat
	.globl	_ZN7rocprim17ROCPRIM_400000_NS6detail17trampoline_kernelINS0_14default_configENS1_25partition_config_selectorILNS1_17partition_subalgoE8ElNS0_10empty_typeEbEEZZNS1_14partition_implILS5_8ELb0ES3_jPlPS6_PKS6_NS0_5tupleIJS9_S6_EEENSD_IJSA_SA_EEENS0_18inequality_wrapperIZN2at6native12_GLOBAL__N_124unique_dim_cuda_templateIaEESt5tupleIJNSH_6TensorESM_SM_EERKSM_lbbbEUlllE0_EEPmJS6_EEE10hipError_tPvRmT3_T4_T5_T6_T7_T9_mT8_P12ihipStream_tbDpT10_ENKUlT_T0_E_clISt17integral_constantIbLb0EES1C_EEDaS17_S18_EUlS17_E_NS1_11comp_targetILNS1_3genE3ELNS1_11target_archE908ELNS1_3gpuE7ELNS1_3repE0EEENS1_30default_config_static_selectorELNS0_4arch9wavefront6targetE0EEEvT1_ ; -- Begin function _ZN7rocprim17ROCPRIM_400000_NS6detail17trampoline_kernelINS0_14default_configENS1_25partition_config_selectorILNS1_17partition_subalgoE8ElNS0_10empty_typeEbEEZZNS1_14partition_implILS5_8ELb0ES3_jPlPS6_PKS6_NS0_5tupleIJS9_S6_EEENSD_IJSA_SA_EEENS0_18inequality_wrapperIZN2at6native12_GLOBAL__N_124unique_dim_cuda_templateIaEESt5tupleIJNSH_6TensorESM_SM_EERKSM_lbbbEUlllE0_EEPmJS6_EEE10hipError_tPvRmT3_T4_T5_T6_T7_T9_mT8_P12ihipStream_tbDpT10_ENKUlT_T0_E_clISt17integral_constantIbLb0EES1C_EEDaS17_S18_EUlS17_E_NS1_11comp_targetILNS1_3genE3ELNS1_11target_archE908ELNS1_3gpuE7ELNS1_3repE0EEENS1_30default_config_static_selectorELNS0_4arch9wavefront6targetE0EEEvT1_
	.p2align	8
	.type	_ZN7rocprim17ROCPRIM_400000_NS6detail17trampoline_kernelINS0_14default_configENS1_25partition_config_selectorILNS1_17partition_subalgoE8ElNS0_10empty_typeEbEEZZNS1_14partition_implILS5_8ELb0ES3_jPlPS6_PKS6_NS0_5tupleIJS9_S6_EEENSD_IJSA_SA_EEENS0_18inequality_wrapperIZN2at6native12_GLOBAL__N_124unique_dim_cuda_templateIaEESt5tupleIJNSH_6TensorESM_SM_EERKSM_lbbbEUlllE0_EEPmJS6_EEE10hipError_tPvRmT3_T4_T5_T6_T7_T9_mT8_P12ihipStream_tbDpT10_ENKUlT_T0_E_clISt17integral_constantIbLb0EES1C_EEDaS17_S18_EUlS17_E_NS1_11comp_targetILNS1_3genE3ELNS1_11target_archE908ELNS1_3gpuE7ELNS1_3repE0EEENS1_30default_config_static_selectorELNS0_4arch9wavefront6targetE0EEEvT1_,@function
_ZN7rocprim17ROCPRIM_400000_NS6detail17trampoline_kernelINS0_14default_configENS1_25partition_config_selectorILNS1_17partition_subalgoE8ElNS0_10empty_typeEbEEZZNS1_14partition_implILS5_8ELb0ES3_jPlPS6_PKS6_NS0_5tupleIJS9_S6_EEENSD_IJSA_SA_EEENS0_18inequality_wrapperIZN2at6native12_GLOBAL__N_124unique_dim_cuda_templateIaEESt5tupleIJNSH_6TensorESM_SM_EERKSM_lbbbEUlllE0_EEPmJS6_EEE10hipError_tPvRmT3_T4_T5_T6_T7_T9_mT8_P12ihipStream_tbDpT10_ENKUlT_T0_E_clISt17integral_constantIbLb0EES1C_EEDaS17_S18_EUlS17_E_NS1_11comp_targetILNS1_3genE3ELNS1_11target_archE908ELNS1_3gpuE7ELNS1_3repE0EEENS1_30default_config_static_selectorELNS0_4arch9wavefront6targetE0EEEvT1_: ; @_ZN7rocprim17ROCPRIM_400000_NS6detail17trampoline_kernelINS0_14default_configENS1_25partition_config_selectorILNS1_17partition_subalgoE8ElNS0_10empty_typeEbEEZZNS1_14partition_implILS5_8ELb0ES3_jPlPS6_PKS6_NS0_5tupleIJS9_S6_EEENSD_IJSA_SA_EEENS0_18inequality_wrapperIZN2at6native12_GLOBAL__N_124unique_dim_cuda_templateIaEESt5tupleIJNSH_6TensorESM_SM_EERKSM_lbbbEUlllE0_EEPmJS6_EEE10hipError_tPvRmT3_T4_T5_T6_T7_T9_mT8_P12ihipStream_tbDpT10_ENKUlT_T0_E_clISt17integral_constantIbLb0EES1C_EEDaS17_S18_EUlS17_E_NS1_11comp_targetILNS1_3genE3ELNS1_11target_archE908ELNS1_3gpuE7ELNS1_3repE0EEENS1_30default_config_static_selectorELNS0_4arch9wavefront6targetE0EEEvT1_
; %bb.0:
	.section	.rodata,"a",@progbits
	.p2align	6, 0x0
	.amdhsa_kernel _ZN7rocprim17ROCPRIM_400000_NS6detail17trampoline_kernelINS0_14default_configENS1_25partition_config_selectorILNS1_17partition_subalgoE8ElNS0_10empty_typeEbEEZZNS1_14partition_implILS5_8ELb0ES3_jPlPS6_PKS6_NS0_5tupleIJS9_S6_EEENSD_IJSA_SA_EEENS0_18inequality_wrapperIZN2at6native12_GLOBAL__N_124unique_dim_cuda_templateIaEESt5tupleIJNSH_6TensorESM_SM_EERKSM_lbbbEUlllE0_EEPmJS6_EEE10hipError_tPvRmT3_T4_T5_T6_T7_T9_mT8_P12ihipStream_tbDpT10_ENKUlT_T0_E_clISt17integral_constantIbLb0EES1C_EEDaS17_S18_EUlS17_E_NS1_11comp_targetILNS1_3genE3ELNS1_11target_archE908ELNS1_3gpuE7ELNS1_3repE0EEENS1_30default_config_static_selectorELNS0_4arch9wavefront6targetE0EEEvT1_
		.amdhsa_group_segment_fixed_size 0
		.amdhsa_private_segment_fixed_size 0
		.amdhsa_kernarg_size 120
		.amdhsa_user_sgpr_count 15
		.amdhsa_user_sgpr_dispatch_ptr 0
		.amdhsa_user_sgpr_queue_ptr 0
		.amdhsa_user_sgpr_kernarg_segment_ptr 1
		.amdhsa_user_sgpr_dispatch_id 0
		.amdhsa_user_sgpr_private_segment_size 0
		.amdhsa_wavefront_size32 1
		.amdhsa_uses_dynamic_stack 0
		.amdhsa_enable_private_segment 0
		.amdhsa_system_sgpr_workgroup_id_x 1
		.amdhsa_system_sgpr_workgroup_id_y 0
		.amdhsa_system_sgpr_workgroup_id_z 0
		.amdhsa_system_sgpr_workgroup_info 0
		.amdhsa_system_vgpr_workitem_id 0
		.amdhsa_next_free_vgpr 1
		.amdhsa_next_free_sgpr 1
		.amdhsa_reserve_vcc 0
		.amdhsa_float_round_mode_32 0
		.amdhsa_float_round_mode_16_64 0
		.amdhsa_float_denorm_mode_32 3
		.amdhsa_float_denorm_mode_16_64 3
		.amdhsa_dx10_clamp 1
		.amdhsa_ieee_mode 1
		.amdhsa_fp16_overflow 0
		.amdhsa_workgroup_processor_mode 1
		.amdhsa_memory_ordered 1
		.amdhsa_forward_progress 0
		.amdhsa_shared_vgpr_count 0
		.amdhsa_exception_fp_ieee_invalid_op 0
		.amdhsa_exception_fp_denorm_src 0
		.amdhsa_exception_fp_ieee_div_zero 0
		.amdhsa_exception_fp_ieee_overflow 0
		.amdhsa_exception_fp_ieee_underflow 0
		.amdhsa_exception_fp_ieee_inexact 0
		.amdhsa_exception_int_div_zero 0
	.end_amdhsa_kernel
	.section	.text._ZN7rocprim17ROCPRIM_400000_NS6detail17trampoline_kernelINS0_14default_configENS1_25partition_config_selectorILNS1_17partition_subalgoE8ElNS0_10empty_typeEbEEZZNS1_14partition_implILS5_8ELb0ES3_jPlPS6_PKS6_NS0_5tupleIJS9_S6_EEENSD_IJSA_SA_EEENS0_18inequality_wrapperIZN2at6native12_GLOBAL__N_124unique_dim_cuda_templateIaEESt5tupleIJNSH_6TensorESM_SM_EERKSM_lbbbEUlllE0_EEPmJS6_EEE10hipError_tPvRmT3_T4_T5_T6_T7_T9_mT8_P12ihipStream_tbDpT10_ENKUlT_T0_E_clISt17integral_constantIbLb0EES1C_EEDaS17_S18_EUlS17_E_NS1_11comp_targetILNS1_3genE3ELNS1_11target_archE908ELNS1_3gpuE7ELNS1_3repE0EEENS1_30default_config_static_selectorELNS0_4arch9wavefront6targetE0EEEvT1_,"axG",@progbits,_ZN7rocprim17ROCPRIM_400000_NS6detail17trampoline_kernelINS0_14default_configENS1_25partition_config_selectorILNS1_17partition_subalgoE8ElNS0_10empty_typeEbEEZZNS1_14partition_implILS5_8ELb0ES3_jPlPS6_PKS6_NS0_5tupleIJS9_S6_EEENSD_IJSA_SA_EEENS0_18inequality_wrapperIZN2at6native12_GLOBAL__N_124unique_dim_cuda_templateIaEESt5tupleIJNSH_6TensorESM_SM_EERKSM_lbbbEUlllE0_EEPmJS6_EEE10hipError_tPvRmT3_T4_T5_T6_T7_T9_mT8_P12ihipStream_tbDpT10_ENKUlT_T0_E_clISt17integral_constantIbLb0EES1C_EEDaS17_S18_EUlS17_E_NS1_11comp_targetILNS1_3genE3ELNS1_11target_archE908ELNS1_3gpuE7ELNS1_3repE0EEENS1_30default_config_static_selectorELNS0_4arch9wavefront6targetE0EEEvT1_,comdat
.Lfunc_end322:
	.size	_ZN7rocprim17ROCPRIM_400000_NS6detail17trampoline_kernelINS0_14default_configENS1_25partition_config_selectorILNS1_17partition_subalgoE8ElNS0_10empty_typeEbEEZZNS1_14partition_implILS5_8ELb0ES3_jPlPS6_PKS6_NS0_5tupleIJS9_S6_EEENSD_IJSA_SA_EEENS0_18inequality_wrapperIZN2at6native12_GLOBAL__N_124unique_dim_cuda_templateIaEESt5tupleIJNSH_6TensorESM_SM_EERKSM_lbbbEUlllE0_EEPmJS6_EEE10hipError_tPvRmT3_T4_T5_T6_T7_T9_mT8_P12ihipStream_tbDpT10_ENKUlT_T0_E_clISt17integral_constantIbLb0EES1C_EEDaS17_S18_EUlS17_E_NS1_11comp_targetILNS1_3genE3ELNS1_11target_archE908ELNS1_3gpuE7ELNS1_3repE0EEENS1_30default_config_static_selectorELNS0_4arch9wavefront6targetE0EEEvT1_, .Lfunc_end322-_ZN7rocprim17ROCPRIM_400000_NS6detail17trampoline_kernelINS0_14default_configENS1_25partition_config_selectorILNS1_17partition_subalgoE8ElNS0_10empty_typeEbEEZZNS1_14partition_implILS5_8ELb0ES3_jPlPS6_PKS6_NS0_5tupleIJS9_S6_EEENSD_IJSA_SA_EEENS0_18inequality_wrapperIZN2at6native12_GLOBAL__N_124unique_dim_cuda_templateIaEESt5tupleIJNSH_6TensorESM_SM_EERKSM_lbbbEUlllE0_EEPmJS6_EEE10hipError_tPvRmT3_T4_T5_T6_T7_T9_mT8_P12ihipStream_tbDpT10_ENKUlT_T0_E_clISt17integral_constantIbLb0EES1C_EEDaS17_S18_EUlS17_E_NS1_11comp_targetILNS1_3genE3ELNS1_11target_archE908ELNS1_3gpuE7ELNS1_3repE0EEENS1_30default_config_static_selectorELNS0_4arch9wavefront6targetE0EEEvT1_
                                        ; -- End function
	.section	.AMDGPU.csdata,"",@progbits
; Kernel info:
; codeLenInByte = 0
; NumSgprs: 0
; NumVgprs: 0
; ScratchSize: 0
; MemoryBound: 0
; FloatMode: 240
; IeeeMode: 1
; LDSByteSize: 0 bytes/workgroup (compile time only)
; SGPRBlocks: 0
; VGPRBlocks: 0
; NumSGPRsForWavesPerEU: 1
; NumVGPRsForWavesPerEU: 1
; Occupancy: 16
; WaveLimiterHint : 0
; COMPUTE_PGM_RSRC2:SCRATCH_EN: 0
; COMPUTE_PGM_RSRC2:USER_SGPR: 15
; COMPUTE_PGM_RSRC2:TRAP_HANDLER: 0
; COMPUTE_PGM_RSRC2:TGID_X_EN: 1
; COMPUTE_PGM_RSRC2:TGID_Y_EN: 0
; COMPUTE_PGM_RSRC2:TGID_Z_EN: 0
; COMPUTE_PGM_RSRC2:TIDIG_COMP_CNT: 0
	.section	.text._ZN7rocprim17ROCPRIM_400000_NS6detail17trampoline_kernelINS0_14default_configENS1_25partition_config_selectorILNS1_17partition_subalgoE8ElNS0_10empty_typeEbEEZZNS1_14partition_implILS5_8ELb0ES3_jPlPS6_PKS6_NS0_5tupleIJS9_S6_EEENSD_IJSA_SA_EEENS0_18inequality_wrapperIZN2at6native12_GLOBAL__N_124unique_dim_cuda_templateIaEESt5tupleIJNSH_6TensorESM_SM_EERKSM_lbbbEUlllE0_EEPmJS6_EEE10hipError_tPvRmT3_T4_T5_T6_T7_T9_mT8_P12ihipStream_tbDpT10_ENKUlT_T0_E_clISt17integral_constantIbLb0EES1C_EEDaS17_S18_EUlS17_E_NS1_11comp_targetILNS1_3genE2ELNS1_11target_archE906ELNS1_3gpuE6ELNS1_3repE0EEENS1_30default_config_static_selectorELNS0_4arch9wavefront6targetE0EEEvT1_,"axG",@progbits,_ZN7rocprim17ROCPRIM_400000_NS6detail17trampoline_kernelINS0_14default_configENS1_25partition_config_selectorILNS1_17partition_subalgoE8ElNS0_10empty_typeEbEEZZNS1_14partition_implILS5_8ELb0ES3_jPlPS6_PKS6_NS0_5tupleIJS9_S6_EEENSD_IJSA_SA_EEENS0_18inequality_wrapperIZN2at6native12_GLOBAL__N_124unique_dim_cuda_templateIaEESt5tupleIJNSH_6TensorESM_SM_EERKSM_lbbbEUlllE0_EEPmJS6_EEE10hipError_tPvRmT3_T4_T5_T6_T7_T9_mT8_P12ihipStream_tbDpT10_ENKUlT_T0_E_clISt17integral_constantIbLb0EES1C_EEDaS17_S18_EUlS17_E_NS1_11comp_targetILNS1_3genE2ELNS1_11target_archE906ELNS1_3gpuE6ELNS1_3repE0EEENS1_30default_config_static_selectorELNS0_4arch9wavefront6targetE0EEEvT1_,comdat
	.globl	_ZN7rocprim17ROCPRIM_400000_NS6detail17trampoline_kernelINS0_14default_configENS1_25partition_config_selectorILNS1_17partition_subalgoE8ElNS0_10empty_typeEbEEZZNS1_14partition_implILS5_8ELb0ES3_jPlPS6_PKS6_NS0_5tupleIJS9_S6_EEENSD_IJSA_SA_EEENS0_18inequality_wrapperIZN2at6native12_GLOBAL__N_124unique_dim_cuda_templateIaEESt5tupleIJNSH_6TensorESM_SM_EERKSM_lbbbEUlllE0_EEPmJS6_EEE10hipError_tPvRmT3_T4_T5_T6_T7_T9_mT8_P12ihipStream_tbDpT10_ENKUlT_T0_E_clISt17integral_constantIbLb0EES1C_EEDaS17_S18_EUlS17_E_NS1_11comp_targetILNS1_3genE2ELNS1_11target_archE906ELNS1_3gpuE6ELNS1_3repE0EEENS1_30default_config_static_selectorELNS0_4arch9wavefront6targetE0EEEvT1_ ; -- Begin function _ZN7rocprim17ROCPRIM_400000_NS6detail17trampoline_kernelINS0_14default_configENS1_25partition_config_selectorILNS1_17partition_subalgoE8ElNS0_10empty_typeEbEEZZNS1_14partition_implILS5_8ELb0ES3_jPlPS6_PKS6_NS0_5tupleIJS9_S6_EEENSD_IJSA_SA_EEENS0_18inequality_wrapperIZN2at6native12_GLOBAL__N_124unique_dim_cuda_templateIaEESt5tupleIJNSH_6TensorESM_SM_EERKSM_lbbbEUlllE0_EEPmJS6_EEE10hipError_tPvRmT3_T4_T5_T6_T7_T9_mT8_P12ihipStream_tbDpT10_ENKUlT_T0_E_clISt17integral_constantIbLb0EES1C_EEDaS17_S18_EUlS17_E_NS1_11comp_targetILNS1_3genE2ELNS1_11target_archE906ELNS1_3gpuE6ELNS1_3repE0EEENS1_30default_config_static_selectorELNS0_4arch9wavefront6targetE0EEEvT1_
	.p2align	8
	.type	_ZN7rocprim17ROCPRIM_400000_NS6detail17trampoline_kernelINS0_14default_configENS1_25partition_config_selectorILNS1_17partition_subalgoE8ElNS0_10empty_typeEbEEZZNS1_14partition_implILS5_8ELb0ES3_jPlPS6_PKS6_NS0_5tupleIJS9_S6_EEENSD_IJSA_SA_EEENS0_18inequality_wrapperIZN2at6native12_GLOBAL__N_124unique_dim_cuda_templateIaEESt5tupleIJNSH_6TensorESM_SM_EERKSM_lbbbEUlllE0_EEPmJS6_EEE10hipError_tPvRmT3_T4_T5_T6_T7_T9_mT8_P12ihipStream_tbDpT10_ENKUlT_T0_E_clISt17integral_constantIbLb0EES1C_EEDaS17_S18_EUlS17_E_NS1_11comp_targetILNS1_3genE2ELNS1_11target_archE906ELNS1_3gpuE6ELNS1_3repE0EEENS1_30default_config_static_selectorELNS0_4arch9wavefront6targetE0EEEvT1_,@function
_ZN7rocprim17ROCPRIM_400000_NS6detail17trampoline_kernelINS0_14default_configENS1_25partition_config_selectorILNS1_17partition_subalgoE8ElNS0_10empty_typeEbEEZZNS1_14partition_implILS5_8ELb0ES3_jPlPS6_PKS6_NS0_5tupleIJS9_S6_EEENSD_IJSA_SA_EEENS0_18inequality_wrapperIZN2at6native12_GLOBAL__N_124unique_dim_cuda_templateIaEESt5tupleIJNSH_6TensorESM_SM_EERKSM_lbbbEUlllE0_EEPmJS6_EEE10hipError_tPvRmT3_T4_T5_T6_T7_T9_mT8_P12ihipStream_tbDpT10_ENKUlT_T0_E_clISt17integral_constantIbLb0EES1C_EEDaS17_S18_EUlS17_E_NS1_11comp_targetILNS1_3genE2ELNS1_11target_archE906ELNS1_3gpuE6ELNS1_3repE0EEENS1_30default_config_static_selectorELNS0_4arch9wavefront6targetE0EEEvT1_: ; @_ZN7rocprim17ROCPRIM_400000_NS6detail17trampoline_kernelINS0_14default_configENS1_25partition_config_selectorILNS1_17partition_subalgoE8ElNS0_10empty_typeEbEEZZNS1_14partition_implILS5_8ELb0ES3_jPlPS6_PKS6_NS0_5tupleIJS9_S6_EEENSD_IJSA_SA_EEENS0_18inequality_wrapperIZN2at6native12_GLOBAL__N_124unique_dim_cuda_templateIaEESt5tupleIJNSH_6TensorESM_SM_EERKSM_lbbbEUlllE0_EEPmJS6_EEE10hipError_tPvRmT3_T4_T5_T6_T7_T9_mT8_P12ihipStream_tbDpT10_ENKUlT_T0_E_clISt17integral_constantIbLb0EES1C_EEDaS17_S18_EUlS17_E_NS1_11comp_targetILNS1_3genE2ELNS1_11target_archE906ELNS1_3gpuE6ELNS1_3repE0EEENS1_30default_config_static_selectorELNS0_4arch9wavefront6targetE0EEEvT1_
; %bb.0:
	.section	.rodata,"a",@progbits
	.p2align	6, 0x0
	.amdhsa_kernel _ZN7rocprim17ROCPRIM_400000_NS6detail17trampoline_kernelINS0_14default_configENS1_25partition_config_selectorILNS1_17partition_subalgoE8ElNS0_10empty_typeEbEEZZNS1_14partition_implILS5_8ELb0ES3_jPlPS6_PKS6_NS0_5tupleIJS9_S6_EEENSD_IJSA_SA_EEENS0_18inequality_wrapperIZN2at6native12_GLOBAL__N_124unique_dim_cuda_templateIaEESt5tupleIJNSH_6TensorESM_SM_EERKSM_lbbbEUlllE0_EEPmJS6_EEE10hipError_tPvRmT3_T4_T5_T6_T7_T9_mT8_P12ihipStream_tbDpT10_ENKUlT_T0_E_clISt17integral_constantIbLb0EES1C_EEDaS17_S18_EUlS17_E_NS1_11comp_targetILNS1_3genE2ELNS1_11target_archE906ELNS1_3gpuE6ELNS1_3repE0EEENS1_30default_config_static_selectorELNS0_4arch9wavefront6targetE0EEEvT1_
		.amdhsa_group_segment_fixed_size 0
		.amdhsa_private_segment_fixed_size 0
		.amdhsa_kernarg_size 120
		.amdhsa_user_sgpr_count 15
		.amdhsa_user_sgpr_dispatch_ptr 0
		.amdhsa_user_sgpr_queue_ptr 0
		.amdhsa_user_sgpr_kernarg_segment_ptr 1
		.amdhsa_user_sgpr_dispatch_id 0
		.amdhsa_user_sgpr_private_segment_size 0
		.amdhsa_wavefront_size32 1
		.amdhsa_uses_dynamic_stack 0
		.amdhsa_enable_private_segment 0
		.amdhsa_system_sgpr_workgroup_id_x 1
		.amdhsa_system_sgpr_workgroup_id_y 0
		.amdhsa_system_sgpr_workgroup_id_z 0
		.amdhsa_system_sgpr_workgroup_info 0
		.amdhsa_system_vgpr_workitem_id 0
		.amdhsa_next_free_vgpr 1
		.amdhsa_next_free_sgpr 1
		.amdhsa_reserve_vcc 0
		.amdhsa_float_round_mode_32 0
		.amdhsa_float_round_mode_16_64 0
		.amdhsa_float_denorm_mode_32 3
		.amdhsa_float_denorm_mode_16_64 3
		.amdhsa_dx10_clamp 1
		.amdhsa_ieee_mode 1
		.amdhsa_fp16_overflow 0
		.amdhsa_workgroup_processor_mode 1
		.amdhsa_memory_ordered 1
		.amdhsa_forward_progress 0
		.amdhsa_shared_vgpr_count 0
		.amdhsa_exception_fp_ieee_invalid_op 0
		.amdhsa_exception_fp_denorm_src 0
		.amdhsa_exception_fp_ieee_div_zero 0
		.amdhsa_exception_fp_ieee_overflow 0
		.amdhsa_exception_fp_ieee_underflow 0
		.amdhsa_exception_fp_ieee_inexact 0
		.amdhsa_exception_int_div_zero 0
	.end_amdhsa_kernel
	.section	.text._ZN7rocprim17ROCPRIM_400000_NS6detail17trampoline_kernelINS0_14default_configENS1_25partition_config_selectorILNS1_17partition_subalgoE8ElNS0_10empty_typeEbEEZZNS1_14partition_implILS5_8ELb0ES3_jPlPS6_PKS6_NS0_5tupleIJS9_S6_EEENSD_IJSA_SA_EEENS0_18inequality_wrapperIZN2at6native12_GLOBAL__N_124unique_dim_cuda_templateIaEESt5tupleIJNSH_6TensorESM_SM_EERKSM_lbbbEUlllE0_EEPmJS6_EEE10hipError_tPvRmT3_T4_T5_T6_T7_T9_mT8_P12ihipStream_tbDpT10_ENKUlT_T0_E_clISt17integral_constantIbLb0EES1C_EEDaS17_S18_EUlS17_E_NS1_11comp_targetILNS1_3genE2ELNS1_11target_archE906ELNS1_3gpuE6ELNS1_3repE0EEENS1_30default_config_static_selectorELNS0_4arch9wavefront6targetE0EEEvT1_,"axG",@progbits,_ZN7rocprim17ROCPRIM_400000_NS6detail17trampoline_kernelINS0_14default_configENS1_25partition_config_selectorILNS1_17partition_subalgoE8ElNS0_10empty_typeEbEEZZNS1_14partition_implILS5_8ELb0ES3_jPlPS6_PKS6_NS0_5tupleIJS9_S6_EEENSD_IJSA_SA_EEENS0_18inequality_wrapperIZN2at6native12_GLOBAL__N_124unique_dim_cuda_templateIaEESt5tupleIJNSH_6TensorESM_SM_EERKSM_lbbbEUlllE0_EEPmJS6_EEE10hipError_tPvRmT3_T4_T5_T6_T7_T9_mT8_P12ihipStream_tbDpT10_ENKUlT_T0_E_clISt17integral_constantIbLb0EES1C_EEDaS17_S18_EUlS17_E_NS1_11comp_targetILNS1_3genE2ELNS1_11target_archE906ELNS1_3gpuE6ELNS1_3repE0EEENS1_30default_config_static_selectorELNS0_4arch9wavefront6targetE0EEEvT1_,comdat
.Lfunc_end323:
	.size	_ZN7rocprim17ROCPRIM_400000_NS6detail17trampoline_kernelINS0_14default_configENS1_25partition_config_selectorILNS1_17partition_subalgoE8ElNS0_10empty_typeEbEEZZNS1_14partition_implILS5_8ELb0ES3_jPlPS6_PKS6_NS0_5tupleIJS9_S6_EEENSD_IJSA_SA_EEENS0_18inequality_wrapperIZN2at6native12_GLOBAL__N_124unique_dim_cuda_templateIaEESt5tupleIJNSH_6TensorESM_SM_EERKSM_lbbbEUlllE0_EEPmJS6_EEE10hipError_tPvRmT3_T4_T5_T6_T7_T9_mT8_P12ihipStream_tbDpT10_ENKUlT_T0_E_clISt17integral_constantIbLb0EES1C_EEDaS17_S18_EUlS17_E_NS1_11comp_targetILNS1_3genE2ELNS1_11target_archE906ELNS1_3gpuE6ELNS1_3repE0EEENS1_30default_config_static_selectorELNS0_4arch9wavefront6targetE0EEEvT1_, .Lfunc_end323-_ZN7rocprim17ROCPRIM_400000_NS6detail17trampoline_kernelINS0_14default_configENS1_25partition_config_selectorILNS1_17partition_subalgoE8ElNS0_10empty_typeEbEEZZNS1_14partition_implILS5_8ELb0ES3_jPlPS6_PKS6_NS0_5tupleIJS9_S6_EEENSD_IJSA_SA_EEENS0_18inequality_wrapperIZN2at6native12_GLOBAL__N_124unique_dim_cuda_templateIaEESt5tupleIJNSH_6TensorESM_SM_EERKSM_lbbbEUlllE0_EEPmJS6_EEE10hipError_tPvRmT3_T4_T5_T6_T7_T9_mT8_P12ihipStream_tbDpT10_ENKUlT_T0_E_clISt17integral_constantIbLb0EES1C_EEDaS17_S18_EUlS17_E_NS1_11comp_targetILNS1_3genE2ELNS1_11target_archE906ELNS1_3gpuE6ELNS1_3repE0EEENS1_30default_config_static_selectorELNS0_4arch9wavefront6targetE0EEEvT1_
                                        ; -- End function
	.section	.AMDGPU.csdata,"",@progbits
; Kernel info:
; codeLenInByte = 0
; NumSgprs: 0
; NumVgprs: 0
; ScratchSize: 0
; MemoryBound: 0
; FloatMode: 240
; IeeeMode: 1
; LDSByteSize: 0 bytes/workgroup (compile time only)
; SGPRBlocks: 0
; VGPRBlocks: 0
; NumSGPRsForWavesPerEU: 1
; NumVGPRsForWavesPerEU: 1
; Occupancy: 16
; WaveLimiterHint : 0
; COMPUTE_PGM_RSRC2:SCRATCH_EN: 0
; COMPUTE_PGM_RSRC2:USER_SGPR: 15
; COMPUTE_PGM_RSRC2:TRAP_HANDLER: 0
; COMPUTE_PGM_RSRC2:TGID_X_EN: 1
; COMPUTE_PGM_RSRC2:TGID_Y_EN: 0
; COMPUTE_PGM_RSRC2:TGID_Z_EN: 0
; COMPUTE_PGM_RSRC2:TIDIG_COMP_CNT: 0
	.section	.text._ZN7rocprim17ROCPRIM_400000_NS6detail17trampoline_kernelINS0_14default_configENS1_25partition_config_selectorILNS1_17partition_subalgoE8ElNS0_10empty_typeEbEEZZNS1_14partition_implILS5_8ELb0ES3_jPlPS6_PKS6_NS0_5tupleIJS9_S6_EEENSD_IJSA_SA_EEENS0_18inequality_wrapperIZN2at6native12_GLOBAL__N_124unique_dim_cuda_templateIaEESt5tupleIJNSH_6TensorESM_SM_EERKSM_lbbbEUlllE0_EEPmJS6_EEE10hipError_tPvRmT3_T4_T5_T6_T7_T9_mT8_P12ihipStream_tbDpT10_ENKUlT_T0_E_clISt17integral_constantIbLb0EES1C_EEDaS17_S18_EUlS17_E_NS1_11comp_targetILNS1_3genE10ELNS1_11target_archE1200ELNS1_3gpuE4ELNS1_3repE0EEENS1_30default_config_static_selectorELNS0_4arch9wavefront6targetE0EEEvT1_,"axG",@progbits,_ZN7rocprim17ROCPRIM_400000_NS6detail17trampoline_kernelINS0_14default_configENS1_25partition_config_selectorILNS1_17partition_subalgoE8ElNS0_10empty_typeEbEEZZNS1_14partition_implILS5_8ELb0ES3_jPlPS6_PKS6_NS0_5tupleIJS9_S6_EEENSD_IJSA_SA_EEENS0_18inequality_wrapperIZN2at6native12_GLOBAL__N_124unique_dim_cuda_templateIaEESt5tupleIJNSH_6TensorESM_SM_EERKSM_lbbbEUlllE0_EEPmJS6_EEE10hipError_tPvRmT3_T4_T5_T6_T7_T9_mT8_P12ihipStream_tbDpT10_ENKUlT_T0_E_clISt17integral_constantIbLb0EES1C_EEDaS17_S18_EUlS17_E_NS1_11comp_targetILNS1_3genE10ELNS1_11target_archE1200ELNS1_3gpuE4ELNS1_3repE0EEENS1_30default_config_static_selectorELNS0_4arch9wavefront6targetE0EEEvT1_,comdat
	.globl	_ZN7rocprim17ROCPRIM_400000_NS6detail17trampoline_kernelINS0_14default_configENS1_25partition_config_selectorILNS1_17partition_subalgoE8ElNS0_10empty_typeEbEEZZNS1_14partition_implILS5_8ELb0ES3_jPlPS6_PKS6_NS0_5tupleIJS9_S6_EEENSD_IJSA_SA_EEENS0_18inequality_wrapperIZN2at6native12_GLOBAL__N_124unique_dim_cuda_templateIaEESt5tupleIJNSH_6TensorESM_SM_EERKSM_lbbbEUlllE0_EEPmJS6_EEE10hipError_tPvRmT3_T4_T5_T6_T7_T9_mT8_P12ihipStream_tbDpT10_ENKUlT_T0_E_clISt17integral_constantIbLb0EES1C_EEDaS17_S18_EUlS17_E_NS1_11comp_targetILNS1_3genE10ELNS1_11target_archE1200ELNS1_3gpuE4ELNS1_3repE0EEENS1_30default_config_static_selectorELNS0_4arch9wavefront6targetE0EEEvT1_ ; -- Begin function _ZN7rocprim17ROCPRIM_400000_NS6detail17trampoline_kernelINS0_14default_configENS1_25partition_config_selectorILNS1_17partition_subalgoE8ElNS0_10empty_typeEbEEZZNS1_14partition_implILS5_8ELb0ES3_jPlPS6_PKS6_NS0_5tupleIJS9_S6_EEENSD_IJSA_SA_EEENS0_18inequality_wrapperIZN2at6native12_GLOBAL__N_124unique_dim_cuda_templateIaEESt5tupleIJNSH_6TensorESM_SM_EERKSM_lbbbEUlllE0_EEPmJS6_EEE10hipError_tPvRmT3_T4_T5_T6_T7_T9_mT8_P12ihipStream_tbDpT10_ENKUlT_T0_E_clISt17integral_constantIbLb0EES1C_EEDaS17_S18_EUlS17_E_NS1_11comp_targetILNS1_3genE10ELNS1_11target_archE1200ELNS1_3gpuE4ELNS1_3repE0EEENS1_30default_config_static_selectorELNS0_4arch9wavefront6targetE0EEEvT1_
	.p2align	8
	.type	_ZN7rocprim17ROCPRIM_400000_NS6detail17trampoline_kernelINS0_14default_configENS1_25partition_config_selectorILNS1_17partition_subalgoE8ElNS0_10empty_typeEbEEZZNS1_14partition_implILS5_8ELb0ES3_jPlPS6_PKS6_NS0_5tupleIJS9_S6_EEENSD_IJSA_SA_EEENS0_18inequality_wrapperIZN2at6native12_GLOBAL__N_124unique_dim_cuda_templateIaEESt5tupleIJNSH_6TensorESM_SM_EERKSM_lbbbEUlllE0_EEPmJS6_EEE10hipError_tPvRmT3_T4_T5_T6_T7_T9_mT8_P12ihipStream_tbDpT10_ENKUlT_T0_E_clISt17integral_constantIbLb0EES1C_EEDaS17_S18_EUlS17_E_NS1_11comp_targetILNS1_3genE10ELNS1_11target_archE1200ELNS1_3gpuE4ELNS1_3repE0EEENS1_30default_config_static_selectorELNS0_4arch9wavefront6targetE0EEEvT1_,@function
_ZN7rocprim17ROCPRIM_400000_NS6detail17trampoline_kernelINS0_14default_configENS1_25partition_config_selectorILNS1_17partition_subalgoE8ElNS0_10empty_typeEbEEZZNS1_14partition_implILS5_8ELb0ES3_jPlPS6_PKS6_NS0_5tupleIJS9_S6_EEENSD_IJSA_SA_EEENS0_18inequality_wrapperIZN2at6native12_GLOBAL__N_124unique_dim_cuda_templateIaEESt5tupleIJNSH_6TensorESM_SM_EERKSM_lbbbEUlllE0_EEPmJS6_EEE10hipError_tPvRmT3_T4_T5_T6_T7_T9_mT8_P12ihipStream_tbDpT10_ENKUlT_T0_E_clISt17integral_constantIbLb0EES1C_EEDaS17_S18_EUlS17_E_NS1_11comp_targetILNS1_3genE10ELNS1_11target_archE1200ELNS1_3gpuE4ELNS1_3repE0EEENS1_30default_config_static_selectorELNS0_4arch9wavefront6targetE0EEEvT1_: ; @_ZN7rocprim17ROCPRIM_400000_NS6detail17trampoline_kernelINS0_14default_configENS1_25partition_config_selectorILNS1_17partition_subalgoE8ElNS0_10empty_typeEbEEZZNS1_14partition_implILS5_8ELb0ES3_jPlPS6_PKS6_NS0_5tupleIJS9_S6_EEENSD_IJSA_SA_EEENS0_18inequality_wrapperIZN2at6native12_GLOBAL__N_124unique_dim_cuda_templateIaEESt5tupleIJNSH_6TensorESM_SM_EERKSM_lbbbEUlllE0_EEPmJS6_EEE10hipError_tPvRmT3_T4_T5_T6_T7_T9_mT8_P12ihipStream_tbDpT10_ENKUlT_T0_E_clISt17integral_constantIbLb0EES1C_EEDaS17_S18_EUlS17_E_NS1_11comp_targetILNS1_3genE10ELNS1_11target_archE1200ELNS1_3gpuE4ELNS1_3repE0EEENS1_30default_config_static_selectorELNS0_4arch9wavefront6targetE0EEEvT1_
; %bb.0:
	.section	.rodata,"a",@progbits
	.p2align	6, 0x0
	.amdhsa_kernel _ZN7rocprim17ROCPRIM_400000_NS6detail17trampoline_kernelINS0_14default_configENS1_25partition_config_selectorILNS1_17partition_subalgoE8ElNS0_10empty_typeEbEEZZNS1_14partition_implILS5_8ELb0ES3_jPlPS6_PKS6_NS0_5tupleIJS9_S6_EEENSD_IJSA_SA_EEENS0_18inequality_wrapperIZN2at6native12_GLOBAL__N_124unique_dim_cuda_templateIaEESt5tupleIJNSH_6TensorESM_SM_EERKSM_lbbbEUlllE0_EEPmJS6_EEE10hipError_tPvRmT3_T4_T5_T6_T7_T9_mT8_P12ihipStream_tbDpT10_ENKUlT_T0_E_clISt17integral_constantIbLb0EES1C_EEDaS17_S18_EUlS17_E_NS1_11comp_targetILNS1_3genE10ELNS1_11target_archE1200ELNS1_3gpuE4ELNS1_3repE0EEENS1_30default_config_static_selectorELNS0_4arch9wavefront6targetE0EEEvT1_
		.amdhsa_group_segment_fixed_size 0
		.amdhsa_private_segment_fixed_size 0
		.amdhsa_kernarg_size 120
		.amdhsa_user_sgpr_count 15
		.amdhsa_user_sgpr_dispatch_ptr 0
		.amdhsa_user_sgpr_queue_ptr 0
		.amdhsa_user_sgpr_kernarg_segment_ptr 1
		.amdhsa_user_sgpr_dispatch_id 0
		.amdhsa_user_sgpr_private_segment_size 0
		.amdhsa_wavefront_size32 1
		.amdhsa_uses_dynamic_stack 0
		.amdhsa_enable_private_segment 0
		.amdhsa_system_sgpr_workgroup_id_x 1
		.amdhsa_system_sgpr_workgroup_id_y 0
		.amdhsa_system_sgpr_workgroup_id_z 0
		.amdhsa_system_sgpr_workgroup_info 0
		.amdhsa_system_vgpr_workitem_id 0
		.amdhsa_next_free_vgpr 1
		.amdhsa_next_free_sgpr 1
		.amdhsa_reserve_vcc 0
		.amdhsa_float_round_mode_32 0
		.amdhsa_float_round_mode_16_64 0
		.amdhsa_float_denorm_mode_32 3
		.amdhsa_float_denorm_mode_16_64 3
		.amdhsa_dx10_clamp 1
		.amdhsa_ieee_mode 1
		.amdhsa_fp16_overflow 0
		.amdhsa_workgroup_processor_mode 1
		.amdhsa_memory_ordered 1
		.amdhsa_forward_progress 0
		.amdhsa_shared_vgpr_count 0
		.amdhsa_exception_fp_ieee_invalid_op 0
		.amdhsa_exception_fp_denorm_src 0
		.amdhsa_exception_fp_ieee_div_zero 0
		.amdhsa_exception_fp_ieee_overflow 0
		.amdhsa_exception_fp_ieee_underflow 0
		.amdhsa_exception_fp_ieee_inexact 0
		.amdhsa_exception_int_div_zero 0
	.end_amdhsa_kernel
	.section	.text._ZN7rocprim17ROCPRIM_400000_NS6detail17trampoline_kernelINS0_14default_configENS1_25partition_config_selectorILNS1_17partition_subalgoE8ElNS0_10empty_typeEbEEZZNS1_14partition_implILS5_8ELb0ES3_jPlPS6_PKS6_NS0_5tupleIJS9_S6_EEENSD_IJSA_SA_EEENS0_18inequality_wrapperIZN2at6native12_GLOBAL__N_124unique_dim_cuda_templateIaEESt5tupleIJNSH_6TensorESM_SM_EERKSM_lbbbEUlllE0_EEPmJS6_EEE10hipError_tPvRmT3_T4_T5_T6_T7_T9_mT8_P12ihipStream_tbDpT10_ENKUlT_T0_E_clISt17integral_constantIbLb0EES1C_EEDaS17_S18_EUlS17_E_NS1_11comp_targetILNS1_3genE10ELNS1_11target_archE1200ELNS1_3gpuE4ELNS1_3repE0EEENS1_30default_config_static_selectorELNS0_4arch9wavefront6targetE0EEEvT1_,"axG",@progbits,_ZN7rocprim17ROCPRIM_400000_NS6detail17trampoline_kernelINS0_14default_configENS1_25partition_config_selectorILNS1_17partition_subalgoE8ElNS0_10empty_typeEbEEZZNS1_14partition_implILS5_8ELb0ES3_jPlPS6_PKS6_NS0_5tupleIJS9_S6_EEENSD_IJSA_SA_EEENS0_18inequality_wrapperIZN2at6native12_GLOBAL__N_124unique_dim_cuda_templateIaEESt5tupleIJNSH_6TensorESM_SM_EERKSM_lbbbEUlllE0_EEPmJS6_EEE10hipError_tPvRmT3_T4_T5_T6_T7_T9_mT8_P12ihipStream_tbDpT10_ENKUlT_T0_E_clISt17integral_constantIbLb0EES1C_EEDaS17_S18_EUlS17_E_NS1_11comp_targetILNS1_3genE10ELNS1_11target_archE1200ELNS1_3gpuE4ELNS1_3repE0EEENS1_30default_config_static_selectorELNS0_4arch9wavefront6targetE0EEEvT1_,comdat
.Lfunc_end324:
	.size	_ZN7rocprim17ROCPRIM_400000_NS6detail17trampoline_kernelINS0_14default_configENS1_25partition_config_selectorILNS1_17partition_subalgoE8ElNS0_10empty_typeEbEEZZNS1_14partition_implILS5_8ELb0ES3_jPlPS6_PKS6_NS0_5tupleIJS9_S6_EEENSD_IJSA_SA_EEENS0_18inequality_wrapperIZN2at6native12_GLOBAL__N_124unique_dim_cuda_templateIaEESt5tupleIJNSH_6TensorESM_SM_EERKSM_lbbbEUlllE0_EEPmJS6_EEE10hipError_tPvRmT3_T4_T5_T6_T7_T9_mT8_P12ihipStream_tbDpT10_ENKUlT_T0_E_clISt17integral_constantIbLb0EES1C_EEDaS17_S18_EUlS17_E_NS1_11comp_targetILNS1_3genE10ELNS1_11target_archE1200ELNS1_3gpuE4ELNS1_3repE0EEENS1_30default_config_static_selectorELNS0_4arch9wavefront6targetE0EEEvT1_, .Lfunc_end324-_ZN7rocprim17ROCPRIM_400000_NS6detail17trampoline_kernelINS0_14default_configENS1_25partition_config_selectorILNS1_17partition_subalgoE8ElNS0_10empty_typeEbEEZZNS1_14partition_implILS5_8ELb0ES3_jPlPS6_PKS6_NS0_5tupleIJS9_S6_EEENSD_IJSA_SA_EEENS0_18inequality_wrapperIZN2at6native12_GLOBAL__N_124unique_dim_cuda_templateIaEESt5tupleIJNSH_6TensorESM_SM_EERKSM_lbbbEUlllE0_EEPmJS6_EEE10hipError_tPvRmT3_T4_T5_T6_T7_T9_mT8_P12ihipStream_tbDpT10_ENKUlT_T0_E_clISt17integral_constantIbLb0EES1C_EEDaS17_S18_EUlS17_E_NS1_11comp_targetILNS1_3genE10ELNS1_11target_archE1200ELNS1_3gpuE4ELNS1_3repE0EEENS1_30default_config_static_selectorELNS0_4arch9wavefront6targetE0EEEvT1_
                                        ; -- End function
	.section	.AMDGPU.csdata,"",@progbits
; Kernel info:
; codeLenInByte = 0
; NumSgprs: 0
; NumVgprs: 0
; ScratchSize: 0
; MemoryBound: 0
; FloatMode: 240
; IeeeMode: 1
; LDSByteSize: 0 bytes/workgroup (compile time only)
; SGPRBlocks: 0
; VGPRBlocks: 0
; NumSGPRsForWavesPerEU: 1
; NumVGPRsForWavesPerEU: 1
; Occupancy: 15
; WaveLimiterHint : 0
; COMPUTE_PGM_RSRC2:SCRATCH_EN: 0
; COMPUTE_PGM_RSRC2:USER_SGPR: 15
; COMPUTE_PGM_RSRC2:TRAP_HANDLER: 0
; COMPUTE_PGM_RSRC2:TGID_X_EN: 1
; COMPUTE_PGM_RSRC2:TGID_Y_EN: 0
; COMPUTE_PGM_RSRC2:TGID_Z_EN: 0
; COMPUTE_PGM_RSRC2:TIDIG_COMP_CNT: 0
	.section	.text._ZN7rocprim17ROCPRIM_400000_NS6detail17trampoline_kernelINS0_14default_configENS1_25partition_config_selectorILNS1_17partition_subalgoE8ElNS0_10empty_typeEbEEZZNS1_14partition_implILS5_8ELb0ES3_jPlPS6_PKS6_NS0_5tupleIJS9_S6_EEENSD_IJSA_SA_EEENS0_18inequality_wrapperIZN2at6native12_GLOBAL__N_124unique_dim_cuda_templateIaEESt5tupleIJNSH_6TensorESM_SM_EERKSM_lbbbEUlllE0_EEPmJS6_EEE10hipError_tPvRmT3_T4_T5_T6_T7_T9_mT8_P12ihipStream_tbDpT10_ENKUlT_T0_E_clISt17integral_constantIbLb0EES1C_EEDaS17_S18_EUlS17_E_NS1_11comp_targetILNS1_3genE9ELNS1_11target_archE1100ELNS1_3gpuE3ELNS1_3repE0EEENS1_30default_config_static_selectorELNS0_4arch9wavefront6targetE0EEEvT1_,"axG",@progbits,_ZN7rocprim17ROCPRIM_400000_NS6detail17trampoline_kernelINS0_14default_configENS1_25partition_config_selectorILNS1_17partition_subalgoE8ElNS0_10empty_typeEbEEZZNS1_14partition_implILS5_8ELb0ES3_jPlPS6_PKS6_NS0_5tupleIJS9_S6_EEENSD_IJSA_SA_EEENS0_18inequality_wrapperIZN2at6native12_GLOBAL__N_124unique_dim_cuda_templateIaEESt5tupleIJNSH_6TensorESM_SM_EERKSM_lbbbEUlllE0_EEPmJS6_EEE10hipError_tPvRmT3_T4_T5_T6_T7_T9_mT8_P12ihipStream_tbDpT10_ENKUlT_T0_E_clISt17integral_constantIbLb0EES1C_EEDaS17_S18_EUlS17_E_NS1_11comp_targetILNS1_3genE9ELNS1_11target_archE1100ELNS1_3gpuE3ELNS1_3repE0EEENS1_30default_config_static_selectorELNS0_4arch9wavefront6targetE0EEEvT1_,comdat
	.globl	_ZN7rocprim17ROCPRIM_400000_NS6detail17trampoline_kernelINS0_14default_configENS1_25partition_config_selectorILNS1_17partition_subalgoE8ElNS0_10empty_typeEbEEZZNS1_14partition_implILS5_8ELb0ES3_jPlPS6_PKS6_NS0_5tupleIJS9_S6_EEENSD_IJSA_SA_EEENS0_18inequality_wrapperIZN2at6native12_GLOBAL__N_124unique_dim_cuda_templateIaEESt5tupleIJNSH_6TensorESM_SM_EERKSM_lbbbEUlllE0_EEPmJS6_EEE10hipError_tPvRmT3_T4_T5_T6_T7_T9_mT8_P12ihipStream_tbDpT10_ENKUlT_T0_E_clISt17integral_constantIbLb0EES1C_EEDaS17_S18_EUlS17_E_NS1_11comp_targetILNS1_3genE9ELNS1_11target_archE1100ELNS1_3gpuE3ELNS1_3repE0EEENS1_30default_config_static_selectorELNS0_4arch9wavefront6targetE0EEEvT1_ ; -- Begin function _ZN7rocprim17ROCPRIM_400000_NS6detail17trampoline_kernelINS0_14default_configENS1_25partition_config_selectorILNS1_17partition_subalgoE8ElNS0_10empty_typeEbEEZZNS1_14partition_implILS5_8ELb0ES3_jPlPS6_PKS6_NS0_5tupleIJS9_S6_EEENSD_IJSA_SA_EEENS0_18inequality_wrapperIZN2at6native12_GLOBAL__N_124unique_dim_cuda_templateIaEESt5tupleIJNSH_6TensorESM_SM_EERKSM_lbbbEUlllE0_EEPmJS6_EEE10hipError_tPvRmT3_T4_T5_T6_T7_T9_mT8_P12ihipStream_tbDpT10_ENKUlT_T0_E_clISt17integral_constantIbLb0EES1C_EEDaS17_S18_EUlS17_E_NS1_11comp_targetILNS1_3genE9ELNS1_11target_archE1100ELNS1_3gpuE3ELNS1_3repE0EEENS1_30default_config_static_selectorELNS0_4arch9wavefront6targetE0EEEvT1_
	.p2align	8
	.type	_ZN7rocprim17ROCPRIM_400000_NS6detail17trampoline_kernelINS0_14default_configENS1_25partition_config_selectorILNS1_17partition_subalgoE8ElNS0_10empty_typeEbEEZZNS1_14partition_implILS5_8ELb0ES3_jPlPS6_PKS6_NS0_5tupleIJS9_S6_EEENSD_IJSA_SA_EEENS0_18inequality_wrapperIZN2at6native12_GLOBAL__N_124unique_dim_cuda_templateIaEESt5tupleIJNSH_6TensorESM_SM_EERKSM_lbbbEUlllE0_EEPmJS6_EEE10hipError_tPvRmT3_T4_T5_T6_T7_T9_mT8_P12ihipStream_tbDpT10_ENKUlT_T0_E_clISt17integral_constantIbLb0EES1C_EEDaS17_S18_EUlS17_E_NS1_11comp_targetILNS1_3genE9ELNS1_11target_archE1100ELNS1_3gpuE3ELNS1_3repE0EEENS1_30default_config_static_selectorELNS0_4arch9wavefront6targetE0EEEvT1_,@function
_ZN7rocprim17ROCPRIM_400000_NS6detail17trampoline_kernelINS0_14default_configENS1_25partition_config_selectorILNS1_17partition_subalgoE8ElNS0_10empty_typeEbEEZZNS1_14partition_implILS5_8ELb0ES3_jPlPS6_PKS6_NS0_5tupleIJS9_S6_EEENSD_IJSA_SA_EEENS0_18inequality_wrapperIZN2at6native12_GLOBAL__N_124unique_dim_cuda_templateIaEESt5tupleIJNSH_6TensorESM_SM_EERKSM_lbbbEUlllE0_EEPmJS6_EEE10hipError_tPvRmT3_T4_T5_T6_T7_T9_mT8_P12ihipStream_tbDpT10_ENKUlT_T0_E_clISt17integral_constantIbLb0EES1C_EEDaS17_S18_EUlS17_E_NS1_11comp_targetILNS1_3genE9ELNS1_11target_archE1100ELNS1_3gpuE3ELNS1_3repE0EEENS1_30default_config_static_selectorELNS0_4arch9wavefront6targetE0EEEvT1_: ; @_ZN7rocprim17ROCPRIM_400000_NS6detail17trampoline_kernelINS0_14default_configENS1_25partition_config_selectorILNS1_17partition_subalgoE8ElNS0_10empty_typeEbEEZZNS1_14partition_implILS5_8ELb0ES3_jPlPS6_PKS6_NS0_5tupleIJS9_S6_EEENSD_IJSA_SA_EEENS0_18inequality_wrapperIZN2at6native12_GLOBAL__N_124unique_dim_cuda_templateIaEESt5tupleIJNSH_6TensorESM_SM_EERKSM_lbbbEUlllE0_EEPmJS6_EEE10hipError_tPvRmT3_T4_T5_T6_T7_T9_mT8_P12ihipStream_tbDpT10_ENKUlT_T0_E_clISt17integral_constantIbLb0EES1C_EEDaS17_S18_EUlS17_E_NS1_11comp_targetILNS1_3genE9ELNS1_11target_archE1100ELNS1_3gpuE3ELNS1_3repE0EEENS1_30default_config_static_selectorELNS0_4arch9wavefront6targetE0EEEvT1_
; %bb.0:
	s_clause 0x3
	s_load_b128 s[4:7], s[0:1], 0x8
	s_load_b256 s[16:23], s[0:1], 0x40
	s_load_b32 s14, s[0:1], 0x70
	s_load_b128 s[8:11], s[0:1], 0x60
	s_mov_b32 s3, 0
	v_lshlrev_b32_e32 v39, 3, v0
	v_lshrrev_b32_e32 v17, 2, v0
	v_or_b32_e32 v24, 0x200, v0
	v_or_b32_e32 v22, 0x400, v0
	;; [unrolled: 1-line block ×7, first 2 shown]
	s_waitcnt lgkmcnt(0)
	s_lshl_b64 s[24:25], s[6:7], 3
	s_load_b64 s[12:13], s[18:19], 0x0
	s_add_u32 s24, s4, s24
	s_addc_u32 s5, s5, s25
	s_add_i32 s25, s14, -1
	s_lshl_b32 s14, s14, 12
	s_lshl_b32 s4, s25, 12
	;; [unrolled: 1-line block ×3, first 2 shown]
	s_add_i32 s4, s6, s4
	s_add_u32 s18, s6, s14
	s_addc_u32 s19, s7, 0
	s_cmp_eq_u32 s15, s25
	v_cmp_ge_u64_e64 s18, s[18:19], s[20:21]
	s_cselect_b32 s14, -1, 0
	s_lshl_b64 s[2:3], s[2:3], 3
	s_delay_alu instid0(VALU_DEP_1) | instskip(NEXT) | instid1(SALU_CYCLE_1)
	s_and_b32 s19, s14, s18
	s_xor_b32 s18, s19, -1
	s_add_u32 s2, s24, s2
	s_addc_u32 s3, s5, s3
	s_and_b32 vcc_lo, exec_lo, s18
	s_mov_b32 s5, -1
	s_cbranch_vccz .LBB325_2
; %bb.1:
	v_add_co_u32 v9, s5, s2, v39
	s_delay_alu instid0(VALU_DEP_1)
	v_add_co_ci_u32_e64 v10, null, s3, 0, s5
	global_load_b64 v[1:2], v39, s[2:3]
	v_add_co_u32 v3, vcc_lo, v9, 0x2000
	v_add_co_ci_u32_e32 v4, vcc_lo, 0, v10, vcc_lo
	v_add_co_u32 v5, vcc_lo, v9, 0x4000
	v_add_co_ci_u32_e32 v6, vcc_lo, 0, v10, vcc_lo
	;; [unrolled: 2-line block ×4, first 2 shown]
	s_clause 0x6
	global_load_b64 v[11:12], v[3:4], off offset:-4096
	global_load_b64 v[3:4], v[3:4], off
	global_load_b64 v[13:14], v[5:6], off offset:-4096
	global_load_b64 v[5:6], v[5:6], off
	;; [unrolled: 2-line block ×3, first 2 shown]
	global_load_b64 v[9:10], v[9:10], off
	v_lshrrev_b32_e32 v26, 2, v24
	v_lshrrev_b32_e32 v27, 2, v22
	;; [unrolled: 1-line block ×4, first 2 shown]
	v_and_b32_e32 v25, 0x78, v17
	v_lshrrev_b32_e32 v30, 2, v20
	v_lshrrev_b32_e32 v31, 2, v19
	;; [unrolled: 1-line block ×3, first 2 shown]
	v_and_b32_e32 v26, 0xf8, v26
	v_and_b32_e32 v27, 0x178, v27
	;; [unrolled: 1-line block ×4, first 2 shown]
	v_add_nc_u32_e32 v25, v25, v39
	v_and_b32_e32 v30, 0x2f8, v30
	v_and_b32_e32 v31, 0x378, v31
	;; [unrolled: 1-line block ×3, first 2 shown]
	v_add_nc_u32_e32 v26, v26, v39
	v_add_nc_u32_e32 v27, v27, v39
	v_add_nc_u32_e32 v28, v28, v39
	v_add_nc_u32_e32 v29, v29, v39
	s_mov_b32 s5, 0
	v_add_nc_u32_e32 v30, v30, v39
	v_add_nc_u32_e32 v31, v31, v39
	;; [unrolled: 1-line block ×3, first 2 shown]
	s_waitcnt vmcnt(7)
	ds_store_b64 v25, v[1:2]
	s_waitcnt vmcnt(6)
	ds_store_b64 v26, v[11:12] offset:4096
	s_waitcnt vmcnt(5)
	ds_store_b64 v27, v[3:4] offset:8192
	;; [unrolled: 2-line block ×7, first 2 shown]
	s_waitcnt lgkmcnt(0)
	s_barrier
.LBB325_2:
	s_and_not1_b32 vcc_lo, exec_lo, s5
	s_sub_i32 s20, s20, s4
	s_cbranch_vccnz .LBB325_13
; %bb.3:
	s_mov_b32 s4, exec_lo
                                        ; implicit-def: $vgpr1_vgpr2_vgpr3_vgpr4_vgpr5_vgpr6_vgpr7_vgpr8_vgpr9_vgpr10_vgpr11_vgpr12_vgpr13_vgpr14_vgpr15_vgpr16
	v_cmpx_gt_u32_e64 s20, v0
	s_cbranch_execnz .LBB325_23
; %bb.4:
	s_or_b32 exec_lo, exec_lo, s4
	s_delay_alu instid0(SALU_CYCLE_1)
	s_mov_b32 s4, exec_lo
	v_cmpx_gt_u32_e64 s20, v24
	s_cbranch_execnz .LBB325_24
.LBB325_5:
	s_or_b32 exec_lo, exec_lo, s4
	s_delay_alu instid0(SALU_CYCLE_1)
	s_mov_b32 s4, exec_lo
	v_cmpx_gt_u32_e64 s20, v22
	s_cbranch_execnz .LBB325_25
.LBB325_6:
	s_or_b32 exec_lo, exec_lo, s4
	s_delay_alu instid0(SALU_CYCLE_1)
	s_mov_b32 s4, exec_lo
	v_cmpx_gt_u32_e64 s20, v23
	s_cbranch_execnz .LBB325_26
.LBB325_7:
	s_or_b32 exec_lo, exec_lo, s4
	s_delay_alu instid0(SALU_CYCLE_1)
	s_mov_b32 s4, exec_lo
	v_cmpx_gt_u32_e64 s20, v21
	s_cbranch_execnz .LBB325_27
.LBB325_8:
	s_or_b32 exec_lo, exec_lo, s4
	s_delay_alu instid0(SALU_CYCLE_1)
	s_mov_b32 s4, exec_lo
	v_cmpx_gt_u32_e64 s20, v20
	s_cbranch_execnz .LBB325_28
.LBB325_9:
	s_or_b32 exec_lo, exec_lo, s4
	s_delay_alu instid0(SALU_CYCLE_1)
	s_mov_b32 s4, exec_lo
	v_cmpx_gt_u32_e64 s20, v19
	s_cbranch_execnz .LBB325_29
.LBB325_10:
	s_or_b32 exec_lo, exec_lo, s4
	s_delay_alu instid0(SALU_CYCLE_1)
	s_mov_b32 s4, exec_lo
	v_cmpx_gt_u32_e64 s20, v18
	s_cbranch_execz .LBB325_12
.LBB325_11:
	v_lshlrev_b32_e32 v15, 3, v18
	global_load_b64 v[15:16], v15, s[2:3]
.LBB325_12:
	s_or_b32 exec_lo, exec_lo, s4
	v_lshrrev_b32_e32 v24, 2, v24
	v_lshrrev_b32_e32 v22, 2, v22
	;; [unrolled: 1-line block ×4, first 2 shown]
	v_and_b32_e32 v25, 0x78, v17
	v_lshrrev_b32_e32 v20, 2, v20
	v_lshrrev_b32_e32 v19, 2, v19
	;; [unrolled: 1-line block ×3, first 2 shown]
	v_and_b32_e32 v24, 0xf8, v24
	v_and_b32_e32 v22, 0x1f8, v22
	;; [unrolled: 1-line block ×4, first 2 shown]
	v_add_nc_u32_e32 v25, v25, v39
	v_and_b32_e32 v20, 0x3f8, v20
	v_and_b32_e32 v19, 0x3f8, v19
	;; [unrolled: 1-line block ×3, first 2 shown]
	v_add_nc_u32_e32 v24, v24, v39
	v_add_nc_u32_e32 v22, v22, v39
	;; [unrolled: 1-line block ×7, first 2 shown]
	s_waitcnt vmcnt(0)
	ds_store_b64 v25, v[1:2]
	ds_store_b64 v24, v[3:4] offset:4096
	ds_store_b64 v22, v[5:6] offset:8192
	;; [unrolled: 1-line block ×7, first 2 shown]
	s_waitcnt lgkmcnt(0)
	s_barrier
.LBB325_13:
	v_add_lshl_u32 v1, v17, v39, 3
	s_waitcnt lgkmcnt(0)
	buffer_gl0_inv
	s_cmp_lg_u32 s15, 0
	v_cmp_gt_i64_e64 s24, s[22:23], 0
	s_cselect_b32 s21, -1, 0
	ds_load_2addr_b64 v[13:16], v1 offset1:1
	ds_load_2addr_b64 v[9:12], v1 offset0:2 offset1:3
	ds_load_2addr_b64 v[5:8], v1 offset0:4 offset1:5
	;; [unrolled: 1-line block ×3, first 2 shown]
	s_cmp_lg_u64 s[6:7], 0
	s_mov_b32 s6, 0
	s_cselect_b32 s4, -1, 0
	s_waitcnt lgkmcnt(0)
	s_or_b32 s4, s21, s4
	s_barrier
	s_and_b32 vcc_lo, exec_lo, s4
	buffer_gl0_inv
	s_cbranch_vccz .LBB325_22
; %bb.14:
	s_add_u32 s2, s2, -8
	s_addc_u32 s3, s3, -1
	v_cndmask_b32_e64 v24, 0, 1, s24
	s_load_b64 s[4:5], s[2:3], 0x0
	s_and_b32 vcc_lo, exec_lo, s18
	ds_store_b64 v39, v[3:4]
	v_cmp_ne_u32_e64 s2, 1, v24
	s_cbranch_vccz .LBB325_30
; %bb.15:
	v_mul_lo_u32 v19, v2, s22
	v_mul_lo_u32 v20, v1, s23
	v_mad_u64_u32 v[17:18], null, v1, s22, 0
	s_mov_b32 s25, 0
	s_and_b32 vcc_lo, exec_lo, s2
	s_mov_b32 s26, 0
	s_delay_alu instid0(VALU_DEP_1)
	v_add3_u32 v25, v18, v20, v19
	s_cbranch_vccnz .LBB325_33
; %bb.16:
	v_mad_u64_u32 v[18:19], null, v3, s22, s[8:9]
	v_mul_lo_u32 v22, v3, s23
	v_mul_lo_u32 v23, v4, s22
	v_add_co_u32 v20, vcc_lo, s8, v17
	v_add_co_ci_u32_e32 v21, vcc_lo, s9, v25, vcc_lo
	s_mov_b32 s26, -1
	s_mov_b32 s27, exec_lo
	s_delay_alu instid0(VALU_DEP_3)
	v_add3_u32 v19, v23, v19, v22
	s_clause 0x1
	global_load_u8 v22, v[20:21], off
	global_load_u8 v23, v[18:19], off
	s_waitcnt vmcnt(0)
	v_cmpx_eq_u16_e64 v22, v23
	s_cbranch_execz .LBB325_32
; %bb.17:
	s_mov_b64 s[2:3], 1
	s_mov_b32 s26, 0
                                        ; implicit-def: $sgpr28
	s_set_inst_prefetch_distance 0x1
	s_branch .LBB325_20
	.p2align	6
.LBB325_18:                             ;   in Loop: Header=BB325_20 Depth=1
	v_add_co_u32 v22, vcc_lo, v20, s2
	v_add_co_ci_u32_e32 v23, vcc_lo, s3, v21, vcc_lo
	v_add_co_u32 v26, vcc_lo, v18, s2
	v_add_co_ci_u32_e32 v27, vcc_lo, s3, v19, vcc_lo
	s_add_u32 s6, s2, 1
	s_clause 0x1
	global_load_u8 v22, v[22:23], off
	global_load_u8 v23, v[26:27], off
	s_addc_u32 s7, s3, 0
	s_and_not1_b32 s28, s28, exec_lo
	s_waitcnt vmcnt(0)
	v_cmp_ne_u16_e32 vcc_lo, v22, v23
	s_and_b32 s29, vcc_lo, exec_lo
	s_delay_alu instid0(SALU_CYCLE_1)
	s_or_b32 s28, s28, s29
.LBB325_19:                             ;   in Loop: Header=BB325_20 Depth=1
	v_dual_mov_b32 v23, s3 :: v_dual_mov_b32 v22, s2
	s_and_b32 s29, exec_lo, s28
	s_mov_b64 s[2:3], s[6:7]
	s_or_b32 s26, s29, s26
	s_delay_alu instid0(SALU_CYCLE_1)
	s_and_not1_b32 exec_lo, exec_lo, s26
	s_cbranch_execz .LBB325_31
.LBB325_20:                             ; =>This Inner Loop Header: Depth=1
	s_or_b32 s28, s28, exec_lo
	s_cmp_eq_u64 s[22:23], s[2:3]
	s_cbranch_scc0 .LBB325_18
; %bb.21:                               ;   in Loop: Header=BB325_20 Depth=1
	s_mov_b64 s[2:3], s[22:23]
                                        ; implicit-def: $sgpr6_sgpr7
	s_branch .LBB325_19
.LBB325_22:
                                        ; implicit-def: $sgpr2
                                        ; implicit-def: $vgpr18
	s_branch .LBB325_191
.LBB325_23:
	global_load_b64 v[1:2], v39, s[2:3]
	s_or_b32 exec_lo, exec_lo, s4
	s_delay_alu instid0(SALU_CYCLE_1)
	s_mov_b32 s4, exec_lo
	v_cmpx_gt_u32_e64 s20, v24
	s_cbranch_execz .LBB325_5
.LBB325_24:
	v_lshlrev_b32_e32 v3, 3, v24
	global_load_b64 v[3:4], v3, s[2:3]
	s_or_b32 exec_lo, exec_lo, s4
	s_delay_alu instid0(SALU_CYCLE_1)
	s_mov_b32 s4, exec_lo
	v_cmpx_gt_u32_e64 s20, v22
	s_cbranch_execz .LBB325_6
.LBB325_25:
	v_lshlrev_b32_e32 v5, 3, v22
	global_load_b64 v[5:6], v5, s[2:3]
	s_or_b32 exec_lo, exec_lo, s4
	s_delay_alu instid0(SALU_CYCLE_1)
	s_mov_b32 s4, exec_lo
	v_cmpx_gt_u32_e64 s20, v23
	s_cbranch_execz .LBB325_7
.LBB325_26:
	v_lshlrev_b32_e32 v7, 3, v23
	global_load_b64 v[7:8], v7, s[2:3]
	s_or_b32 exec_lo, exec_lo, s4
	s_delay_alu instid0(SALU_CYCLE_1)
	s_mov_b32 s4, exec_lo
	v_cmpx_gt_u32_e64 s20, v21
	s_cbranch_execz .LBB325_8
.LBB325_27:
	v_lshlrev_b32_e32 v9, 3, v21
	global_load_b64 v[9:10], v9, s[2:3]
	s_or_b32 exec_lo, exec_lo, s4
	s_delay_alu instid0(SALU_CYCLE_1)
	s_mov_b32 s4, exec_lo
	v_cmpx_gt_u32_e64 s20, v20
	s_cbranch_execz .LBB325_9
.LBB325_28:
	v_lshlrev_b32_e32 v11, 3, v20
	global_load_b64 v[11:12], v11, s[2:3]
	s_or_b32 exec_lo, exec_lo, s4
	s_delay_alu instid0(SALU_CYCLE_1)
	s_mov_b32 s4, exec_lo
	v_cmpx_gt_u32_e64 s20, v19
	s_cbranch_execz .LBB325_10
.LBB325_29:
	v_lshlrev_b32_e32 v13, 3, v19
	global_load_b64 v[13:14], v13, s[2:3]
	s_or_b32 exec_lo, exec_lo, s4
	s_delay_alu instid0(SALU_CYCLE_1)
	s_mov_b32 s4, exec_lo
	v_cmpx_gt_u32_e64 s20, v18
	s_cbranch_execnz .LBB325_11
	s_branch .LBB325_12
.LBB325_30:
                                        ; implicit-def: $sgpr2
                                        ; implicit-def: $vgpr18
	s_cbranch_execnz .LBB325_99
	s_branch .LBB325_190
.LBB325_31:
	s_set_inst_prefetch_distance 0x2
	s_or_b32 exec_lo, exec_lo, s26
	v_cmp_gt_i64_e32 vcc_lo, s[22:23], v[22:23]
	s_or_not1_b32 s26, vcc_lo, exec_lo
.LBB325_32:
	s_or_b32 exec_lo, exec_lo, s27
.LBB325_33:
	v_mul_lo_u32 v18, v8, s22
	v_mul_lo_u32 v21, v7, s23
	v_mad_u64_u32 v[19:20], null, v7, s22, 0
	s_and_not1_b32 vcc_lo, exec_lo, s24
	s_delay_alu instid0(VALU_DEP_1)
	v_add3_u32 v26, v20, v21, v18
	s_cbranch_vccnz .LBB325_42
; %bb.34:
	s_delay_alu instid0(VALU_DEP_2) | instskip(NEXT) | instid1(VALU_DEP_2)
	v_add_co_u32 v20, vcc_lo, s8, v19
	v_add_co_ci_u32_e32 v21, vcc_lo, s9, v26, vcc_lo
	v_add_co_u32 v17, vcc_lo, s8, v17
	v_add_co_ci_u32_e32 v18, vcc_lo, s9, v25, vcc_lo
	s_mov_b32 s25, -1
	s_clause 0x1
	global_load_u8 v22, v[20:21], off
	global_load_u8 v23, v[17:18], off
	s_mov_b32 s27, exec_lo
	s_waitcnt vmcnt(0)
	v_cmpx_eq_u16_e64 v22, v23
	s_cbranch_execz .LBB325_41
; %bb.35:
	s_mov_b64 s[2:3], 1
	s_mov_b32 s25, 0
                                        ; implicit-def: $sgpr28
	s_set_inst_prefetch_distance 0x1
	s_branch .LBB325_38
	.p2align	6
.LBB325_36:                             ;   in Loop: Header=BB325_38 Depth=1
	v_add_co_u32 v22, vcc_lo, v20, s2
	v_add_co_ci_u32_e32 v23, vcc_lo, s3, v21, vcc_lo
	v_add_co_u32 v27, vcc_lo, v17, s2
	v_add_co_ci_u32_e32 v28, vcc_lo, s3, v18, vcc_lo
	s_add_u32 s6, s2, 1
	s_clause 0x1
	global_load_u8 v22, v[22:23], off
	global_load_u8 v23, v[27:28], off
	s_addc_u32 s7, s3, 0
	s_and_not1_b32 s28, s28, exec_lo
	s_waitcnt vmcnt(0)
	v_cmp_ne_u16_e32 vcc_lo, v22, v23
	s_and_b32 s29, vcc_lo, exec_lo
	s_delay_alu instid0(SALU_CYCLE_1)
	s_or_b32 s28, s28, s29
.LBB325_37:                             ;   in Loop: Header=BB325_38 Depth=1
	v_dual_mov_b32 v23, s3 :: v_dual_mov_b32 v22, s2
	s_and_b32 s29, exec_lo, s28
	s_mov_b64 s[2:3], s[6:7]
	s_or_b32 s25, s29, s25
	s_delay_alu instid0(SALU_CYCLE_1)
	s_and_not1_b32 exec_lo, exec_lo, s25
	s_cbranch_execz .LBB325_40
.LBB325_38:                             ; =>This Inner Loop Header: Depth=1
	s_or_b32 s28, s28, exec_lo
	s_cmp_eq_u64 s[22:23], s[2:3]
	s_cbranch_scc0 .LBB325_36
; %bb.39:                               ;   in Loop: Header=BB325_38 Depth=1
	s_mov_b64 s[2:3], s[22:23]
                                        ; implicit-def: $sgpr6_sgpr7
	s_branch .LBB325_37
.LBB325_40:
	s_set_inst_prefetch_distance 0x2
	s_or_b32 exec_lo, exec_lo, s25
	v_cmp_gt_i64_e32 vcc_lo, s[22:23], v[22:23]
	s_or_not1_b32 s25, vcc_lo, exec_lo
.LBB325_41:
	s_or_b32 exec_lo, exec_lo, s27
.LBB325_42:
	v_mul_lo_u32 v20, v6, s22
	v_mul_lo_u32 v21, v5, s23
	v_mad_u64_u32 v[17:18], null, v5, s22, 0
	s_mov_b32 s27, 0
	s_and_not1_b32 vcc_lo, exec_lo, s24
	s_mov_b32 s28, 0
	s_delay_alu instid0(VALU_DEP_1)
	v_add3_u32 v27, v18, v21, v20
	s_cbranch_vccnz .LBB325_51
; %bb.43:
	s_delay_alu instid0(VALU_DEP_2) | instskip(NEXT) | instid1(VALU_DEP_2)
	v_add_co_u32 v20, vcc_lo, s8, v17
	v_add_co_ci_u32_e32 v21, vcc_lo, s9, v27, vcc_lo
	v_add_co_u32 v18, vcc_lo, s8, v19
	v_add_co_ci_u32_e32 v19, vcc_lo, s9, v26, vcc_lo
	s_mov_b32 s28, -1
	s_clause 0x1
	global_load_u8 v22, v[20:21], off
	global_load_u8 v23, v[18:19], off
	s_mov_b32 s29, exec_lo
	s_waitcnt vmcnt(0)
	v_cmpx_eq_u16_e64 v22, v23
	s_cbranch_execz .LBB325_50
; %bb.44:
	s_mov_b64 s[2:3], 1
	s_mov_b32 s28, 0
                                        ; implicit-def: $sgpr30
	s_set_inst_prefetch_distance 0x1
	s_branch .LBB325_47
	.p2align	6
.LBB325_45:                             ;   in Loop: Header=BB325_47 Depth=1
	v_add_co_u32 v22, vcc_lo, v20, s2
	v_add_co_ci_u32_e32 v23, vcc_lo, s3, v21, vcc_lo
	v_add_co_u32 v25, vcc_lo, v18, s2
	v_add_co_ci_u32_e32 v26, vcc_lo, s3, v19, vcc_lo
	s_add_u32 s6, s2, 1
	s_clause 0x1
	global_load_u8 v22, v[22:23], off
	global_load_u8 v23, v[25:26], off
	s_addc_u32 s7, s3, 0
	s_and_not1_b32 s30, s30, exec_lo
	s_waitcnt vmcnt(0)
	v_cmp_ne_u16_e32 vcc_lo, v22, v23
	s_and_b32 s31, vcc_lo, exec_lo
	s_delay_alu instid0(SALU_CYCLE_1)
	s_or_b32 s30, s30, s31
.LBB325_46:                             ;   in Loop: Header=BB325_47 Depth=1
	v_dual_mov_b32 v23, s3 :: v_dual_mov_b32 v22, s2
	s_and_b32 s31, exec_lo, s30
	s_mov_b64 s[2:3], s[6:7]
	s_or_b32 s28, s31, s28
	s_delay_alu instid0(SALU_CYCLE_1)
	s_and_not1_b32 exec_lo, exec_lo, s28
	s_cbranch_execz .LBB325_49
.LBB325_47:                             ; =>This Inner Loop Header: Depth=1
	s_or_b32 s30, s30, exec_lo
	s_cmp_eq_u64 s[22:23], s[2:3]
	s_cbranch_scc0 .LBB325_45
; %bb.48:                               ;   in Loop: Header=BB325_47 Depth=1
	s_mov_b64 s[2:3], s[22:23]
                                        ; implicit-def: $sgpr6_sgpr7
	s_branch .LBB325_46
.LBB325_49:
	s_set_inst_prefetch_distance 0x2
	s_or_b32 exec_lo, exec_lo, s28
	v_cmp_gt_i64_e32 vcc_lo, s[22:23], v[22:23]
	s_or_not1_b32 s28, vcc_lo, exec_lo
.LBB325_50:
	s_or_b32 exec_lo, exec_lo, s29
.LBB325_51:
	v_mul_lo_u32 v18, v12, s22
	v_mul_lo_u32 v21, v11, s23
	v_mad_u64_u32 v[19:20], null, v11, s22, 0
	s_and_not1_b32 vcc_lo, exec_lo, s24
	s_delay_alu instid0(VALU_DEP_1)
	v_add3_u32 v25, v20, v21, v18
	s_cbranch_vccnz .LBB325_60
; %bb.52:
	s_delay_alu instid0(VALU_DEP_2) | instskip(NEXT) | instid1(VALU_DEP_2)
	v_add_co_u32 v20, vcc_lo, s8, v19
	v_add_co_ci_u32_e32 v21, vcc_lo, s9, v25, vcc_lo
	v_add_co_u32 v17, vcc_lo, s8, v17
	v_add_co_ci_u32_e32 v18, vcc_lo, s9, v27, vcc_lo
	s_mov_b32 s27, -1
	s_clause 0x1
	global_load_u8 v22, v[20:21], off
	global_load_u8 v23, v[17:18], off
	s_mov_b32 s29, exec_lo
	s_waitcnt vmcnt(0)
	v_cmpx_eq_u16_e64 v22, v23
	s_cbranch_execz .LBB325_59
; %bb.53:
	s_mov_b64 s[2:3], 1
	s_mov_b32 s27, 0
                                        ; implicit-def: $sgpr30
	s_set_inst_prefetch_distance 0x1
	s_branch .LBB325_56
	.p2align	6
.LBB325_54:                             ;   in Loop: Header=BB325_56 Depth=1
	v_add_co_u32 v22, vcc_lo, v20, s2
	v_add_co_ci_u32_e32 v23, vcc_lo, s3, v21, vcc_lo
	v_add_co_u32 v26, vcc_lo, v17, s2
	v_add_co_ci_u32_e32 v27, vcc_lo, s3, v18, vcc_lo
	s_add_u32 s6, s2, 1
	s_clause 0x1
	global_load_u8 v22, v[22:23], off
	global_load_u8 v23, v[26:27], off
	s_addc_u32 s7, s3, 0
	s_and_not1_b32 s30, s30, exec_lo
	s_waitcnt vmcnt(0)
	v_cmp_ne_u16_e32 vcc_lo, v22, v23
	s_and_b32 s31, vcc_lo, exec_lo
	s_delay_alu instid0(SALU_CYCLE_1)
	s_or_b32 s30, s30, s31
.LBB325_55:                             ;   in Loop: Header=BB325_56 Depth=1
	v_dual_mov_b32 v23, s3 :: v_dual_mov_b32 v22, s2
	s_and_b32 s31, exec_lo, s30
	s_mov_b64 s[2:3], s[6:7]
	s_or_b32 s27, s31, s27
	s_delay_alu instid0(SALU_CYCLE_1)
	s_and_not1_b32 exec_lo, exec_lo, s27
	s_cbranch_execz .LBB325_58
.LBB325_56:                             ; =>This Inner Loop Header: Depth=1
	s_or_b32 s30, s30, exec_lo
	s_cmp_eq_u64 s[22:23], s[2:3]
	s_cbranch_scc0 .LBB325_54
; %bb.57:                               ;   in Loop: Header=BB325_56 Depth=1
	s_mov_b64 s[2:3], s[22:23]
                                        ; implicit-def: $sgpr6_sgpr7
	s_branch .LBB325_55
.LBB325_58:
	s_set_inst_prefetch_distance 0x2
	s_or_b32 exec_lo, exec_lo, s27
	v_cmp_gt_i64_e32 vcc_lo, s[22:23], v[22:23]
	s_or_not1_b32 s27, vcc_lo, exec_lo
.LBB325_59:
	s_or_b32 exec_lo, exec_lo, s29
.LBB325_60:
	v_mul_lo_u32 v20, v10, s22
	v_mul_lo_u32 v21, v9, s23
	v_mad_u64_u32 v[17:18], null, v9, s22, 0
	s_mov_b32 s29, 0
	s_and_not1_b32 vcc_lo, exec_lo, s24
	s_mov_b32 s30, 0
	s_delay_alu instid0(VALU_DEP_1)
	v_add3_u32 v27, v18, v21, v20
	s_cbranch_vccnz .LBB325_69
; %bb.61:
	s_delay_alu instid0(VALU_DEP_2) | instskip(NEXT) | instid1(VALU_DEP_2)
	v_add_co_u32 v20, vcc_lo, s8, v17
	v_add_co_ci_u32_e32 v21, vcc_lo, s9, v27, vcc_lo
	v_add_co_u32 v18, vcc_lo, s8, v19
	v_add_co_ci_u32_e32 v19, vcc_lo, s9, v25, vcc_lo
	s_mov_b32 s30, -1
	s_clause 0x1
	global_load_u8 v22, v[20:21], off
	global_load_u8 v23, v[18:19], off
	s_mov_b32 s31, exec_lo
	s_waitcnt vmcnt(0)
	v_cmpx_eq_u16_e64 v22, v23
	s_cbranch_execz .LBB325_68
; %bb.62:
	s_mov_b64 s[2:3], 1
	s_mov_b32 s30, 0
                                        ; implicit-def: $sgpr33
	s_set_inst_prefetch_distance 0x1
	s_branch .LBB325_65
	.p2align	6
.LBB325_63:                             ;   in Loop: Header=BB325_65 Depth=1
	v_add_co_u32 v22, vcc_lo, v20, s2
	v_add_co_ci_u32_e32 v23, vcc_lo, s3, v21, vcc_lo
	v_add_co_u32 v25, vcc_lo, v18, s2
	v_add_co_ci_u32_e32 v26, vcc_lo, s3, v19, vcc_lo
	s_add_u32 s6, s2, 1
	s_clause 0x1
	global_load_u8 v22, v[22:23], off
	global_load_u8 v23, v[25:26], off
	s_addc_u32 s7, s3, 0
	s_and_not1_b32 s33, s33, exec_lo
	s_waitcnt vmcnt(0)
	v_cmp_ne_u16_e32 vcc_lo, v22, v23
	s_and_b32 s34, vcc_lo, exec_lo
	s_delay_alu instid0(SALU_CYCLE_1)
	s_or_b32 s33, s33, s34
.LBB325_64:                             ;   in Loop: Header=BB325_65 Depth=1
	v_dual_mov_b32 v23, s3 :: v_dual_mov_b32 v22, s2
	s_and_b32 s34, exec_lo, s33
	s_mov_b64 s[2:3], s[6:7]
	s_or_b32 s30, s34, s30
	s_delay_alu instid0(SALU_CYCLE_1)
	s_and_not1_b32 exec_lo, exec_lo, s30
	s_cbranch_execz .LBB325_67
.LBB325_65:                             ; =>This Inner Loop Header: Depth=1
	s_or_b32 s33, s33, exec_lo
	s_cmp_eq_u64 s[22:23], s[2:3]
	s_cbranch_scc0 .LBB325_63
; %bb.66:                               ;   in Loop: Header=BB325_65 Depth=1
	s_mov_b64 s[2:3], s[22:23]
                                        ; implicit-def: $sgpr6_sgpr7
	s_branch .LBB325_64
.LBB325_67:
	s_set_inst_prefetch_distance 0x2
	s_or_b32 exec_lo, exec_lo, s30
	v_cmp_gt_i64_e32 vcc_lo, s[22:23], v[22:23]
	s_or_not1_b32 s30, vcc_lo, exec_lo
.LBB325_68:
	s_or_b32 exec_lo, exec_lo, s31
.LBB325_69:
	v_mul_lo_u32 v18, v16, s22
	v_mul_lo_u32 v21, v15, s23
	v_mad_u64_u32 v[19:20], null, v15, s22, 0
	s_and_not1_b32 vcc_lo, exec_lo, s24
	s_delay_alu instid0(VALU_DEP_1)
	v_add3_u32 v26, v20, v21, v18
	s_cbranch_vccnz .LBB325_78
; %bb.70:
	s_delay_alu instid0(VALU_DEP_2) | instskip(NEXT) | instid1(VALU_DEP_2)
	v_add_co_u32 v20, vcc_lo, s8, v19
	v_add_co_ci_u32_e32 v21, vcc_lo, s9, v26, vcc_lo
	v_add_co_u32 v17, vcc_lo, s8, v17
	v_add_co_ci_u32_e32 v18, vcc_lo, s9, v27, vcc_lo
	s_mov_b32 s29, -1
	s_clause 0x1
	global_load_u8 v22, v[20:21], off
	global_load_u8 v23, v[17:18], off
	s_mov_b32 s31, exec_lo
	s_waitcnt vmcnt(0)
	v_cmpx_eq_u16_e64 v22, v23
	s_cbranch_execz .LBB325_77
; %bb.71:
	s_mov_b64 s[2:3], 1
	s_mov_b32 s29, 0
                                        ; implicit-def: $sgpr33
	s_set_inst_prefetch_distance 0x1
	s_branch .LBB325_74
	.p2align	6
.LBB325_72:                             ;   in Loop: Header=BB325_74 Depth=1
	v_add_co_u32 v22, vcc_lo, v20, s2
	v_add_co_ci_u32_e32 v23, vcc_lo, s3, v21, vcc_lo
	v_add_co_u32 v27, vcc_lo, v17, s2
	v_add_co_ci_u32_e32 v28, vcc_lo, s3, v18, vcc_lo
	s_add_u32 s6, s2, 1
	s_clause 0x1
	global_load_u8 v22, v[22:23], off
	global_load_u8 v23, v[27:28], off
	s_addc_u32 s7, s3, 0
	s_and_not1_b32 s33, s33, exec_lo
	s_waitcnt vmcnt(0)
	v_cmp_ne_u16_e32 vcc_lo, v22, v23
	s_and_b32 s34, vcc_lo, exec_lo
	s_delay_alu instid0(SALU_CYCLE_1)
	s_or_b32 s33, s33, s34
.LBB325_73:                             ;   in Loop: Header=BB325_74 Depth=1
	v_dual_mov_b32 v23, s3 :: v_dual_mov_b32 v22, s2
	s_and_b32 s34, exec_lo, s33
	s_mov_b64 s[2:3], s[6:7]
	s_or_b32 s29, s34, s29
	s_delay_alu instid0(SALU_CYCLE_1)
	s_and_not1_b32 exec_lo, exec_lo, s29
	s_cbranch_execz .LBB325_76
.LBB325_74:                             ; =>This Inner Loop Header: Depth=1
	s_or_b32 s33, s33, exec_lo
	s_cmp_eq_u64 s[22:23], s[2:3]
	s_cbranch_scc0 .LBB325_72
; %bb.75:                               ;   in Loop: Header=BB325_74 Depth=1
	s_mov_b64 s[2:3], s[22:23]
                                        ; implicit-def: $sgpr6_sgpr7
	s_branch .LBB325_73
.LBB325_76:
	s_set_inst_prefetch_distance 0x2
	s_or_b32 exec_lo, exec_lo, s29
	v_cmp_gt_i64_e32 vcc_lo, s[22:23], v[22:23]
	s_or_not1_b32 s29, vcc_lo, exec_lo
.LBB325_77:
	s_or_b32 exec_lo, exec_lo, s31
.LBB325_78:
	v_mul_lo_u32 v20, v14, s22
	v_mul_lo_u32 v21, v13, s23
	v_mad_u64_u32 v[17:18], null, v13, s22, 0
	s_and_not1_b32 vcc_lo, exec_lo, s24
	s_mov_b32 s2, 0
	s_delay_alu instid0(VALU_DEP_1)
	v_add3_u32 v25, v18, v21, v20
	s_cbranch_vccnz .LBB325_87
; %bb.79:
	s_delay_alu instid0(VALU_DEP_2) | instskip(NEXT) | instid1(VALU_DEP_2)
	v_add_co_u32 v20, vcc_lo, s8, v17
	v_add_co_ci_u32_e32 v21, vcc_lo, s9, v25, vcc_lo
	v_add_co_u32 v18, vcc_lo, s8, v19
	v_add_co_ci_u32_e32 v19, vcc_lo, s9, v26, vcc_lo
	s_mov_b32 s2, -1
	s_clause 0x1
	global_load_u8 v22, v[20:21], off
	global_load_u8 v23, v[18:19], off
	s_mov_b32 s31, exec_lo
	s_waitcnt vmcnt(0)
	v_cmpx_eq_u16_e64 v22, v23
	s_cbranch_execz .LBB325_86
; %bb.80:
	s_mov_b64 s[2:3], 1
	s_mov_b32 s33, 0
                                        ; implicit-def: $sgpr34
	s_set_inst_prefetch_distance 0x1
	s_branch .LBB325_83
	.p2align	6
.LBB325_81:                             ;   in Loop: Header=BB325_83 Depth=1
	v_add_co_u32 v22, vcc_lo, v20, s2
	v_add_co_ci_u32_e32 v23, vcc_lo, s3, v21, vcc_lo
	v_add_co_u32 v26, vcc_lo, v18, s2
	v_add_co_ci_u32_e32 v27, vcc_lo, s3, v19, vcc_lo
	s_add_u32 s6, s2, 1
	s_clause 0x1
	global_load_u8 v22, v[22:23], off
	global_load_u8 v23, v[26:27], off
	s_addc_u32 s7, s3, 0
	s_and_not1_b32 s34, s34, exec_lo
	s_waitcnt vmcnt(0)
	v_cmp_ne_u16_e32 vcc_lo, v22, v23
	s_and_b32 s35, vcc_lo, exec_lo
	s_delay_alu instid0(SALU_CYCLE_1)
	s_or_b32 s34, s34, s35
.LBB325_82:                             ;   in Loop: Header=BB325_83 Depth=1
	v_dual_mov_b32 v23, s3 :: v_dual_mov_b32 v22, s2
	s_and_b32 s35, exec_lo, s34
	s_mov_b64 s[2:3], s[6:7]
	s_or_b32 s33, s35, s33
	s_delay_alu instid0(SALU_CYCLE_1)
	s_and_not1_b32 exec_lo, exec_lo, s33
	s_cbranch_execz .LBB325_85
.LBB325_83:                             ; =>This Inner Loop Header: Depth=1
	s_or_b32 s34, s34, exec_lo
	s_cmp_eq_u64 s[22:23], s[2:3]
	s_cbranch_scc0 .LBB325_81
; %bb.84:                               ;   in Loop: Header=BB325_83 Depth=1
	s_mov_b64 s[2:3], s[22:23]
                                        ; implicit-def: $sgpr6_sgpr7
	s_branch .LBB325_82
.LBB325_85:
	s_set_inst_prefetch_distance 0x2
	s_or_b32 exec_lo, exec_lo, s33
	v_cmp_gt_i64_e32 vcc_lo, s[22:23], v[22:23]
	s_or_not1_b32 s2, vcc_lo, exec_lo
.LBB325_86:
	s_or_b32 exec_lo, exec_lo, s31
.LBB325_87:
	s_waitcnt lgkmcnt(0)
	v_dual_mov_b32 v21, s5 :: v_dual_mov_b32 v20, s4
	s_mov_b32 s3, exec_lo
	s_barrier
	buffer_gl0_inv
	v_cmpx_ne_u32_e32 0, v0
	s_cbranch_execz .LBB325_89
; %bb.88:
	v_add_nc_u32_e32 v18, -8, v39
	ds_load_b64 v[20:21], v18
.LBB325_89:
	s_or_b32 exec_lo, exec_lo, s3
	v_cndmask_b32_e64 v19, 0, 1, s30
	v_cndmask_b32_e64 v23, 0, 1, s28
	;; [unrolled: 1-line block ×7, first 2 shown]
	v_lshlrev_b16 v19, 8, v19
	v_lshlrev_b16 v23, 8, v23
	;; [unrolled: 1-line block ×4, first 2 shown]
	s_mov_b32 s25, 0
	v_or_b32_e32 v18, v18, v19
	v_or_b32_e32 v19, v22, v23
	;; [unrolled: 1-line block ×3, first 2 shown]
	v_and_b32_e32 v26, 0xffff, v27
	s_and_not1_b32 vcc_lo, exec_lo, s24
	v_lshlrev_b32_e32 v27, 16, v18
	v_and_b32_e32 v28, 0xffff, v19
	v_lshlrev_b32_e32 v29, 16, v22
	s_mov_b32 s2, 0
	s_cbranch_vccnz .LBB325_98
; %bb.90:
	s_waitcnt lgkmcnt(0)
	v_mad_u64_u32 v[18:19], null, v20, s22, s[8:9]
	v_mul_lo_u32 v20, v20, s23
	v_mul_lo_u32 v21, v21, s22
	s_mov_b32 s2, -1
	s_mov_b32 s26, exec_lo
	s_delay_alu instid0(VALU_DEP_1)
	v_add3_u32 v19, v21, v19, v20
	v_add_co_u32 v20, vcc_lo, s8, v17
	v_add_co_ci_u32_e32 v21, vcc_lo, s9, v25, vcc_lo
	s_clause 0x1
	global_load_u8 v17, v[18:19], off
	global_load_u8 v22, v[20:21], off
	s_waitcnt vmcnt(0)
	v_cmpx_eq_u16_e64 v17, v22
	s_cbranch_execz .LBB325_97
; %bb.91:
	s_mov_b64 s[2:3], 1
	s_mov_b32 s27, 0
                                        ; implicit-def: $sgpr28
	s_set_inst_prefetch_distance 0x1
	s_branch .LBB325_94
	.p2align	6
.LBB325_92:                             ;   in Loop: Header=BB325_94 Depth=1
	v_add_co_u32 v22, vcc_lo, v18, s2
	v_add_co_ci_u32_e32 v23, vcc_lo, s3, v19, vcc_lo
	v_add_co_u32 v30, vcc_lo, v20, s2
	v_add_co_ci_u32_e32 v31, vcc_lo, s3, v21, vcc_lo
	s_add_u32 s6, s2, 1
	s_clause 0x1
	global_load_u8 v17, v[22:23], off
	global_load_u8 v22, v[30:31], off
	s_addc_u32 s7, s3, 0
	s_and_not1_b32 s28, s28, exec_lo
	s_waitcnt vmcnt(0)
	v_cmp_ne_u16_e32 vcc_lo, v17, v22
	s_and_b32 s29, vcc_lo, exec_lo
	s_delay_alu instid0(SALU_CYCLE_1)
	s_or_b32 s28, s28, s29
.LBB325_93:                             ;   in Loop: Header=BB325_94 Depth=1
	v_dual_mov_b32 v23, s3 :: v_dual_mov_b32 v22, s2
	s_and_b32 s29, exec_lo, s28
	s_mov_b64 s[2:3], s[6:7]
	s_or_b32 s27, s29, s27
	s_delay_alu instid0(SALU_CYCLE_1)
	s_and_not1_b32 exec_lo, exec_lo, s27
	s_cbranch_execz .LBB325_96
.LBB325_94:                             ; =>This Inner Loop Header: Depth=1
	s_or_b32 s28, s28, exec_lo
	s_cmp_eq_u64 s[22:23], s[2:3]
	s_cbranch_scc0 .LBB325_92
; %bb.95:                               ;   in Loop: Header=BB325_94 Depth=1
	s_mov_b64 s[2:3], s[22:23]
                                        ; implicit-def: $sgpr6_sgpr7
	s_branch .LBB325_93
.LBB325_96:
	s_set_inst_prefetch_distance 0x2
	s_or_b32 exec_lo, exec_lo, s27
	v_cmp_gt_i64_e32 vcc_lo, s[22:23], v[22:23]
	s_or_not1_b32 s2, vcc_lo, exec_lo
.LBB325_97:
	s_or_b32 exec_lo, exec_lo, s26
.LBB325_98:
	v_or_b32_e32 v17, v26, v27
	s_delay_alu instid0(VALU_DEP_2)
	v_or_b32_e32 v18, v28, v29
	s_and_b32 vcc_lo, exec_lo, s25
	s_cbranch_vccz .LBB325_190
.LBB325_99:
	v_or_b32_e32 v17, 7, v39
	s_mov_b32 s25, 0
	s_mov_b32 s26, 0
	s_mov_b32 s27, exec_lo
	s_delay_alu instid0(VALU_DEP_1)
	v_cmpx_gt_u32_e64 s20, v17
	s_cbranch_execz .LBB325_110
; %bb.100:
	s_and_not1_b32 vcc_lo, exec_lo, s24
	s_mov_b32 s2, 0
	s_cbranch_vccnz .LBB325_109
; %bb.101:
	v_mad_u64_u32 v[17:18], null, v1, s22, s[8:9]
	s_waitcnt lgkmcnt(0)
	v_mul_lo_u32 v21, v1, s23
	v_mul_lo_u32 v22, v2, s22
	v_mad_u64_u32 v[19:20], null, v3, s22, s[8:9]
	v_mul_lo_u32 v23, v3, s23
	v_mul_lo_u32 v25, v4, s22
	s_mov_b32 s2, -1
	s_mov_b32 s24, exec_lo
	s_delay_alu instid0(VALU_DEP_4) | instskip(NEXT) | instid1(VALU_DEP_2)
	v_add3_u32 v18, v22, v18, v21
	v_add3_u32 v20, v25, v20, v23
	s_clause 0x1
	global_load_u8 v21, v[17:18], off
	global_load_u8 v22, v[19:20], off
	s_waitcnt vmcnt(0)
	v_cmpx_eq_u16_e64 v21, v22
	s_cbranch_execz .LBB325_108
; %bb.102:
	s_mov_b64 s[2:3], 1
                                        ; implicit-def: $sgpr28
	s_set_inst_prefetch_distance 0x1
	s_branch .LBB325_105
	.p2align	6
.LBB325_103:                            ;   in Loop: Header=BB325_105 Depth=1
	v_add_co_u32 v21, vcc_lo, v17, s2
	v_add_co_ci_u32_e32 v22, vcc_lo, s3, v18, vcc_lo
	v_add_co_u32 v25, vcc_lo, v19, s2
	v_add_co_ci_u32_e32 v26, vcc_lo, s3, v20, vcc_lo
	s_add_u32 s6, s2, 1
	s_clause 0x1
	global_load_u8 v21, v[21:22], off
	global_load_u8 v22, v[25:26], off
	s_addc_u32 s7, s3, 0
	s_and_not1_b32 s28, s28, exec_lo
	s_waitcnt vmcnt(0)
	v_cmp_ne_u16_e32 vcc_lo, v21, v22
	s_and_b32 s29, vcc_lo, exec_lo
	s_delay_alu instid0(SALU_CYCLE_1)
	s_or_b32 s28, s28, s29
.LBB325_104:                            ;   in Loop: Header=BB325_105 Depth=1
	v_dual_mov_b32 v22, s3 :: v_dual_mov_b32 v21, s2
	s_and_b32 s29, exec_lo, s28
	s_mov_b64 s[2:3], s[6:7]
	s_or_b32 s26, s29, s26
	s_delay_alu instid0(SALU_CYCLE_1)
	s_and_not1_b32 exec_lo, exec_lo, s26
	s_cbranch_execz .LBB325_107
.LBB325_105:                            ; =>This Inner Loop Header: Depth=1
	s_or_b32 s28, s28, exec_lo
	s_cmp_eq_u64 s[22:23], s[2:3]
	s_cbranch_scc0 .LBB325_103
; %bb.106:                              ;   in Loop: Header=BB325_105 Depth=1
	s_mov_b64 s[2:3], s[22:23]
                                        ; implicit-def: $sgpr6_sgpr7
	s_branch .LBB325_104
.LBB325_107:
	s_set_inst_prefetch_distance 0x2
	s_or_b32 exec_lo, exec_lo, s26
	v_cmp_gt_i64_e32 vcc_lo, s[22:23], v[21:22]
	s_or_not1_b32 s2, vcc_lo, exec_lo
.LBB325_108:
	s_or_b32 exec_lo, exec_lo, s24
.LBB325_109:
	s_delay_alu instid0(SALU_CYCLE_1)
	s_and_b32 s26, s2, exec_lo
.LBB325_110:
	s_or_b32 exec_lo, exec_lo, s27
	v_or_b32_e32 v17, 6, v39
	s_mov_b32 s24, exec_lo
	s_delay_alu instid0(VALU_DEP_1)
	v_cmpx_gt_u32_e64 s20, v17
	s_cbranch_execz .LBB325_121
; %bb.111:
	v_cmp_ne_u32_e32 vcc_lo, 1, v24
	s_mov_b32 s2, 0
	s_cbranch_vccnz .LBB325_120
; %bb.112:
	v_mad_u64_u32 v[17:18], null, v7, s22, s[8:9]
	s_waitcnt lgkmcnt(0)
	v_mul_lo_u32 v21, v7, s23
	v_mul_lo_u32 v22, v8, s22
	v_mad_u64_u32 v[19:20], null, v1, s22, s[8:9]
	v_mul_lo_u32 v23, v1, s23
	v_mul_lo_u32 v25, v2, s22
	s_mov_b32 s2, -1
	s_mov_b32 s25, exec_lo
	s_delay_alu instid0(VALU_DEP_4) | instskip(NEXT) | instid1(VALU_DEP_2)
	v_add3_u32 v18, v22, v18, v21
	v_add3_u32 v20, v25, v20, v23
	s_clause 0x1
	global_load_u8 v21, v[17:18], off
	global_load_u8 v22, v[19:20], off
	s_waitcnt vmcnt(0)
	v_cmpx_eq_u16_e64 v21, v22
	s_cbranch_execz .LBB325_119
; %bb.113:
	s_mov_b64 s[2:3], 1
	s_mov_b32 s27, 0
                                        ; implicit-def: $sgpr28
	s_set_inst_prefetch_distance 0x1
	s_branch .LBB325_116
	.p2align	6
.LBB325_114:                            ;   in Loop: Header=BB325_116 Depth=1
	v_add_co_u32 v21, vcc_lo, v17, s2
	v_add_co_ci_u32_e32 v22, vcc_lo, s3, v18, vcc_lo
	v_add_co_u32 v25, vcc_lo, v19, s2
	v_add_co_ci_u32_e32 v26, vcc_lo, s3, v20, vcc_lo
	s_add_u32 s6, s2, 1
	s_clause 0x1
	global_load_u8 v21, v[21:22], off
	global_load_u8 v22, v[25:26], off
	s_addc_u32 s7, s3, 0
	s_and_not1_b32 s28, s28, exec_lo
	s_waitcnt vmcnt(0)
	v_cmp_ne_u16_e32 vcc_lo, v21, v22
	s_and_b32 s29, vcc_lo, exec_lo
	s_delay_alu instid0(SALU_CYCLE_1)
	s_or_b32 s28, s28, s29
.LBB325_115:                            ;   in Loop: Header=BB325_116 Depth=1
	v_dual_mov_b32 v22, s3 :: v_dual_mov_b32 v21, s2
	s_and_b32 s29, exec_lo, s28
	s_mov_b64 s[2:3], s[6:7]
	s_or_b32 s27, s29, s27
	s_delay_alu instid0(SALU_CYCLE_1)
	s_and_not1_b32 exec_lo, exec_lo, s27
	s_cbranch_execz .LBB325_118
.LBB325_116:                            ; =>This Inner Loop Header: Depth=1
	s_or_b32 s28, s28, exec_lo
	s_cmp_eq_u64 s[22:23], s[2:3]
	s_cbranch_scc0 .LBB325_114
; %bb.117:                              ;   in Loop: Header=BB325_116 Depth=1
	s_mov_b64 s[2:3], s[22:23]
                                        ; implicit-def: $sgpr6_sgpr7
	s_branch .LBB325_115
.LBB325_118:
	s_set_inst_prefetch_distance 0x2
	s_or_b32 exec_lo, exec_lo, s27
	v_cmp_gt_i64_e32 vcc_lo, s[22:23], v[21:22]
	s_or_not1_b32 s2, vcc_lo, exec_lo
.LBB325_119:
	s_or_b32 exec_lo, exec_lo, s25
.LBB325_120:
	s_delay_alu instid0(SALU_CYCLE_1)
	s_and_b32 s25, s2, exec_lo
.LBB325_121:
	s_or_b32 exec_lo, exec_lo, s24
	v_or_b32_e32 v17, 5, v39
	s_mov_b32 s27, 0
	s_mov_b32 s24, 0
	s_mov_b32 s28, exec_lo
	s_delay_alu instid0(VALU_DEP_1)
	v_cmpx_gt_u32_e64 s20, v17
	s_cbranch_execz .LBB325_132
; %bb.122:
	v_cmp_ne_u32_e32 vcc_lo, 1, v24
	s_mov_b32 s2, 0
	s_cbranch_vccnz .LBB325_131
; %bb.123:
	v_mad_u64_u32 v[17:18], null, v5, s22, s[8:9]
	s_waitcnt lgkmcnt(0)
	v_mul_lo_u32 v21, v5, s23
	v_mul_lo_u32 v22, v6, s22
	v_mad_u64_u32 v[19:20], null, v7, s22, s[8:9]
	v_mul_lo_u32 v23, v7, s23
	v_mul_lo_u32 v25, v8, s22
	s_mov_b32 s2, -1
	s_mov_b32 s24, exec_lo
	s_delay_alu instid0(VALU_DEP_4) | instskip(NEXT) | instid1(VALU_DEP_2)
	v_add3_u32 v18, v22, v18, v21
	v_add3_u32 v20, v25, v20, v23
	s_clause 0x1
	global_load_u8 v21, v[17:18], off
	global_load_u8 v22, v[19:20], off
	s_waitcnt vmcnt(0)
	v_cmpx_eq_u16_e64 v21, v22
	s_cbranch_execz .LBB325_130
; %bb.124:
	s_mov_b64 s[2:3], 1
	s_mov_b32 s29, 0
                                        ; implicit-def: $sgpr30
	s_set_inst_prefetch_distance 0x1
	s_branch .LBB325_127
	.p2align	6
.LBB325_125:                            ;   in Loop: Header=BB325_127 Depth=1
	v_add_co_u32 v21, vcc_lo, v17, s2
	v_add_co_ci_u32_e32 v22, vcc_lo, s3, v18, vcc_lo
	v_add_co_u32 v25, vcc_lo, v19, s2
	v_add_co_ci_u32_e32 v26, vcc_lo, s3, v20, vcc_lo
	s_add_u32 s6, s2, 1
	s_clause 0x1
	global_load_u8 v21, v[21:22], off
	global_load_u8 v22, v[25:26], off
	s_addc_u32 s7, s3, 0
	s_and_not1_b32 s30, s30, exec_lo
	s_waitcnt vmcnt(0)
	v_cmp_ne_u16_e32 vcc_lo, v21, v22
	s_and_b32 s31, vcc_lo, exec_lo
	s_delay_alu instid0(SALU_CYCLE_1)
	s_or_b32 s30, s30, s31
.LBB325_126:                            ;   in Loop: Header=BB325_127 Depth=1
	v_dual_mov_b32 v22, s3 :: v_dual_mov_b32 v21, s2
	s_and_b32 s31, exec_lo, s30
	s_mov_b64 s[2:3], s[6:7]
	s_or_b32 s29, s31, s29
	s_delay_alu instid0(SALU_CYCLE_1)
	s_and_not1_b32 exec_lo, exec_lo, s29
	s_cbranch_execz .LBB325_129
.LBB325_127:                            ; =>This Inner Loop Header: Depth=1
	s_or_b32 s30, s30, exec_lo
	s_cmp_eq_u64 s[22:23], s[2:3]
	s_cbranch_scc0 .LBB325_125
; %bb.128:                              ;   in Loop: Header=BB325_127 Depth=1
	s_mov_b64 s[2:3], s[22:23]
                                        ; implicit-def: $sgpr6_sgpr7
	s_branch .LBB325_126
.LBB325_129:
	s_set_inst_prefetch_distance 0x2
	s_or_b32 exec_lo, exec_lo, s29
	v_cmp_gt_i64_e32 vcc_lo, s[22:23], v[21:22]
	s_or_not1_b32 s2, vcc_lo, exec_lo
.LBB325_130:
	s_or_b32 exec_lo, exec_lo, s24
.LBB325_131:
	s_delay_alu instid0(SALU_CYCLE_1)
	s_and_b32 s24, s2, exec_lo
.LBB325_132:
	s_or_b32 exec_lo, exec_lo, s28
	v_or_b32_e32 v17, 4, v39
	s_mov_b32 s28, exec_lo
	s_delay_alu instid0(VALU_DEP_1)
	v_cmpx_gt_u32_e64 s20, v17
	s_cbranch_execz .LBB325_143
; %bb.133:
	v_cmp_ne_u32_e32 vcc_lo, 1, v24
	s_mov_b32 s2, 0
	s_cbranch_vccnz .LBB325_142
; %bb.134:
	v_mad_u64_u32 v[17:18], null, v11, s22, s[8:9]
	s_waitcnt lgkmcnt(0)
	v_mul_lo_u32 v21, v11, s23
	v_mul_lo_u32 v22, v12, s22
	v_mad_u64_u32 v[19:20], null, v5, s22, s[8:9]
	v_mul_lo_u32 v23, v5, s23
	v_mul_lo_u32 v25, v6, s22
	s_mov_b32 s2, -1
	s_mov_b32 s27, exec_lo
	s_delay_alu instid0(VALU_DEP_4) | instskip(NEXT) | instid1(VALU_DEP_2)
	v_add3_u32 v18, v22, v18, v21
	v_add3_u32 v20, v25, v20, v23
	s_clause 0x1
	global_load_u8 v21, v[17:18], off
	global_load_u8 v22, v[19:20], off
	s_waitcnt vmcnt(0)
	v_cmpx_eq_u16_e64 v21, v22
	s_cbranch_execz .LBB325_141
; %bb.135:
	s_mov_b64 s[2:3], 1
	s_mov_b32 s29, 0
                                        ; implicit-def: $sgpr30
	s_set_inst_prefetch_distance 0x1
	s_branch .LBB325_138
	.p2align	6
.LBB325_136:                            ;   in Loop: Header=BB325_138 Depth=1
	v_add_co_u32 v21, vcc_lo, v17, s2
	v_add_co_ci_u32_e32 v22, vcc_lo, s3, v18, vcc_lo
	v_add_co_u32 v25, vcc_lo, v19, s2
	v_add_co_ci_u32_e32 v26, vcc_lo, s3, v20, vcc_lo
	s_add_u32 s6, s2, 1
	s_clause 0x1
	global_load_u8 v21, v[21:22], off
	global_load_u8 v22, v[25:26], off
	s_addc_u32 s7, s3, 0
	s_and_not1_b32 s30, s30, exec_lo
	s_waitcnt vmcnt(0)
	v_cmp_ne_u16_e32 vcc_lo, v21, v22
	s_and_b32 s31, vcc_lo, exec_lo
	s_delay_alu instid0(SALU_CYCLE_1)
	s_or_b32 s30, s30, s31
.LBB325_137:                            ;   in Loop: Header=BB325_138 Depth=1
	v_dual_mov_b32 v22, s3 :: v_dual_mov_b32 v21, s2
	s_and_b32 s31, exec_lo, s30
	s_mov_b64 s[2:3], s[6:7]
	s_or_b32 s29, s31, s29
	s_delay_alu instid0(SALU_CYCLE_1)
	s_and_not1_b32 exec_lo, exec_lo, s29
	s_cbranch_execz .LBB325_140
.LBB325_138:                            ; =>This Inner Loop Header: Depth=1
	s_or_b32 s30, s30, exec_lo
	s_cmp_eq_u64 s[22:23], s[2:3]
	s_cbranch_scc0 .LBB325_136
; %bb.139:                              ;   in Loop: Header=BB325_138 Depth=1
	s_mov_b64 s[2:3], s[22:23]
                                        ; implicit-def: $sgpr6_sgpr7
	s_branch .LBB325_137
.LBB325_140:
	s_set_inst_prefetch_distance 0x2
	s_or_b32 exec_lo, exec_lo, s29
	v_cmp_gt_i64_e32 vcc_lo, s[22:23], v[21:22]
	s_or_not1_b32 s2, vcc_lo, exec_lo
.LBB325_141:
	s_or_b32 exec_lo, exec_lo, s27
.LBB325_142:
	s_delay_alu instid0(SALU_CYCLE_1)
	s_and_b32 s27, s2, exec_lo
.LBB325_143:
	s_or_b32 exec_lo, exec_lo, s28
	v_or_b32_e32 v17, 3, v39
	s_mov_b32 s29, 0
	s_mov_b32 s28, 0
	s_mov_b32 s30, exec_lo
	s_delay_alu instid0(VALU_DEP_1)
	v_cmpx_gt_u32_e64 s20, v17
	s_cbranch_execz .LBB325_154
; %bb.144:
	v_cmp_ne_u32_e32 vcc_lo, 1, v24
	s_mov_b32 s2, 0
	s_cbranch_vccnz .LBB325_153
; %bb.145:
	v_mad_u64_u32 v[17:18], null, v9, s22, s[8:9]
	s_waitcnt lgkmcnt(0)
	v_mul_lo_u32 v21, v9, s23
	v_mul_lo_u32 v22, v10, s22
	v_mad_u64_u32 v[19:20], null, v11, s22, s[8:9]
	v_mul_lo_u32 v23, v11, s23
	v_mul_lo_u32 v25, v12, s22
	s_mov_b32 s2, -1
	s_mov_b32 s28, exec_lo
	s_delay_alu instid0(VALU_DEP_4) | instskip(NEXT) | instid1(VALU_DEP_2)
	v_add3_u32 v18, v22, v18, v21
	v_add3_u32 v20, v25, v20, v23
	s_clause 0x1
	global_load_u8 v21, v[17:18], off
	global_load_u8 v22, v[19:20], off
	s_waitcnt vmcnt(0)
	v_cmpx_eq_u16_e64 v21, v22
	s_cbranch_execz .LBB325_152
; %bb.146:
	s_mov_b64 s[2:3], 1
	s_mov_b32 s31, 0
                                        ; implicit-def: $sgpr33
	s_set_inst_prefetch_distance 0x1
	s_branch .LBB325_149
	.p2align	6
.LBB325_147:                            ;   in Loop: Header=BB325_149 Depth=1
	v_add_co_u32 v21, vcc_lo, v17, s2
	v_add_co_ci_u32_e32 v22, vcc_lo, s3, v18, vcc_lo
	v_add_co_u32 v25, vcc_lo, v19, s2
	v_add_co_ci_u32_e32 v26, vcc_lo, s3, v20, vcc_lo
	s_add_u32 s6, s2, 1
	s_clause 0x1
	global_load_u8 v21, v[21:22], off
	global_load_u8 v22, v[25:26], off
	s_addc_u32 s7, s3, 0
	s_and_not1_b32 s33, s33, exec_lo
	s_waitcnt vmcnt(0)
	v_cmp_ne_u16_e32 vcc_lo, v21, v22
	s_and_b32 s34, vcc_lo, exec_lo
	s_delay_alu instid0(SALU_CYCLE_1)
	s_or_b32 s33, s33, s34
.LBB325_148:                            ;   in Loop: Header=BB325_149 Depth=1
	v_dual_mov_b32 v22, s3 :: v_dual_mov_b32 v21, s2
	s_and_b32 s34, exec_lo, s33
	s_mov_b64 s[2:3], s[6:7]
	s_or_b32 s31, s34, s31
	s_delay_alu instid0(SALU_CYCLE_1)
	s_and_not1_b32 exec_lo, exec_lo, s31
	s_cbranch_execz .LBB325_151
.LBB325_149:                            ; =>This Inner Loop Header: Depth=1
	s_or_b32 s33, s33, exec_lo
	s_cmp_eq_u64 s[22:23], s[2:3]
	s_cbranch_scc0 .LBB325_147
; %bb.150:                              ;   in Loop: Header=BB325_149 Depth=1
	s_mov_b64 s[2:3], s[22:23]
                                        ; implicit-def: $sgpr6_sgpr7
	s_branch .LBB325_148
.LBB325_151:
	s_set_inst_prefetch_distance 0x2
	s_or_b32 exec_lo, exec_lo, s31
	v_cmp_gt_i64_e32 vcc_lo, s[22:23], v[21:22]
	s_or_not1_b32 s2, vcc_lo, exec_lo
.LBB325_152:
	s_or_b32 exec_lo, exec_lo, s28
.LBB325_153:
	s_delay_alu instid0(SALU_CYCLE_1)
	s_and_b32 s28, s2, exec_lo
.LBB325_154:
	s_or_b32 exec_lo, exec_lo, s30
	v_or_b32_e32 v17, 2, v39
	s_mov_b32 s30, exec_lo
	s_delay_alu instid0(VALU_DEP_1)
	v_cmpx_gt_u32_e64 s20, v17
	s_cbranch_execz .LBB325_165
; %bb.155:
	v_cmp_ne_u32_e32 vcc_lo, 1, v24
	s_mov_b32 s2, 0
	s_cbranch_vccnz .LBB325_164
; %bb.156:
	v_mad_u64_u32 v[17:18], null, v15, s22, s[8:9]
	s_waitcnt lgkmcnt(0)
	v_mul_lo_u32 v21, v15, s23
	v_mul_lo_u32 v22, v16, s22
	v_mad_u64_u32 v[19:20], null, v9, s22, s[8:9]
	v_mul_lo_u32 v23, v9, s23
	v_mul_lo_u32 v25, v10, s22
	s_mov_b32 s2, -1
	s_mov_b32 s29, exec_lo
	s_delay_alu instid0(VALU_DEP_4) | instskip(NEXT) | instid1(VALU_DEP_2)
	v_add3_u32 v18, v22, v18, v21
	v_add3_u32 v20, v25, v20, v23
	s_clause 0x1
	global_load_u8 v21, v[17:18], off
	global_load_u8 v22, v[19:20], off
	s_waitcnt vmcnt(0)
	v_cmpx_eq_u16_e64 v21, v22
	s_cbranch_execz .LBB325_163
; %bb.157:
	s_mov_b64 s[2:3], 1
	s_mov_b32 s31, 0
                                        ; implicit-def: $sgpr33
	s_set_inst_prefetch_distance 0x1
	s_branch .LBB325_160
	.p2align	6
.LBB325_158:                            ;   in Loop: Header=BB325_160 Depth=1
	v_add_co_u32 v21, vcc_lo, v17, s2
	v_add_co_ci_u32_e32 v22, vcc_lo, s3, v18, vcc_lo
	v_add_co_u32 v25, vcc_lo, v19, s2
	v_add_co_ci_u32_e32 v26, vcc_lo, s3, v20, vcc_lo
	s_add_u32 s6, s2, 1
	s_clause 0x1
	global_load_u8 v21, v[21:22], off
	global_load_u8 v22, v[25:26], off
	s_addc_u32 s7, s3, 0
	s_and_not1_b32 s33, s33, exec_lo
	s_waitcnt vmcnt(0)
	v_cmp_ne_u16_e32 vcc_lo, v21, v22
	s_and_b32 s34, vcc_lo, exec_lo
	s_delay_alu instid0(SALU_CYCLE_1)
	s_or_b32 s33, s33, s34
.LBB325_159:                            ;   in Loop: Header=BB325_160 Depth=1
	v_dual_mov_b32 v22, s3 :: v_dual_mov_b32 v21, s2
	s_and_b32 s34, exec_lo, s33
	s_mov_b64 s[2:3], s[6:7]
	s_or_b32 s31, s34, s31
	s_delay_alu instid0(SALU_CYCLE_1)
	s_and_not1_b32 exec_lo, exec_lo, s31
	s_cbranch_execz .LBB325_162
.LBB325_160:                            ; =>This Inner Loop Header: Depth=1
	s_or_b32 s33, s33, exec_lo
	s_cmp_eq_u64 s[22:23], s[2:3]
	s_cbranch_scc0 .LBB325_158
; %bb.161:                              ;   in Loop: Header=BB325_160 Depth=1
	s_mov_b64 s[2:3], s[22:23]
                                        ; implicit-def: $sgpr6_sgpr7
	s_branch .LBB325_159
.LBB325_162:
	s_set_inst_prefetch_distance 0x2
	s_or_b32 exec_lo, exec_lo, s31
	v_cmp_gt_i64_e32 vcc_lo, s[22:23], v[21:22]
	s_or_not1_b32 s2, vcc_lo, exec_lo
.LBB325_163:
	s_or_b32 exec_lo, exec_lo, s29
.LBB325_164:
	s_delay_alu instid0(SALU_CYCLE_1)
	s_and_b32 s29, s2, exec_lo
.LBB325_165:
	s_or_b32 exec_lo, exec_lo, s30
	v_or_b32_e32 v17, 1, v39
	s_mov_b32 s2, 0
	s_mov_b32 s30, exec_lo
	s_delay_alu instid0(VALU_DEP_1)
	v_cmpx_gt_u32_e64 s20, v17
	s_cbranch_execz .LBB325_176
; %bb.166:
	v_cmp_ne_u32_e32 vcc_lo, 1, v24
	s_cbranch_vccnz .LBB325_175
; %bb.167:
	v_mad_u64_u32 v[17:18], null, v13, s22, s[8:9]
	s_waitcnt lgkmcnt(0)
	v_mul_lo_u32 v21, v13, s23
	v_mul_lo_u32 v22, v14, s22
	v_mad_u64_u32 v[19:20], null, v15, s22, s[8:9]
	v_mul_lo_u32 v23, v15, s23
	v_mul_lo_u32 v25, v16, s22
	s_mov_b32 s2, -1
	s_mov_b32 s31, exec_lo
	s_delay_alu instid0(VALU_DEP_4) | instskip(NEXT) | instid1(VALU_DEP_2)
	v_add3_u32 v18, v22, v18, v21
	v_add3_u32 v20, v25, v20, v23
	s_clause 0x1
	global_load_u8 v21, v[17:18], off
	global_load_u8 v22, v[19:20], off
	s_waitcnt vmcnt(0)
	v_cmpx_eq_u16_e64 v21, v22
	s_cbranch_execz .LBB325_174
; %bb.168:
	s_mov_b64 s[2:3], 1
	s_mov_b32 s33, 0
                                        ; implicit-def: $sgpr34
	s_set_inst_prefetch_distance 0x1
	s_branch .LBB325_171
	.p2align	6
.LBB325_169:                            ;   in Loop: Header=BB325_171 Depth=1
	v_add_co_u32 v21, vcc_lo, v17, s2
	v_add_co_ci_u32_e32 v22, vcc_lo, s3, v18, vcc_lo
	v_add_co_u32 v25, vcc_lo, v19, s2
	v_add_co_ci_u32_e32 v26, vcc_lo, s3, v20, vcc_lo
	s_add_u32 s6, s2, 1
	s_clause 0x1
	global_load_u8 v21, v[21:22], off
	global_load_u8 v22, v[25:26], off
	s_addc_u32 s7, s3, 0
	s_and_not1_b32 s34, s34, exec_lo
	s_waitcnt vmcnt(0)
	v_cmp_ne_u16_e32 vcc_lo, v21, v22
	s_and_b32 s35, vcc_lo, exec_lo
	s_delay_alu instid0(SALU_CYCLE_1)
	s_or_b32 s34, s34, s35
.LBB325_170:                            ;   in Loop: Header=BB325_171 Depth=1
	v_dual_mov_b32 v22, s3 :: v_dual_mov_b32 v21, s2
	s_and_b32 s35, exec_lo, s34
	s_mov_b64 s[2:3], s[6:7]
	s_or_b32 s33, s35, s33
	s_delay_alu instid0(SALU_CYCLE_1)
	s_and_not1_b32 exec_lo, exec_lo, s33
	s_cbranch_execz .LBB325_173
.LBB325_171:                            ; =>This Inner Loop Header: Depth=1
	s_or_b32 s34, s34, exec_lo
	s_cmp_eq_u64 s[22:23], s[2:3]
	s_cbranch_scc0 .LBB325_169
; %bb.172:                              ;   in Loop: Header=BB325_171 Depth=1
	s_mov_b64 s[2:3], s[22:23]
                                        ; implicit-def: $sgpr6_sgpr7
	s_branch .LBB325_170
.LBB325_173:
	s_set_inst_prefetch_distance 0x2
	s_or_b32 exec_lo, exec_lo, s33
	v_cmp_gt_i64_e32 vcc_lo, s[22:23], v[21:22]
	s_or_not1_b32 s2, vcc_lo, exec_lo
.LBB325_174:
	s_or_b32 exec_lo, exec_lo, s31
.LBB325_175:
	s_delay_alu instid0(SALU_CYCLE_1)
	s_and_b32 s2, s2, exec_lo
.LBB325_176:
	s_or_b32 exec_lo, exec_lo, s30
	s_waitcnt lgkmcnt(0)
	v_dual_mov_b32 v20, s5 :: v_dual_mov_b32 v19, s4
	s_mov_b32 s3, exec_lo
	s_barrier
	buffer_gl0_inv
	v_cmpx_ne_u32_e32 0, v0
	s_cbranch_execz .LBB325_178
; %bb.177:
	v_add_nc_u32_e32 v17, -8, v39
	ds_load_b64 v[19:20], v17
.LBB325_178:
	s_or_b32 exec_lo, exec_lo, s3
	v_cndmask_b32_e64 v18, 0, 1, s28
	v_cndmask_b32_e64 v22, 0, 1, s24
	;; [unrolled: 1-line block ×7, first 2 shown]
	v_lshlrev_b16 v18, 8, v18
	v_lshlrev_b16 v22, 8, v22
	;; [unrolled: 1-line block ×3, first 2 shown]
	s_mov_b32 s2, 0
	v_lshlrev_b16 v26, 8, v26
	v_or_b32_e32 v17, v17, v18
	v_or_b32_e32 v18, v21, v22
	;; [unrolled: 1-line block ×3, first 2 shown]
	s_mov_b32 s6, exec_lo
	v_and_b32_e32 v23, 0xffff, v26
	v_lshlrev_b32_e32 v25, 16, v17
	v_and_b32_e32 v26, 0xffff, v18
	v_lshlrev_b32_e32 v27, 16, v21
	v_cmpx_gt_u32_e64 s20, v39
	s_cbranch_execz .LBB325_189
; %bb.179:
	v_cmp_ne_u32_e32 vcc_lo, 1, v24
	s_cbranch_vccnz .LBB325_188
; %bb.180:
	s_waitcnt lgkmcnt(0)
	v_mad_u64_u32 v[17:18], null, v19, s22, s[8:9]
	v_mul_lo_u32 v21, v19, s23
	v_mul_lo_u32 v22, v20, s22
	v_mad_u64_u32 v[19:20], null, v13, s22, s[8:9]
	v_mul_lo_u32 v24, v13, s23
	v_mul_lo_u32 v28, v14, s22
	s_mov_b32 s2, -1
	s_mov_b32 s7, exec_lo
	s_delay_alu instid0(VALU_DEP_4) | instskip(NEXT) | instid1(VALU_DEP_2)
	v_add3_u32 v18, v22, v18, v21
	v_add3_u32 v20, v28, v20, v24
	s_clause 0x1
	global_load_u8 v21, v[17:18], off
	global_load_u8 v22, v[19:20], off
	s_waitcnt vmcnt(0)
	v_cmpx_eq_u16_e64 v21, v22
	s_cbranch_execz .LBB325_187
; %bb.181:
	s_mov_b64 s[2:3], 1
	s_mov_b32 s24, 0
                                        ; implicit-def: $sgpr25
	s_set_inst_prefetch_distance 0x1
	s_branch .LBB325_184
	.p2align	6
.LBB325_182:                            ;   in Loop: Header=BB325_184 Depth=1
	v_add_co_u32 v21, vcc_lo, v17, s2
	v_add_co_ci_u32_e32 v22, vcc_lo, s3, v18, vcc_lo
	v_add_co_u32 v28, vcc_lo, v19, s2
	v_add_co_ci_u32_e32 v29, vcc_lo, s3, v20, vcc_lo
	s_add_u32 s4, s2, 1
	s_clause 0x1
	global_load_u8 v21, v[21:22], off
	global_load_u8 v22, v[28:29], off
	s_addc_u32 s5, s3, 0
	s_and_not1_b32 s25, s25, exec_lo
	s_waitcnt vmcnt(0)
	v_cmp_ne_u16_e32 vcc_lo, v21, v22
	s_and_b32 s26, vcc_lo, exec_lo
	s_delay_alu instid0(SALU_CYCLE_1)
	s_or_b32 s25, s25, s26
.LBB325_183:                            ;   in Loop: Header=BB325_184 Depth=1
	v_dual_mov_b32 v22, s3 :: v_dual_mov_b32 v21, s2
	s_and_b32 s26, exec_lo, s25
	s_mov_b64 s[2:3], s[4:5]
	s_or_b32 s24, s26, s24
	s_delay_alu instid0(SALU_CYCLE_1)
	s_and_not1_b32 exec_lo, exec_lo, s24
	s_cbranch_execz .LBB325_186
.LBB325_184:                            ; =>This Inner Loop Header: Depth=1
	s_or_b32 s25, s25, exec_lo
	s_cmp_eq_u64 s[22:23], s[2:3]
	s_cbranch_scc0 .LBB325_182
; %bb.185:                              ;   in Loop: Header=BB325_184 Depth=1
	s_mov_b64 s[2:3], s[22:23]
                                        ; implicit-def: $sgpr4_sgpr5
	s_branch .LBB325_183
.LBB325_186:
	s_set_inst_prefetch_distance 0x2
	s_or_b32 exec_lo, exec_lo, s24
	v_cmp_gt_i64_e32 vcc_lo, s[22:23], v[21:22]
	s_or_not1_b32 s2, vcc_lo, exec_lo
.LBB325_187:
	s_or_b32 exec_lo, exec_lo, s7
.LBB325_188:
	s_delay_alu instid0(SALU_CYCLE_1)
	s_and_b32 s2, s2, exec_lo
.LBB325_189:
	s_or_b32 exec_lo, exec_lo, s6
	v_or_b32_e32 v17, v23, v25
	v_or_b32_e32 v18, v26, v27
.LBB325_190:
	s_mov_b32 s6, -1
	s_cbranch_execnz .LBB325_359
.LBB325_191:
	v_cmp_gt_i64_e64 s7, s[22:23], 0
	s_and_b32 vcc_lo, exec_lo, s18
	ds_store_b64 v39, v[3:4]
	s_cbranch_vccz .LBB325_199
; %bb.192:
	s_waitcnt lgkmcnt(0)
	v_mul_lo_u32 v19, v2, s22
	v_mul_lo_u32 v20, v1, s23
	v_mad_u64_u32 v[17:18], null, v1, s22, 0
	s_mov_b32 s24, 0
	s_and_not1_b32 vcc_lo, exec_lo, s7
	s_mov_b32 s25, 0
	s_delay_alu instid0(VALU_DEP_1)
	v_add3_u32 v24, v18, v20, v19
	s_cbranch_vccnz .LBB325_202
; %bb.193:
	v_mad_u64_u32 v[18:19], null, v3, s22, s[8:9]
	v_mul_lo_u32 v22, v3, s23
	v_mul_lo_u32 v23, v4, s22
	v_add_co_u32 v20, vcc_lo, s8, v17
	v_add_co_ci_u32_e32 v21, vcc_lo, s9, v24, vcc_lo
	s_mov_b32 s25, -1
	s_mov_b32 s26, exec_lo
	s_delay_alu instid0(VALU_DEP_3)
	v_add3_u32 v19, v23, v19, v22
	s_clause 0x1
	global_load_u8 v22, v[20:21], off
	global_load_u8 v23, v[18:19], off
	s_waitcnt vmcnt(0)
	v_cmpx_eq_u16_e64 v22, v23
	s_cbranch_execz .LBB325_201
; %bb.194:
	s_mov_b64 s[2:3], 1
	s_mov_b32 s25, 0
                                        ; implicit-def: $sgpr27
	s_set_inst_prefetch_distance 0x1
	s_branch .LBB325_197
	.p2align	6
.LBB325_195:                            ;   in Loop: Header=BB325_197 Depth=1
	v_add_co_u32 v22, vcc_lo, v20, s2
	v_add_co_ci_u32_e32 v23, vcc_lo, s3, v21, vcc_lo
	v_add_co_u32 v25, vcc_lo, v18, s2
	v_add_co_ci_u32_e32 v26, vcc_lo, s3, v19, vcc_lo
	s_add_u32 s4, s2, 1
	s_clause 0x1
	global_load_u8 v22, v[22:23], off
	global_load_u8 v23, v[25:26], off
	s_addc_u32 s5, s3, 0
	s_and_not1_b32 s27, s27, exec_lo
	s_waitcnt vmcnt(0)
	v_cmp_ne_u16_e32 vcc_lo, v22, v23
	s_and_b32 s28, vcc_lo, exec_lo
	s_delay_alu instid0(SALU_CYCLE_1)
	s_or_b32 s27, s27, s28
.LBB325_196:                            ;   in Loop: Header=BB325_197 Depth=1
	v_dual_mov_b32 v23, s3 :: v_dual_mov_b32 v22, s2
	s_and_b32 s28, exec_lo, s27
	s_mov_b64 s[2:3], s[4:5]
	s_or_b32 s25, s28, s25
	s_delay_alu instid0(SALU_CYCLE_1)
	s_and_not1_b32 exec_lo, exec_lo, s25
	s_cbranch_execz .LBB325_200
.LBB325_197:                            ; =>This Inner Loop Header: Depth=1
	s_or_b32 s27, s27, exec_lo
	s_cmp_eq_u64 s[22:23], s[2:3]
	s_cbranch_scc0 .LBB325_195
; %bb.198:                              ;   in Loop: Header=BB325_197 Depth=1
	s_mov_b64 s[2:3], s[22:23]
                                        ; implicit-def: $sgpr4_sgpr5
	s_branch .LBB325_196
.LBB325_199:
                                        ; implicit-def: $sgpr2
                                        ; implicit-def: $vgpr18
	s_cbranch_execnz .LBB325_268
	s_branch .LBB325_359
.LBB325_200:
	s_set_inst_prefetch_distance 0x2
	s_or_b32 exec_lo, exec_lo, s25
	v_cmp_gt_i64_e32 vcc_lo, s[22:23], v[22:23]
	s_or_not1_b32 s25, vcc_lo, exec_lo
.LBB325_201:
	s_or_b32 exec_lo, exec_lo, s26
.LBB325_202:
	v_mul_lo_u32 v20, v8, s22
	v_mul_lo_u32 v21, v7, s23
	v_mad_u64_u32 v[18:19], null, v7, s22, 0
	s_and_not1_b32 vcc_lo, exec_lo, s7
	s_delay_alu instid0(VALU_DEP_1)
	v_add3_u32 v25, v19, v21, v20
	s_cbranch_vccnz .LBB325_211
; %bb.203:
	s_delay_alu instid0(VALU_DEP_2) | instskip(NEXT) | instid1(VALU_DEP_2)
	v_add_co_u32 v19, vcc_lo, s8, v18
	v_add_co_ci_u32_e32 v20, vcc_lo, s9, v25, vcc_lo
	v_add_co_u32 v21, vcc_lo, s8, v17
	v_add_co_ci_u32_e32 v22, vcc_lo, s9, v24, vcc_lo
	s_mov_b32 s24, -1
	s_clause 0x1
	global_load_u8 v17, v[19:20], off
	global_load_u8 v23, v[21:22], off
	s_mov_b32 s26, exec_lo
	s_waitcnt vmcnt(0)
	v_cmpx_eq_u16_e64 v17, v23
	s_cbranch_execz .LBB325_210
; %bb.204:
	s_mov_b64 s[2:3], 1
	s_mov_b32 s24, 0
                                        ; implicit-def: $sgpr27
	s_set_inst_prefetch_distance 0x1
	s_branch .LBB325_207
	.p2align	6
.LBB325_205:                            ;   in Loop: Header=BB325_207 Depth=1
	v_add_co_u32 v23, vcc_lo, v19, s2
	v_add_co_ci_u32_e32 v24, vcc_lo, s3, v20, vcc_lo
	v_add_co_u32 v26, vcc_lo, v21, s2
	v_add_co_ci_u32_e32 v27, vcc_lo, s3, v22, vcc_lo
	s_add_u32 s4, s2, 1
	s_clause 0x1
	global_load_u8 v17, v[23:24], off
	global_load_u8 v23, v[26:27], off
	s_addc_u32 s5, s3, 0
	s_and_not1_b32 s27, s27, exec_lo
	s_waitcnt vmcnt(0)
	v_cmp_ne_u16_e32 vcc_lo, v17, v23
	s_and_b32 s28, vcc_lo, exec_lo
	s_delay_alu instid0(SALU_CYCLE_1)
	s_or_b32 s27, s27, s28
.LBB325_206:                            ;   in Loop: Header=BB325_207 Depth=1
	v_dual_mov_b32 v24, s3 :: v_dual_mov_b32 v23, s2
	s_and_b32 s28, exec_lo, s27
	s_mov_b64 s[2:3], s[4:5]
	s_or_b32 s24, s28, s24
	s_delay_alu instid0(SALU_CYCLE_1)
	s_and_not1_b32 exec_lo, exec_lo, s24
	s_cbranch_execz .LBB325_209
.LBB325_207:                            ; =>This Inner Loop Header: Depth=1
	s_or_b32 s27, s27, exec_lo
	s_cmp_eq_u64 s[22:23], s[2:3]
	s_cbranch_scc0 .LBB325_205
; %bb.208:                              ;   in Loop: Header=BB325_207 Depth=1
	s_mov_b64 s[2:3], s[22:23]
                                        ; implicit-def: $sgpr4_sgpr5
	s_branch .LBB325_206
.LBB325_209:
	s_set_inst_prefetch_distance 0x2
	s_or_b32 exec_lo, exec_lo, s24
	v_cmp_gt_i64_e32 vcc_lo, s[22:23], v[23:24]
	s_or_not1_b32 s24, vcc_lo, exec_lo
.LBB325_210:
	s_or_b32 exec_lo, exec_lo, s26
.LBB325_211:
	v_mul_lo_u32 v17, v6, s22
	v_mul_lo_u32 v21, v5, s23
	v_mad_u64_u32 v[19:20], null, v5, s22, 0
	s_mov_b32 s26, 0
	s_and_not1_b32 vcc_lo, exec_lo, s7
	s_mov_b32 s27, 0
	s_delay_alu instid0(VALU_DEP_1)
	v_add3_u32 v26, v20, v21, v17
	s_cbranch_vccnz .LBB325_220
; %bb.212:
	s_delay_alu instid0(VALU_DEP_2) | instskip(NEXT) | instid1(VALU_DEP_2)
	v_add_co_u32 v20, vcc_lo, s8, v19
	v_add_co_ci_u32_e32 v21, vcc_lo, s9, v26, vcc_lo
	v_add_co_u32 v17, vcc_lo, s8, v18
	v_add_co_ci_u32_e32 v18, vcc_lo, s9, v25, vcc_lo
	s_mov_b32 s27, -1
	s_clause 0x1
	global_load_u8 v22, v[20:21], off
	global_load_u8 v23, v[17:18], off
	s_mov_b32 s28, exec_lo
	s_waitcnt vmcnt(0)
	v_cmpx_eq_u16_e64 v22, v23
	s_cbranch_execz .LBB325_219
; %bb.213:
	s_mov_b64 s[2:3], 1
	s_mov_b32 s27, 0
                                        ; implicit-def: $sgpr29
	s_set_inst_prefetch_distance 0x1
	s_branch .LBB325_216
	.p2align	6
.LBB325_214:                            ;   in Loop: Header=BB325_216 Depth=1
	v_add_co_u32 v22, vcc_lo, v20, s2
	v_add_co_ci_u32_e32 v23, vcc_lo, s3, v21, vcc_lo
	v_add_co_u32 v24, vcc_lo, v17, s2
	v_add_co_ci_u32_e32 v25, vcc_lo, s3, v18, vcc_lo
	s_add_u32 s4, s2, 1
	s_clause 0x1
	global_load_u8 v22, v[22:23], off
	global_load_u8 v23, v[24:25], off
	s_addc_u32 s5, s3, 0
	s_and_not1_b32 s29, s29, exec_lo
	s_waitcnt vmcnt(0)
	v_cmp_ne_u16_e32 vcc_lo, v22, v23
	s_and_b32 s30, vcc_lo, exec_lo
	s_delay_alu instid0(SALU_CYCLE_1)
	s_or_b32 s29, s29, s30
.LBB325_215:                            ;   in Loop: Header=BB325_216 Depth=1
	v_dual_mov_b32 v23, s3 :: v_dual_mov_b32 v22, s2
	s_and_b32 s30, exec_lo, s29
	s_mov_b64 s[2:3], s[4:5]
	s_or_b32 s27, s30, s27
	s_delay_alu instid0(SALU_CYCLE_1)
	s_and_not1_b32 exec_lo, exec_lo, s27
	s_cbranch_execz .LBB325_218
.LBB325_216:                            ; =>This Inner Loop Header: Depth=1
	s_or_b32 s29, s29, exec_lo
	s_cmp_eq_u64 s[22:23], s[2:3]
	s_cbranch_scc0 .LBB325_214
; %bb.217:                              ;   in Loop: Header=BB325_216 Depth=1
	s_mov_b64 s[2:3], s[22:23]
                                        ; implicit-def: $sgpr4_sgpr5
	s_branch .LBB325_215
.LBB325_218:
	s_set_inst_prefetch_distance 0x2
	s_or_b32 exec_lo, exec_lo, s27
	v_cmp_gt_i64_e32 vcc_lo, s[22:23], v[22:23]
	s_or_not1_b32 s27, vcc_lo, exec_lo
.LBB325_219:
	s_or_b32 exec_lo, exec_lo, s28
.LBB325_220:
	v_mul_lo_u32 v20, v12, s22
	v_mul_lo_u32 v21, v11, s23
	v_mad_u64_u32 v[17:18], null, v11, s22, 0
	s_and_not1_b32 vcc_lo, exec_lo, s7
	s_delay_alu instid0(VALU_DEP_1)
	v_add3_u32 v24, v18, v21, v20
	s_cbranch_vccnz .LBB325_229
; %bb.221:
	s_delay_alu instid0(VALU_DEP_2) | instskip(NEXT) | instid1(VALU_DEP_2)
	v_add_co_u32 v20, vcc_lo, s8, v17
	v_add_co_ci_u32_e32 v21, vcc_lo, s9, v24, vcc_lo
	v_add_co_u32 v18, vcc_lo, s8, v19
	v_add_co_ci_u32_e32 v19, vcc_lo, s9, v26, vcc_lo
	s_mov_b32 s26, -1
	s_clause 0x1
	global_load_u8 v22, v[20:21], off
	global_load_u8 v23, v[18:19], off
	s_mov_b32 s28, exec_lo
	s_waitcnt vmcnt(0)
	v_cmpx_eq_u16_e64 v22, v23
	s_cbranch_execz .LBB325_228
; %bb.222:
	s_mov_b64 s[2:3], 1
	s_mov_b32 s26, 0
                                        ; implicit-def: $sgpr29
	s_set_inst_prefetch_distance 0x1
	s_branch .LBB325_225
	.p2align	6
.LBB325_223:                            ;   in Loop: Header=BB325_225 Depth=1
	v_add_co_u32 v22, vcc_lo, v20, s2
	v_add_co_ci_u32_e32 v23, vcc_lo, s3, v21, vcc_lo
	v_add_co_u32 v25, vcc_lo, v18, s2
	v_add_co_ci_u32_e32 v26, vcc_lo, s3, v19, vcc_lo
	s_add_u32 s4, s2, 1
	s_clause 0x1
	global_load_u8 v22, v[22:23], off
	global_load_u8 v23, v[25:26], off
	s_addc_u32 s5, s3, 0
	s_and_not1_b32 s29, s29, exec_lo
	s_waitcnt vmcnt(0)
	v_cmp_ne_u16_e32 vcc_lo, v22, v23
	s_and_b32 s30, vcc_lo, exec_lo
	s_delay_alu instid0(SALU_CYCLE_1)
	s_or_b32 s29, s29, s30
.LBB325_224:                            ;   in Loop: Header=BB325_225 Depth=1
	v_dual_mov_b32 v23, s3 :: v_dual_mov_b32 v22, s2
	s_and_b32 s30, exec_lo, s29
	s_mov_b64 s[2:3], s[4:5]
	s_or_b32 s26, s30, s26
	s_delay_alu instid0(SALU_CYCLE_1)
	s_and_not1_b32 exec_lo, exec_lo, s26
	s_cbranch_execz .LBB325_227
.LBB325_225:                            ; =>This Inner Loop Header: Depth=1
	s_or_b32 s29, s29, exec_lo
	s_cmp_eq_u64 s[22:23], s[2:3]
	s_cbranch_scc0 .LBB325_223
; %bb.226:                              ;   in Loop: Header=BB325_225 Depth=1
	s_mov_b64 s[2:3], s[22:23]
                                        ; implicit-def: $sgpr4_sgpr5
	s_branch .LBB325_224
.LBB325_227:
	s_set_inst_prefetch_distance 0x2
	s_or_b32 exec_lo, exec_lo, s26
	v_cmp_gt_i64_e32 vcc_lo, s[22:23], v[22:23]
	s_or_not1_b32 s26, vcc_lo, exec_lo
.LBB325_228:
	s_or_b32 exec_lo, exec_lo, s28
.LBB325_229:
	v_mul_lo_u32 v18, v10, s22
	v_mul_lo_u32 v21, v9, s23
	v_mad_u64_u32 v[19:20], null, v9, s22, 0
	s_mov_b32 s28, 0
	s_and_not1_b32 vcc_lo, exec_lo, s7
	s_mov_b32 s29, 0
	s_delay_alu instid0(VALU_DEP_1)
	v_add3_u32 v26, v20, v21, v18
	s_cbranch_vccnz .LBB325_238
; %bb.230:
	s_delay_alu instid0(VALU_DEP_2) | instskip(NEXT) | instid1(VALU_DEP_2)
	v_add_co_u32 v20, vcc_lo, s8, v19
	v_add_co_ci_u32_e32 v21, vcc_lo, s9, v26, vcc_lo
	v_add_co_u32 v17, vcc_lo, s8, v17
	v_add_co_ci_u32_e32 v18, vcc_lo, s9, v24, vcc_lo
	s_mov_b32 s29, -1
	s_clause 0x1
	global_load_u8 v22, v[20:21], off
	global_load_u8 v23, v[17:18], off
	s_mov_b32 s30, exec_lo
	s_waitcnt vmcnt(0)
	v_cmpx_eq_u16_e64 v22, v23
	s_cbranch_execz .LBB325_237
; %bb.231:
	s_mov_b64 s[2:3], 1
	s_mov_b32 s29, 0
                                        ; implicit-def: $sgpr31
	s_set_inst_prefetch_distance 0x1
	s_branch .LBB325_234
	.p2align	6
.LBB325_232:                            ;   in Loop: Header=BB325_234 Depth=1
	v_add_co_u32 v22, vcc_lo, v20, s2
	v_add_co_ci_u32_e32 v23, vcc_lo, s3, v21, vcc_lo
	v_add_co_u32 v24, vcc_lo, v17, s2
	v_add_co_ci_u32_e32 v25, vcc_lo, s3, v18, vcc_lo
	s_add_u32 s4, s2, 1
	s_clause 0x1
	global_load_u8 v22, v[22:23], off
	global_load_u8 v23, v[24:25], off
	s_addc_u32 s5, s3, 0
	s_and_not1_b32 s31, s31, exec_lo
	s_waitcnt vmcnt(0)
	v_cmp_ne_u16_e32 vcc_lo, v22, v23
	s_and_b32 s33, vcc_lo, exec_lo
	s_delay_alu instid0(SALU_CYCLE_1)
	s_or_b32 s31, s31, s33
.LBB325_233:                            ;   in Loop: Header=BB325_234 Depth=1
	v_dual_mov_b32 v23, s3 :: v_dual_mov_b32 v22, s2
	s_and_b32 s33, exec_lo, s31
	s_mov_b64 s[2:3], s[4:5]
	s_or_b32 s29, s33, s29
	s_delay_alu instid0(SALU_CYCLE_1)
	s_and_not1_b32 exec_lo, exec_lo, s29
	s_cbranch_execz .LBB325_236
.LBB325_234:                            ; =>This Inner Loop Header: Depth=1
	s_or_b32 s31, s31, exec_lo
	s_cmp_eq_u64 s[22:23], s[2:3]
	s_cbranch_scc0 .LBB325_232
; %bb.235:                              ;   in Loop: Header=BB325_234 Depth=1
	s_mov_b64 s[2:3], s[22:23]
                                        ; implicit-def: $sgpr4_sgpr5
	s_branch .LBB325_233
.LBB325_236:
	s_set_inst_prefetch_distance 0x2
	s_or_b32 exec_lo, exec_lo, s29
	v_cmp_gt_i64_e32 vcc_lo, s[22:23], v[22:23]
	s_or_not1_b32 s29, vcc_lo, exec_lo
.LBB325_237:
	s_or_b32 exec_lo, exec_lo, s30
.LBB325_238:
	v_mul_lo_u32 v20, v16, s22
	v_mul_lo_u32 v21, v15, s23
	v_mad_u64_u32 v[17:18], null, v15, s22, 0
	s_and_not1_b32 vcc_lo, exec_lo, s7
	s_delay_alu instid0(VALU_DEP_1)
	v_add3_u32 v25, v18, v21, v20
	s_cbranch_vccnz .LBB325_247
; %bb.239:
	s_delay_alu instid0(VALU_DEP_2) | instskip(NEXT) | instid1(VALU_DEP_2)
	v_add_co_u32 v20, vcc_lo, s8, v17
	v_add_co_ci_u32_e32 v21, vcc_lo, s9, v25, vcc_lo
	v_add_co_u32 v18, vcc_lo, s8, v19
	v_add_co_ci_u32_e32 v19, vcc_lo, s9, v26, vcc_lo
	s_mov_b32 s28, -1
	s_clause 0x1
	global_load_u8 v22, v[20:21], off
	global_load_u8 v23, v[18:19], off
	s_mov_b32 s30, exec_lo
	s_waitcnt vmcnt(0)
	v_cmpx_eq_u16_e64 v22, v23
	s_cbranch_execz .LBB325_246
; %bb.240:
	s_mov_b64 s[2:3], 1
	s_mov_b32 s28, 0
                                        ; implicit-def: $sgpr31
	s_set_inst_prefetch_distance 0x1
	s_branch .LBB325_243
	.p2align	6
.LBB325_241:                            ;   in Loop: Header=BB325_243 Depth=1
	v_add_co_u32 v22, vcc_lo, v20, s2
	v_add_co_ci_u32_e32 v23, vcc_lo, s3, v21, vcc_lo
	v_add_co_u32 v26, vcc_lo, v18, s2
	v_add_co_ci_u32_e32 v27, vcc_lo, s3, v19, vcc_lo
	s_add_u32 s4, s2, 1
	s_clause 0x1
	global_load_u8 v22, v[22:23], off
	global_load_u8 v23, v[26:27], off
	s_addc_u32 s5, s3, 0
	s_and_not1_b32 s31, s31, exec_lo
	s_waitcnt vmcnt(0)
	v_cmp_ne_u16_e32 vcc_lo, v22, v23
	s_and_b32 s33, vcc_lo, exec_lo
	s_delay_alu instid0(SALU_CYCLE_1)
	s_or_b32 s31, s31, s33
.LBB325_242:                            ;   in Loop: Header=BB325_243 Depth=1
	v_dual_mov_b32 v23, s3 :: v_dual_mov_b32 v22, s2
	s_and_b32 s33, exec_lo, s31
	s_mov_b64 s[2:3], s[4:5]
	s_or_b32 s28, s33, s28
	s_delay_alu instid0(SALU_CYCLE_1)
	s_and_not1_b32 exec_lo, exec_lo, s28
	s_cbranch_execz .LBB325_245
.LBB325_243:                            ; =>This Inner Loop Header: Depth=1
	s_or_b32 s31, s31, exec_lo
	s_cmp_eq_u64 s[22:23], s[2:3]
	s_cbranch_scc0 .LBB325_241
; %bb.244:                              ;   in Loop: Header=BB325_243 Depth=1
	s_mov_b64 s[2:3], s[22:23]
                                        ; implicit-def: $sgpr4_sgpr5
	s_branch .LBB325_242
.LBB325_245:
	s_set_inst_prefetch_distance 0x2
	s_or_b32 exec_lo, exec_lo, s28
	v_cmp_gt_i64_e32 vcc_lo, s[22:23], v[22:23]
	s_or_not1_b32 s28, vcc_lo, exec_lo
.LBB325_246:
	s_or_b32 exec_lo, exec_lo, s30
.LBB325_247:
	v_mul_lo_u32 v18, v14, s22
	v_mul_lo_u32 v21, v13, s23
	v_mad_u64_u32 v[19:20], null, v13, s22, 0
	s_and_not1_b32 vcc_lo, exec_lo, s7
	s_mov_b32 s2, 0
	s_delay_alu instid0(VALU_DEP_1)
	v_add3_u32 v24, v20, v21, v18
	s_cbranch_vccnz .LBB325_256
; %bb.248:
	s_delay_alu instid0(VALU_DEP_2) | instskip(NEXT) | instid1(VALU_DEP_2)
	v_add_co_u32 v20, vcc_lo, s8, v19
	v_add_co_ci_u32_e32 v21, vcc_lo, s9, v24, vcc_lo
	v_add_co_u32 v17, vcc_lo, s8, v17
	v_add_co_ci_u32_e32 v18, vcc_lo, s9, v25, vcc_lo
	s_mov_b32 s2, -1
	s_clause 0x1
	global_load_u8 v22, v[20:21], off
	global_load_u8 v23, v[17:18], off
	s_mov_b32 s30, exec_lo
	s_waitcnt vmcnt(0)
	v_cmpx_eq_u16_e64 v22, v23
	s_cbranch_execz .LBB325_255
; %bb.249:
	s_mov_b64 s[2:3], 1
	s_mov_b32 s31, 0
                                        ; implicit-def: $sgpr33
	s_set_inst_prefetch_distance 0x1
	s_branch .LBB325_252
	.p2align	6
.LBB325_250:                            ;   in Loop: Header=BB325_252 Depth=1
	v_add_co_u32 v22, vcc_lo, v20, s2
	v_add_co_ci_u32_e32 v23, vcc_lo, s3, v21, vcc_lo
	v_add_co_u32 v25, vcc_lo, v17, s2
	v_add_co_ci_u32_e32 v26, vcc_lo, s3, v18, vcc_lo
	s_add_u32 s4, s2, 1
	s_clause 0x1
	global_load_u8 v22, v[22:23], off
	global_load_u8 v23, v[25:26], off
	s_addc_u32 s5, s3, 0
	s_and_not1_b32 s33, s33, exec_lo
	s_waitcnt vmcnt(0)
	v_cmp_ne_u16_e32 vcc_lo, v22, v23
	s_and_b32 s34, vcc_lo, exec_lo
	s_delay_alu instid0(SALU_CYCLE_1)
	s_or_b32 s33, s33, s34
.LBB325_251:                            ;   in Loop: Header=BB325_252 Depth=1
	v_dual_mov_b32 v23, s3 :: v_dual_mov_b32 v22, s2
	s_and_b32 s34, exec_lo, s33
	s_mov_b64 s[2:3], s[4:5]
	s_or_b32 s31, s34, s31
	s_delay_alu instid0(SALU_CYCLE_1)
	s_and_not1_b32 exec_lo, exec_lo, s31
	s_cbranch_execz .LBB325_254
.LBB325_252:                            ; =>This Inner Loop Header: Depth=1
	s_or_b32 s33, s33, exec_lo
	s_cmp_eq_u64 s[22:23], s[2:3]
	s_cbranch_scc0 .LBB325_250
; %bb.253:                              ;   in Loop: Header=BB325_252 Depth=1
	s_mov_b64 s[2:3], s[22:23]
                                        ; implicit-def: $sgpr4_sgpr5
	s_branch .LBB325_251
.LBB325_254:
	s_set_inst_prefetch_distance 0x2
	s_or_b32 exec_lo, exec_lo, s31
	v_cmp_gt_i64_e32 vcc_lo, s[22:23], v[22:23]
	s_or_not1_b32 s2, vcc_lo, exec_lo
.LBB325_255:
	s_or_b32 exec_lo, exec_lo, s30
.LBB325_256:
	v_cndmask_b32_e64 v18, 0, 1, s29
	v_cndmask_b32_e64 v20, 0, 1, s27
	;; [unrolled: 1-line block ×7, first 2 shown]
	v_lshlrev_b16 v20, 8, v20
	v_lshlrev_b16 v21, 8, v21
	;; [unrolled: 1-line block ×4, first 2 shown]
	s_delay_alu instid0(VALU_DEP_4) | instskip(NEXT) | instid1(VALU_DEP_4)
	v_or_b32_e32 v20, v23, v20
	v_or_b32_e32 v21, v25, v21
	s_delay_alu instid0(VALU_DEP_4) | instskip(NEXT) | instid1(VALU_DEP_4)
	v_or_b32_e32 v22, 1, v22
	v_or_b32_e32 v17, v17, v18
	s_barrier
	v_and_b32_e32 v18, 0xffff, v20
	v_lshlrev_b32_e32 v20, 16, v21
	v_and_b32_e32 v21, 0xffff, v22
	v_lshlrev_b32_e32 v17, 16, v17
	buffer_gl0_inv
                                        ; implicit-def: $sgpr2
	s_mov_b32 s3, exec_lo
	v_or_b32_e32 v18, v18, v20
	v_or_b32_e32 v17, v21, v17
	v_cmpx_ne_u32_e32 0, v0
	s_xor_b32 s24, exec_lo, s3
	s_cbranch_execz .LBB325_267
; %bb.257:
	s_and_not1_b32 vcc_lo, exec_lo, s7
	s_mov_b32 s2, 0
	s_cbranch_vccnz .LBB325_266
; %bb.258:
	v_add_nc_u32_e32 v20, -8, v39
	s_mov_b32 s2, -1
	s_mov_b32 s25, exec_lo
	ds_load_b64 v[22:23], v20
	s_waitcnt lgkmcnt(0)
	v_mul_lo_u32 v25, v22, s23
	v_mul_lo_u32 v23, v23, s22
	v_mad_u64_u32 v[20:21], null, v22, s22, s[8:9]
	v_add_co_u32 v22, vcc_lo, s8, v19
	s_delay_alu instid0(VALU_DEP_2)
	v_add3_u32 v21, v23, v21, v25
	v_add_co_ci_u32_e32 v23, vcc_lo, s9, v24, vcc_lo
	s_clause 0x1
	global_load_u8 v19, v[20:21], off
	global_load_u8 v24, v[22:23], off
	s_waitcnt vmcnt(0)
	v_cmpx_eq_u16_e64 v19, v24
	s_cbranch_execz .LBB325_265
; %bb.259:
	s_mov_b64 s[2:3], 1
	s_mov_b32 s26, 0
                                        ; implicit-def: $sgpr27
	s_set_inst_prefetch_distance 0x1
	s_branch .LBB325_262
	.p2align	6
.LBB325_260:                            ;   in Loop: Header=BB325_262 Depth=1
	v_add_co_u32 v24, vcc_lo, v20, s2
	v_add_co_ci_u32_e32 v25, vcc_lo, s3, v21, vcc_lo
	v_add_co_u32 v26, vcc_lo, v22, s2
	v_add_co_ci_u32_e32 v27, vcc_lo, s3, v23, vcc_lo
	s_add_u32 s4, s2, 1
	s_clause 0x1
	global_load_u8 v19, v[24:25], off
	global_load_u8 v24, v[26:27], off
	s_addc_u32 s5, s3, 0
	s_and_not1_b32 s27, s27, exec_lo
	s_waitcnt vmcnt(0)
	v_cmp_ne_u16_e32 vcc_lo, v19, v24
	s_and_b32 s28, vcc_lo, exec_lo
	s_delay_alu instid0(SALU_CYCLE_1)
	s_or_b32 s27, s27, s28
.LBB325_261:                            ;   in Loop: Header=BB325_262 Depth=1
	v_dual_mov_b32 v25, s3 :: v_dual_mov_b32 v24, s2
	s_and_b32 s28, exec_lo, s27
	s_mov_b64 s[2:3], s[4:5]
	s_or_b32 s26, s28, s26
	s_delay_alu instid0(SALU_CYCLE_1)
	s_and_not1_b32 exec_lo, exec_lo, s26
	s_cbranch_execz .LBB325_264
.LBB325_262:                            ; =>This Inner Loop Header: Depth=1
	s_or_b32 s27, s27, exec_lo
	s_cmp_eq_u64 s[22:23], s[2:3]
	s_cbranch_scc0 .LBB325_260
; %bb.263:                              ;   in Loop: Header=BB325_262 Depth=1
	s_mov_b64 s[2:3], s[22:23]
                                        ; implicit-def: $sgpr4_sgpr5
	s_branch .LBB325_261
.LBB325_264:
	s_set_inst_prefetch_distance 0x2
	s_or_b32 exec_lo, exec_lo, s26
	v_cmp_gt_i64_e32 vcc_lo, s[22:23], v[24:25]
	s_or_not1_b32 s2, vcc_lo, exec_lo
.LBB325_265:
	s_or_b32 exec_lo, exec_lo, s25
.LBB325_266:
	s_delay_alu instid0(SALU_CYCLE_1)
	s_and_b32 s2, s2, exec_lo
	s_or_b32 s6, s6, exec_lo
.LBB325_267:
	s_or_b32 exec_lo, exec_lo, s24
	s_branch .LBB325_359
.LBB325_268:
	v_or_b32_e32 v17, 7, v39
	s_mov_b32 s24, 0
	s_mov_b32 s25, 0
	s_mov_b32 s26, exec_lo
	s_delay_alu instid0(VALU_DEP_1)
	v_cmpx_gt_u32_e64 s20, v17
	s_cbranch_execz .LBB325_279
; %bb.269:
	s_and_not1_b32 vcc_lo, exec_lo, s7
	s_mov_b32 s2, 0
	s_cbranch_vccnz .LBB325_278
; %bb.270:
	v_mad_u64_u32 v[17:18], null, v1, s22, s[8:9]
	s_waitcnt lgkmcnt(0)
	v_mul_lo_u32 v21, v1, s23
	v_mul_lo_u32 v22, v2, s22
	v_mad_u64_u32 v[19:20], null, v3, s22, s[8:9]
	v_mul_lo_u32 v23, v3, s23
	v_mul_lo_u32 v24, v4, s22
	s_mov_b32 s2, -1
	s_mov_b32 s25, exec_lo
	s_delay_alu instid0(VALU_DEP_4) | instskip(NEXT) | instid1(VALU_DEP_2)
	v_add3_u32 v18, v22, v18, v21
	v_add3_u32 v20, v24, v20, v23
	s_clause 0x1
	global_load_u8 v21, v[17:18], off
	global_load_u8 v22, v[19:20], off
	s_waitcnt vmcnt(0)
	v_cmpx_eq_u16_e64 v21, v22
	s_cbranch_execz .LBB325_277
; %bb.271:
	s_mov_b64 s[2:3], 1
	s_mov_b32 s27, 0
                                        ; implicit-def: $sgpr28
	s_set_inst_prefetch_distance 0x1
	s_branch .LBB325_274
	.p2align	6
.LBB325_272:                            ;   in Loop: Header=BB325_274 Depth=1
	v_add_co_u32 v21, vcc_lo, v17, s2
	v_add_co_ci_u32_e32 v22, vcc_lo, s3, v18, vcc_lo
	v_add_co_u32 v23, vcc_lo, v19, s2
	v_add_co_ci_u32_e32 v24, vcc_lo, s3, v20, vcc_lo
	s_add_u32 s4, s2, 1
	s_clause 0x1
	global_load_u8 v21, v[21:22], off
	global_load_u8 v22, v[23:24], off
	s_addc_u32 s5, s3, 0
	s_and_not1_b32 s28, s28, exec_lo
	s_waitcnt vmcnt(0)
	v_cmp_ne_u16_e32 vcc_lo, v21, v22
	s_and_b32 s29, vcc_lo, exec_lo
	s_delay_alu instid0(SALU_CYCLE_1)
	s_or_b32 s28, s28, s29
.LBB325_273:                            ;   in Loop: Header=BB325_274 Depth=1
	v_dual_mov_b32 v22, s3 :: v_dual_mov_b32 v21, s2
	s_and_b32 s29, exec_lo, s28
	s_mov_b64 s[2:3], s[4:5]
	s_or_b32 s27, s29, s27
	s_delay_alu instid0(SALU_CYCLE_1)
	s_and_not1_b32 exec_lo, exec_lo, s27
	s_cbranch_execz .LBB325_276
.LBB325_274:                            ; =>This Inner Loop Header: Depth=1
	s_or_b32 s28, s28, exec_lo
	s_cmp_eq_u64 s[22:23], s[2:3]
	s_cbranch_scc0 .LBB325_272
; %bb.275:                              ;   in Loop: Header=BB325_274 Depth=1
	s_mov_b64 s[2:3], s[22:23]
                                        ; implicit-def: $sgpr4_sgpr5
	s_branch .LBB325_273
.LBB325_276:
	s_set_inst_prefetch_distance 0x2
	s_or_b32 exec_lo, exec_lo, s27
	v_cmp_gt_i64_e32 vcc_lo, s[22:23], v[21:22]
	s_or_not1_b32 s2, vcc_lo, exec_lo
.LBB325_277:
	s_or_b32 exec_lo, exec_lo, s25
.LBB325_278:
	s_delay_alu instid0(SALU_CYCLE_1)
	s_and_b32 s25, s2, exec_lo
.LBB325_279:
	s_or_b32 exec_lo, exec_lo, s26
	v_or_b32_e32 v17, 6, v39
	s_mov_b32 s26, exec_lo
	s_delay_alu instid0(VALU_DEP_1)
	v_cmpx_gt_u32_e64 s20, v17
	s_cbranch_execz .LBB325_290
; %bb.280:
	s_and_not1_b32 vcc_lo, exec_lo, s7
	s_mov_b32 s2, 0
	s_cbranch_vccnz .LBB325_289
; %bb.281:
	v_mad_u64_u32 v[17:18], null, v7, s22, s[8:9]
	s_waitcnt lgkmcnt(0)
	v_mul_lo_u32 v21, v7, s23
	v_mul_lo_u32 v22, v8, s22
	v_mad_u64_u32 v[19:20], null, v1, s22, s[8:9]
	v_mul_lo_u32 v23, v1, s23
	v_mul_lo_u32 v24, v2, s22
	s_mov_b32 s2, -1
	s_mov_b32 s24, exec_lo
	s_delay_alu instid0(VALU_DEP_4) | instskip(NEXT) | instid1(VALU_DEP_2)
	v_add3_u32 v18, v22, v18, v21
	v_add3_u32 v20, v24, v20, v23
	s_clause 0x1
	global_load_u8 v21, v[17:18], off
	global_load_u8 v22, v[19:20], off
	s_waitcnt vmcnt(0)
	v_cmpx_eq_u16_e64 v21, v22
	s_cbranch_execz .LBB325_288
; %bb.282:
	s_mov_b64 s[2:3], 1
	s_mov_b32 s27, 0
                                        ; implicit-def: $sgpr28
	s_set_inst_prefetch_distance 0x1
	s_branch .LBB325_285
	.p2align	6
.LBB325_283:                            ;   in Loop: Header=BB325_285 Depth=1
	v_add_co_u32 v21, vcc_lo, v17, s2
	v_add_co_ci_u32_e32 v22, vcc_lo, s3, v18, vcc_lo
	v_add_co_u32 v23, vcc_lo, v19, s2
	v_add_co_ci_u32_e32 v24, vcc_lo, s3, v20, vcc_lo
	s_add_u32 s4, s2, 1
	s_clause 0x1
	global_load_u8 v21, v[21:22], off
	global_load_u8 v22, v[23:24], off
	s_addc_u32 s5, s3, 0
	s_and_not1_b32 s28, s28, exec_lo
	s_waitcnt vmcnt(0)
	v_cmp_ne_u16_e32 vcc_lo, v21, v22
	s_and_b32 s29, vcc_lo, exec_lo
	s_delay_alu instid0(SALU_CYCLE_1)
	s_or_b32 s28, s28, s29
.LBB325_284:                            ;   in Loop: Header=BB325_285 Depth=1
	v_dual_mov_b32 v22, s3 :: v_dual_mov_b32 v21, s2
	s_and_b32 s29, exec_lo, s28
	s_mov_b64 s[2:3], s[4:5]
	s_or_b32 s27, s29, s27
	s_delay_alu instid0(SALU_CYCLE_1)
	s_and_not1_b32 exec_lo, exec_lo, s27
	s_cbranch_execz .LBB325_287
.LBB325_285:                            ; =>This Inner Loop Header: Depth=1
	s_or_b32 s28, s28, exec_lo
	s_cmp_eq_u64 s[22:23], s[2:3]
	s_cbranch_scc0 .LBB325_283
; %bb.286:                              ;   in Loop: Header=BB325_285 Depth=1
	s_mov_b64 s[2:3], s[22:23]
                                        ; implicit-def: $sgpr4_sgpr5
	s_branch .LBB325_284
.LBB325_287:
	s_set_inst_prefetch_distance 0x2
	s_or_b32 exec_lo, exec_lo, s27
	v_cmp_gt_i64_e32 vcc_lo, s[22:23], v[21:22]
	s_or_not1_b32 s2, vcc_lo, exec_lo
.LBB325_288:
	s_or_b32 exec_lo, exec_lo, s24
.LBB325_289:
	s_delay_alu instid0(SALU_CYCLE_1)
	s_and_b32 s24, s2, exec_lo
.LBB325_290:
	s_or_b32 exec_lo, exec_lo, s26
	v_or_b32_e32 v17, 5, v39
	s_mov_b32 s26, 0
	s_mov_b32 s27, 0
	s_mov_b32 s28, exec_lo
	s_delay_alu instid0(VALU_DEP_1)
	v_cmpx_gt_u32_e64 s20, v17
	s_cbranch_execz .LBB325_301
; %bb.291:
	s_and_not1_b32 vcc_lo, exec_lo, s7
	s_mov_b32 s2, 0
	s_cbranch_vccnz .LBB325_300
; %bb.292:
	v_mad_u64_u32 v[17:18], null, v5, s22, s[8:9]
	s_waitcnt lgkmcnt(0)
	v_mul_lo_u32 v21, v5, s23
	v_mul_lo_u32 v22, v6, s22
	v_mad_u64_u32 v[19:20], null, v7, s22, s[8:9]
	v_mul_lo_u32 v23, v7, s23
	v_mul_lo_u32 v24, v8, s22
	s_mov_b32 s2, -1
	s_mov_b32 s27, exec_lo
	s_delay_alu instid0(VALU_DEP_4) | instskip(NEXT) | instid1(VALU_DEP_2)
	v_add3_u32 v18, v22, v18, v21
	v_add3_u32 v20, v24, v20, v23
	s_clause 0x1
	global_load_u8 v21, v[17:18], off
	global_load_u8 v22, v[19:20], off
	s_waitcnt vmcnt(0)
	v_cmpx_eq_u16_e64 v21, v22
	s_cbranch_execz .LBB325_299
; %bb.293:
	s_mov_b64 s[2:3], 1
	s_mov_b32 s29, 0
                                        ; implicit-def: $sgpr30
	s_set_inst_prefetch_distance 0x1
	s_branch .LBB325_296
	.p2align	6
.LBB325_294:                            ;   in Loop: Header=BB325_296 Depth=1
	v_add_co_u32 v21, vcc_lo, v17, s2
	v_add_co_ci_u32_e32 v22, vcc_lo, s3, v18, vcc_lo
	v_add_co_u32 v23, vcc_lo, v19, s2
	v_add_co_ci_u32_e32 v24, vcc_lo, s3, v20, vcc_lo
	s_add_u32 s4, s2, 1
	s_clause 0x1
	global_load_u8 v21, v[21:22], off
	global_load_u8 v22, v[23:24], off
	s_addc_u32 s5, s3, 0
	s_and_not1_b32 s30, s30, exec_lo
	s_waitcnt vmcnt(0)
	v_cmp_ne_u16_e32 vcc_lo, v21, v22
	s_and_b32 s31, vcc_lo, exec_lo
	s_delay_alu instid0(SALU_CYCLE_1)
	s_or_b32 s30, s30, s31
.LBB325_295:                            ;   in Loop: Header=BB325_296 Depth=1
	v_dual_mov_b32 v22, s3 :: v_dual_mov_b32 v21, s2
	s_and_b32 s31, exec_lo, s30
	s_mov_b64 s[2:3], s[4:5]
	s_or_b32 s29, s31, s29
	s_delay_alu instid0(SALU_CYCLE_1)
	s_and_not1_b32 exec_lo, exec_lo, s29
	s_cbranch_execz .LBB325_298
.LBB325_296:                            ; =>This Inner Loop Header: Depth=1
	s_or_b32 s30, s30, exec_lo
	s_cmp_eq_u64 s[22:23], s[2:3]
	s_cbranch_scc0 .LBB325_294
; %bb.297:                              ;   in Loop: Header=BB325_296 Depth=1
	s_mov_b64 s[2:3], s[22:23]
                                        ; implicit-def: $sgpr4_sgpr5
	s_branch .LBB325_295
.LBB325_298:
	s_set_inst_prefetch_distance 0x2
	s_or_b32 exec_lo, exec_lo, s29
	v_cmp_gt_i64_e32 vcc_lo, s[22:23], v[21:22]
	s_or_not1_b32 s2, vcc_lo, exec_lo
.LBB325_299:
	s_or_b32 exec_lo, exec_lo, s27
.LBB325_300:
	s_delay_alu instid0(SALU_CYCLE_1)
	s_and_b32 s27, s2, exec_lo
.LBB325_301:
	s_or_b32 exec_lo, exec_lo, s28
	v_or_b32_e32 v17, 4, v39
	s_mov_b32 s28, exec_lo
	s_delay_alu instid0(VALU_DEP_1)
	v_cmpx_gt_u32_e64 s20, v17
	s_cbranch_execz .LBB325_312
; %bb.302:
	s_and_not1_b32 vcc_lo, exec_lo, s7
	s_mov_b32 s2, 0
	s_cbranch_vccnz .LBB325_311
; %bb.303:
	v_mad_u64_u32 v[17:18], null, v11, s22, s[8:9]
	s_waitcnt lgkmcnt(0)
	v_mul_lo_u32 v21, v11, s23
	v_mul_lo_u32 v22, v12, s22
	v_mad_u64_u32 v[19:20], null, v5, s22, s[8:9]
	v_mul_lo_u32 v23, v5, s23
	v_mul_lo_u32 v24, v6, s22
	s_mov_b32 s2, -1
	s_mov_b32 s26, exec_lo
	s_delay_alu instid0(VALU_DEP_4) | instskip(NEXT) | instid1(VALU_DEP_2)
	v_add3_u32 v18, v22, v18, v21
	v_add3_u32 v20, v24, v20, v23
	s_clause 0x1
	global_load_u8 v21, v[17:18], off
	global_load_u8 v22, v[19:20], off
	s_waitcnt vmcnt(0)
	v_cmpx_eq_u16_e64 v21, v22
	s_cbranch_execz .LBB325_310
; %bb.304:
	s_mov_b64 s[2:3], 1
	s_mov_b32 s29, 0
                                        ; implicit-def: $sgpr30
	s_set_inst_prefetch_distance 0x1
	s_branch .LBB325_307
	.p2align	6
.LBB325_305:                            ;   in Loop: Header=BB325_307 Depth=1
	v_add_co_u32 v21, vcc_lo, v17, s2
	v_add_co_ci_u32_e32 v22, vcc_lo, s3, v18, vcc_lo
	v_add_co_u32 v23, vcc_lo, v19, s2
	v_add_co_ci_u32_e32 v24, vcc_lo, s3, v20, vcc_lo
	s_add_u32 s4, s2, 1
	s_clause 0x1
	global_load_u8 v21, v[21:22], off
	global_load_u8 v22, v[23:24], off
	s_addc_u32 s5, s3, 0
	s_and_not1_b32 s30, s30, exec_lo
	s_waitcnt vmcnt(0)
	v_cmp_ne_u16_e32 vcc_lo, v21, v22
	s_and_b32 s31, vcc_lo, exec_lo
	s_delay_alu instid0(SALU_CYCLE_1)
	s_or_b32 s30, s30, s31
.LBB325_306:                            ;   in Loop: Header=BB325_307 Depth=1
	v_dual_mov_b32 v22, s3 :: v_dual_mov_b32 v21, s2
	s_and_b32 s31, exec_lo, s30
	s_mov_b64 s[2:3], s[4:5]
	s_or_b32 s29, s31, s29
	s_delay_alu instid0(SALU_CYCLE_1)
	s_and_not1_b32 exec_lo, exec_lo, s29
	s_cbranch_execz .LBB325_309
.LBB325_307:                            ; =>This Inner Loop Header: Depth=1
	s_or_b32 s30, s30, exec_lo
	s_cmp_eq_u64 s[22:23], s[2:3]
	s_cbranch_scc0 .LBB325_305
; %bb.308:                              ;   in Loop: Header=BB325_307 Depth=1
	s_mov_b64 s[2:3], s[22:23]
                                        ; implicit-def: $sgpr4_sgpr5
	s_branch .LBB325_306
.LBB325_309:
	s_set_inst_prefetch_distance 0x2
	s_or_b32 exec_lo, exec_lo, s29
	v_cmp_gt_i64_e32 vcc_lo, s[22:23], v[21:22]
	s_or_not1_b32 s2, vcc_lo, exec_lo
.LBB325_310:
	s_or_b32 exec_lo, exec_lo, s26
.LBB325_311:
	s_delay_alu instid0(SALU_CYCLE_1)
	s_and_b32 s26, s2, exec_lo
.LBB325_312:
	s_or_b32 exec_lo, exec_lo, s28
	v_or_b32_e32 v17, 3, v39
	s_mov_b32 s29, 0
	s_mov_b32 s28, 0
	s_mov_b32 s30, exec_lo
	s_delay_alu instid0(VALU_DEP_1)
	v_cmpx_gt_u32_e64 s20, v17
	s_cbranch_execz .LBB325_323
; %bb.313:
	s_and_not1_b32 vcc_lo, exec_lo, s7
	s_mov_b32 s2, 0
	s_cbranch_vccnz .LBB325_322
; %bb.314:
	v_mad_u64_u32 v[17:18], null, v9, s22, s[8:9]
	s_waitcnt lgkmcnt(0)
	v_mul_lo_u32 v21, v9, s23
	v_mul_lo_u32 v22, v10, s22
	v_mad_u64_u32 v[19:20], null, v11, s22, s[8:9]
	v_mul_lo_u32 v23, v11, s23
	v_mul_lo_u32 v24, v12, s22
	s_mov_b32 s2, -1
	s_mov_b32 s28, exec_lo
	s_delay_alu instid0(VALU_DEP_4) | instskip(NEXT) | instid1(VALU_DEP_2)
	v_add3_u32 v18, v22, v18, v21
	v_add3_u32 v20, v24, v20, v23
	s_clause 0x1
	global_load_u8 v21, v[17:18], off
	global_load_u8 v22, v[19:20], off
	s_waitcnt vmcnt(0)
	v_cmpx_eq_u16_e64 v21, v22
	s_cbranch_execz .LBB325_321
; %bb.315:
	s_mov_b64 s[2:3], 1
	s_mov_b32 s31, 0
                                        ; implicit-def: $sgpr33
	s_set_inst_prefetch_distance 0x1
	s_branch .LBB325_318
	.p2align	6
.LBB325_316:                            ;   in Loop: Header=BB325_318 Depth=1
	v_add_co_u32 v21, vcc_lo, v17, s2
	v_add_co_ci_u32_e32 v22, vcc_lo, s3, v18, vcc_lo
	v_add_co_u32 v23, vcc_lo, v19, s2
	v_add_co_ci_u32_e32 v24, vcc_lo, s3, v20, vcc_lo
	s_add_u32 s4, s2, 1
	s_clause 0x1
	global_load_u8 v21, v[21:22], off
	global_load_u8 v22, v[23:24], off
	s_addc_u32 s5, s3, 0
	s_and_not1_b32 s33, s33, exec_lo
	s_waitcnt vmcnt(0)
	v_cmp_ne_u16_e32 vcc_lo, v21, v22
	s_and_b32 s34, vcc_lo, exec_lo
	s_delay_alu instid0(SALU_CYCLE_1)
	s_or_b32 s33, s33, s34
.LBB325_317:                            ;   in Loop: Header=BB325_318 Depth=1
	v_dual_mov_b32 v22, s3 :: v_dual_mov_b32 v21, s2
	s_and_b32 s34, exec_lo, s33
	s_mov_b64 s[2:3], s[4:5]
	s_or_b32 s31, s34, s31
	s_delay_alu instid0(SALU_CYCLE_1)
	s_and_not1_b32 exec_lo, exec_lo, s31
	s_cbranch_execz .LBB325_320
.LBB325_318:                            ; =>This Inner Loop Header: Depth=1
	s_or_b32 s33, s33, exec_lo
	s_cmp_eq_u64 s[22:23], s[2:3]
	s_cbranch_scc0 .LBB325_316
; %bb.319:                              ;   in Loop: Header=BB325_318 Depth=1
	s_mov_b64 s[2:3], s[22:23]
                                        ; implicit-def: $sgpr4_sgpr5
	s_branch .LBB325_317
.LBB325_320:
	s_set_inst_prefetch_distance 0x2
	s_or_b32 exec_lo, exec_lo, s31
	v_cmp_gt_i64_e32 vcc_lo, s[22:23], v[21:22]
	s_or_not1_b32 s2, vcc_lo, exec_lo
.LBB325_321:
	s_or_b32 exec_lo, exec_lo, s28
.LBB325_322:
	s_delay_alu instid0(SALU_CYCLE_1)
	s_and_b32 s28, s2, exec_lo
.LBB325_323:
	s_or_b32 exec_lo, exec_lo, s30
	v_or_b32_e32 v17, 2, v39
	s_mov_b32 s30, exec_lo
	s_delay_alu instid0(VALU_DEP_1)
	v_cmpx_gt_u32_e64 s20, v17
	s_cbranch_execz .LBB325_334
; %bb.324:
	s_and_not1_b32 vcc_lo, exec_lo, s7
	s_mov_b32 s2, 0
	s_cbranch_vccnz .LBB325_333
; %bb.325:
	v_mad_u64_u32 v[17:18], null, v15, s22, s[8:9]
	s_waitcnt lgkmcnt(0)
	v_mul_lo_u32 v21, v15, s23
	v_mul_lo_u32 v22, v16, s22
	v_mad_u64_u32 v[19:20], null, v9, s22, s[8:9]
	v_mul_lo_u32 v23, v9, s23
	v_mul_lo_u32 v24, v10, s22
	s_mov_b32 s2, -1
	s_mov_b32 s29, exec_lo
	s_delay_alu instid0(VALU_DEP_4) | instskip(NEXT) | instid1(VALU_DEP_2)
	v_add3_u32 v18, v22, v18, v21
	v_add3_u32 v20, v24, v20, v23
	s_clause 0x1
	global_load_u8 v21, v[17:18], off
	global_load_u8 v22, v[19:20], off
	s_waitcnt vmcnt(0)
	v_cmpx_eq_u16_e64 v21, v22
	s_cbranch_execz .LBB325_332
; %bb.326:
	s_mov_b64 s[2:3], 1
	s_mov_b32 s31, 0
                                        ; implicit-def: $sgpr33
	s_set_inst_prefetch_distance 0x1
	s_branch .LBB325_329
	.p2align	6
.LBB325_327:                            ;   in Loop: Header=BB325_329 Depth=1
	v_add_co_u32 v21, vcc_lo, v17, s2
	v_add_co_ci_u32_e32 v22, vcc_lo, s3, v18, vcc_lo
	v_add_co_u32 v23, vcc_lo, v19, s2
	v_add_co_ci_u32_e32 v24, vcc_lo, s3, v20, vcc_lo
	s_add_u32 s4, s2, 1
	s_clause 0x1
	global_load_u8 v21, v[21:22], off
	global_load_u8 v22, v[23:24], off
	s_addc_u32 s5, s3, 0
	s_and_not1_b32 s33, s33, exec_lo
	s_waitcnt vmcnt(0)
	v_cmp_ne_u16_e32 vcc_lo, v21, v22
	s_and_b32 s34, vcc_lo, exec_lo
	s_delay_alu instid0(SALU_CYCLE_1)
	s_or_b32 s33, s33, s34
.LBB325_328:                            ;   in Loop: Header=BB325_329 Depth=1
	v_dual_mov_b32 v22, s3 :: v_dual_mov_b32 v21, s2
	s_and_b32 s34, exec_lo, s33
	s_mov_b64 s[2:3], s[4:5]
	s_or_b32 s31, s34, s31
	s_delay_alu instid0(SALU_CYCLE_1)
	s_and_not1_b32 exec_lo, exec_lo, s31
	s_cbranch_execz .LBB325_331
.LBB325_329:                            ; =>This Inner Loop Header: Depth=1
	s_or_b32 s33, s33, exec_lo
	s_cmp_eq_u64 s[22:23], s[2:3]
	s_cbranch_scc0 .LBB325_327
; %bb.330:                              ;   in Loop: Header=BB325_329 Depth=1
	s_mov_b64 s[2:3], s[22:23]
                                        ; implicit-def: $sgpr4_sgpr5
	s_branch .LBB325_328
.LBB325_331:
	s_set_inst_prefetch_distance 0x2
	s_or_b32 exec_lo, exec_lo, s31
	v_cmp_gt_i64_e32 vcc_lo, s[22:23], v[21:22]
	s_or_not1_b32 s2, vcc_lo, exec_lo
.LBB325_332:
	s_or_b32 exec_lo, exec_lo, s29
.LBB325_333:
	s_delay_alu instid0(SALU_CYCLE_1)
	s_and_b32 s29, s2, exec_lo
.LBB325_334:
	s_or_b32 exec_lo, exec_lo, s30
	v_or_b32_e32 v17, 1, v39
	s_mov_b32 s2, 0
	s_mov_b32 s30, exec_lo
	s_delay_alu instid0(VALU_DEP_1)
	v_cmpx_gt_u32_e64 s20, v17
	s_cbranch_execz .LBB325_345
; %bb.335:
	s_and_not1_b32 vcc_lo, exec_lo, s7
	s_cbranch_vccnz .LBB325_344
; %bb.336:
	v_mad_u64_u32 v[17:18], null, v13, s22, s[8:9]
	s_waitcnt lgkmcnt(0)
	v_mul_lo_u32 v21, v13, s23
	v_mul_lo_u32 v22, v14, s22
	v_mad_u64_u32 v[19:20], null, v15, s22, s[8:9]
	v_mul_lo_u32 v23, v15, s23
	v_mul_lo_u32 v24, v16, s22
	s_mov_b32 s2, -1
	s_mov_b32 s31, exec_lo
	s_delay_alu instid0(VALU_DEP_4) | instskip(NEXT) | instid1(VALU_DEP_2)
	v_add3_u32 v18, v22, v18, v21
	v_add3_u32 v20, v24, v20, v23
	s_clause 0x1
	global_load_u8 v21, v[17:18], off
	global_load_u8 v22, v[19:20], off
	s_waitcnt vmcnt(0)
	v_cmpx_eq_u16_e64 v21, v22
	s_cbranch_execz .LBB325_343
; %bb.337:
	s_mov_b64 s[2:3], 1
	s_mov_b32 s33, 0
                                        ; implicit-def: $sgpr34
	s_set_inst_prefetch_distance 0x1
	s_branch .LBB325_340
	.p2align	6
.LBB325_338:                            ;   in Loop: Header=BB325_340 Depth=1
	v_add_co_u32 v21, vcc_lo, v17, s2
	v_add_co_ci_u32_e32 v22, vcc_lo, s3, v18, vcc_lo
	v_add_co_u32 v23, vcc_lo, v19, s2
	v_add_co_ci_u32_e32 v24, vcc_lo, s3, v20, vcc_lo
	s_add_u32 s4, s2, 1
	s_clause 0x1
	global_load_u8 v21, v[21:22], off
	global_load_u8 v22, v[23:24], off
	s_addc_u32 s5, s3, 0
	s_and_not1_b32 s34, s34, exec_lo
	s_waitcnt vmcnt(0)
	v_cmp_ne_u16_e32 vcc_lo, v21, v22
	s_and_b32 s35, vcc_lo, exec_lo
	s_delay_alu instid0(SALU_CYCLE_1)
	s_or_b32 s34, s34, s35
.LBB325_339:                            ;   in Loop: Header=BB325_340 Depth=1
	v_dual_mov_b32 v22, s3 :: v_dual_mov_b32 v21, s2
	s_and_b32 s35, exec_lo, s34
	s_mov_b64 s[2:3], s[4:5]
	s_or_b32 s33, s35, s33
	s_delay_alu instid0(SALU_CYCLE_1)
	s_and_not1_b32 exec_lo, exec_lo, s33
	s_cbranch_execz .LBB325_342
.LBB325_340:                            ; =>This Inner Loop Header: Depth=1
	s_or_b32 s34, s34, exec_lo
	s_cmp_eq_u64 s[22:23], s[2:3]
	s_cbranch_scc0 .LBB325_338
; %bb.341:                              ;   in Loop: Header=BB325_340 Depth=1
	s_mov_b64 s[2:3], s[22:23]
                                        ; implicit-def: $sgpr4_sgpr5
	s_branch .LBB325_339
.LBB325_342:
	s_set_inst_prefetch_distance 0x2
	s_or_b32 exec_lo, exec_lo, s33
	v_cmp_gt_i64_e32 vcc_lo, s[22:23], v[21:22]
	s_or_not1_b32 s2, vcc_lo, exec_lo
.LBB325_343:
	s_or_b32 exec_lo, exec_lo, s31
.LBB325_344:
	s_delay_alu instid0(SALU_CYCLE_1)
	s_and_b32 s2, s2, exec_lo
.LBB325_345:
	s_or_b32 exec_lo, exec_lo, s30
	v_cndmask_b32_e64 v18, 0, 1, s28
	s_waitcnt lgkmcnt(0)
	v_cndmask_b32_e64 v19, 0, 1, s27
	v_cndmask_b32_e64 v20, 0, 1, s25
	;; [unrolled: 1-line block ×6, first 2 shown]
	v_lshlrev_b16 v19, 8, v19
	v_lshlrev_b16 v20, 8, v20
	;; [unrolled: 1-line block ×4, first 2 shown]
	s_mov_b32 s24, exec_lo
	v_or_b32_e32 v19, v22, v19
	v_or_b32_e32 v20, v23, v20
	;; [unrolled: 1-line block ×4, first 2 shown]
	s_delay_alu instid0(VALU_DEP_4) | instskip(NEXT) | instid1(VALU_DEP_4)
	v_and_b32_e32 v18, 0xffff, v19
	v_lshlrev_b32_e32 v19, 16, v20
	s_delay_alu instid0(VALU_DEP_4) | instskip(NEXT) | instid1(VALU_DEP_4)
	v_and_b32_e32 v20, 0xffff, v21
	v_lshlrev_b32_e32 v17, 16, v17
	s_barrier
	buffer_gl0_inv
	v_or_b32_e32 v18, v18, v19
                                        ; implicit-def: $sgpr2
	v_or_b32_e32 v17, v20, v17
	v_cmpx_ne_u32_e32 0, v0
	s_cbranch_execz .LBB325_358
; %bb.346:
	s_mov_b32 s2, 0
	s_mov_b32 s25, exec_lo
	v_cmpx_gt_u32_e64 s20, v39
	s_cbranch_execz .LBB325_357
; %bb.347:
	s_and_not1_b32 vcc_lo, exec_lo, s7
	s_cbranch_vccnz .LBB325_356
; %bb.348:
	v_add_nc_u32_e32 v19, -8, v39
	v_mul_lo_u32 v25, v13, s23
	s_mov_b32 s2, -1
	s_mov_b32 s7, exec_lo
	ds_load_b64 v[23:24], v19
	v_mad_u64_u32 v[19:20], null, v13, s22, s[8:9]
	s_waitcnt lgkmcnt(0)
	v_mul_lo_u32 v26, v23, s23
	v_mul_lo_u32 v24, v24, s22
	v_mad_u64_u32 v[21:22], null, v23, s22, s[8:9]
	v_mul_lo_u32 v23, v14, s22
	s_delay_alu instid0(VALU_DEP_2) | instskip(NEXT) | instid1(VALU_DEP_2)
	v_add3_u32 v22, v24, v22, v26
	v_add3_u32 v20, v23, v20, v25
	s_clause 0x1
	global_load_u8 v23, v[21:22], off
	global_load_u8 v24, v[19:20], off
	s_waitcnt vmcnt(0)
	v_cmpx_eq_u16_e64 v23, v24
	s_cbranch_execz .LBB325_355
; %bb.349:
	s_mov_b64 s[2:3], 1
	s_mov_b32 s8, 0
                                        ; implicit-def: $sgpr9
	s_set_inst_prefetch_distance 0x1
	s_branch .LBB325_352
	.p2align	6
.LBB325_350:                            ;   in Loop: Header=BB325_352 Depth=1
	v_add_co_u32 v23, vcc_lo, v21, s2
	v_add_co_ci_u32_e32 v24, vcc_lo, s3, v22, vcc_lo
	v_add_co_u32 v25, vcc_lo, v19, s2
	v_add_co_ci_u32_e32 v26, vcc_lo, s3, v20, vcc_lo
	s_add_u32 s4, s2, 1
	s_clause 0x1
	global_load_u8 v23, v[23:24], off
	global_load_u8 v24, v[25:26], off
	s_addc_u32 s5, s3, 0
	s_and_not1_b32 s9, s9, exec_lo
	s_waitcnt vmcnt(0)
	v_cmp_ne_u16_e32 vcc_lo, v23, v24
	s_and_b32 s26, vcc_lo, exec_lo
	s_delay_alu instid0(SALU_CYCLE_1)
	s_or_b32 s9, s9, s26
.LBB325_351:                            ;   in Loop: Header=BB325_352 Depth=1
	v_dual_mov_b32 v24, s3 :: v_dual_mov_b32 v23, s2
	s_and_b32 s26, exec_lo, s9
	s_mov_b64 s[2:3], s[4:5]
	s_or_b32 s8, s26, s8
	s_delay_alu instid0(SALU_CYCLE_1)
	s_and_not1_b32 exec_lo, exec_lo, s8
	s_cbranch_execz .LBB325_354
.LBB325_352:                            ; =>This Inner Loop Header: Depth=1
	s_or_b32 s9, s9, exec_lo
	s_cmp_eq_u64 s[22:23], s[2:3]
	s_cbranch_scc0 .LBB325_350
; %bb.353:                              ;   in Loop: Header=BB325_352 Depth=1
	s_mov_b64 s[2:3], s[22:23]
                                        ; implicit-def: $sgpr4_sgpr5
	s_branch .LBB325_351
.LBB325_354:
	s_set_inst_prefetch_distance 0x2
	s_or_b32 exec_lo, exec_lo, s8
	v_cmp_gt_i64_e32 vcc_lo, s[22:23], v[23:24]
	s_or_not1_b32 s2, vcc_lo, exec_lo
.LBB325_355:
	s_or_b32 exec_lo, exec_lo, s7
.LBB325_356:
	s_delay_alu instid0(SALU_CYCLE_1)
	s_and_b32 s2, s2, exec_lo
.LBB325_357:
	s_or_b32 exec_lo, exec_lo, s25
	s_delay_alu instid0(SALU_CYCLE_1)
	s_and_b32 s2, s2, exec_lo
	s_or_b32 s6, s6, exec_lo
.LBB325_358:
	s_or_b32 exec_lo, exec_lo, s24
.LBB325_359:
	s_and_saveexec_b32 s3, s6
	s_cbranch_execz .LBB325_361
; %bb.360:
	s_waitcnt lgkmcnt(0)
	v_and_b32_e32 v19, 0xffffff00, v17
	v_cndmask_b32_e64 v20, 0, 1, s2
	s_delay_alu instid0(VALU_DEP_1) | instskip(NEXT) | instid1(VALU_DEP_1)
	v_or_b32_e32 v19, v20, v19
	v_and_b32_e32 v19, 0xffff, v19
	s_delay_alu instid0(VALU_DEP_1)
	v_and_or_b32 v17, 0xffff0000, v17, v19
.LBB325_361:
	s_or_b32 exec_lo, exec_lo, s3
	s_delay_alu instid0(SALU_CYCLE_1)
	s_and_not1_b32 vcc_lo, exec_lo, s19
	s_cbranch_vccnz .LBB325_363
; %bb.362:
	v_cmp_gt_u32_e32 vcc_lo, s20, v39
	s_waitcnt lgkmcnt(0)
	v_or_b32_e32 v20, 1, v39
	v_and_b32_e32 v21, 0xffffff00, v18
	v_or_b32_e32 v22, 2, v39
	v_cndmask_b32_e32 v19, 0, v17, vcc_lo
	s_delay_alu instid0(VALU_DEP_4) | instskip(SKIP_1) | instid1(VALU_DEP_4)
	v_cmp_gt_u32_e32 vcc_lo, s20, v20
	v_or_b32_e32 v20, 4, v39
	v_cmp_gt_u32_e64 s2, s20, v22
	v_or_b32_e32 v22, 3, v39
	v_and_b32_e32 v19, 0xff, v19
	s_delay_alu instid0(VALU_DEP_2) | instskip(NEXT) | instid1(VALU_DEP_2)
	v_cmp_gt_u32_e64 s3, s20, v22
	v_cndmask_b32_e32 v19, v19, v17, vcc_lo
	v_cmp_gt_u32_e32 vcc_lo, s20, v20
	v_cndmask_b32_e32 v20, v21, v18, vcc_lo
	v_or_b32_e32 v21, 5, v39
	s_delay_alu instid0(VALU_DEP_2) | instskip(SKIP_1) | instid1(VALU_DEP_1)
	v_and_b32_e32 v20, 0xffff00ff, v20
	v_and_b32_e32 v19, 0xffff, v19
	v_cndmask_b32_e64 v19, v19, v17, s2
	s_delay_alu instid0(VALU_DEP_4) | instskip(SKIP_1) | instid1(VALU_DEP_3)
	v_cmp_gt_u32_e64 s2, s20, v21
	v_or_b32_e32 v21, 6, v39
	v_and_b32_e32 v19, 0xffffff, v19
	s_delay_alu instid0(VALU_DEP_3) | instskip(NEXT) | instid1(VALU_DEP_2)
	v_cndmask_b32_e64 v20, v20, v18, s2
	v_cndmask_b32_e64 v19, v19, v17, s3
	s_delay_alu instid0(VALU_DEP_1) | instskip(SKIP_2) | instid1(VALU_DEP_3)
	v_dual_cndmask_b32 v19, v19, v17 :: v_dual_and_b32 v20, 0xff00ffff, v20
	v_cmp_gt_u32_e32 vcc_lo, s20, v21
	v_or_b32_e32 v21, 7, v39
	v_cndmask_b32_e64 v19, v19, v17, s2
	s_delay_alu instid0(VALU_DEP_1) | instskip(NEXT) | instid1(VALU_DEP_1)
	v_dual_cndmask_b32 v20, v20, v18 :: v_dual_cndmask_b32 v19, v19, v17
	v_and_b32_e32 v20, 0xffffff, v20
	s_delay_alu instid0(VALU_DEP_4) | instskip(NEXT) | instid1(VALU_DEP_2)
	v_cmp_gt_u32_e32 vcc_lo, s20, v21
	v_dual_cndmask_b32 v18, v20, v18 :: v_dual_cndmask_b32 v17, v19, v17
.LBB325_363:
	s_delay_alu instid0(VALU_DEP_1) | instskip(SKIP_1) | instid1(VALU_DEP_2)
	v_and_b32_e32 v26, 0xff, v17
	s_waitcnt lgkmcnt(0)
	v_alignbit_b32 v19, v18, v17, 24
	v_bfe_u32 v28, v17, 8, 8
	v_bfe_u32 v30, v17, 16, 8
	v_and_b32_e32 v34, 0xff, v18
	v_bfe_u32 v36, v18, 8, 8
	v_and_b32_e32 v32, 0xff, v19
	v_add_nc_u32_e32 v19, v28, v26
	v_mbcnt_lo_u32_b32 v41, -1, 0
	v_bfe_u32 v38, v18, 16, 8
	v_lshrrev_b32_e32 v40, 24, v18
	v_lshrrev_b32_e32 v42, 5, v0
	v_add3_u32 v19, v19, v30, v32
	v_and_b32_e32 v20, 15, v41
	v_and_b32_e32 v21, 16, v41
	s_and_b32 vcc_lo, exec_lo, s21
	s_mov_b32 s19, -1
	v_add3_u32 v19, v19, v34, v36
	v_cmp_eq_u32_e64 s4, 0, v20
	v_cmp_lt_u32_e64 s2, 1, v20
	v_cmp_lt_u32_e64 s5, 3, v20
	;; [unrolled: 1-line block ×3, first 2 shown]
	v_add3_u32 v43, v19, v38, v40
	v_or_b32_e32 v19, 31, v0
	v_cmp_eq_u32_e64 s7, 0, v21
	s_barrier
	buffer_gl0_inv
	v_cmp_eq_u32_e64 s6, v19, v0
	s_cbranch_vccz .LBB325_389
; %bb.364:
	v_mov_b32_dpp v19, v43 row_shr:1 row_mask:0xf bank_mask:0xf
	s_delay_alu instid0(VALU_DEP_1) | instskip(NEXT) | instid1(VALU_DEP_1)
	v_cndmask_b32_e64 v19, v19, 0, s4
	v_add_nc_u32_e32 v19, v19, v43
	s_delay_alu instid0(VALU_DEP_1) | instskip(NEXT) | instid1(VALU_DEP_1)
	v_mov_b32_dpp v20, v19 row_shr:2 row_mask:0xf bank_mask:0xf
	v_cndmask_b32_e64 v20, 0, v20, s2
	s_delay_alu instid0(VALU_DEP_1) | instskip(NEXT) | instid1(VALU_DEP_1)
	v_add_nc_u32_e32 v19, v19, v20
	v_mov_b32_dpp v20, v19 row_shr:4 row_mask:0xf bank_mask:0xf
	s_delay_alu instid0(VALU_DEP_1) | instskip(NEXT) | instid1(VALU_DEP_1)
	v_cndmask_b32_e64 v20, 0, v20, s5
	v_add_nc_u32_e32 v19, v19, v20
	s_delay_alu instid0(VALU_DEP_1) | instskip(NEXT) | instid1(VALU_DEP_1)
	v_mov_b32_dpp v20, v19 row_shr:8 row_mask:0xf bank_mask:0xf
	v_cndmask_b32_e64 v20, 0, v20, s3
	s_delay_alu instid0(VALU_DEP_1) | instskip(SKIP_3) | instid1(VALU_DEP_1)
	v_add_nc_u32_e32 v19, v19, v20
	ds_swizzle_b32 v20, v19 offset:swizzle(BROADCAST,32,15)
	s_waitcnt lgkmcnt(0)
	v_cndmask_b32_e64 v20, v20, 0, s7
	v_add_nc_u32_e32 v19, v19, v20
	s_and_saveexec_b32 s8, s6
	s_cbranch_execz .LBB325_366
; %bb.365:
	v_lshlrev_b32_e32 v20, 2, v42
	ds_store_b32 v20, v19
.LBB325_366:
	s_or_b32 exec_lo, exec_lo, s8
	s_delay_alu instid0(SALU_CYCLE_1)
	s_mov_b32 s8, exec_lo
	s_waitcnt lgkmcnt(0)
	s_barrier
	buffer_gl0_inv
	v_cmpx_gt_u32_e32 16, v0
	s_cbranch_execz .LBB325_368
; %bb.367:
	v_lshlrev_b32_e32 v20, 2, v0
	ds_load_b32 v21, v20
	s_waitcnt lgkmcnt(0)
	v_mov_b32_dpp v22, v21 row_shr:1 row_mask:0xf bank_mask:0xf
	s_delay_alu instid0(VALU_DEP_1) | instskip(NEXT) | instid1(VALU_DEP_1)
	v_cndmask_b32_e64 v22, v22, 0, s4
	v_add_nc_u32_e32 v21, v22, v21
	s_delay_alu instid0(VALU_DEP_1) | instskip(NEXT) | instid1(VALU_DEP_1)
	v_mov_b32_dpp v22, v21 row_shr:2 row_mask:0xf bank_mask:0xf
	v_cndmask_b32_e64 v22, 0, v22, s2
	s_delay_alu instid0(VALU_DEP_1) | instskip(NEXT) | instid1(VALU_DEP_1)
	v_add_nc_u32_e32 v21, v21, v22
	v_mov_b32_dpp v22, v21 row_shr:4 row_mask:0xf bank_mask:0xf
	s_delay_alu instid0(VALU_DEP_1) | instskip(NEXT) | instid1(VALU_DEP_1)
	v_cndmask_b32_e64 v22, 0, v22, s5
	v_add_nc_u32_e32 v21, v21, v22
	s_delay_alu instid0(VALU_DEP_1) | instskip(NEXT) | instid1(VALU_DEP_1)
	v_mov_b32_dpp v22, v21 row_shr:8 row_mask:0xf bank_mask:0xf
	v_cndmask_b32_e64 v22, 0, v22, s3
	s_delay_alu instid0(VALU_DEP_1)
	v_add_nc_u32_e32 v21, v21, v22
	ds_store_b32 v20, v21
.LBB325_368:
	s_or_b32 exec_lo, exec_lo, s8
	v_cmp_gt_u32_e32 vcc_lo, 32, v0
	s_mov_b32 s9, exec_lo
	s_waitcnt lgkmcnt(0)
	s_barrier
	buffer_gl0_inv
                                        ; implicit-def: $vgpr27
	v_cmpx_lt_u32_e32 31, v0
	s_cbranch_execz .LBB325_370
; %bb.369:
	v_lshl_add_u32 v20, v42, 2, -4
	ds_load_b32 v27, v20
	s_waitcnt lgkmcnt(0)
	v_add_nc_u32_e32 v19, v27, v19
.LBB325_370:
	s_or_b32 exec_lo, exec_lo, s9
	v_add_nc_u32_e32 v20, -1, v41
	s_delay_alu instid0(VALU_DEP_1) | instskip(NEXT) | instid1(VALU_DEP_1)
	v_cmp_gt_i32_e64 s8, 0, v20
	v_cndmask_b32_e64 v20, v20, v41, s8
	v_cmp_eq_u32_e64 s8, 0, v41
	s_delay_alu instid0(VALU_DEP_2)
	v_lshlrev_b32_e32 v20, 2, v20
	ds_bpermute_b32 v29, v20, v19
	s_and_saveexec_b32 s9, vcc_lo
	s_cbranch_execz .LBB325_388
; %bb.371:
	v_mov_b32_e32 v22, 0
	ds_load_b32 v19, v22 offset:60
	s_and_saveexec_b32 s19, s8
	s_cbranch_execz .LBB325_373
; %bb.372:
	s_add_i32 s20, s15, 32
	s_mov_b32 s21, 0
	v_mov_b32_e32 v20, 1
	s_lshl_b64 s[20:21], s[20:21], 3
	s_delay_alu instid0(SALU_CYCLE_1)
	s_add_u32 s20, s10, s20
	s_addc_u32 s21, s11, s21
	s_waitcnt lgkmcnt(0)
	global_store_b64 v22, v[19:20], s[20:21]
.LBB325_373:
	s_or_b32 exec_lo, exec_lo, s19
	v_xad_u32 v20, v41, -1, s15
	s_mov_b32 s20, 0
	s_mov_b32 s19, exec_lo
	s_delay_alu instid0(VALU_DEP_1) | instskip(NEXT) | instid1(VALU_DEP_1)
	v_add_nc_u32_e32 v21, 32, v20
	v_lshlrev_b64 v[21:22], 3, v[21:22]
	s_delay_alu instid0(VALU_DEP_1) | instskip(NEXT) | instid1(VALU_DEP_2)
	v_add_co_u32 v24, vcc_lo, s10, v21
	v_add_co_ci_u32_e32 v25, vcc_lo, s11, v22, vcc_lo
	global_load_b64 v[22:23], v[24:25], off glc
	s_waitcnt vmcnt(0)
	v_and_b32_e32 v21, 0xff, v23
	s_delay_alu instid0(VALU_DEP_1)
	v_cmpx_eq_u16_e32 0, v21
	s_cbranch_execz .LBB325_376
.LBB325_374:                            ; =>This Inner Loop Header: Depth=1
	global_load_b64 v[22:23], v[24:25], off glc
	s_waitcnt vmcnt(0)
	v_and_b32_e32 v21, 0xff, v23
	s_delay_alu instid0(VALU_DEP_1) | instskip(SKIP_1) | instid1(SALU_CYCLE_1)
	v_cmp_ne_u16_e32 vcc_lo, 0, v21
	s_or_b32 s20, vcc_lo, s20
	s_and_not1_b32 exec_lo, exec_lo, s20
	s_cbranch_execnz .LBB325_374
; %bb.375:
	s_or_b32 exec_lo, exec_lo, s20
.LBB325_376:
	s_delay_alu instid0(SALU_CYCLE_1)
	s_or_b32 exec_lo, exec_lo, s19
	v_cmp_ne_u32_e32 vcc_lo, 31, v41
	v_lshlrev_b32_e64 v33, v41, -1
	v_add_nc_u32_e32 v37, 2, v41
	v_add_nc_u32_e32 v46, 4, v41
	;; [unrolled: 1-line block ×3, first 2 shown]
	v_add_co_ci_u32_e32 v21, vcc_lo, 0, v41, vcc_lo
	v_add_nc_u32_e32 v50, 16, v41
	s_delay_alu instid0(VALU_DEP_2)
	v_lshlrev_b32_e32 v31, 2, v21
	v_and_b32_e32 v21, 0xff, v23
	ds_bpermute_b32 v24, v31, v22
	v_cmp_eq_u16_e32 vcc_lo, 2, v21
	v_and_or_b32 v21, vcc_lo, v33, 0x80000000
	v_cmp_gt_u32_e32 vcc_lo, 30, v41
	s_delay_alu instid0(VALU_DEP_2) | instskip(SKIP_1) | instid1(VALU_DEP_2)
	v_ctz_i32_b32_e32 v21, v21
	v_cndmask_b32_e64 v25, 0, 1, vcc_lo
	v_cmp_lt_u32_e32 vcc_lo, v41, v21
	s_waitcnt lgkmcnt(0)
	s_delay_alu instid0(VALU_DEP_2) | instskip(NEXT) | instid1(VALU_DEP_1)
	v_dual_cndmask_b32 v24, 0, v24 :: v_dual_lshlrev_b32 v25, 1, v25
	v_add_lshl_u32 v35, v25, v41, 2
	v_cmp_gt_u32_e32 vcc_lo, 28, v41
	s_delay_alu instid0(VALU_DEP_3) | instskip(SKIP_4) | instid1(VALU_DEP_1)
	v_add_nc_u32_e32 v22, v24, v22
	v_cndmask_b32_e64 v25, 0, 1, vcc_lo
	v_cmp_le_u32_e32 vcc_lo, v37, v21
	ds_bpermute_b32 v24, v35, v22
	v_lshlrev_b32_e32 v25, 2, v25
	v_add_lshl_u32 v44, v25, v41, 2
	s_waitcnt lgkmcnt(0)
	v_cndmask_b32_e32 v24, 0, v24, vcc_lo
	v_cmp_gt_u32_e32 vcc_lo, 24, v41
	s_delay_alu instid0(VALU_DEP_2) | instskip(SKIP_4) | instid1(VALU_DEP_1)
	v_add_nc_u32_e32 v22, v22, v24
	v_cndmask_b32_e64 v25, 0, 1, vcc_lo
	v_cmp_le_u32_e32 vcc_lo, v46, v21
	ds_bpermute_b32 v24, v44, v22
	v_lshlrev_b32_e32 v25, 3, v25
	v_add_lshl_u32 v47, v25, v41, 2
	s_waitcnt lgkmcnt(0)
	v_cndmask_b32_e32 v24, 0, v24, vcc_lo
	v_cmp_gt_u32_e32 vcc_lo, 16, v41
	s_delay_alu instid0(VALU_DEP_2) | instskip(SKIP_4) | instid1(VALU_DEP_1)
	v_add_nc_u32_e32 v22, v22, v24
	v_cndmask_b32_e64 v25, 0, 1, vcc_lo
	v_cmp_le_u32_e32 vcc_lo, v48, v21
	ds_bpermute_b32 v24, v47, v22
	v_lshlrev_b32_e32 v25, 4, v25
	v_add_lshl_u32 v49, v25, v41, 2
	s_waitcnt lgkmcnt(0)
	v_cndmask_b32_e32 v24, 0, v24, vcc_lo
	v_cmp_le_u32_e32 vcc_lo, v50, v21
	s_delay_alu instid0(VALU_DEP_2) | instskip(SKIP_3) | instid1(VALU_DEP_1)
	v_add_nc_u32_e32 v22, v22, v24
	ds_bpermute_b32 v24, v49, v22
	s_waitcnt lgkmcnt(0)
	v_cndmask_b32_e32 v21, 0, v24, vcc_lo
	v_dual_mov_b32 v21, 0 :: v_dual_add_nc_u32 v22, v22, v21
	s_branch .LBB325_378
.LBB325_377:                            ;   in Loop: Header=BB325_378 Depth=1
	s_or_b32 exec_lo, exec_lo, s19
	ds_bpermute_b32 v25, v31, v22
	v_and_b32_e32 v24, 0xff, v23
	v_subrev_nc_u32_e32 v20, 32, v20
	s_delay_alu instid0(VALU_DEP_2) | instskip(SKIP_1) | instid1(VALU_DEP_1)
	v_cmp_eq_u16_e32 vcc_lo, 2, v24
	v_and_or_b32 v24, vcc_lo, v33, 0x80000000
	v_ctz_i32_b32_e32 v24, v24
	s_delay_alu instid0(VALU_DEP_1) | instskip(SKIP_3) | instid1(VALU_DEP_2)
	v_cmp_lt_u32_e32 vcc_lo, v41, v24
	s_waitcnt lgkmcnt(0)
	v_cndmask_b32_e32 v25, 0, v25, vcc_lo
	v_cmp_le_u32_e32 vcc_lo, v37, v24
	v_add_nc_u32_e32 v22, v25, v22
	ds_bpermute_b32 v25, v35, v22
	s_waitcnt lgkmcnt(0)
	v_cndmask_b32_e32 v25, 0, v25, vcc_lo
	v_cmp_le_u32_e32 vcc_lo, v46, v24
	s_delay_alu instid0(VALU_DEP_2) | instskip(SKIP_4) | instid1(VALU_DEP_2)
	v_add_nc_u32_e32 v22, v22, v25
	ds_bpermute_b32 v25, v44, v22
	s_waitcnt lgkmcnt(0)
	v_cndmask_b32_e32 v25, 0, v25, vcc_lo
	v_cmp_le_u32_e32 vcc_lo, v48, v24
	v_add_nc_u32_e32 v22, v22, v25
	ds_bpermute_b32 v25, v47, v22
	s_waitcnt lgkmcnt(0)
	v_cndmask_b32_e32 v25, 0, v25, vcc_lo
	v_cmp_le_u32_e32 vcc_lo, v50, v24
	s_delay_alu instid0(VALU_DEP_2) | instskip(SKIP_3) | instid1(VALU_DEP_1)
	v_add_nc_u32_e32 v22, v22, v25
	ds_bpermute_b32 v25, v49, v22
	s_waitcnt lgkmcnt(0)
	v_cndmask_b32_e32 v24, 0, v25, vcc_lo
	v_add3_u32 v22, v24, v45, v22
.LBB325_378:                            ; =>This Loop Header: Depth=1
                                        ;     Child Loop BB325_381 Depth 2
	v_and_b32_e32 v23, 0xff, v23
	s_delay_alu instid0(VALU_DEP_2) | instskip(NEXT) | instid1(VALU_DEP_2)
	v_mov_b32_e32 v45, v22
	v_cmp_ne_u16_e32 vcc_lo, 2, v23
	v_cndmask_b32_e64 v23, 0, 1, vcc_lo
	;;#ASMSTART
	;;#ASMEND
	s_delay_alu instid0(VALU_DEP_1)
	v_cmp_ne_u32_e32 vcc_lo, 0, v23
	s_cmp_lg_u32 vcc_lo, exec_lo
	s_cbranch_scc1 .LBB325_383
; %bb.379:                              ;   in Loop: Header=BB325_378 Depth=1
	v_lshlrev_b64 v[22:23], 3, v[20:21]
	s_mov_b32 s19, exec_lo
	s_delay_alu instid0(VALU_DEP_1) | instskip(NEXT) | instid1(VALU_DEP_2)
	v_add_co_u32 v24, vcc_lo, s10, v22
	v_add_co_ci_u32_e32 v25, vcc_lo, s11, v23, vcc_lo
	global_load_b64 v[22:23], v[24:25], off glc
	s_waitcnt vmcnt(0)
	v_and_b32_e32 v51, 0xff, v23
	s_delay_alu instid0(VALU_DEP_1)
	v_cmpx_eq_u16_e32 0, v51
	s_cbranch_execz .LBB325_377
; %bb.380:                              ;   in Loop: Header=BB325_378 Depth=1
	s_mov_b32 s20, 0
.LBB325_381:                            ;   Parent Loop BB325_378 Depth=1
                                        ; =>  This Inner Loop Header: Depth=2
	global_load_b64 v[22:23], v[24:25], off glc
	s_waitcnt vmcnt(0)
	v_and_b32_e32 v51, 0xff, v23
	s_delay_alu instid0(VALU_DEP_1) | instskip(SKIP_1) | instid1(SALU_CYCLE_1)
	v_cmp_ne_u16_e32 vcc_lo, 0, v51
	s_or_b32 s20, vcc_lo, s20
	s_and_not1_b32 exec_lo, exec_lo, s20
	s_cbranch_execnz .LBB325_381
; %bb.382:                              ;   in Loop: Header=BB325_378 Depth=1
	s_or_b32 exec_lo, exec_lo, s20
	s_branch .LBB325_377
.LBB325_383:                            ;   in Loop: Header=BB325_378 Depth=1
                                        ; implicit-def: $vgpr22
                                        ; implicit-def: $vgpr23
	s_cbranch_execz .LBB325_378
; %bb.384:
	s_and_saveexec_b32 s19, s8
	s_cbranch_execz .LBB325_386
; %bb.385:
	s_add_i32 s20, s15, 32
	s_mov_b32 s21, 0
	v_dual_mov_b32 v21, 2 :: v_dual_add_nc_u32 v20, v45, v19
	s_lshl_b64 s[20:21], s[20:21], 3
	v_mov_b32_e32 v22, 0
	v_add_nc_u32_e64 v23, 0x8400, 0
	s_add_u32 s20, s10, s20
	s_addc_u32 s21, s11, s21
	global_store_b64 v22, v[20:21], s[20:21]
	ds_store_2addr_b32 v23, v19, v45 offset1:2
.LBB325_386:
	s_or_b32 exec_lo, exec_lo, s19
	v_cmp_eq_u32_e32 vcc_lo, 0, v0
	s_and_b32 exec_lo, exec_lo, vcc_lo
	s_cbranch_execz .LBB325_388
; %bb.387:
	v_mov_b32_e32 v19, 0
	ds_store_b32 v19, v45 offset:60
.LBB325_388:
	s_or_b32 exec_lo, exec_lo, s9
	s_waitcnt lgkmcnt(0)
	v_cndmask_b32_e64 v20, v29, v27, s8
	v_cmp_ne_u32_e32 vcc_lo, 0, v0
	v_mov_b32_e32 v19, 0
	s_waitcnt_vscnt null, 0x0
	s_barrier
	buffer_gl0_inv
	v_cndmask_b32_e32 v20, 0, v20, vcc_lo
	ds_load_b32 v19, v19 offset:60
	s_waitcnt lgkmcnt(0)
	s_barrier
	buffer_gl0_inv
	v_add_nc_u32_e32 v37, v19, v20
	v_add_nc_u32_e64 v19, 0x8400, 0
	s_delay_alu instid0(VALU_DEP_2) | instskip(SKIP_2) | instid1(VALU_DEP_1)
	v_add_nc_u32_e32 v35, v37, v26
	ds_load_2addr_b32 v[19:20], v19 offset1:2
	v_add_nc_u32_e32 v33, v35, v28
	v_add_nc_u32_e32 v31, v33, v30
	s_delay_alu instid0(VALU_DEP_1) | instskip(NEXT) | instid1(VALU_DEP_1)
	v_add_nc_u32_e32 v29, v31, v32
	v_add_nc_u32_e32 v27, v29, v34
	s_delay_alu instid0(VALU_DEP_1) | instskip(NEXT) | instid1(VALU_DEP_1)
	v_add_nc_u32_e32 v25, v27, v36
	v_add_nc_u32_e32 v23, v25, v38
	s_load_b64 s[8:9], s[0:1], 0x28
	v_lshrrev_b64 v[21:22], 24, v[17:18]
	s_branch .LBB325_399
.LBB325_389:
                                        ; implicit-def: $vgpr23
                                        ; implicit-def: $vgpr25
                                        ; implicit-def: $vgpr27
                                        ; implicit-def: $vgpr29
                                        ; implicit-def: $vgpr31
                                        ; implicit-def: $vgpr33
                                        ; implicit-def: $vgpr35
                                        ; implicit-def: $vgpr37
                                        ; implicit-def: $vgpr20
	s_load_b64 s[8:9], s[0:1], 0x28
	v_lshrrev_b64 v[21:22], 24, v[17:18]
	s_and_b32 vcc_lo, exec_lo, s19
	s_cbranch_vccz .LBB325_399
; %bb.390:
	s_waitcnt lgkmcnt(0)
	v_mov_b32_dpp v19, v43 row_shr:1 row_mask:0xf bank_mask:0xf
	s_delay_alu instid0(VALU_DEP_1) | instskip(NEXT) | instid1(VALU_DEP_1)
	v_cndmask_b32_e64 v19, v19, 0, s4
	v_add_nc_u32_e32 v19, v19, v43
	s_delay_alu instid0(VALU_DEP_1) | instskip(NEXT) | instid1(VALU_DEP_1)
	v_mov_b32_dpp v20, v19 row_shr:2 row_mask:0xf bank_mask:0xf
	v_cndmask_b32_e64 v20, 0, v20, s2
	s_delay_alu instid0(VALU_DEP_1) | instskip(NEXT) | instid1(VALU_DEP_1)
	v_add_nc_u32_e32 v19, v19, v20
	v_mov_b32_dpp v20, v19 row_shr:4 row_mask:0xf bank_mask:0xf
	s_delay_alu instid0(VALU_DEP_1) | instskip(NEXT) | instid1(VALU_DEP_1)
	v_cndmask_b32_e64 v20, 0, v20, s5
	v_add_nc_u32_e32 v19, v19, v20
	s_delay_alu instid0(VALU_DEP_1) | instskip(NEXT) | instid1(VALU_DEP_1)
	v_mov_b32_dpp v20, v19 row_shr:8 row_mask:0xf bank_mask:0xf
	v_cndmask_b32_e64 v20, 0, v20, s3
	s_delay_alu instid0(VALU_DEP_1) | instskip(SKIP_3) | instid1(VALU_DEP_1)
	v_add_nc_u32_e32 v19, v19, v20
	ds_swizzle_b32 v20, v19 offset:swizzle(BROADCAST,32,15)
	s_waitcnt lgkmcnt(0)
	v_cndmask_b32_e64 v20, v20, 0, s7
	v_add_nc_u32_e32 v19, v19, v20
	s_and_saveexec_b32 s0, s6
	s_cbranch_execz .LBB325_392
; %bb.391:
	v_lshlrev_b32_e32 v20, 2, v42
	ds_store_b32 v20, v19
.LBB325_392:
	s_or_b32 exec_lo, exec_lo, s0
	s_delay_alu instid0(SALU_CYCLE_1)
	s_mov_b32 s0, exec_lo
	s_waitcnt lgkmcnt(0)
	s_barrier
	buffer_gl0_inv
	v_cmpx_gt_u32_e32 16, v0
	s_cbranch_execz .LBB325_394
; %bb.393:
	v_lshlrev_b32_e32 v20, 2, v0
	ds_load_b32 v22, v20
	s_waitcnt lgkmcnt(0)
	v_mov_b32_dpp v23, v22 row_shr:1 row_mask:0xf bank_mask:0xf
	s_delay_alu instid0(VALU_DEP_1) | instskip(NEXT) | instid1(VALU_DEP_1)
	v_cndmask_b32_e64 v23, v23, 0, s4
	v_add_nc_u32_e32 v22, v23, v22
	s_delay_alu instid0(VALU_DEP_1) | instskip(NEXT) | instid1(VALU_DEP_1)
	v_mov_b32_dpp v23, v22 row_shr:2 row_mask:0xf bank_mask:0xf
	v_cndmask_b32_e64 v23, 0, v23, s2
	s_delay_alu instid0(VALU_DEP_1) | instskip(NEXT) | instid1(VALU_DEP_1)
	v_add_nc_u32_e32 v22, v22, v23
	v_mov_b32_dpp v23, v22 row_shr:4 row_mask:0xf bank_mask:0xf
	s_delay_alu instid0(VALU_DEP_1) | instskip(NEXT) | instid1(VALU_DEP_1)
	v_cndmask_b32_e64 v23, 0, v23, s5
	v_add_nc_u32_e32 v22, v22, v23
	s_delay_alu instid0(VALU_DEP_1) | instskip(NEXT) | instid1(VALU_DEP_1)
	v_mov_b32_dpp v23, v22 row_shr:8 row_mask:0xf bank_mask:0xf
	v_cndmask_b32_e64 v23, 0, v23, s3
	s_delay_alu instid0(VALU_DEP_1)
	v_add_nc_u32_e32 v22, v22, v23
	ds_store_b32 v20, v22
.LBB325_394:
	s_or_b32 exec_lo, exec_lo, s0
	v_mov_b32_e32 v20, 0
	v_mov_b32_e32 v22, 0
	s_mov_b32 s0, exec_lo
	s_waitcnt lgkmcnt(0)
	s_barrier
	buffer_gl0_inv
	v_cmpx_lt_u32_e32 31, v0
	s_cbranch_execz .LBB325_396
; %bb.395:
	v_lshl_add_u32 v22, v42, 2, -4
	ds_load_b32 v22, v22
.LBB325_396:
	s_or_b32 exec_lo, exec_lo, s0
	v_add_nc_u32_e32 v23, -1, v41
	s_waitcnt lgkmcnt(0)
	v_add_nc_u32_e32 v19, v22, v19
	s_delay_alu instid0(VALU_DEP_2) | instskip(SKIP_2) | instid1(VALU_DEP_2)
	v_cmp_gt_i32_e32 vcc_lo, 0, v23
	v_cndmask_b32_e32 v23, v23, v41, vcc_lo
	v_cmp_eq_u32_e32 vcc_lo, 0, v0
	v_lshlrev_b32_e32 v23, 2, v23
	ds_bpermute_b32 v23, v23, v19
	ds_load_b32 v19, v20 offset:60
	s_and_saveexec_b32 s0, vcc_lo
	s_cbranch_execz .LBB325_398
; %bb.397:
	v_mov_b32_e32 v24, 0
	v_mov_b32_e32 v20, 2
	s_waitcnt lgkmcnt(0)
	global_store_b64 v24, v[19:20], s[10:11] offset:256
.LBB325_398:
	s_or_b32 exec_lo, exec_lo, s0
	v_cmp_eq_u32_e64 s0, 0, v41
	s_waitcnt lgkmcnt(0)
	s_waitcnt_vscnt null, 0x0
	s_barrier
	buffer_gl0_inv
	v_cndmask_b32_e64 v20, v23, v22, s0
	s_delay_alu instid0(VALU_DEP_1) | instskip(NEXT) | instid1(VALU_DEP_1)
	v_cndmask_b32_e64 v37, v20, 0, vcc_lo
	v_dual_mov_b32 v20, 0 :: v_dual_add_nc_u32 v35, v37, v26
	s_delay_alu instid0(VALU_DEP_1) | instskip(NEXT) | instid1(VALU_DEP_1)
	v_add_nc_u32_e32 v33, v35, v28
	v_add_nc_u32_e32 v31, v33, v30
	s_delay_alu instid0(VALU_DEP_1) | instskip(NEXT) | instid1(VALU_DEP_1)
	v_add_nc_u32_e32 v29, v31, v32
	v_add_nc_u32_e32 v27, v29, v34
	;; [unrolled: 3-line block ×3, first 2 shown]
.LBB325_399:
	s_waitcnt lgkmcnt(0)
	v_cmp_gt_u32_e32 vcc_lo, 0x201, v19
	v_lshrrev_b32_e32 v43, 8, v17
	v_lshrrev_b32_e32 v42, 16, v17
	v_lshrrev_b32_e32 v41, 8, v18
	v_lshrrev_b32_e32 v22, 16, v18
	s_mov_b32 s0, -1
	s_cbranch_vccnz .LBB325_403
; %bb.400:
	s_and_b32 vcc_lo, exec_lo, s0
	s_cbranch_vccnz .LBB325_428
.LBB325_401:
	v_cmp_eq_u32_e32 vcc_lo, 0, v0
	s_and_b32 s0, vcc_lo, s14
	s_delay_alu instid0(SALU_CYCLE_1)
	s_and_saveexec_b32 s1, s0
	s_cbranch_execnz .LBB325_448
.LBB325_402:
	s_nop 0
	s_sendmsg sendmsg(MSG_DEALLOC_VGPRS)
	s_endpgm
.LBB325_403:
	v_add_nc_u32_e32 v24, v20, v19
	s_delay_alu instid0(VALU_DEP_1) | instskip(SKIP_1) | instid1(SALU_CYCLE_1)
	v_cmp_lt_u32_e32 vcc_lo, v37, v24
	s_or_b32 s1, s18, vcc_lo
	s_and_saveexec_b32 s0, s1
	s_cbranch_execz .LBB325_406
; %bb.404:
	v_and_b32_e32 v26, 1, v17
	s_delay_alu instid0(VALU_DEP_1)
	v_cmp_eq_u32_e32 vcc_lo, 1, v26
	s_and_b32 exec_lo, exec_lo, vcc_lo
	s_cbranch_execz .LBB325_406
; %bb.405:
	v_mov_b32_e32 v38, 0
	s_lshl_b64 s[2:3], s[12:13], 3
	s_delay_alu instid0(SALU_CYCLE_1) | instskip(SKIP_1) | instid1(VALU_DEP_1)
	s_add_u32 s1, s8, s2
	s_addc_u32 s2, s9, s3
	v_lshlrev_b64 v[44:45], 3, v[37:38]
	s_delay_alu instid0(VALU_DEP_1) | instskip(NEXT) | instid1(VALU_DEP_2)
	v_add_co_u32 v44, vcc_lo, s1, v44
	v_add_co_ci_u32_e32 v45, vcc_lo, s2, v45, vcc_lo
	global_store_b64 v[44:45], v[13:14], off
.LBB325_406:
	s_or_b32 exec_lo, exec_lo, s0
	v_cmp_lt_u32_e32 vcc_lo, v35, v24
	s_or_b32 s1, s18, vcc_lo
	s_delay_alu instid0(SALU_CYCLE_1)
	s_and_saveexec_b32 s0, s1
	s_cbranch_execz .LBB325_409
; %bb.407:
	v_and_b32_e32 v26, 1, v43
	s_delay_alu instid0(VALU_DEP_1)
	v_cmp_eq_u32_e32 vcc_lo, 1, v26
	s_and_b32 exec_lo, exec_lo, vcc_lo
	s_cbranch_execz .LBB325_409
; %bb.408:
	v_mov_b32_e32 v36, 0
	s_lshl_b64 s[2:3], s[12:13], 3
	s_delay_alu instid0(SALU_CYCLE_1) | instskip(SKIP_1) | instid1(VALU_DEP_1)
	s_add_u32 s1, s8, s2
	s_addc_u32 s2, s9, s3
	v_lshlrev_b64 v[44:45], 3, v[35:36]
	s_delay_alu instid0(VALU_DEP_1) | instskip(NEXT) | instid1(VALU_DEP_2)
	v_add_co_u32 v44, vcc_lo, s1, v44
	v_add_co_ci_u32_e32 v45, vcc_lo, s2, v45, vcc_lo
	global_store_b64 v[44:45], v[15:16], off
.LBB325_409:
	s_or_b32 exec_lo, exec_lo, s0
	v_cmp_lt_u32_e32 vcc_lo, v33, v24
	s_or_b32 s1, s18, vcc_lo
	s_delay_alu instid0(SALU_CYCLE_1)
	;; [unrolled: 24-line block ×7, first 2 shown]
	s_and_saveexec_b32 s0, s1
	s_cbranch_execz .LBB325_427
; %bb.425:
	v_and_b32_e32 v24, 1, v40
	s_delay_alu instid0(VALU_DEP_1)
	v_cmp_eq_u32_e32 vcc_lo, 1, v24
	s_and_b32 exec_lo, exec_lo, vcc_lo
	s_cbranch_execz .LBB325_427
; %bb.426:
	v_mov_b32_e32 v24, 0
	s_lshl_b64 s[2:3], s[12:13], 3
	s_delay_alu instid0(SALU_CYCLE_1) | instskip(SKIP_1) | instid1(VALU_DEP_1)
	s_add_u32 s1, s8, s2
	s_addc_u32 s2, s9, s3
	v_lshlrev_b64 v[44:45], 3, v[23:24]
	s_delay_alu instid0(VALU_DEP_1) | instskip(NEXT) | instid1(VALU_DEP_2)
	v_add_co_u32 v44, vcc_lo, s1, v44
	v_add_co_ci_u32_e32 v45, vcc_lo, s2, v45, vcc_lo
	global_store_b64 v[44:45], v[3:4], off
.LBB325_427:
	s_or_b32 exec_lo, exec_lo, s0
	s_branch .LBB325_401
.LBB325_428:
	v_and_b32_e32 v17, 1, v17
	s_mov_b32 s0, exec_lo
	s_delay_alu instid0(VALU_DEP_1)
	v_cmpx_eq_u32_e32 1, v17
	s_cbranch_execz .LBB325_430
; %bb.429:
	v_sub_nc_u32_e32 v17, v37, v20
	s_delay_alu instid0(VALU_DEP_1)
	v_lshlrev_b32_e32 v17, 3, v17
	ds_store_b64 v17, v[13:14]
.LBB325_430:
	s_or_b32 exec_lo, exec_lo, s0
	v_and_b32_e32 v13, 1, v43
	s_mov_b32 s0, exec_lo
	s_delay_alu instid0(VALU_DEP_1)
	v_cmpx_eq_u32_e32 1, v13
	s_cbranch_execz .LBB325_432
; %bb.431:
	v_sub_nc_u32_e32 v13, v35, v20
	s_delay_alu instid0(VALU_DEP_1)
	v_lshlrev_b32_e32 v13, 3, v13
	ds_store_b64 v13, v[15:16]
.LBB325_432:
	s_or_b32 exec_lo, exec_lo, s0
	v_and_b32_e32 v13, 1, v42
	s_mov_b32 s0, exec_lo
	s_delay_alu instid0(VALU_DEP_1)
	v_cmpx_eq_u32_e32 1, v13
	s_cbranch_execz .LBB325_434
; %bb.433:
	v_sub_nc_u32_e32 v13, v33, v20
	s_delay_alu instid0(VALU_DEP_1)
	v_lshlrev_b32_e32 v13, 3, v13
	ds_store_b64 v13, v[9:10]
.LBB325_434:
	s_or_b32 exec_lo, exec_lo, s0
	v_and_b32_e32 v9, 1, v21
	s_mov_b32 s0, exec_lo
	s_delay_alu instid0(VALU_DEP_1)
	v_cmpx_eq_u32_e32 1, v9
	s_cbranch_execz .LBB325_436
; %bb.435:
	v_sub_nc_u32_e32 v9, v31, v20
	s_delay_alu instid0(VALU_DEP_1)
	v_lshlrev_b32_e32 v9, 3, v9
	ds_store_b64 v9, v[11:12]
.LBB325_436:
	s_or_b32 exec_lo, exec_lo, s0
	v_and_b32_e32 v9, 1, v18
	s_mov_b32 s0, exec_lo
	s_delay_alu instid0(VALU_DEP_1)
	v_cmpx_eq_u32_e32 1, v9
	s_cbranch_execz .LBB325_438
; %bb.437:
	v_sub_nc_u32_e32 v9, v29, v20
	s_delay_alu instid0(VALU_DEP_1)
	v_lshlrev_b32_e32 v9, 3, v9
	ds_store_b64 v9, v[5:6]
.LBB325_438:
	s_or_b32 exec_lo, exec_lo, s0
	v_and_b32_e32 v5, 1, v41
	s_mov_b32 s0, exec_lo
	s_delay_alu instid0(VALU_DEP_1)
	v_cmpx_eq_u32_e32 1, v5
	s_cbranch_execz .LBB325_440
; %bb.439:
	v_sub_nc_u32_e32 v5, v27, v20
	s_delay_alu instid0(VALU_DEP_1)
	v_lshlrev_b32_e32 v5, 3, v5
	ds_store_b64 v5, v[7:8]
.LBB325_440:
	s_or_b32 exec_lo, exec_lo, s0
	v_and_b32_e32 v5, 1, v22
	s_mov_b32 s0, exec_lo
	s_delay_alu instid0(VALU_DEP_1)
	v_cmpx_eq_u32_e32 1, v5
	s_cbranch_execz .LBB325_442
; %bb.441:
	v_sub_nc_u32_e32 v5, v25, v20
	s_delay_alu instid0(VALU_DEP_1)
	v_lshlrev_b32_e32 v5, 3, v5
	ds_store_b64 v5, v[1:2]
.LBB325_442:
	s_or_b32 exec_lo, exec_lo, s0
	v_and_b32_e32 v1, 1, v40
	s_mov_b32 s0, exec_lo
	s_delay_alu instid0(VALU_DEP_1)
	v_cmpx_eq_u32_e32 1, v1
	s_cbranch_execz .LBB325_444
; %bb.443:
	v_sub_nc_u32_e32 v1, v23, v20
	s_delay_alu instid0(VALU_DEP_1)
	v_lshlrev_b32_e32 v1, 3, v1
	ds_store_b64 v1, v[3:4]
.LBB325_444:
	s_or_b32 exec_lo, exec_lo, s0
	s_delay_alu instid0(SALU_CYCLE_1)
	s_mov_b32 s1, exec_lo
	s_waitcnt lgkmcnt(0)
	s_waitcnt_vscnt null, 0x0
	s_barrier
	buffer_gl0_inv
	v_cmpx_lt_u32_e64 v0, v19
	s_cbranch_execz .LBB325_447
; %bb.445:
	v_dual_mov_b32 v2, 0 :: v_dual_mov_b32 v1, v20
	s_lshl_b64 s[2:3], s[12:13], 3
	v_mov_b32_e32 v3, v0
	s_delay_alu instid0(VALU_DEP_2) | instskip(NEXT) | instid1(VALU_DEP_1)
	v_lshlrev_b64 v[1:2], 3, v[1:2]
	v_add_co_u32 v1, vcc_lo, s2, v1
	s_delay_alu instid0(VALU_DEP_2) | instskip(SKIP_1) | instid1(VALU_DEP_2)
	v_add_co_ci_u32_e32 v2, vcc_lo, s3, v2, vcc_lo
	s_mov_b32 s2, 0
	v_add_co_u32 v1, vcc_lo, s8, v1
	s_delay_alu instid0(VALU_DEP_2) | instskip(NEXT) | instid1(VALU_DEP_2)
	v_add_co_ci_u32_e32 v2, vcc_lo, s9, v2, vcc_lo
	v_add_co_u32 v1, vcc_lo, v1, v39
	s_delay_alu instid0(VALU_DEP_2)
	v_add_co_ci_u32_e32 v2, vcc_lo, 0, v2, vcc_lo
	.p2align	6
.LBB325_446:                            ; =>This Inner Loop Header: Depth=1
	ds_load_b64 v[4:5], v39
	v_add_nc_u32_e32 v3, 0x200, v3
	v_add_nc_u32_e32 v39, 0x1000, v39
	s_delay_alu instid0(VALU_DEP_2) | instskip(SKIP_4) | instid1(VALU_DEP_1)
	v_cmp_ge_u32_e32 vcc_lo, v3, v19
	s_or_b32 s2, vcc_lo, s2
	s_waitcnt lgkmcnt(0)
	global_store_b64 v[1:2], v[4:5], off
	v_add_co_u32 v1, s0, 0x1000, v1
	v_add_co_ci_u32_e64 v2, s0, 0, v2, s0
	s_and_not1_b32 exec_lo, exec_lo, s2
	s_cbranch_execnz .LBB325_446
.LBB325_447:
	s_or_b32 exec_lo, exec_lo, s1
	v_cmp_eq_u32_e32 vcc_lo, 0, v0
	s_and_b32 s0, vcc_lo, s14
	s_delay_alu instid0(SALU_CYCLE_1)
	s_and_saveexec_b32 s1, s0
	s_cbranch_execz .LBB325_402
.LBB325_448:
	v_add_co_u32 v0, s0, s12, v19
	s_delay_alu instid0(VALU_DEP_1) | instskip(SKIP_1) | instid1(VALU_DEP_3)
	v_add_co_ci_u32_e64 v1, null, s13, 0, s0
	v_mov_b32_e32 v2, 0
	v_add_co_u32 v0, vcc_lo, v0, v20
	s_delay_alu instid0(VALU_DEP_3)
	v_add_co_ci_u32_e32 v1, vcc_lo, 0, v1, vcc_lo
	global_store_b64 v2, v[0:1], s[16:17]
	s_nop 0
	s_sendmsg sendmsg(MSG_DEALLOC_VGPRS)
	s_endpgm
	.section	.rodata,"a",@progbits
	.p2align	6, 0x0
	.amdhsa_kernel _ZN7rocprim17ROCPRIM_400000_NS6detail17trampoline_kernelINS0_14default_configENS1_25partition_config_selectorILNS1_17partition_subalgoE8ElNS0_10empty_typeEbEEZZNS1_14partition_implILS5_8ELb0ES3_jPlPS6_PKS6_NS0_5tupleIJS9_S6_EEENSD_IJSA_SA_EEENS0_18inequality_wrapperIZN2at6native12_GLOBAL__N_124unique_dim_cuda_templateIaEESt5tupleIJNSH_6TensorESM_SM_EERKSM_lbbbEUlllE0_EEPmJS6_EEE10hipError_tPvRmT3_T4_T5_T6_T7_T9_mT8_P12ihipStream_tbDpT10_ENKUlT_T0_E_clISt17integral_constantIbLb0EES1C_EEDaS17_S18_EUlS17_E_NS1_11comp_targetILNS1_3genE9ELNS1_11target_archE1100ELNS1_3gpuE3ELNS1_3repE0EEENS1_30default_config_static_selectorELNS0_4arch9wavefront6targetE0EEEvT1_
		.amdhsa_group_segment_fixed_size 33804
		.amdhsa_private_segment_fixed_size 0
		.amdhsa_kernarg_size 120
		.amdhsa_user_sgpr_count 15
		.amdhsa_user_sgpr_dispatch_ptr 0
		.amdhsa_user_sgpr_queue_ptr 0
		.amdhsa_user_sgpr_kernarg_segment_ptr 1
		.amdhsa_user_sgpr_dispatch_id 0
		.amdhsa_user_sgpr_private_segment_size 0
		.amdhsa_wavefront_size32 1
		.amdhsa_uses_dynamic_stack 0
		.amdhsa_enable_private_segment 0
		.amdhsa_system_sgpr_workgroup_id_x 1
		.amdhsa_system_sgpr_workgroup_id_y 0
		.amdhsa_system_sgpr_workgroup_id_z 0
		.amdhsa_system_sgpr_workgroup_info 0
		.amdhsa_system_vgpr_workitem_id 0
		.amdhsa_next_free_vgpr 52
		.amdhsa_next_free_sgpr 36
		.amdhsa_reserve_vcc 1
		.amdhsa_float_round_mode_32 0
		.amdhsa_float_round_mode_16_64 0
		.amdhsa_float_denorm_mode_32 3
		.amdhsa_float_denorm_mode_16_64 3
		.amdhsa_dx10_clamp 1
		.amdhsa_ieee_mode 1
		.amdhsa_fp16_overflow 0
		.amdhsa_workgroup_processor_mode 1
		.amdhsa_memory_ordered 1
		.amdhsa_forward_progress 0
		.amdhsa_shared_vgpr_count 0
		.amdhsa_exception_fp_ieee_invalid_op 0
		.amdhsa_exception_fp_denorm_src 0
		.amdhsa_exception_fp_ieee_div_zero 0
		.amdhsa_exception_fp_ieee_overflow 0
		.amdhsa_exception_fp_ieee_underflow 0
		.amdhsa_exception_fp_ieee_inexact 0
		.amdhsa_exception_int_div_zero 0
	.end_amdhsa_kernel
	.section	.text._ZN7rocprim17ROCPRIM_400000_NS6detail17trampoline_kernelINS0_14default_configENS1_25partition_config_selectorILNS1_17partition_subalgoE8ElNS0_10empty_typeEbEEZZNS1_14partition_implILS5_8ELb0ES3_jPlPS6_PKS6_NS0_5tupleIJS9_S6_EEENSD_IJSA_SA_EEENS0_18inequality_wrapperIZN2at6native12_GLOBAL__N_124unique_dim_cuda_templateIaEESt5tupleIJNSH_6TensorESM_SM_EERKSM_lbbbEUlllE0_EEPmJS6_EEE10hipError_tPvRmT3_T4_T5_T6_T7_T9_mT8_P12ihipStream_tbDpT10_ENKUlT_T0_E_clISt17integral_constantIbLb0EES1C_EEDaS17_S18_EUlS17_E_NS1_11comp_targetILNS1_3genE9ELNS1_11target_archE1100ELNS1_3gpuE3ELNS1_3repE0EEENS1_30default_config_static_selectorELNS0_4arch9wavefront6targetE0EEEvT1_,"axG",@progbits,_ZN7rocprim17ROCPRIM_400000_NS6detail17trampoline_kernelINS0_14default_configENS1_25partition_config_selectorILNS1_17partition_subalgoE8ElNS0_10empty_typeEbEEZZNS1_14partition_implILS5_8ELb0ES3_jPlPS6_PKS6_NS0_5tupleIJS9_S6_EEENSD_IJSA_SA_EEENS0_18inequality_wrapperIZN2at6native12_GLOBAL__N_124unique_dim_cuda_templateIaEESt5tupleIJNSH_6TensorESM_SM_EERKSM_lbbbEUlllE0_EEPmJS6_EEE10hipError_tPvRmT3_T4_T5_T6_T7_T9_mT8_P12ihipStream_tbDpT10_ENKUlT_T0_E_clISt17integral_constantIbLb0EES1C_EEDaS17_S18_EUlS17_E_NS1_11comp_targetILNS1_3genE9ELNS1_11target_archE1100ELNS1_3gpuE3ELNS1_3repE0EEENS1_30default_config_static_selectorELNS0_4arch9wavefront6targetE0EEEvT1_,comdat
.Lfunc_end325:
	.size	_ZN7rocprim17ROCPRIM_400000_NS6detail17trampoline_kernelINS0_14default_configENS1_25partition_config_selectorILNS1_17partition_subalgoE8ElNS0_10empty_typeEbEEZZNS1_14partition_implILS5_8ELb0ES3_jPlPS6_PKS6_NS0_5tupleIJS9_S6_EEENSD_IJSA_SA_EEENS0_18inequality_wrapperIZN2at6native12_GLOBAL__N_124unique_dim_cuda_templateIaEESt5tupleIJNSH_6TensorESM_SM_EERKSM_lbbbEUlllE0_EEPmJS6_EEE10hipError_tPvRmT3_T4_T5_T6_T7_T9_mT8_P12ihipStream_tbDpT10_ENKUlT_T0_E_clISt17integral_constantIbLb0EES1C_EEDaS17_S18_EUlS17_E_NS1_11comp_targetILNS1_3genE9ELNS1_11target_archE1100ELNS1_3gpuE3ELNS1_3repE0EEENS1_30default_config_static_selectorELNS0_4arch9wavefront6targetE0EEEvT1_, .Lfunc_end325-_ZN7rocprim17ROCPRIM_400000_NS6detail17trampoline_kernelINS0_14default_configENS1_25partition_config_selectorILNS1_17partition_subalgoE8ElNS0_10empty_typeEbEEZZNS1_14partition_implILS5_8ELb0ES3_jPlPS6_PKS6_NS0_5tupleIJS9_S6_EEENSD_IJSA_SA_EEENS0_18inequality_wrapperIZN2at6native12_GLOBAL__N_124unique_dim_cuda_templateIaEESt5tupleIJNSH_6TensorESM_SM_EERKSM_lbbbEUlllE0_EEPmJS6_EEE10hipError_tPvRmT3_T4_T5_T6_T7_T9_mT8_P12ihipStream_tbDpT10_ENKUlT_T0_E_clISt17integral_constantIbLb0EES1C_EEDaS17_S18_EUlS17_E_NS1_11comp_targetILNS1_3genE9ELNS1_11target_archE1100ELNS1_3gpuE3ELNS1_3repE0EEENS1_30default_config_static_selectorELNS0_4arch9wavefront6targetE0EEEvT1_
                                        ; -- End function
	.section	.AMDGPU.csdata,"",@progbits
; Kernel info:
; codeLenInByte = 16180
; NumSgprs: 38
; NumVgprs: 52
; ScratchSize: 0
; MemoryBound: 0
; FloatMode: 240
; IeeeMode: 1
; LDSByteSize: 33804 bytes/workgroup (compile time only)
; SGPRBlocks: 4
; VGPRBlocks: 6
; NumSGPRsForWavesPerEU: 38
; NumVGPRsForWavesPerEU: 52
; Occupancy: 12
; WaveLimiterHint : 1
; COMPUTE_PGM_RSRC2:SCRATCH_EN: 0
; COMPUTE_PGM_RSRC2:USER_SGPR: 15
; COMPUTE_PGM_RSRC2:TRAP_HANDLER: 0
; COMPUTE_PGM_RSRC2:TGID_X_EN: 1
; COMPUTE_PGM_RSRC2:TGID_Y_EN: 0
; COMPUTE_PGM_RSRC2:TGID_Z_EN: 0
; COMPUTE_PGM_RSRC2:TIDIG_COMP_CNT: 0
	.section	.text._ZN7rocprim17ROCPRIM_400000_NS6detail17trampoline_kernelINS0_14default_configENS1_25partition_config_selectorILNS1_17partition_subalgoE8ElNS0_10empty_typeEbEEZZNS1_14partition_implILS5_8ELb0ES3_jPlPS6_PKS6_NS0_5tupleIJS9_S6_EEENSD_IJSA_SA_EEENS0_18inequality_wrapperIZN2at6native12_GLOBAL__N_124unique_dim_cuda_templateIaEESt5tupleIJNSH_6TensorESM_SM_EERKSM_lbbbEUlllE0_EEPmJS6_EEE10hipError_tPvRmT3_T4_T5_T6_T7_T9_mT8_P12ihipStream_tbDpT10_ENKUlT_T0_E_clISt17integral_constantIbLb0EES1C_EEDaS17_S18_EUlS17_E_NS1_11comp_targetILNS1_3genE8ELNS1_11target_archE1030ELNS1_3gpuE2ELNS1_3repE0EEENS1_30default_config_static_selectorELNS0_4arch9wavefront6targetE0EEEvT1_,"axG",@progbits,_ZN7rocprim17ROCPRIM_400000_NS6detail17trampoline_kernelINS0_14default_configENS1_25partition_config_selectorILNS1_17partition_subalgoE8ElNS0_10empty_typeEbEEZZNS1_14partition_implILS5_8ELb0ES3_jPlPS6_PKS6_NS0_5tupleIJS9_S6_EEENSD_IJSA_SA_EEENS0_18inequality_wrapperIZN2at6native12_GLOBAL__N_124unique_dim_cuda_templateIaEESt5tupleIJNSH_6TensorESM_SM_EERKSM_lbbbEUlllE0_EEPmJS6_EEE10hipError_tPvRmT3_T4_T5_T6_T7_T9_mT8_P12ihipStream_tbDpT10_ENKUlT_T0_E_clISt17integral_constantIbLb0EES1C_EEDaS17_S18_EUlS17_E_NS1_11comp_targetILNS1_3genE8ELNS1_11target_archE1030ELNS1_3gpuE2ELNS1_3repE0EEENS1_30default_config_static_selectorELNS0_4arch9wavefront6targetE0EEEvT1_,comdat
	.globl	_ZN7rocprim17ROCPRIM_400000_NS6detail17trampoline_kernelINS0_14default_configENS1_25partition_config_selectorILNS1_17partition_subalgoE8ElNS0_10empty_typeEbEEZZNS1_14partition_implILS5_8ELb0ES3_jPlPS6_PKS6_NS0_5tupleIJS9_S6_EEENSD_IJSA_SA_EEENS0_18inequality_wrapperIZN2at6native12_GLOBAL__N_124unique_dim_cuda_templateIaEESt5tupleIJNSH_6TensorESM_SM_EERKSM_lbbbEUlllE0_EEPmJS6_EEE10hipError_tPvRmT3_T4_T5_T6_T7_T9_mT8_P12ihipStream_tbDpT10_ENKUlT_T0_E_clISt17integral_constantIbLb0EES1C_EEDaS17_S18_EUlS17_E_NS1_11comp_targetILNS1_3genE8ELNS1_11target_archE1030ELNS1_3gpuE2ELNS1_3repE0EEENS1_30default_config_static_selectorELNS0_4arch9wavefront6targetE0EEEvT1_ ; -- Begin function _ZN7rocprim17ROCPRIM_400000_NS6detail17trampoline_kernelINS0_14default_configENS1_25partition_config_selectorILNS1_17partition_subalgoE8ElNS0_10empty_typeEbEEZZNS1_14partition_implILS5_8ELb0ES3_jPlPS6_PKS6_NS0_5tupleIJS9_S6_EEENSD_IJSA_SA_EEENS0_18inequality_wrapperIZN2at6native12_GLOBAL__N_124unique_dim_cuda_templateIaEESt5tupleIJNSH_6TensorESM_SM_EERKSM_lbbbEUlllE0_EEPmJS6_EEE10hipError_tPvRmT3_T4_T5_T6_T7_T9_mT8_P12ihipStream_tbDpT10_ENKUlT_T0_E_clISt17integral_constantIbLb0EES1C_EEDaS17_S18_EUlS17_E_NS1_11comp_targetILNS1_3genE8ELNS1_11target_archE1030ELNS1_3gpuE2ELNS1_3repE0EEENS1_30default_config_static_selectorELNS0_4arch9wavefront6targetE0EEEvT1_
	.p2align	8
	.type	_ZN7rocprim17ROCPRIM_400000_NS6detail17trampoline_kernelINS0_14default_configENS1_25partition_config_selectorILNS1_17partition_subalgoE8ElNS0_10empty_typeEbEEZZNS1_14partition_implILS5_8ELb0ES3_jPlPS6_PKS6_NS0_5tupleIJS9_S6_EEENSD_IJSA_SA_EEENS0_18inequality_wrapperIZN2at6native12_GLOBAL__N_124unique_dim_cuda_templateIaEESt5tupleIJNSH_6TensorESM_SM_EERKSM_lbbbEUlllE0_EEPmJS6_EEE10hipError_tPvRmT3_T4_T5_T6_T7_T9_mT8_P12ihipStream_tbDpT10_ENKUlT_T0_E_clISt17integral_constantIbLb0EES1C_EEDaS17_S18_EUlS17_E_NS1_11comp_targetILNS1_3genE8ELNS1_11target_archE1030ELNS1_3gpuE2ELNS1_3repE0EEENS1_30default_config_static_selectorELNS0_4arch9wavefront6targetE0EEEvT1_,@function
_ZN7rocprim17ROCPRIM_400000_NS6detail17trampoline_kernelINS0_14default_configENS1_25partition_config_selectorILNS1_17partition_subalgoE8ElNS0_10empty_typeEbEEZZNS1_14partition_implILS5_8ELb0ES3_jPlPS6_PKS6_NS0_5tupleIJS9_S6_EEENSD_IJSA_SA_EEENS0_18inequality_wrapperIZN2at6native12_GLOBAL__N_124unique_dim_cuda_templateIaEESt5tupleIJNSH_6TensorESM_SM_EERKSM_lbbbEUlllE0_EEPmJS6_EEE10hipError_tPvRmT3_T4_T5_T6_T7_T9_mT8_P12ihipStream_tbDpT10_ENKUlT_T0_E_clISt17integral_constantIbLb0EES1C_EEDaS17_S18_EUlS17_E_NS1_11comp_targetILNS1_3genE8ELNS1_11target_archE1030ELNS1_3gpuE2ELNS1_3repE0EEENS1_30default_config_static_selectorELNS0_4arch9wavefront6targetE0EEEvT1_: ; @_ZN7rocprim17ROCPRIM_400000_NS6detail17trampoline_kernelINS0_14default_configENS1_25partition_config_selectorILNS1_17partition_subalgoE8ElNS0_10empty_typeEbEEZZNS1_14partition_implILS5_8ELb0ES3_jPlPS6_PKS6_NS0_5tupleIJS9_S6_EEENSD_IJSA_SA_EEENS0_18inequality_wrapperIZN2at6native12_GLOBAL__N_124unique_dim_cuda_templateIaEESt5tupleIJNSH_6TensorESM_SM_EERKSM_lbbbEUlllE0_EEPmJS6_EEE10hipError_tPvRmT3_T4_T5_T6_T7_T9_mT8_P12ihipStream_tbDpT10_ENKUlT_T0_E_clISt17integral_constantIbLb0EES1C_EEDaS17_S18_EUlS17_E_NS1_11comp_targetILNS1_3genE8ELNS1_11target_archE1030ELNS1_3gpuE2ELNS1_3repE0EEENS1_30default_config_static_selectorELNS0_4arch9wavefront6targetE0EEEvT1_
; %bb.0:
	.section	.rodata,"a",@progbits
	.p2align	6, 0x0
	.amdhsa_kernel _ZN7rocprim17ROCPRIM_400000_NS6detail17trampoline_kernelINS0_14default_configENS1_25partition_config_selectorILNS1_17partition_subalgoE8ElNS0_10empty_typeEbEEZZNS1_14partition_implILS5_8ELb0ES3_jPlPS6_PKS6_NS0_5tupleIJS9_S6_EEENSD_IJSA_SA_EEENS0_18inequality_wrapperIZN2at6native12_GLOBAL__N_124unique_dim_cuda_templateIaEESt5tupleIJNSH_6TensorESM_SM_EERKSM_lbbbEUlllE0_EEPmJS6_EEE10hipError_tPvRmT3_T4_T5_T6_T7_T9_mT8_P12ihipStream_tbDpT10_ENKUlT_T0_E_clISt17integral_constantIbLb0EES1C_EEDaS17_S18_EUlS17_E_NS1_11comp_targetILNS1_3genE8ELNS1_11target_archE1030ELNS1_3gpuE2ELNS1_3repE0EEENS1_30default_config_static_selectorELNS0_4arch9wavefront6targetE0EEEvT1_
		.amdhsa_group_segment_fixed_size 0
		.amdhsa_private_segment_fixed_size 0
		.amdhsa_kernarg_size 120
		.amdhsa_user_sgpr_count 15
		.amdhsa_user_sgpr_dispatch_ptr 0
		.amdhsa_user_sgpr_queue_ptr 0
		.amdhsa_user_sgpr_kernarg_segment_ptr 1
		.amdhsa_user_sgpr_dispatch_id 0
		.amdhsa_user_sgpr_private_segment_size 0
		.amdhsa_wavefront_size32 1
		.amdhsa_uses_dynamic_stack 0
		.amdhsa_enable_private_segment 0
		.amdhsa_system_sgpr_workgroup_id_x 1
		.amdhsa_system_sgpr_workgroup_id_y 0
		.amdhsa_system_sgpr_workgroup_id_z 0
		.amdhsa_system_sgpr_workgroup_info 0
		.amdhsa_system_vgpr_workitem_id 0
		.amdhsa_next_free_vgpr 1
		.amdhsa_next_free_sgpr 1
		.amdhsa_reserve_vcc 0
		.amdhsa_float_round_mode_32 0
		.amdhsa_float_round_mode_16_64 0
		.amdhsa_float_denorm_mode_32 3
		.amdhsa_float_denorm_mode_16_64 3
		.amdhsa_dx10_clamp 1
		.amdhsa_ieee_mode 1
		.amdhsa_fp16_overflow 0
		.amdhsa_workgroup_processor_mode 1
		.amdhsa_memory_ordered 1
		.amdhsa_forward_progress 0
		.amdhsa_shared_vgpr_count 0
		.amdhsa_exception_fp_ieee_invalid_op 0
		.amdhsa_exception_fp_denorm_src 0
		.amdhsa_exception_fp_ieee_div_zero 0
		.amdhsa_exception_fp_ieee_overflow 0
		.amdhsa_exception_fp_ieee_underflow 0
		.amdhsa_exception_fp_ieee_inexact 0
		.amdhsa_exception_int_div_zero 0
	.end_amdhsa_kernel
	.section	.text._ZN7rocprim17ROCPRIM_400000_NS6detail17trampoline_kernelINS0_14default_configENS1_25partition_config_selectorILNS1_17partition_subalgoE8ElNS0_10empty_typeEbEEZZNS1_14partition_implILS5_8ELb0ES3_jPlPS6_PKS6_NS0_5tupleIJS9_S6_EEENSD_IJSA_SA_EEENS0_18inequality_wrapperIZN2at6native12_GLOBAL__N_124unique_dim_cuda_templateIaEESt5tupleIJNSH_6TensorESM_SM_EERKSM_lbbbEUlllE0_EEPmJS6_EEE10hipError_tPvRmT3_T4_T5_T6_T7_T9_mT8_P12ihipStream_tbDpT10_ENKUlT_T0_E_clISt17integral_constantIbLb0EES1C_EEDaS17_S18_EUlS17_E_NS1_11comp_targetILNS1_3genE8ELNS1_11target_archE1030ELNS1_3gpuE2ELNS1_3repE0EEENS1_30default_config_static_selectorELNS0_4arch9wavefront6targetE0EEEvT1_,"axG",@progbits,_ZN7rocprim17ROCPRIM_400000_NS6detail17trampoline_kernelINS0_14default_configENS1_25partition_config_selectorILNS1_17partition_subalgoE8ElNS0_10empty_typeEbEEZZNS1_14partition_implILS5_8ELb0ES3_jPlPS6_PKS6_NS0_5tupleIJS9_S6_EEENSD_IJSA_SA_EEENS0_18inequality_wrapperIZN2at6native12_GLOBAL__N_124unique_dim_cuda_templateIaEESt5tupleIJNSH_6TensorESM_SM_EERKSM_lbbbEUlllE0_EEPmJS6_EEE10hipError_tPvRmT3_T4_T5_T6_T7_T9_mT8_P12ihipStream_tbDpT10_ENKUlT_T0_E_clISt17integral_constantIbLb0EES1C_EEDaS17_S18_EUlS17_E_NS1_11comp_targetILNS1_3genE8ELNS1_11target_archE1030ELNS1_3gpuE2ELNS1_3repE0EEENS1_30default_config_static_selectorELNS0_4arch9wavefront6targetE0EEEvT1_,comdat
.Lfunc_end326:
	.size	_ZN7rocprim17ROCPRIM_400000_NS6detail17trampoline_kernelINS0_14default_configENS1_25partition_config_selectorILNS1_17partition_subalgoE8ElNS0_10empty_typeEbEEZZNS1_14partition_implILS5_8ELb0ES3_jPlPS6_PKS6_NS0_5tupleIJS9_S6_EEENSD_IJSA_SA_EEENS0_18inequality_wrapperIZN2at6native12_GLOBAL__N_124unique_dim_cuda_templateIaEESt5tupleIJNSH_6TensorESM_SM_EERKSM_lbbbEUlllE0_EEPmJS6_EEE10hipError_tPvRmT3_T4_T5_T6_T7_T9_mT8_P12ihipStream_tbDpT10_ENKUlT_T0_E_clISt17integral_constantIbLb0EES1C_EEDaS17_S18_EUlS17_E_NS1_11comp_targetILNS1_3genE8ELNS1_11target_archE1030ELNS1_3gpuE2ELNS1_3repE0EEENS1_30default_config_static_selectorELNS0_4arch9wavefront6targetE0EEEvT1_, .Lfunc_end326-_ZN7rocprim17ROCPRIM_400000_NS6detail17trampoline_kernelINS0_14default_configENS1_25partition_config_selectorILNS1_17partition_subalgoE8ElNS0_10empty_typeEbEEZZNS1_14partition_implILS5_8ELb0ES3_jPlPS6_PKS6_NS0_5tupleIJS9_S6_EEENSD_IJSA_SA_EEENS0_18inequality_wrapperIZN2at6native12_GLOBAL__N_124unique_dim_cuda_templateIaEESt5tupleIJNSH_6TensorESM_SM_EERKSM_lbbbEUlllE0_EEPmJS6_EEE10hipError_tPvRmT3_T4_T5_T6_T7_T9_mT8_P12ihipStream_tbDpT10_ENKUlT_T0_E_clISt17integral_constantIbLb0EES1C_EEDaS17_S18_EUlS17_E_NS1_11comp_targetILNS1_3genE8ELNS1_11target_archE1030ELNS1_3gpuE2ELNS1_3repE0EEENS1_30default_config_static_selectorELNS0_4arch9wavefront6targetE0EEEvT1_
                                        ; -- End function
	.section	.AMDGPU.csdata,"",@progbits
; Kernel info:
; codeLenInByte = 0
; NumSgprs: 0
; NumVgprs: 0
; ScratchSize: 0
; MemoryBound: 0
; FloatMode: 240
; IeeeMode: 1
; LDSByteSize: 0 bytes/workgroup (compile time only)
; SGPRBlocks: 0
; VGPRBlocks: 0
; NumSGPRsForWavesPerEU: 1
; NumVGPRsForWavesPerEU: 1
; Occupancy: 16
; WaveLimiterHint : 0
; COMPUTE_PGM_RSRC2:SCRATCH_EN: 0
; COMPUTE_PGM_RSRC2:USER_SGPR: 15
; COMPUTE_PGM_RSRC2:TRAP_HANDLER: 0
; COMPUTE_PGM_RSRC2:TGID_X_EN: 1
; COMPUTE_PGM_RSRC2:TGID_Y_EN: 0
; COMPUTE_PGM_RSRC2:TGID_Z_EN: 0
; COMPUTE_PGM_RSRC2:TIDIG_COMP_CNT: 0
	.section	.text._ZN7rocprim17ROCPRIM_400000_NS6detail17trampoline_kernelINS0_14default_configENS1_25partition_config_selectorILNS1_17partition_subalgoE8ElNS0_10empty_typeEbEEZZNS1_14partition_implILS5_8ELb0ES3_jPlPS6_PKS6_NS0_5tupleIJS9_S6_EEENSD_IJSA_SA_EEENS0_18inequality_wrapperIZN2at6native12_GLOBAL__N_124unique_dim_cuda_templateIaEESt5tupleIJNSH_6TensorESM_SM_EERKSM_lbbbEUlllE0_EEPmJS6_EEE10hipError_tPvRmT3_T4_T5_T6_T7_T9_mT8_P12ihipStream_tbDpT10_ENKUlT_T0_E_clISt17integral_constantIbLb1EES1C_EEDaS17_S18_EUlS17_E_NS1_11comp_targetILNS1_3genE0ELNS1_11target_archE4294967295ELNS1_3gpuE0ELNS1_3repE0EEENS1_30default_config_static_selectorELNS0_4arch9wavefront6targetE0EEEvT1_,"axG",@progbits,_ZN7rocprim17ROCPRIM_400000_NS6detail17trampoline_kernelINS0_14default_configENS1_25partition_config_selectorILNS1_17partition_subalgoE8ElNS0_10empty_typeEbEEZZNS1_14partition_implILS5_8ELb0ES3_jPlPS6_PKS6_NS0_5tupleIJS9_S6_EEENSD_IJSA_SA_EEENS0_18inequality_wrapperIZN2at6native12_GLOBAL__N_124unique_dim_cuda_templateIaEESt5tupleIJNSH_6TensorESM_SM_EERKSM_lbbbEUlllE0_EEPmJS6_EEE10hipError_tPvRmT3_T4_T5_T6_T7_T9_mT8_P12ihipStream_tbDpT10_ENKUlT_T0_E_clISt17integral_constantIbLb1EES1C_EEDaS17_S18_EUlS17_E_NS1_11comp_targetILNS1_3genE0ELNS1_11target_archE4294967295ELNS1_3gpuE0ELNS1_3repE0EEENS1_30default_config_static_selectorELNS0_4arch9wavefront6targetE0EEEvT1_,comdat
	.globl	_ZN7rocprim17ROCPRIM_400000_NS6detail17trampoline_kernelINS0_14default_configENS1_25partition_config_selectorILNS1_17partition_subalgoE8ElNS0_10empty_typeEbEEZZNS1_14partition_implILS5_8ELb0ES3_jPlPS6_PKS6_NS0_5tupleIJS9_S6_EEENSD_IJSA_SA_EEENS0_18inequality_wrapperIZN2at6native12_GLOBAL__N_124unique_dim_cuda_templateIaEESt5tupleIJNSH_6TensorESM_SM_EERKSM_lbbbEUlllE0_EEPmJS6_EEE10hipError_tPvRmT3_T4_T5_T6_T7_T9_mT8_P12ihipStream_tbDpT10_ENKUlT_T0_E_clISt17integral_constantIbLb1EES1C_EEDaS17_S18_EUlS17_E_NS1_11comp_targetILNS1_3genE0ELNS1_11target_archE4294967295ELNS1_3gpuE0ELNS1_3repE0EEENS1_30default_config_static_selectorELNS0_4arch9wavefront6targetE0EEEvT1_ ; -- Begin function _ZN7rocprim17ROCPRIM_400000_NS6detail17trampoline_kernelINS0_14default_configENS1_25partition_config_selectorILNS1_17partition_subalgoE8ElNS0_10empty_typeEbEEZZNS1_14partition_implILS5_8ELb0ES3_jPlPS6_PKS6_NS0_5tupleIJS9_S6_EEENSD_IJSA_SA_EEENS0_18inequality_wrapperIZN2at6native12_GLOBAL__N_124unique_dim_cuda_templateIaEESt5tupleIJNSH_6TensorESM_SM_EERKSM_lbbbEUlllE0_EEPmJS6_EEE10hipError_tPvRmT3_T4_T5_T6_T7_T9_mT8_P12ihipStream_tbDpT10_ENKUlT_T0_E_clISt17integral_constantIbLb1EES1C_EEDaS17_S18_EUlS17_E_NS1_11comp_targetILNS1_3genE0ELNS1_11target_archE4294967295ELNS1_3gpuE0ELNS1_3repE0EEENS1_30default_config_static_selectorELNS0_4arch9wavefront6targetE0EEEvT1_
	.p2align	8
	.type	_ZN7rocprim17ROCPRIM_400000_NS6detail17trampoline_kernelINS0_14default_configENS1_25partition_config_selectorILNS1_17partition_subalgoE8ElNS0_10empty_typeEbEEZZNS1_14partition_implILS5_8ELb0ES3_jPlPS6_PKS6_NS0_5tupleIJS9_S6_EEENSD_IJSA_SA_EEENS0_18inequality_wrapperIZN2at6native12_GLOBAL__N_124unique_dim_cuda_templateIaEESt5tupleIJNSH_6TensorESM_SM_EERKSM_lbbbEUlllE0_EEPmJS6_EEE10hipError_tPvRmT3_T4_T5_T6_T7_T9_mT8_P12ihipStream_tbDpT10_ENKUlT_T0_E_clISt17integral_constantIbLb1EES1C_EEDaS17_S18_EUlS17_E_NS1_11comp_targetILNS1_3genE0ELNS1_11target_archE4294967295ELNS1_3gpuE0ELNS1_3repE0EEENS1_30default_config_static_selectorELNS0_4arch9wavefront6targetE0EEEvT1_,@function
_ZN7rocprim17ROCPRIM_400000_NS6detail17trampoline_kernelINS0_14default_configENS1_25partition_config_selectorILNS1_17partition_subalgoE8ElNS0_10empty_typeEbEEZZNS1_14partition_implILS5_8ELb0ES3_jPlPS6_PKS6_NS0_5tupleIJS9_S6_EEENSD_IJSA_SA_EEENS0_18inequality_wrapperIZN2at6native12_GLOBAL__N_124unique_dim_cuda_templateIaEESt5tupleIJNSH_6TensorESM_SM_EERKSM_lbbbEUlllE0_EEPmJS6_EEE10hipError_tPvRmT3_T4_T5_T6_T7_T9_mT8_P12ihipStream_tbDpT10_ENKUlT_T0_E_clISt17integral_constantIbLb1EES1C_EEDaS17_S18_EUlS17_E_NS1_11comp_targetILNS1_3genE0ELNS1_11target_archE4294967295ELNS1_3gpuE0ELNS1_3repE0EEENS1_30default_config_static_selectorELNS0_4arch9wavefront6targetE0EEEvT1_: ; @_ZN7rocprim17ROCPRIM_400000_NS6detail17trampoline_kernelINS0_14default_configENS1_25partition_config_selectorILNS1_17partition_subalgoE8ElNS0_10empty_typeEbEEZZNS1_14partition_implILS5_8ELb0ES3_jPlPS6_PKS6_NS0_5tupleIJS9_S6_EEENSD_IJSA_SA_EEENS0_18inequality_wrapperIZN2at6native12_GLOBAL__N_124unique_dim_cuda_templateIaEESt5tupleIJNSH_6TensorESM_SM_EERKSM_lbbbEUlllE0_EEPmJS6_EEE10hipError_tPvRmT3_T4_T5_T6_T7_T9_mT8_P12ihipStream_tbDpT10_ENKUlT_T0_E_clISt17integral_constantIbLb1EES1C_EEDaS17_S18_EUlS17_E_NS1_11comp_targetILNS1_3genE0ELNS1_11target_archE4294967295ELNS1_3gpuE0ELNS1_3repE0EEENS1_30default_config_static_selectorELNS0_4arch9wavefront6targetE0EEEvT1_
; %bb.0:
	.section	.rodata,"a",@progbits
	.p2align	6, 0x0
	.amdhsa_kernel _ZN7rocprim17ROCPRIM_400000_NS6detail17trampoline_kernelINS0_14default_configENS1_25partition_config_selectorILNS1_17partition_subalgoE8ElNS0_10empty_typeEbEEZZNS1_14partition_implILS5_8ELb0ES3_jPlPS6_PKS6_NS0_5tupleIJS9_S6_EEENSD_IJSA_SA_EEENS0_18inequality_wrapperIZN2at6native12_GLOBAL__N_124unique_dim_cuda_templateIaEESt5tupleIJNSH_6TensorESM_SM_EERKSM_lbbbEUlllE0_EEPmJS6_EEE10hipError_tPvRmT3_T4_T5_T6_T7_T9_mT8_P12ihipStream_tbDpT10_ENKUlT_T0_E_clISt17integral_constantIbLb1EES1C_EEDaS17_S18_EUlS17_E_NS1_11comp_targetILNS1_3genE0ELNS1_11target_archE4294967295ELNS1_3gpuE0ELNS1_3repE0EEENS1_30default_config_static_selectorELNS0_4arch9wavefront6targetE0EEEvT1_
		.amdhsa_group_segment_fixed_size 0
		.amdhsa_private_segment_fixed_size 0
		.amdhsa_kernarg_size 136
		.amdhsa_user_sgpr_count 15
		.amdhsa_user_sgpr_dispatch_ptr 0
		.amdhsa_user_sgpr_queue_ptr 0
		.amdhsa_user_sgpr_kernarg_segment_ptr 1
		.amdhsa_user_sgpr_dispatch_id 0
		.amdhsa_user_sgpr_private_segment_size 0
		.amdhsa_wavefront_size32 1
		.amdhsa_uses_dynamic_stack 0
		.amdhsa_enable_private_segment 0
		.amdhsa_system_sgpr_workgroup_id_x 1
		.amdhsa_system_sgpr_workgroup_id_y 0
		.amdhsa_system_sgpr_workgroup_id_z 0
		.amdhsa_system_sgpr_workgroup_info 0
		.amdhsa_system_vgpr_workitem_id 0
		.amdhsa_next_free_vgpr 1
		.amdhsa_next_free_sgpr 1
		.amdhsa_reserve_vcc 0
		.amdhsa_float_round_mode_32 0
		.amdhsa_float_round_mode_16_64 0
		.amdhsa_float_denorm_mode_32 3
		.amdhsa_float_denorm_mode_16_64 3
		.amdhsa_dx10_clamp 1
		.amdhsa_ieee_mode 1
		.amdhsa_fp16_overflow 0
		.amdhsa_workgroup_processor_mode 1
		.amdhsa_memory_ordered 1
		.amdhsa_forward_progress 0
		.amdhsa_shared_vgpr_count 0
		.amdhsa_exception_fp_ieee_invalid_op 0
		.amdhsa_exception_fp_denorm_src 0
		.amdhsa_exception_fp_ieee_div_zero 0
		.amdhsa_exception_fp_ieee_overflow 0
		.amdhsa_exception_fp_ieee_underflow 0
		.amdhsa_exception_fp_ieee_inexact 0
		.amdhsa_exception_int_div_zero 0
	.end_amdhsa_kernel
	.section	.text._ZN7rocprim17ROCPRIM_400000_NS6detail17trampoline_kernelINS0_14default_configENS1_25partition_config_selectorILNS1_17partition_subalgoE8ElNS0_10empty_typeEbEEZZNS1_14partition_implILS5_8ELb0ES3_jPlPS6_PKS6_NS0_5tupleIJS9_S6_EEENSD_IJSA_SA_EEENS0_18inequality_wrapperIZN2at6native12_GLOBAL__N_124unique_dim_cuda_templateIaEESt5tupleIJNSH_6TensorESM_SM_EERKSM_lbbbEUlllE0_EEPmJS6_EEE10hipError_tPvRmT3_T4_T5_T6_T7_T9_mT8_P12ihipStream_tbDpT10_ENKUlT_T0_E_clISt17integral_constantIbLb1EES1C_EEDaS17_S18_EUlS17_E_NS1_11comp_targetILNS1_3genE0ELNS1_11target_archE4294967295ELNS1_3gpuE0ELNS1_3repE0EEENS1_30default_config_static_selectorELNS0_4arch9wavefront6targetE0EEEvT1_,"axG",@progbits,_ZN7rocprim17ROCPRIM_400000_NS6detail17trampoline_kernelINS0_14default_configENS1_25partition_config_selectorILNS1_17partition_subalgoE8ElNS0_10empty_typeEbEEZZNS1_14partition_implILS5_8ELb0ES3_jPlPS6_PKS6_NS0_5tupleIJS9_S6_EEENSD_IJSA_SA_EEENS0_18inequality_wrapperIZN2at6native12_GLOBAL__N_124unique_dim_cuda_templateIaEESt5tupleIJNSH_6TensorESM_SM_EERKSM_lbbbEUlllE0_EEPmJS6_EEE10hipError_tPvRmT3_T4_T5_T6_T7_T9_mT8_P12ihipStream_tbDpT10_ENKUlT_T0_E_clISt17integral_constantIbLb1EES1C_EEDaS17_S18_EUlS17_E_NS1_11comp_targetILNS1_3genE0ELNS1_11target_archE4294967295ELNS1_3gpuE0ELNS1_3repE0EEENS1_30default_config_static_selectorELNS0_4arch9wavefront6targetE0EEEvT1_,comdat
.Lfunc_end327:
	.size	_ZN7rocprim17ROCPRIM_400000_NS6detail17trampoline_kernelINS0_14default_configENS1_25partition_config_selectorILNS1_17partition_subalgoE8ElNS0_10empty_typeEbEEZZNS1_14partition_implILS5_8ELb0ES3_jPlPS6_PKS6_NS0_5tupleIJS9_S6_EEENSD_IJSA_SA_EEENS0_18inequality_wrapperIZN2at6native12_GLOBAL__N_124unique_dim_cuda_templateIaEESt5tupleIJNSH_6TensorESM_SM_EERKSM_lbbbEUlllE0_EEPmJS6_EEE10hipError_tPvRmT3_T4_T5_T6_T7_T9_mT8_P12ihipStream_tbDpT10_ENKUlT_T0_E_clISt17integral_constantIbLb1EES1C_EEDaS17_S18_EUlS17_E_NS1_11comp_targetILNS1_3genE0ELNS1_11target_archE4294967295ELNS1_3gpuE0ELNS1_3repE0EEENS1_30default_config_static_selectorELNS0_4arch9wavefront6targetE0EEEvT1_, .Lfunc_end327-_ZN7rocprim17ROCPRIM_400000_NS6detail17trampoline_kernelINS0_14default_configENS1_25partition_config_selectorILNS1_17partition_subalgoE8ElNS0_10empty_typeEbEEZZNS1_14partition_implILS5_8ELb0ES3_jPlPS6_PKS6_NS0_5tupleIJS9_S6_EEENSD_IJSA_SA_EEENS0_18inequality_wrapperIZN2at6native12_GLOBAL__N_124unique_dim_cuda_templateIaEESt5tupleIJNSH_6TensorESM_SM_EERKSM_lbbbEUlllE0_EEPmJS6_EEE10hipError_tPvRmT3_T4_T5_T6_T7_T9_mT8_P12ihipStream_tbDpT10_ENKUlT_T0_E_clISt17integral_constantIbLb1EES1C_EEDaS17_S18_EUlS17_E_NS1_11comp_targetILNS1_3genE0ELNS1_11target_archE4294967295ELNS1_3gpuE0ELNS1_3repE0EEENS1_30default_config_static_selectorELNS0_4arch9wavefront6targetE0EEEvT1_
                                        ; -- End function
	.section	.AMDGPU.csdata,"",@progbits
; Kernel info:
; codeLenInByte = 0
; NumSgprs: 0
; NumVgprs: 0
; ScratchSize: 0
; MemoryBound: 0
; FloatMode: 240
; IeeeMode: 1
; LDSByteSize: 0 bytes/workgroup (compile time only)
; SGPRBlocks: 0
; VGPRBlocks: 0
; NumSGPRsForWavesPerEU: 1
; NumVGPRsForWavesPerEU: 1
; Occupancy: 16
; WaveLimiterHint : 0
; COMPUTE_PGM_RSRC2:SCRATCH_EN: 0
; COMPUTE_PGM_RSRC2:USER_SGPR: 15
; COMPUTE_PGM_RSRC2:TRAP_HANDLER: 0
; COMPUTE_PGM_RSRC2:TGID_X_EN: 1
; COMPUTE_PGM_RSRC2:TGID_Y_EN: 0
; COMPUTE_PGM_RSRC2:TGID_Z_EN: 0
; COMPUTE_PGM_RSRC2:TIDIG_COMP_CNT: 0
	.section	.text._ZN7rocprim17ROCPRIM_400000_NS6detail17trampoline_kernelINS0_14default_configENS1_25partition_config_selectorILNS1_17partition_subalgoE8ElNS0_10empty_typeEbEEZZNS1_14partition_implILS5_8ELb0ES3_jPlPS6_PKS6_NS0_5tupleIJS9_S6_EEENSD_IJSA_SA_EEENS0_18inequality_wrapperIZN2at6native12_GLOBAL__N_124unique_dim_cuda_templateIaEESt5tupleIJNSH_6TensorESM_SM_EERKSM_lbbbEUlllE0_EEPmJS6_EEE10hipError_tPvRmT3_T4_T5_T6_T7_T9_mT8_P12ihipStream_tbDpT10_ENKUlT_T0_E_clISt17integral_constantIbLb1EES1C_EEDaS17_S18_EUlS17_E_NS1_11comp_targetILNS1_3genE5ELNS1_11target_archE942ELNS1_3gpuE9ELNS1_3repE0EEENS1_30default_config_static_selectorELNS0_4arch9wavefront6targetE0EEEvT1_,"axG",@progbits,_ZN7rocprim17ROCPRIM_400000_NS6detail17trampoline_kernelINS0_14default_configENS1_25partition_config_selectorILNS1_17partition_subalgoE8ElNS0_10empty_typeEbEEZZNS1_14partition_implILS5_8ELb0ES3_jPlPS6_PKS6_NS0_5tupleIJS9_S6_EEENSD_IJSA_SA_EEENS0_18inequality_wrapperIZN2at6native12_GLOBAL__N_124unique_dim_cuda_templateIaEESt5tupleIJNSH_6TensorESM_SM_EERKSM_lbbbEUlllE0_EEPmJS6_EEE10hipError_tPvRmT3_T4_T5_T6_T7_T9_mT8_P12ihipStream_tbDpT10_ENKUlT_T0_E_clISt17integral_constantIbLb1EES1C_EEDaS17_S18_EUlS17_E_NS1_11comp_targetILNS1_3genE5ELNS1_11target_archE942ELNS1_3gpuE9ELNS1_3repE0EEENS1_30default_config_static_selectorELNS0_4arch9wavefront6targetE0EEEvT1_,comdat
	.globl	_ZN7rocprim17ROCPRIM_400000_NS6detail17trampoline_kernelINS0_14default_configENS1_25partition_config_selectorILNS1_17partition_subalgoE8ElNS0_10empty_typeEbEEZZNS1_14partition_implILS5_8ELb0ES3_jPlPS6_PKS6_NS0_5tupleIJS9_S6_EEENSD_IJSA_SA_EEENS0_18inequality_wrapperIZN2at6native12_GLOBAL__N_124unique_dim_cuda_templateIaEESt5tupleIJNSH_6TensorESM_SM_EERKSM_lbbbEUlllE0_EEPmJS6_EEE10hipError_tPvRmT3_T4_T5_T6_T7_T9_mT8_P12ihipStream_tbDpT10_ENKUlT_T0_E_clISt17integral_constantIbLb1EES1C_EEDaS17_S18_EUlS17_E_NS1_11comp_targetILNS1_3genE5ELNS1_11target_archE942ELNS1_3gpuE9ELNS1_3repE0EEENS1_30default_config_static_selectorELNS0_4arch9wavefront6targetE0EEEvT1_ ; -- Begin function _ZN7rocprim17ROCPRIM_400000_NS6detail17trampoline_kernelINS0_14default_configENS1_25partition_config_selectorILNS1_17partition_subalgoE8ElNS0_10empty_typeEbEEZZNS1_14partition_implILS5_8ELb0ES3_jPlPS6_PKS6_NS0_5tupleIJS9_S6_EEENSD_IJSA_SA_EEENS0_18inequality_wrapperIZN2at6native12_GLOBAL__N_124unique_dim_cuda_templateIaEESt5tupleIJNSH_6TensorESM_SM_EERKSM_lbbbEUlllE0_EEPmJS6_EEE10hipError_tPvRmT3_T4_T5_T6_T7_T9_mT8_P12ihipStream_tbDpT10_ENKUlT_T0_E_clISt17integral_constantIbLb1EES1C_EEDaS17_S18_EUlS17_E_NS1_11comp_targetILNS1_3genE5ELNS1_11target_archE942ELNS1_3gpuE9ELNS1_3repE0EEENS1_30default_config_static_selectorELNS0_4arch9wavefront6targetE0EEEvT1_
	.p2align	8
	.type	_ZN7rocprim17ROCPRIM_400000_NS6detail17trampoline_kernelINS0_14default_configENS1_25partition_config_selectorILNS1_17partition_subalgoE8ElNS0_10empty_typeEbEEZZNS1_14partition_implILS5_8ELb0ES3_jPlPS6_PKS6_NS0_5tupleIJS9_S6_EEENSD_IJSA_SA_EEENS0_18inequality_wrapperIZN2at6native12_GLOBAL__N_124unique_dim_cuda_templateIaEESt5tupleIJNSH_6TensorESM_SM_EERKSM_lbbbEUlllE0_EEPmJS6_EEE10hipError_tPvRmT3_T4_T5_T6_T7_T9_mT8_P12ihipStream_tbDpT10_ENKUlT_T0_E_clISt17integral_constantIbLb1EES1C_EEDaS17_S18_EUlS17_E_NS1_11comp_targetILNS1_3genE5ELNS1_11target_archE942ELNS1_3gpuE9ELNS1_3repE0EEENS1_30default_config_static_selectorELNS0_4arch9wavefront6targetE0EEEvT1_,@function
_ZN7rocprim17ROCPRIM_400000_NS6detail17trampoline_kernelINS0_14default_configENS1_25partition_config_selectorILNS1_17partition_subalgoE8ElNS0_10empty_typeEbEEZZNS1_14partition_implILS5_8ELb0ES3_jPlPS6_PKS6_NS0_5tupleIJS9_S6_EEENSD_IJSA_SA_EEENS0_18inequality_wrapperIZN2at6native12_GLOBAL__N_124unique_dim_cuda_templateIaEESt5tupleIJNSH_6TensorESM_SM_EERKSM_lbbbEUlllE0_EEPmJS6_EEE10hipError_tPvRmT3_T4_T5_T6_T7_T9_mT8_P12ihipStream_tbDpT10_ENKUlT_T0_E_clISt17integral_constantIbLb1EES1C_EEDaS17_S18_EUlS17_E_NS1_11comp_targetILNS1_3genE5ELNS1_11target_archE942ELNS1_3gpuE9ELNS1_3repE0EEENS1_30default_config_static_selectorELNS0_4arch9wavefront6targetE0EEEvT1_: ; @_ZN7rocprim17ROCPRIM_400000_NS6detail17trampoline_kernelINS0_14default_configENS1_25partition_config_selectorILNS1_17partition_subalgoE8ElNS0_10empty_typeEbEEZZNS1_14partition_implILS5_8ELb0ES3_jPlPS6_PKS6_NS0_5tupleIJS9_S6_EEENSD_IJSA_SA_EEENS0_18inequality_wrapperIZN2at6native12_GLOBAL__N_124unique_dim_cuda_templateIaEESt5tupleIJNSH_6TensorESM_SM_EERKSM_lbbbEUlllE0_EEPmJS6_EEE10hipError_tPvRmT3_T4_T5_T6_T7_T9_mT8_P12ihipStream_tbDpT10_ENKUlT_T0_E_clISt17integral_constantIbLb1EES1C_EEDaS17_S18_EUlS17_E_NS1_11comp_targetILNS1_3genE5ELNS1_11target_archE942ELNS1_3gpuE9ELNS1_3repE0EEENS1_30default_config_static_selectorELNS0_4arch9wavefront6targetE0EEEvT1_
; %bb.0:
	.section	.rodata,"a",@progbits
	.p2align	6, 0x0
	.amdhsa_kernel _ZN7rocprim17ROCPRIM_400000_NS6detail17trampoline_kernelINS0_14default_configENS1_25partition_config_selectorILNS1_17partition_subalgoE8ElNS0_10empty_typeEbEEZZNS1_14partition_implILS5_8ELb0ES3_jPlPS6_PKS6_NS0_5tupleIJS9_S6_EEENSD_IJSA_SA_EEENS0_18inequality_wrapperIZN2at6native12_GLOBAL__N_124unique_dim_cuda_templateIaEESt5tupleIJNSH_6TensorESM_SM_EERKSM_lbbbEUlllE0_EEPmJS6_EEE10hipError_tPvRmT3_T4_T5_T6_T7_T9_mT8_P12ihipStream_tbDpT10_ENKUlT_T0_E_clISt17integral_constantIbLb1EES1C_EEDaS17_S18_EUlS17_E_NS1_11comp_targetILNS1_3genE5ELNS1_11target_archE942ELNS1_3gpuE9ELNS1_3repE0EEENS1_30default_config_static_selectorELNS0_4arch9wavefront6targetE0EEEvT1_
		.amdhsa_group_segment_fixed_size 0
		.amdhsa_private_segment_fixed_size 0
		.amdhsa_kernarg_size 136
		.amdhsa_user_sgpr_count 15
		.amdhsa_user_sgpr_dispatch_ptr 0
		.amdhsa_user_sgpr_queue_ptr 0
		.amdhsa_user_sgpr_kernarg_segment_ptr 1
		.amdhsa_user_sgpr_dispatch_id 0
		.amdhsa_user_sgpr_private_segment_size 0
		.amdhsa_wavefront_size32 1
		.amdhsa_uses_dynamic_stack 0
		.amdhsa_enable_private_segment 0
		.amdhsa_system_sgpr_workgroup_id_x 1
		.amdhsa_system_sgpr_workgroup_id_y 0
		.amdhsa_system_sgpr_workgroup_id_z 0
		.amdhsa_system_sgpr_workgroup_info 0
		.amdhsa_system_vgpr_workitem_id 0
		.amdhsa_next_free_vgpr 1
		.amdhsa_next_free_sgpr 1
		.amdhsa_reserve_vcc 0
		.amdhsa_float_round_mode_32 0
		.amdhsa_float_round_mode_16_64 0
		.amdhsa_float_denorm_mode_32 3
		.amdhsa_float_denorm_mode_16_64 3
		.amdhsa_dx10_clamp 1
		.amdhsa_ieee_mode 1
		.amdhsa_fp16_overflow 0
		.amdhsa_workgroup_processor_mode 1
		.amdhsa_memory_ordered 1
		.amdhsa_forward_progress 0
		.amdhsa_shared_vgpr_count 0
		.amdhsa_exception_fp_ieee_invalid_op 0
		.amdhsa_exception_fp_denorm_src 0
		.amdhsa_exception_fp_ieee_div_zero 0
		.amdhsa_exception_fp_ieee_overflow 0
		.amdhsa_exception_fp_ieee_underflow 0
		.amdhsa_exception_fp_ieee_inexact 0
		.amdhsa_exception_int_div_zero 0
	.end_amdhsa_kernel
	.section	.text._ZN7rocprim17ROCPRIM_400000_NS6detail17trampoline_kernelINS0_14default_configENS1_25partition_config_selectorILNS1_17partition_subalgoE8ElNS0_10empty_typeEbEEZZNS1_14partition_implILS5_8ELb0ES3_jPlPS6_PKS6_NS0_5tupleIJS9_S6_EEENSD_IJSA_SA_EEENS0_18inequality_wrapperIZN2at6native12_GLOBAL__N_124unique_dim_cuda_templateIaEESt5tupleIJNSH_6TensorESM_SM_EERKSM_lbbbEUlllE0_EEPmJS6_EEE10hipError_tPvRmT3_T4_T5_T6_T7_T9_mT8_P12ihipStream_tbDpT10_ENKUlT_T0_E_clISt17integral_constantIbLb1EES1C_EEDaS17_S18_EUlS17_E_NS1_11comp_targetILNS1_3genE5ELNS1_11target_archE942ELNS1_3gpuE9ELNS1_3repE0EEENS1_30default_config_static_selectorELNS0_4arch9wavefront6targetE0EEEvT1_,"axG",@progbits,_ZN7rocprim17ROCPRIM_400000_NS6detail17trampoline_kernelINS0_14default_configENS1_25partition_config_selectorILNS1_17partition_subalgoE8ElNS0_10empty_typeEbEEZZNS1_14partition_implILS5_8ELb0ES3_jPlPS6_PKS6_NS0_5tupleIJS9_S6_EEENSD_IJSA_SA_EEENS0_18inequality_wrapperIZN2at6native12_GLOBAL__N_124unique_dim_cuda_templateIaEESt5tupleIJNSH_6TensorESM_SM_EERKSM_lbbbEUlllE0_EEPmJS6_EEE10hipError_tPvRmT3_T4_T5_T6_T7_T9_mT8_P12ihipStream_tbDpT10_ENKUlT_T0_E_clISt17integral_constantIbLb1EES1C_EEDaS17_S18_EUlS17_E_NS1_11comp_targetILNS1_3genE5ELNS1_11target_archE942ELNS1_3gpuE9ELNS1_3repE0EEENS1_30default_config_static_selectorELNS0_4arch9wavefront6targetE0EEEvT1_,comdat
.Lfunc_end328:
	.size	_ZN7rocprim17ROCPRIM_400000_NS6detail17trampoline_kernelINS0_14default_configENS1_25partition_config_selectorILNS1_17partition_subalgoE8ElNS0_10empty_typeEbEEZZNS1_14partition_implILS5_8ELb0ES3_jPlPS6_PKS6_NS0_5tupleIJS9_S6_EEENSD_IJSA_SA_EEENS0_18inequality_wrapperIZN2at6native12_GLOBAL__N_124unique_dim_cuda_templateIaEESt5tupleIJNSH_6TensorESM_SM_EERKSM_lbbbEUlllE0_EEPmJS6_EEE10hipError_tPvRmT3_T4_T5_T6_T7_T9_mT8_P12ihipStream_tbDpT10_ENKUlT_T0_E_clISt17integral_constantIbLb1EES1C_EEDaS17_S18_EUlS17_E_NS1_11comp_targetILNS1_3genE5ELNS1_11target_archE942ELNS1_3gpuE9ELNS1_3repE0EEENS1_30default_config_static_selectorELNS0_4arch9wavefront6targetE0EEEvT1_, .Lfunc_end328-_ZN7rocprim17ROCPRIM_400000_NS6detail17trampoline_kernelINS0_14default_configENS1_25partition_config_selectorILNS1_17partition_subalgoE8ElNS0_10empty_typeEbEEZZNS1_14partition_implILS5_8ELb0ES3_jPlPS6_PKS6_NS0_5tupleIJS9_S6_EEENSD_IJSA_SA_EEENS0_18inequality_wrapperIZN2at6native12_GLOBAL__N_124unique_dim_cuda_templateIaEESt5tupleIJNSH_6TensorESM_SM_EERKSM_lbbbEUlllE0_EEPmJS6_EEE10hipError_tPvRmT3_T4_T5_T6_T7_T9_mT8_P12ihipStream_tbDpT10_ENKUlT_T0_E_clISt17integral_constantIbLb1EES1C_EEDaS17_S18_EUlS17_E_NS1_11comp_targetILNS1_3genE5ELNS1_11target_archE942ELNS1_3gpuE9ELNS1_3repE0EEENS1_30default_config_static_selectorELNS0_4arch9wavefront6targetE0EEEvT1_
                                        ; -- End function
	.section	.AMDGPU.csdata,"",@progbits
; Kernel info:
; codeLenInByte = 0
; NumSgprs: 0
; NumVgprs: 0
; ScratchSize: 0
; MemoryBound: 0
; FloatMode: 240
; IeeeMode: 1
; LDSByteSize: 0 bytes/workgroup (compile time only)
; SGPRBlocks: 0
; VGPRBlocks: 0
; NumSGPRsForWavesPerEU: 1
; NumVGPRsForWavesPerEU: 1
; Occupancy: 16
; WaveLimiterHint : 0
; COMPUTE_PGM_RSRC2:SCRATCH_EN: 0
; COMPUTE_PGM_RSRC2:USER_SGPR: 15
; COMPUTE_PGM_RSRC2:TRAP_HANDLER: 0
; COMPUTE_PGM_RSRC2:TGID_X_EN: 1
; COMPUTE_PGM_RSRC2:TGID_Y_EN: 0
; COMPUTE_PGM_RSRC2:TGID_Z_EN: 0
; COMPUTE_PGM_RSRC2:TIDIG_COMP_CNT: 0
	.section	.text._ZN7rocprim17ROCPRIM_400000_NS6detail17trampoline_kernelINS0_14default_configENS1_25partition_config_selectorILNS1_17partition_subalgoE8ElNS0_10empty_typeEbEEZZNS1_14partition_implILS5_8ELb0ES3_jPlPS6_PKS6_NS0_5tupleIJS9_S6_EEENSD_IJSA_SA_EEENS0_18inequality_wrapperIZN2at6native12_GLOBAL__N_124unique_dim_cuda_templateIaEESt5tupleIJNSH_6TensorESM_SM_EERKSM_lbbbEUlllE0_EEPmJS6_EEE10hipError_tPvRmT3_T4_T5_T6_T7_T9_mT8_P12ihipStream_tbDpT10_ENKUlT_T0_E_clISt17integral_constantIbLb1EES1C_EEDaS17_S18_EUlS17_E_NS1_11comp_targetILNS1_3genE4ELNS1_11target_archE910ELNS1_3gpuE8ELNS1_3repE0EEENS1_30default_config_static_selectorELNS0_4arch9wavefront6targetE0EEEvT1_,"axG",@progbits,_ZN7rocprim17ROCPRIM_400000_NS6detail17trampoline_kernelINS0_14default_configENS1_25partition_config_selectorILNS1_17partition_subalgoE8ElNS0_10empty_typeEbEEZZNS1_14partition_implILS5_8ELb0ES3_jPlPS6_PKS6_NS0_5tupleIJS9_S6_EEENSD_IJSA_SA_EEENS0_18inequality_wrapperIZN2at6native12_GLOBAL__N_124unique_dim_cuda_templateIaEESt5tupleIJNSH_6TensorESM_SM_EERKSM_lbbbEUlllE0_EEPmJS6_EEE10hipError_tPvRmT3_T4_T5_T6_T7_T9_mT8_P12ihipStream_tbDpT10_ENKUlT_T0_E_clISt17integral_constantIbLb1EES1C_EEDaS17_S18_EUlS17_E_NS1_11comp_targetILNS1_3genE4ELNS1_11target_archE910ELNS1_3gpuE8ELNS1_3repE0EEENS1_30default_config_static_selectorELNS0_4arch9wavefront6targetE0EEEvT1_,comdat
	.globl	_ZN7rocprim17ROCPRIM_400000_NS6detail17trampoline_kernelINS0_14default_configENS1_25partition_config_selectorILNS1_17partition_subalgoE8ElNS0_10empty_typeEbEEZZNS1_14partition_implILS5_8ELb0ES3_jPlPS6_PKS6_NS0_5tupleIJS9_S6_EEENSD_IJSA_SA_EEENS0_18inequality_wrapperIZN2at6native12_GLOBAL__N_124unique_dim_cuda_templateIaEESt5tupleIJNSH_6TensorESM_SM_EERKSM_lbbbEUlllE0_EEPmJS6_EEE10hipError_tPvRmT3_T4_T5_T6_T7_T9_mT8_P12ihipStream_tbDpT10_ENKUlT_T0_E_clISt17integral_constantIbLb1EES1C_EEDaS17_S18_EUlS17_E_NS1_11comp_targetILNS1_3genE4ELNS1_11target_archE910ELNS1_3gpuE8ELNS1_3repE0EEENS1_30default_config_static_selectorELNS0_4arch9wavefront6targetE0EEEvT1_ ; -- Begin function _ZN7rocprim17ROCPRIM_400000_NS6detail17trampoline_kernelINS0_14default_configENS1_25partition_config_selectorILNS1_17partition_subalgoE8ElNS0_10empty_typeEbEEZZNS1_14partition_implILS5_8ELb0ES3_jPlPS6_PKS6_NS0_5tupleIJS9_S6_EEENSD_IJSA_SA_EEENS0_18inequality_wrapperIZN2at6native12_GLOBAL__N_124unique_dim_cuda_templateIaEESt5tupleIJNSH_6TensorESM_SM_EERKSM_lbbbEUlllE0_EEPmJS6_EEE10hipError_tPvRmT3_T4_T5_T6_T7_T9_mT8_P12ihipStream_tbDpT10_ENKUlT_T0_E_clISt17integral_constantIbLb1EES1C_EEDaS17_S18_EUlS17_E_NS1_11comp_targetILNS1_3genE4ELNS1_11target_archE910ELNS1_3gpuE8ELNS1_3repE0EEENS1_30default_config_static_selectorELNS0_4arch9wavefront6targetE0EEEvT1_
	.p2align	8
	.type	_ZN7rocprim17ROCPRIM_400000_NS6detail17trampoline_kernelINS0_14default_configENS1_25partition_config_selectorILNS1_17partition_subalgoE8ElNS0_10empty_typeEbEEZZNS1_14partition_implILS5_8ELb0ES3_jPlPS6_PKS6_NS0_5tupleIJS9_S6_EEENSD_IJSA_SA_EEENS0_18inequality_wrapperIZN2at6native12_GLOBAL__N_124unique_dim_cuda_templateIaEESt5tupleIJNSH_6TensorESM_SM_EERKSM_lbbbEUlllE0_EEPmJS6_EEE10hipError_tPvRmT3_T4_T5_T6_T7_T9_mT8_P12ihipStream_tbDpT10_ENKUlT_T0_E_clISt17integral_constantIbLb1EES1C_EEDaS17_S18_EUlS17_E_NS1_11comp_targetILNS1_3genE4ELNS1_11target_archE910ELNS1_3gpuE8ELNS1_3repE0EEENS1_30default_config_static_selectorELNS0_4arch9wavefront6targetE0EEEvT1_,@function
_ZN7rocprim17ROCPRIM_400000_NS6detail17trampoline_kernelINS0_14default_configENS1_25partition_config_selectorILNS1_17partition_subalgoE8ElNS0_10empty_typeEbEEZZNS1_14partition_implILS5_8ELb0ES3_jPlPS6_PKS6_NS0_5tupleIJS9_S6_EEENSD_IJSA_SA_EEENS0_18inequality_wrapperIZN2at6native12_GLOBAL__N_124unique_dim_cuda_templateIaEESt5tupleIJNSH_6TensorESM_SM_EERKSM_lbbbEUlllE0_EEPmJS6_EEE10hipError_tPvRmT3_T4_T5_T6_T7_T9_mT8_P12ihipStream_tbDpT10_ENKUlT_T0_E_clISt17integral_constantIbLb1EES1C_EEDaS17_S18_EUlS17_E_NS1_11comp_targetILNS1_3genE4ELNS1_11target_archE910ELNS1_3gpuE8ELNS1_3repE0EEENS1_30default_config_static_selectorELNS0_4arch9wavefront6targetE0EEEvT1_: ; @_ZN7rocprim17ROCPRIM_400000_NS6detail17trampoline_kernelINS0_14default_configENS1_25partition_config_selectorILNS1_17partition_subalgoE8ElNS0_10empty_typeEbEEZZNS1_14partition_implILS5_8ELb0ES3_jPlPS6_PKS6_NS0_5tupleIJS9_S6_EEENSD_IJSA_SA_EEENS0_18inequality_wrapperIZN2at6native12_GLOBAL__N_124unique_dim_cuda_templateIaEESt5tupleIJNSH_6TensorESM_SM_EERKSM_lbbbEUlllE0_EEPmJS6_EEE10hipError_tPvRmT3_T4_T5_T6_T7_T9_mT8_P12ihipStream_tbDpT10_ENKUlT_T0_E_clISt17integral_constantIbLb1EES1C_EEDaS17_S18_EUlS17_E_NS1_11comp_targetILNS1_3genE4ELNS1_11target_archE910ELNS1_3gpuE8ELNS1_3repE0EEENS1_30default_config_static_selectorELNS0_4arch9wavefront6targetE0EEEvT1_
; %bb.0:
	.section	.rodata,"a",@progbits
	.p2align	6, 0x0
	.amdhsa_kernel _ZN7rocprim17ROCPRIM_400000_NS6detail17trampoline_kernelINS0_14default_configENS1_25partition_config_selectorILNS1_17partition_subalgoE8ElNS0_10empty_typeEbEEZZNS1_14partition_implILS5_8ELb0ES3_jPlPS6_PKS6_NS0_5tupleIJS9_S6_EEENSD_IJSA_SA_EEENS0_18inequality_wrapperIZN2at6native12_GLOBAL__N_124unique_dim_cuda_templateIaEESt5tupleIJNSH_6TensorESM_SM_EERKSM_lbbbEUlllE0_EEPmJS6_EEE10hipError_tPvRmT3_T4_T5_T6_T7_T9_mT8_P12ihipStream_tbDpT10_ENKUlT_T0_E_clISt17integral_constantIbLb1EES1C_EEDaS17_S18_EUlS17_E_NS1_11comp_targetILNS1_3genE4ELNS1_11target_archE910ELNS1_3gpuE8ELNS1_3repE0EEENS1_30default_config_static_selectorELNS0_4arch9wavefront6targetE0EEEvT1_
		.amdhsa_group_segment_fixed_size 0
		.amdhsa_private_segment_fixed_size 0
		.amdhsa_kernarg_size 136
		.amdhsa_user_sgpr_count 15
		.amdhsa_user_sgpr_dispatch_ptr 0
		.amdhsa_user_sgpr_queue_ptr 0
		.amdhsa_user_sgpr_kernarg_segment_ptr 1
		.amdhsa_user_sgpr_dispatch_id 0
		.amdhsa_user_sgpr_private_segment_size 0
		.amdhsa_wavefront_size32 1
		.amdhsa_uses_dynamic_stack 0
		.amdhsa_enable_private_segment 0
		.amdhsa_system_sgpr_workgroup_id_x 1
		.amdhsa_system_sgpr_workgroup_id_y 0
		.amdhsa_system_sgpr_workgroup_id_z 0
		.amdhsa_system_sgpr_workgroup_info 0
		.amdhsa_system_vgpr_workitem_id 0
		.amdhsa_next_free_vgpr 1
		.amdhsa_next_free_sgpr 1
		.amdhsa_reserve_vcc 0
		.amdhsa_float_round_mode_32 0
		.amdhsa_float_round_mode_16_64 0
		.amdhsa_float_denorm_mode_32 3
		.amdhsa_float_denorm_mode_16_64 3
		.amdhsa_dx10_clamp 1
		.amdhsa_ieee_mode 1
		.amdhsa_fp16_overflow 0
		.amdhsa_workgroup_processor_mode 1
		.amdhsa_memory_ordered 1
		.amdhsa_forward_progress 0
		.amdhsa_shared_vgpr_count 0
		.amdhsa_exception_fp_ieee_invalid_op 0
		.amdhsa_exception_fp_denorm_src 0
		.amdhsa_exception_fp_ieee_div_zero 0
		.amdhsa_exception_fp_ieee_overflow 0
		.amdhsa_exception_fp_ieee_underflow 0
		.amdhsa_exception_fp_ieee_inexact 0
		.amdhsa_exception_int_div_zero 0
	.end_amdhsa_kernel
	.section	.text._ZN7rocprim17ROCPRIM_400000_NS6detail17trampoline_kernelINS0_14default_configENS1_25partition_config_selectorILNS1_17partition_subalgoE8ElNS0_10empty_typeEbEEZZNS1_14partition_implILS5_8ELb0ES3_jPlPS6_PKS6_NS0_5tupleIJS9_S6_EEENSD_IJSA_SA_EEENS0_18inequality_wrapperIZN2at6native12_GLOBAL__N_124unique_dim_cuda_templateIaEESt5tupleIJNSH_6TensorESM_SM_EERKSM_lbbbEUlllE0_EEPmJS6_EEE10hipError_tPvRmT3_T4_T5_T6_T7_T9_mT8_P12ihipStream_tbDpT10_ENKUlT_T0_E_clISt17integral_constantIbLb1EES1C_EEDaS17_S18_EUlS17_E_NS1_11comp_targetILNS1_3genE4ELNS1_11target_archE910ELNS1_3gpuE8ELNS1_3repE0EEENS1_30default_config_static_selectorELNS0_4arch9wavefront6targetE0EEEvT1_,"axG",@progbits,_ZN7rocprim17ROCPRIM_400000_NS6detail17trampoline_kernelINS0_14default_configENS1_25partition_config_selectorILNS1_17partition_subalgoE8ElNS0_10empty_typeEbEEZZNS1_14partition_implILS5_8ELb0ES3_jPlPS6_PKS6_NS0_5tupleIJS9_S6_EEENSD_IJSA_SA_EEENS0_18inequality_wrapperIZN2at6native12_GLOBAL__N_124unique_dim_cuda_templateIaEESt5tupleIJNSH_6TensorESM_SM_EERKSM_lbbbEUlllE0_EEPmJS6_EEE10hipError_tPvRmT3_T4_T5_T6_T7_T9_mT8_P12ihipStream_tbDpT10_ENKUlT_T0_E_clISt17integral_constantIbLb1EES1C_EEDaS17_S18_EUlS17_E_NS1_11comp_targetILNS1_3genE4ELNS1_11target_archE910ELNS1_3gpuE8ELNS1_3repE0EEENS1_30default_config_static_selectorELNS0_4arch9wavefront6targetE0EEEvT1_,comdat
.Lfunc_end329:
	.size	_ZN7rocprim17ROCPRIM_400000_NS6detail17trampoline_kernelINS0_14default_configENS1_25partition_config_selectorILNS1_17partition_subalgoE8ElNS0_10empty_typeEbEEZZNS1_14partition_implILS5_8ELb0ES3_jPlPS6_PKS6_NS0_5tupleIJS9_S6_EEENSD_IJSA_SA_EEENS0_18inequality_wrapperIZN2at6native12_GLOBAL__N_124unique_dim_cuda_templateIaEESt5tupleIJNSH_6TensorESM_SM_EERKSM_lbbbEUlllE0_EEPmJS6_EEE10hipError_tPvRmT3_T4_T5_T6_T7_T9_mT8_P12ihipStream_tbDpT10_ENKUlT_T0_E_clISt17integral_constantIbLb1EES1C_EEDaS17_S18_EUlS17_E_NS1_11comp_targetILNS1_3genE4ELNS1_11target_archE910ELNS1_3gpuE8ELNS1_3repE0EEENS1_30default_config_static_selectorELNS0_4arch9wavefront6targetE0EEEvT1_, .Lfunc_end329-_ZN7rocprim17ROCPRIM_400000_NS6detail17trampoline_kernelINS0_14default_configENS1_25partition_config_selectorILNS1_17partition_subalgoE8ElNS0_10empty_typeEbEEZZNS1_14partition_implILS5_8ELb0ES3_jPlPS6_PKS6_NS0_5tupleIJS9_S6_EEENSD_IJSA_SA_EEENS0_18inequality_wrapperIZN2at6native12_GLOBAL__N_124unique_dim_cuda_templateIaEESt5tupleIJNSH_6TensorESM_SM_EERKSM_lbbbEUlllE0_EEPmJS6_EEE10hipError_tPvRmT3_T4_T5_T6_T7_T9_mT8_P12ihipStream_tbDpT10_ENKUlT_T0_E_clISt17integral_constantIbLb1EES1C_EEDaS17_S18_EUlS17_E_NS1_11comp_targetILNS1_3genE4ELNS1_11target_archE910ELNS1_3gpuE8ELNS1_3repE0EEENS1_30default_config_static_selectorELNS0_4arch9wavefront6targetE0EEEvT1_
                                        ; -- End function
	.section	.AMDGPU.csdata,"",@progbits
; Kernel info:
; codeLenInByte = 0
; NumSgprs: 0
; NumVgprs: 0
; ScratchSize: 0
; MemoryBound: 0
; FloatMode: 240
; IeeeMode: 1
; LDSByteSize: 0 bytes/workgroup (compile time only)
; SGPRBlocks: 0
; VGPRBlocks: 0
; NumSGPRsForWavesPerEU: 1
; NumVGPRsForWavesPerEU: 1
; Occupancy: 16
; WaveLimiterHint : 0
; COMPUTE_PGM_RSRC2:SCRATCH_EN: 0
; COMPUTE_PGM_RSRC2:USER_SGPR: 15
; COMPUTE_PGM_RSRC2:TRAP_HANDLER: 0
; COMPUTE_PGM_RSRC2:TGID_X_EN: 1
; COMPUTE_PGM_RSRC2:TGID_Y_EN: 0
; COMPUTE_PGM_RSRC2:TGID_Z_EN: 0
; COMPUTE_PGM_RSRC2:TIDIG_COMP_CNT: 0
	.section	.text._ZN7rocprim17ROCPRIM_400000_NS6detail17trampoline_kernelINS0_14default_configENS1_25partition_config_selectorILNS1_17partition_subalgoE8ElNS0_10empty_typeEbEEZZNS1_14partition_implILS5_8ELb0ES3_jPlPS6_PKS6_NS0_5tupleIJS9_S6_EEENSD_IJSA_SA_EEENS0_18inequality_wrapperIZN2at6native12_GLOBAL__N_124unique_dim_cuda_templateIaEESt5tupleIJNSH_6TensorESM_SM_EERKSM_lbbbEUlllE0_EEPmJS6_EEE10hipError_tPvRmT3_T4_T5_T6_T7_T9_mT8_P12ihipStream_tbDpT10_ENKUlT_T0_E_clISt17integral_constantIbLb1EES1C_EEDaS17_S18_EUlS17_E_NS1_11comp_targetILNS1_3genE3ELNS1_11target_archE908ELNS1_3gpuE7ELNS1_3repE0EEENS1_30default_config_static_selectorELNS0_4arch9wavefront6targetE0EEEvT1_,"axG",@progbits,_ZN7rocprim17ROCPRIM_400000_NS6detail17trampoline_kernelINS0_14default_configENS1_25partition_config_selectorILNS1_17partition_subalgoE8ElNS0_10empty_typeEbEEZZNS1_14partition_implILS5_8ELb0ES3_jPlPS6_PKS6_NS0_5tupleIJS9_S6_EEENSD_IJSA_SA_EEENS0_18inequality_wrapperIZN2at6native12_GLOBAL__N_124unique_dim_cuda_templateIaEESt5tupleIJNSH_6TensorESM_SM_EERKSM_lbbbEUlllE0_EEPmJS6_EEE10hipError_tPvRmT3_T4_T5_T6_T7_T9_mT8_P12ihipStream_tbDpT10_ENKUlT_T0_E_clISt17integral_constantIbLb1EES1C_EEDaS17_S18_EUlS17_E_NS1_11comp_targetILNS1_3genE3ELNS1_11target_archE908ELNS1_3gpuE7ELNS1_3repE0EEENS1_30default_config_static_selectorELNS0_4arch9wavefront6targetE0EEEvT1_,comdat
	.globl	_ZN7rocprim17ROCPRIM_400000_NS6detail17trampoline_kernelINS0_14default_configENS1_25partition_config_selectorILNS1_17partition_subalgoE8ElNS0_10empty_typeEbEEZZNS1_14partition_implILS5_8ELb0ES3_jPlPS6_PKS6_NS0_5tupleIJS9_S6_EEENSD_IJSA_SA_EEENS0_18inequality_wrapperIZN2at6native12_GLOBAL__N_124unique_dim_cuda_templateIaEESt5tupleIJNSH_6TensorESM_SM_EERKSM_lbbbEUlllE0_EEPmJS6_EEE10hipError_tPvRmT3_T4_T5_T6_T7_T9_mT8_P12ihipStream_tbDpT10_ENKUlT_T0_E_clISt17integral_constantIbLb1EES1C_EEDaS17_S18_EUlS17_E_NS1_11comp_targetILNS1_3genE3ELNS1_11target_archE908ELNS1_3gpuE7ELNS1_3repE0EEENS1_30default_config_static_selectorELNS0_4arch9wavefront6targetE0EEEvT1_ ; -- Begin function _ZN7rocprim17ROCPRIM_400000_NS6detail17trampoline_kernelINS0_14default_configENS1_25partition_config_selectorILNS1_17partition_subalgoE8ElNS0_10empty_typeEbEEZZNS1_14partition_implILS5_8ELb0ES3_jPlPS6_PKS6_NS0_5tupleIJS9_S6_EEENSD_IJSA_SA_EEENS0_18inequality_wrapperIZN2at6native12_GLOBAL__N_124unique_dim_cuda_templateIaEESt5tupleIJNSH_6TensorESM_SM_EERKSM_lbbbEUlllE0_EEPmJS6_EEE10hipError_tPvRmT3_T4_T5_T6_T7_T9_mT8_P12ihipStream_tbDpT10_ENKUlT_T0_E_clISt17integral_constantIbLb1EES1C_EEDaS17_S18_EUlS17_E_NS1_11comp_targetILNS1_3genE3ELNS1_11target_archE908ELNS1_3gpuE7ELNS1_3repE0EEENS1_30default_config_static_selectorELNS0_4arch9wavefront6targetE0EEEvT1_
	.p2align	8
	.type	_ZN7rocprim17ROCPRIM_400000_NS6detail17trampoline_kernelINS0_14default_configENS1_25partition_config_selectorILNS1_17partition_subalgoE8ElNS0_10empty_typeEbEEZZNS1_14partition_implILS5_8ELb0ES3_jPlPS6_PKS6_NS0_5tupleIJS9_S6_EEENSD_IJSA_SA_EEENS0_18inequality_wrapperIZN2at6native12_GLOBAL__N_124unique_dim_cuda_templateIaEESt5tupleIJNSH_6TensorESM_SM_EERKSM_lbbbEUlllE0_EEPmJS6_EEE10hipError_tPvRmT3_T4_T5_T6_T7_T9_mT8_P12ihipStream_tbDpT10_ENKUlT_T0_E_clISt17integral_constantIbLb1EES1C_EEDaS17_S18_EUlS17_E_NS1_11comp_targetILNS1_3genE3ELNS1_11target_archE908ELNS1_3gpuE7ELNS1_3repE0EEENS1_30default_config_static_selectorELNS0_4arch9wavefront6targetE0EEEvT1_,@function
_ZN7rocprim17ROCPRIM_400000_NS6detail17trampoline_kernelINS0_14default_configENS1_25partition_config_selectorILNS1_17partition_subalgoE8ElNS0_10empty_typeEbEEZZNS1_14partition_implILS5_8ELb0ES3_jPlPS6_PKS6_NS0_5tupleIJS9_S6_EEENSD_IJSA_SA_EEENS0_18inequality_wrapperIZN2at6native12_GLOBAL__N_124unique_dim_cuda_templateIaEESt5tupleIJNSH_6TensorESM_SM_EERKSM_lbbbEUlllE0_EEPmJS6_EEE10hipError_tPvRmT3_T4_T5_T6_T7_T9_mT8_P12ihipStream_tbDpT10_ENKUlT_T0_E_clISt17integral_constantIbLb1EES1C_EEDaS17_S18_EUlS17_E_NS1_11comp_targetILNS1_3genE3ELNS1_11target_archE908ELNS1_3gpuE7ELNS1_3repE0EEENS1_30default_config_static_selectorELNS0_4arch9wavefront6targetE0EEEvT1_: ; @_ZN7rocprim17ROCPRIM_400000_NS6detail17trampoline_kernelINS0_14default_configENS1_25partition_config_selectorILNS1_17partition_subalgoE8ElNS0_10empty_typeEbEEZZNS1_14partition_implILS5_8ELb0ES3_jPlPS6_PKS6_NS0_5tupleIJS9_S6_EEENSD_IJSA_SA_EEENS0_18inequality_wrapperIZN2at6native12_GLOBAL__N_124unique_dim_cuda_templateIaEESt5tupleIJNSH_6TensorESM_SM_EERKSM_lbbbEUlllE0_EEPmJS6_EEE10hipError_tPvRmT3_T4_T5_T6_T7_T9_mT8_P12ihipStream_tbDpT10_ENKUlT_T0_E_clISt17integral_constantIbLb1EES1C_EEDaS17_S18_EUlS17_E_NS1_11comp_targetILNS1_3genE3ELNS1_11target_archE908ELNS1_3gpuE7ELNS1_3repE0EEENS1_30default_config_static_selectorELNS0_4arch9wavefront6targetE0EEEvT1_
; %bb.0:
	.section	.rodata,"a",@progbits
	.p2align	6, 0x0
	.amdhsa_kernel _ZN7rocprim17ROCPRIM_400000_NS6detail17trampoline_kernelINS0_14default_configENS1_25partition_config_selectorILNS1_17partition_subalgoE8ElNS0_10empty_typeEbEEZZNS1_14partition_implILS5_8ELb0ES3_jPlPS6_PKS6_NS0_5tupleIJS9_S6_EEENSD_IJSA_SA_EEENS0_18inequality_wrapperIZN2at6native12_GLOBAL__N_124unique_dim_cuda_templateIaEESt5tupleIJNSH_6TensorESM_SM_EERKSM_lbbbEUlllE0_EEPmJS6_EEE10hipError_tPvRmT3_T4_T5_T6_T7_T9_mT8_P12ihipStream_tbDpT10_ENKUlT_T0_E_clISt17integral_constantIbLb1EES1C_EEDaS17_S18_EUlS17_E_NS1_11comp_targetILNS1_3genE3ELNS1_11target_archE908ELNS1_3gpuE7ELNS1_3repE0EEENS1_30default_config_static_selectorELNS0_4arch9wavefront6targetE0EEEvT1_
		.amdhsa_group_segment_fixed_size 0
		.amdhsa_private_segment_fixed_size 0
		.amdhsa_kernarg_size 136
		.amdhsa_user_sgpr_count 15
		.amdhsa_user_sgpr_dispatch_ptr 0
		.amdhsa_user_sgpr_queue_ptr 0
		.amdhsa_user_sgpr_kernarg_segment_ptr 1
		.amdhsa_user_sgpr_dispatch_id 0
		.amdhsa_user_sgpr_private_segment_size 0
		.amdhsa_wavefront_size32 1
		.amdhsa_uses_dynamic_stack 0
		.amdhsa_enable_private_segment 0
		.amdhsa_system_sgpr_workgroup_id_x 1
		.amdhsa_system_sgpr_workgroup_id_y 0
		.amdhsa_system_sgpr_workgroup_id_z 0
		.amdhsa_system_sgpr_workgroup_info 0
		.amdhsa_system_vgpr_workitem_id 0
		.amdhsa_next_free_vgpr 1
		.amdhsa_next_free_sgpr 1
		.amdhsa_reserve_vcc 0
		.amdhsa_float_round_mode_32 0
		.amdhsa_float_round_mode_16_64 0
		.amdhsa_float_denorm_mode_32 3
		.amdhsa_float_denorm_mode_16_64 3
		.amdhsa_dx10_clamp 1
		.amdhsa_ieee_mode 1
		.amdhsa_fp16_overflow 0
		.amdhsa_workgroup_processor_mode 1
		.amdhsa_memory_ordered 1
		.amdhsa_forward_progress 0
		.amdhsa_shared_vgpr_count 0
		.amdhsa_exception_fp_ieee_invalid_op 0
		.amdhsa_exception_fp_denorm_src 0
		.amdhsa_exception_fp_ieee_div_zero 0
		.amdhsa_exception_fp_ieee_overflow 0
		.amdhsa_exception_fp_ieee_underflow 0
		.amdhsa_exception_fp_ieee_inexact 0
		.amdhsa_exception_int_div_zero 0
	.end_amdhsa_kernel
	.section	.text._ZN7rocprim17ROCPRIM_400000_NS6detail17trampoline_kernelINS0_14default_configENS1_25partition_config_selectorILNS1_17partition_subalgoE8ElNS0_10empty_typeEbEEZZNS1_14partition_implILS5_8ELb0ES3_jPlPS6_PKS6_NS0_5tupleIJS9_S6_EEENSD_IJSA_SA_EEENS0_18inequality_wrapperIZN2at6native12_GLOBAL__N_124unique_dim_cuda_templateIaEESt5tupleIJNSH_6TensorESM_SM_EERKSM_lbbbEUlllE0_EEPmJS6_EEE10hipError_tPvRmT3_T4_T5_T6_T7_T9_mT8_P12ihipStream_tbDpT10_ENKUlT_T0_E_clISt17integral_constantIbLb1EES1C_EEDaS17_S18_EUlS17_E_NS1_11comp_targetILNS1_3genE3ELNS1_11target_archE908ELNS1_3gpuE7ELNS1_3repE0EEENS1_30default_config_static_selectorELNS0_4arch9wavefront6targetE0EEEvT1_,"axG",@progbits,_ZN7rocprim17ROCPRIM_400000_NS6detail17trampoline_kernelINS0_14default_configENS1_25partition_config_selectorILNS1_17partition_subalgoE8ElNS0_10empty_typeEbEEZZNS1_14partition_implILS5_8ELb0ES3_jPlPS6_PKS6_NS0_5tupleIJS9_S6_EEENSD_IJSA_SA_EEENS0_18inequality_wrapperIZN2at6native12_GLOBAL__N_124unique_dim_cuda_templateIaEESt5tupleIJNSH_6TensorESM_SM_EERKSM_lbbbEUlllE0_EEPmJS6_EEE10hipError_tPvRmT3_T4_T5_T6_T7_T9_mT8_P12ihipStream_tbDpT10_ENKUlT_T0_E_clISt17integral_constantIbLb1EES1C_EEDaS17_S18_EUlS17_E_NS1_11comp_targetILNS1_3genE3ELNS1_11target_archE908ELNS1_3gpuE7ELNS1_3repE0EEENS1_30default_config_static_selectorELNS0_4arch9wavefront6targetE0EEEvT1_,comdat
.Lfunc_end330:
	.size	_ZN7rocprim17ROCPRIM_400000_NS6detail17trampoline_kernelINS0_14default_configENS1_25partition_config_selectorILNS1_17partition_subalgoE8ElNS0_10empty_typeEbEEZZNS1_14partition_implILS5_8ELb0ES3_jPlPS6_PKS6_NS0_5tupleIJS9_S6_EEENSD_IJSA_SA_EEENS0_18inequality_wrapperIZN2at6native12_GLOBAL__N_124unique_dim_cuda_templateIaEESt5tupleIJNSH_6TensorESM_SM_EERKSM_lbbbEUlllE0_EEPmJS6_EEE10hipError_tPvRmT3_T4_T5_T6_T7_T9_mT8_P12ihipStream_tbDpT10_ENKUlT_T0_E_clISt17integral_constantIbLb1EES1C_EEDaS17_S18_EUlS17_E_NS1_11comp_targetILNS1_3genE3ELNS1_11target_archE908ELNS1_3gpuE7ELNS1_3repE0EEENS1_30default_config_static_selectorELNS0_4arch9wavefront6targetE0EEEvT1_, .Lfunc_end330-_ZN7rocprim17ROCPRIM_400000_NS6detail17trampoline_kernelINS0_14default_configENS1_25partition_config_selectorILNS1_17partition_subalgoE8ElNS0_10empty_typeEbEEZZNS1_14partition_implILS5_8ELb0ES3_jPlPS6_PKS6_NS0_5tupleIJS9_S6_EEENSD_IJSA_SA_EEENS0_18inequality_wrapperIZN2at6native12_GLOBAL__N_124unique_dim_cuda_templateIaEESt5tupleIJNSH_6TensorESM_SM_EERKSM_lbbbEUlllE0_EEPmJS6_EEE10hipError_tPvRmT3_T4_T5_T6_T7_T9_mT8_P12ihipStream_tbDpT10_ENKUlT_T0_E_clISt17integral_constantIbLb1EES1C_EEDaS17_S18_EUlS17_E_NS1_11comp_targetILNS1_3genE3ELNS1_11target_archE908ELNS1_3gpuE7ELNS1_3repE0EEENS1_30default_config_static_selectorELNS0_4arch9wavefront6targetE0EEEvT1_
                                        ; -- End function
	.section	.AMDGPU.csdata,"",@progbits
; Kernel info:
; codeLenInByte = 0
; NumSgprs: 0
; NumVgprs: 0
; ScratchSize: 0
; MemoryBound: 0
; FloatMode: 240
; IeeeMode: 1
; LDSByteSize: 0 bytes/workgroup (compile time only)
; SGPRBlocks: 0
; VGPRBlocks: 0
; NumSGPRsForWavesPerEU: 1
; NumVGPRsForWavesPerEU: 1
; Occupancy: 16
; WaveLimiterHint : 0
; COMPUTE_PGM_RSRC2:SCRATCH_EN: 0
; COMPUTE_PGM_RSRC2:USER_SGPR: 15
; COMPUTE_PGM_RSRC2:TRAP_HANDLER: 0
; COMPUTE_PGM_RSRC2:TGID_X_EN: 1
; COMPUTE_PGM_RSRC2:TGID_Y_EN: 0
; COMPUTE_PGM_RSRC2:TGID_Z_EN: 0
; COMPUTE_PGM_RSRC2:TIDIG_COMP_CNT: 0
	.section	.text._ZN7rocprim17ROCPRIM_400000_NS6detail17trampoline_kernelINS0_14default_configENS1_25partition_config_selectorILNS1_17partition_subalgoE8ElNS0_10empty_typeEbEEZZNS1_14partition_implILS5_8ELb0ES3_jPlPS6_PKS6_NS0_5tupleIJS9_S6_EEENSD_IJSA_SA_EEENS0_18inequality_wrapperIZN2at6native12_GLOBAL__N_124unique_dim_cuda_templateIaEESt5tupleIJNSH_6TensorESM_SM_EERKSM_lbbbEUlllE0_EEPmJS6_EEE10hipError_tPvRmT3_T4_T5_T6_T7_T9_mT8_P12ihipStream_tbDpT10_ENKUlT_T0_E_clISt17integral_constantIbLb1EES1C_EEDaS17_S18_EUlS17_E_NS1_11comp_targetILNS1_3genE2ELNS1_11target_archE906ELNS1_3gpuE6ELNS1_3repE0EEENS1_30default_config_static_selectorELNS0_4arch9wavefront6targetE0EEEvT1_,"axG",@progbits,_ZN7rocprim17ROCPRIM_400000_NS6detail17trampoline_kernelINS0_14default_configENS1_25partition_config_selectorILNS1_17partition_subalgoE8ElNS0_10empty_typeEbEEZZNS1_14partition_implILS5_8ELb0ES3_jPlPS6_PKS6_NS0_5tupleIJS9_S6_EEENSD_IJSA_SA_EEENS0_18inequality_wrapperIZN2at6native12_GLOBAL__N_124unique_dim_cuda_templateIaEESt5tupleIJNSH_6TensorESM_SM_EERKSM_lbbbEUlllE0_EEPmJS6_EEE10hipError_tPvRmT3_T4_T5_T6_T7_T9_mT8_P12ihipStream_tbDpT10_ENKUlT_T0_E_clISt17integral_constantIbLb1EES1C_EEDaS17_S18_EUlS17_E_NS1_11comp_targetILNS1_3genE2ELNS1_11target_archE906ELNS1_3gpuE6ELNS1_3repE0EEENS1_30default_config_static_selectorELNS0_4arch9wavefront6targetE0EEEvT1_,comdat
	.globl	_ZN7rocprim17ROCPRIM_400000_NS6detail17trampoline_kernelINS0_14default_configENS1_25partition_config_selectorILNS1_17partition_subalgoE8ElNS0_10empty_typeEbEEZZNS1_14partition_implILS5_8ELb0ES3_jPlPS6_PKS6_NS0_5tupleIJS9_S6_EEENSD_IJSA_SA_EEENS0_18inequality_wrapperIZN2at6native12_GLOBAL__N_124unique_dim_cuda_templateIaEESt5tupleIJNSH_6TensorESM_SM_EERKSM_lbbbEUlllE0_EEPmJS6_EEE10hipError_tPvRmT3_T4_T5_T6_T7_T9_mT8_P12ihipStream_tbDpT10_ENKUlT_T0_E_clISt17integral_constantIbLb1EES1C_EEDaS17_S18_EUlS17_E_NS1_11comp_targetILNS1_3genE2ELNS1_11target_archE906ELNS1_3gpuE6ELNS1_3repE0EEENS1_30default_config_static_selectorELNS0_4arch9wavefront6targetE0EEEvT1_ ; -- Begin function _ZN7rocprim17ROCPRIM_400000_NS6detail17trampoline_kernelINS0_14default_configENS1_25partition_config_selectorILNS1_17partition_subalgoE8ElNS0_10empty_typeEbEEZZNS1_14partition_implILS5_8ELb0ES3_jPlPS6_PKS6_NS0_5tupleIJS9_S6_EEENSD_IJSA_SA_EEENS0_18inequality_wrapperIZN2at6native12_GLOBAL__N_124unique_dim_cuda_templateIaEESt5tupleIJNSH_6TensorESM_SM_EERKSM_lbbbEUlllE0_EEPmJS6_EEE10hipError_tPvRmT3_T4_T5_T6_T7_T9_mT8_P12ihipStream_tbDpT10_ENKUlT_T0_E_clISt17integral_constantIbLb1EES1C_EEDaS17_S18_EUlS17_E_NS1_11comp_targetILNS1_3genE2ELNS1_11target_archE906ELNS1_3gpuE6ELNS1_3repE0EEENS1_30default_config_static_selectorELNS0_4arch9wavefront6targetE0EEEvT1_
	.p2align	8
	.type	_ZN7rocprim17ROCPRIM_400000_NS6detail17trampoline_kernelINS0_14default_configENS1_25partition_config_selectorILNS1_17partition_subalgoE8ElNS0_10empty_typeEbEEZZNS1_14partition_implILS5_8ELb0ES3_jPlPS6_PKS6_NS0_5tupleIJS9_S6_EEENSD_IJSA_SA_EEENS0_18inequality_wrapperIZN2at6native12_GLOBAL__N_124unique_dim_cuda_templateIaEESt5tupleIJNSH_6TensorESM_SM_EERKSM_lbbbEUlllE0_EEPmJS6_EEE10hipError_tPvRmT3_T4_T5_T6_T7_T9_mT8_P12ihipStream_tbDpT10_ENKUlT_T0_E_clISt17integral_constantIbLb1EES1C_EEDaS17_S18_EUlS17_E_NS1_11comp_targetILNS1_3genE2ELNS1_11target_archE906ELNS1_3gpuE6ELNS1_3repE0EEENS1_30default_config_static_selectorELNS0_4arch9wavefront6targetE0EEEvT1_,@function
_ZN7rocprim17ROCPRIM_400000_NS6detail17trampoline_kernelINS0_14default_configENS1_25partition_config_selectorILNS1_17partition_subalgoE8ElNS0_10empty_typeEbEEZZNS1_14partition_implILS5_8ELb0ES3_jPlPS6_PKS6_NS0_5tupleIJS9_S6_EEENSD_IJSA_SA_EEENS0_18inequality_wrapperIZN2at6native12_GLOBAL__N_124unique_dim_cuda_templateIaEESt5tupleIJNSH_6TensorESM_SM_EERKSM_lbbbEUlllE0_EEPmJS6_EEE10hipError_tPvRmT3_T4_T5_T6_T7_T9_mT8_P12ihipStream_tbDpT10_ENKUlT_T0_E_clISt17integral_constantIbLb1EES1C_EEDaS17_S18_EUlS17_E_NS1_11comp_targetILNS1_3genE2ELNS1_11target_archE906ELNS1_3gpuE6ELNS1_3repE0EEENS1_30default_config_static_selectorELNS0_4arch9wavefront6targetE0EEEvT1_: ; @_ZN7rocprim17ROCPRIM_400000_NS6detail17trampoline_kernelINS0_14default_configENS1_25partition_config_selectorILNS1_17partition_subalgoE8ElNS0_10empty_typeEbEEZZNS1_14partition_implILS5_8ELb0ES3_jPlPS6_PKS6_NS0_5tupleIJS9_S6_EEENSD_IJSA_SA_EEENS0_18inequality_wrapperIZN2at6native12_GLOBAL__N_124unique_dim_cuda_templateIaEESt5tupleIJNSH_6TensorESM_SM_EERKSM_lbbbEUlllE0_EEPmJS6_EEE10hipError_tPvRmT3_T4_T5_T6_T7_T9_mT8_P12ihipStream_tbDpT10_ENKUlT_T0_E_clISt17integral_constantIbLb1EES1C_EEDaS17_S18_EUlS17_E_NS1_11comp_targetILNS1_3genE2ELNS1_11target_archE906ELNS1_3gpuE6ELNS1_3repE0EEENS1_30default_config_static_selectorELNS0_4arch9wavefront6targetE0EEEvT1_
; %bb.0:
	.section	.rodata,"a",@progbits
	.p2align	6, 0x0
	.amdhsa_kernel _ZN7rocprim17ROCPRIM_400000_NS6detail17trampoline_kernelINS0_14default_configENS1_25partition_config_selectorILNS1_17partition_subalgoE8ElNS0_10empty_typeEbEEZZNS1_14partition_implILS5_8ELb0ES3_jPlPS6_PKS6_NS0_5tupleIJS9_S6_EEENSD_IJSA_SA_EEENS0_18inequality_wrapperIZN2at6native12_GLOBAL__N_124unique_dim_cuda_templateIaEESt5tupleIJNSH_6TensorESM_SM_EERKSM_lbbbEUlllE0_EEPmJS6_EEE10hipError_tPvRmT3_T4_T5_T6_T7_T9_mT8_P12ihipStream_tbDpT10_ENKUlT_T0_E_clISt17integral_constantIbLb1EES1C_EEDaS17_S18_EUlS17_E_NS1_11comp_targetILNS1_3genE2ELNS1_11target_archE906ELNS1_3gpuE6ELNS1_3repE0EEENS1_30default_config_static_selectorELNS0_4arch9wavefront6targetE0EEEvT1_
		.amdhsa_group_segment_fixed_size 0
		.amdhsa_private_segment_fixed_size 0
		.amdhsa_kernarg_size 136
		.amdhsa_user_sgpr_count 15
		.amdhsa_user_sgpr_dispatch_ptr 0
		.amdhsa_user_sgpr_queue_ptr 0
		.amdhsa_user_sgpr_kernarg_segment_ptr 1
		.amdhsa_user_sgpr_dispatch_id 0
		.amdhsa_user_sgpr_private_segment_size 0
		.amdhsa_wavefront_size32 1
		.amdhsa_uses_dynamic_stack 0
		.amdhsa_enable_private_segment 0
		.amdhsa_system_sgpr_workgroup_id_x 1
		.amdhsa_system_sgpr_workgroup_id_y 0
		.amdhsa_system_sgpr_workgroup_id_z 0
		.amdhsa_system_sgpr_workgroup_info 0
		.amdhsa_system_vgpr_workitem_id 0
		.amdhsa_next_free_vgpr 1
		.amdhsa_next_free_sgpr 1
		.amdhsa_reserve_vcc 0
		.amdhsa_float_round_mode_32 0
		.amdhsa_float_round_mode_16_64 0
		.amdhsa_float_denorm_mode_32 3
		.amdhsa_float_denorm_mode_16_64 3
		.amdhsa_dx10_clamp 1
		.amdhsa_ieee_mode 1
		.amdhsa_fp16_overflow 0
		.amdhsa_workgroup_processor_mode 1
		.amdhsa_memory_ordered 1
		.amdhsa_forward_progress 0
		.amdhsa_shared_vgpr_count 0
		.amdhsa_exception_fp_ieee_invalid_op 0
		.amdhsa_exception_fp_denorm_src 0
		.amdhsa_exception_fp_ieee_div_zero 0
		.amdhsa_exception_fp_ieee_overflow 0
		.amdhsa_exception_fp_ieee_underflow 0
		.amdhsa_exception_fp_ieee_inexact 0
		.amdhsa_exception_int_div_zero 0
	.end_amdhsa_kernel
	.section	.text._ZN7rocprim17ROCPRIM_400000_NS6detail17trampoline_kernelINS0_14default_configENS1_25partition_config_selectorILNS1_17partition_subalgoE8ElNS0_10empty_typeEbEEZZNS1_14partition_implILS5_8ELb0ES3_jPlPS6_PKS6_NS0_5tupleIJS9_S6_EEENSD_IJSA_SA_EEENS0_18inequality_wrapperIZN2at6native12_GLOBAL__N_124unique_dim_cuda_templateIaEESt5tupleIJNSH_6TensorESM_SM_EERKSM_lbbbEUlllE0_EEPmJS6_EEE10hipError_tPvRmT3_T4_T5_T6_T7_T9_mT8_P12ihipStream_tbDpT10_ENKUlT_T0_E_clISt17integral_constantIbLb1EES1C_EEDaS17_S18_EUlS17_E_NS1_11comp_targetILNS1_3genE2ELNS1_11target_archE906ELNS1_3gpuE6ELNS1_3repE0EEENS1_30default_config_static_selectorELNS0_4arch9wavefront6targetE0EEEvT1_,"axG",@progbits,_ZN7rocprim17ROCPRIM_400000_NS6detail17trampoline_kernelINS0_14default_configENS1_25partition_config_selectorILNS1_17partition_subalgoE8ElNS0_10empty_typeEbEEZZNS1_14partition_implILS5_8ELb0ES3_jPlPS6_PKS6_NS0_5tupleIJS9_S6_EEENSD_IJSA_SA_EEENS0_18inequality_wrapperIZN2at6native12_GLOBAL__N_124unique_dim_cuda_templateIaEESt5tupleIJNSH_6TensorESM_SM_EERKSM_lbbbEUlllE0_EEPmJS6_EEE10hipError_tPvRmT3_T4_T5_T6_T7_T9_mT8_P12ihipStream_tbDpT10_ENKUlT_T0_E_clISt17integral_constantIbLb1EES1C_EEDaS17_S18_EUlS17_E_NS1_11comp_targetILNS1_3genE2ELNS1_11target_archE906ELNS1_3gpuE6ELNS1_3repE0EEENS1_30default_config_static_selectorELNS0_4arch9wavefront6targetE0EEEvT1_,comdat
.Lfunc_end331:
	.size	_ZN7rocprim17ROCPRIM_400000_NS6detail17trampoline_kernelINS0_14default_configENS1_25partition_config_selectorILNS1_17partition_subalgoE8ElNS0_10empty_typeEbEEZZNS1_14partition_implILS5_8ELb0ES3_jPlPS6_PKS6_NS0_5tupleIJS9_S6_EEENSD_IJSA_SA_EEENS0_18inequality_wrapperIZN2at6native12_GLOBAL__N_124unique_dim_cuda_templateIaEESt5tupleIJNSH_6TensorESM_SM_EERKSM_lbbbEUlllE0_EEPmJS6_EEE10hipError_tPvRmT3_T4_T5_T6_T7_T9_mT8_P12ihipStream_tbDpT10_ENKUlT_T0_E_clISt17integral_constantIbLb1EES1C_EEDaS17_S18_EUlS17_E_NS1_11comp_targetILNS1_3genE2ELNS1_11target_archE906ELNS1_3gpuE6ELNS1_3repE0EEENS1_30default_config_static_selectorELNS0_4arch9wavefront6targetE0EEEvT1_, .Lfunc_end331-_ZN7rocprim17ROCPRIM_400000_NS6detail17trampoline_kernelINS0_14default_configENS1_25partition_config_selectorILNS1_17partition_subalgoE8ElNS0_10empty_typeEbEEZZNS1_14partition_implILS5_8ELb0ES3_jPlPS6_PKS6_NS0_5tupleIJS9_S6_EEENSD_IJSA_SA_EEENS0_18inequality_wrapperIZN2at6native12_GLOBAL__N_124unique_dim_cuda_templateIaEESt5tupleIJNSH_6TensorESM_SM_EERKSM_lbbbEUlllE0_EEPmJS6_EEE10hipError_tPvRmT3_T4_T5_T6_T7_T9_mT8_P12ihipStream_tbDpT10_ENKUlT_T0_E_clISt17integral_constantIbLb1EES1C_EEDaS17_S18_EUlS17_E_NS1_11comp_targetILNS1_3genE2ELNS1_11target_archE906ELNS1_3gpuE6ELNS1_3repE0EEENS1_30default_config_static_selectorELNS0_4arch9wavefront6targetE0EEEvT1_
                                        ; -- End function
	.section	.AMDGPU.csdata,"",@progbits
; Kernel info:
; codeLenInByte = 0
; NumSgprs: 0
; NumVgprs: 0
; ScratchSize: 0
; MemoryBound: 0
; FloatMode: 240
; IeeeMode: 1
; LDSByteSize: 0 bytes/workgroup (compile time only)
; SGPRBlocks: 0
; VGPRBlocks: 0
; NumSGPRsForWavesPerEU: 1
; NumVGPRsForWavesPerEU: 1
; Occupancy: 16
; WaveLimiterHint : 0
; COMPUTE_PGM_RSRC2:SCRATCH_EN: 0
; COMPUTE_PGM_RSRC2:USER_SGPR: 15
; COMPUTE_PGM_RSRC2:TRAP_HANDLER: 0
; COMPUTE_PGM_RSRC2:TGID_X_EN: 1
; COMPUTE_PGM_RSRC2:TGID_Y_EN: 0
; COMPUTE_PGM_RSRC2:TGID_Z_EN: 0
; COMPUTE_PGM_RSRC2:TIDIG_COMP_CNT: 0
	.section	.text._ZN7rocprim17ROCPRIM_400000_NS6detail17trampoline_kernelINS0_14default_configENS1_25partition_config_selectorILNS1_17partition_subalgoE8ElNS0_10empty_typeEbEEZZNS1_14partition_implILS5_8ELb0ES3_jPlPS6_PKS6_NS0_5tupleIJS9_S6_EEENSD_IJSA_SA_EEENS0_18inequality_wrapperIZN2at6native12_GLOBAL__N_124unique_dim_cuda_templateIaEESt5tupleIJNSH_6TensorESM_SM_EERKSM_lbbbEUlllE0_EEPmJS6_EEE10hipError_tPvRmT3_T4_T5_T6_T7_T9_mT8_P12ihipStream_tbDpT10_ENKUlT_T0_E_clISt17integral_constantIbLb1EES1C_EEDaS17_S18_EUlS17_E_NS1_11comp_targetILNS1_3genE10ELNS1_11target_archE1200ELNS1_3gpuE4ELNS1_3repE0EEENS1_30default_config_static_selectorELNS0_4arch9wavefront6targetE0EEEvT1_,"axG",@progbits,_ZN7rocprim17ROCPRIM_400000_NS6detail17trampoline_kernelINS0_14default_configENS1_25partition_config_selectorILNS1_17partition_subalgoE8ElNS0_10empty_typeEbEEZZNS1_14partition_implILS5_8ELb0ES3_jPlPS6_PKS6_NS0_5tupleIJS9_S6_EEENSD_IJSA_SA_EEENS0_18inequality_wrapperIZN2at6native12_GLOBAL__N_124unique_dim_cuda_templateIaEESt5tupleIJNSH_6TensorESM_SM_EERKSM_lbbbEUlllE0_EEPmJS6_EEE10hipError_tPvRmT3_T4_T5_T6_T7_T9_mT8_P12ihipStream_tbDpT10_ENKUlT_T0_E_clISt17integral_constantIbLb1EES1C_EEDaS17_S18_EUlS17_E_NS1_11comp_targetILNS1_3genE10ELNS1_11target_archE1200ELNS1_3gpuE4ELNS1_3repE0EEENS1_30default_config_static_selectorELNS0_4arch9wavefront6targetE0EEEvT1_,comdat
	.globl	_ZN7rocprim17ROCPRIM_400000_NS6detail17trampoline_kernelINS0_14default_configENS1_25partition_config_selectorILNS1_17partition_subalgoE8ElNS0_10empty_typeEbEEZZNS1_14partition_implILS5_8ELb0ES3_jPlPS6_PKS6_NS0_5tupleIJS9_S6_EEENSD_IJSA_SA_EEENS0_18inequality_wrapperIZN2at6native12_GLOBAL__N_124unique_dim_cuda_templateIaEESt5tupleIJNSH_6TensorESM_SM_EERKSM_lbbbEUlllE0_EEPmJS6_EEE10hipError_tPvRmT3_T4_T5_T6_T7_T9_mT8_P12ihipStream_tbDpT10_ENKUlT_T0_E_clISt17integral_constantIbLb1EES1C_EEDaS17_S18_EUlS17_E_NS1_11comp_targetILNS1_3genE10ELNS1_11target_archE1200ELNS1_3gpuE4ELNS1_3repE0EEENS1_30default_config_static_selectorELNS0_4arch9wavefront6targetE0EEEvT1_ ; -- Begin function _ZN7rocprim17ROCPRIM_400000_NS6detail17trampoline_kernelINS0_14default_configENS1_25partition_config_selectorILNS1_17partition_subalgoE8ElNS0_10empty_typeEbEEZZNS1_14partition_implILS5_8ELb0ES3_jPlPS6_PKS6_NS0_5tupleIJS9_S6_EEENSD_IJSA_SA_EEENS0_18inequality_wrapperIZN2at6native12_GLOBAL__N_124unique_dim_cuda_templateIaEESt5tupleIJNSH_6TensorESM_SM_EERKSM_lbbbEUlllE0_EEPmJS6_EEE10hipError_tPvRmT3_T4_T5_T6_T7_T9_mT8_P12ihipStream_tbDpT10_ENKUlT_T0_E_clISt17integral_constantIbLb1EES1C_EEDaS17_S18_EUlS17_E_NS1_11comp_targetILNS1_3genE10ELNS1_11target_archE1200ELNS1_3gpuE4ELNS1_3repE0EEENS1_30default_config_static_selectorELNS0_4arch9wavefront6targetE0EEEvT1_
	.p2align	8
	.type	_ZN7rocprim17ROCPRIM_400000_NS6detail17trampoline_kernelINS0_14default_configENS1_25partition_config_selectorILNS1_17partition_subalgoE8ElNS0_10empty_typeEbEEZZNS1_14partition_implILS5_8ELb0ES3_jPlPS6_PKS6_NS0_5tupleIJS9_S6_EEENSD_IJSA_SA_EEENS0_18inequality_wrapperIZN2at6native12_GLOBAL__N_124unique_dim_cuda_templateIaEESt5tupleIJNSH_6TensorESM_SM_EERKSM_lbbbEUlllE0_EEPmJS6_EEE10hipError_tPvRmT3_T4_T5_T6_T7_T9_mT8_P12ihipStream_tbDpT10_ENKUlT_T0_E_clISt17integral_constantIbLb1EES1C_EEDaS17_S18_EUlS17_E_NS1_11comp_targetILNS1_3genE10ELNS1_11target_archE1200ELNS1_3gpuE4ELNS1_3repE0EEENS1_30default_config_static_selectorELNS0_4arch9wavefront6targetE0EEEvT1_,@function
_ZN7rocprim17ROCPRIM_400000_NS6detail17trampoline_kernelINS0_14default_configENS1_25partition_config_selectorILNS1_17partition_subalgoE8ElNS0_10empty_typeEbEEZZNS1_14partition_implILS5_8ELb0ES3_jPlPS6_PKS6_NS0_5tupleIJS9_S6_EEENSD_IJSA_SA_EEENS0_18inequality_wrapperIZN2at6native12_GLOBAL__N_124unique_dim_cuda_templateIaEESt5tupleIJNSH_6TensorESM_SM_EERKSM_lbbbEUlllE0_EEPmJS6_EEE10hipError_tPvRmT3_T4_T5_T6_T7_T9_mT8_P12ihipStream_tbDpT10_ENKUlT_T0_E_clISt17integral_constantIbLb1EES1C_EEDaS17_S18_EUlS17_E_NS1_11comp_targetILNS1_3genE10ELNS1_11target_archE1200ELNS1_3gpuE4ELNS1_3repE0EEENS1_30default_config_static_selectorELNS0_4arch9wavefront6targetE0EEEvT1_: ; @_ZN7rocprim17ROCPRIM_400000_NS6detail17trampoline_kernelINS0_14default_configENS1_25partition_config_selectorILNS1_17partition_subalgoE8ElNS0_10empty_typeEbEEZZNS1_14partition_implILS5_8ELb0ES3_jPlPS6_PKS6_NS0_5tupleIJS9_S6_EEENSD_IJSA_SA_EEENS0_18inequality_wrapperIZN2at6native12_GLOBAL__N_124unique_dim_cuda_templateIaEESt5tupleIJNSH_6TensorESM_SM_EERKSM_lbbbEUlllE0_EEPmJS6_EEE10hipError_tPvRmT3_T4_T5_T6_T7_T9_mT8_P12ihipStream_tbDpT10_ENKUlT_T0_E_clISt17integral_constantIbLb1EES1C_EEDaS17_S18_EUlS17_E_NS1_11comp_targetILNS1_3genE10ELNS1_11target_archE1200ELNS1_3gpuE4ELNS1_3repE0EEENS1_30default_config_static_selectorELNS0_4arch9wavefront6targetE0EEEvT1_
; %bb.0:
	.section	.rodata,"a",@progbits
	.p2align	6, 0x0
	.amdhsa_kernel _ZN7rocprim17ROCPRIM_400000_NS6detail17trampoline_kernelINS0_14default_configENS1_25partition_config_selectorILNS1_17partition_subalgoE8ElNS0_10empty_typeEbEEZZNS1_14partition_implILS5_8ELb0ES3_jPlPS6_PKS6_NS0_5tupleIJS9_S6_EEENSD_IJSA_SA_EEENS0_18inequality_wrapperIZN2at6native12_GLOBAL__N_124unique_dim_cuda_templateIaEESt5tupleIJNSH_6TensorESM_SM_EERKSM_lbbbEUlllE0_EEPmJS6_EEE10hipError_tPvRmT3_T4_T5_T6_T7_T9_mT8_P12ihipStream_tbDpT10_ENKUlT_T0_E_clISt17integral_constantIbLb1EES1C_EEDaS17_S18_EUlS17_E_NS1_11comp_targetILNS1_3genE10ELNS1_11target_archE1200ELNS1_3gpuE4ELNS1_3repE0EEENS1_30default_config_static_selectorELNS0_4arch9wavefront6targetE0EEEvT1_
		.amdhsa_group_segment_fixed_size 0
		.amdhsa_private_segment_fixed_size 0
		.amdhsa_kernarg_size 136
		.amdhsa_user_sgpr_count 15
		.amdhsa_user_sgpr_dispatch_ptr 0
		.amdhsa_user_sgpr_queue_ptr 0
		.amdhsa_user_sgpr_kernarg_segment_ptr 1
		.amdhsa_user_sgpr_dispatch_id 0
		.amdhsa_user_sgpr_private_segment_size 0
		.amdhsa_wavefront_size32 1
		.amdhsa_uses_dynamic_stack 0
		.amdhsa_enable_private_segment 0
		.amdhsa_system_sgpr_workgroup_id_x 1
		.amdhsa_system_sgpr_workgroup_id_y 0
		.amdhsa_system_sgpr_workgroup_id_z 0
		.amdhsa_system_sgpr_workgroup_info 0
		.amdhsa_system_vgpr_workitem_id 0
		.amdhsa_next_free_vgpr 1
		.amdhsa_next_free_sgpr 1
		.amdhsa_reserve_vcc 0
		.amdhsa_float_round_mode_32 0
		.amdhsa_float_round_mode_16_64 0
		.amdhsa_float_denorm_mode_32 3
		.amdhsa_float_denorm_mode_16_64 3
		.amdhsa_dx10_clamp 1
		.amdhsa_ieee_mode 1
		.amdhsa_fp16_overflow 0
		.amdhsa_workgroup_processor_mode 1
		.amdhsa_memory_ordered 1
		.amdhsa_forward_progress 0
		.amdhsa_shared_vgpr_count 0
		.amdhsa_exception_fp_ieee_invalid_op 0
		.amdhsa_exception_fp_denorm_src 0
		.amdhsa_exception_fp_ieee_div_zero 0
		.amdhsa_exception_fp_ieee_overflow 0
		.amdhsa_exception_fp_ieee_underflow 0
		.amdhsa_exception_fp_ieee_inexact 0
		.amdhsa_exception_int_div_zero 0
	.end_amdhsa_kernel
	.section	.text._ZN7rocprim17ROCPRIM_400000_NS6detail17trampoline_kernelINS0_14default_configENS1_25partition_config_selectorILNS1_17partition_subalgoE8ElNS0_10empty_typeEbEEZZNS1_14partition_implILS5_8ELb0ES3_jPlPS6_PKS6_NS0_5tupleIJS9_S6_EEENSD_IJSA_SA_EEENS0_18inequality_wrapperIZN2at6native12_GLOBAL__N_124unique_dim_cuda_templateIaEESt5tupleIJNSH_6TensorESM_SM_EERKSM_lbbbEUlllE0_EEPmJS6_EEE10hipError_tPvRmT3_T4_T5_T6_T7_T9_mT8_P12ihipStream_tbDpT10_ENKUlT_T0_E_clISt17integral_constantIbLb1EES1C_EEDaS17_S18_EUlS17_E_NS1_11comp_targetILNS1_3genE10ELNS1_11target_archE1200ELNS1_3gpuE4ELNS1_3repE0EEENS1_30default_config_static_selectorELNS0_4arch9wavefront6targetE0EEEvT1_,"axG",@progbits,_ZN7rocprim17ROCPRIM_400000_NS6detail17trampoline_kernelINS0_14default_configENS1_25partition_config_selectorILNS1_17partition_subalgoE8ElNS0_10empty_typeEbEEZZNS1_14partition_implILS5_8ELb0ES3_jPlPS6_PKS6_NS0_5tupleIJS9_S6_EEENSD_IJSA_SA_EEENS0_18inequality_wrapperIZN2at6native12_GLOBAL__N_124unique_dim_cuda_templateIaEESt5tupleIJNSH_6TensorESM_SM_EERKSM_lbbbEUlllE0_EEPmJS6_EEE10hipError_tPvRmT3_T4_T5_T6_T7_T9_mT8_P12ihipStream_tbDpT10_ENKUlT_T0_E_clISt17integral_constantIbLb1EES1C_EEDaS17_S18_EUlS17_E_NS1_11comp_targetILNS1_3genE10ELNS1_11target_archE1200ELNS1_3gpuE4ELNS1_3repE0EEENS1_30default_config_static_selectorELNS0_4arch9wavefront6targetE0EEEvT1_,comdat
.Lfunc_end332:
	.size	_ZN7rocprim17ROCPRIM_400000_NS6detail17trampoline_kernelINS0_14default_configENS1_25partition_config_selectorILNS1_17partition_subalgoE8ElNS0_10empty_typeEbEEZZNS1_14partition_implILS5_8ELb0ES3_jPlPS6_PKS6_NS0_5tupleIJS9_S6_EEENSD_IJSA_SA_EEENS0_18inequality_wrapperIZN2at6native12_GLOBAL__N_124unique_dim_cuda_templateIaEESt5tupleIJNSH_6TensorESM_SM_EERKSM_lbbbEUlllE0_EEPmJS6_EEE10hipError_tPvRmT3_T4_T5_T6_T7_T9_mT8_P12ihipStream_tbDpT10_ENKUlT_T0_E_clISt17integral_constantIbLb1EES1C_EEDaS17_S18_EUlS17_E_NS1_11comp_targetILNS1_3genE10ELNS1_11target_archE1200ELNS1_3gpuE4ELNS1_3repE0EEENS1_30default_config_static_selectorELNS0_4arch9wavefront6targetE0EEEvT1_, .Lfunc_end332-_ZN7rocprim17ROCPRIM_400000_NS6detail17trampoline_kernelINS0_14default_configENS1_25partition_config_selectorILNS1_17partition_subalgoE8ElNS0_10empty_typeEbEEZZNS1_14partition_implILS5_8ELb0ES3_jPlPS6_PKS6_NS0_5tupleIJS9_S6_EEENSD_IJSA_SA_EEENS0_18inequality_wrapperIZN2at6native12_GLOBAL__N_124unique_dim_cuda_templateIaEESt5tupleIJNSH_6TensorESM_SM_EERKSM_lbbbEUlllE0_EEPmJS6_EEE10hipError_tPvRmT3_T4_T5_T6_T7_T9_mT8_P12ihipStream_tbDpT10_ENKUlT_T0_E_clISt17integral_constantIbLb1EES1C_EEDaS17_S18_EUlS17_E_NS1_11comp_targetILNS1_3genE10ELNS1_11target_archE1200ELNS1_3gpuE4ELNS1_3repE0EEENS1_30default_config_static_selectorELNS0_4arch9wavefront6targetE0EEEvT1_
                                        ; -- End function
	.section	.AMDGPU.csdata,"",@progbits
; Kernel info:
; codeLenInByte = 0
; NumSgprs: 0
; NumVgprs: 0
; ScratchSize: 0
; MemoryBound: 0
; FloatMode: 240
; IeeeMode: 1
; LDSByteSize: 0 bytes/workgroup (compile time only)
; SGPRBlocks: 0
; VGPRBlocks: 0
; NumSGPRsForWavesPerEU: 1
; NumVGPRsForWavesPerEU: 1
; Occupancy: 15
; WaveLimiterHint : 0
; COMPUTE_PGM_RSRC2:SCRATCH_EN: 0
; COMPUTE_PGM_RSRC2:USER_SGPR: 15
; COMPUTE_PGM_RSRC2:TRAP_HANDLER: 0
; COMPUTE_PGM_RSRC2:TGID_X_EN: 1
; COMPUTE_PGM_RSRC2:TGID_Y_EN: 0
; COMPUTE_PGM_RSRC2:TGID_Z_EN: 0
; COMPUTE_PGM_RSRC2:TIDIG_COMP_CNT: 0
	.section	.text._ZN7rocprim17ROCPRIM_400000_NS6detail17trampoline_kernelINS0_14default_configENS1_25partition_config_selectorILNS1_17partition_subalgoE8ElNS0_10empty_typeEbEEZZNS1_14partition_implILS5_8ELb0ES3_jPlPS6_PKS6_NS0_5tupleIJS9_S6_EEENSD_IJSA_SA_EEENS0_18inequality_wrapperIZN2at6native12_GLOBAL__N_124unique_dim_cuda_templateIaEESt5tupleIJNSH_6TensorESM_SM_EERKSM_lbbbEUlllE0_EEPmJS6_EEE10hipError_tPvRmT3_T4_T5_T6_T7_T9_mT8_P12ihipStream_tbDpT10_ENKUlT_T0_E_clISt17integral_constantIbLb1EES1C_EEDaS17_S18_EUlS17_E_NS1_11comp_targetILNS1_3genE9ELNS1_11target_archE1100ELNS1_3gpuE3ELNS1_3repE0EEENS1_30default_config_static_selectorELNS0_4arch9wavefront6targetE0EEEvT1_,"axG",@progbits,_ZN7rocprim17ROCPRIM_400000_NS6detail17trampoline_kernelINS0_14default_configENS1_25partition_config_selectorILNS1_17partition_subalgoE8ElNS0_10empty_typeEbEEZZNS1_14partition_implILS5_8ELb0ES3_jPlPS6_PKS6_NS0_5tupleIJS9_S6_EEENSD_IJSA_SA_EEENS0_18inequality_wrapperIZN2at6native12_GLOBAL__N_124unique_dim_cuda_templateIaEESt5tupleIJNSH_6TensorESM_SM_EERKSM_lbbbEUlllE0_EEPmJS6_EEE10hipError_tPvRmT3_T4_T5_T6_T7_T9_mT8_P12ihipStream_tbDpT10_ENKUlT_T0_E_clISt17integral_constantIbLb1EES1C_EEDaS17_S18_EUlS17_E_NS1_11comp_targetILNS1_3genE9ELNS1_11target_archE1100ELNS1_3gpuE3ELNS1_3repE0EEENS1_30default_config_static_selectorELNS0_4arch9wavefront6targetE0EEEvT1_,comdat
	.globl	_ZN7rocprim17ROCPRIM_400000_NS6detail17trampoline_kernelINS0_14default_configENS1_25partition_config_selectorILNS1_17partition_subalgoE8ElNS0_10empty_typeEbEEZZNS1_14partition_implILS5_8ELb0ES3_jPlPS6_PKS6_NS0_5tupleIJS9_S6_EEENSD_IJSA_SA_EEENS0_18inequality_wrapperIZN2at6native12_GLOBAL__N_124unique_dim_cuda_templateIaEESt5tupleIJNSH_6TensorESM_SM_EERKSM_lbbbEUlllE0_EEPmJS6_EEE10hipError_tPvRmT3_T4_T5_T6_T7_T9_mT8_P12ihipStream_tbDpT10_ENKUlT_T0_E_clISt17integral_constantIbLb1EES1C_EEDaS17_S18_EUlS17_E_NS1_11comp_targetILNS1_3genE9ELNS1_11target_archE1100ELNS1_3gpuE3ELNS1_3repE0EEENS1_30default_config_static_selectorELNS0_4arch9wavefront6targetE0EEEvT1_ ; -- Begin function _ZN7rocprim17ROCPRIM_400000_NS6detail17trampoline_kernelINS0_14default_configENS1_25partition_config_selectorILNS1_17partition_subalgoE8ElNS0_10empty_typeEbEEZZNS1_14partition_implILS5_8ELb0ES3_jPlPS6_PKS6_NS0_5tupleIJS9_S6_EEENSD_IJSA_SA_EEENS0_18inequality_wrapperIZN2at6native12_GLOBAL__N_124unique_dim_cuda_templateIaEESt5tupleIJNSH_6TensorESM_SM_EERKSM_lbbbEUlllE0_EEPmJS6_EEE10hipError_tPvRmT3_T4_T5_T6_T7_T9_mT8_P12ihipStream_tbDpT10_ENKUlT_T0_E_clISt17integral_constantIbLb1EES1C_EEDaS17_S18_EUlS17_E_NS1_11comp_targetILNS1_3genE9ELNS1_11target_archE1100ELNS1_3gpuE3ELNS1_3repE0EEENS1_30default_config_static_selectorELNS0_4arch9wavefront6targetE0EEEvT1_
	.p2align	8
	.type	_ZN7rocprim17ROCPRIM_400000_NS6detail17trampoline_kernelINS0_14default_configENS1_25partition_config_selectorILNS1_17partition_subalgoE8ElNS0_10empty_typeEbEEZZNS1_14partition_implILS5_8ELb0ES3_jPlPS6_PKS6_NS0_5tupleIJS9_S6_EEENSD_IJSA_SA_EEENS0_18inequality_wrapperIZN2at6native12_GLOBAL__N_124unique_dim_cuda_templateIaEESt5tupleIJNSH_6TensorESM_SM_EERKSM_lbbbEUlllE0_EEPmJS6_EEE10hipError_tPvRmT3_T4_T5_T6_T7_T9_mT8_P12ihipStream_tbDpT10_ENKUlT_T0_E_clISt17integral_constantIbLb1EES1C_EEDaS17_S18_EUlS17_E_NS1_11comp_targetILNS1_3genE9ELNS1_11target_archE1100ELNS1_3gpuE3ELNS1_3repE0EEENS1_30default_config_static_selectorELNS0_4arch9wavefront6targetE0EEEvT1_,@function
_ZN7rocprim17ROCPRIM_400000_NS6detail17trampoline_kernelINS0_14default_configENS1_25partition_config_selectorILNS1_17partition_subalgoE8ElNS0_10empty_typeEbEEZZNS1_14partition_implILS5_8ELb0ES3_jPlPS6_PKS6_NS0_5tupleIJS9_S6_EEENSD_IJSA_SA_EEENS0_18inequality_wrapperIZN2at6native12_GLOBAL__N_124unique_dim_cuda_templateIaEESt5tupleIJNSH_6TensorESM_SM_EERKSM_lbbbEUlllE0_EEPmJS6_EEE10hipError_tPvRmT3_T4_T5_T6_T7_T9_mT8_P12ihipStream_tbDpT10_ENKUlT_T0_E_clISt17integral_constantIbLb1EES1C_EEDaS17_S18_EUlS17_E_NS1_11comp_targetILNS1_3genE9ELNS1_11target_archE1100ELNS1_3gpuE3ELNS1_3repE0EEENS1_30default_config_static_selectorELNS0_4arch9wavefront6targetE0EEEvT1_: ; @_ZN7rocprim17ROCPRIM_400000_NS6detail17trampoline_kernelINS0_14default_configENS1_25partition_config_selectorILNS1_17partition_subalgoE8ElNS0_10empty_typeEbEEZZNS1_14partition_implILS5_8ELb0ES3_jPlPS6_PKS6_NS0_5tupleIJS9_S6_EEENSD_IJSA_SA_EEENS0_18inequality_wrapperIZN2at6native12_GLOBAL__N_124unique_dim_cuda_templateIaEESt5tupleIJNSH_6TensorESM_SM_EERKSM_lbbbEUlllE0_EEPmJS6_EEE10hipError_tPvRmT3_T4_T5_T6_T7_T9_mT8_P12ihipStream_tbDpT10_ENKUlT_T0_E_clISt17integral_constantIbLb1EES1C_EEDaS17_S18_EUlS17_E_NS1_11comp_targetILNS1_3genE9ELNS1_11target_archE1100ELNS1_3gpuE3ELNS1_3repE0EEENS1_30default_config_static_selectorELNS0_4arch9wavefront6targetE0EEEvT1_
; %bb.0:
	s_clause 0x2
	s_load_b64 s[20:21], s[0:1], 0x28
	s_load_b256 s[8:15], s[0:1], 0x40
	s_load_b128 s[16:19], s[0:1], 0x60
	v_cmp_ne_u32_e64 s3, 0, v0
	v_cmp_eq_u32_e64 s2, 0, v0
	s_delay_alu instid0(VALU_DEP_1)
	s_and_saveexec_b32 s4, s2
	s_cbranch_execz .LBB333_4
; %bb.1:
	s_mov_b32 s6, exec_lo
	s_mov_b32 s5, exec_lo
	v_mbcnt_lo_u32_b32 v1, s6, 0
                                        ; implicit-def: $vgpr2
	s_delay_alu instid0(VALU_DEP_1)
	v_cmpx_eq_u32_e32 0, v1
	s_cbranch_execz .LBB333_3
; %bb.2:
	s_load_b64 s[22:23], s[0:1], 0x78
	s_bcnt1_i32_b32 s6, s6
	s_delay_alu instid0(SALU_CYCLE_1)
	v_dual_mov_b32 v2, 0 :: v_dual_mov_b32 v3, s6
	s_waitcnt lgkmcnt(0)
	global_atomic_add_u32 v2, v2, v3, s[22:23] glc
.LBB333_3:
	s_or_b32 exec_lo, exec_lo, s5
	s_waitcnt vmcnt(0)
	v_readfirstlane_b32 s5, v2
	s_delay_alu instid0(VALU_DEP_1)
	v_dual_mov_b32 v2, 0 :: v_dual_add_nc_u32 v1, s5, v1
	ds_store_b32 v2, v1
.LBB333_4:
	s_or_b32 exec_lo, exec_lo, s4
	v_dual_mov_b32 v2, 0 :: v_dual_lshlrev_b32 v39, 3, v0
	s_clause 0x1
	s_load_b128 s[4:7], s[0:1], 0x8
	s_load_b32 s0, s[0:1], 0x70
	s_waitcnt lgkmcnt(0)
	s_barrier
	buffer_gl0_inv
	ds_load_b32 v1, v2
	s_waitcnt lgkmcnt(0)
	s_barrier
	buffer_gl0_inv
	global_load_b64 v[3:4], v2, s[10:11]
	v_lshrrev_b32_e32 v19, 2, v0
	v_or_b32_e32 v26, 0x200, v0
	v_or_b32_e32 v25, 0x400, v0
	;; [unrolled: 1-line block ×7, first 2 shown]
	s_lshl_b64 s[10:11], s[6:7], 3
	s_delay_alu instid0(SALU_CYCLE_1)
	s_add_u32 s1, s4, s10
	s_addc_u32 s10, s5, s11
	s_add_i32 s11, s0, -1
	v_readfirstlane_b32 s23, v1
	s_lshl_b32 s4, s11, 12
	v_lshlrev_b32_e32 v1, 12, v1
	s_lshl_b32 s5, s0, 12
	s_add_i32 s0, s6, s4
	s_add_u32 s4, s6, s5
	s_addc_u32 s5, s7, 0
	v_lshlrev_b64 v[1:2], 3, v[1:2]
	v_cmp_ge_u64_e64 s4, s[4:5], s[12:13]
	s_cmp_eq_u32 s23, s11
	s_cselect_b32 s13, -1, 0
	s_delay_alu instid0(VALU_DEP_2) | instskip(NEXT) | instid1(VALU_DEP_2)
	v_add_co_u32 v17, vcc_lo, s1, v1
	s_and_b32 s24, s4, s13
	v_add_co_ci_u32_e32 v18, vcc_lo, s10, v2, vcc_lo
	s_xor_b32 s22, s24, -1
	s_mov_b32 s1, -1
	s_and_b32 vcc_lo, exec_lo, s22
	s_waitcnt vmcnt(0)
	v_readfirstlane_b32 s10, v3
	v_readfirstlane_b32 s11, v4
	s_cbranch_vccz .LBB333_6
; %bb.5:
	v_add_co_u32 v9, vcc_lo, v17, v39
	v_add_co_ci_u32_e32 v10, vcc_lo, 0, v18, vcc_lo
	v_readfirstlane_b32 s4, v17
	s_delay_alu instid0(VALU_DEP_3) | instskip(NEXT) | instid1(VALU_DEP_3)
	v_add_co_u32 v3, vcc_lo, v9, 0x2000
	v_add_co_ci_u32_e32 v4, vcc_lo, 0, v10, vcc_lo
	v_add_co_u32 v5, vcc_lo, v9, 0x4000
	v_add_co_ci_u32_e32 v6, vcc_lo, 0, v10, vcc_lo
	v_add_co_u32 v7, vcc_lo, v9, 0x6000
	v_readfirstlane_b32 s5, v18
	v_add_co_ci_u32_e32 v8, vcc_lo, 0, v10, vcc_lo
	v_add_co_u32 v9, vcc_lo, 0x7000, v9
	v_add_co_ci_u32_e32 v10, vcc_lo, 0, v10, vcc_lo
	s_clause 0x7
	global_load_b64 v[1:2], v39, s[4:5]
	global_load_b64 v[11:12], v[3:4], off offset:-4096
	global_load_b64 v[3:4], v[3:4], off
	global_load_b64 v[13:14], v[5:6], off offset:-4096
	global_load_b64 v[5:6], v[5:6], off
	;; [unrolled: 2-line block ×3, first 2 shown]
	global_load_b64 v[9:10], v[9:10], off
	v_lshrrev_b32_e32 v28, 2, v26
	v_lshrrev_b32_e32 v29, 2, v25
	;; [unrolled: 1-line block ×4, first 2 shown]
	v_and_b32_e32 v27, 0x78, v19
	v_lshrrev_b32_e32 v32, 2, v22
	v_lshrrev_b32_e32 v33, 2, v21
	;; [unrolled: 1-line block ×3, first 2 shown]
	v_and_b32_e32 v28, 0xf8, v28
	v_and_b32_e32 v29, 0x178, v29
	;; [unrolled: 1-line block ×4, first 2 shown]
	v_add_nc_u32_e32 v27, v27, v39
	v_and_b32_e32 v32, 0x2f8, v32
	v_and_b32_e32 v33, 0x378, v33
	;; [unrolled: 1-line block ×3, first 2 shown]
	v_add_nc_u32_e32 v28, v28, v39
	v_add_nc_u32_e32 v29, v29, v39
	;; [unrolled: 1-line block ×4, first 2 shown]
	s_mov_b32 s1, 0
	v_add_nc_u32_e32 v32, v32, v39
	v_add_nc_u32_e32 v33, v33, v39
	v_add_nc_u32_e32 v34, v34, v39
	s_waitcnt vmcnt(7)
	ds_store_b64 v27, v[1:2]
	s_waitcnt vmcnt(6)
	ds_store_b64 v28, v[11:12] offset:4096
	s_waitcnt vmcnt(5)
	ds_store_b64 v29, v[3:4] offset:8192
	;; [unrolled: 2-line block ×7, first 2 shown]
	s_waitcnt lgkmcnt(0)
	s_barrier
.LBB333_6:
	s_and_not1_b32 vcc_lo, exec_lo, s1
	s_sub_i32 s12, s12, s0
	s_cbranch_vccnz .LBB333_17
; %bb.7:
	s_mov_b32 s0, exec_lo
                                        ; implicit-def: $vgpr1_vgpr2_vgpr3_vgpr4_vgpr5_vgpr6_vgpr7_vgpr8_vgpr9_vgpr10_vgpr11_vgpr12_vgpr13_vgpr14_vgpr15_vgpr16
	v_cmpx_gt_u32_e64 s12, v0
	s_cbranch_execnz .LBB333_27
; %bb.8:
	s_or_b32 exec_lo, exec_lo, s0
	s_delay_alu instid0(SALU_CYCLE_1)
	s_mov_b32 s0, exec_lo
	v_cmpx_gt_u32_e64 s12, v26
	s_cbranch_execnz .LBB333_28
.LBB333_9:
	s_or_b32 exec_lo, exec_lo, s0
	s_delay_alu instid0(SALU_CYCLE_1)
	s_mov_b32 s0, exec_lo
	v_cmpx_gt_u32_e64 s12, v25
	s_cbranch_execnz .LBB333_29
.LBB333_10:
	s_or_b32 exec_lo, exec_lo, s0
	s_delay_alu instid0(SALU_CYCLE_1)
	s_mov_b32 s0, exec_lo
	v_cmpx_gt_u32_e64 s12, v24
	s_cbranch_execnz .LBB333_30
.LBB333_11:
	s_or_b32 exec_lo, exec_lo, s0
	s_delay_alu instid0(SALU_CYCLE_1)
	s_mov_b32 s0, exec_lo
	v_cmpx_gt_u32_e64 s12, v23
	s_cbranch_execnz .LBB333_31
.LBB333_12:
	s_or_b32 exec_lo, exec_lo, s0
	s_delay_alu instid0(SALU_CYCLE_1)
	s_mov_b32 s0, exec_lo
	v_cmpx_gt_u32_e64 s12, v22
	s_cbranch_execnz .LBB333_32
.LBB333_13:
	s_or_b32 exec_lo, exec_lo, s0
	s_delay_alu instid0(SALU_CYCLE_1)
	s_mov_b32 s0, exec_lo
	v_cmpx_gt_u32_e64 s12, v21
	s_cbranch_execnz .LBB333_33
.LBB333_14:
	s_or_b32 exec_lo, exec_lo, s0
	s_delay_alu instid0(SALU_CYCLE_1)
	s_mov_b32 s0, exec_lo
	v_cmpx_gt_u32_e64 s12, v20
	s_cbranch_execz .LBB333_16
.LBB333_15:
	v_lshlrev_b32_e32 v15, 3, v20
	v_readfirstlane_b32 s4, v17
	v_readfirstlane_b32 s5, v18
	global_load_b64 v[15:16], v15, s[4:5]
.LBB333_16:
	s_or_b32 exec_lo, exec_lo, s0
	v_lshrrev_b32_e32 v26, 2, v26
	v_lshrrev_b32_e32 v25, 2, v25
	;; [unrolled: 1-line block ×4, first 2 shown]
	v_and_b32_e32 v27, 0x78, v19
	v_lshrrev_b32_e32 v22, 2, v22
	v_lshrrev_b32_e32 v21, 2, v21
	;; [unrolled: 1-line block ×3, first 2 shown]
	v_and_b32_e32 v26, 0xf8, v26
	v_and_b32_e32 v25, 0x1f8, v25
	;; [unrolled: 1-line block ×4, first 2 shown]
	v_add_nc_u32_e32 v27, v27, v39
	v_and_b32_e32 v22, 0x3f8, v22
	v_and_b32_e32 v21, 0x3f8, v21
	;; [unrolled: 1-line block ×3, first 2 shown]
	v_add_nc_u32_e32 v26, v26, v39
	v_add_nc_u32_e32 v25, v25, v39
	;; [unrolled: 1-line block ×7, first 2 shown]
	s_waitcnt vmcnt(0)
	ds_store_b64 v27, v[1:2]
	ds_store_b64 v26, v[3:4] offset:4096
	ds_store_b64 v25, v[5:6] offset:8192
	;; [unrolled: 1-line block ×7, first 2 shown]
	s_waitcnt lgkmcnt(0)
	s_barrier
.LBB333_17:
	v_add_lshl_u32 v1, v19, v39, 3
	buffer_gl0_inv
	s_cmp_lg_u32 s23, 0
	ds_load_2addr_b64 v[13:16], v1 offset1:1
	ds_load_2addr_b64 v[9:12], v1 offset0:2 offset1:3
	ds_load_2addr_b64 v[5:8], v1 offset0:4 offset1:5
	ds_load_2addr_b64 v[1:4], v1 offset0:6 offset1:7
	s_cselect_b32 s25, -1, 0
	s_cmp_lg_u64 s[6:7], 0
	v_cmp_gt_i64_e64 s7, s[14:15], 0
	s_cselect_b32 s0, -1, 0
	s_mov_b32 s6, 0
	s_or_b32 s0, s0, s25
	s_waitcnt lgkmcnt(0)
	s_and_b32 vcc_lo, exec_lo, s0
	s_barrier
	buffer_gl0_inv
	s_cbranch_vccz .LBB333_26
; %bb.18:
	global_load_b64 v[17:18], v[17:18], off offset:-8
	v_cndmask_b32_e64 v26, 0, 1, s7
	s_and_b32 vcc_lo, exec_lo, s22
	ds_store_b64 v39, v[3:4]
	v_cmp_ne_u32_e64 s0, 1, v26
	s_cbranch_vccz .LBB333_34
; %bb.19:
	v_mul_lo_u32 v21, v2, s14
	v_mul_lo_u32 v22, v1, s15
	v_mad_u64_u32 v[19:20], null, v1, s14, 0
	s_and_b32 vcc_lo, exec_lo, s0
	s_mov_b32 s26, 0
	s_delay_alu instid0(VALU_DEP_1)
	v_add3_u32 v27, v20, v22, v21
	s_cbranch_vccnz .LBB333_37
; %bb.20:
	v_mad_u64_u32 v[20:21], null, v3, s14, s[16:17]
	v_mul_lo_u32 v24, v3, s15
	v_mul_lo_u32 v25, v4, s14
	v_add_co_u32 v22, vcc_lo, s16, v19
	v_add_co_ci_u32_e32 v23, vcc_lo, s17, v27, vcc_lo
	s_mov_b32 s26, -1
	s_mov_b32 s27, exec_lo
	s_delay_alu instid0(VALU_DEP_3)
	v_add3_u32 v21, v25, v21, v24
	s_clause 0x1
	global_load_u8 v24, v[22:23], off
	global_load_u8 v25, v[20:21], off
	s_waitcnt vmcnt(0)
	v_cmpx_eq_u16_e64 v24, v25
	s_cbranch_execz .LBB333_36
; %bb.21:
	s_mov_b64 s[0:1], 1
	s_mov_b32 s26, 0
                                        ; implicit-def: $sgpr28
	s_set_inst_prefetch_distance 0x1
	s_branch .LBB333_24
	.p2align	6
.LBB333_22:                             ;   in Loop: Header=BB333_24 Depth=1
	v_add_co_u32 v24, vcc_lo, v22, s0
	v_add_co_ci_u32_e32 v25, vcc_lo, s1, v23, vcc_lo
	v_add_co_u32 v28, vcc_lo, v20, s0
	v_add_co_ci_u32_e32 v29, vcc_lo, s1, v21, vcc_lo
	s_add_u32 s4, s0, 1
	s_clause 0x1
	global_load_u8 v24, v[24:25], off
	global_load_u8 v25, v[28:29], off
	s_addc_u32 s5, s1, 0
	s_and_not1_b32 s28, s28, exec_lo
	s_waitcnt vmcnt(0)
	v_cmp_ne_u16_e32 vcc_lo, v24, v25
	s_and_b32 s29, vcc_lo, exec_lo
	s_delay_alu instid0(SALU_CYCLE_1)
	s_or_b32 s28, s28, s29
.LBB333_23:                             ;   in Loop: Header=BB333_24 Depth=1
	v_dual_mov_b32 v25, s1 :: v_dual_mov_b32 v24, s0
	s_and_b32 s29, exec_lo, s28
	s_mov_b64 s[0:1], s[4:5]
	s_or_b32 s26, s29, s26
	s_delay_alu instid0(SALU_CYCLE_1)
	s_and_not1_b32 exec_lo, exec_lo, s26
	s_cbranch_execz .LBB333_35
.LBB333_24:                             ; =>This Inner Loop Header: Depth=1
	s_or_b32 s28, s28, exec_lo
	s_cmp_eq_u64 s[14:15], s[0:1]
	s_cbranch_scc0 .LBB333_22
; %bb.25:                               ;   in Loop: Header=BB333_24 Depth=1
	s_mov_b64 s[0:1], s[14:15]
                                        ; implicit-def: $sgpr4_sgpr5
	s_branch .LBB333_23
.LBB333_26:
                                        ; implicit-def: $sgpr0
                                        ; implicit-def: $vgpr20
	s_branch .LBB333_195
.LBB333_27:
	v_readfirstlane_b32 s4, v17
	v_readfirstlane_b32 s5, v18
	global_load_b64 v[1:2], v39, s[4:5]
	s_or_b32 exec_lo, exec_lo, s0
	s_delay_alu instid0(SALU_CYCLE_1)
	s_mov_b32 s0, exec_lo
	v_cmpx_gt_u32_e64 s12, v26
	s_cbranch_execz .LBB333_9
.LBB333_28:
	v_lshlrev_b32_e32 v3, 3, v26
	v_readfirstlane_b32 s4, v17
	v_readfirstlane_b32 s5, v18
	global_load_b64 v[3:4], v3, s[4:5]
	s_or_b32 exec_lo, exec_lo, s0
	s_delay_alu instid0(SALU_CYCLE_1)
	s_mov_b32 s0, exec_lo
	v_cmpx_gt_u32_e64 s12, v25
	s_cbranch_execz .LBB333_10
.LBB333_29:
	v_lshlrev_b32_e32 v5, 3, v25
	v_readfirstlane_b32 s4, v17
	v_readfirstlane_b32 s5, v18
	global_load_b64 v[5:6], v5, s[4:5]
	s_or_b32 exec_lo, exec_lo, s0
	s_delay_alu instid0(SALU_CYCLE_1)
	s_mov_b32 s0, exec_lo
	v_cmpx_gt_u32_e64 s12, v24
	s_cbranch_execz .LBB333_11
.LBB333_30:
	v_lshlrev_b32_e32 v7, 3, v24
	v_readfirstlane_b32 s4, v17
	v_readfirstlane_b32 s5, v18
	global_load_b64 v[7:8], v7, s[4:5]
	s_or_b32 exec_lo, exec_lo, s0
	s_delay_alu instid0(SALU_CYCLE_1)
	s_mov_b32 s0, exec_lo
	v_cmpx_gt_u32_e64 s12, v23
	s_cbranch_execz .LBB333_12
.LBB333_31:
	v_lshlrev_b32_e32 v9, 3, v23
	v_readfirstlane_b32 s4, v17
	v_readfirstlane_b32 s5, v18
	global_load_b64 v[9:10], v9, s[4:5]
	s_or_b32 exec_lo, exec_lo, s0
	s_delay_alu instid0(SALU_CYCLE_1)
	s_mov_b32 s0, exec_lo
	v_cmpx_gt_u32_e64 s12, v22
	s_cbranch_execz .LBB333_13
.LBB333_32:
	v_lshlrev_b32_e32 v11, 3, v22
	v_readfirstlane_b32 s4, v17
	v_readfirstlane_b32 s5, v18
	global_load_b64 v[11:12], v11, s[4:5]
	s_or_b32 exec_lo, exec_lo, s0
	s_delay_alu instid0(SALU_CYCLE_1)
	s_mov_b32 s0, exec_lo
	v_cmpx_gt_u32_e64 s12, v21
	s_cbranch_execz .LBB333_14
.LBB333_33:
	v_lshlrev_b32_e32 v13, 3, v21
	v_readfirstlane_b32 s4, v17
	v_readfirstlane_b32 s5, v18
	global_load_b64 v[13:14], v13, s[4:5]
	s_or_b32 exec_lo, exec_lo, s0
	s_delay_alu instid0(SALU_CYCLE_1)
	s_mov_b32 s0, exec_lo
	v_cmpx_gt_u32_e64 s12, v20
	s_cbranch_execnz .LBB333_15
	s_branch .LBB333_16
.LBB333_34:
                                        ; implicit-def: $sgpr0
                                        ; implicit-def: $vgpr20
	s_cbranch_execnz .LBB333_103
	s_branch .LBB333_194
.LBB333_35:
	s_set_inst_prefetch_distance 0x2
	s_or_b32 exec_lo, exec_lo, s26
	v_cmp_gt_i64_e32 vcc_lo, s[14:15], v[24:25]
	s_or_not1_b32 s26, vcc_lo, exec_lo
.LBB333_36:
	s_or_b32 exec_lo, exec_lo, s27
.LBB333_37:
	v_mul_lo_u32 v20, v8, s14
	v_mul_lo_u32 v23, v7, s15
	v_mad_u64_u32 v[21:22], null, v7, s14, 0
	s_and_not1_b32 vcc_lo, exec_lo, s7
	s_delay_alu instid0(VALU_DEP_1)
	v_add3_u32 v28, v22, v23, v20
	s_cbranch_vccnz .LBB333_46
; %bb.38:
	s_delay_alu instid0(VALU_DEP_2) | instskip(NEXT) | instid1(VALU_DEP_2)
	v_add_co_u32 v22, vcc_lo, s16, v21
	v_add_co_ci_u32_e32 v23, vcc_lo, s17, v28, vcc_lo
	v_add_co_u32 v19, vcc_lo, s16, v19
	v_add_co_ci_u32_e32 v20, vcc_lo, s17, v27, vcc_lo
	s_mov_b32 s6, -1
	s_clause 0x1
	global_load_u8 v24, v[22:23], off
	global_load_u8 v25, v[19:20], off
	s_mov_b32 s27, exec_lo
	s_waitcnt vmcnt(0)
	v_cmpx_eq_u16_e64 v24, v25
	s_cbranch_execz .LBB333_45
; %bb.39:
	s_mov_b64 s[0:1], 1
	s_mov_b32 s6, 0
                                        ; implicit-def: $sgpr28
	s_set_inst_prefetch_distance 0x1
	s_branch .LBB333_42
	.p2align	6
.LBB333_40:                             ;   in Loop: Header=BB333_42 Depth=1
	v_add_co_u32 v24, vcc_lo, v22, s0
	v_add_co_ci_u32_e32 v25, vcc_lo, s1, v23, vcc_lo
	v_add_co_u32 v29, vcc_lo, v19, s0
	v_add_co_ci_u32_e32 v30, vcc_lo, s1, v20, vcc_lo
	s_add_u32 s4, s0, 1
	s_clause 0x1
	global_load_u8 v24, v[24:25], off
	global_load_u8 v25, v[29:30], off
	s_addc_u32 s5, s1, 0
	s_and_not1_b32 s28, s28, exec_lo
	s_waitcnt vmcnt(0)
	v_cmp_ne_u16_e32 vcc_lo, v24, v25
	s_and_b32 s29, vcc_lo, exec_lo
	s_delay_alu instid0(SALU_CYCLE_1)
	s_or_b32 s28, s28, s29
.LBB333_41:                             ;   in Loop: Header=BB333_42 Depth=1
	v_dual_mov_b32 v25, s1 :: v_dual_mov_b32 v24, s0
	s_and_b32 s29, exec_lo, s28
	s_mov_b64 s[0:1], s[4:5]
	s_or_b32 s6, s29, s6
	s_delay_alu instid0(SALU_CYCLE_1)
	s_and_not1_b32 exec_lo, exec_lo, s6
	s_cbranch_execz .LBB333_44
.LBB333_42:                             ; =>This Inner Loop Header: Depth=1
	s_or_b32 s28, s28, exec_lo
	s_cmp_eq_u64 s[14:15], s[0:1]
	s_cbranch_scc0 .LBB333_40
; %bb.43:                               ;   in Loop: Header=BB333_42 Depth=1
	s_mov_b64 s[0:1], s[14:15]
                                        ; implicit-def: $sgpr4_sgpr5
	s_branch .LBB333_41
.LBB333_44:
	s_set_inst_prefetch_distance 0x2
	s_or_b32 exec_lo, exec_lo, s6
	v_cmp_gt_i64_e32 vcc_lo, s[14:15], v[24:25]
	s_or_not1_b32 s6, vcc_lo, exec_lo
.LBB333_45:
	s_or_b32 exec_lo, exec_lo, s27
.LBB333_46:
	v_mul_lo_u32 v22, v6, s14
	v_mul_lo_u32 v23, v5, s15
	v_mad_u64_u32 v[19:20], null, v5, s14, 0
	s_mov_b32 s27, 0
	s_and_not1_b32 vcc_lo, exec_lo, s7
	s_mov_b32 s28, 0
	s_delay_alu instid0(VALU_DEP_1)
	v_add3_u32 v29, v20, v23, v22
	s_cbranch_vccnz .LBB333_55
; %bb.47:
	s_delay_alu instid0(VALU_DEP_2) | instskip(NEXT) | instid1(VALU_DEP_2)
	v_add_co_u32 v22, vcc_lo, s16, v19
	v_add_co_ci_u32_e32 v23, vcc_lo, s17, v29, vcc_lo
	v_add_co_u32 v20, vcc_lo, s16, v21
	v_add_co_ci_u32_e32 v21, vcc_lo, s17, v28, vcc_lo
	s_mov_b32 s28, -1
	s_clause 0x1
	global_load_u8 v24, v[22:23], off
	global_load_u8 v25, v[20:21], off
	s_mov_b32 s29, exec_lo
	s_waitcnt vmcnt(0)
	v_cmpx_eq_u16_e64 v24, v25
	s_cbranch_execz .LBB333_54
; %bb.48:
	s_mov_b64 s[0:1], 1
	s_mov_b32 s28, 0
                                        ; implicit-def: $sgpr30
	s_set_inst_prefetch_distance 0x1
	s_branch .LBB333_51
	.p2align	6
.LBB333_49:                             ;   in Loop: Header=BB333_51 Depth=1
	v_add_co_u32 v24, vcc_lo, v22, s0
	v_add_co_ci_u32_e32 v25, vcc_lo, s1, v23, vcc_lo
	v_add_co_u32 v27, vcc_lo, v20, s0
	v_add_co_ci_u32_e32 v28, vcc_lo, s1, v21, vcc_lo
	s_add_u32 s4, s0, 1
	s_clause 0x1
	global_load_u8 v24, v[24:25], off
	global_load_u8 v25, v[27:28], off
	s_addc_u32 s5, s1, 0
	s_and_not1_b32 s30, s30, exec_lo
	s_waitcnt vmcnt(0)
	v_cmp_ne_u16_e32 vcc_lo, v24, v25
	s_and_b32 s31, vcc_lo, exec_lo
	s_delay_alu instid0(SALU_CYCLE_1)
	s_or_b32 s30, s30, s31
.LBB333_50:                             ;   in Loop: Header=BB333_51 Depth=1
	v_dual_mov_b32 v25, s1 :: v_dual_mov_b32 v24, s0
	s_and_b32 s31, exec_lo, s30
	s_mov_b64 s[0:1], s[4:5]
	s_or_b32 s28, s31, s28
	s_delay_alu instid0(SALU_CYCLE_1)
	s_and_not1_b32 exec_lo, exec_lo, s28
	s_cbranch_execz .LBB333_53
.LBB333_51:                             ; =>This Inner Loop Header: Depth=1
	s_or_b32 s30, s30, exec_lo
	s_cmp_eq_u64 s[14:15], s[0:1]
	s_cbranch_scc0 .LBB333_49
; %bb.52:                               ;   in Loop: Header=BB333_51 Depth=1
	s_mov_b64 s[0:1], s[14:15]
                                        ; implicit-def: $sgpr4_sgpr5
	s_branch .LBB333_50
.LBB333_53:
	s_set_inst_prefetch_distance 0x2
	s_or_b32 exec_lo, exec_lo, s28
	v_cmp_gt_i64_e32 vcc_lo, s[14:15], v[24:25]
	s_or_not1_b32 s28, vcc_lo, exec_lo
.LBB333_54:
	s_or_b32 exec_lo, exec_lo, s29
.LBB333_55:
	v_mul_lo_u32 v20, v12, s14
	v_mul_lo_u32 v23, v11, s15
	v_mad_u64_u32 v[21:22], null, v11, s14, 0
	s_and_not1_b32 vcc_lo, exec_lo, s7
	s_delay_alu instid0(VALU_DEP_1)
	v_add3_u32 v27, v22, v23, v20
	s_cbranch_vccnz .LBB333_64
; %bb.56:
	s_delay_alu instid0(VALU_DEP_2) | instskip(NEXT) | instid1(VALU_DEP_2)
	v_add_co_u32 v22, vcc_lo, s16, v21
	v_add_co_ci_u32_e32 v23, vcc_lo, s17, v27, vcc_lo
	v_add_co_u32 v19, vcc_lo, s16, v19
	v_add_co_ci_u32_e32 v20, vcc_lo, s17, v29, vcc_lo
	s_mov_b32 s27, -1
	s_clause 0x1
	global_load_u8 v24, v[22:23], off
	global_load_u8 v25, v[19:20], off
	s_mov_b32 s29, exec_lo
	s_waitcnt vmcnt(0)
	v_cmpx_eq_u16_e64 v24, v25
	s_cbranch_execz .LBB333_63
; %bb.57:
	s_mov_b64 s[0:1], 1
	s_mov_b32 s27, 0
                                        ; implicit-def: $sgpr30
	s_set_inst_prefetch_distance 0x1
	s_branch .LBB333_60
	.p2align	6
.LBB333_58:                             ;   in Loop: Header=BB333_60 Depth=1
	v_add_co_u32 v24, vcc_lo, v22, s0
	v_add_co_ci_u32_e32 v25, vcc_lo, s1, v23, vcc_lo
	v_add_co_u32 v28, vcc_lo, v19, s0
	v_add_co_ci_u32_e32 v29, vcc_lo, s1, v20, vcc_lo
	s_add_u32 s4, s0, 1
	s_clause 0x1
	global_load_u8 v24, v[24:25], off
	global_load_u8 v25, v[28:29], off
	s_addc_u32 s5, s1, 0
	s_and_not1_b32 s30, s30, exec_lo
	s_waitcnt vmcnt(0)
	v_cmp_ne_u16_e32 vcc_lo, v24, v25
	s_and_b32 s31, vcc_lo, exec_lo
	s_delay_alu instid0(SALU_CYCLE_1)
	s_or_b32 s30, s30, s31
.LBB333_59:                             ;   in Loop: Header=BB333_60 Depth=1
	v_dual_mov_b32 v25, s1 :: v_dual_mov_b32 v24, s0
	s_and_b32 s31, exec_lo, s30
	s_mov_b64 s[0:1], s[4:5]
	s_or_b32 s27, s31, s27
	s_delay_alu instid0(SALU_CYCLE_1)
	s_and_not1_b32 exec_lo, exec_lo, s27
	s_cbranch_execz .LBB333_62
.LBB333_60:                             ; =>This Inner Loop Header: Depth=1
	s_or_b32 s30, s30, exec_lo
	s_cmp_eq_u64 s[14:15], s[0:1]
	s_cbranch_scc0 .LBB333_58
; %bb.61:                               ;   in Loop: Header=BB333_60 Depth=1
	s_mov_b64 s[0:1], s[14:15]
                                        ; implicit-def: $sgpr4_sgpr5
	s_branch .LBB333_59
.LBB333_62:
	s_set_inst_prefetch_distance 0x2
	s_or_b32 exec_lo, exec_lo, s27
	v_cmp_gt_i64_e32 vcc_lo, s[14:15], v[24:25]
	s_or_not1_b32 s27, vcc_lo, exec_lo
.LBB333_63:
	s_or_b32 exec_lo, exec_lo, s29
.LBB333_64:
	v_mul_lo_u32 v22, v10, s14
	v_mul_lo_u32 v23, v9, s15
	v_mad_u64_u32 v[19:20], null, v9, s14, 0
	s_mov_b32 s29, 0
	s_and_not1_b32 vcc_lo, exec_lo, s7
	s_mov_b32 s30, 0
	s_delay_alu instid0(VALU_DEP_1)
	v_add3_u32 v29, v20, v23, v22
	s_cbranch_vccnz .LBB333_73
; %bb.65:
	s_delay_alu instid0(VALU_DEP_2) | instskip(NEXT) | instid1(VALU_DEP_2)
	v_add_co_u32 v22, vcc_lo, s16, v19
	v_add_co_ci_u32_e32 v23, vcc_lo, s17, v29, vcc_lo
	v_add_co_u32 v20, vcc_lo, s16, v21
	v_add_co_ci_u32_e32 v21, vcc_lo, s17, v27, vcc_lo
	s_mov_b32 s30, -1
	s_clause 0x1
	global_load_u8 v24, v[22:23], off
	global_load_u8 v25, v[20:21], off
	s_mov_b32 s31, exec_lo
	s_waitcnt vmcnt(0)
	v_cmpx_eq_u16_e64 v24, v25
	s_cbranch_execz .LBB333_72
; %bb.66:
	s_mov_b64 s[0:1], 1
	s_mov_b32 s30, 0
                                        ; implicit-def: $sgpr33
	s_set_inst_prefetch_distance 0x1
	s_branch .LBB333_69
	.p2align	6
.LBB333_67:                             ;   in Loop: Header=BB333_69 Depth=1
	v_add_co_u32 v24, vcc_lo, v22, s0
	v_add_co_ci_u32_e32 v25, vcc_lo, s1, v23, vcc_lo
	v_add_co_u32 v27, vcc_lo, v20, s0
	v_add_co_ci_u32_e32 v28, vcc_lo, s1, v21, vcc_lo
	s_add_u32 s4, s0, 1
	s_clause 0x1
	global_load_u8 v24, v[24:25], off
	global_load_u8 v25, v[27:28], off
	s_addc_u32 s5, s1, 0
	s_and_not1_b32 s33, s33, exec_lo
	s_waitcnt vmcnt(0)
	v_cmp_ne_u16_e32 vcc_lo, v24, v25
	s_and_b32 s34, vcc_lo, exec_lo
	s_delay_alu instid0(SALU_CYCLE_1)
	s_or_b32 s33, s33, s34
.LBB333_68:                             ;   in Loop: Header=BB333_69 Depth=1
	v_dual_mov_b32 v25, s1 :: v_dual_mov_b32 v24, s0
	s_and_b32 s34, exec_lo, s33
	s_mov_b64 s[0:1], s[4:5]
	s_or_b32 s30, s34, s30
	s_delay_alu instid0(SALU_CYCLE_1)
	s_and_not1_b32 exec_lo, exec_lo, s30
	s_cbranch_execz .LBB333_71
.LBB333_69:                             ; =>This Inner Loop Header: Depth=1
	s_or_b32 s33, s33, exec_lo
	s_cmp_eq_u64 s[14:15], s[0:1]
	s_cbranch_scc0 .LBB333_67
; %bb.70:                               ;   in Loop: Header=BB333_69 Depth=1
	s_mov_b64 s[0:1], s[14:15]
                                        ; implicit-def: $sgpr4_sgpr5
	s_branch .LBB333_68
.LBB333_71:
	s_set_inst_prefetch_distance 0x2
	s_or_b32 exec_lo, exec_lo, s30
	v_cmp_gt_i64_e32 vcc_lo, s[14:15], v[24:25]
	s_or_not1_b32 s30, vcc_lo, exec_lo
.LBB333_72:
	s_or_b32 exec_lo, exec_lo, s31
.LBB333_73:
	v_mul_lo_u32 v20, v16, s14
	v_mul_lo_u32 v23, v15, s15
	v_mad_u64_u32 v[21:22], null, v15, s14, 0
	s_and_not1_b32 vcc_lo, exec_lo, s7
	s_delay_alu instid0(VALU_DEP_1)
	v_add3_u32 v28, v22, v23, v20
	s_cbranch_vccnz .LBB333_82
; %bb.74:
	s_delay_alu instid0(VALU_DEP_2) | instskip(NEXT) | instid1(VALU_DEP_2)
	v_add_co_u32 v22, vcc_lo, s16, v21
	v_add_co_ci_u32_e32 v23, vcc_lo, s17, v28, vcc_lo
	v_add_co_u32 v19, vcc_lo, s16, v19
	v_add_co_ci_u32_e32 v20, vcc_lo, s17, v29, vcc_lo
	s_mov_b32 s29, -1
	s_clause 0x1
	global_load_u8 v24, v[22:23], off
	global_load_u8 v25, v[19:20], off
	s_mov_b32 s31, exec_lo
	s_waitcnt vmcnt(0)
	v_cmpx_eq_u16_e64 v24, v25
	s_cbranch_execz .LBB333_81
; %bb.75:
	s_mov_b64 s[0:1], 1
	s_mov_b32 s29, 0
                                        ; implicit-def: $sgpr33
	s_set_inst_prefetch_distance 0x1
	s_branch .LBB333_78
	.p2align	6
.LBB333_76:                             ;   in Loop: Header=BB333_78 Depth=1
	v_add_co_u32 v24, vcc_lo, v22, s0
	v_add_co_ci_u32_e32 v25, vcc_lo, s1, v23, vcc_lo
	v_add_co_u32 v29, vcc_lo, v19, s0
	v_add_co_ci_u32_e32 v30, vcc_lo, s1, v20, vcc_lo
	s_add_u32 s4, s0, 1
	s_clause 0x1
	global_load_u8 v24, v[24:25], off
	global_load_u8 v25, v[29:30], off
	s_addc_u32 s5, s1, 0
	s_and_not1_b32 s33, s33, exec_lo
	s_waitcnt vmcnt(0)
	v_cmp_ne_u16_e32 vcc_lo, v24, v25
	s_and_b32 s34, vcc_lo, exec_lo
	s_delay_alu instid0(SALU_CYCLE_1)
	s_or_b32 s33, s33, s34
.LBB333_77:                             ;   in Loop: Header=BB333_78 Depth=1
	v_dual_mov_b32 v25, s1 :: v_dual_mov_b32 v24, s0
	s_and_b32 s34, exec_lo, s33
	s_mov_b64 s[0:1], s[4:5]
	s_or_b32 s29, s34, s29
	s_delay_alu instid0(SALU_CYCLE_1)
	s_and_not1_b32 exec_lo, exec_lo, s29
	s_cbranch_execz .LBB333_80
.LBB333_78:                             ; =>This Inner Loop Header: Depth=1
	s_or_b32 s33, s33, exec_lo
	s_cmp_eq_u64 s[14:15], s[0:1]
	s_cbranch_scc0 .LBB333_76
; %bb.79:                               ;   in Loop: Header=BB333_78 Depth=1
	s_mov_b64 s[0:1], s[14:15]
                                        ; implicit-def: $sgpr4_sgpr5
	s_branch .LBB333_77
.LBB333_80:
	s_set_inst_prefetch_distance 0x2
	s_or_b32 exec_lo, exec_lo, s29
	v_cmp_gt_i64_e32 vcc_lo, s[14:15], v[24:25]
	s_or_not1_b32 s29, vcc_lo, exec_lo
.LBB333_81:
	s_or_b32 exec_lo, exec_lo, s31
.LBB333_82:
	v_mul_lo_u32 v22, v14, s14
	v_mul_lo_u32 v23, v13, s15
	v_mad_u64_u32 v[19:20], null, v13, s14, 0
	s_and_not1_b32 vcc_lo, exec_lo, s7
	s_mov_b32 s0, 0
	s_delay_alu instid0(VALU_DEP_1)
	v_add3_u32 v27, v20, v23, v22
	s_cbranch_vccnz .LBB333_91
; %bb.83:
	s_delay_alu instid0(VALU_DEP_2) | instskip(NEXT) | instid1(VALU_DEP_2)
	v_add_co_u32 v22, vcc_lo, s16, v19
	v_add_co_ci_u32_e32 v23, vcc_lo, s17, v27, vcc_lo
	v_add_co_u32 v20, vcc_lo, s16, v21
	v_add_co_ci_u32_e32 v21, vcc_lo, s17, v28, vcc_lo
	s_mov_b32 s0, -1
	s_clause 0x1
	global_load_u8 v24, v[22:23], off
	global_load_u8 v25, v[20:21], off
	s_mov_b32 s31, exec_lo
	s_waitcnt vmcnt(0)
	v_cmpx_eq_u16_e64 v24, v25
	s_cbranch_execz .LBB333_90
; %bb.84:
	s_mov_b64 s[0:1], 1
	s_mov_b32 s33, 0
                                        ; implicit-def: $sgpr34
	s_set_inst_prefetch_distance 0x1
	s_branch .LBB333_87
	.p2align	6
.LBB333_85:                             ;   in Loop: Header=BB333_87 Depth=1
	v_add_co_u32 v24, vcc_lo, v22, s0
	v_add_co_ci_u32_e32 v25, vcc_lo, s1, v23, vcc_lo
	v_add_co_u32 v28, vcc_lo, v20, s0
	v_add_co_ci_u32_e32 v29, vcc_lo, s1, v21, vcc_lo
	s_add_u32 s4, s0, 1
	s_clause 0x1
	global_load_u8 v24, v[24:25], off
	global_load_u8 v25, v[28:29], off
	s_addc_u32 s5, s1, 0
	s_and_not1_b32 s34, s34, exec_lo
	s_waitcnt vmcnt(0)
	v_cmp_ne_u16_e32 vcc_lo, v24, v25
	s_and_b32 s35, vcc_lo, exec_lo
	s_delay_alu instid0(SALU_CYCLE_1)
	s_or_b32 s34, s34, s35
.LBB333_86:                             ;   in Loop: Header=BB333_87 Depth=1
	v_dual_mov_b32 v25, s1 :: v_dual_mov_b32 v24, s0
	s_and_b32 s35, exec_lo, s34
	s_mov_b64 s[0:1], s[4:5]
	s_or_b32 s33, s35, s33
	s_delay_alu instid0(SALU_CYCLE_1)
	s_and_not1_b32 exec_lo, exec_lo, s33
	s_cbranch_execz .LBB333_89
.LBB333_87:                             ; =>This Inner Loop Header: Depth=1
	s_or_b32 s34, s34, exec_lo
	s_cmp_eq_u64 s[14:15], s[0:1]
	s_cbranch_scc0 .LBB333_85
; %bb.88:                               ;   in Loop: Header=BB333_87 Depth=1
	s_mov_b64 s[0:1], s[14:15]
                                        ; implicit-def: $sgpr4_sgpr5
	s_branch .LBB333_86
.LBB333_89:
	s_set_inst_prefetch_distance 0x2
	s_or_b32 exec_lo, exec_lo, s33
	v_cmp_gt_i64_e32 vcc_lo, s[14:15], v[24:25]
	s_or_not1_b32 s0, vcc_lo, exec_lo
.LBB333_90:
	s_or_b32 exec_lo, exec_lo, s31
.LBB333_91:
	s_waitcnt vmcnt(0)
	v_dual_mov_b32 v23, v18 :: v_dual_mov_b32 v22, v17
	s_waitcnt lgkmcnt(0)
	s_barrier
	buffer_gl0_inv
	s_and_saveexec_b32 s1, s3
	s_cbranch_execz .LBB333_93
; %bb.92:
	v_add_nc_u32_e32 v20, -8, v39
	ds_load_b64 v[22:23], v20
.LBB333_93:
	s_or_b32 exec_lo, exec_lo, s1
	v_cndmask_b32_e64 v21, 0, 1, s30
	v_cndmask_b32_e64 v25, 0, 1, s28
	;; [unrolled: 1-line block ×7, first 2 shown]
	v_lshlrev_b16 v21, 8, v21
	v_lshlrev_b16 v25, 8, v25
	;; [unrolled: 1-line block ×4, first 2 shown]
	s_mov_b32 s6, 0
	v_or_b32_e32 v20, v20, v21
	v_or_b32_e32 v21, v24, v25
	;; [unrolled: 1-line block ×3, first 2 shown]
	v_and_b32_e32 v28, 0xffff, v29
	s_and_not1_b32 vcc_lo, exec_lo, s7
	v_lshlrev_b32_e32 v29, 16, v20
	v_and_b32_e32 v30, 0xffff, v21
	v_lshlrev_b32_e32 v31, 16, v24
	s_mov_b32 s0, 0
	s_cbranch_vccnz .LBB333_102
; %bb.94:
	s_waitcnt lgkmcnt(0)
	v_mad_u64_u32 v[20:21], null, v22, s14, s[16:17]
	v_mul_lo_u32 v22, v22, s15
	v_mul_lo_u32 v23, v23, s14
	s_mov_b32 s0, -1
	s_mov_b32 s26, exec_lo
	s_delay_alu instid0(VALU_DEP_1)
	v_add3_u32 v21, v23, v21, v22
	v_add_co_u32 v22, vcc_lo, s16, v19
	v_add_co_ci_u32_e32 v23, vcc_lo, s17, v27, vcc_lo
	s_clause 0x1
	global_load_u8 v19, v[20:21], off
	global_load_u8 v24, v[22:23], off
	s_waitcnt vmcnt(0)
	v_cmpx_eq_u16_e64 v19, v24
	s_cbranch_execz .LBB333_101
; %bb.95:
	s_mov_b64 s[0:1], 1
	s_mov_b32 s27, 0
                                        ; implicit-def: $sgpr28
	s_set_inst_prefetch_distance 0x1
	s_branch .LBB333_98
	.p2align	6
.LBB333_96:                             ;   in Loop: Header=BB333_98 Depth=1
	v_add_co_u32 v24, vcc_lo, v20, s0
	v_add_co_ci_u32_e32 v25, vcc_lo, s1, v21, vcc_lo
	v_add_co_u32 v32, vcc_lo, v22, s0
	v_add_co_ci_u32_e32 v33, vcc_lo, s1, v23, vcc_lo
	s_add_u32 s4, s0, 1
	s_clause 0x1
	global_load_u8 v19, v[24:25], off
	global_load_u8 v24, v[32:33], off
	s_addc_u32 s5, s1, 0
	s_and_not1_b32 s28, s28, exec_lo
	s_waitcnt vmcnt(0)
	v_cmp_ne_u16_e32 vcc_lo, v19, v24
	s_and_b32 s29, vcc_lo, exec_lo
	s_delay_alu instid0(SALU_CYCLE_1)
	s_or_b32 s28, s28, s29
.LBB333_97:                             ;   in Loop: Header=BB333_98 Depth=1
	v_dual_mov_b32 v25, s1 :: v_dual_mov_b32 v24, s0
	s_and_b32 s29, exec_lo, s28
	s_mov_b64 s[0:1], s[4:5]
	s_or_b32 s27, s29, s27
	s_delay_alu instid0(SALU_CYCLE_1)
	s_and_not1_b32 exec_lo, exec_lo, s27
	s_cbranch_execz .LBB333_100
.LBB333_98:                             ; =>This Inner Loop Header: Depth=1
	s_or_b32 s28, s28, exec_lo
	s_cmp_eq_u64 s[14:15], s[0:1]
	s_cbranch_scc0 .LBB333_96
; %bb.99:                               ;   in Loop: Header=BB333_98 Depth=1
	s_mov_b64 s[0:1], s[14:15]
                                        ; implicit-def: $sgpr4_sgpr5
	s_branch .LBB333_97
.LBB333_100:
	s_set_inst_prefetch_distance 0x2
	s_or_b32 exec_lo, exec_lo, s27
	v_cmp_gt_i64_e32 vcc_lo, s[14:15], v[24:25]
	s_or_not1_b32 s0, vcc_lo, exec_lo
.LBB333_101:
	s_or_b32 exec_lo, exec_lo, s26
.LBB333_102:
	v_or_b32_e32 v19, v28, v29
	s_delay_alu instid0(VALU_DEP_2)
	v_or_b32_e32 v20, v30, v31
	s_and_b32 vcc_lo, exec_lo, s6
	s_cbranch_vccz .LBB333_194
.LBB333_103:
	v_or_b32_e32 v19, 7, v39
	s_mov_b32 s6, 0
	s_mov_b32 s26, 0
	s_mov_b32 s27, exec_lo
	s_delay_alu instid0(VALU_DEP_1)
	v_cmpx_gt_u32_e64 s12, v19
	s_cbranch_execz .LBB333_114
; %bb.104:
	s_and_not1_b32 vcc_lo, exec_lo, s7
	s_mov_b32 s0, 0
	s_cbranch_vccnz .LBB333_113
; %bb.105:
	v_mad_u64_u32 v[19:20], null, v1, s14, s[16:17]
	s_waitcnt lgkmcnt(0)
	v_mul_lo_u32 v23, v1, s15
	v_mul_lo_u32 v24, v2, s14
	v_mad_u64_u32 v[21:22], null, v3, s14, s[16:17]
	v_mul_lo_u32 v25, v3, s15
	v_mul_lo_u32 v27, v4, s14
	s_mov_b32 s0, -1
	s_mov_b32 s7, exec_lo
	s_delay_alu instid0(VALU_DEP_4) | instskip(NEXT) | instid1(VALU_DEP_2)
	v_add3_u32 v20, v24, v20, v23
	v_add3_u32 v22, v27, v22, v25
	s_clause 0x1
	global_load_u8 v23, v[19:20], off
	global_load_u8 v24, v[21:22], off
	s_waitcnt vmcnt(0)
	v_cmpx_eq_u16_e64 v23, v24
	s_cbranch_execz .LBB333_112
; %bb.106:
	s_mov_b64 s[0:1], 1
                                        ; implicit-def: $sgpr28
	s_set_inst_prefetch_distance 0x1
	s_branch .LBB333_109
	.p2align	6
.LBB333_107:                            ;   in Loop: Header=BB333_109 Depth=1
	v_add_co_u32 v23, vcc_lo, v19, s0
	v_add_co_ci_u32_e32 v24, vcc_lo, s1, v20, vcc_lo
	v_add_co_u32 v27, vcc_lo, v21, s0
	v_add_co_ci_u32_e32 v28, vcc_lo, s1, v22, vcc_lo
	s_add_u32 s4, s0, 1
	s_clause 0x1
	global_load_u8 v23, v[23:24], off
	global_load_u8 v24, v[27:28], off
	s_addc_u32 s5, s1, 0
	s_and_not1_b32 s28, s28, exec_lo
	s_waitcnt vmcnt(0)
	v_cmp_ne_u16_e32 vcc_lo, v23, v24
	s_and_b32 s29, vcc_lo, exec_lo
	s_delay_alu instid0(SALU_CYCLE_1)
	s_or_b32 s28, s28, s29
.LBB333_108:                            ;   in Loop: Header=BB333_109 Depth=1
	v_dual_mov_b32 v24, s1 :: v_dual_mov_b32 v23, s0
	s_and_b32 s29, exec_lo, s28
	s_mov_b64 s[0:1], s[4:5]
	s_or_b32 s26, s29, s26
	s_delay_alu instid0(SALU_CYCLE_1)
	s_and_not1_b32 exec_lo, exec_lo, s26
	s_cbranch_execz .LBB333_111
.LBB333_109:                            ; =>This Inner Loop Header: Depth=1
	s_or_b32 s28, s28, exec_lo
	s_cmp_eq_u64 s[14:15], s[0:1]
	s_cbranch_scc0 .LBB333_107
; %bb.110:                              ;   in Loop: Header=BB333_109 Depth=1
	s_mov_b64 s[0:1], s[14:15]
                                        ; implicit-def: $sgpr4_sgpr5
	s_branch .LBB333_108
.LBB333_111:
	s_set_inst_prefetch_distance 0x2
	s_or_b32 exec_lo, exec_lo, s26
	v_cmp_gt_i64_e32 vcc_lo, s[14:15], v[23:24]
	s_or_not1_b32 s0, vcc_lo, exec_lo
.LBB333_112:
	s_or_b32 exec_lo, exec_lo, s7
.LBB333_113:
	s_delay_alu instid0(SALU_CYCLE_1)
	s_and_b32 s26, s0, exec_lo
.LBB333_114:
	s_or_b32 exec_lo, exec_lo, s27
	v_or_b32_e32 v19, 6, v39
	s_mov_b32 s7, exec_lo
	s_delay_alu instid0(VALU_DEP_1)
	v_cmpx_gt_u32_e64 s12, v19
	s_cbranch_execz .LBB333_125
; %bb.115:
	v_cmp_ne_u32_e32 vcc_lo, 1, v26
	s_mov_b32 s0, 0
	s_cbranch_vccnz .LBB333_124
; %bb.116:
	v_mad_u64_u32 v[19:20], null, v7, s14, s[16:17]
	s_waitcnt lgkmcnt(0)
	v_mul_lo_u32 v23, v7, s15
	v_mul_lo_u32 v24, v8, s14
	v_mad_u64_u32 v[21:22], null, v1, s14, s[16:17]
	v_mul_lo_u32 v25, v1, s15
	v_mul_lo_u32 v27, v2, s14
	s_mov_b32 s0, -1
	s_mov_b32 s6, exec_lo
	s_delay_alu instid0(VALU_DEP_4) | instskip(NEXT) | instid1(VALU_DEP_2)
	v_add3_u32 v20, v24, v20, v23
	v_add3_u32 v22, v27, v22, v25
	s_clause 0x1
	global_load_u8 v23, v[19:20], off
	global_load_u8 v24, v[21:22], off
	s_waitcnt vmcnt(0)
	v_cmpx_eq_u16_e64 v23, v24
	s_cbranch_execz .LBB333_123
; %bb.117:
	s_mov_b64 s[0:1], 1
	s_mov_b32 s27, 0
                                        ; implicit-def: $sgpr28
	s_set_inst_prefetch_distance 0x1
	s_branch .LBB333_120
	.p2align	6
.LBB333_118:                            ;   in Loop: Header=BB333_120 Depth=1
	v_add_co_u32 v23, vcc_lo, v19, s0
	v_add_co_ci_u32_e32 v24, vcc_lo, s1, v20, vcc_lo
	v_add_co_u32 v27, vcc_lo, v21, s0
	v_add_co_ci_u32_e32 v28, vcc_lo, s1, v22, vcc_lo
	s_add_u32 s4, s0, 1
	s_clause 0x1
	global_load_u8 v23, v[23:24], off
	global_load_u8 v24, v[27:28], off
	s_addc_u32 s5, s1, 0
	s_and_not1_b32 s28, s28, exec_lo
	s_waitcnt vmcnt(0)
	v_cmp_ne_u16_e32 vcc_lo, v23, v24
	s_and_b32 s29, vcc_lo, exec_lo
	s_delay_alu instid0(SALU_CYCLE_1)
	s_or_b32 s28, s28, s29
.LBB333_119:                            ;   in Loop: Header=BB333_120 Depth=1
	v_dual_mov_b32 v24, s1 :: v_dual_mov_b32 v23, s0
	s_and_b32 s29, exec_lo, s28
	s_mov_b64 s[0:1], s[4:5]
	s_or_b32 s27, s29, s27
	s_delay_alu instid0(SALU_CYCLE_1)
	s_and_not1_b32 exec_lo, exec_lo, s27
	s_cbranch_execz .LBB333_122
.LBB333_120:                            ; =>This Inner Loop Header: Depth=1
	s_or_b32 s28, s28, exec_lo
	s_cmp_eq_u64 s[14:15], s[0:1]
	s_cbranch_scc0 .LBB333_118
; %bb.121:                              ;   in Loop: Header=BB333_120 Depth=1
	s_mov_b64 s[0:1], s[14:15]
                                        ; implicit-def: $sgpr4_sgpr5
	s_branch .LBB333_119
.LBB333_122:
	s_set_inst_prefetch_distance 0x2
	s_or_b32 exec_lo, exec_lo, s27
	v_cmp_gt_i64_e32 vcc_lo, s[14:15], v[23:24]
	s_or_not1_b32 s0, vcc_lo, exec_lo
.LBB333_123:
	s_or_b32 exec_lo, exec_lo, s6
.LBB333_124:
	s_delay_alu instid0(SALU_CYCLE_1)
	s_and_b32 s6, s0, exec_lo
.LBB333_125:
	s_or_b32 exec_lo, exec_lo, s7
	v_or_b32_e32 v19, 5, v39
	s_mov_b32 s27, 0
	s_mov_b32 s7, 0
	s_mov_b32 s28, exec_lo
	s_delay_alu instid0(VALU_DEP_1)
	v_cmpx_gt_u32_e64 s12, v19
	s_cbranch_execz .LBB333_136
; %bb.126:
	v_cmp_ne_u32_e32 vcc_lo, 1, v26
	s_mov_b32 s0, 0
	s_cbranch_vccnz .LBB333_135
; %bb.127:
	v_mad_u64_u32 v[19:20], null, v5, s14, s[16:17]
	s_waitcnt lgkmcnt(0)
	v_mul_lo_u32 v23, v5, s15
	v_mul_lo_u32 v24, v6, s14
	v_mad_u64_u32 v[21:22], null, v7, s14, s[16:17]
	v_mul_lo_u32 v25, v7, s15
	v_mul_lo_u32 v27, v8, s14
	s_mov_b32 s0, -1
	s_mov_b32 s7, exec_lo
	s_delay_alu instid0(VALU_DEP_4) | instskip(NEXT) | instid1(VALU_DEP_2)
	v_add3_u32 v20, v24, v20, v23
	v_add3_u32 v22, v27, v22, v25
	s_clause 0x1
	global_load_u8 v23, v[19:20], off
	global_load_u8 v24, v[21:22], off
	s_waitcnt vmcnt(0)
	v_cmpx_eq_u16_e64 v23, v24
	s_cbranch_execz .LBB333_134
; %bb.128:
	s_mov_b64 s[0:1], 1
	s_mov_b32 s29, 0
                                        ; implicit-def: $sgpr30
	s_set_inst_prefetch_distance 0x1
	s_branch .LBB333_131
	.p2align	6
.LBB333_129:                            ;   in Loop: Header=BB333_131 Depth=1
	v_add_co_u32 v23, vcc_lo, v19, s0
	v_add_co_ci_u32_e32 v24, vcc_lo, s1, v20, vcc_lo
	v_add_co_u32 v27, vcc_lo, v21, s0
	v_add_co_ci_u32_e32 v28, vcc_lo, s1, v22, vcc_lo
	s_add_u32 s4, s0, 1
	s_clause 0x1
	global_load_u8 v23, v[23:24], off
	global_load_u8 v24, v[27:28], off
	s_addc_u32 s5, s1, 0
	s_and_not1_b32 s30, s30, exec_lo
	s_waitcnt vmcnt(0)
	v_cmp_ne_u16_e32 vcc_lo, v23, v24
	s_and_b32 s31, vcc_lo, exec_lo
	s_delay_alu instid0(SALU_CYCLE_1)
	s_or_b32 s30, s30, s31
.LBB333_130:                            ;   in Loop: Header=BB333_131 Depth=1
	v_dual_mov_b32 v24, s1 :: v_dual_mov_b32 v23, s0
	s_and_b32 s31, exec_lo, s30
	s_mov_b64 s[0:1], s[4:5]
	s_or_b32 s29, s31, s29
	s_delay_alu instid0(SALU_CYCLE_1)
	s_and_not1_b32 exec_lo, exec_lo, s29
	s_cbranch_execz .LBB333_133
.LBB333_131:                            ; =>This Inner Loop Header: Depth=1
	s_or_b32 s30, s30, exec_lo
	s_cmp_eq_u64 s[14:15], s[0:1]
	s_cbranch_scc0 .LBB333_129
; %bb.132:                              ;   in Loop: Header=BB333_131 Depth=1
	s_mov_b64 s[0:1], s[14:15]
                                        ; implicit-def: $sgpr4_sgpr5
	s_branch .LBB333_130
.LBB333_133:
	s_set_inst_prefetch_distance 0x2
	s_or_b32 exec_lo, exec_lo, s29
	v_cmp_gt_i64_e32 vcc_lo, s[14:15], v[23:24]
	s_or_not1_b32 s0, vcc_lo, exec_lo
.LBB333_134:
	s_or_b32 exec_lo, exec_lo, s7
.LBB333_135:
	s_delay_alu instid0(SALU_CYCLE_1)
	s_and_b32 s7, s0, exec_lo
.LBB333_136:
	s_or_b32 exec_lo, exec_lo, s28
	v_or_b32_e32 v19, 4, v39
	s_mov_b32 s28, exec_lo
	s_delay_alu instid0(VALU_DEP_1)
	v_cmpx_gt_u32_e64 s12, v19
	s_cbranch_execz .LBB333_147
; %bb.137:
	v_cmp_ne_u32_e32 vcc_lo, 1, v26
	s_mov_b32 s0, 0
	s_cbranch_vccnz .LBB333_146
; %bb.138:
	v_mad_u64_u32 v[19:20], null, v11, s14, s[16:17]
	s_waitcnt lgkmcnt(0)
	v_mul_lo_u32 v23, v11, s15
	v_mul_lo_u32 v24, v12, s14
	v_mad_u64_u32 v[21:22], null, v5, s14, s[16:17]
	v_mul_lo_u32 v25, v5, s15
	v_mul_lo_u32 v27, v6, s14
	s_mov_b32 s0, -1
	s_mov_b32 s27, exec_lo
	s_delay_alu instid0(VALU_DEP_4) | instskip(NEXT) | instid1(VALU_DEP_2)
	v_add3_u32 v20, v24, v20, v23
	v_add3_u32 v22, v27, v22, v25
	s_clause 0x1
	global_load_u8 v23, v[19:20], off
	global_load_u8 v24, v[21:22], off
	s_waitcnt vmcnt(0)
	v_cmpx_eq_u16_e64 v23, v24
	s_cbranch_execz .LBB333_145
; %bb.139:
	s_mov_b64 s[0:1], 1
	s_mov_b32 s29, 0
                                        ; implicit-def: $sgpr30
	s_set_inst_prefetch_distance 0x1
	s_branch .LBB333_142
	.p2align	6
.LBB333_140:                            ;   in Loop: Header=BB333_142 Depth=1
	v_add_co_u32 v23, vcc_lo, v19, s0
	v_add_co_ci_u32_e32 v24, vcc_lo, s1, v20, vcc_lo
	v_add_co_u32 v27, vcc_lo, v21, s0
	v_add_co_ci_u32_e32 v28, vcc_lo, s1, v22, vcc_lo
	s_add_u32 s4, s0, 1
	s_clause 0x1
	global_load_u8 v23, v[23:24], off
	global_load_u8 v24, v[27:28], off
	s_addc_u32 s5, s1, 0
	s_and_not1_b32 s30, s30, exec_lo
	s_waitcnt vmcnt(0)
	v_cmp_ne_u16_e32 vcc_lo, v23, v24
	s_and_b32 s31, vcc_lo, exec_lo
	s_delay_alu instid0(SALU_CYCLE_1)
	s_or_b32 s30, s30, s31
.LBB333_141:                            ;   in Loop: Header=BB333_142 Depth=1
	v_dual_mov_b32 v24, s1 :: v_dual_mov_b32 v23, s0
	s_and_b32 s31, exec_lo, s30
	s_mov_b64 s[0:1], s[4:5]
	s_or_b32 s29, s31, s29
	s_delay_alu instid0(SALU_CYCLE_1)
	s_and_not1_b32 exec_lo, exec_lo, s29
	s_cbranch_execz .LBB333_144
.LBB333_142:                            ; =>This Inner Loop Header: Depth=1
	s_or_b32 s30, s30, exec_lo
	s_cmp_eq_u64 s[14:15], s[0:1]
	s_cbranch_scc0 .LBB333_140
; %bb.143:                              ;   in Loop: Header=BB333_142 Depth=1
	s_mov_b64 s[0:1], s[14:15]
                                        ; implicit-def: $sgpr4_sgpr5
	s_branch .LBB333_141
.LBB333_144:
	s_set_inst_prefetch_distance 0x2
	s_or_b32 exec_lo, exec_lo, s29
	v_cmp_gt_i64_e32 vcc_lo, s[14:15], v[23:24]
	s_or_not1_b32 s0, vcc_lo, exec_lo
.LBB333_145:
	s_or_b32 exec_lo, exec_lo, s27
.LBB333_146:
	s_delay_alu instid0(SALU_CYCLE_1)
	s_and_b32 s27, s0, exec_lo
.LBB333_147:
	s_or_b32 exec_lo, exec_lo, s28
	v_or_b32_e32 v19, 3, v39
	s_mov_b32 s29, 0
	s_mov_b32 s28, 0
	s_mov_b32 s30, exec_lo
	s_delay_alu instid0(VALU_DEP_1)
	v_cmpx_gt_u32_e64 s12, v19
	s_cbranch_execz .LBB333_158
; %bb.148:
	v_cmp_ne_u32_e32 vcc_lo, 1, v26
	s_mov_b32 s0, 0
	s_cbranch_vccnz .LBB333_157
; %bb.149:
	v_mad_u64_u32 v[19:20], null, v9, s14, s[16:17]
	s_waitcnt lgkmcnt(0)
	v_mul_lo_u32 v23, v9, s15
	v_mul_lo_u32 v24, v10, s14
	v_mad_u64_u32 v[21:22], null, v11, s14, s[16:17]
	v_mul_lo_u32 v25, v11, s15
	v_mul_lo_u32 v27, v12, s14
	s_mov_b32 s0, -1
	s_mov_b32 s28, exec_lo
	s_delay_alu instid0(VALU_DEP_4) | instskip(NEXT) | instid1(VALU_DEP_2)
	v_add3_u32 v20, v24, v20, v23
	v_add3_u32 v22, v27, v22, v25
	s_clause 0x1
	global_load_u8 v23, v[19:20], off
	global_load_u8 v24, v[21:22], off
	s_waitcnt vmcnt(0)
	v_cmpx_eq_u16_e64 v23, v24
	s_cbranch_execz .LBB333_156
; %bb.150:
	s_mov_b64 s[0:1], 1
	s_mov_b32 s31, 0
                                        ; implicit-def: $sgpr33
	s_set_inst_prefetch_distance 0x1
	s_branch .LBB333_153
	.p2align	6
.LBB333_151:                            ;   in Loop: Header=BB333_153 Depth=1
	v_add_co_u32 v23, vcc_lo, v19, s0
	v_add_co_ci_u32_e32 v24, vcc_lo, s1, v20, vcc_lo
	v_add_co_u32 v27, vcc_lo, v21, s0
	v_add_co_ci_u32_e32 v28, vcc_lo, s1, v22, vcc_lo
	s_add_u32 s4, s0, 1
	s_clause 0x1
	global_load_u8 v23, v[23:24], off
	global_load_u8 v24, v[27:28], off
	s_addc_u32 s5, s1, 0
	s_and_not1_b32 s33, s33, exec_lo
	s_waitcnt vmcnt(0)
	v_cmp_ne_u16_e32 vcc_lo, v23, v24
	s_and_b32 s34, vcc_lo, exec_lo
	s_delay_alu instid0(SALU_CYCLE_1)
	s_or_b32 s33, s33, s34
.LBB333_152:                            ;   in Loop: Header=BB333_153 Depth=1
	v_dual_mov_b32 v24, s1 :: v_dual_mov_b32 v23, s0
	s_and_b32 s34, exec_lo, s33
	s_mov_b64 s[0:1], s[4:5]
	s_or_b32 s31, s34, s31
	s_delay_alu instid0(SALU_CYCLE_1)
	s_and_not1_b32 exec_lo, exec_lo, s31
	s_cbranch_execz .LBB333_155
.LBB333_153:                            ; =>This Inner Loop Header: Depth=1
	s_or_b32 s33, s33, exec_lo
	s_cmp_eq_u64 s[14:15], s[0:1]
	s_cbranch_scc0 .LBB333_151
; %bb.154:                              ;   in Loop: Header=BB333_153 Depth=1
	s_mov_b64 s[0:1], s[14:15]
                                        ; implicit-def: $sgpr4_sgpr5
	s_branch .LBB333_152
.LBB333_155:
	s_set_inst_prefetch_distance 0x2
	s_or_b32 exec_lo, exec_lo, s31
	v_cmp_gt_i64_e32 vcc_lo, s[14:15], v[23:24]
	s_or_not1_b32 s0, vcc_lo, exec_lo
.LBB333_156:
	s_or_b32 exec_lo, exec_lo, s28
.LBB333_157:
	s_delay_alu instid0(SALU_CYCLE_1)
	s_and_b32 s28, s0, exec_lo
.LBB333_158:
	s_or_b32 exec_lo, exec_lo, s30
	v_or_b32_e32 v19, 2, v39
	s_mov_b32 s30, exec_lo
	s_delay_alu instid0(VALU_DEP_1)
	v_cmpx_gt_u32_e64 s12, v19
	s_cbranch_execz .LBB333_169
; %bb.159:
	v_cmp_ne_u32_e32 vcc_lo, 1, v26
	s_mov_b32 s0, 0
	s_cbranch_vccnz .LBB333_168
; %bb.160:
	v_mad_u64_u32 v[19:20], null, v15, s14, s[16:17]
	s_waitcnt lgkmcnt(0)
	v_mul_lo_u32 v23, v15, s15
	v_mul_lo_u32 v24, v16, s14
	v_mad_u64_u32 v[21:22], null, v9, s14, s[16:17]
	v_mul_lo_u32 v25, v9, s15
	v_mul_lo_u32 v27, v10, s14
	s_mov_b32 s0, -1
	s_mov_b32 s29, exec_lo
	s_delay_alu instid0(VALU_DEP_4) | instskip(NEXT) | instid1(VALU_DEP_2)
	v_add3_u32 v20, v24, v20, v23
	v_add3_u32 v22, v27, v22, v25
	s_clause 0x1
	global_load_u8 v23, v[19:20], off
	global_load_u8 v24, v[21:22], off
	s_waitcnt vmcnt(0)
	v_cmpx_eq_u16_e64 v23, v24
	s_cbranch_execz .LBB333_167
; %bb.161:
	s_mov_b64 s[0:1], 1
	s_mov_b32 s31, 0
                                        ; implicit-def: $sgpr33
	s_set_inst_prefetch_distance 0x1
	s_branch .LBB333_164
	.p2align	6
.LBB333_162:                            ;   in Loop: Header=BB333_164 Depth=1
	v_add_co_u32 v23, vcc_lo, v19, s0
	v_add_co_ci_u32_e32 v24, vcc_lo, s1, v20, vcc_lo
	v_add_co_u32 v27, vcc_lo, v21, s0
	v_add_co_ci_u32_e32 v28, vcc_lo, s1, v22, vcc_lo
	s_add_u32 s4, s0, 1
	s_clause 0x1
	global_load_u8 v23, v[23:24], off
	global_load_u8 v24, v[27:28], off
	s_addc_u32 s5, s1, 0
	s_and_not1_b32 s33, s33, exec_lo
	s_waitcnt vmcnt(0)
	v_cmp_ne_u16_e32 vcc_lo, v23, v24
	s_and_b32 s34, vcc_lo, exec_lo
	s_delay_alu instid0(SALU_CYCLE_1)
	s_or_b32 s33, s33, s34
.LBB333_163:                            ;   in Loop: Header=BB333_164 Depth=1
	v_dual_mov_b32 v24, s1 :: v_dual_mov_b32 v23, s0
	s_and_b32 s34, exec_lo, s33
	s_mov_b64 s[0:1], s[4:5]
	s_or_b32 s31, s34, s31
	s_delay_alu instid0(SALU_CYCLE_1)
	s_and_not1_b32 exec_lo, exec_lo, s31
	s_cbranch_execz .LBB333_166
.LBB333_164:                            ; =>This Inner Loop Header: Depth=1
	s_or_b32 s33, s33, exec_lo
	s_cmp_eq_u64 s[14:15], s[0:1]
	s_cbranch_scc0 .LBB333_162
; %bb.165:                              ;   in Loop: Header=BB333_164 Depth=1
	s_mov_b64 s[0:1], s[14:15]
                                        ; implicit-def: $sgpr4_sgpr5
	s_branch .LBB333_163
.LBB333_166:
	s_set_inst_prefetch_distance 0x2
	s_or_b32 exec_lo, exec_lo, s31
	v_cmp_gt_i64_e32 vcc_lo, s[14:15], v[23:24]
	s_or_not1_b32 s0, vcc_lo, exec_lo
.LBB333_167:
	s_or_b32 exec_lo, exec_lo, s29
.LBB333_168:
	s_delay_alu instid0(SALU_CYCLE_1)
	s_and_b32 s29, s0, exec_lo
.LBB333_169:
	s_or_b32 exec_lo, exec_lo, s30
	v_or_b32_e32 v19, 1, v39
	s_mov_b32 s0, 0
	s_mov_b32 s30, exec_lo
	s_delay_alu instid0(VALU_DEP_1)
	v_cmpx_gt_u32_e64 s12, v19
	s_cbranch_execz .LBB333_180
; %bb.170:
	v_cmp_ne_u32_e32 vcc_lo, 1, v26
	s_cbranch_vccnz .LBB333_179
; %bb.171:
	v_mad_u64_u32 v[19:20], null, v13, s14, s[16:17]
	s_waitcnt lgkmcnt(0)
	v_mul_lo_u32 v23, v13, s15
	v_mul_lo_u32 v24, v14, s14
	v_mad_u64_u32 v[21:22], null, v15, s14, s[16:17]
	v_mul_lo_u32 v25, v15, s15
	v_mul_lo_u32 v27, v16, s14
	s_mov_b32 s0, -1
	s_mov_b32 s31, exec_lo
	s_delay_alu instid0(VALU_DEP_4) | instskip(NEXT) | instid1(VALU_DEP_2)
	v_add3_u32 v20, v24, v20, v23
	v_add3_u32 v22, v27, v22, v25
	s_clause 0x1
	global_load_u8 v23, v[19:20], off
	global_load_u8 v24, v[21:22], off
	s_waitcnt vmcnt(0)
	v_cmpx_eq_u16_e64 v23, v24
	s_cbranch_execz .LBB333_178
; %bb.172:
	s_mov_b64 s[0:1], 1
	s_mov_b32 s33, 0
                                        ; implicit-def: $sgpr34
	s_set_inst_prefetch_distance 0x1
	s_branch .LBB333_175
	.p2align	6
.LBB333_173:                            ;   in Loop: Header=BB333_175 Depth=1
	v_add_co_u32 v23, vcc_lo, v19, s0
	v_add_co_ci_u32_e32 v24, vcc_lo, s1, v20, vcc_lo
	v_add_co_u32 v27, vcc_lo, v21, s0
	v_add_co_ci_u32_e32 v28, vcc_lo, s1, v22, vcc_lo
	s_add_u32 s4, s0, 1
	s_clause 0x1
	global_load_u8 v23, v[23:24], off
	global_load_u8 v24, v[27:28], off
	s_addc_u32 s5, s1, 0
	s_and_not1_b32 s34, s34, exec_lo
	s_waitcnt vmcnt(0)
	v_cmp_ne_u16_e32 vcc_lo, v23, v24
	s_and_b32 s35, vcc_lo, exec_lo
	s_delay_alu instid0(SALU_CYCLE_1)
	s_or_b32 s34, s34, s35
.LBB333_174:                            ;   in Loop: Header=BB333_175 Depth=1
	v_dual_mov_b32 v24, s1 :: v_dual_mov_b32 v23, s0
	s_and_b32 s35, exec_lo, s34
	s_mov_b64 s[0:1], s[4:5]
	s_or_b32 s33, s35, s33
	s_delay_alu instid0(SALU_CYCLE_1)
	s_and_not1_b32 exec_lo, exec_lo, s33
	s_cbranch_execz .LBB333_177
.LBB333_175:                            ; =>This Inner Loop Header: Depth=1
	s_or_b32 s34, s34, exec_lo
	s_cmp_eq_u64 s[14:15], s[0:1]
	s_cbranch_scc0 .LBB333_173
; %bb.176:                              ;   in Loop: Header=BB333_175 Depth=1
	s_mov_b64 s[0:1], s[14:15]
                                        ; implicit-def: $sgpr4_sgpr5
	s_branch .LBB333_174
.LBB333_177:
	s_set_inst_prefetch_distance 0x2
	s_or_b32 exec_lo, exec_lo, s33
	v_cmp_gt_i64_e32 vcc_lo, s[14:15], v[23:24]
	s_or_not1_b32 s0, vcc_lo, exec_lo
.LBB333_178:
	s_or_b32 exec_lo, exec_lo, s31
.LBB333_179:
	s_delay_alu instid0(SALU_CYCLE_1)
	s_and_b32 s0, s0, exec_lo
.LBB333_180:
	s_or_b32 exec_lo, exec_lo, s30
	s_waitcnt vmcnt(0) lgkmcnt(0)
	s_barrier
	buffer_gl0_inv
	s_and_saveexec_b32 s1, s3
	s_cbranch_execz .LBB333_182
; %bb.181:
	v_add_nc_u32_e32 v17, -8, v39
	ds_load_b64 v[17:18], v17
.LBB333_182:
	s_or_b32 exec_lo, exec_lo, s1
	v_cndmask_b32_e64 v20, 0, 1, s28
	v_cndmask_b32_e64 v22, 0, 1, s7
	v_cndmask_b32_e64 v23, 0, 1, s26
	v_cndmask_b32_e64 v19, 0, 1, s29
	v_cndmask_b32_e64 v21, 0, 1, s27
	v_cndmask_b32_e64 v24, 0, 1, s6
	v_cndmask_b32_e64 v25, 0, 1, s0
	v_lshlrev_b16 v20, 8, v20
	v_lshlrev_b16 v22, 8, v22
	;; [unrolled: 1-line block ×3, first 2 shown]
	s_mov_b32 s0, 0
	v_lshlrev_b16 v25, 8, v25
	v_or_b32_e32 v19, v19, v20
	v_or_b32_e32 v20, v21, v22
	;; [unrolled: 1-line block ×3, first 2 shown]
	s_mov_b32 s6, exec_lo
	v_and_b32_e32 v23, 0xffff, v25
	v_lshlrev_b32_e32 v24, 16, v19
	v_and_b32_e32 v25, 0xffff, v20
	v_lshlrev_b32_e32 v27, 16, v21
	v_cmpx_gt_u32_e64 s12, v39
	s_cbranch_execz .LBB333_193
; %bb.183:
	v_cmp_ne_u32_e32 vcc_lo, 1, v26
	s_cbranch_vccnz .LBB333_192
; %bb.184:
	s_waitcnt lgkmcnt(0)
	v_mad_u64_u32 v[19:20], null, v17, s14, s[16:17]
	v_mul_lo_u32 v21, v17, s15
	v_mul_lo_u32 v22, v18, s14
	v_mad_u64_u32 v[17:18], null, v13, s14, s[16:17]
	v_mul_lo_u32 v26, v13, s15
	v_mul_lo_u32 v28, v14, s14
	s_mov_b32 s0, -1
	s_mov_b32 s7, exec_lo
	s_delay_alu instid0(VALU_DEP_4) | instskip(NEXT) | instid1(VALU_DEP_2)
	v_add3_u32 v20, v22, v20, v21
	v_add3_u32 v18, v28, v18, v26
	s_clause 0x1
	global_load_u8 v21, v[19:20], off
	global_load_u8 v22, v[17:18], off
	s_waitcnt vmcnt(0)
	v_cmpx_eq_u16_e64 v21, v22
	s_cbranch_execz .LBB333_191
; %bb.185:
	s_mov_b64 s[0:1], 1
	s_mov_b32 s26, 0
                                        ; implicit-def: $sgpr27
	s_set_inst_prefetch_distance 0x1
	s_branch .LBB333_188
	.p2align	6
.LBB333_186:                            ;   in Loop: Header=BB333_188 Depth=1
	v_add_co_u32 v21, vcc_lo, v19, s0
	v_add_co_ci_u32_e32 v22, vcc_lo, s1, v20, vcc_lo
	v_add_co_u32 v28, vcc_lo, v17, s0
	v_add_co_ci_u32_e32 v29, vcc_lo, s1, v18, vcc_lo
	s_add_u32 s4, s0, 1
	s_clause 0x1
	global_load_u8 v21, v[21:22], off
	global_load_u8 v22, v[28:29], off
	s_addc_u32 s5, s1, 0
	s_and_not1_b32 s27, s27, exec_lo
	s_waitcnt vmcnt(0)
	v_cmp_ne_u16_e32 vcc_lo, v21, v22
	s_and_b32 s28, vcc_lo, exec_lo
	s_delay_alu instid0(SALU_CYCLE_1)
	s_or_b32 s27, s27, s28
.LBB333_187:                            ;   in Loop: Header=BB333_188 Depth=1
	v_dual_mov_b32 v22, s1 :: v_dual_mov_b32 v21, s0
	s_and_b32 s28, exec_lo, s27
	s_mov_b64 s[0:1], s[4:5]
	s_or_b32 s26, s28, s26
	s_delay_alu instid0(SALU_CYCLE_1)
	s_and_not1_b32 exec_lo, exec_lo, s26
	s_cbranch_execz .LBB333_190
.LBB333_188:                            ; =>This Inner Loop Header: Depth=1
	s_or_b32 s27, s27, exec_lo
	s_cmp_eq_u64 s[14:15], s[0:1]
	s_cbranch_scc0 .LBB333_186
; %bb.189:                              ;   in Loop: Header=BB333_188 Depth=1
	s_mov_b64 s[0:1], s[14:15]
                                        ; implicit-def: $sgpr4_sgpr5
	s_branch .LBB333_187
.LBB333_190:
	s_set_inst_prefetch_distance 0x2
	s_or_b32 exec_lo, exec_lo, s26
	v_cmp_gt_i64_e32 vcc_lo, s[14:15], v[21:22]
	s_or_not1_b32 s0, vcc_lo, exec_lo
.LBB333_191:
	s_or_b32 exec_lo, exec_lo, s7
.LBB333_192:
	s_delay_alu instid0(SALU_CYCLE_1)
	s_and_b32 s0, s0, exec_lo
.LBB333_193:
	s_or_b32 exec_lo, exec_lo, s6
	v_or_b32_e32 v19, v23, v24
	v_or_b32_e32 v20, v25, v27
.LBB333_194:
	s_mov_b32 s6, -1
	s_cbranch_execnz .LBB333_363
.LBB333_195:
	v_cmp_gt_i64_e64 s7, s[14:15], 0
	s_and_b32 vcc_lo, exec_lo, s22
	ds_store_b64 v39, v[3:4]
	s_cbranch_vccz .LBB333_203
; %bb.196:
	v_mul_lo_u32 v19, v2, s14
	v_mul_lo_u32 v20, v1, s15
	s_waitcnt vmcnt(0) lgkmcnt(1)
	v_mad_u64_u32 v[17:18], null, v1, s14, 0
	s_mov_b32 s26, 0
	s_and_not1_b32 vcc_lo, exec_lo, s7
	s_mov_b32 s27, 0
	s_delay_alu instid0(VALU_DEP_1)
	v_add3_u32 v24, v18, v20, v19
	s_cbranch_vccnz .LBB333_206
; %bb.197:
	v_mad_u64_u32 v[18:19], null, v3, s14, s[16:17]
	v_mul_lo_u32 v22, v3, s15
	v_mul_lo_u32 v23, v4, s14
	v_add_co_u32 v20, vcc_lo, s16, v17
	v_add_co_ci_u32_e32 v21, vcc_lo, s17, v24, vcc_lo
	s_mov_b32 s27, -1
	s_mov_b32 s28, exec_lo
	s_delay_alu instid0(VALU_DEP_3)
	v_add3_u32 v19, v23, v19, v22
	s_clause 0x1
	global_load_u8 v22, v[20:21], off
	global_load_u8 v23, v[18:19], off
	s_waitcnt vmcnt(0)
	v_cmpx_eq_u16_e64 v22, v23
	s_cbranch_execz .LBB333_205
; %bb.198:
	s_mov_b64 s[0:1], 1
	s_mov_b32 s27, 0
                                        ; implicit-def: $sgpr29
	s_set_inst_prefetch_distance 0x1
	s_branch .LBB333_201
	.p2align	6
.LBB333_199:                            ;   in Loop: Header=BB333_201 Depth=1
	v_add_co_u32 v22, vcc_lo, v20, s0
	v_add_co_ci_u32_e32 v23, vcc_lo, s1, v21, vcc_lo
	v_add_co_u32 v25, vcc_lo, v18, s0
	v_add_co_ci_u32_e32 v26, vcc_lo, s1, v19, vcc_lo
	s_add_u32 s4, s0, 1
	s_clause 0x1
	global_load_u8 v22, v[22:23], off
	global_load_u8 v23, v[25:26], off
	s_addc_u32 s5, s1, 0
	s_and_not1_b32 s29, s29, exec_lo
	s_waitcnt vmcnt(0)
	v_cmp_ne_u16_e32 vcc_lo, v22, v23
	s_and_b32 s30, vcc_lo, exec_lo
	s_delay_alu instid0(SALU_CYCLE_1)
	s_or_b32 s29, s29, s30
.LBB333_200:                            ;   in Loop: Header=BB333_201 Depth=1
	v_dual_mov_b32 v23, s1 :: v_dual_mov_b32 v22, s0
	s_and_b32 s30, exec_lo, s29
	s_mov_b64 s[0:1], s[4:5]
	s_or_b32 s27, s30, s27
	s_delay_alu instid0(SALU_CYCLE_1)
	s_and_not1_b32 exec_lo, exec_lo, s27
	s_cbranch_execz .LBB333_204
.LBB333_201:                            ; =>This Inner Loop Header: Depth=1
	s_or_b32 s29, s29, exec_lo
	s_cmp_eq_u64 s[14:15], s[0:1]
	s_cbranch_scc0 .LBB333_199
; %bb.202:                              ;   in Loop: Header=BB333_201 Depth=1
	s_mov_b64 s[0:1], s[14:15]
                                        ; implicit-def: $sgpr4_sgpr5
	s_branch .LBB333_200
.LBB333_203:
                                        ; implicit-def: $sgpr0
                                        ; implicit-def: $vgpr20
	s_cbranch_execnz .LBB333_272
	s_branch .LBB333_363
.LBB333_204:
	s_set_inst_prefetch_distance 0x2
	s_or_b32 exec_lo, exec_lo, s27
	v_cmp_gt_i64_e32 vcc_lo, s[14:15], v[22:23]
	s_or_not1_b32 s27, vcc_lo, exec_lo
.LBB333_205:
	s_or_b32 exec_lo, exec_lo, s28
.LBB333_206:
	v_mul_lo_u32 v18, v8, s14
	v_mul_lo_u32 v21, v7, s15
	v_mad_u64_u32 v[19:20], null, v7, s14, 0
	s_and_not1_b32 vcc_lo, exec_lo, s7
	s_delay_alu instid0(VALU_DEP_1)
	v_add3_u32 v25, v20, v21, v18
	s_cbranch_vccnz .LBB333_215
; %bb.207:
	s_delay_alu instid0(VALU_DEP_2) | instskip(NEXT) | instid1(VALU_DEP_2)
	v_add_co_u32 v20, vcc_lo, s16, v19
	v_add_co_ci_u32_e32 v21, vcc_lo, s17, v25, vcc_lo
	v_add_co_u32 v17, vcc_lo, s16, v17
	v_add_co_ci_u32_e32 v18, vcc_lo, s17, v24, vcc_lo
	s_mov_b32 s26, -1
	s_clause 0x1
	global_load_u8 v22, v[20:21], off
	global_load_u8 v23, v[17:18], off
	s_mov_b32 s28, exec_lo
	s_waitcnt vmcnt(0)
	v_cmpx_eq_u16_e64 v22, v23
	s_cbranch_execz .LBB333_214
; %bb.208:
	s_mov_b64 s[0:1], 1
	s_mov_b32 s26, 0
                                        ; implicit-def: $sgpr29
	s_set_inst_prefetch_distance 0x1
	s_branch .LBB333_211
	.p2align	6
.LBB333_209:                            ;   in Loop: Header=BB333_211 Depth=1
	v_add_co_u32 v22, vcc_lo, v20, s0
	v_add_co_ci_u32_e32 v23, vcc_lo, s1, v21, vcc_lo
	v_add_co_u32 v26, vcc_lo, v17, s0
	v_add_co_ci_u32_e32 v27, vcc_lo, s1, v18, vcc_lo
	s_add_u32 s4, s0, 1
	s_clause 0x1
	global_load_u8 v22, v[22:23], off
	global_load_u8 v23, v[26:27], off
	s_addc_u32 s5, s1, 0
	s_and_not1_b32 s29, s29, exec_lo
	s_waitcnt vmcnt(0)
	v_cmp_ne_u16_e32 vcc_lo, v22, v23
	s_and_b32 s30, vcc_lo, exec_lo
	s_delay_alu instid0(SALU_CYCLE_1)
	s_or_b32 s29, s29, s30
.LBB333_210:                            ;   in Loop: Header=BB333_211 Depth=1
	v_dual_mov_b32 v23, s1 :: v_dual_mov_b32 v22, s0
	s_and_b32 s30, exec_lo, s29
	s_mov_b64 s[0:1], s[4:5]
	s_or_b32 s26, s30, s26
	s_delay_alu instid0(SALU_CYCLE_1)
	s_and_not1_b32 exec_lo, exec_lo, s26
	s_cbranch_execz .LBB333_213
.LBB333_211:                            ; =>This Inner Loop Header: Depth=1
	s_or_b32 s29, s29, exec_lo
	s_cmp_eq_u64 s[14:15], s[0:1]
	s_cbranch_scc0 .LBB333_209
; %bb.212:                              ;   in Loop: Header=BB333_211 Depth=1
	s_mov_b64 s[0:1], s[14:15]
                                        ; implicit-def: $sgpr4_sgpr5
	s_branch .LBB333_210
.LBB333_213:
	s_set_inst_prefetch_distance 0x2
	s_or_b32 exec_lo, exec_lo, s26
	v_cmp_gt_i64_e32 vcc_lo, s[14:15], v[22:23]
	s_or_not1_b32 s26, vcc_lo, exec_lo
.LBB333_214:
	s_or_b32 exec_lo, exec_lo, s28
.LBB333_215:
	v_mul_lo_u32 v20, v6, s14
	v_mul_lo_u32 v21, v5, s15
	v_mad_u64_u32 v[17:18], null, v5, s14, 0
	s_mov_b32 s28, 0
	s_and_not1_b32 vcc_lo, exec_lo, s7
	s_mov_b32 s29, 0
	s_delay_alu instid0(VALU_DEP_1)
	v_add3_u32 v26, v18, v21, v20
	s_cbranch_vccnz .LBB333_224
; %bb.216:
	s_delay_alu instid0(VALU_DEP_2) | instskip(NEXT) | instid1(VALU_DEP_2)
	v_add_co_u32 v20, vcc_lo, s16, v17
	v_add_co_ci_u32_e32 v21, vcc_lo, s17, v26, vcc_lo
	v_add_co_u32 v18, vcc_lo, s16, v19
	v_add_co_ci_u32_e32 v19, vcc_lo, s17, v25, vcc_lo
	s_mov_b32 s29, -1
	s_clause 0x1
	global_load_u8 v22, v[20:21], off
	global_load_u8 v23, v[18:19], off
	s_mov_b32 s30, exec_lo
	s_waitcnt vmcnt(0)
	v_cmpx_eq_u16_e64 v22, v23
	s_cbranch_execz .LBB333_223
; %bb.217:
	s_mov_b64 s[0:1], 1
	s_mov_b32 s29, 0
                                        ; implicit-def: $sgpr31
	s_set_inst_prefetch_distance 0x1
	s_branch .LBB333_220
	.p2align	6
.LBB333_218:                            ;   in Loop: Header=BB333_220 Depth=1
	v_add_co_u32 v22, vcc_lo, v20, s0
	v_add_co_ci_u32_e32 v23, vcc_lo, s1, v21, vcc_lo
	v_add_co_u32 v24, vcc_lo, v18, s0
	v_add_co_ci_u32_e32 v25, vcc_lo, s1, v19, vcc_lo
	s_add_u32 s4, s0, 1
	s_clause 0x1
	global_load_u8 v22, v[22:23], off
	global_load_u8 v23, v[24:25], off
	s_addc_u32 s5, s1, 0
	s_and_not1_b32 s31, s31, exec_lo
	s_waitcnt vmcnt(0)
	v_cmp_ne_u16_e32 vcc_lo, v22, v23
	s_and_b32 s33, vcc_lo, exec_lo
	s_delay_alu instid0(SALU_CYCLE_1)
	s_or_b32 s31, s31, s33
.LBB333_219:                            ;   in Loop: Header=BB333_220 Depth=1
	v_dual_mov_b32 v23, s1 :: v_dual_mov_b32 v22, s0
	s_and_b32 s33, exec_lo, s31
	s_mov_b64 s[0:1], s[4:5]
	s_or_b32 s29, s33, s29
	s_delay_alu instid0(SALU_CYCLE_1)
	s_and_not1_b32 exec_lo, exec_lo, s29
	s_cbranch_execz .LBB333_222
.LBB333_220:                            ; =>This Inner Loop Header: Depth=1
	s_or_b32 s31, s31, exec_lo
	s_cmp_eq_u64 s[14:15], s[0:1]
	s_cbranch_scc0 .LBB333_218
; %bb.221:                              ;   in Loop: Header=BB333_220 Depth=1
	s_mov_b64 s[0:1], s[14:15]
                                        ; implicit-def: $sgpr4_sgpr5
	s_branch .LBB333_219
.LBB333_222:
	s_set_inst_prefetch_distance 0x2
	s_or_b32 exec_lo, exec_lo, s29
	v_cmp_gt_i64_e32 vcc_lo, s[14:15], v[22:23]
	s_or_not1_b32 s29, vcc_lo, exec_lo
.LBB333_223:
	s_or_b32 exec_lo, exec_lo, s30
.LBB333_224:
	v_mul_lo_u32 v18, v12, s14
	v_mul_lo_u32 v21, v11, s15
	v_mad_u64_u32 v[19:20], null, v11, s14, 0
	s_and_not1_b32 vcc_lo, exec_lo, s7
	s_delay_alu instid0(VALU_DEP_1)
	v_add3_u32 v24, v20, v21, v18
	s_cbranch_vccnz .LBB333_233
; %bb.225:
	s_delay_alu instid0(VALU_DEP_2) | instskip(NEXT) | instid1(VALU_DEP_2)
	v_add_co_u32 v20, vcc_lo, s16, v19
	v_add_co_ci_u32_e32 v21, vcc_lo, s17, v24, vcc_lo
	v_add_co_u32 v17, vcc_lo, s16, v17
	v_add_co_ci_u32_e32 v18, vcc_lo, s17, v26, vcc_lo
	s_mov_b32 s28, -1
	s_clause 0x1
	global_load_u8 v22, v[20:21], off
	global_load_u8 v23, v[17:18], off
	s_mov_b32 s30, exec_lo
	s_waitcnt vmcnt(0)
	v_cmpx_eq_u16_e64 v22, v23
	s_cbranch_execz .LBB333_232
; %bb.226:
	s_mov_b64 s[0:1], 1
	s_mov_b32 s28, 0
                                        ; implicit-def: $sgpr31
	s_set_inst_prefetch_distance 0x1
	s_branch .LBB333_229
	.p2align	6
.LBB333_227:                            ;   in Loop: Header=BB333_229 Depth=1
	v_add_co_u32 v22, vcc_lo, v20, s0
	v_add_co_ci_u32_e32 v23, vcc_lo, s1, v21, vcc_lo
	v_add_co_u32 v25, vcc_lo, v17, s0
	v_add_co_ci_u32_e32 v26, vcc_lo, s1, v18, vcc_lo
	s_add_u32 s4, s0, 1
	s_clause 0x1
	global_load_u8 v22, v[22:23], off
	global_load_u8 v23, v[25:26], off
	s_addc_u32 s5, s1, 0
	s_and_not1_b32 s31, s31, exec_lo
	s_waitcnt vmcnt(0)
	v_cmp_ne_u16_e32 vcc_lo, v22, v23
	s_and_b32 s33, vcc_lo, exec_lo
	s_delay_alu instid0(SALU_CYCLE_1)
	s_or_b32 s31, s31, s33
.LBB333_228:                            ;   in Loop: Header=BB333_229 Depth=1
	v_dual_mov_b32 v23, s1 :: v_dual_mov_b32 v22, s0
	s_and_b32 s33, exec_lo, s31
	s_mov_b64 s[0:1], s[4:5]
	s_or_b32 s28, s33, s28
	s_delay_alu instid0(SALU_CYCLE_1)
	s_and_not1_b32 exec_lo, exec_lo, s28
	s_cbranch_execz .LBB333_231
.LBB333_229:                            ; =>This Inner Loop Header: Depth=1
	s_or_b32 s31, s31, exec_lo
	s_cmp_eq_u64 s[14:15], s[0:1]
	s_cbranch_scc0 .LBB333_227
; %bb.230:                              ;   in Loop: Header=BB333_229 Depth=1
	s_mov_b64 s[0:1], s[14:15]
                                        ; implicit-def: $sgpr4_sgpr5
	s_branch .LBB333_228
.LBB333_231:
	s_set_inst_prefetch_distance 0x2
	s_or_b32 exec_lo, exec_lo, s28
	v_cmp_gt_i64_e32 vcc_lo, s[14:15], v[22:23]
	s_or_not1_b32 s28, vcc_lo, exec_lo
.LBB333_232:
	s_or_b32 exec_lo, exec_lo, s30
.LBB333_233:
	v_mul_lo_u32 v20, v10, s14
	v_mul_lo_u32 v21, v9, s15
	v_mad_u64_u32 v[17:18], null, v9, s14, 0
	s_mov_b32 s30, 0
	s_and_not1_b32 vcc_lo, exec_lo, s7
	s_mov_b32 s31, 0
	s_delay_alu instid0(VALU_DEP_1)
	v_add3_u32 v26, v18, v21, v20
	s_cbranch_vccnz .LBB333_242
; %bb.234:
	s_delay_alu instid0(VALU_DEP_2) | instskip(NEXT) | instid1(VALU_DEP_2)
	v_add_co_u32 v20, vcc_lo, s16, v17
	v_add_co_ci_u32_e32 v21, vcc_lo, s17, v26, vcc_lo
	v_add_co_u32 v18, vcc_lo, s16, v19
	v_add_co_ci_u32_e32 v19, vcc_lo, s17, v24, vcc_lo
	s_mov_b32 s31, -1
	s_clause 0x1
	global_load_u8 v22, v[20:21], off
	global_load_u8 v23, v[18:19], off
	s_mov_b32 s33, exec_lo
	s_waitcnt vmcnt(0)
	v_cmpx_eq_u16_e64 v22, v23
	s_cbranch_execz .LBB333_241
; %bb.235:
	s_mov_b64 s[0:1], 1
	s_mov_b32 s31, 0
                                        ; implicit-def: $sgpr34
	s_set_inst_prefetch_distance 0x1
	s_branch .LBB333_238
	.p2align	6
.LBB333_236:                            ;   in Loop: Header=BB333_238 Depth=1
	v_add_co_u32 v22, vcc_lo, v20, s0
	v_add_co_ci_u32_e32 v23, vcc_lo, s1, v21, vcc_lo
	v_add_co_u32 v24, vcc_lo, v18, s0
	v_add_co_ci_u32_e32 v25, vcc_lo, s1, v19, vcc_lo
	s_add_u32 s4, s0, 1
	s_clause 0x1
	global_load_u8 v22, v[22:23], off
	global_load_u8 v23, v[24:25], off
	s_addc_u32 s5, s1, 0
	s_and_not1_b32 s34, s34, exec_lo
	s_waitcnt vmcnt(0)
	v_cmp_ne_u16_e32 vcc_lo, v22, v23
	s_and_b32 s35, vcc_lo, exec_lo
	s_delay_alu instid0(SALU_CYCLE_1)
	s_or_b32 s34, s34, s35
.LBB333_237:                            ;   in Loop: Header=BB333_238 Depth=1
	v_dual_mov_b32 v23, s1 :: v_dual_mov_b32 v22, s0
	s_and_b32 s35, exec_lo, s34
	s_mov_b64 s[0:1], s[4:5]
	s_or_b32 s31, s35, s31
	s_delay_alu instid0(SALU_CYCLE_1)
	s_and_not1_b32 exec_lo, exec_lo, s31
	s_cbranch_execz .LBB333_240
.LBB333_238:                            ; =>This Inner Loop Header: Depth=1
	s_or_b32 s34, s34, exec_lo
	s_cmp_eq_u64 s[14:15], s[0:1]
	s_cbranch_scc0 .LBB333_236
; %bb.239:                              ;   in Loop: Header=BB333_238 Depth=1
	s_mov_b64 s[0:1], s[14:15]
                                        ; implicit-def: $sgpr4_sgpr5
	s_branch .LBB333_237
.LBB333_240:
	s_set_inst_prefetch_distance 0x2
	s_or_b32 exec_lo, exec_lo, s31
	v_cmp_gt_i64_e32 vcc_lo, s[14:15], v[22:23]
	s_or_not1_b32 s31, vcc_lo, exec_lo
.LBB333_241:
	s_or_b32 exec_lo, exec_lo, s33
.LBB333_242:
	v_mul_lo_u32 v18, v16, s14
	v_mul_lo_u32 v21, v15, s15
	v_mad_u64_u32 v[19:20], null, v15, s14, 0
	s_and_not1_b32 vcc_lo, exec_lo, s7
	s_delay_alu instid0(VALU_DEP_1)
	v_add3_u32 v25, v20, v21, v18
	s_cbranch_vccnz .LBB333_251
; %bb.243:
	s_delay_alu instid0(VALU_DEP_2) | instskip(NEXT) | instid1(VALU_DEP_2)
	v_add_co_u32 v20, vcc_lo, s16, v19
	v_add_co_ci_u32_e32 v21, vcc_lo, s17, v25, vcc_lo
	v_add_co_u32 v17, vcc_lo, s16, v17
	v_add_co_ci_u32_e32 v18, vcc_lo, s17, v26, vcc_lo
	s_mov_b32 s30, -1
	s_clause 0x1
	global_load_u8 v22, v[20:21], off
	global_load_u8 v23, v[17:18], off
	s_mov_b32 s33, exec_lo
	s_waitcnt vmcnt(0)
	v_cmpx_eq_u16_e64 v22, v23
	s_cbranch_execz .LBB333_250
; %bb.244:
	s_mov_b64 s[0:1], 1
	s_mov_b32 s30, 0
                                        ; implicit-def: $sgpr34
	s_set_inst_prefetch_distance 0x1
	s_branch .LBB333_247
	.p2align	6
.LBB333_245:                            ;   in Loop: Header=BB333_247 Depth=1
	v_add_co_u32 v22, vcc_lo, v20, s0
	v_add_co_ci_u32_e32 v23, vcc_lo, s1, v21, vcc_lo
	v_add_co_u32 v26, vcc_lo, v17, s0
	v_add_co_ci_u32_e32 v27, vcc_lo, s1, v18, vcc_lo
	s_add_u32 s4, s0, 1
	s_clause 0x1
	global_load_u8 v22, v[22:23], off
	global_load_u8 v23, v[26:27], off
	s_addc_u32 s5, s1, 0
	s_and_not1_b32 s34, s34, exec_lo
	s_waitcnt vmcnt(0)
	v_cmp_ne_u16_e32 vcc_lo, v22, v23
	s_and_b32 s35, vcc_lo, exec_lo
	s_delay_alu instid0(SALU_CYCLE_1)
	s_or_b32 s34, s34, s35
.LBB333_246:                            ;   in Loop: Header=BB333_247 Depth=1
	v_dual_mov_b32 v23, s1 :: v_dual_mov_b32 v22, s0
	s_and_b32 s35, exec_lo, s34
	s_mov_b64 s[0:1], s[4:5]
	s_or_b32 s30, s35, s30
	s_delay_alu instid0(SALU_CYCLE_1)
	s_and_not1_b32 exec_lo, exec_lo, s30
	s_cbranch_execz .LBB333_249
.LBB333_247:                            ; =>This Inner Loop Header: Depth=1
	s_or_b32 s34, s34, exec_lo
	s_cmp_eq_u64 s[14:15], s[0:1]
	s_cbranch_scc0 .LBB333_245
; %bb.248:                              ;   in Loop: Header=BB333_247 Depth=1
	s_mov_b64 s[0:1], s[14:15]
                                        ; implicit-def: $sgpr4_sgpr5
	s_branch .LBB333_246
.LBB333_249:
	s_set_inst_prefetch_distance 0x2
	s_or_b32 exec_lo, exec_lo, s30
	v_cmp_gt_i64_e32 vcc_lo, s[14:15], v[22:23]
	s_or_not1_b32 s30, vcc_lo, exec_lo
.LBB333_250:
	s_or_b32 exec_lo, exec_lo, s33
.LBB333_251:
	v_mul_lo_u32 v20, v14, s14
	v_mul_lo_u32 v21, v13, s15
	v_mad_u64_u32 v[17:18], null, v13, s14, 0
	s_and_not1_b32 vcc_lo, exec_lo, s7
	s_mov_b32 s0, 0
	s_delay_alu instid0(VALU_DEP_1)
	v_add3_u32 v24, v18, v21, v20
	s_cbranch_vccnz .LBB333_260
; %bb.252:
	s_delay_alu instid0(VALU_DEP_2) | instskip(NEXT) | instid1(VALU_DEP_2)
	v_add_co_u32 v20, vcc_lo, s16, v17
	v_add_co_ci_u32_e32 v21, vcc_lo, s17, v24, vcc_lo
	v_add_co_u32 v18, vcc_lo, s16, v19
	v_add_co_ci_u32_e32 v19, vcc_lo, s17, v25, vcc_lo
	s_mov_b32 s0, -1
	s_clause 0x1
	global_load_u8 v22, v[20:21], off
	global_load_u8 v23, v[18:19], off
	s_mov_b32 s33, exec_lo
	s_waitcnt vmcnt(0)
	v_cmpx_eq_u16_e64 v22, v23
	s_cbranch_execz .LBB333_259
; %bb.253:
	s_mov_b64 s[0:1], 1
	s_mov_b32 s34, 0
                                        ; implicit-def: $sgpr35
	s_set_inst_prefetch_distance 0x1
	s_branch .LBB333_256
	.p2align	6
.LBB333_254:                            ;   in Loop: Header=BB333_256 Depth=1
	v_add_co_u32 v22, vcc_lo, v20, s0
	v_add_co_ci_u32_e32 v23, vcc_lo, s1, v21, vcc_lo
	v_add_co_u32 v25, vcc_lo, v18, s0
	v_add_co_ci_u32_e32 v26, vcc_lo, s1, v19, vcc_lo
	s_add_u32 s4, s0, 1
	s_clause 0x1
	global_load_u8 v22, v[22:23], off
	global_load_u8 v23, v[25:26], off
	s_addc_u32 s5, s1, 0
	s_and_not1_b32 s35, s35, exec_lo
	s_waitcnt vmcnt(0)
	v_cmp_ne_u16_e32 vcc_lo, v22, v23
	s_and_b32 s36, vcc_lo, exec_lo
	s_delay_alu instid0(SALU_CYCLE_1)
	s_or_b32 s35, s35, s36
.LBB333_255:                            ;   in Loop: Header=BB333_256 Depth=1
	v_dual_mov_b32 v23, s1 :: v_dual_mov_b32 v22, s0
	s_and_b32 s36, exec_lo, s35
	s_mov_b64 s[0:1], s[4:5]
	s_or_b32 s34, s36, s34
	s_delay_alu instid0(SALU_CYCLE_1)
	s_and_not1_b32 exec_lo, exec_lo, s34
	s_cbranch_execz .LBB333_258
.LBB333_256:                            ; =>This Inner Loop Header: Depth=1
	s_or_b32 s35, s35, exec_lo
	s_cmp_eq_u64 s[14:15], s[0:1]
	s_cbranch_scc0 .LBB333_254
; %bb.257:                              ;   in Loop: Header=BB333_256 Depth=1
	s_mov_b64 s[0:1], s[14:15]
                                        ; implicit-def: $sgpr4_sgpr5
	s_branch .LBB333_255
.LBB333_258:
	s_set_inst_prefetch_distance 0x2
	s_or_b32 exec_lo, exec_lo, s34
	v_cmp_gt_i64_e32 vcc_lo, s[14:15], v[22:23]
	s_or_not1_b32 s0, vcc_lo, exec_lo
.LBB333_259:
	s_or_b32 exec_lo, exec_lo, s33
.LBB333_260:
	v_cndmask_b32_e64 v19, 0, 1, s31
	v_cndmask_b32_e64 v20, 0, 1, s29
	;; [unrolled: 1-line block ×7, first 2 shown]
	v_lshlrev_b16 v20, 8, v20
	v_lshlrev_b16 v21, 8, v21
	;; [unrolled: 1-line block ×4, first 2 shown]
	s_waitcnt lgkmcnt(0)
	v_or_b32_e32 v20, v23, v20
	v_or_b32_e32 v21, v25, v21
	;; [unrolled: 1-line block ×4, first 2 shown]
	s_barrier
	v_and_b32_e32 v19, 0xffff, v20
	v_lshlrev_b32_e32 v20, 16, v21
	v_and_b32_e32 v21, 0xffff, v22
	v_lshlrev_b32_e32 v18, 16, v18
	buffer_gl0_inv
                                        ; implicit-def: $sgpr0
	v_or_b32_e32 v20, v19, v20
	v_or_b32_e32 v19, v21, v18
	s_and_saveexec_b32 s1, s3
	s_delay_alu instid0(SALU_CYCLE_1)
	s_xor_b32 s26, exec_lo, s1
	s_cbranch_execz .LBB333_271
; %bb.261:
	s_and_not1_b32 vcc_lo, exec_lo, s7
	s_mov_b32 s0, 0
	s_cbranch_vccnz .LBB333_270
; %bb.262:
	v_add_nc_u32_e32 v18, -8, v39
	v_add_co_u32 v17, vcc_lo, s16, v17
	s_mov_b32 s0, -1
	s_mov_b32 s27, exec_lo
	ds_load_b64 v[25:26], v18
	s_waitcnt lgkmcnt(0)
	v_mul_lo_u32 v18, v25, s15
	v_mul_lo_u32 v23, v26, s14
	v_mad_u64_u32 v[21:22], null, v25, s14, s[16:17]
	s_delay_alu instid0(VALU_DEP_1)
	v_add3_u32 v22, v23, v22, v18
	v_add_co_ci_u32_e32 v18, vcc_lo, s17, v24, vcc_lo
	s_clause 0x1
	global_load_u8 v23, v[21:22], off
	global_load_u8 v24, v[17:18], off
	s_waitcnt vmcnt(0)
	v_cmpx_eq_u16_e64 v23, v24
	s_cbranch_execz .LBB333_269
; %bb.263:
	s_mov_b64 s[0:1], 1
	s_mov_b32 s28, 0
                                        ; implicit-def: $sgpr29
	s_set_inst_prefetch_distance 0x1
	s_branch .LBB333_266
	.p2align	6
.LBB333_264:                            ;   in Loop: Header=BB333_266 Depth=1
	v_add_co_u32 v23, vcc_lo, v21, s0
	v_add_co_ci_u32_e32 v24, vcc_lo, s1, v22, vcc_lo
	v_add_co_u32 v25, vcc_lo, v17, s0
	v_add_co_ci_u32_e32 v26, vcc_lo, s1, v18, vcc_lo
	s_add_u32 s4, s0, 1
	s_clause 0x1
	global_load_u8 v23, v[23:24], off
	global_load_u8 v24, v[25:26], off
	s_addc_u32 s5, s1, 0
	s_and_not1_b32 s29, s29, exec_lo
	s_waitcnt vmcnt(0)
	v_cmp_ne_u16_e32 vcc_lo, v23, v24
	s_and_b32 s30, vcc_lo, exec_lo
	s_delay_alu instid0(SALU_CYCLE_1)
	s_or_b32 s29, s29, s30
.LBB333_265:                            ;   in Loop: Header=BB333_266 Depth=1
	v_dual_mov_b32 v24, s1 :: v_dual_mov_b32 v23, s0
	s_and_b32 s30, exec_lo, s29
	s_mov_b64 s[0:1], s[4:5]
	s_or_b32 s28, s30, s28
	s_delay_alu instid0(SALU_CYCLE_1)
	s_and_not1_b32 exec_lo, exec_lo, s28
	s_cbranch_execz .LBB333_268
.LBB333_266:                            ; =>This Inner Loop Header: Depth=1
	s_or_b32 s29, s29, exec_lo
	s_cmp_eq_u64 s[14:15], s[0:1]
	s_cbranch_scc0 .LBB333_264
; %bb.267:                              ;   in Loop: Header=BB333_266 Depth=1
	s_mov_b64 s[0:1], s[14:15]
                                        ; implicit-def: $sgpr4_sgpr5
	s_branch .LBB333_265
.LBB333_268:
	s_set_inst_prefetch_distance 0x2
	s_or_b32 exec_lo, exec_lo, s28
	v_cmp_gt_i64_e32 vcc_lo, s[14:15], v[23:24]
	s_or_not1_b32 s0, vcc_lo, exec_lo
.LBB333_269:
	s_or_b32 exec_lo, exec_lo, s27
.LBB333_270:
	s_delay_alu instid0(SALU_CYCLE_1)
	s_and_b32 s0, s0, exec_lo
	s_or_b32 s6, s6, exec_lo
.LBB333_271:
	s_or_b32 exec_lo, exec_lo, s26
	s_branch .LBB333_363
.LBB333_272:
	s_waitcnt vmcnt(0) lgkmcnt(1)
	v_or_b32_e32 v17, 7, v39
	s_mov_b32 s26, 0
	s_mov_b32 s27, 0
	s_mov_b32 s28, exec_lo
	s_delay_alu instid0(VALU_DEP_1)
	v_cmpx_gt_u32_e64 s12, v17
	s_cbranch_execz .LBB333_283
; %bb.273:
	s_and_not1_b32 vcc_lo, exec_lo, s7
	s_mov_b32 s0, 0
	s_cbranch_vccnz .LBB333_282
; %bb.274:
	v_mad_u64_u32 v[17:18], null, v1, s14, s[16:17]
	v_mul_lo_u32 v21, v1, s15
	v_mul_lo_u32 v22, v2, s14
	v_mad_u64_u32 v[19:20], null, v3, s14, s[16:17]
	v_mul_lo_u32 v23, v3, s15
	v_mul_lo_u32 v24, v4, s14
	s_mov_b32 s0, -1
	s_mov_b32 s27, exec_lo
	s_delay_alu instid0(VALU_DEP_4) | instskip(NEXT) | instid1(VALU_DEP_2)
	v_add3_u32 v18, v22, v18, v21
	v_add3_u32 v20, v24, v20, v23
	s_clause 0x1
	global_load_u8 v21, v[17:18], off
	global_load_u8 v22, v[19:20], off
	s_waitcnt vmcnt(0)
	v_cmpx_eq_u16_e64 v21, v22
	s_cbranch_execz .LBB333_281
; %bb.275:
	s_mov_b64 s[0:1], 1
	s_mov_b32 s29, 0
                                        ; implicit-def: $sgpr30
	s_set_inst_prefetch_distance 0x1
	s_branch .LBB333_278
	.p2align	6
.LBB333_276:                            ;   in Loop: Header=BB333_278 Depth=1
	v_add_co_u32 v21, vcc_lo, v17, s0
	v_add_co_ci_u32_e32 v22, vcc_lo, s1, v18, vcc_lo
	v_add_co_u32 v23, vcc_lo, v19, s0
	v_add_co_ci_u32_e32 v24, vcc_lo, s1, v20, vcc_lo
	s_add_u32 s4, s0, 1
	s_clause 0x1
	global_load_u8 v21, v[21:22], off
	global_load_u8 v22, v[23:24], off
	s_addc_u32 s5, s1, 0
	s_and_not1_b32 s30, s30, exec_lo
	s_waitcnt vmcnt(0)
	v_cmp_ne_u16_e32 vcc_lo, v21, v22
	s_and_b32 s31, vcc_lo, exec_lo
	s_delay_alu instid0(SALU_CYCLE_1)
	s_or_b32 s30, s30, s31
.LBB333_277:                            ;   in Loop: Header=BB333_278 Depth=1
	v_dual_mov_b32 v22, s1 :: v_dual_mov_b32 v21, s0
	s_and_b32 s31, exec_lo, s30
	s_mov_b64 s[0:1], s[4:5]
	s_or_b32 s29, s31, s29
	s_delay_alu instid0(SALU_CYCLE_1)
	s_and_not1_b32 exec_lo, exec_lo, s29
	s_cbranch_execz .LBB333_280
.LBB333_278:                            ; =>This Inner Loop Header: Depth=1
	s_or_b32 s30, s30, exec_lo
	s_cmp_eq_u64 s[14:15], s[0:1]
	s_cbranch_scc0 .LBB333_276
; %bb.279:                              ;   in Loop: Header=BB333_278 Depth=1
	s_mov_b64 s[0:1], s[14:15]
                                        ; implicit-def: $sgpr4_sgpr5
	s_branch .LBB333_277
.LBB333_280:
	s_set_inst_prefetch_distance 0x2
	s_or_b32 exec_lo, exec_lo, s29
	v_cmp_gt_i64_e32 vcc_lo, s[14:15], v[21:22]
	s_or_not1_b32 s0, vcc_lo, exec_lo
.LBB333_281:
	s_or_b32 exec_lo, exec_lo, s27
.LBB333_282:
	s_delay_alu instid0(SALU_CYCLE_1)
	s_and_b32 s27, s0, exec_lo
.LBB333_283:
	s_or_b32 exec_lo, exec_lo, s28
	v_or_b32_e32 v17, 6, v39
	s_mov_b32 s28, exec_lo
	s_delay_alu instid0(VALU_DEP_1)
	v_cmpx_gt_u32_e64 s12, v17
	s_cbranch_execz .LBB333_294
; %bb.284:
	s_and_not1_b32 vcc_lo, exec_lo, s7
	s_mov_b32 s0, 0
	s_cbranch_vccnz .LBB333_293
; %bb.285:
	v_mad_u64_u32 v[17:18], null, v7, s14, s[16:17]
	v_mul_lo_u32 v21, v7, s15
	v_mul_lo_u32 v22, v8, s14
	v_mad_u64_u32 v[19:20], null, v1, s14, s[16:17]
	v_mul_lo_u32 v23, v1, s15
	v_mul_lo_u32 v24, v2, s14
	s_mov_b32 s0, -1
	s_mov_b32 s26, exec_lo
	s_delay_alu instid0(VALU_DEP_4) | instskip(NEXT) | instid1(VALU_DEP_2)
	v_add3_u32 v18, v22, v18, v21
	v_add3_u32 v20, v24, v20, v23
	s_clause 0x1
	global_load_u8 v21, v[17:18], off
	global_load_u8 v22, v[19:20], off
	s_waitcnt vmcnt(0)
	v_cmpx_eq_u16_e64 v21, v22
	s_cbranch_execz .LBB333_292
; %bb.286:
	s_mov_b64 s[0:1], 1
	s_mov_b32 s29, 0
                                        ; implicit-def: $sgpr30
	s_set_inst_prefetch_distance 0x1
	s_branch .LBB333_289
	.p2align	6
.LBB333_287:                            ;   in Loop: Header=BB333_289 Depth=1
	v_add_co_u32 v21, vcc_lo, v17, s0
	v_add_co_ci_u32_e32 v22, vcc_lo, s1, v18, vcc_lo
	v_add_co_u32 v23, vcc_lo, v19, s0
	v_add_co_ci_u32_e32 v24, vcc_lo, s1, v20, vcc_lo
	s_add_u32 s4, s0, 1
	s_clause 0x1
	global_load_u8 v21, v[21:22], off
	global_load_u8 v22, v[23:24], off
	s_addc_u32 s5, s1, 0
	s_and_not1_b32 s30, s30, exec_lo
	s_waitcnt vmcnt(0)
	v_cmp_ne_u16_e32 vcc_lo, v21, v22
	s_and_b32 s31, vcc_lo, exec_lo
	s_delay_alu instid0(SALU_CYCLE_1)
	s_or_b32 s30, s30, s31
.LBB333_288:                            ;   in Loop: Header=BB333_289 Depth=1
	v_dual_mov_b32 v22, s1 :: v_dual_mov_b32 v21, s0
	s_and_b32 s31, exec_lo, s30
	s_mov_b64 s[0:1], s[4:5]
	s_or_b32 s29, s31, s29
	s_delay_alu instid0(SALU_CYCLE_1)
	s_and_not1_b32 exec_lo, exec_lo, s29
	s_cbranch_execz .LBB333_291
.LBB333_289:                            ; =>This Inner Loop Header: Depth=1
	s_or_b32 s30, s30, exec_lo
	s_cmp_eq_u64 s[14:15], s[0:1]
	s_cbranch_scc0 .LBB333_287
; %bb.290:                              ;   in Loop: Header=BB333_289 Depth=1
	s_mov_b64 s[0:1], s[14:15]
                                        ; implicit-def: $sgpr4_sgpr5
	s_branch .LBB333_288
.LBB333_291:
	s_set_inst_prefetch_distance 0x2
	s_or_b32 exec_lo, exec_lo, s29
	v_cmp_gt_i64_e32 vcc_lo, s[14:15], v[21:22]
	s_or_not1_b32 s0, vcc_lo, exec_lo
.LBB333_292:
	s_or_b32 exec_lo, exec_lo, s26
.LBB333_293:
	s_delay_alu instid0(SALU_CYCLE_1)
	s_and_b32 s26, s0, exec_lo
.LBB333_294:
	s_or_b32 exec_lo, exec_lo, s28
	v_or_b32_e32 v17, 5, v39
	s_mov_b32 s28, 0
	s_mov_b32 s29, 0
	s_mov_b32 s30, exec_lo
	s_delay_alu instid0(VALU_DEP_1)
	v_cmpx_gt_u32_e64 s12, v17
	s_cbranch_execz .LBB333_305
; %bb.295:
	s_and_not1_b32 vcc_lo, exec_lo, s7
	s_mov_b32 s0, 0
	s_cbranch_vccnz .LBB333_304
; %bb.296:
	v_mad_u64_u32 v[17:18], null, v5, s14, s[16:17]
	v_mul_lo_u32 v21, v5, s15
	v_mul_lo_u32 v22, v6, s14
	v_mad_u64_u32 v[19:20], null, v7, s14, s[16:17]
	v_mul_lo_u32 v23, v7, s15
	v_mul_lo_u32 v24, v8, s14
	s_mov_b32 s0, -1
	s_mov_b32 s29, exec_lo
	s_delay_alu instid0(VALU_DEP_4) | instskip(NEXT) | instid1(VALU_DEP_2)
	v_add3_u32 v18, v22, v18, v21
	v_add3_u32 v20, v24, v20, v23
	s_clause 0x1
	global_load_u8 v21, v[17:18], off
	global_load_u8 v22, v[19:20], off
	s_waitcnt vmcnt(0)
	v_cmpx_eq_u16_e64 v21, v22
	s_cbranch_execz .LBB333_303
; %bb.297:
	s_mov_b64 s[0:1], 1
	s_mov_b32 s31, 0
                                        ; implicit-def: $sgpr33
	s_set_inst_prefetch_distance 0x1
	s_branch .LBB333_300
	.p2align	6
.LBB333_298:                            ;   in Loop: Header=BB333_300 Depth=1
	v_add_co_u32 v21, vcc_lo, v17, s0
	v_add_co_ci_u32_e32 v22, vcc_lo, s1, v18, vcc_lo
	v_add_co_u32 v23, vcc_lo, v19, s0
	v_add_co_ci_u32_e32 v24, vcc_lo, s1, v20, vcc_lo
	s_add_u32 s4, s0, 1
	s_clause 0x1
	global_load_u8 v21, v[21:22], off
	global_load_u8 v22, v[23:24], off
	s_addc_u32 s5, s1, 0
	s_and_not1_b32 s33, s33, exec_lo
	s_waitcnt vmcnt(0)
	v_cmp_ne_u16_e32 vcc_lo, v21, v22
	s_and_b32 s34, vcc_lo, exec_lo
	s_delay_alu instid0(SALU_CYCLE_1)
	s_or_b32 s33, s33, s34
.LBB333_299:                            ;   in Loop: Header=BB333_300 Depth=1
	v_dual_mov_b32 v22, s1 :: v_dual_mov_b32 v21, s0
	s_and_b32 s34, exec_lo, s33
	s_mov_b64 s[0:1], s[4:5]
	s_or_b32 s31, s34, s31
	s_delay_alu instid0(SALU_CYCLE_1)
	s_and_not1_b32 exec_lo, exec_lo, s31
	s_cbranch_execz .LBB333_302
.LBB333_300:                            ; =>This Inner Loop Header: Depth=1
	s_or_b32 s33, s33, exec_lo
	s_cmp_eq_u64 s[14:15], s[0:1]
	s_cbranch_scc0 .LBB333_298
; %bb.301:                              ;   in Loop: Header=BB333_300 Depth=1
	s_mov_b64 s[0:1], s[14:15]
                                        ; implicit-def: $sgpr4_sgpr5
	s_branch .LBB333_299
.LBB333_302:
	s_set_inst_prefetch_distance 0x2
	s_or_b32 exec_lo, exec_lo, s31
	v_cmp_gt_i64_e32 vcc_lo, s[14:15], v[21:22]
	s_or_not1_b32 s0, vcc_lo, exec_lo
.LBB333_303:
	s_or_b32 exec_lo, exec_lo, s29
.LBB333_304:
	s_delay_alu instid0(SALU_CYCLE_1)
	s_and_b32 s29, s0, exec_lo
.LBB333_305:
	s_or_b32 exec_lo, exec_lo, s30
	v_or_b32_e32 v17, 4, v39
	s_mov_b32 s30, exec_lo
	s_delay_alu instid0(VALU_DEP_1)
	v_cmpx_gt_u32_e64 s12, v17
	s_cbranch_execz .LBB333_316
; %bb.306:
	s_and_not1_b32 vcc_lo, exec_lo, s7
	s_mov_b32 s0, 0
	s_cbranch_vccnz .LBB333_315
; %bb.307:
	v_mad_u64_u32 v[17:18], null, v11, s14, s[16:17]
	v_mul_lo_u32 v21, v11, s15
	v_mul_lo_u32 v22, v12, s14
	v_mad_u64_u32 v[19:20], null, v5, s14, s[16:17]
	v_mul_lo_u32 v23, v5, s15
	v_mul_lo_u32 v24, v6, s14
	s_mov_b32 s0, -1
	s_mov_b32 s28, exec_lo
	s_delay_alu instid0(VALU_DEP_4) | instskip(NEXT) | instid1(VALU_DEP_2)
	v_add3_u32 v18, v22, v18, v21
	v_add3_u32 v20, v24, v20, v23
	s_clause 0x1
	global_load_u8 v21, v[17:18], off
	global_load_u8 v22, v[19:20], off
	s_waitcnt vmcnt(0)
	v_cmpx_eq_u16_e64 v21, v22
	s_cbranch_execz .LBB333_314
; %bb.308:
	s_mov_b64 s[0:1], 1
	s_mov_b32 s31, 0
                                        ; implicit-def: $sgpr33
	s_set_inst_prefetch_distance 0x1
	s_branch .LBB333_311
	.p2align	6
.LBB333_309:                            ;   in Loop: Header=BB333_311 Depth=1
	v_add_co_u32 v21, vcc_lo, v17, s0
	v_add_co_ci_u32_e32 v22, vcc_lo, s1, v18, vcc_lo
	v_add_co_u32 v23, vcc_lo, v19, s0
	v_add_co_ci_u32_e32 v24, vcc_lo, s1, v20, vcc_lo
	s_add_u32 s4, s0, 1
	s_clause 0x1
	global_load_u8 v21, v[21:22], off
	global_load_u8 v22, v[23:24], off
	s_addc_u32 s5, s1, 0
	s_and_not1_b32 s33, s33, exec_lo
	s_waitcnt vmcnt(0)
	v_cmp_ne_u16_e32 vcc_lo, v21, v22
	s_and_b32 s34, vcc_lo, exec_lo
	s_delay_alu instid0(SALU_CYCLE_1)
	s_or_b32 s33, s33, s34
.LBB333_310:                            ;   in Loop: Header=BB333_311 Depth=1
	v_dual_mov_b32 v22, s1 :: v_dual_mov_b32 v21, s0
	s_and_b32 s34, exec_lo, s33
	s_mov_b64 s[0:1], s[4:5]
	s_or_b32 s31, s34, s31
	s_delay_alu instid0(SALU_CYCLE_1)
	s_and_not1_b32 exec_lo, exec_lo, s31
	s_cbranch_execz .LBB333_313
.LBB333_311:                            ; =>This Inner Loop Header: Depth=1
	s_or_b32 s33, s33, exec_lo
	s_cmp_eq_u64 s[14:15], s[0:1]
	s_cbranch_scc0 .LBB333_309
; %bb.312:                              ;   in Loop: Header=BB333_311 Depth=1
	s_mov_b64 s[0:1], s[14:15]
                                        ; implicit-def: $sgpr4_sgpr5
	s_branch .LBB333_310
.LBB333_313:
	s_set_inst_prefetch_distance 0x2
	s_or_b32 exec_lo, exec_lo, s31
	v_cmp_gt_i64_e32 vcc_lo, s[14:15], v[21:22]
	s_or_not1_b32 s0, vcc_lo, exec_lo
.LBB333_314:
	s_or_b32 exec_lo, exec_lo, s28
.LBB333_315:
	s_delay_alu instid0(SALU_CYCLE_1)
	s_and_b32 s28, s0, exec_lo
.LBB333_316:
	s_or_b32 exec_lo, exec_lo, s30
	v_or_b32_e32 v17, 3, v39
	s_mov_b32 s31, 0
	s_mov_b32 s30, 0
	s_mov_b32 s33, exec_lo
	s_delay_alu instid0(VALU_DEP_1)
	v_cmpx_gt_u32_e64 s12, v17
	s_cbranch_execz .LBB333_327
; %bb.317:
	s_and_not1_b32 vcc_lo, exec_lo, s7
	s_mov_b32 s0, 0
	s_cbranch_vccnz .LBB333_326
; %bb.318:
	v_mad_u64_u32 v[17:18], null, v9, s14, s[16:17]
	v_mul_lo_u32 v21, v9, s15
	v_mul_lo_u32 v22, v10, s14
	v_mad_u64_u32 v[19:20], null, v11, s14, s[16:17]
	v_mul_lo_u32 v23, v11, s15
	v_mul_lo_u32 v24, v12, s14
	s_mov_b32 s0, -1
	s_mov_b32 s30, exec_lo
	s_delay_alu instid0(VALU_DEP_4) | instskip(NEXT) | instid1(VALU_DEP_2)
	v_add3_u32 v18, v22, v18, v21
	v_add3_u32 v20, v24, v20, v23
	s_clause 0x1
	global_load_u8 v21, v[17:18], off
	global_load_u8 v22, v[19:20], off
	s_waitcnt vmcnt(0)
	v_cmpx_eq_u16_e64 v21, v22
	s_cbranch_execz .LBB333_325
; %bb.319:
	s_mov_b64 s[0:1], 1
	s_mov_b32 s34, 0
                                        ; implicit-def: $sgpr35
	s_set_inst_prefetch_distance 0x1
	s_branch .LBB333_322
	.p2align	6
.LBB333_320:                            ;   in Loop: Header=BB333_322 Depth=1
	v_add_co_u32 v21, vcc_lo, v17, s0
	v_add_co_ci_u32_e32 v22, vcc_lo, s1, v18, vcc_lo
	v_add_co_u32 v23, vcc_lo, v19, s0
	v_add_co_ci_u32_e32 v24, vcc_lo, s1, v20, vcc_lo
	s_add_u32 s4, s0, 1
	s_clause 0x1
	global_load_u8 v21, v[21:22], off
	global_load_u8 v22, v[23:24], off
	s_addc_u32 s5, s1, 0
	s_and_not1_b32 s35, s35, exec_lo
	s_waitcnt vmcnt(0)
	v_cmp_ne_u16_e32 vcc_lo, v21, v22
	s_and_b32 s36, vcc_lo, exec_lo
	s_delay_alu instid0(SALU_CYCLE_1)
	s_or_b32 s35, s35, s36
.LBB333_321:                            ;   in Loop: Header=BB333_322 Depth=1
	v_dual_mov_b32 v22, s1 :: v_dual_mov_b32 v21, s0
	s_and_b32 s36, exec_lo, s35
	s_mov_b64 s[0:1], s[4:5]
	s_or_b32 s34, s36, s34
	s_delay_alu instid0(SALU_CYCLE_1)
	s_and_not1_b32 exec_lo, exec_lo, s34
	s_cbranch_execz .LBB333_324
.LBB333_322:                            ; =>This Inner Loop Header: Depth=1
	s_or_b32 s35, s35, exec_lo
	s_cmp_eq_u64 s[14:15], s[0:1]
	s_cbranch_scc0 .LBB333_320
; %bb.323:                              ;   in Loop: Header=BB333_322 Depth=1
	s_mov_b64 s[0:1], s[14:15]
                                        ; implicit-def: $sgpr4_sgpr5
	s_branch .LBB333_321
.LBB333_324:
	s_set_inst_prefetch_distance 0x2
	s_or_b32 exec_lo, exec_lo, s34
	v_cmp_gt_i64_e32 vcc_lo, s[14:15], v[21:22]
	s_or_not1_b32 s0, vcc_lo, exec_lo
.LBB333_325:
	s_or_b32 exec_lo, exec_lo, s30
.LBB333_326:
	s_delay_alu instid0(SALU_CYCLE_1)
	s_and_b32 s30, s0, exec_lo
.LBB333_327:
	s_or_b32 exec_lo, exec_lo, s33
	v_or_b32_e32 v17, 2, v39
	s_mov_b32 s33, exec_lo
	s_delay_alu instid0(VALU_DEP_1)
	v_cmpx_gt_u32_e64 s12, v17
	s_cbranch_execz .LBB333_338
; %bb.328:
	s_and_not1_b32 vcc_lo, exec_lo, s7
	s_mov_b32 s0, 0
	s_cbranch_vccnz .LBB333_337
; %bb.329:
	v_mad_u64_u32 v[17:18], null, v15, s14, s[16:17]
	v_mul_lo_u32 v21, v15, s15
	v_mul_lo_u32 v22, v16, s14
	v_mad_u64_u32 v[19:20], null, v9, s14, s[16:17]
	v_mul_lo_u32 v23, v9, s15
	v_mul_lo_u32 v24, v10, s14
	s_mov_b32 s0, -1
	s_mov_b32 s31, exec_lo
	s_delay_alu instid0(VALU_DEP_4) | instskip(NEXT) | instid1(VALU_DEP_2)
	v_add3_u32 v18, v22, v18, v21
	v_add3_u32 v20, v24, v20, v23
	s_clause 0x1
	global_load_u8 v21, v[17:18], off
	global_load_u8 v22, v[19:20], off
	s_waitcnt vmcnt(0)
	v_cmpx_eq_u16_e64 v21, v22
	s_cbranch_execz .LBB333_336
; %bb.330:
	s_mov_b64 s[0:1], 1
	s_mov_b32 s34, 0
                                        ; implicit-def: $sgpr35
	s_set_inst_prefetch_distance 0x1
	s_branch .LBB333_333
	.p2align	6
.LBB333_331:                            ;   in Loop: Header=BB333_333 Depth=1
	v_add_co_u32 v21, vcc_lo, v17, s0
	v_add_co_ci_u32_e32 v22, vcc_lo, s1, v18, vcc_lo
	v_add_co_u32 v23, vcc_lo, v19, s0
	v_add_co_ci_u32_e32 v24, vcc_lo, s1, v20, vcc_lo
	s_add_u32 s4, s0, 1
	s_clause 0x1
	global_load_u8 v21, v[21:22], off
	global_load_u8 v22, v[23:24], off
	s_addc_u32 s5, s1, 0
	s_and_not1_b32 s35, s35, exec_lo
	s_waitcnt vmcnt(0)
	v_cmp_ne_u16_e32 vcc_lo, v21, v22
	s_and_b32 s36, vcc_lo, exec_lo
	s_delay_alu instid0(SALU_CYCLE_1)
	s_or_b32 s35, s35, s36
.LBB333_332:                            ;   in Loop: Header=BB333_333 Depth=1
	v_dual_mov_b32 v22, s1 :: v_dual_mov_b32 v21, s0
	s_and_b32 s36, exec_lo, s35
	s_mov_b64 s[0:1], s[4:5]
	s_or_b32 s34, s36, s34
	s_delay_alu instid0(SALU_CYCLE_1)
	s_and_not1_b32 exec_lo, exec_lo, s34
	s_cbranch_execz .LBB333_335
.LBB333_333:                            ; =>This Inner Loop Header: Depth=1
	s_or_b32 s35, s35, exec_lo
	s_cmp_eq_u64 s[14:15], s[0:1]
	s_cbranch_scc0 .LBB333_331
; %bb.334:                              ;   in Loop: Header=BB333_333 Depth=1
	s_mov_b64 s[0:1], s[14:15]
                                        ; implicit-def: $sgpr4_sgpr5
	s_branch .LBB333_332
.LBB333_335:
	s_set_inst_prefetch_distance 0x2
	s_or_b32 exec_lo, exec_lo, s34
	v_cmp_gt_i64_e32 vcc_lo, s[14:15], v[21:22]
	s_or_not1_b32 s0, vcc_lo, exec_lo
.LBB333_336:
	s_or_b32 exec_lo, exec_lo, s31
.LBB333_337:
	s_delay_alu instid0(SALU_CYCLE_1)
	s_and_b32 s31, s0, exec_lo
.LBB333_338:
	s_or_b32 exec_lo, exec_lo, s33
	v_or_b32_e32 v17, 1, v39
	s_mov_b32 s0, 0
	s_mov_b32 s33, exec_lo
	s_delay_alu instid0(VALU_DEP_1)
	v_cmpx_gt_u32_e64 s12, v17
	s_cbranch_execz .LBB333_349
; %bb.339:
	s_and_not1_b32 vcc_lo, exec_lo, s7
	s_cbranch_vccnz .LBB333_348
; %bb.340:
	v_mad_u64_u32 v[17:18], null, v13, s14, s[16:17]
	v_mul_lo_u32 v21, v13, s15
	v_mul_lo_u32 v22, v14, s14
	v_mad_u64_u32 v[19:20], null, v15, s14, s[16:17]
	v_mul_lo_u32 v23, v15, s15
	v_mul_lo_u32 v24, v16, s14
	s_mov_b32 s0, -1
	s_mov_b32 s34, exec_lo
	s_delay_alu instid0(VALU_DEP_4) | instskip(NEXT) | instid1(VALU_DEP_2)
	v_add3_u32 v18, v22, v18, v21
	v_add3_u32 v20, v24, v20, v23
	s_clause 0x1
	global_load_u8 v21, v[17:18], off
	global_load_u8 v22, v[19:20], off
	s_waitcnt vmcnt(0)
	v_cmpx_eq_u16_e64 v21, v22
	s_cbranch_execz .LBB333_347
; %bb.341:
	s_mov_b64 s[0:1], 1
	s_mov_b32 s35, 0
                                        ; implicit-def: $sgpr36
	s_set_inst_prefetch_distance 0x1
	s_branch .LBB333_344
	.p2align	6
.LBB333_342:                            ;   in Loop: Header=BB333_344 Depth=1
	v_add_co_u32 v21, vcc_lo, v17, s0
	v_add_co_ci_u32_e32 v22, vcc_lo, s1, v18, vcc_lo
	v_add_co_u32 v23, vcc_lo, v19, s0
	v_add_co_ci_u32_e32 v24, vcc_lo, s1, v20, vcc_lo
	s_add_u32 s4, s0, 1
	s_clause 0x1
	global_load_u8 v21, v[21:22], off
	global_load_u8 v22, v[23:24], off
	s_addc_u32 s5, s1, 0
	s_and_not1_b32 s36, s36, exec_lo
	s_waitcnt vmcnt(0)
	v_cmp_ne_u16_e32 vcc_lo, v21, v22
	s_and_b32 s37, vcc_lo, exec_lo
	s_delay_alu instid0(SALU_CYCLE_1)
	s_or_b32 s36, s36, s37
.LBB333_343:                            ;   in Loop: Header=BB333_344 Depth=1
	v_dual_mov_b32 v22, s1 :: v_dual_mov_b32 v21, s0
	s_and_b32 s37, exec_lo, s36
	s_mov_b64 s[0:1], s[4:5]
	s_or_b32 s35, s37, s35
	s_delay_alu instid0(SALU_CYCLE_1)
	s_and_not1_b32 exec_lo, exec_lo, s35
	s_cbranch_execz .LBB333_346
.LBB333_344:                            ; =>This Inner Loop Header: Depth=1
	s_or_b32 s36, s36, exec_lo
	s_cmp_eq_u64 s[14:15], s[0:1]
	s_cbranch_scc0 .LBB333_342
; %bb.345:                              ;   in Loop: Header=BB333_344 Depth=1
	s_mov_b64 s[0:1], s[14:15]
                                        ; implicit-def: $sgpr4_sgpr5
	s_branch .LBB333_343
.LBB333_346:
	s_set_inst_prefetch_distance 0x2
	s_or_b32 exec_lo, exec_lo, s35
	v_cmp_gt_i64_e32 vcc_lo, s[14:15], v[21:22]
	s_or_not1_b32 s0, vcc_lo, exec_lo
.LBB333_347:
	s_or_b32 exec_lo, exec_lo, s34
.LBB333_348:
	s_delay_alu instid0(SALU_CYCLE_1)
	s_and_b32 s0, s0, exec_lo
.LBB333_349:
	s_or_b32 exec_lo, exec_lo, s33
	v_cndmask_b32_e64 v18, 0, 1, s30
	v_cndmask_b32_e64 v19, 0, 1, s29
	;; [unrolled: 1-line block ×7, first 2 shown]
	v_lshlrev_b16 v19, 8, v19
	v_lshlrev_b16 v20, 8, v20
	;; [unrolled: 1-line block ×4, first 2 shown]
	s_waitcnt lgkmcnt(0)
	v_or_b32_e32 v19, v22, v19
	v_or_b32_e32 v20, v23, v20
	v_or_b32_e32 v21, 1, v21
	v_or_b32_e32 v17, v17, v18
	s_barrier
	v_and_b32_e32 v18, 0xffff, v19
	v_lshlrev_b32_e32 v19, 16, v20
	v_and_b32_e32 v21, 0xffff, v21
	v_lshlrev_b32_e32 v17, 16, v17
	buffer_gl0_inv
                                        ; implicit-def: $sgpr0
	v_or_b32_e32 v20, v18, v19
	v_or_b32_e32 v19, v21, v17
	s_and_saveexec_b32 s26, s3
	s_cbranch_execz .LBB333_362
; %bb.350:
	s_mov_b32 s0, 0
	s_mov_b32 s3, exec_lo
	v_cmpx_gt_u32_e64 s12, v39
	s_cbranch_execz .LBB333_361
; %bb.351:
	s_and_not1_b32 vcc_lo, exec_lo, s7
	s_cbranch_vccnz .LBB333_360
; %bb.352:
	v_add_nc_u32_e32 v17, -8, v39
	v_mul_lo_u32 v25, v13, s15
	s_mov_b32 s0, -1
	s_mov_b32 s7, exec_lo
	ds_load_b64 v[23:24], v17
	v_mad_u64_u32 v[17:18], null, v13, s14, s[16:17]
	s_waitcnt lgkmcnt(0)
	v_mul_lo_u32 v26, v23, s15
	v_mul_lo_u32 v24, v24, s14
	v_mad_u64_u32 v[21:22], null, v23, s14, s[16:17]
	v_mul_lo_u32 v23, v14, s14
	s_delay_alu instid0(VALU_DEP_2) | instskip(NEXT) | instid1(VALU_DEP_2)
	v_add3_u32 v22, v24, v22, v26
	v_add3_u32 v18, v23, v18, v25
	s_clause 0x1
	global_load_u8 v23, v[21:22], off
	global_load_u8 v24, v[17:18], off
	s_waitcnt vmcnt(0)
	v_cmpx_eq_u16_e64 v23, v24
	s_cbranch_execz .LBB333_359
; %bb.353:
	s_mov_b64 s[0:1], 1
	s_mov_b32 s16, 0
                                        ; implicit-def: $sgpr17
	s_set_inst_prefetch_distance 0x1
	s_branch .LBB333_356
	.p2align	6
.LBB333_354:                            ;   in Loop: Header=BB333_356 Depth=1
	v_add_co_u32 v23, vcc_lo, v21, s0
	v_add_co_ci_u32_e32 v24, vcc_lo, s1, v22, vcc_lo
	v_add_co_u32 v25, vcc_lo, v17, s0
	v_add_co_ci_u32_e32 v26, vcc_lo, s1, v18, vcc_lo
	s_add_u32 s4, s0, 1
	s_clause 0x1
	global_load_u8 v23, v[23:24], off
	global_load_u8 v24, v[25:26], off
	s_addc_u32 s5, s1, 0
	s_and_not1_b32 s17, s17, exec_lo
	s_waitcnt vmcnt(0)
	v_cmp_ne_u16_e32 vcc_lo, v23, v24
	s_and_b32 s27, vcc_lo, exec_lo
	s_delay_alu instid0(SALU_CYCLE_1)
	s_or_b32 s17, s17, s27
.LBB333_355:                            ;   in Loop: Header=BB333_356 Depth=1
	v_dual_mov_b32 v24, s1 :: v_dual_mov_b32 v23, s0
	s_and_b32 s27, exec_lo, s17
	s_mov_b64 s[0:1], s[4:5]
	s_or_b32 s16, s27, s16
	s_delay_alu instid0(SALU_CYCLE_1)
	s_and_not1_b32 exec_lo, exec_lo, s16
	s_cbranch_execz .LBB333_358
.LBB333_356:                            ; =>This Inner Loop Header: Depth=1
	s_or_b32 s17, s17, exec_lo
	s_cmp_eq_u64 s[14:15], s[0:1]
	s_cbranch_scc0 .LBB333_354
; %bb.357:                              ;   in Loop: Header=BB333_356 Depth=1
	s_mov_b64 s[0:1], s[14:15]
                                        ; implicit-def: $sgpr4_sgpr5
	s_branch .LBB333_355
.LBB333_358:
	s_set_inst_prefetch_distance 0x2
	s_or_b32 exec_lo, exec_lo, s16
	v_cmp_gt_i64_e32 vcc_lo, s[14:15], v[23:24]
	s_or_not1_b32 s0, vcc_lo, exec_lo
.LBB333_359:
	s_or_b32 exec_lo, exec_lo, s7
.LBB333_360:
	s_delay_alu instid0(SALU_CYCLE_1)
	s_and_b32 s0, s0, exec_lo
.LBB333_361:
	s_or_b32 exec_lo, exec_lo, s3
	s_delay_alu instid0(SALU_CYCLE_1)
	s_and_b32 s0, s0, exec_lo
	s_or_b32 s6, s6, exec_lo
.LBB333_362:
	s_or_b32 exec_lo, exec_lo, s26
.LBB333_363:
	s_and_saveexec_b32 s1, s6
	s_cbranch_execz .LBB333_365
; %bb.364:
	s_waitcnt vmcnt(0) lgkmcnt(0)
	v_and_b32_e32 v17, 0xffffff00, v19
	v_cndmask_b32_e64 v18, 0, 1, s0
	s_delay_alu instid0(VALU_DEP_1) | instskip(NEXT) | instid1(VALU_DEP_1)
	v_or_b32_e32 v17, v18, v17
	v_and_b32_e32 v17, 0xffff, v17
	s_delay_alu instid0(VALU_DEP_1)
	v_and_or_b32 v19, 0xffff0000, v19, v17
.LBB333_365:
	s_or_b32 exec_lo, exec_lo, s1
	s_delay_alu instid0(SALU_CYCLE_1)
	s_and_not1_b32 vcc_lo, exec_lo, s24
	s_cbranch_vccnz .LBB333_367
; %bb.366:
	v_cmp_gt_u32_e32 vcc_lo, s12, v39
	s_waitcnt vmcnt(0) lgkmcnt(0)
	v_or_b32_e32 v18, 1, v39
	v_and_b32_e32 v21, 0xffffff00, v20
	v_or_b32_e32 v22, 2, v39
	v_cndmask_b32_e32 v17, 0, v19, vcc_lo
	s_delay_alu instid0(VALU_DEP_4) | instskip(SKIP_1) | instid1(VALU_DEP_4)
	v_cmp_gt_u32_e32 vcc_lo, s12, v18
	v_or_b32_e32 v18, 4, v39
	v_cmp_gt_u32_e64 s0, s12, v22
	v_or_b32_e32 v22, 3, v39
	v_and_b32_e32 v17, 0xff, v17
	s_delay_alu instid0(VALU_DEP_2) | instskip(NEXT) | instid1(VALU_DEP_2)
	v_cmp_gt_u32_e64 s1, s12, v22
	v_cndmask_b32_e32 v17, v17, v19, vcc_lo
	v_cmp_gt_u32_e32 vcc_lo, s12, v18
	v_cndmask_b32_e32 v18, v21, v20, vcc_lo
	v_or_b32_e32 v21, 5, v39
	s_delay_alu instid0(VALU_DEP_2) | instskip(SKIP_1) | instid1(VALU_DEP_1)
	v_and_b32_e32 v18, 0xffff00ff, v18
	v_and_b32_e32 v17, 0xffff, v17
	v_cndmask_b32_e64 v17, v17, v19, s0
	s_delay_alu instid0(VALU_DEP_4) | instskip(SKIP_1) | instid1(VALU_DEP_3)
	v_cmp_gt_u32_e64 s0, s12, v21
	v_or_b32_e32 v21, 6, v39
	v_and_b32_e32 v17, 0xffffff, v17
	s_delay_alu instid0(VALU_DEP_3) | instskip(NEXT) | instid1(VALU_DEP_2)
	v_cndmask_b32_e64 v18, v18, v20, s0
	v_cndmask_b32_e64 v17, v17, v19, s1
	s_delay_alu instid0(VALU_DEP_1) | instskip(SKIP_2) | instid1(VALU_DEP_3)
	v_dual_cndmask_b32 v17, v17, v19 :: v_dual_and_b32 v18, 0xff00ffff, v18
	v_cmp_gt_u32_e32 vcc_lo, s12, v21
	v_or_b32_e32 v21, 7, v39
	v_cndmask_b32_e64 v17, v17, v19, s0
	s_delay_alu instid0(VALU_DEP_1) | instskip(NEXT) | instid1(VALU_DEP_1)
	v_dual_cndmask_b32 v18, v18, v20 :: v_dual_cndmask_b32 v17, v17, v19
	v_and_b32_e32 v18, 0xffffff, v18
	s_delay_alu instid0(VALU_DEP_4) | instskip(NEXT) | instid1(VALU_DEP_2)
	v_cmp_gt_u32_e32 vcc_lo, s12, v21
	v_dual_cndmask_b32 v20, v18, v20 :: v_dual_cndmask_b32 v19, v17, v19
.LBB333_367:
	s_delay_alu instid0(VALU_DEP_1) | instskip(SKIP_1) | instid1(VALU_DEP_2)
	v_and_b32_e32 v28, 0xff, v19
	s_waitcnt vmcnt(0) lgkmcnt(0)
	v_alignbit_b32 v17, v20, v19, 24
	v_bfe_u32 v30, v19, 8, 8
	v_bfe_u32 v32, v19, 16, 8
	v_and_b32_e32 v36, 0xff, v20
	v_bfe_u32 v38, v20, 8, 8
	v_and_b32_e32 v34, 0xff, v17
	v_add_nc_u32_e32 v17, v30, v28
	v_mbcnt_lo_u32_b32 v42, -1, 0
	v_bfe_u32 v41, v20, 16, 8
	v_lshrrev_b32_e32 v40, 24, v20
	v_lshrrev_b32_e32 v43, 5, v0
	v_add3_u32 v17, v17, v32, v34
	v_and_b32_e32 v18, 15, v42
	v_and_b32_e32 v21, 16, v42
	s_and_b32 vcc_lo, exec_lo, s25
	s_mov_b32 s7, -1
	v_add3_u32 v17, v17, v36, v38
	v_cmp_eq_u32_e64 s3, 0, v18
	v_cmp_lt_u32_e64 s0, 1, v18
	v_cmp_lt_u32_e64 s4, 3, v18
	;; [unrolled: 1-line block ×3, first 2 shown]
	v_add3_u32 v44, v17, v41, v40
	v_or_b32_e32 v17, 31, v0
	v_cmp_eq_u32_e64 s6, 0, v21
	s_barrier
	buffer_gl0_inv
	v_cmp_eq_u32_e64 s5, v17, v0
	s_cbranch_vccz .LBB333_398
; %bb.368:
	v_mov_b32_dpp v17, v44 row_shr:1 row_mask:0xf bank_mask:0xf
	s_delay_alu instid0(VALU_DEP_1) | instskip(NEXT) | instid1(VALU_DEP_1)
	v_cndmask_b32_e64 v17, v17, 0, s3
	v_add_nc_u32_e32 v17, v17, v44
	s_delay_alu instid0(VALU_DEP_1) | instskip(NEXT) | instid1(VALU_DEP_1)
	v_mov_b32_dpp v18, v17 row_shr:2 row_mask:0xf bank_mask:0xf
	v_cndmask_b32_e64 v18, 0, v18, s0
	s_delay_alu instid0(VALU_DEP_1) | instskip(NEXT) | instid1(VALU_DEP_1)
	v_add_nc_u32_e32 v17, v17, v18
	v_mov_b32_dpp v18, v17 row_shr:4 row_mask:0xf bank_mask:0xf
	s_delay_alu instid0(VALU_DEP_1) | instskip(NEXT) | instid1(VALU_DEP_1)
	v_cndmask_b32_e64 v18, 0, v18, s4
	v_add_nc_u32_e32 v17, v17, v18
	s_delay_alu instid0(VALU_DEP_1) | instskip(NEXT) | instid1(VALU_DEP_1)
	v_mov_b32_dpp v18, v17 row_shr:8 row_mask:0xf bank_mask:0xf
	v_cndmask_b32_e64 v18, 0, v18, s1
	s_delay_alu instid0(VALU_DEP_1) | instskip(SKIP_3) | instid1(VALU_DEP_1)
	v_add_nc_u32_e32 v17, v17, v18
	ds_swizzle_b32 v18, v17 offset:swizzle(BROADCAST,32,15)
	s_waitcnt lgkmcnt(0)
	v_cndmask_b32_e64 v18, v18, 0, s6
	v_add_nc_u32_e32 v17, v17, v18
	s_and_saveexec_b32 s7, s5
	s_cbranch_execz .LBB333_370
; %bb.369:
	v_lshlrev_b32_e32 v18, 2, v43
	ds_store_b32 v18, v17
.LBB333_370:
	s_or_b32 exec_lo, exec_lo, s7
	s_delay_alu instid0(SALU_CYCLE_1)
	s_mov_b32 s7, exec_lo
	s_waitcnt lgkmcnt(0)
	s_barrier
	buffer_gl0_inv
	v_cmpx_gt_u32_e32 16, v0
	s_cbranch_execz .LBB333_372
; %bb.371:
	v_lshlrev_b32_e32 v18, 2, v0
	ds_load_b32 v21, v18
	s_waitcnt lgkmcnt(0)
	v_mov_b32_dpp v22, v21 row_shr:1 row_mask:0xf bank_mask:0xf
	s_delay_alu instid0(VALU_DEP_1) | instskip(NEXT) | instid1(VALU_DEP_1)
	v_cndmask_b32_e64 v22, v22, 0, s3
	v_add_nc_u32_e32 v21, v22, v21
	s_delay_alu instid0(VALU_DEP_1) | instskip(NEXT) | instid1(VALU_DEP_1)
	v_mov_b32_dpp v22, v21 row_shr:2 row_mask:0xf bank_mask:0xf
	v_cndmask_b32_e64 v22, 0, v22, s0
	s_delay_alu instid0(VALU_DEP_1) | instskip(NEXT) | instid1(VALU_DEP_1)
	v_add_nc_u32_e32 v21, v21, v22
	v_mov_b32_dpp v22, v21 row_shr:4 row_mask:0xf bank_mask:0xf
	s_delay_alu instid0(VALU_DEP_1) | instskip(NEXT) | instid1(VALU_DEP_1)
	v_cndmask_b32_e64 v22, 0, v22, s4
	v_add_nc_u32_e32 v21, v21, v22
	s_delay_alu instid0(VALU_DEP_1) | instskip(NEXT) | instid1(VALU_DEP_1)
	v_mov_b32_dpp v22, v21 row_shr:8 row_mask:0xf bank_mask:0xf
	v_cndmask_b32_e64 v22, 0, v22, s1
	s_delay_alu instid0(VALU_DEP_1)
	v_add_nc_u32_e32 v21, v21, v22
	ds_store_b32 v18, v21
.LBB333_372:
	s_or_b32 exec_lo, exec_lo, s7
	v_cmp_gt_u32_e32 vcc_lo, 32, v0
	s_mov_b32 s12, exec_lo
	s_waitcnt lgkmcnt(0)
	s_barrier
	buffer_gl0_inv
                                        ; implicit-def: $vgpr27
	v_cmpx_lt_u32_e32 31, v0
	s_cbranch_execz .LBB333_374
; %bb.373:
	v_lshl_add_u32 v18, v43, 2, -4
	ds_load_b32 v27, v18
	s_waitcnt lgkmcnt(0)
	v_add_nc_u32_e32 v17, v27, v17
.LBB333_374:
	s_or_b32 exec_lo, exec_lo, s12
	v_add_nc_u32_e32 v18, -1, v42
	s_delay_alu instid0(VALU_DEP_1) | instskip(NEXT) | instid1(VALU_DEP_1)
	v_cmp_gt_i32_e64 s7, 0, v18
	v_cndmask_b32_e64 v18, v18, v42, s7
	v_cmp_eq_u32_e64 s7, 0, v42
	s_delay_alu instid0(VALU_DEP_2)
	v_lshlrev_b32_e32 v18, 2, v18
	ds_bpermute_b32 v29, v18, v17
	s_and_saveexec_b32 s12, vcc_lo
	s_cbranch_execz .LBB333_397
; %bb.375:
	v_mov_b32_e32 v23, 0
	ds_load_b32 v17, v23 offset:60
	s_and_saveexec_b32 s14, s7
	s_cbranch_execz .LBB333_377
; %bb.376:
	s_add_i32 s16, s23, 32
	s_mov_b32 s17, 0
	v_mov_b32_e32 v18, 1
	s_lshl_b64 s[16:17], s[16:17], 3
	s_delay_alu instid0(SALU_CYCLE_1)
	s_add_u32 s16, s18, s16
	s_addc_u32 s17, s19, s17
	s_waitcnt lgkmcnt(0)
	global_store_b64 v23, v[17:18], s[16:17]
.LBB333_377:
	s_or_b32 exec_lo, exec_lo, s14
	v_xad_u32 v21, v42, -1, s23
	s_mov_b32 s15, 0
	s_mov_b32 s14, exec_lo
	s_delay_alu instid0(VALU_DEP_1) | instskip(NEXT) | instid1(VALU_DEP_1)
	v_add_nc_u32_e32 v22, 32, v21
	v_lshlrev_b64 v[22:23], 3, v[22:23]
	s_delay_alu instid0(VALU_DEP_1) | instskip(NEXT) | instid1(VALU_DEP_2)
	v_add_co_u32 v25, vcc_lo, s18, v22
	v_add_co_ci_u32_e32 v26, vcc_lo, s19, v23, vcc_lo
	global_load_b64 v[23:24], v[25:26], off glc
	s_waitcnt vmcnt(0)
	v_and_b32_e32 v18, 0xff, v24
	s_delay_alu instid0(VALU_DEP_1)
	v_cmpx_eq_u16_e32 0, v18
	s_cbranch_execz .LBB333_383
; %bb.378:
	s_mov_b32 s16, 1
	.p2align	6
.LBB333_379:                            ; =>This Loop Header: Depth=1
                                        ;     Child Loop BB333_380 Depth 2
	s_delay_alu instid0(SALU_CYCLE_1)
	s_max_u32 s17, s16, 1
.LBB333_380:                            ;   Parent Loop BB333_379 Depth=1
                                        ; =>  This Inner Loop Header: Depth=2
	s_delay_alu instid0(SALU_CYCLE_1)
	s_add_i32 s17, s17, -1
	s_sleep 1
	s_cmp_eq_u32 s17, 0
	s_cbranch_scc0 .LBB333_380
; %bb.381:                              ;   in Loop: Header=BB333_379 Depth=1
	global_load_b64 v[23:24], v[25:26], off glc
	s_cmp_lt_u32 s16, 32
	s_cselect_b32 s17, -1, 0
	s_delay_alu instid0(SALU_CYCLE_1) | instskip(SKIP_3) | instid1(VALU_DEP_1)
	s_cmp_lg_u32 s17, 0
	s_addc_u32 s16, s16, 0
	s_waitcnt vmcnt(0)
	v_and_b32_e32 v18, 0xff, v24
	v_cmp_ne_u16_e32 vcc_lo, 0, v18
	s_or_b32 s15, vcc_lo, s15
	s_delay_alu instid0(SALU_CYCLE_1)
	s_and_not1_b32 exec_lo, exec_lo, s15
	s_cbranch_execnz .LBB333_379
; %bb.382:
	s_or_b32 exec_lo, exec_lo, s15
.LBB333_383:
	s_delay_alu instid0(SALU_CYCLE_1)
	s_or_b32 exec_lo, exec_lo, s14
	v_cmp_ne_u32_e32 vcc_lo, 31, v42
	v_and_b32_e32 v22, 0xff, v24
	v_lshlrev_b32_e64 v31, v42, -1
	v_add_nc_u32_e32 v35, 2, v42
	v_add_nc_u32_e32 v45, 4, v42
	v_add_co_ci_u32_e32 v18, vcc_lo, 0, v42, vcc_lo
	v_cmp_eq_u16_e32 vcc_lo, 2, v22
	v_add_nc_u32_e32 v48, 8, v42
	v_add_nc_u32_e32 v50, 16, v42
	v_and_or_b32 v22, vcc_lo, v31, 0x80000000
	v_cmp_gt_u32_e32 vcc_lo, 30, v42
	s_delay_alu instid0(VALU_DEP_2) | instskip(SKIP_1) | instid1(VALU_DEP_2)
	v_ctz_i32_b32_e32 v22, v22
	v_cndmask_b32_e64 v26, 0, 1, vcc_lo
	v_cmp_lt_u32_e32 vcc_lo, v42, v22
	v_lshlrev_b32_e32 v18, 2, v18
	s_delay_alu instid0(VALU_DEP_3)
	v_lshlrev_b32_e32 v26, 1, v26
	ds_bpermute_b32 v25, v18, v23
	v_add_lshl_u32 v33, v26, v42, 2
	s_waitcnt lgkmcnt(0)
	v_cndmask_b32_e32 v25, 0, v25, vcc_lo
	v_cmp_gt_u32_e32 vcc_lo, 28, v42
	s_delay_alu instid0(VALU_DEP_2) | instskip(SKIP_4) | instid1(VALU_DEP_1)
	v_add_nc_u32_e32 v23, v25, v23
	v_cndmask_b32_e64 v26, 0, 1, vcc_lo
	v_cmp_le_u32_e32 vcc_lo, v35, v22
	ds_bpermute_b32 v25, v33, v23
	v_lshlrev_b32_e32 v26, 2, v26
	v_add_lshl_u32 v37, v26, v42, 2
	s_waitcnt lgkmcnt(0)
	v_cndmask_b32_e32 v25, 0, v25, vcc_lo
	v_cmp_gt_u32_e32 vcc_lo, 24, v42
	s_delay_alu instid0(VALU_DEP_2) | instskip(SKIP_4) | instid1(VALU_DEP_1)
	v_add_nc_u32_e32 v23, v23, v25
	v_cndmask_b32_e64 v26, 0, 1, vcc_lo
	v_cmp_le_u32_e32 vcc_lo, v45, v22
	ds_bpermute_b32 v25, v37, v23
	v_lshlrev_b32_e32 v26, 3, v26
	;; [unrolled: 10-line block ×3, first 2 shown]
	v_add_lshl_u32 v49, v26, v42, 2
	s_waitcnt lgkmcnt(0)
	v_cndmask_b32_e32 v25, 0, v25, vcc_lo
	v_cmp_le_u32_e32 vcc_lo, v50, v22
	s_delay_alu instid0(VALU_DEP_2) | instskip(SKIP_3) | instid1(VALU_DEP_1)
	v_add_nc_u32_e32 v23, v23, v25
	ds_bpermute_b32 v25, v49, v23
	s_waitcnt lgkmcnt(0)
	v_cndmask_b32_e32 v22, 0, v25, vcc_lo
	v_dual_mov_b32 v22, 0 :: v_dual_add_nc_u32 v23, v23, v22
	s_branch .LBB333_385
.LBB333_384:                            ;   in Loop: Header=BB333_385 Depth=1
	s_or_b32 exec_lo, exec_lo, s14
	ds_bpermute_b32 v26, v18, v23
	v_and_b32_e32 v25, 0xff, v24
	v_subrev_nc_u32_e32 v21, 32, v21
	s_delay_alu instid0(VALU_DEP_2) | instskip(SKIP_1) | instid1(VALU_DEP_1)
	v_cmp_eq_u16_e32 vcc_lo, 2, v25
	v_and_or_b32 v25, vcc_lo, v31, 0x80000000
	v_ctz_i32_b32_e32 v25, v25
	s_delay_alu instid0(VALU_DEP_1) | instskip(SKIP_3) | instid1(VALU_DEP_2)
	v_cmp_lt_u32_e32 vcc_lo, v42, v25
	s_waitcnt lgkmcnt(0)
	v_cndmask_b32_e32 v26, 0, v26, vcc_lo
	v_cmp_le_u32_e32 vcc_lo, v35, v25
	v_add_nc_u32_e32 v23, v26, v23
	ds_bpermute_b32 v26, v33, v23
	s_waitcnt lgkmcnt(0)
	v_cndmask_b32_e32 v26, 0, v26, vcc_lo
	v_cmp_le_u32_e32 vcc_lo, v45, v25
	s_delay_alu instid0(VALU_DEP_2) | instskip(SKIP_4) | instid1(VALU_DEP_2)
	v_add_nc_u32_e32 v23, v23, v26
	ds_bpermute_b32 v26, v37, v23
	s_waitcnt lgkmcnt(0)
	v_cndmask_b32_e32 v26, 0, v26, vcc_lo
	v_cmp_le_u32_e32 vcc_lo, v48, v25
	v_add_nc_u32_e32 v23, v23, v26
	ds_bpermute_b32 v26, v47, v23
	s_waitcnt lgkmcnt(0)
	v_cndmask_b32_e32 v26, 0, v26, vcc_lo
	v_cmp_le_u32_e32 vcc_lo, v50, v25
	s_delay_alu instid0(VALU_DEP_2) | instskip(SKIP_3) | instid1(VALU_DEP_1)
	v_add_nc_u32_e32 v23, v23, v26
	ds_bpermute_b32 v26, v49, v23
	s_waitcnt lgkmcnt(0)
	v_cndmask_b32_e32 v25, 0, v26, vcc_lo
	v_add3_u32 v23, v25, v46, v23
.LBB333_385:                            ; =>This Loop Header: Depth=1
                                        ;     Child Loop BB333_388 Depth 2
                                        ;       Child Loop BB333_389 Depth 3
	v_and_b32_e32 v24, 0xff, v24
	s_delay_alu instid0(VALU_DEP_2) | instskip(NEXT) | instid1(VALU_DEP_2)
	v_mov_b32_e32 v46, v23
	v_cmp_ne_u16_e32 vcc_lo, 2, v24
	v_cndmask_b32_e64 v24, 0, 1, vcc_lo
	;;#ASMSTART
	;;#ASMEND
	s_delay_alu instid0(VALU_DEP_1)
	v_cmp_ne_u32_e32 vcc_lo, 0, v24
	s_cmp_lg_u32 vcc_lo, exec_lo
	s_cbranch_scc1 .LBB333_392
; %bb.386:                              ;   in Loop: Header=BB333_385 Depth=1
	v_lshlrev_b64 v[23:24], 3, v[21:22]
	s_mov_b32 s14, exec_lo
	s_delay_alu instid0(VALU_DEP_1) | instskip(NEXT) | instid1(VALU_DEP_2)
	v_add_co_u32 v25, vcc_lo, s18, v23
	v_add_co_ci_u32_e32 v26, vcc_lo, s19, v24, vcc_lo
	global_load_b64 v[23:24], v[25:26], off glc
	s_waitcnt vmcnt(0)
	v_and_b32_e32 v51, 0xff, v24
	s_delay_alu instid0(VALU_DEP_1)
	v_cmpx_eq_u16_e32 0, v51
	s_cbranch_execz .LBB333_384
; %bb.387:                              ;   in Loop: Header=BB333_385 Depth=1
	s_mov_b32 s16, 1
	s_mov_b32 s15, 0
	.p2align	6
.LBB333_388:                            ;   Parent Loop BB333_385 Depth=1
                                        ; =>  This Loop Header: Depth=2
                                        ;       Child Loop BB333_389 Depth 3
	s_max_u32 s17, s16, 1
.LBB333_389:                            ;   Parent Loop BB333_385 Depth=1
                                        ;     Parent Loop BB333_388 Depth=2
                                        ; =>    This Inner Loop Header: Depth=3
	s_delay_alu instid0(SALU_CYCLE_1)
	s_add_i32 s17, s17, -1
	s_sleep 1
	s_cmp_eq_u32 s17, 0
	s_cbranch_scc0 .LBB333_389
; %bb.390:                              ;   in Loop: Header=BB333_388 Depth=2
	global_load_b64 v[23:24], v[25:26], off glc
	s_cmp_lt_u32 s16, 32
	s_cselect_b32 s17, -1, 0
	s_delay_alu instid0(SALU_CYCLE_1) | instskip(SKIP_3) | instid1(VALU_DEP_1)
	s_cmp_lg_u32 s17, 0
	s_addc_u32 s16, s16, 0
	s_waitcnt vmcnt(0)
	v_and_b32_e32 v51, 0xff, v24
	v_cmp_ne_u16_e32 vcc_lo, 0, v51
	s_or_b32 s15, vcc_lo, s15
	s_delay_alu instid0(SALU_CYCLE_1)
	s_and_not1_b32 exec_lo, exec_lo, s15
	s_cbranch_execnz .LBB333_388
; %bb.391:                              ;   in Loop: Header=BB333_385 Depth=1
	s_or_b32 exec_lo, exec_lo, s15
	s_branch .LBB333_384
.LBB333_392:                            ;   in Loop: Header=BB333_385 Depth=1
                                        ; implicit-def: $vgpr23
                                        ; implicit-def: $vgpr24
	s_cbranch_execz .LBB333_385
; %bb.393:
	s_and_saveexec_b32 s14, s7
	s_cbranch_execz .LBB333_395
; %bb.394:
	s_add_i32 s16, s23, 32
	s_mov_b32 s17, 0
	v_dual_mov_b32 v22, 2 :: v_dual_add_nc_u32 v21, v46, v17
	s_lshl_b64 s[16:17], s[16:17], 3
	v_mov_b32_e32 v18, 0
	v_add_nc_u32_e64 v23, 0x8400, 0
	s_add_u32 s16, s18, s16
	s_addc_u32 s17, s19, s17
	global_store_b64 v18, v[21:22], s[16:17]
	ds_store_2addr_b32 v23, v17, v46 offset1:2
.LBB333_395:
	s_or_b32 exec_lo, exec_lo, s14
	s_delay_alu instid0(SALU_CYCLE_1)
	s_and_b32 exec_lo, exec_lo, s2
	s_cbranch_execz .LBB333_397
; %bb.396:
	v_mov_b32_e32 v17, 0
	ds_store_b32 v17, v46 offset:60
.LBB333_397:
	s_or_b32 exec_lo, exec_lo, s12
	v_mov_b32_e32 v17, 0
	s_waitcnt lgkmcnt(0)
	s_waitcnt_vscnt null, 0x0
	s_barrier
	buffer_gl0_inv
	v_cndmask_b32_e64 v18, v29, v27, s7
	ds_load_b32 v17, v17 offset:60
	s_waitcnt lgkmcnt(0)
	s_barrier
	buffer_gl0_inv
	v_cndmask_b32_e64 v18, v18, 0, s2
	s_delay_alu instid0(VALU_DEP_1) | instskip(SKIP_1) | instid1(VALU_DEP_2)
	v_add_nc_u32_e32 v37, v17, v18
	v_add_nc_u32_e64 v17, 0x8400, 0
	v_add_nc_u32_e32 v35, v37, v28
	ds_load_2addr_b32 v[17:18], v17 offset1:2
	v_add_nc_u32_e32 v33, v35, v30
	s_delay_alu instid0(VALU_DEP_1) | instskip(NEXT) | instid1(VALU_DEP_1)
	v_add_nc_u32_e32 v31, v33, v32
	v_add_nc_u32_e32 v29, v31, v34
	s_delay_alu instid0(VALU_DEP_1) | instskip(NEXT) | instid1(VALU_DEP_1)
	v_add_nc_u32_e32 v27, v29, v36
	v_add_nc_u32_e32 v25, v27, v38
	s_delay_alu instid0(VALU_DEP_1)
	v_add_nc_u32_e32 v23, v25, v41
	v_lshrrev_b64 v[21:22], 24, v[19:20]
	s_branch .LBB333_408
.LBB333_398:
                                        ; implicit-def: $vgpr23
                                        ; implicit-def: $vgpr25
                                        ; implicit-def: $vgpr27
                                        ; implicit-def: $vgpr29
                                        ; implicit-def: $vgpr31
                                        ; implicit-def: $vgpr33
                                        ; implicit-def: $vgpr35
                                        ; implicit-def: $vgpr37
                                        ; implicit-def: $vgpr18
	v_lshrrev_b64 v[21:22], 24, v[19:20]
	s_and_b32 vcc_lo, exec_lo, s7
	s_cbranch_vccz .LBB333_408
; %bb.399:
	s_waitcnt lgkmcnt(0)
	v_mov_b32_dpp v17, v44 row_shr:1 row_mask:0xf bank_mask:0xf
	s_delay_alu instid0(VALU_DEP_1) | instskip(NEXT) | instid1(VALU_DEP_1)
	v_cndmask_b32_e64 v17, v17, 0, s3
	v_add_nc_u32_e32 v17, v17, v44
	s_delay_alu instid0(VALU_DEP_1) | instskip(NEXT) | instid1(VALU_DEP_1)
	v_mov_b32_dpp v18, v17 row_shr:2 row_mask:0xf bank_mask:0xf
	v_cndmask_b32_e64 v18, 0, v18, s0
	s_delay_alu instid0(VALU_DEP_1) | instskip(NEXT) | instid1(VALU_DEP_1)
	v_add_nc_u32_e32 v17, v17, v18
	v_mov_b32_dpp v18, v17 row_shr:4 row_mask:0xf bank_mask:0xf
	s_delay_alu instid0(VALU_DEP_1) | instskip(NEXT) | instid1(VALU_DEP_1)
	v_cndmask_b32_e64 v18, 0, v18, s4
	v_add_nc_u32_e32 v17, v17, v18
	s_delay_alu instid0(VALU_DEP_1) | instskip(NEXT) | instid1(VALU_DEP_1)
	v_mov_b32_dpp v18, v17 row_shr:8 row_mask:0xf bank_mask:0xf
	v_cndmask_b32_e64 v18, 0, v18, s1
	s_delay_alu instid0(VALU_DEP_1) | instskip(SKIP_3) | instid1(VALU_DEP_1)
	v_add_nc_u32_e32 v17, v17, v18
	ds_swizzle_b32 v18, v17 offset:swizzle(BROADCAST,32,15)
	s_waitcnt lgkmcnt(0)
	v_cndmask_b32_e64 v18, v18, 0, s6
	v_add_nc_u32_e32 v17, v17, v18
	s_and_saveexec_b32 s6, s5
	s_cbranch_execz .LBB333_401
; %bb.400:
	v_lshlrev_b32_e32 v18, 2, v43
	ds_store_b32 v18, v17
.LBB333_401:
	s_or_b32 exec_lo, exec_lo, s6
	s_delay_alu instid0(SALU_CYCLE_1)
	s_mov_b32 s5, exec_lo
	s_waitcnt lgkmcnt(0)
	s_barrier
	buffer_gl0_inv
	v_cmpx_gt_u32_e32 16, v0
	s_cbranch_execz .LBB333_403
; %bb.402:
	v_lshlrev_b32_e32 v18, 2, v0
	ds_load_b32 v22, v18
	s_waitcnt lgkmcnt(0)
	v_mov_b32_dpp v23, v22 row_shr:1 row_mask:0xf bank_mask:0xf
	s_delay_alu instid0(VALU_DEP_1) | instskip(NEXT) | instid1(VALU_DEP_1)
	v_cndmask_b32_e64 v23, v23, 0, s3
	v_add_nc_u32_e32 v22, v23, v22
	s_delay_alu instid0(VALU_DEP_1) | instskip(NEXT) | instid1(VALU_DEP_1)
	v_mov_b32_dpp v23, v22 row_shr:2 row_mask:0xf bank_mask:0xf
	v_cndmask_b32_e64 v23, 0, v23, s0
	s_delay_alu instid0(VALU_DEP_1) | instskip(NEXT) | instid1(VALU_DEP_1)
	v_add_nc_u32_e32 v22, v22, v23
	v_mov_b32_dpp v23, v22 row_shr:4 row_mask:0xf bank_mask:0xf
	s_delay_alu instid0(VALU_DEP_1) | instskip(NEXT) | instid1(VALU_DEP_1)
	v_cndmask_b32_e64 v23, 0, v23, s4
	v_add_nc_u32_e32 v22, v22, v23
	s_delay_alu instid0(VALU_DEP_1) | instskip(NEXT) | instid1(VALU_DEP_1)
	v_mov_b32_dpp v23, v22 row_shr:8 row_mask:0xf bank_mask:0xf
	v_cndmask_b32_e64 v23, 0, v23, s1
	s_delay_alu instid0(VALU_DEP_1)
	v_add_nc_u32_e32 v22, v22, v23
	ds_store_b32 v18, v22
.LBB333_403:
	s_or_b32 exec_lo, exec_lo, s5
	v_mov_b32_e32 v18, 0
	v_mov_b32_e32 v22, 0
	s_mov_b32 s0, exec_lo
	s_waitcnt lgkmcnt(0)
	s_barrier
	buffer_gl0_inv
	v_cmpx_lt_u32_e32 31, v0
	s_cbranch_execz .LBB333_405
; %bb.404:
	v_lshl_add_u32 v22, v43, 2, -4
	ds_load_b32 v22, v22
.LBB333_405:
	s_or_b32 exec_lo, exec_lo, s0
	v_add_nc_u32_e32 v23, -1, v42
	s_waitcnt lgkmcnt(0)
	v_add_nc_u32_e32 v17, v22, v17
	s_delay_alu instid0(VALU_DEP_2) | instskip(SKIP_1) | instid1(VALU_DEP_1)
	v_cmp_gt_i32_e32 vcc_lo, 0, v23
	v_cndmask_b32_e32 v23, v23, v42, vcc_lo
	v_lshlrev_b32_e32 v23, 2, v23
	ds_bpermute_b32 v23, v23, v17
	ds_load_b32 v17, v18 offset:60
	s_and_saveexec_b32 s0, s2
	s_cbranch_execz .LBB333_407
; %bb.406:
	v_mov_b32_e32 v24, 0
	v_mov_b32_e32 v18, 2
	s_waitcnt lgkmcnt(0)
	global_store_b64 v24, v[17:18], s[18:19] offset:256
.LBB333_407:
	s_or_b32 exec_lo, exec_lo, s0
	v_cmp_eq_u32_e32 vcc_lo, 0, v42
	s_waitcnt lgkmcnt(0)
	s_waitcnt_vscnt null, 0x0
	s_barrier
	buffer_gl0_inv
	v_cndmask_b32_e32 v18, v23, v22, vcc_lo
	s_delay_alu instid0(VALU_DEP_1) | instskip(NEXT) | instid1(VALU_DEP_1)
	v_cndmask_b32_e64 v37, v18, 0, s2
	v_dual_mov_b32 v18, 0 :: v_dual_add_nc_u32 v35, v37, v28
	s_delay_alu instid0(VALU_DEP_1) | instskip(NEXT) | instid1(VALU_DEP_1)
	v_add_nc_u32_e32 v33, v35, v30
	v_add_nc_u32_e32 v31, v33, v32
	s_delay_alu instid0(VALU_DEP_1) | instskip(NEXT) | instid1(VALU_DEP_1)
	v_add_nc_u32_e32 v29, v31, v34
	v_add_nc_u32_e32 v27, v29, v36
	;; [unrolled: 3-line block ×3, first 2 shown]
.LBB333_408:
	s_waitcnt lgkmcnt(0)
	v_cmp_gt_u32_e32 vcc_lo, 0x201, v17
	v_lshrrev_b32_e32 v43, 8, v19
	v_lshrrev_b32_e32 v42, 16, v19
	;; [unrolled: 1-line block ×4, first 2 shown]
	s_mov_b32 s0, -1
	s_cbranch_vccnz .LBB333_412
; %bb.409:
	s_and_b32 vcc_lo, exec_lo, s0
	s_cbranch_vccnz .LBB333_437
.LBB333_410:
	s_and_b32 s0, s2, s13
	s_delay_alu instid0(SALU_CYCLE_1)
	s_and_saveexec_b32 s1, s0
	s_cbranch_execnz .LBB333_457
.LBB333_411:
	s_nop 0
	s_sendmsg sendmsg(MSG_DEALLOC_VGPRS)
	s_endpgm
.LBB333_412:
	v_add_nc_u32_e32 v24, v18, v17
	s_delay_alu instid0(VALU_DEP_1) | instskip(SKIP_1) | instid1(SALU_CYCLE_1)
	v_cmp_lt_u32_e32 vcc_lo, v37, v24
	s_or_b32 s1, s22, vcc_lo
	s_and_saveexec_b32 s0, s1
	s_cbranch_execz .LBB333_415
; %bb.413:
	v_and_b32_e32 v26, 1, v19
	s_delay_alu instid0(VALU_DEP_1)
	v_cmp_eq_u32_e32 vcc_lo, 1, v26
	s_and_b32 exec_lo, exec_lo, vcc_lo
	s_cbranch_execz .LBB333_415
; %bb.414:
	v_mov_b32_e32 v38, 0
	s_lshl_b64 s[4:5], s[10:11], 3
	s_delay_alu instid0(SALU_CYCLE_1) | instskip(SKIP_1) | instid1(VALU_DEP_1)
	s_add_u32 s1, s20, s4
	s_addc_u32 s3, s21, s5
	v_lshlrev_b64 v[44:45], 3, v[37:38]
	s_delay_alu instid0(VALU_DEP_1) | instskip(NEXT) | instid1(VALU_DEP_2)
	v_add_co_u32 v44, vcc_lo, s1, v44
	v_add_co_ci_u32_e32 v45, vcc_lo, s3, v45, vcc_lo
	global_store_b64 v[44:45], v[13:14], off
.LBB333_415:
	s_or_b32 exec_lo, exec_lo, s0
	v_cmp_lt_u32_e32 vcc_lo, v35, v24
	s_or_b32 s1, s22, vcc_lo
	s_delay_alu instid0(SALU_CYCLE_1)
	s_and_saveexec_b32 s0, s1
	s_cbranch_execz .LBB333_418
; %bb.416:
	v_and_b32_e32 v26, 1, v43
	s_delay_alu instid0(VALU_DEP_1)
	v_cmp_eq_u32_e32 vcc_lo, 1, v26
	s_and_b32 exec_lo, exec_lo, vcc_lo
	s_cbranch_execz .LBB333_418
; %bb.417:
	v_mov_b32_e32 v36, 0
	s_lshl_b64 s[4:5], s[10:11], 3
	s_delay_alu instid0(SALU_CYCLE_1) | instskip(SKIP_1) | instid1(VALU_DEP_1)
	s_add_u32 s1, s20, s4
	s_addc_u32 s3, s21, s5
	v_lshlrev_b64 v[44:45], 3, v[35:36]
	s_delay_alu instid0(VALU_DEP_1) | instskip(NEXT) | instid1(VALU_DEP_2)
	v_add_co_u32 v44, vcc_lo, s1, v44
	v_add_co_ci_u32_e32 v45, vcc_lo, s3, v45, vcc_lo
	global_store_b64 v[44:45], v[15:16], off
.LBB333_418:
	s_or_b32 exec_lo, exec_lo, s0
	v_cmp_lt_u32_e32 vcc_lo, v33, v24
	s_or_b32 s1, s22, vcc_lo
	s_delay_alu instid0(SALU_CYCLE_1)
	;; [unrolled: 24-line block ×7, first 2 shown]
	s_and_saveexec_b32 s0, s1
	s_cbranch_execz .LBB333_436
; %bb.434:
	v_and_b32_e32 v24, 1, v40
	s_delay_alu instid0(VALU_DEP_1)
	v_cmp_eq_u32_e32 vcc_lo, 1, v24
	s_and_b32 exec_lo, exec_lo, vcc_lo
	s_cbranch_execz .LBB333_436
; %bb.435:
	v_mov_b32_e32 v24, 0
	s_lshl_b64 s[4:5], s[10:11], 3
	s_delay_alu instid0(SALU_CYCLE_1) | instskip(SKIP_1) | instid1(VALU_DEP_1)
	s_add_u32 s1, s20, s4
	s_addc_u32 s3, s21, s5
	v_lshlrev_b64 v[44:45], 3, v[23:24]
	s_delay_alu instid0(VALU_DEP_1) | instskip(NEXT) | instid1(VALU_DEP_2)
	v_add_co_u32 v44, vcc_lo, s1, v44
	v_add_co_ci_u32_e32 v45, vcc_lo, s3, v45, vcc_lo
	global_store_b64 v[44:45], v[3:4], off
.LBB333_436:
	s_or_b32 exec_lo, exec_lo, s0
	s_branch .LBB333_410
.LBB333_437:
	v_and_b32_e32 v19, 1, v19
	s_mov_b32 s0, exec_lo
	s_delay_alu instid0(VALU_DEP_1)
	v_cmpx_eq_u32_e32 1, v19
	s_cbranch_execz .LBB333_439
; %bb.438:
	v_sub_nc_u32_e32 v19, v37, v18
	s_delay_alu instid0(VALU_DEP_1)
	v_lshlrev_b32_e32 v19, 3, v19
	ds_store_b64 v19, v[13:14]
.LBB333_439:
	s_or_b32 exec_lo, exec_lo, s0
	v_and_b32_e32 v13, 1, v43
	s_mov_b32 s0, exec_lo
	s_delay_alu instid0(VALU_DEP_1)
	v_cmpx_eq_u32_e32 1, v13
	s_cbranch_execz .LBB333_441
; %bb.440:
	v_sub_nc_u32_e32 v13, v35, v18
	s_delay_alu instid0(VALU_DEP_1)
	v_lshlrev_b32_e32 v13, 3, v13
	ds_store_b64 v13, v[15:16]
.LBB333_441:
	s_or_b32 exec_lo, exec_lo, s0
	;; [unrolled: 12-line block ×8, first 2 shown]
	s_delay_alu instid0(SALU_CYCLE_1)
	s_mov_b32 s1, exec_lo
	s_waitcnt lgkmcnt(0)
	s_waitcnt_vscnt null, 0x0
	s_barrier
	buffer_gl0_inv
	v_cmpx_lt_u32_e64 v0, v17
	s_cbranch_execz .LBB333_456
; %bb.454:
	v_dual_mov_b32 v2, 0 :: v_dual_mov_b32 v1, v18
	s_lshl_b64 s[4:5], s[10:11], 3
	s_mov_b32 s3, 0
	s_delay_alu instid0(VALU_DEP_1) | instskip(NEXT) | instid1(VALU_DEP_1)
	v_lshlrev_b64 v[1:2], 3, v[1:2]
	v_add_co_u32 v1, vcc_lo, s4, v1
	s_delay_alu instid0(VALU_DEP_2) | instskip(NEXT) | instid1(VALU_DEP_2)
	v_add_co_ci_u32_e32 v2, vcc_lo, s5, v2, vcc_lo
	v_add_co_u32 v1, vcc_lo, s20, v1
	s_delay_alu instid0(VALU_DEP_2) | instskip(NEXT) | instid1(VALU_DEP_2)
	v_add_co_ci_u32_e32 v2, vcc_lo, s21, v2, vcc_lo
	v_add_co_u32 v1, vcc_lo, v1, v39
	s_delay_alu instid0(VALU_DEP_2)
	v_add_co_ci_u32_e32 v2, vcc_lo, 0, v2, vcc_lo
	.p2align	6
.LBB333_455:                            ; =>This Inner Loop Header: Depth=1
	ds_load_b64 v[3:4], v39
	v_add_nc_u32_e32 v0, 0x200, v0
	v_add_nc_u32_e32 v39, 0x1000, v39
	s_delay_alu instid0(VALU_DEP_2) | instskip(SKIP_4) | instid1(VALU_DEP_1)
	v_cmp_ge_u32_e32 vcc_lo, v0, v17
	s_or_b32 s3, vcc_lo, s3
	s_waitcnt lgkmcnt(0)
	global_store_b64 v[1:2], v[3:4], off
	v_add_co_u32 v1, s0, 0x1000, v1
	v_add_co_ci_u32_e64 v2, s0, 0, v2, s0
	s_and_not1_b32 exec_lo, exec_lo, s3
	s_cbranch_execnz .LBB333_455
.LBB333_456:
	s_or_b32 exec_lo, exec_lo, s1
	s_and_b32 s0, s2, s13
	s_delay_alu instid0(SALU_CYCLE_1)
	s_and_saveexec_b32 s1, s0
	s_cbranch_execz .LBB333_411
.LBB333_457:
	v_add_co_u32 v0, s0, s10, v17
	s_delay_alu instid0(VALU_DEP_1) | instskip(SKIP_1) | instid1(VALU_DEP_3)
	v_add_co_ci_u32_e64 v1, null, s11, 0, s0
	v_mov_b32_e32 v2, 0
	v_add_co_u32 v0, vcc_lo, v0, v18
	s_delay_alu instid0(VALU_DEP_3)
	v_add_co_ci_u32_e32 v1, vcc_lo, 0, v1, vcc_lo
	global_store_b64 v2, v[0:1], s[8:9]
	s_nop 0
	s_sendmsg sendmsg(MSG_DEALLOC_VGPRS)
	s_endpgm
	.section	.rodata,"a",@progbits
	.p2align	6, 0x0
	.amdhsa_kernel _ZN7rocprim17ROCPRIM_400000_NS6detail17trampoline_kernelINS0_14default_configENS1_25partition_config_selectorILNS1_17partition_subalgoE8ElNS0_10empty_typeEbEEZZNS1_14partition_implILS5_8ELb0ES3_jPlPS6_PKS6_NS0_5tupleIJS9_S6_EEENSD_IJSA_SA_EEENS0_18inequality_wrapperIZN2at6native12_GLOBAL__N_124unique_dim_cuda_templateIaEESt5tupleIJNSH_6TensorESM_SM_EERKSM_lbbbEUlllE0_EEPmJS6_EEE10hipError_tPvRmT3_T4_T5_T6_T7_T9_mT8_P12ihipStream_tbDpT10_ENKUlT_T0_E_clISt17integral_constantIbLb1EES1C_EEDaS17_S18_EUlS17_E_NS1_11comp_targetILNS1_3genE9ELNS1_11target_archE1100ELNS1_3gpuE3ELNS1_3repE0EEENS1_30default_config_static_selectorELNS0_4arch9wavefront6targetE0EEEvT1_
		.amdhsa_group_segment_fixed_size 33804
		.amdhsa_private_segment_fixed_size 0
		.amdhsa_kernarg_size 136
		.amdhsa_user_sgpr_count 15
		.amdhsa_user_sgpr_dispatch_ptr 0
		.amdhsa_user_sgpr_queue_ptr 0
		.amdhsa_user_sgpr_kernarg_segment_ptr 1
		.amdhsa_user_sgpr_dispatch_id 0
		.amdhsa_user_sgpr_private_segment_size 0
		.amdhsa_wavefront_size32 1
		.amdhsa_uses_dynamic_stack 0
		.amdhsa_enable_private_segment 0
		.amdhsa_system_sgpr_workgroup_id_x 1
		.amdhsa_system_sgpr_workgroup_id_y 0
		.amdhsa_system_sgpr_workgroup_id_z 0
		.amdhsa_system_sgpr_workgroup_info 0
		.amdhsa_system_vgpr_workitem_id 0
		.amdhsa_next_free_vgpr 52
		.amdhsa_next_free_sgpr 38
		.amdhsa_reserve_vcc 1
		.amdhsa_float_round_mode_32 0
		.amdhsa_float_round_mode_16_64 0
		.amdhsa_float_denorm_mode_32 3
		.amdhsa_float_denorm_mode_16_64 3
		.amdhsa_dx10_clamp 1
		.amdhsa_ieee_mode 1
		.amdhsa_fp16_overflow 0
		.amdhsa_workgroup_processor_mode 1
		.amdhsa_memory_ordered 1
		.amdhsa_forward_progress 0
		.amdhsa_shared_vgpr_count 0
		.amdhsa_exception_fp_ieee_invalid_op 0
		.amdhsa_exception_fp_denorm_src 0
		.amdhsa_exception_fp_ieee_div_zero 0
		.amdhsa_exception_fp_ieee_overflow 0
		.amdhsa_exception_fp_ieee_underflow 0
		.amdhsa_exception_fp_ieee_inexact 0
		.amdhsa_exception_int_div_zero 0
	.end_amdhsa_kernel
	.section	.text._ZN7rocprim17ROCPRIM_400000_NS6detail17trampoline_kernelINS0_14default_configENS1_25partition_config_selectorILNS1_17partition_subalgoE8ElNS0_10empty_typeEbEEZZNS1_14partition_implILS5_8ELb0ES3_jPlPS6_PKS6_NS0_5tupleIJS9_S6_EEENSD_IJSA_SA_EEENS0_18inequality_wrapperIZN2at6native12_GLOBAL__N_124unique_dim_cuda_templateIaEESt5tupleIJNSH_6TensorESM_SM_EERKSM_lbbbEUlllE0_EEPmJS6_EEE10hipError_tPvRmT3_T4_T5_T6_T7_T9_mT8_P12ihipStream_tbDpT10_ENKUlT_T0_E_clISt17integral_constantIbLb1EES1C_EEDaS17_S18_EUlS17_E_NS1_11comp_targetILNS1_3genE9ELNS1_11target_archE1100ELNS1_3gpuE3ELNS1_3repE0EEENS1_30default_config_static_selectorELNS0_4arch9wavefront6targetE0EEEvT1_,"axG",@progbits,_ZN7rocprim17ROCPRIM_400000_NS6detail17trampoline_kernelINS0_14default_configENS1_25partition_config_selectorILNS1_17partition_subalgoE8ElNS0_10empty_typeEbEEZZNS1_14partition_implILS5_8ELb0ES3_jPlPS6_PKS6_NS0_5tupleIJS9_S6_EEENSD_IJSA_SA_EEENS0_18inequality_wrapperIZN2at6native12_GLOBAL__N_124unique_dim_cuda_templateIaEESt5tupleIJNSH_6TensorESM_SM_EERKSM_lbbbEUlllE0_EEPmJS6_EEE10hipError_tPvRmT3_T4_T5_T6_T7_T9_mT8_P12ihipStream_tbDpT10_ENKUlT_T0_E_clISt17integral_constantIbLb1EES1C_EEDaS17_S18_EUlS17_E_NS1_11comp_targetILNS1_3genE9ELNS1_11target_archE1100ELNS1_3gpuE3ELNS1_3repE0EEENS1_30default_config_static_selectorELNS0_4arch9wavefront6targetE0EEEvT1_,comdat
.Lfunc_end333:
	.size	_ZN7rocprim17ROCPRIM_400000_NS6detail17trampoline_kernelINS0_14default_configENS1_25partition_config_selectorILNS1_17partition_subalgoE8ElNS0_10empty_typeEbEEZZNS1_14partition_implILS5_8ELb0ES3_jPlPS6_PKS6_NS0_5tupleIJS9_S6_EEENSD_IJSA_SA_EEENS0_18inequality_wrapperIZN2at6native12_GLOBAL__N_124unique_dim_cuda_templateIaEESt5tupleIJNSH_6TensorESM_SM_EERKSM_lbbbEUlllE0_EEPmJS6_EEE10hipError_tPvRmT3_T4_T5_T6_T7_T9_mT8_P12ihipStream_tbDpT10_ENKUlT_T0_E_clISt17integral_constantIbLb1EES1C_EEDaS17_S18_EUlS17_E_NS1_11comp_targetILNS1_3genE9ELNS1_11target_archE1100ELNS1_3gpuE3ELNS1_3repE0EEENS1_30default_config_static_selectorELNS0_4arch9wavefront6targetE0EEEvT1_, .Lfunc_end333-_ZN7rocprim17ROCPRIM_400000_NS6detail17trampoline_kernelINS0_14default_configENS1_25partition_config_selectorILNS1_17partition_subalgoE8ElNS0_10empty_typeEbEEZZNS1_14partition_implILS5_8ELb0ES3_jPlPS6_PKS6_NS0_5tupleIJS9_S6_EEENSD_IJSA_SA_EEENS0_18inequality_wrapperIZN2at6native12_GLOBAL__N_124unique_dim_cuda_templateIaEESt5tupleIJNSH_6TensorESM_SM_EERKSM_lbbbEUlllE0_EEPmJS6_EEE10hipError_tPvRmT3_T4_T5_T6_T7_T9_mT8_P12ihipStream_tbDpT10_ENKUlT_T0_E_clISt17integral_constantIbLb1EES1C_EEDaS17_S18_EUlS17_E_NS1_11comp_targetILNS1_3genE9ELNS1_11target_archE1100ELNS1_3gpuE3ELNS1_3repE0EEENS1_30default_config_static_selectorELNS0_4arch9wavefront6targetE0EEEvT1_
                                        ; -- End function
	.section	.AMDGPU.csdata,"",@progbits
; Kernel info:
; codeLenInByte = 16444
; NumSgprs: 40
; NumVgprs: 52
; ScratchSize: 0
; MemoryBound: 0
; FloatMode: 240
; IeeeMode: 1
; LDSByteSize: 33804 bytes/workgroup (compile time only)
; SGPRBlocks: 4
; VGPRBlocks: 6
; NumSGPRsForWavesPerEU: 40
; NumVGPRsForWavesPerEU: 52
; Occupancy: 12
; WaveLimiterHint : 1
; COMPUTE_PGM_RSRC2:SCRATCH_EN: 0
; COMPUTE_PGM_RSRC2:USER_SGPR: 15
; COMPUTE_PGM_RSRC2:TRAP_HANDLER: 0
; COMPUTE_PGM_RSRC2:TGID_X_EN: 1
; COMPUTE_PGM_RSRC2:TGID_Y_EN: 0
; COMPUTE_PGM_RSRC2:TGID_Z_EN: 0
; COMPUTE_PGM_RSRC2:TIDIG_COMP_CNT: 0
	.section	.text._ZN7rocprim17ROCPRIM_400000_NS6detail17trampoline_kernelINS0_14default_configENS1_25partition_config_selectorILNS1_17partition_subalgoE8ElNS0_10empty_typeEbEEZZNS1_14partition_implILS5_8ELb0ES3_jPlPS6_PKS6_NS0_5tupleIJS9_S6_EEENSD_IJSA_SA_EEENS0_18inequality_wrapperIZN2at6native12_GLOBAL__N_124unique_dim_cuda_templateIaEESt5tupleIJNSH_6TensorESM_SM_EERKSM_lbbbEUlllE0_EEPmJS6_EEE10hipError_tPvRmT3_T4_T5_T6_T7_T9_mT8_P12ihipStream_tbDpT10_ENKUlT_T0_E_clISt17integral_constantIbLb1EES1C_EEDaS17_S18_EUlS17_E_NS1_11comp_targetILNS1_3genE8ELNS1_11target_archE1030ELNS1_3gpuE2ELNS1_3repE0EEENS1_30default_config_static_selectorELNS0_4arch9wavefront6targetE0EEEvT1_,"axG",@progbits,_ZN7rocprim17ROCPRIM_400000_NS6detail17trampoline_kernelINS0_14default_configENS1_25partition_config_selectorILNS1_17partition_subalgoE8ElNS0_10empty_typeEbEEZZNS1_14partition_implILS5_8ELb0ES3_jPlPS6_PKS6_NS0_5tupleIJS9_S6_EEENSD_IJSA_SA_EEENS0_18inequality_wrapperIZN2at6native12_GLOBAL__N_124unique_dim_cuda_templateIaEESt5tupleIJNSH_6TensorESM_SM_EERKSM_lbbbEUlllE0_EEPmJS6_EEE10hipError_tPvRmT3_T4_T5_T6_T7_T9_mT8_P12ihipStream_tbDpT10_ENKUlT_T0_E_clISt17integral_constantIbLb1EES1C_EEDaS17_S18_EUlS17_E_NS1_11comp_targetILNS1_3genE8ELNS1_11target_archE1030ELNS1_3gpuE2ELNS1_3repE0EEENS1_30default_config_static_selectorELNS0_4arch9wavefront6targetE0EEEvT1_,comdat
	.globl	_ZN7rocprim17ROCPRIM_400000_NS6detail17trampoline_kernelINS0_14default_configENS1_25partition_config_selectorILNS1_17partition_subalgoE8ElNS0_10empty_typeEbEEZZNS1_14partition_implILS5_8ELb0ES3_jPlPS6_PKS6_NS0_5tupleIJS9_S6_EEENSD_IJSA_SA_EEENS0_18inequality_wrapperIZN2at6native12_GLOBAL__N_124unique_dim_cuda_templateIaEESt5tupleIJNSH_6TensorESM_SM_EERKSM_lbbbEUlllE0_EEPmJS6_EEE10hipError_tPvRmT3_T4_T5_T6_T7_T9_mT8_P12ihipStream_tbDpT10_ENKUlT_T0_E_clISt17integral_constantIbLb1EES1C_EEDaS17_S18_EUlS17_E_NS1_11comp_targetILNS1_3genE8ELNS1_11target_archE1030ELNS1_3gpuE2ELNS1_3repE0EEENS1_30default_config_static_selectorELNS0_4arch9wavefront6targetE0EEEvT1_ ; -- Begin function _ZN7rocprim17ROCPRIM_400000_NS6detail17trampoline_kernelINS0_14default_configENS1_25partition_config_selectorILNS1_17partition_subalgoE8ElNS0_10empty_typeEbEEZZNS1_14partition_implILS5_8ELb0ES3_jPlPS6_PKS6_NS0_5tupleIJS9_S6_EEENSD_IJSA_SA_EEENS0_18inequality_wrapperIZN2at6native12_GLOBAL__N_124unique_dim_cuda_templateIaEESt5tupleIJNSH_6TensorESM_SM_EERKSM_lbbbEUlllE0_EEPmJS6_EEE10hipError_tPvRmT3_T4_T5_T6_T7_T9_mT8_P12ihipStream_tbDpT10_ENKUlT_T0_E_clISt17integral_constantIbLb1EES1C_EEDaS17_S18_EUlS17_E_NS1_11comp_targetILNS1_3genE8ELNS1_11target_archE1030ELNS1_3gpuE2ELNS1_3repE0EEENS1_30default_config_static_selectorELNS0_4arch9wavefront6targetE0EEEvT1_
	.p2align	8
	.type	_ZN7rocprim17ROCPRIM_400000_NS6detail17trampoline_kernelINS0_14default_configENS1_25partition_config_selectorILNS1_17partition_subalgoE8ElNS0_10empty_typeEbEEZZNS1_14partition_implILS5_8ELb0ES3_jPlPS6_PKS6_NS0_5tupleIJS9_S6_EEENSD_IJSA_SA_EEENS0_18inequality_wrapperIZN2at6native12_GLOBAL__N_124unique_dim_cuda_templateIaEESt5tupleIJNSH_6TensorESM_SM_EERKSM_lbbbEUlllE0_EEPmJS6_EEE10hipError_tPvRmT3_T4_T5_T6_T7_T9_mT8_P12ihipStream_tbDpT10_ENKUlT_T0_E_clISt17integral_constantIbLb1EES1C_EEDaS17_S18_EUlS17_E_NS1_11comp_targetILNS1_3genE8ELNS1_11target_archE1030ELNS1_3gpuE2ELNS1_3repE0EEENS1_30default_config_static_selectorELNS0_4arch9wavefront6targetE0EEEvT1_,@function
_ZN7rocprim17ROCPRIM_400000_NS6detail17trampoline_kernelINS0_14default_configENS1_25partition_config_selectorILNS1_17partition_subalgoE8ElNS0_10empty_typeEbEEZZNS1_14partition_implILS5_8ELb0ES3_jPlPS6_PKS6_NS0_5tupleIJS9_S6_EEENSD_IJSA_SA_EEENS0_18inequality_wrapperIZN2at6native12_GLOBAL__N_124unique_dim_cuda_templateIaEESt5tupleIJNSH_6TensorESM_SM_EERKSM_lbbbEUlllE0_EEPmJS6_EEE10hipError_tPvRmT3_T4_T5_T6_T7_T9_mT8_P12ihipStream_tbDpT10_ENKUlT_T0_E_clISt17integral_constantIbLb1EES1C_EEDaS17_S18_EUlS17_E_NS1_11comp_targetILNS1_3genE8ELNS1_11target_archE1030ELNS1_3gpuE2ELNS1_3repE0EEENS1_30default_config_static_selectorELNS0_4arch9wavefront6targetE0EEEvT1_: ; @_ZN7rocprim17ROCPRIM_400000_NS6detail17trampoline_kernelINS0_14default_configENS1_25partition_config_selectorILNS1_17partition_subalgoE8ElNS0_10empty_typeEbEEZZNS1_14partition_implILS5_8ELb0ES3_jPlPS6_PKS6_NS0_5tupleIJS9_S6_EEENSD_IJSA_SA_EEENS0_18inequality_wrapperIZN2at6native12_GLOBAL__N_124unique_dim_cuda_templateIaEESt5tupleIJNSH_6TensorESM_SM_EERKSM_lbbbEUlllE0_EEPmJS6_EEE10hipError_tPvRmT3_T4_T5_T6_T7_T9_mT8_P12ihipStream_tbDpT10_ENKUlT_T0_E_clISt17integral_constantIbLb1EES1C_EEDaS17_S18_EUlS17_E_NS1_11comp_targetILNS1_3genE8ELNS1_11target_archE1030ELNS1_3gpuE2ELNS1_3repE0EEENS1_30default_config_static_selectorELNS0_4arch9wavefront6targetE0EEEvT1_
; %bb.0:
	.section	.rodata,"a",@progbits
	.p2align	6, 0x0
	.amdhsa_kernel _ZN7rocprim17ROCPRIM_400000_NS6detail17trampoline_kernelINS0_14default_configENS1_25partition_config_selectorILNS1_17partition_subalgoE8ElNS0_10empty_typeEbEEZZNS1_14partition_implILS5_8ELb0ES3_jPlPS6_PKS6_NS0_5tupleIJS9_S6_EEENSD_IJSA_SA_EEENS0_18inequality_wrapperIZN2at6native12_GLOBAL__N_124unique_dim_cuda_templateIaEESt5tupleIJNSH_6TensorESM_SM_EERKSM_lbbbEUlllE0_EEPmJS6_EEE10hipError_tPvRmT3_T4_T5_T6_T7_T9_mT8_P12ihipStream_tbDpT10_ENKUlT_T0_E_clISt17integral_constantIbLb1EES1C_EEDaS17_S18_EUlS17_E_NS1_11comp_targetILNS1_3genE8ELNS1_11target_archE1030ELNS1_3gpuE2ELNS1_3repE0EEENS1_30default_config_static_selectorELNS0_4arch9wavefront6targetE0EEEvT1_
		.amdhsa_group_segment_fixed_size 0
		.amdhsa_private_segment_fixed_size 0
		.amdhsa_kernarg_size 136
		.amdhsa_user_sgpr_count 15
		.amdhsa_user_sgpr_dispatch_ptr 0
		.amdhsa_user_sgpr_queue_ptr 0
		.amdhsa_user_sgpr_kernarg_segment_ptr 1
		.amdhsa_user_sgpr_dispatch_id 0
		.amdhsa_user_sgpr_private_segment_size 0
		.amdhsa_wavefront_size32 1
		.amdhsa_uses_dynamic_stack 0
		.amdhsa_enable_private_segment 0
		.amdhsa_system_sgpr_workgroup_id_x 1
		.amdhsa_system_sgpr_workgroup_id_y 0
		.amdhsa_system_sgpr_workgroup_id_z 0
		.amdhsa_system_sgpr_workgroup_info 0
		.amdhsa_system_vgpr_workitem_id 0
		.amdhsa_next_free_vgpr 1
		.amdhsa_next_free_sgpr 1
		.amdhsa_reserve_vcc 0
		.amdhsa_float_round_mode_32 0
		.amdhsa_float_round_mode_16_64 0
		.amdhsa_float_denorm_mode_32 3
		.amdhsa_float_denorm_mode_16_64 3
		.amdhsa_dx10_clamp 1
		.amdhsa_ieee_mode 1
		.amdhsa_fp16_overflow 0
		.amdhsa_workgroup_processor_mode 1
		.amdhsa_memory_ordered 1
		.amdhsa_forward_progress 0
		.amdhsa_shared_vgpr_count 0
		.amdhsa_exception_fp_ieee_invalid_op 0
		.amdhsa_exception_fp_denorm_src 0
		.amdhsa_exception_fp_ieee_div_zero 0
		.amdhsa_exception_fp_ieee_overflow 0
		.amdhsa_exception_fp_ieee_underflow 0
		.amdhsa_exception_fp_ieee_inexact 0
		.amdhsa_exception_int_div_zero 0
	.end_amdhsa_kernel
	.section	.text._ZN7rocprim17ROCPRIM_400000_NS6detail17trampoline_kernelINS0_14default_configENS1_25partition_config_selectorILNS1_17partition_subalgoE8ElNS0_10empty_typeEbEEZZNS1_14partition_implILS5_8ELb0ES3_jPlPS6_PKS6_NS0_5tupleIJS9_S6_EEENSD_IJSA_SA_EEENS0_18inequality_wrapperIZN2at6native12_GLOBAL__N_124unique_dim_cuda_templateIaEESt5tupleIJNSH_6TensorESM_SM_EERKSM_lbbbEUlllE0_EEPmJS6_EEE10hipError_tPvRmT3_T4_T5_T6_T7_T9_mT8_P12ihipStream_tbDpT10_ENKUlT_T0_E_clISt17integral_constantIbLb1EES1C_EEDaS17_S18_EUlS17_E_NS1_11comp_targetILNS1_3genE8ELNS1_11target_archE1030ELNS1_3gpuE2ELNS1_3repE0EEENS1_30default_config_static_selectorELNS0_4arch9wavefront6targetE0EEEvT1_,"axG",@progbits,_ZN7rocprim17ROCPRIM_400000_NS6detail17trampoline_kernelINS0_14default_configENS1_25partition_config_selectorILNS1_17partition_subalgoE8ElNS0_10empty_typeEbEEZZNS1_14partition_implILS5_8ELb0ES3_jPlPS6_PKS6_NS0_5tupleIJS9_S6_EEENSD_IJSA_SA_EEENS0_18inequality_wrapperIZN2at6native12_GLOBAL__N_124unique_dim_cuda_templateIaEESt5tupleIJNSH_6TensorESM_SM_EERKSM_lbbbEUlllE0_EEPmJS6_EEE10hipError_tPvRmT3_T4_T5_T6_T7_T9_mT8_P12ihipStream_tbDpT10_ENKUlT_T0_E_clISt17integral_constantIbLb1EES1C_EEDaS17_S18_EUlS17_E_NS1_11comp_targetILNS1_3genE8ELNS1_11target_archE1030ELNS1_3gpuE2ELNS1_3repE0EEENS1_30default_config_static_selectorELNS0_4arch9wavefront6targetE0EEEvT1_,comdat
.Lfunc_end334:
	.size	_ZN7rocprim17ROCPRIM_400000_NS6detail17trampoline_kernelINS0_14default_configENS1_25partition_config_selectorILNS1_17partition_subalgoE8ElNS0_10empty_typeEbEEZZNS1_14partition_implILS5_8ELb0ES3_jPlPS6_PKS6_NS0_5tupleIJS9_S6_EEENSD_IJSA_SA_EEENS0_18inequality_wrapperIZN2at6native12_GLOBAL__N_124unique_dim_cuda_templateIaEESt5tupleIJNSH_6TensorESM_SM_EERKSM_lbbbEUlllE0_EEPmJS6_EEE10hipError_tPvRmT3_T4_T5_T6_T7_T9_mT8_P12ihipStream_tbDpT10_ENKUlT_T0_E_clISt17integral_constantIbLb1EES1C_EEDaS17_S18_EUlS17_E_NS1_11comp_targetILNS1_3genE8ELNS1_11target_archE1030ELNS1_3gpuE2ELNS1_3repE0EEENS1_30default_config_static_selectorELNS0_4arch9wavefront6targetE0EEEvT1_, .Lfunc_end334-_ZN7rocprim17ROCPRIM_400000_NS6detail17trampoline_kernelINS0_14default_configENS1_25partition_config_selectorILNS1_17partition_subalgoE8ElNS0_10empty_typeEbEEZZNS1_14partition_implILS5_8ELb0ES3_jPlPS6_PKS6_NS0_5tupleIJS9_S6_EEENSD_IJSA_SA_EEENS0_18inequality_wrapperIZN2at6native12_GLOBAL__N_124unique_dim_cuda_templateIaEESt5tupleIJNSH_6TensorESM_SM_EERKSM_lbbbEUlllE0_EEPmJS6_EEE10hipError_tPvRmT3_T4_T5_T6_T7_T9_mT8_P12ihipStream_tbDpT10_ENKUlT_T0_E_clISt17integral_constantIbLb1EES1C_EEDaS17_S18_EUlS17_E_NS1_11comp_targetILNS1_3genE8ELNS1_11target_archE1030ELNS1_3gpuE2ELNS1_3repE0EEENS1_30default_config_static_selectorELNS0_4arch9wavefront6targetE0EEEvT1_
                                        ; -- End function
	.section	.AMDGPU.csdata,"",@progbits
; Kernel info:
; codeLenInByte = 0
; NumSgprs: 0
; NumVgprs: 0
; ScratchSize: 0
; MemoryBound: 0
; FloatMode: 240
; IeeeMode: 1
; LDSByteSize: 0 bytes/workgroup (compile time only)
; SGPRBlocks: 0
; VGPRBlocks: 0
; NumSGPRsForWavesPerEU: 1
; NumVGPRsForWavesPerEU: 1
; Occupancy: 16
; WaveLimiterHint : 0
; COMPUTE_PGM_RSRC2:SCRATCH_EN: 0
; COMPUTE_PGM_RSRC2:USER_SGPR: 15
; COMPUTE_PGM_RSRC2:TRAP_HANDLER: 0
; COMPUTE_PGM_RSRC2:TGID_X_EN: 1
; COMPUTE_PGM_RSRC2:TGID_Y_EN: 0
; COMPUTE_PGM_RSRC2:TGID_Z_EN: 0
; COMPUTE_PGM_RSRC2:TIDIG_COMP_CNT: 0
	.section	.text._ZN7rocprim17ROCPRIM_400000_NS6detail17trampoline_kernelINS0_14default_configENS1_25partition_config_selectorILNS1_17partition_subalgoE8ElNS0_10empty_typeEbEEZZNS1_14partition_implILS5_8ELb0ES3_jPlPS6_PKS6_NS0_5tupleIJS9_S6_EEENSD_IJSA_SA_EEENS0_18inequality_wrapperIZN2at6native12_GLOBAL__N_124unique_dim_cuda_templateIaEESt5tupleIJNSH_6TensorESM_SM_EERKSM_lbbbEUlllE0_EEPmJS6_EEE10hipError_tPvRmT3_T4_T5_T6_T7_T9_mT8_P12ihipStream_tbDpT10_ENKUlT_T0_E_clISt17integral_constantIbLb1EES1B_IbLb0EEEEDaS17_S18_EUlS17_E_NS1_11comp_targetILNS1_3genE0ELNS1_11target_archE4294967295ELNS1_3gpuE0ELNS1_3repE0EEENS1_30default_config_static_selectorELNS0_4arch9wavefront6targetE0EEEvT1_,"axG",@progbits,_ZN7rocprim17ROCPRIM_400000_NS6detail17trampoline_kernelINS0_14default_configENS1_25partition_config_selectorILNS1_17partition_subalgoE8ElNS0_10empty_typeEbEEZZNS1_14partition_implILS5_8ELb0ES3_jPlPS6_PKS6_NS0_5tupleIJS9_S6_EEENSD_IJSA_SA_EEENS0_18inequality_wrapperIZN2at6native12_GLOBAL__N_124unique_dim_cuda_templateIaEESt5tupleIJNSH_6TensorESM_SM_EERKSM_lbbbEUlllE0_EEPmJS6_EEE10hipError_tPvRmT3_T4_T5_T6_T7_T9_mT8_P12ihipStream_tbDpT10_ENKUlT_T0_E_clISt17integral_constantIbLb1EES1B_IbLb0EEEEDaS17_S18_EUlS17_E_NS1_11comp_targetILNS1_3genE0ELNS1_11target_archE4294967295ELNS1_3gpuE0ELNS1_3repE0EEENS1_30default_config_static_selectorELNS0_4arch9wavefront6targetE0EEEvT1_,comdat
	.globl	_ZN7rocprim17ROCPRIM_400000_NS6detail17trampoline_kernelINS0_14default_configENS1_25partition_config_selectorILNS1_17partition_subalgoE8ElNS0_10empty_typeEbEEZZNS1_14partition_implILS5_8ELb0ES3_jPlPS6_PKS6_NS0_5tupleIJS9_S6_EEENSD_IJSA_SA_EEENS0_18inequality_wrapperIZN2at6native12_GLOBAL__N_124unique_dim_cuda_templateIaEESt5tupleIJNSH_6TensorESM_SM_EERKSM_lbbbEUlllE0_EEPmJS6_EEE10hipError_tPvRmT3_T4_T5_T6_T7_T9_mT8_P12ihipStream_tbDpT10_ENKUlT_T0_E_clISt17integral_constantIbLb1EES1B_IbLb0EEEEDaS17_S18_EUlS17_E_NS1_11comp_targetILNS1_3genE0ELNS1_11target_archE4294967295ELNS1_3gpuE0ELNS1_3repE0EEENS1_30default_config_static_selectorELNS0_4arch9wavefront6targetE0EEEvT1_ ; -- Begin function _ZN7rocprim17ROCPRIM_400000_NS6detail17trampoline_kernelINS0_14default_configENS1_25partition_config_selectorILNS1_17partition_subalgoE8ElNS0_10empty_typeEbEEZZNS1_14partition_implILS5_8ELb0ES3_jPlPS6_PKS6_NS0_5tupleIJS9_S6_EEENSD_IJSA_SA_EEENS0_18inequality_wrapperIZN2at6native12_GLOBAL__N_124unique_dim_cuda_templateIaEESt5tupleIJNSH_6TensorESM_SM_EERKSM_lbbbEUlllE0_EEPmJS6_EEE10hipError_tPvRmT3_T4_T5_T6_T7_T9_mT8_P12ihipStream_tbDpT10_ENKUlT_T0_E_clISt17integral_constantIbLb1EES1B_IbLb0EEEEDaS17_S18_EUlS17_E_NS1_11comp_targetILNS1_3genE0ELNS1_11target_archE4294967295ELNS1_3gpuE0ELNS1_3repE0EEENS1_30default_config_static_selectorELNS0_4arch9wavefront6targetE0EEEvT1_
	.p2align	8
	.type	_ZN7rocprim17ROCPRIM_400000_NS6detail17trampoline_kernelINS0_14default_configENS1_25partition_config_selectorILNS1_17partition_subalgoE8ElNS0_10empty_typeEbEEZZNS1_14partition_implILS5_8ELb0ES3_jPlPS6_PKS6_NS0_5tupleIJS9_S6_EEENSD_IJSA_SA_EEENS0_18inequality_wrapperIZN2at6native12_GLOBAL__N_124unique_dim_cuda_templateIaEESt5tupleIJNSH_6TensorESM_SM_EERKSM_lbbbEUlllE0_EEPmJS6_EEE10hipError_tPvRmT3_T4_T5_T6_T7_T9_mT8_P12ihipStream_tbDpT10_ENKUlT_T0_E_clISt17integral_constantIbLb1EES1B_IbLb0EEEEDaS17_S18_EUlS17_E_NS1_11comp_targetILNS1_3genE0ELNS1_11target_archE4294967295ELNS1_3gpuE0ELNS1_3repE0EEENS1_30default_config_static_selectorELNS0_4arch9wavefront6targetE0EEEvT1_,@function
_ZN7rocprim17ROCPRIM_400000_NS6detail17trampoline_kernelINS0_14default_configENS1_25partition_config_selectorILNS1_17partition_subalgoE8ElNS0_10empty_typeEbEEZZNS1_14partition_implILS5_8ELb0ES3_jPlPS6_PKS6_NS0_5tupleIJS9_S6_EEENSD_IJSA_SA_EEENS0_18inequality_wrapperIZN2at6native12_GLOBAL__N_124unique_dim_cuda_templateIaEESt5tupleIJNSH_6TensorESM_SM_EERKSM_lbbbEUlllE0_EEPmJS6_EEE10hipError_tPvRmT3_T4_T5_T6_T7_T9_mT8_P12ihipStream_tbDpT10_ENKUlT_T0_E_clISt17integral_constantIbLb1EES1B_IbLb0EEEEDaS17_S18_EUlS17_E_NS1_11comp_targetILNS1_3genE0ELNS1_11target_archE4294967295ELNS1_3gpuE0ELNS1_3repE0EEENS1_30default_config_static_selectorELNS0_4arch9wavefront6targetE0EEEvT1_: ; @_ZN7rocprim17ROCPRIM_400000_NS6detail17trampoline_kernelINS0_14default_configENS1_25partition_config_selectorILNS1_17partition_subalgoE8ElNS0_10empty_typeEbEEZZNS1_14partition_implILS5_8ELb0ES3_jPlPS6_PKS6_NS0_5tupleIJS9_S6_EEENSD_IJSA_SA_EEENS0_18inequality_wrapperIZN2at6native12_GLOBAL__N_124unique_dim_cuda_templateIaEESt5tupleIJNSH_6TensorESM_SM_EERKSM_lbbbEUlllE0_EEPmJS6_EEE10hipError_tPvRmT3_T4_T5_T6_T7_T9_mT8_P12ihipStream_tbDpT10_ENKUlT_T0_E_clISt17integral_constantIbLb1EES1B_IbLb0EEEEDaS17_S18_EUlS17_E_NS1_11comp_targetILNS1_3genE0ELNS1_11target_archE4294967295ELNS1_3gpuE0ELNS1_3repE0EEENS1_30default_config_static_selectorELNS0_4arch9wavefront6targetE0EEEvT1_
; %bb.0:
	.section	.rodata,"a",@progbits
	.p2align	6, 0x0
	.amdhsa_kernel _ZN7rocprim17ROCPRIM_400000_NS6detail17trampoline_kernelINS0_14default_configENS1_25partition_config_selectorILNS1_17partition_subalgoE8ElNS0_10empty_typeEbEEZZNS1_14partition_implILS5_8ELb0ES3_jPlPS6_PKS6_NS0_5tupleIJS9_S6_EEENSD_IJSA_SA_EEENS0_18inequality_wrapperIZN2at6native12_GLOBAL__N_124unique_dim_cuda_templateIaEESt5tupleIJNSH_6TensorESM_SM_EERKSM_lbbbEUlllE0_EEPmJS6_EEE10hipError_tPvRmT3_T4_T5_T6_T7_T9_mT8_P12ihipStream_tbDpT10_ENKUlT_T0_E_clISt17integral_constantIbLb1EES1B_IbLb0EEEEDaS17_S18_EUlS17_E_NS1_11comp_targetILNS1_3genE0ELNS1_11target_archE4294967295ELNS1_3gpuE0ELNS1_3repE0EEENS1_30default_config_static_selectorELNS0_4arch9wavefront6targetE0EEEvT1_
		.amdhsa_group_segment_fixed_size 0
		.amdhsa_private_segment_fixed_size 0
		.amdhsa_kernarg_size 120
		.amdhsa_user_sgpr_count 15
		.amdhsa_user_sgpr_dispatch_ptr 0
		.amdhsa_user_sgpr_queue_ptr 0
		.amdhsa_user_sgpr_kernarg_segment_ptr 1
		.amdhsa_user_sgpr_dispatch_id 0
		.amdhsa_user_sgpr_private_segment_size 0
		.amdhsa_wavefront_size32 1
		.amdhsa_uses_dynamic_stack 0
		.amdhsa_enable_private_segment 0
		.amdhsa_system_sgpr_workgroup_id_x 1
		.amdhsa_system_sgpr_workgroup_id_y 0
		.amdhsa_system_sgpr_workgroup_id_z 0
		.amdhsa_system_sgpr_workgroup_info 0
		.amdhsa_system_vgpr_workitem_id 0
		.amdhsa_next_free_vgpr 1
		.amdhsa_next_free_sgpr 1
		.amdhsa_reserve_vcc 0
		.amdhsa_float_round_mode_32 0
		.amdhsa_float_round_mode_16_64 0
		.amdhsa_float_denorm_mode_32 3
		.amdhsa_float_denorm_mode_16_64 3
		.amdhsa_dx10_clamp 1
		.amdhsa_ieee_mode 1
		.amdhsa_fp16_overflow 0
		.amdhsa_workgroup_processor_mode 1
		.amdhsa_memory_ordered 1
		.amdhsa_forward_progress 0
		.amdhsa_shared_vgpr_count 0
		.amdhsa_exception_fp_ieee_invalid_op 0
		.amdhsa_exception_fp_denorm_src 0
		.amdhsa_exception_fp_ieee_div_zero 0
		.amdhsa_exception_fp_ieee_overflow 0
		.amdhsa_exception_fp_ieee_underflow 0
		.amdhsa_exception_fp_ieee_inexact 0
		.amdhsa_exception_int_div_zero 0
	.end_amdhsa_kernel
	.section	.text._ZN7rocprim17ROCPRIM_400000_NS6detail17trampoline_kernelINS0_14default_configENS1_25partition_config_selectorILNS1_17partition_subalgoE8ElNS0_10empty_typeEbEEZZNS1_14partition_implILS5_8ELb0ES3_jPlPS6_PKS6_NS0_5tupleIJS9_S6_EEENSD_IJSA_SA_EEENS0_18inequality_wrapperIZN2at6native12_GLOBAL__N_124unique_dim_cuda_templateIaEESt5tupleIJNSH_6TensorESM_SM_EERKSM_lbbbEUlllE0_EEPmJS6_EEE10hipError_tPvRmT3_T4_T5_T6_T7_T9_mT8_P12ihipStream_tbDpT10_ENKUlT_T0_E_clISt17integral_constantIbLb1EES1B_IbLb0EEEEDaS17_S18_EUlS17_E_NS1_11comp_targetILNS1_3genE0ELNS1_11target_archE4294967295ELNS1_3gpuE0ELNS1_3repE0EEENS1_30default_config_static_selectorELNS0_4arch9wavefront6targetE0EEEvT1_,"axG",@progbits,_ZN7rocprim17ROCPRIM_400000_NS6detail17trampoline_kernelINS0_14default_configENS1_25partition_config_selectorILNS1_17partition_subalgoE8ElNS0_10empty_typeEbEEZZNS1_14partition_implILS5_8ELb0ES3_jPlPS6_PKS6_NS0_5tupleIJS9_S6_EEENSD_IJSA_SA_EEENS0_18inequality_wrapperIZN2at6native12_GLOBAL__N_124unique_dim_cuda_templateIaEESt5tupleIJNSH_6TensorESM_SM_EERKSM_lbbbEUlllE0_EEPmJS6_EEE10hipError_tPvRmT3_T4_T5_T6_T7_T9_mT8_P12ihipStream_tbDpT10_ENKUlT_T0_E_clISt17integral_constantIbLb1EES1B_IbLb0EEEEDaS17_S18_EUlS17_E_NS1_11comp_targetILNS1_3genE0ELNS1_11target_archE4294967295ELNS1_3gpuE0ELNS1_3repE0EEENS1_30default_config_static_selectorELNS0_4arch9wavefront6targetE0EEEvT1_,comdat
.Lfunc_end335:
	.size	_ZN7rocprim17ROCPRIM_400000_NS6detail17trampoline_kernelINS0_14default_configENS1_25partition_config_selectorILNS1_17partition_subalgoE8ElNS0_10empty_typeEbEEZZNS1_14partition_implILS5_8ELb0ES3_jPlPS6_PKS6_NS0_5tupleIJS9_S6_EEENSD_IJSA_SA_EEENS0_18inequality_wrapperIZN2at6native12_GLOBAL__N_124unique_dim_cuda_templateIaEESt5tupleIJNSH_6TensorESM_SM_EERKSM_lbbbEUlllE0_EEPmJS6_EEE10hipError_tPvRmT3_T4_T5_T6_T7_T9_mT8_P12ihipStream_tbDpT10_ENKUlT_T0_E_clISt17integral_constantIbLb1EES1B_IbLb0EEEEDaS17_S18_EUlS17_E_NS1_11comp_targetILNS1_3genE0ELNS1_11target_archE4294967295ELNS1_3gpuE0ELNS1_3repE0EEENS1_30default_config_static_selectorELNS0_4arch9wavefront6targetE0EEEvT1_, .Lfunc_end335-_ZN7rocprim17ROCPRIM_400000_NS6detail17trampoline_kernelINS0_14default_configENS1_25partition_config_selectorILNS1_17partition_subalgoE8ElNS0_10empty_typeEbEEZZNS1_14partition_implILS5_8ELb0ES3_jPlPS6_PKS6_NS0_5tupleIJS9_S6_EEENSD_IJSA_SA_EEENS0_18inequality_wrapperIZN2at6native12_GLOBAL__N_124unique_dim_cuda_templateIaEESt5tupleIJNSH_6TensorESM_SM_EERKSM_lbbbEUlllE0_EEPmJS6_EEE10hipError_tPvRmT3_T4_T5_T6_T7_T9_mT8_P12ihipStream_tbDpT10_ENKUlT_T0_E_clISt17integral_constantIbLb1EES1B_IbLb0EEEEDaS17_S18_EUlS17_E_NS1_11comp_targetILNS1_3genE0ELNS1_11target_archE4294967295ELNS1_3gpuE0ELNS1_3repE0EEENS1_30default_config_static_selectorELNS0_4arch9wavefront6targetE0EEEvT1_
                                        ; -- End function
	.section	.AMDGPU.csdata,"",@progbits
; Kernel info:
; codeLenInByte = 0
; NumSgprs: 0
; NumVgprs: 0
; ScratchSize: 0
; MemoryBound: 0
; FloatMode: 240
; IeeeMode: 1
; LDSByteSize: 0 bytes/workgroup (compile time only)
; SGPRBlocks: 0
; VGPRBlocks: 0
; NumSGPRsForWavesPerEU: 1
; NumVGPRsForWavesPerEU: 1
; Occupancy: 16
; WaveLimiterHint : 0
; COMPUTE_PGM_RSRC2:SCRATCH_EN: 0
; COMPUTE_PGM_RSRC2:USER_SGPR: 15
; COMPUTE_PGM_RSRC2:TRAP_HANDLER: 0
; COMPUTE_PGM_RSRC2:TGID_X_EN: 1
; COMPUTE_PGM_RSRC2:TGID_Y_EN: 0
; COMPUTE_PGM_RSRC2:TGID_Z_EN: 0
; COMPUTE_PGM_RSRC2:TIDIG_COMP_CNT: 0
	.section	.text._ZN7rocprim17ROCPRIM_400000_NS6detail17trampoline_kernelINS0_14default_configENS1_25partition_config_selectorILNS1_17partition_subalgoE8ElNS0_10empty_typeEbEEZZNS1_14partition_implILS5_8ELb0ES3_jPlPS6_PKS6_NS0_5tupleIJS9_S6_EEENSD_IJSA_SA_EEENS0_18inequality_wrapperIZN2at6native12_GLOBAL__N_124unique_dim_cuda_templateIaEESt5tupleIJNSH_6TensorESM_SM_EERKSM_lbbbEUlllE0_EEPmJS6_EEE10hipError_tPvRmT3_T4_T5_T6_T7_T9_mT8_P12ihipStream_tbDpT10_ENKUlT_T0_E_clISt17integral_constantIbLb1EES1B_IbLb0EEEEDaS17_S18_EUlS17_E_NS1_11comp_targetILNS1_3genE5ELNS1_11target_archE942ELNS1_3gpuE9ELNS1_3repE0EEENS1_30default_config_static_selectorELNS0_4arch9wavefront6targetE0EEEvT1_,"axG",@progbits,_ZN7rocprim17ROCPRIM_400000_NS6detail17trampoline_kernelINS0_14default_configENS1_25partition_config_selectorILNS1_17partition_subalgoE8ElNS0_10empty_typeEbEEZZNS1_14partition_implILS5_8ELb0ES3_jPlPS6_PKS6_NS0_5tupleIJS9_S6_EEENSD_IJSA_SA_EEENS0_18inequality_wrapperIZN2at6native12_GLOBAL__N_124unique_dim_cuda_templateIaEESt5tupleIJNSH_6TensorESM_SM_EERKSM_lbbbEUlllE0_EEPmJS6_EEE10hipError_tPvRmT3_T4_T5_T6_T7_T9_mT8_P12ihipStream_tbDpT10_ENKUlT_T0_E_clISt17integral_constantIbLb1EES1B_IbLb0EEEEDaS17_S18_EUlS17_E_NS1_11comp_targetILNS1_3genE5ELNS1_11target_archE942ELNS1_3gpuE9ELNS1_3repE0EEENS1_30default_config_static_selectorELNS0_4arch9wavefront6targetE0EEEvT1_,comdat
	.globl	_ZN7rocprim17ROCPRIM_400000_NS6detail17trampoline_kernelINS0_14default_configENS1_25partition_config_selectorILNS1_17partition_subalgoE8ElNS0_10empty_typeEbEEZZNS1_14partition_implILS5_8ELb0ES3_jPlPS6_PKS6_NS0_5tupleIJS9_S6_EEENSD_IJSA_SA_EEENS0_18inequality_wrapperIZN2at6native12_GLOBAL__N_124unique_dim_cuda_templateIaEESt5tupleIJNSH_6TensorESM_SM_EERKSM_lbbbEUlllE0_EEPmJS6_EEE10hipError_tPvRmT3_T4_T5_T6_T7_T9_mT8_P12ihipStream_tbDpT10_ENKUlT_T0_E_clISt17integral_constantIbLb1EES1B_IbLb0EEEEDaS17_S18_EUlS17_E_NS1_11comp_targetILNS1_3genE5ELNS1_11target_archE942ELNS1_3gpuE9ELNS1_3repE0EEENS1_30default_config_static_selectorELNS0_4arch9wavefront6targetE0EEEvT1_ ; -- Begin function _ZN7rocprim17ROCPRIM_400000_NS6detail17trampoline_kernelINS0_14default_configENS1_25partition_config_selectorILNS1_17partition_subalgoE8ElNS0_10empty_typeEbEEZZNS1_14partition_implILS5_8ELb0ES3_jPlPS6_PKS6_NS0_5tupleIJS9_S6_EEENSD_IJSA_SA_EEENS0_18inequality_wrapperIZN2at6native12_GLOBAL__N_124unique_dim_cuda_templateIaEESt5tupleIJNSH_6TensorESM_SM_EERKSM_lbbbEUlllE0_EEPmJS6_EEE10hipError_tPvRmT3_T4_T5_T6_T7_T9_mT8_P12ihipStream_tbDpT10_ENKUlT_T0_E_clISt17integral_constantIbLb1EES1B_IbLb0EEEEDaS17_S18_EUlS17_E_NS1_11comp_targetILNS1_3genE5ELNS1_11target_archE942ELNS1_3gpuE9ELNS1_3repE0EEENS1_30default_config_static_selectorELNS0_4arch9wavefront6targetE0EEEvT1_
	.p2align	8
	.type	_ZN7rocprim17ROCPRIM_400000_NS6detail17trampoline_kernelINS0_14default_configENS1_25partition_config_selectorILNS1_17partition_subalgoE8ElNS0_10empty_typeEbEEZZNS1_14partition_implILS5_8ELb0ES3_jPlPS6_PKS6_NS0_5tupleIJS9_S6_EEENSD_IJSA_SA_EEENS0_18inequality_wrapperIZN2at6native12_GLOBAL__N_124unique_dim_cuda_templateIaEESt5tupleIJNSH_6TensorESM_SM_EERKSM_lbbbEUlllE0_EEPmJS6_EEE10hipError_tPvRmT3_T4_T5_T6_T7_T9_mT8_P12ihipStream_tbDpT10_ENKUlT_T0_E_clISt17integral_constantIbLb1EES1B_IbLb0EEEEDaS17_S18_EUlS17_E_NS1_11comp_targetILNS1_3genE5ELNS1_11target_archE942ELNS1_3gpuE9ELNS1_3repE0EEENS1_30default_config_static_selectorELNS0_4arch9wavefront6targetE0EEEvT1_,@function
_ZN7rocprim17ROCPRIM_400000_NS6detail17trampoline_kernelINS0_14default_configENS1_25partition_config_selectorILNS1_17partition_subalgoE8ElNS0_10empty_typeEbEEZZNS1_14partition_implILS5_8ELb0ES3_jPlPS6_PKS6_NS0_5tupleIJS9_S6_EEENSD_IJSA_SA_EEENS0_18inequality_wrapperIZN2at6native12_GLOBAL__N_124unique_dim_cuda_templateIaEESt5tupleIJNSH_6TensorESM_SM_EERKSM_lbbbEUlllE0_EEPmJS6_EEE10hipError_tPvRmT3_T4_T5_T6_T7_T9_mT8_P12ihipStream_tbDpT10_ENKUlT_T0_E_clISt17integral_constantIbLb1EES1B_IbLb0EEEEDaS17_S18_EUlS17_E_NS1_11comp_targetILNS1_3genE5ELNS1_11target_archE942ELNS1_3gpuE9ELNS1_3repE0EEENS1_30default_config_static_selectorELNS0_4arch9wavefront6targetE0EEEvT1_: ; @_ZN7rocprim17ROCPRIM_400000_NS6detail17trampoline_kernelINS0_14default_configENS1_25partition_config_selectorILNS1_17partition_subalgoE8ElNS0_10empty_typeEbEEZZNS1_14partition_implILS5_8ELb0ES3_jPlPS6_PKS6_NS0_5tupleIJS9_S6_EEENSD_IJSA_SA_EEENS0_18inequality_wrapperIZN2at6native12_GLOBAL__N_124unique_dim_cuda_templateIaEESt5tupleIJNSH_6TensorESM_SM_EERKSM_lbbbEUlllE0_EEPmJS6_EEE10hipError_tPvRmT3_T4_T5_T6_T7_T9_mT8_P12ihipStream_tbDpT10_ENKUlT_T0_E_clISt17integral_constantIbLb1EES1B_IbLb0EEEEDaS17_S18_EUlS17_E_NS1_11comp_targetILNS1_3genE5ELNS1_11target_archE942ELNS1_3gpuE9ELNS1_3repE0EEENS1_30default_config_static_selectorELNS0_4arch9wavefront6targetE0EEEvT1_
; %bb.0:
	.section	.rodata,"a",@progbits
	.p2align	6, 0x0
	.amdhsa_kernel _ZN7rocprim17ROCPRIM_400000_NS6detail17trampoline_kernelINS0_14default_configENS1_25partition_config_selectorILNS1_17partition_subalgoE8ElNS0_10empty_typeEbEEZZNS1_14partition_implILS5_8ELb0ES3_jPlPS6_PKS6_NS0_5tupleIJS9_S6_EEENSD_IJSA_SA_EEENS0_18inequality_wrapperIZN2at6native12_GLOBAL__N_124unique_dim_cuda_templateIaEESt5tupleIJNSH_6TensorESM_SM_EERKSM_lbbbEUlllE0_EEPmJS6_EEE10hipError_tPvRmT3_T4_T5_T6_T7_T9_mT8_P12ihipStream_tbDpT10_ENKUlT_T0_E_clISt17integral_constantIbLb1EES1B_IbLb0EEEEDaS17_S18_EUlS17_E_NS1_11comp_targetILNS1_3genE5ELNS1_11target_archE942ELNS1_3gpuE9ELNS1_3repE0EEENS1_30default_config_static_selectorELNS0_4arch9wavefront6targetE0EEEvT1_
		.amdhsa_group_segment_fixed_size 0
		.amdhsa_private_segment_fixed_size 0
		.amdhsa_kernarg_size 120
		.amdhsa_user_sgpr_count 15
		.amdhsa_user_sgpr_dispatch_ptr 0
		.amdhsa_user_sgpr_queue_ptr 0
		.amdhsa_user_sgpr_kernarg_segment_ptr 1
		.amdhsa_user_sgpr_dispatch_id 0
		.amdhsa_user_sgpr_private_segment_size 0
		.amdhsa_wavefront_size32 1
		.amdhsa_uses_dynamic_stack 0
		.amdhsa_enable_private_segment 0
		.amdhsa_system_sgpr_workgroup_id_x 1
		.amdhsa_system_sgpr_workgroup_id_y 0
		.amdhsa_system_sgpr_workgroup_id_z 0
		.amdhsa_system_sgpr_workgroup_info 0
		.amdhsa_system_vgpr_workitem_id 0
		.amdhsa_next_free_vgpr 1
		.amdhsa_next_free_sgpr 1
		.amdhsa_reserve_vcc 0
		.amdhsa_float_round_mode_32 0
		.amdhsa_float_round_mode_16_64 0
		.amdhsa_float_denorm_mode_32 3
		.amdhsa_float_denorm_mode_16_64 3
		.amdhsa_dx10_clamp 1
		.amdhsa_ieee_mode 1
		.amdhsa_fp16_overflow 0
		.amdhsa_workgroup_processor_mode 1
		.amdhsa_memory_ordered 1
		.amdhsa_forward_progress 0
		.amdhsa_shared_vgpr_count 0
		.amdhsa_exception_fp_ieee_invalid_op 0
		.amdhsa_exception_fp_denorm_src 0
		.amdhsa_exception_fp_ieee_div_zero 0
		.amdhsa_exception_fp_ieee_overflow 0
		.amdhsa_exception_fp_ieee_underflow 0
		.amdhsa_exception_fp_ieee_inexact 0
		.amdhsa_exception_int_div_zero 0
	.end_amdhsa_kernel
	.section	.text._ZN7rocprim17ROCPRIM_400000_NS6detail17trampoline_kernelINS0_14default_configENS1_25partition_config_selectorILNS1_17partition_subalgoE8ElNS0_10empty_typeEbEEZZNS1_14partition_implILS5_8ELb0ES3_jPlPS6_PKS6_NS0_5tupleIJS9_S6_EEENSD_IJSA_SA_EEENS0_18inequality_wrapperIZN2at6native12_GLOBAL__N_124unique_dim_cuda_templateIaEESt5tupleIJNSH_6TensorESM_SM_EERKSM_lbbbEUlllE0_EEPmJS6_EEE10hipError_tPvRmT3_T4_T5_T6_T7_T9_mT8_P12ihipStream_tbDpT10_ENKUlT_T0_E_clISt17integral_constantIbLb1EES1B_IbLb0EEEEDaS17_S18_EUlS17_E_NS1_11comp_targetILNS1_3genE5ELNS1_11target_archE942ELNS1_3gpuE9ELNS1_3repE0EEENS1_30default_config_static_selectorELNS0_4arch9wavefront6targetE0EEEvT1_,"axG",@progbits,_ZN7rocprim17ROCPRIM_400000_NS6detail17trampoline_kernelINS0_14default_configENS1_25partition_config_selectorILNS1_17partition_subalgoE8ElNS0_10empty_typeEbEEZZNS1_14partition_implILS5_8ELb0ES3_jPlPS6_PKS6_NS0_5tupleIJS9_S6_EEENSD_IJSA_SA_EEENS0_18inequality_wrapperIZN2at6native12_GLOBAL__N_124unique_dim_cuda_templateIaEESt5tupleIJNSH_6TensorESM_SM_EERKSM_lbbbEUlllE0_EEPmJS6_EEE10hipError_tPvRmT3_T4_T5_T6_T7_T9_mT8_P12ihipStream_tbDpT10_ENKUlT_T0_E_clISt17integral_constantIbLb1EES1B_IbLb0EEEEDaS17_S18_EUlS17_E_NS1_11comp_targetILNS1_3genE5ELNS1_11target_archE942ELNS1_3gpuE9ELNS1_3repE0EEENS1_30default_config_static_selectorELNS0_4arch9wavefront6targetE0EEEvT1_,comdat
.Lfunc_end336:
	.size	_ZN7rocprim17ROCPRIM_400000_NS6detail17trampoline_kernelINS0_14default_configENS1_25partition_config_selectorILNS1_17partition_subalgoE8ElNS0_10empty_typeEbEEZZNS1_14partition_implILS5_8ELb0ES3_jPlPS6_PKS6_NS0_5tupleIJS9_S6_EEENSD_IJSA_SA_EEENS0_18inequality_wrapperIZN2at6native12_GLOBAL__N_124unique_dim_cuda_templateIaEESt5tupleIJNSH_6TensorESM_SM_EERKSM_lbbbEUlllE0_EEPmJS6_EEE10hipError_tPvRmT3_T4_T5_T6_T7_T9_mT8_P12ihipStream_tbDpT10_ENKUlT_T0_E_clISt17integral_constantIbLb1EES1B_IbLb0EEEEDaS17_S18_EUlS17_E_NS1_11comp_targetILNS1_3genE5ELNS1_11target_archE942ELNS1_3gpuE9ELNS1_3repE0EEENS1_30default_config_static_selectorELNS0_4arch9wavefront6targetE0EEEvT1_, .Lfunc_end336-_ZN7rocprim17ROCPRIM_400000_NS6detail17trampoline_kernelINS0_14default_configENS1_25partition_config_selectorILNS1_17partition_subalgoE8ElNS0_10empty_typeEbEEZZNS1_14partition_implILS5_8ELb0ES3_jPlPS6_PKS6_NS0_5tupleIJS9_S6_EEENSD_IJSA_SA_EEENS0_18inequality_wrapperIZN2at6native12_GLOBAL__N_124unique_dim_cuda_templateIaEESt5tupleIJNSH_6TensorESM_SM_EERKSM_lbbbEUlllE0_EEPmJS6_EEE10hipError_tPvRmT3_T4_T5_T6_T7_T9_mT8_P12ihipStream_tbDpT10_ENKUlT_T0_E_clISt17integral_constantIbLb1EES1B_IbLb0EEEEDaS17_S18_EUlS17_E_NS1_11comp_targetILNS1_3genE5ELNS1_11target_archE942ELNS1_3gpuE9ELNS1_3repE0EEENS1_30default_config_static_selectorELNS0_4arch9wavefront6targetE0EEEvT1_
                                        ; -- End function
	.section	.AMDGPU.csdata,"",@progbits
; Kernel info:
; codeLenInByte = 0
; NumSgprs: 0
; NumVgprs: 0
; ScratchSize: 0
; MemoryBound: 0
; FloatMode: 240
; IeeeMode: 1
; LDSByteSize: 0 bytes/workgroup (compile time only)
; SGPRBlocks: 0
; VGPRBlocks: 0
; NumSGPRsForWavesPerEU: 1
; NumVGPRsForWavesPerEU: 1
; Occupancy: 16
; WaveLimiterHint : 0
; COMPUTE_PGM_RSRC2:SCRATCH_EN: 0
; COMPUTE_PGM_RSRC2:USER_SGPR: 15
; COMPUTE_PGM_RSRC2:TRAP_HANDLER: 0
; COMPUTE_PGM_RSRC2:TGID_X_EN: 1
; COMPUTE_PGM_RSRC2:TGID_Y_EN: 0
; COMPUTE_PGM_RSRC2:TGID_Z_EN: 0
; COMPUTE_PGM_RSRC2:TIDIG_COMP_CNT: 0
	.section	.text._ZN7rocprim17ROCPRIM_400000_NS6detail17trampoline_kernelINS0_14default_configENS1_25partition_config_selectorILNS1_17partition_subalgoE8ElNS0_10empty_typeEbEEZZNS1_14partition_implILS5_8ELb0ES3_jPlPS6_PKS6_NS0_5tupleIJS9_S6_EEENSD_IJSA_SA_EEENS0_18inequality_wrapperIZN2at6native12_GLOBAL__N_124unique_dim_cuda_templateIaEESt5tupleIJNSH_6TensorESM_SM_EERKSM_lbbbEUlllE0_EEPmJS6_EEE10hipError_tPvRmT3_T4_T5_T6_T7_T9_mT8_P12ihipStream_tbDpT10_ENKUlT_T0_E_clISt17integral_constantIbLb1EES1B_IbLb0EEEEDaS17_S18_EUlS17_E_NS1_11comp_targetILNS1_3genE4ELNS1_11target_archE910ELNS1_3gpuE8ELNS1_3repE0EEENS1_30default_config_static_selectorELNS0_4arch9wavefront6targetE0EEEvT1_,"axG",@progbits,_ZN7rocprim17ROCPRIM_400000_NS6detail17trampoline_kernelINS0_14default_configENS1_25partition_config_selectorILNS1_17partition_subalgoE8ElNS0_10empty_typeEbEEZZNS1_14partition_implILS5_8ELb0ES3_jPlPS6_PKS6_NS0_5tupleIJS9_S6_EEENSD_IJSA_SA_EEENS0_18inequality_wrapperIZN2at6native12_GLOBAL__N_124unique_dim_cuda_templateIaEESt5tupleIJNSH_6TensorESM_SM_EERKSM_lbbbEUlllE0_EEPmJS6_EEE10hipError_tPvRmT3_T4_T5_T6_T7_T9_mT8_P12ihipStream_tbDpT10_ENKUlT_T0_E_clISt17integral_constantIbLb1EES1B_IbLb0EEEEDaS17_S18_EUlS17_E_NS1_11comp_targetILNS1_3genE4ELNS1_11target_archE910ELNS1_3gpuE8ELNS1_3repE0EEENS1_30default_config_static_selectorELNS0_4arch9wavefront6targetE0EEEvT1_,comdat
	.globl	_ZN7rocprim17ROCPRIM_400000_NS6detail17trampoline_kernelINS0_14default_configENS1_25partition_config_selectorILNS1_17partition_subalgoE8ElNS0_10empty_typeEbEEZZNS1_14partition_implILS5_8ELb0ES3_jPlPS6_PKS6_NS0_5tupleIJS9_S6_EEENSD_IJSA_SA_EEENS0_18inequality_wrapperIZN2at6native12_GLOBAL__N_124unique_dim_cuda_templateIaEESt5tupleIJNSH_6TensorESM_SM_EERKSM_lbbbEUlllE0_EEPmJS6_EEE10hipError_tPvRmT3_T4_T5_T6_T7_T9_mT8_P12ihipStream_tbDpT10_ENKUlT_T0_E_clISt17integral_constantIbLb1EES1B_IbLb0EEEEDaS17_S18_EUlS17_E_NS1_11comp_targetILNS1_3genE4ELNS1_11target_archE910ELNS1_3gpuE8ELNS1_3repE0EEENS1_30default_config_static_selectorELNS0_4arch9wavefront6targetE0EEEvT1_ ; -- Begin function _ZN7rocprim17ROCPRIM_400000_NS6detail17trampoline_kernelINS0_14default_configENS1_25partition_config_selectorILNS1_17partition_subalgoE8ElNS0_10empty_typeEbEEZZNS1_14partition_implILS5_8ELb0ES3_jPlPS6_PKS6_NS0_5tupleIJS9_S6_EEENSD_IJSA_SA_EEENS0_18inequality_wrapperIZN2at6native12_GLOBAL__N_124unique_dim_cuda_templateIaEESt5tupleIJNSH_6TensorESM_SM_EERKSM_lbbbEUlllE0_EEPmJS6_EEE10hipError_tPvRmT3_T4_T5_T6_T7_T9_mT8_P12ihipStream_tbDpT10_ENKUlT_T0_E_clISt17integral_constantIbLb1EES1B_IbLb0EEEEDaS17_S18_EUlS17_E_NS1_11comp_targetILNS1_3genE4ELNS1_11target_archE910ELNS1_3gpuE8ELNS1_3repE0EEENS1_30default_config_static_selectorELNS0_4arch9wavefront6targetE0EEEvT1_
	.p2align	8
	.type	_ZN7rocprim17ROCPRIM_400000_NS6detail17trampoline_kernelINS0_14default_configENS1_25partition_config_selectorILNS1_17partition_subalgoE8ElNS0_10empty_typeEbEEZZNS1_14partition_implILS5_8ELb0ES3_jPlPS6_PKS6_NS0_5tupleIJS9_S6_EEENSD_IJSA_SA_EEENS0_18inequality_wrapperIZN2at6native12_GLOBAL__N_124unique_dim_cuda_templateIaEESt5tupleIJNSH_6TensorESM_SM_EERKSM_lbbbEUlllE0_EEPmJS6_EEE10hipError_tPvRmT3_T4_T5_T6_T7_T9_mT8_P12ihipStream_tbDpT10_ENKUlT_T0_E_clISt17integral_constantIbLb1EES1B_IbLb0EEEEDaS17_S18_EUlS17_E_NS1_11comp_targetILNS1_3genE4ELNS1_11target_archE910ELNS1_3gpuE8ELNS1_3repE0EEENS1_30default_config_static_selectorELNS0_4arch9wavefront6targetE0EEEvT1_,@function
_ZN7rocprim17ROCPRIM_400000_NS6detail17trampoline_kernelINS0_14default_configENS1_25partition_config_selectorILNS1_17partition_subalgoE8ElNS0_10empty_typeEbEEZZNS1_14partition_implILS5_8ELb0ES3_jPlPS6_PKS6_NS0_5tupleIJS9_S6_EEENSD_IJSA_SA_EEENS0_18inequality_wrapperIZN2at6native12_GLOBAL__N_124unique_dim_cuda_templateIaEESt5tupleIJNSH_6TensorESM_SM_EERKSM_lbbbEUlllE0_EEPmJS6_EEE10hipError_tPvRmT3_T4_T5_T6_T7_T9_mT8_P12ihipStream_tbDpT10_ENKUlT_T0_E_clISt17integral_constantIbLb1EES1B_IbLb0EEEEDaS17_S18_EUlS17_E_NS1_11comp_targetILNS1_3genE4ELNS1_11target_archE910ELNS1_3gpuE8ELNS1_3repE0EEENS1_30default_config_static_selectorELNS0_4arch9wavefront6targetE0EEEvT1_: ; @_ZN7rocprim17ROCPRIM_400000_NS6detail17trampoline_kernelINS0_14default_configENS1_25partition_config_selectorILNS1_17partition_subalgoE8ElNS0_10empty_typeEbEEZZNS1_14partition_implILS5_8ELb0ES3_jPlPS6_PKS6_NS0_5tupleIJS9_S6_EEENSD_IJSA_SA_EEENS0_18inequality_wrapperIZN2at6native12_GLOBAL__N_124unique_dim_cuda_templateIaEESt5tupleIJNSH_6TensorESM_SM_EERKSM_lbbbEUlllE0_EEPmJS6_EEE10hipError_tPvRmT3_T4_T5_T6_T7_T9_mT8_P12ihipStream_tbDpT10_ENKUlT_T0_E_clISt17integral_constantIbLb1EES1B_IbLb0EEEEDaS17_S18_EUlS17_E_NS1_11comp_targetILNS1_3genE4ELNS1_11target_archE910ELNS1_3gpuE8ELNS1_3repE0EEENS1_30default_config_static_selectorELNS0_4arch9wavefront6targetE0EEEvT1_
; %bb.0:
	.section	.rodata,"a",@progbits
	.p2align	6, 0x0
	.amdhsa_kernel _ZN7rocprim17ROCPRIM_400000_NS6detail17trampoline_kernelINS0_14default_configENS1_25partition_config_selectorILNS1_17partition_subalgoE8ElNS0_10empty_typeEbEEZZNS1_14partition_implILS5_8ELb0ES3_jPlPS6_PKS6_NS0_5tupleIJS9_S6_EEENSD_IJSA_SA_EEENS0_18inequality_wrapperIZN2at6native12_GLOBAL__N_124unique_dim_cuda_templateIaEESt5tupleIJNSH_6TensorESM_SM_EERKSM_lbbbEUlllE0_EEPmJS6_EEE10hipError_tPvRmT3_T4_T5_T6_T7_T9_mT8_P12ihipStream_tbDpT10_ENKUlT_T0_E_clISt17integral_constantIbLb1EES1B_IbLb0EEEEDaS17_S18_EUlS17_E_NS1_11comp_targetILNS1_3genE4ELNS1_11target_archE910ELNS1_3gpuE8ELNS1_3repE0EEENS1_30default_config_static_selectorELNS0_4arch9wavefront6targetE0EEEvT1_
		.amdhsa_group_segment_fixed_size 0
		.amdhsa_private_segment_fixed_size 0
		.amdhsa_kernarg_size 120
		.amdhsa_user_sgpr_count 15
		.amdhsa_user_sgpr_dispatch_ptr 0
		.amdhsa_user_sgpr_queue_ptr 0
		.amdhsa_user_sgpr_kernarg_segment_ptr 1
		.amdhsa_user_sgpr_dispatch_id 0
		.amdhsa_user_sgpr_private_segment_size 0
		.amdhsa_wavefront_size32 1
		.amdhsa_uses_dynamic_stack 0
		.amdhsa_enable_private_segment 0
		.amdhsa_system_sgpr_workgroup_id_x 1
		.amdhsa_system_sgpr_workgroup_id_y 0
		.amdhsa_system_sgpr_workgroup_id_z 0
		.amdhsa_system_sgpr_workgroup_info 0
		.amdhsa_system_vgpr_workitem_id 0
		.amdhsa_next_free_vgpr 1
		.amdhsa_next_free_sgpr 1
		.amdhsa_reserve_vcc 0
		.amdhsa_float_round_mode_32 0
		.amdhsa_float_round_mode_16_64 0
		.amdhsa_float_denorm_mode_32 3
		.amdhsa_float_denorm_mode_16_64 3
		.amdhsa_dx10_clamp 1
		.amdhsa_ieee_mode 1
		.amdhsa_fp16_overflow 0
		.amdhsa_workgroup_processor_mode 1
		.amdhsa_memory_ordered 1
		.amdhsa_forward_progress 0
		.amdhsa_shared_vgpr_count 0
		.amdhsa_exception_fp_ieee_invalid_op 0
		.amdhsa_exception_fp_denorm_src 0
		.amdhsa_exception_fp_ieee_div_zero 0
		.amdhsa_exception_fp_ieee_overflow 0
		.amdhsa_exception_fp_ieee_underflow 0
		.amdhsa_exception_fp_ieee_inexact 0
		.amdhsa_exception_int_div_zero 0
	.end_amdhsa_kernel
	.section	.text._ZN7rocprim17ROCPRIM_400000_NS6detail17trampoline_kernelINS0_14default_configENS1_25partition_config_selectorILNS1_17partition_subalgoE8ElNS0_10empty_typeEbEEZZNS1_14partition_implILS5_8ELb0ES3_jPlPS6_PKS6_NS0_5tupleIJS9_S6_EEENSD_IJSA_SA_EEENS0_18inequality_wrapperIZN2at6native12_GLOBAL__N_124unique_dim_cuda_templateIaEESt5tupleIJNSH_6TensorESM_SM_EERKSM_lbbbEUlllE0_EEPmJS6_EEE10hipError_tPvRmT3_T4_T5_T6_T7_T9_mT8_P12ihipStream_tbDpT10_ENKUlT_T0_E_clISt17integral_constantIbLb1EES1B_IbLb0EEEEDaS17_S18_EUlS17_E_NS1_11comp_targetILNS1_3genE4ELNS1_11target_archE910ELNS1_3gpuE8ELNS1_3repE0EEENS1_30default_config_static_selectorELNS0_4arch9wavefront6targetE0EEEvT1_,"axG",@progbits,_ZN7rocprim17ROCPRIM_400000_NS6detail17trampoline_kernelINS0_14default_configENS1_25partition_config_selectorILNS1_17partition_subalgoE8ElNS0_10empty_typeEbEEZZNS1_14partition_implILS5_8ELb0ES3_jPlPS6_PKS6_NS0_5tupleIJS9_S6_EEENSD_IJSA_SA_EEENS0_18inequality_wrapperIZN2at6native12_GLOBAL__N_124unique_dim_cuda_templateIaEESt5tupleIJNSH_6TensorESM_SM_EERKSM_lbbbEUlllE0_EEPmJS6_EEE10hipError_tPvRmT3_T4_T5_T6_T7_T9_mT8_P12ihipStream_tbDpT10_ENKUlT_T0_E_clISt17integral_constantIbLb1EES1B_IbLb0EEEEDaS17_S18_EUlS17_E_NS1_11comp_targetILNS1_3genE4ELNS1_11target_archE910ELNS1_3gpuE8ELNS1_3repE0EEENS1_30default_config_static_selectorELNS0_4arch9wavefront6targetE0EEEvT1_,comdat
.Lfunc_end337:
	.size	_ZN7rocprim17ROCPRIM_400000_NS6detail17trampoline_kernelINS0_14default_configENS1_25partition_config_selectorILNS1_17partition_subalgoE8ElNS0_10empty_typeEbEEZZNS1_14partition_implILS5_8ELb0ES3_jPlPS6_PKS6_NS0_5tupleIJS9_S6_EEENSD_IJSA_SA_EEENS0_18inequality_wrapperIZN2at6native12_GLOBAL__N_124unique_dim_cuda_templateIaEESt5tupleIJNSH_6TensorESM_SM_EERKSM_lbbbEUlllE0_EEPmJS6_EEE10hipError_tPvRmT3_T4_T5_T6_T7_T9_mT8_P12ihipStream_tbDpT10_ENKUlT_T0_E_clISt17integral_constantIbLb1EES1B_IbLb0EEEEDaS17_S18_EUlS17_E_NS1_11comp_targetILNS1_3genE4ELNS1_11target_archE910ELNS1_3gpuE8ELNS1_3repE0EEENS1_30default_config_static_selectorELNS0_4arch9wavefront6targetE0EEEvT1_, .Lfunc_end337-_ZN7rocprim17ROCPRIM_400000_NS6detail17trampoline_kernelINS0_14default_configENS1_25partition_config_selectorILNS1_17partition_subalgoE8ElNS0_10empty_typeEbEEZZNS1_14partition_implILS5_8ELb0ES3_jPlPS6_PKS6_NS0_5tupleIJS9_S6_EEENSD_IJSA_SA_EEENS0_18inequality_wrapperIZN2at6native12_GLOBAL__N_124unique_dim_cuda_templateIaEESt5tupleIJNSH_6TensorESM_SM_EERKSM_lbbbEUlllE0_EEPmJS6_EEE10hipError_tPvRmT3_T4_T5_T6_T7_T9_mT8_P12ihipStream_tbDpT10_ENKUlT_T0_E_clISt17integral_constantIbLb1EES1B_IbLb0EEEEDaS17_S18_EUlS17_E_NS1_11comp_targetILNS1_3genE4ELNS1_11target_archE910ELNS1_3gpuE8ELNS1_3repE0EEENS1_30default_config_static_selectorELNS0_4arch9wavefront6targetE0EEEvT1_
                                        ; -- End function
	.section	.AMDGPU.csdata,"",@progbits
; Kernel info:
; codeLenInByte = 0
; NumSgprs: 0
; NumVgprs: 0
; ScratchSize: 0
; MemoryBound: 0
; FloatMode: 240
; IeeeMode: 1
; LDSByteSize: 0 bytes/workgroup (compile time only)
; SGPRBlocks: 0
; VGPRBlocks: 0
; NumSGPRsForWavesPerEU: 1
; NumVGPRsForWavesPerEU: 1
; Occupancy: 16
; WaveLimiterHint : 0
; COMPUTE_PGM_RSRC2:SCRATCH_EN: 0
; COMPUTE_PGM_RSRC2:USER_SGPR: 15
; COMPUTE_PGM_RSRC2:TRAP_HANDLER: 0
; COMPUTE_PGM_RSRC2:TGID_X_EN: 1
; COMPUTE_PGM_RSRC2:TGID_Y_EN: 0
; COMPUTE_PGM_RSRC2:TGID_Z_EN: 0
; COMPUTE_PGM_RSRC2:TIDIG_COMP_CNT: 0
	.section	.text._ZN7rocprim17ROCPRIM_400000_NS6detail17trampoline_kernelINS0_14default_configENS1_25partition_config_selectorILNS1_17partition_subalgoE8ElNS0_10empty_typeEbEEZZNS1_14partition_implILS5_8ELb0ES3_jPlPS6_PKS6_NS0_5tupleIJS9_S6_EEENSD_IJSA_SA_EEENS0_18inequality_wrapperIZN2at6native12_GLOBAL__N_124unique_dim_cuda_templateIaEESt5tupleIJNSH_6TensorESM_SM_EERKSM_lbbbEUlllE0_EEPmJS6_EEE10hipError_tPvRmT3_T4_T5_T6_T7_T9_mT8_P12ihipStream_tbDpT10_ENKUlT_T0_E_clISt17integral_constantIbLb1EES1B_IbLb0EEEEDaS17_S18_EUlS17_E_NS1_11comp_targetILNS1_3genE3ELNS1_11target_archE908ELNS1_3gpuE7ELNS1_3repE0EEENS1_30default_config_static_selectorELNS0_4arch9wavefront6targetE0EEEvT1_,"axG",@progbits,_ZN7rocprim17ROCPRIM_400000_NS6detail17trampoline_kernelINS0_14default_configENS1_25partition_config_selectorILNS1_17partition_subalgoE8ElNS0_10empty_typeEbEEZZNS1_14partition_implILS5_8ELb0ES3_jPlPS6_PKS6_NS0_5tupleIJS9_S6_EEENSD_IJSA_SA_EEENS0_18inequality_wrapperIZN2at6native12_GLOBAL__N_124unique_dim_cuda_templateIaEESt5tupleIJNSH_6TensorESM_SM_EERKSM_lbbbEUlllE0_EEPmJS6_EEE10hipError_tPvRmT3_T4_T5_T6_T7_T9_mT8_P12ihipStream_tbDpT10_ENKUlT_T0_E_clISt17integral_constantIbLb1EES1B_IbLb0EEEEDaS17_S18_EUlS17_E_NS1_11comp_targetILNS1_3genE3ELNS1_11target_archE908ELNS1_3gpuE7ELNS1_3repE0EEENS1_30default_config_static_selectorELNS0_4arch9wavefront6targetE0EEEvT1_,comdat
	.globl	_ZN7rocprim17ROCPRIM_400000_NS6detail17trampoline_kernelINS0_14default_configENS1_25partition_config_selectorILNS1_17partition_subalgoE8ElNS0_10empty_typeEbEEZZNS1_14partition_implILS5_8ELb0ES3_jPlPS6_PKS6_NS0_5tupleIJS9_S6_EEENSD_IJSA_SA_EEENS0_18inequality_wrapperIZN2at6native12_GLOBAL__N_124unique_dim_cuda_templateIaEESt5tupleIJNSH_6TensorESM_SM_EERKSM_lbbbEUlllE0_EEPmJS6_EEE10hipError_tPvRmT3_T4_T5_T6_T7_T9_mT8_P12ihipStream_tbDpT10_ENKUlT_T0_E_clISt17integral_constantIbLb1EES1B_IbLb0EEEEDaS17_S18_EUlS17_E_NS1_11comp_targetILNS1_3genE3ELNS1_11target_archE908ELNS1_3gpuE7ELNS1_3repE0EEENS1_30default_config_static_selectorELNS0_4arch9wavefront6targetE0EEEvT1_ ; -- Begin function _ZN7rocprim17ROCPRIM_400000_NS6detail17trampoline_kernelINS0_14default_configENS1_25partition_config_selectorILNS1_17partition_subalgoE8ElNS0_10empty_typeEbEEZZNS1_14partition_implILS5_8ELb0ES3_jPlPS6_PKS6_NS0_5tupleIJS9_S6_EEENSD_IJSA_SA_EEENS0_18inequality_wrapperIZN2at6native12_GLOBAL__N_124unique_dim_cuda_templateIaEESt5tupleIJNSH_6TensorESM_SM_EERKSM_lbbbEUlllE0_EEPmJS6_EEE10hipError_tPvRmT3_T4_T5_T6_T7_T9_mT8_P12ihipStream_tbDpT10_ENKUlT_T0_E_clISt17integral_constantIbLb1EES1B_IbLb0EEEEDaS17_S18_EUlS17_E_NS1_11comp_targetILNS1_3genE3ELNS1_11target_archE908ELNS1_3gpuE7ELNS1_3repE0EEENS1_30default_config_static_selectorELNS0_4arch9wavefront6targetE0EEEvT1_
	.p2align	8
	.type	_ZN7rocprim17ROCPRIM_400000_NS6detail17trampoline_kernelINS0_14default_configENS1_25partition_config_selectorILNS1_17partition_subalgoE8ElNS0_10empty_typeEbEEZZNS1_14partition_implILS5_8ELb0ES3_jPlPS6_PKS6_NS0_5tupleIJS9_S6_EEENSD_IJSA_SA_EEENS0_18inequality_wrapperIZN2at6native12_GLOBAL__N_124unique_dim_cuda_templateIaEESt5tupleIJNSH_6TensorESM_SM_EERKSM_lbbbEUlllE0_EEPmJS6_EEE10hipError_tPvRmT3_T4_T5_T6_T7_T9_mT8_P12ihipStream_tbDpT10_ENKUlT_T0_E_clISt17integral_constantIbLb1EES1B_IbLb0EEEEDaS17_S18_EUlS17_E_NS1_11comp_targetILNS1_3genE3ELNS1_11target_archE908ELNS1_3gpuE7ELNS1_3repE0EEENS1_30default_config_static_selectorELNS0_4arch9wavefront6targetE0EEEvT1_,@function
_ZN7rocprim17ROCPRIM_400000_NS6detail17trampoline_kernelINS0_14default_configENS1_25partition_config_selectorILNS1_17partition_subalgoE8ElNS0_10empty_typeEbEEZZNS1_14partition_implILS5_8ELb0ES3_jPlPS6_PKS6_NS0_5tupleIJS9_S6_EEENSD_IJSA_SA_EEENS0_18inequality_wrapperIZN2at6native12_GLOBAL__N_124unique_dim_cuda_templateIaEESt5tupleIJNSH_6TensorESM_SM_EERKSM_lbbbEUlllE0_EEPmJS6_EEE10hipError_tPvRmT3_T4_T5_T6_T7_T9_mT8_P12ihipStream_tbDpT10_ENKUlT_T0_E_clISt17integral_constantIbLb1EES1B_IbLb0EEEEDaS17_S18_EUlS17_E_NS1_11comp_targetILNS1_3genE3ELNS1_11target_archE908ELNS1_3gpuE7ELNS1_3repE0EEENS1_30default_config_static_selectorELNS0_4arch9wavefront6targetE0EEEvT1_: ; @_ZN7rocprim17ROCPRIM_400000_NS6detail17trampoline_kernelINS0_14default_configENS1_25partition_config_selectorILNS1_17partition_subalgoE8ElNS0_10empty_typeEbEEZZNS1_14partition_implILS5_8ELb0ES3_jPlPS6_PKS6_NS0_5tupleIJS9_S6_EEENSD_IJSA_SA_EEENS0_18inequality_wrapperIZN2at6native12_GLOBAL__N_124unique_dim_cuda_templateIaEESt5tupleIJNSH_6TensorESM_SM_EERKSM_lbbbEUlllE0_EEPmJS6_EEE10hipError_tPvRmT3_T4_T5_T6_T7_T9_mT8_P12ihipStream_tbDpT10_ENKUlT_T0_E_clISt17integral_constantIbLb1EES1B_IbLb0EEEEDaS17_S18_EUlS17_E_NS1_11comp_targetILNS1_3genE3ELNS1_11target_archE908ELNS1_3gpuE7ELNS1_3repE0EEENS1_30default_config_static_selectorELNS0_4arch9wavefront6targetE0EEEvT1_
; %bb.0:
	.section	.rodata,"a",@progbits
	.p2align	6, 0x0
	.amdhsa_kernel _ZN7rocprim17ROCPRIM_400000_NS6detail17trampoline_kernelINS0_14default_configENS1_25partition_config_selectorILNS1_17partition_subalgoE8ElNS0_10empty_typeEbEEZZNS1_14partition_implILS5_8ELb0ES3_jPlPS6_PKS6_NS0_5tupleIJS9_S6_EEENSD_IJSA_SA_EEENS0_18inequality_wrapperIZN2at6native12_GLOBAL__N_124unique_dim_cuda_templateIaEESt5tupleIJNSH_6TensorESM_SM_EERKSM_lbbbEUlllE0_EEPmJS6_EEE10hipError_tPvRmT3_T4_T5_T6_T7_T9_mT8_P12ihipStream_tbDpT10_ENKUlT_T0_E_clISt17integral_constantIbLb1EES1B_IbLb0EEEEDaS17_S18_EUlS17_E_NS1_11comp_targetILNS1_3genE3ELNS1_11target_archE908ELNS1_3gpuE7ELNS1_3repE0EEENS1_30default_config_static_selectorELNS0_4arch9wavefront6targetE0EEEvT1_
		.amdhsa_group_segment_fixed_size 0
		.amdhsa_private_segment_fixed_size 0
		.amdhsa_kernarg_size 120
		.amdhsa_user_sgpr_count 15
		.amdhsa_user_sgpr_dispatch_ptr 0
		.amdhsa_user_sgpr_queue_ptr 0
		.amdhsa_user_sgpr_kernarg_segment_ptr 1
		.amdhsa_user_sgpr_dispatch_id 0
		.amdhsa_user_sgpr_private_segment_size 0
		.amdhsa_wavefront_size32 1
		.amdhsa_uses_dynamic_stack 0
		.amdhsa_enable_private_segment 0
		.amdhsa_system_sgpr_workgroup_id_x 1
		.amdhsa_system_sgpr_workgroup_id_y 0
		.amdhsa_system_sgpr_workgroup_id_z 0
		.amdhsa_system_sgpr_workgroup_info 0
		.amdhsa_system_vgpr_workitem_id 0
		.amdhsa_next_free_vgpr 1
		.amdhsa_next_free_sgpr 1
		.amdhsa_reserve_vcc 0
		.amdhsa_float_round_mode_32 0
		.amdhsa_float_round_mode_16_64 0
		.amdhsa_float_denorm_mode_32 3
		.amdhsa_float_denorm_mode_16_64 3
		.amdhsa_dx10_clamp 1
		.amdhsa_ieee_mode 1
		.amdhsa_fp16_overflow 0
		.amdhsa_workgroup_processor_mode 1
		.amdhsa_memory_ordered 1
		.amdhsa_forward_progress 0
		.amdhsa_shared_vgpr_count 0
		.amdhsa_exception_fp_ieee_invalid_op 0
		.amdhsa_exception_fp_denorm_src 0
		.amdhsa_exception_fp_ieee_div_zero 0
		.amdhsa_exception_fp_ieee_overflow 0
		.amdhsa_exception_fp_ieee_underflow 0
		.amdhsa_exception_fp_ieee_inexact 0
		.amdhsa_exception_int_div_zero 0
	.end_amdhsa_kernel
	.section	.text._ZN7rocprim17ROCPRIM_400000_NS6detail17trampoline_kernelINS0_14default_configENS1_25partition_config_selectorILNS1_17partition_subalgoE8ElNS0_10empty_typeEbEEZZNS1_14partition_implILS5_8ELb0ES3_jPlPS6_PKS6_NS0_5tupleIJS9_S6_EEENSD_IJSA_SA_EEENS0_18inequality_wrapperIZN2at6native12_GLOBAL__N_124unique_dim_cuda_templateIaEESt5tupleIJNSH_6TensorESM_SM_EERKSM_lbbbEUlllE0_EEPmJS6_EEE10hipError_tPvRmT3_T4_T5_T6_T7_T9_mT8_P12ihipStream_tbDpT10_ENKUlT_T0_E_clISt17integral_constantIbLb1EES1B_IbLb0EEEEDaS17_S18_EUlS17_E_NS1_11comp_targetILNS1_3genE3ELNS1_11target_archE908ELNS1_3gpuE7ELNS1_3repE0EEENS1_30default_config_static_selectorELNS0_4arch9wavefront6targetE0EEEvT1_,"axG",@progbits,_ZN7rocprim17ROCPRIM_400000_NS6detail17trampoline_kernelINS0_14default_configENS1_25partition_config_selectorILNS1_17partition_subalgoE8ElNS0_10empty_typeEbEEZZNS1_14partition_implILS5_8ELb0ES3_jPlPS6_PKS6_NS0_5tupleIJS9_S6_EEENSD_IJSA_SA_EEENS0_18inequality_wrapperIZN2at6native12_GLOBAL__N_124unique_dim_cuda_templateIaEESt5tupleIJNSH_6TensorESM_SM_EERKSM_lbbbEUlllE0_EEPmJS6_EEE10hipError_tPvRmT3_T4_T5_T6_T7_T9_mT8_P12ihipStream_tbDpT10_ENKUlT_T0_E_clISt17integral_constantIbLb1EES1B_IbLb0EEEEDaS17_S18_EUlS17_E_NS1_11comp_targetILNS1_3genE3ELNS1_11target_archE908ELNS1_3gpuE7ELNS1_3repE0EEENS1_30default_config_static_selectorELNS0_4arch9wavefront6targetE0EEEvT1_,comdat
.Lfunc_end338:
	.size	_ZN7rocprim17ROCPRIM_400000_NS6detail17trampoline_kernelINS0_14default_configENS1_25partition_config_selectorILNS1_17partition_subalgoE8ElNS0_10empty_typeEbEEZZNS1_14partition_implILS5_8ELb0ES3_jPlPS6_PKS6_NS0_5tupleIJS9_S6_EEENSD_IJSA_SA_EEENS0_18inequality_wrapperIZN2at6native12_GLOBAL__N_124unique_dim_cuda_templateIaEESt5tupleIJNSH_6TensorESM_SM_EERKSM_lbbbEUlllE0_EEPmJS6_EEE10hipError_tPvRmT3_T4_T5_T6_T7_T9_mT8_P12ihipStream_tbDpT10_ENKUlT_T0_E_clISt17integral_constantIbLb1EES1B_IbLb0EEEEDaS17_S18_EUlS17_E_NS1_11comp_targetILNS1_3genE3ELNS1_11target_archE908ELNS1_3gpuE7ELNS1_3repE0EEENS1_30default_config_static_selectorELNS0_4arch9wavefront6targetE0EEEvT1_, .Lfunc_end338-_ZN7rocprim17ROCPRIM_400000_NS6detail17trampoline_kernelINS0_14default_configENS1_25partition_config_selectorILNS1_17partition_subalgoE8ElNS0_10empty_typeEbEEZZNS1_14partition_implILS5_8ELb0ES3_jPlPS6_PKS6_NS0_5tupleIJS9_S6_EEENSD_IJSA_SA_EEENS0_18inequality_wrapperIZN2at6native12_GLOBAL__N_124unique_dim_cuda_templateIaEESt5tupleIJNSH_6TensorESM_SM_EERKSM_lbbbEUlllE0_EEPmJS6_EEE10hipError_tPvRmT3_T4_T5_T6_T7_T9_mT8_P12ihipStream_tbDpT10_ENKUlT_T0_E_clISt17integral_constantIbLb1EES1B_IbLb0EEEEDaS17_S18_EUlS17_E_NS1_11comp_targetILNS1_3genE3ELNS1_11target_archE908ELNS1_3gpuE7ELNS1_3repE0EEENS1_30default_config_static_selectorELNS0_4arch9wavefront6targetE0EEEvT1_
                                        ; -- End function
	.section	.AMDGPU.csdata,"",@progbits
; Kernel info:
; codeLenInByte = 0
; NumSgprs: 0
; NumVgprs: 0
; ScratchSize: 0
; MemoryBound: 0
; FloatMode: 240
; IeeeMode: 1
; LDSByteSize: 0 bytes/workgroup (compile time only)
; SGPRBlocks: 0
; VGPRBlocks: 0
; NumSGPRsForWavesPerEU: 1
; NumVGPRsForWavesPerEU: 1
; Occupancy: 16
; WaveLimiterHint : 0
; COMPUTE_PGM_RSRC2:SCRATCH_EN: 0
; COMPUTE_PGM_RSRC2:USER_SGPR: 15
; COMPUTE_PGM_RSRC2:TRAP_HANDLER: 0
; COMPUTE_PGM_RSRC2:TGID_X_EN: 1
; COMPUTE_PGM_RSRC2:TGID_Y_EN: 0
; COMPUTE_PGM_RSRC2:TGID_Z_EN: 0
; COMPUTE_PGM_RSRC2:TIDIG_COMP_CNT: 0
	.section	.text._ZN7rocprim17ROCPRIM_400000_NS6detail17trampoline_kernelINS0_14default_configENS1_25partition_config_selectorILNS1_17partition_subalgoE8ElNS0_10empty_typeEbEEZZNS1_14partition_implILS5_8ELb0ES3_jPlPS6_PKS6_NS0_5tupleIJS9_S6_EEENSD_IJSA_SA_EEENS0_18inequality_wrapperIZN2at6native12_GLOBAL__N_124unique_dim_cuda_templateIaEESt5tupleIJNSH_6TensorESM_SM_EERKSM_lbbbEUlllE0_EEPmJS6_EEE10hipError_tPvRmT3_T4_T5_T6_T7_T9_mT8_P12ihipStream_tbDpT10_ENKUlT_T0_E_clISt17integral_constantIbLb1EES1B_IbLb0EEEEDaS17_S18_EUlS17_E_NS1_11comp_targetILNS1_3genE2ELNS1_11target_archE906ELNS1_3gpuE6ELNS1_3repE0EEENS1_30default_config_static_selectorELNS0_4arch9wavefront6targetE0EEEvT1_,"axG",@progbits,_ZN7rocprim17ROCPRIM_400000_NS6detail17trampoline_kernelINS0_14default_configENS1_25partition_config_selectorILNS1_17partition_subalgoE8ElNS0_10empty_typeEbEEZZNS1_14partition_implILS5_8ELb0ES3_jPlPS6_PKS6_NS0_5tupleIJS9_S6_EEENSD_IJSA_SA_EEENS0_18inequality_wrapperIZN2at6native12_GLOBAL__N_124unique_dim_cuda_templateIaEESt5tupleIJNSH_6TensorESM_SM_EERKSM_lbbbEUlllE0_EEPmJS6_EEE10hipError_tPvRmT3_T4_T5_T6_T7_T9_mT8_P12ihipStream_tbDpT10_ENKUlT_T0_E_clISt17integral_constantIbLb1EES1B_IbLb0EEEEDaS17_S18_EUlS17_E_NS1_11comp_targetILNS1_3genE2ELNS1_11target_archE906ELNS1_3gpuE6ELNS1_3repE0EEENS1_30default_config_static_selectorELNS0_4arch9wavefront6targetE0EEEvT1_,comdat
	.globl	_ZN7rocprim17ROCPRIM_400000_NS6detail17trampoline_kernelINS0_14default_configENS1_25partition_config_selectorILNS1_17partition_subalgoE8ElNS0_10empty_typeEbEEZZNS1_14partition_implILS5_8ELb0ES3_jPlPS6_PKS6_NS0_5tupleIJS9_S6_EEENSD_IJSA_SA_EEENS0_18inequality_wrapperIZN2at6native12_GLOBAL__N_124unique_dim_cuda_templateIaEESt5tupleIJNSH_6TensorESM_SM_EERKSM_lbbbEUlllE0_EEPmJS6_EEE10hipError_tPvRmT3_T4_T5_T6_T7_T9_mT8_P12ihipStream_tbDpT10_ENKUlT_T0_E_clISt17integral_constantIbLb1EES1B_IbLb0EEEEDaS17_S18_EUlS17_E_NS1_11comp_targetILNS1_3genE2ELNS1_11target_archE906ELNS1_3gpuE6ELNS1_3repE0EEENS1_30default_config_static_selectorELNS0_4arch9wavefront6targetE0EEEvT1_ ; -- Begin function _ZN7rocprim17ROCPRIM_400000_NS6detail17trampoline_kernelINS0_14default_configENS1_25partition_config_selectorILNS1_17partition_subalgoE8ElNS0_10empty_typeEbEEZZNS1_14partition_implILS5_8ELb0ES3_jPlPS6_PKS6_NS0_5tupleIJS9_S6_EEENSD_IJSA_SA_EEENS0_18inequality_wrapperIZN2at6native12_GLOBAL__N_124unique_dim_cuda_templateIaEESt5tupleIJNSH_6TensorESM_SM_EERKSM_lbbbEUlllE0_EEPmJS6_EEE10hipError_tPvRmT3_T4_T5_T6_T7_T9_mT8_P12ihipStream_tbDpT10_ENKUlT_T0_E_clISt17integral_constantIbLb1EES1B_IbLb0EEEEDaS17_S18_EUlS17_E_NS1_11comp_targetILNS1_3genE2ELNS1_11target_archE906ELNS1_3gpuE6ELNS1_3repE0EEENS1_30default_config_static_selectorELNS0_4arch9wavefront6targetE0EEEvT1_
	.p2align	8
	.type	_ZN7rocprim17ROCPRIM_400000_NS6detail17trampoline_kernelINS0_14default_configENS1_25partition_config_selectorILNS1_17partition_subalgoE8ElNS0_10empty_typeEbEEZZNS1_14partition_implILS5_8ELb0ES3_jPlPS6_PKS6_NS0_5tupleIJS9_S6_EEENSD_IJSA_SA_EEENS0_18inequality_wrapperIZN2at6native12_GLOBAL__N_124unique_dim_cuda_templateIaEESt5tupleIJNSH_6TensorESM_SM_EERKSM_lbbbEUlllE0_EEPmJS6_EEE10hipError_tPvRmT3_T4_T5_T6_T7_T9_mT8_P12ihipStream_tbDpT10_ENKUlT_T0_E_clISt17integral_constantIbLb1EES1B_IbLb0EEEEDaS17_S18_EUlS17_E_NS1_11comp_targetILNS1_3genE2ELNS1_11target_archE906ELNS1_3gpuE6ELNS1_3repE0EEENS1_30default_config_static_selectorELNS0_4arch9wavefront6targetE0EEEvT1_,@function
_ZN7rocprim17ROCPRIM_400000_NS6detail17trampoline_kernelINS0_14default_configENS1_25partition_config_selectorILNS1_17partition_subalgoE8ElNS0_10empty_typeEbEEZZNS1_14partition_implILS5_8ELb0ES3_jPlPS6_PKS6_NS0_5tupleIJS9_S6_EEENSD_IJSA_SA_EEENS0_18inequality_wrapperIZN2at6native12_GLOBAL__N_124unique_dim_cuda_templateIaEESt5tupleIJNSH_6TensorESM_SM_EERKSM_lbbbEUlllE0_EEPmJS6_EEE10hipError_tPvRmT3_T4_T5_T6_T7_T9_mT8_P12ihipStream_tbDpT10_ENKUlT_T0_E_clISt17integral_constantIbLb1EES1B_IbLb0EEEEDaS17_S18_EUlS17_E_NS1_11comp_targetILNS1_3genE2ELNS1_11target_archE906ELNS1_3gpuE6ELNS1_3repE0EEENS1_30default_config_static_selectorELNS0_4arch9wavefront6targetE0EEEvT1_: ; @_ZN7rocprim17ROCPRIM_400000_NS6detail17trampoline_kernelINS0_14default_configENS1_25partition_config_selectorILNS1_17partition_subalgoE8ElNS0_10empty_typeEbEEZZNS1_14partition_implILS5_8ELb0ES3_jPlPS6_PKS6_NS0_5tupleIJS9_S6_EEENSD_IJSA_SA_EEENS0_18inequality_wrapperIZN2at6native12_GLOBAL__N_124unique_dim_cuda_templateIaEESt5tupleIJNSH_6TensorESM_SM_EERKSM_lbbbEUlllE0_EEPmJS6_EEE10hipError_tPvRmT3_T4_T5_T6_T7_T9_mT8_P12ihipStream_tbDpT10_ENKUlT_T0_E_clISt17integral_constantIbLb1EES1B_IbLb0EEEEDaS17_S18_EUlS17_E_NS1_11comp_targetILNS1_3genE2ELNS1_11target_archE906ELNS1_3gpuE6ELNS1_3repE0EEENS1_30default_config_static_selectorELNS0_4arch9wavefront6targetE0EEEvT1_
; %bb.0:
	.section	.rodata,"a",@progbits
	.p2align	6, 0x0
	.amdhsa_kernel _ZN7rocprim17ROCPRIM_400000_NS6detail17trampoline_kernelINS0_14default_configENS1_25partition_config_selectorILNS1_17partition_subalgoE8ElNS0_10empty_typeEbEEZZNS1_14partition_implILS5_8ELb0ES3_jPlPS6_PKS6_NS0_5tupleIJS9_S6_EEENSD_IJSA_SA_EEENS0_18inequality_wrapperIZN2at6native12_GLOBAL__N_124unique_dim_cuda_templateIaEESt5tupleIJNSH_6TensorESM_SM_EERKSM_lbbbEUlllE0_EEPmJS6_EEE10hipError_tPvRmT3_T4_T5_T6_T7_T9_mT8_P12ihipStream_tbDpT10_ENKUlT_T0_E_clISt17integral_constantIbLb1EES1B_IbLb0EEEEDaS17_S18_EUlS17_E_NS1_11comp_targetILNS1_3genE2ELNS1_11target_archE906ELNS1_3gpuE6ELNS1_3repE0EEENS1_30default_config_static_selectorELNS0_4arch9wavefront6targetE0EEEvT1_
		.amdhsa_group_segment_fixed_size 0
		.amdhsa_private_segment_fixed_size 0
		.amdhsa_kernarg_size 120
		.amdhsa_user_sgpr_count 15
		.amdhsa_user_sgpr_dispatch_ptr 0
		.amdhsa_user_sgpr_queue_ptr 0
		.amdhsa_user_sgpr_kernarg_segment_ptr 1
		.amdhsa_user_sgpr_dispatch_id 0
		.amdhsa_user_sgpr_private_segment_size 0
		.amdhsa_wavefront_size32 1
		.amdhsa_uses_dynamic_stack 0
		.amdhsa_enable_private_segment 0
		.amdhsa_system_sgpr_workgroup_id_x 1
		.amdhsa_system_sgpr_workgroup_id_y 0
		.amdhsa_system_sgpr_workgroup_id_z 0
		.amdhsa_system_sgpr_workgroup_info 0
		.amdhsa_system_vgpr_workitem_id 0
		.amdhsa_next_free_vgpr 1
		.amdhsa_next_free_sgpr 1
		.amdhsa_reserve_vcc 0
		.amdhsa_float_round_mode_32 0
		.amdhsa_float_round_mode_16_64 0
		.amdhsa_float_denorm_mode_32 3
		.amdhsa_float_denorm_mode_16_64 3
		.amdhsa_dx10_clamp 1
		.amdhsa_ieee_mode 1
		.amdhsa_fp16_overflow 0
		.amdhsa_workgroup_processor_mode 1
		.amdhsa_memory_ordered 1
		.amdhsa_forward_progress 0
		.amdhsa_shared_vgpr_count 0
		.amdhsa_exception_fp_ieee_invalid_op 0
		.amdhsa_exception_fp_denorm_src 0
		.amdhsa_exception_fp_ieee_div_zero 0
		.amdhsa_exception_fp_ieee_overflow 0
		.amdhsa_exception_fp_ieee_underflow 0
		.amdhsa_exception_fp_ieee_inexact 0
		.amdhsa_exception_int_div_zero 0
	.end_amdhsa_kernel
	.section	.text._ZN7rocprim17ROCPRIM_400000_NS6detail17trampoline_kernelINS0_14default_configENS1_25partition_config_selectorILNS1_17partition_subalgoE8ElNS0_10empty_typeEbEEZZNS1_14partition_implILS5_8ELb0ES3_jPlPS6_PKS6_NS0_5tupleIJS9_S6_EEENSD_IJSA_SA_EEENS0_18inequality_wrapperIZN2at6native12_GLOBAL__N_124unique_dim_cuda_templateIaEESt5tupleIJNSH_6TensorESM_SM_EERKSM_lbbbEUlllE0_EEPmJS6_EEE10hipError_tPvRmT3_T4_T5_T6_T7_T9_mT8_P12ihipStream_tbDpT10_ENKUlT_T0_E_clISt17integral_constantIbLb1EES1B_IbLb0EEEEDaS17_S18_EUlS17_E_NS1_11comp_targetILNS1_3genE2ELNS1_11target_archE906ELNS1_3gpuE6ELNS1_3repE0EEENS1_30default_config_static_selectorELNS0_4arch9wavefront6targetE0EEEvT1_,"axG",@progbits,_ZN7rocprim17ROCPRIM_400000_NS6detail17trampoline_kernelINS0_14default_configENS1_25partition_config_selectorILNS1_17partition_subalgoE8ElNS0_10empty_typeEbEEZZNS1_14partition_implILS5_8ELb0ES3_jPlPS6_PKS6_NS0_5tupleIJS9_S6_EEENSD_IJSA_SA_EEENS0_18inequality_wrapperIZN2at6native12_GLOBAL__N_124unique_dim_cuda_templateIaEESt5tupleIJNSH_6TensorESM_SM_EERKSM_lbbbEUlllE0_EEPmJS6_EEE10hipError_tPvRmT3_T4_T5_T6_T7_T9_mT8_P12ihipStream_tbDpT10_ENKUlT_T0_E_clISt17integral_constantIbLb1EES1B_IbLb0EEEEDaS17_S18_EUlS17_E_NS1_11comp_targetILNS1_3genE2ELNS1_11target_archE906ELNS1_3gpuE6ELNS1_3repE0EEENS1_30default_config_static_selectorELNS0_4arch9wavefront6targetE0EEEvT1_,comdat
.Lfunc_end339:
	.size	_ZN7rocprim17ROCPRIM_400000_NS6detail17trampoline_kernelINS0_14default_configENS1_25partition_config_selectorILNS1_17partition_subalgoE8ElNS0_10empty_typeEbEEZZNS1_14partition_implILS5_8ELb0ES3_jPlPS6_PKS6_NS0_5tupleIJS9_S6_EEENSD_IJSA_SA_EEENS0_18inequality_wrapperIZN2at6native12_GLOBAL__N_124unique_dim_cuda_templateIaEESt5tupleIJNSH_6TensorESM_SM_EERKSM_lbbbEUlllE0_EEPmJS6_EEE10hipError_tPvRmT3_T4_T5_T6_T7_T9_mT8_P12ihipStream_tbDpT10_ENKUlT_T0_E_clISt17integral_constantIbLb1EES1B_IbLb0EEEEDaS17_S18_EUlS17_E_NS1_11comp_targetILNS1_3genE2ELNS1_11target_archE906ELNS1_3gpuE6ELNS1_3repE0EEENS1_30default_config_static_selectorELNS0_4arch9wavefront6targetE0EEEvT1_, .Lfunc_end339-_ZN7rocprim17ROCPRIM_400000_NS6detail17trampoline_kernelINS0_14default_configENS1_25partition_config_selectorILNS1_17partition_subalgoE8ElNS0_10empty_typeEbEEZZNS1_14partition_implILS5_8ELb0ES3_jPlPS6_PKS6_NS0_5tupleIJS9_S6_EEENSD_IJSA_SA_EEENS0_18inequality_wrapperIZN2at6native12_GLOBAL__N_124unique_dim_cuda_templateIaEESt5tupleIJNSH_6TensorESM_SM_EERKSM_lbbbEUlllE0_EEPmJS6_EEE10hipError_tPvRmT3_T4_T5_T6_T7_T9_mT8_P12ihipStream_tbDpT10_ENKUlT_T0_E_clISt17integral_constantIbLb1EES1B_IbLb0EEEEDaS17_S18_EUlS17_E_NS1_11comp_targetILNS1_3genE2ELNS1_11target_archE906ELNS1_3gpuE6ELNS1_3repE0EEENS1_30default_config_static_selectorELNS0_4arch9wavefront6targetE0EEEvT1_
                                        ; -- End function
	.section	.AMDGPU.csdata,"",@progbits
; Kernel info:
; codeLenInByte = 0
; NumSgprs: 0
; NumVgprs: 0
; ScratchSize: 0
; MemoryBound: 0
; FloatMode: 240
; IeeeMode: 1
; LDSByteSize: 0 bytes/workgroup (compile time only)
; SGPRBlocks: 0
; VGPRBlocks: 0
; NumSGPRsForWavesPerEU: 1
; NumVGPRsForWavesPerEU: 1
; Occupancy: 16
; WaveLimiterHint : 0
; COMPUTE_PGM_RSRC2:SCRATCH_EN: 0
; COMPUTE_PGM_RSRC2:USER_SGPR: 15
; COMPUTE_PGM_RSRC2:TRAP_HANDLER: 0
; COMPUTE_PGM_RSRC2:TGID_X_EN: 1
; COMPUTE_PGM_RSRC2:TGID_Y_EN: 0
; COMPUTE_PGM_RSRC2:TGID_Z_EN: 0
; COMPUTE_PGM_RSRC2:TIDIG_COMP_CNT: 0
	.section	.text._ZN7rocprim17ROCPRIM_400000_NS6detail17trampoline_kernelINS0_14default_configENS1_25partition_config_selectorILNS1_17partition_subalgoE8ElNS0_10empty_typeEbEEZZNS1_14partition_implILS5_8ELb0ES3_jPlPS6_PKS6_NS0_5tupleIJS9_S6_EEENSD_IJSA_SA_EEENS0_18inequality_wrapperIZN2at6native12_GLOBAL__N_124unique_dim_cuda_templateIaEESt5tupleIJNSH_6TensorESM_SM_EERKSM_lbbbEUlllE0_EEPmJS6_EEE10hipError_tPvRmT3_T4_T5_T6_T7_T9_mT8_P12ihipStream_tbDpT10_ENKUlT_T0_E_clISt17integral_constantIbLb1EES1B_IbLb0EEEEDaS17_S18_EUlS17_E_NS1_11comp_targetILNS1_3genE10ELNS1_11target_archE1200ELNS1_3gpuE4ELNS1_3repE0EEENS1_30default_config_static_selectorELNS0_4arch9wavefront6targetE0EEEvT1_,"axG",@progbits,_ZN7rocprim17ROCPRIM_400000_NS6detail17trampoline_kernelINS0_14default_configENS1_25partition_config_selectorILNS1_17partition_subalgoE8ElNS0_10empty_typeEbEEZZNS1_14partition_implILS5_8ELb0ES3_jPlPS6_PKS6_NS0_5tupleIJS9_S6_EEENSD_IJSA_SA_EEENS0_18inequality_wrapperIZN2at6native12_GLOBAL__N_124unique_dim_cuda_templateIaEESt5tupleIJNSH_6TensorESM_SM_EERKSM_lbbbEUlllE0_EEPmJS6_EEE10hipError_tPvRmT3_T4_T5_T6_T7_T9_mT8_P12ihipStream_tbDpT10_ENKUlT_T0_E_clISt17integral_constantIbLb1EES1B_IbLb0EEEEDaS17_S18_EUlS17_E_NS1_11comp_targetILNS1_3genE10ELNS1_11target_archE1200ELNS1_3gpuE4ELNS1_3repE0EEENS1_30default_config_static_selectorELNS0_4arch9wavefront6targetE0EEEvT1_,comdat
	.globl	_ZN7rocprim17ROCPRIM_400000_NS6detail17trampoline_kernelINS0_14default_configENS1_25partition_config_selectorILNS1_17partition_subalgoE8ElNS0_10empty_typeEbEEZZNS1_14partition_implILS5_8ELb0ES3_jPlPS6_PKS6_NS0_5tupleIJS9_S6_EEENSD_IJSA_SA_EEENS0_18inequality_wrapperIZN2at6native12_GLOBAL__N_124unique_dim_cuda_templateIaEESt5tupleIJNSH_6TensorESM_SM_EERKSM_lbbbEUlllE0_EEPmJS6_EEE10hipError_tPvRmT3_T4_T5_T6_T7_T9_mT8_P12ihipStream_tbDpT10_ENKUlT_T0_E_clISt17integral_constantIbLb1EES1B_IbLb0EEEEDaS17_S18_EUlS17_E_NS1_11comp_targetILNS1_3genE10ELNS1_11target_archE1200ELNS1_3gpuE4ELNS1_3repE0EEENS1_30default_config_static_selectorELNS0_4arch9wavefront6targetE0EEEvT1_ ; -- Begin function _ZN7rocprim17ROCPRIM_400000_NS6detail17trampoline_kernelINS0_14default_configENS1_25partition_config_selectorILNS1_17partition_subalgoE8ElNS0_10empty_typeEbEEZZNS1_14partition_implILS5_8ELb0ES3_jPlPS6_PKS6_NS0_5tupleIJS9_S6_EEENSD_IJSA_SA_EEENS0_18inequality_wrapperIZN2at6native12_GLOBAL__N_124unique_dim_cuda_templateIaEESt5tupleIJNSH_6TensorESM_SM_EERKSM_lbbbEUlllE0_EEPmJS6_EEE10hipError_tPvRmT3_T4_T5_T6_T7_T9_mT8_P12ihipStream_tbDpT10_ENKUlT_T0_E_clISt17integral_constantIbLb1EES1B_IbLb0EEEEDaS17_S18_EUlS17_E_NS1_11comp_targetILNS1_3genE10ELNS1_11target_archE1200ELNS1_3gpuE4ELNS1_3repE0EEENS1_30default_config_static_selectorELNS0_4arch9wavefront6targetE0EEEvT1_
	.p2align	8
	.type	_ZN7rocprim17ROCPRIM_400000_NS6detail17trampoline_kernelINS0_14default_configENS1_25partition_config_selectorILNS1_17partition_subalgoE8ElNS0_10empty_typeEbEEZZNS1_14partition_implILS5_8ELb0ES3_jPlPS6_PKS6_NS0_5tupleIJS9_S6_EEENSD_IJSA_SA_EEENS0_18inequality_wrapperIZN2at6native12_GLOBAL__N_124unique_dim_cuda_templateIaEESt5tupleIJNSH_6TensorESM_SM_EERKSM_lbbbEUlllE0_EEPmJS6_EEE10hipError_tPvRmT3_T4_T5_T6_T7_T9_mT8_P12ihipStream_tbDpT10_ENKUlT_T0_E_clISt17integral_constantIbLb1EES1B_IbLb0EEEEDaS17_S18_EUlS17_E_NS1_11comp_targetILNS1_3genE10ELNS1_11target_archE1200ELNS1_3gpuE4ELNS1_3repE0EEENS1_30default_config_static_selectorELNS0_4arch9wavefront6targetE0EEEvT1_,@function
_ZN7rocprim17ROCPRIM_400000_NS6detail17trampoline_kernelINS0_14default_configENS1_25partition_config_selectorILNS1_17partition_subalgoE8ElNS0_10empty_typeEbEEZZNS1_14partition_implILS5_8ELb0ES3_jPlPS6_PKS6_NS0_5tupleIJS9_S6_EEENSD_IJSA_SA_EEENS0_18inequality_wrapperIZN2at6native12_GLOBAL__N_124unique_dim_cuda_templateIaEESt5tupleIJNSH_6TensorESM_SM_EERKSM_lbbbEUlllE0_EEPmJS6_EEE10hipError_tPvRmT3_T4_T5_T6_T7_T9_mT8_P12ihipStream_tbDpT10_ENKUlT_T0_E_clISt17integral_constantIbLb1EES1B_IbLb0EEEEDaS17_S18_EUlS17_E_NS1_11comp_targetILNS1_3genE10ELNS1_11target_archE1200ELNS1_3gpuE4ELNS1_3repE0EEENS1_30default_config_static_selectorELNS0_4arch9wavefront6targetE0EEEvT1_: ; @_ZN7rocprim17ROCPRIM_400000_NS6detail17trampoline_kernelINS0_14default_configENS1_25partition_config_selectorILNS1_17partition_subalgoE8ElNS0_10empty_typeEbEEZZNS1_14partition_implILS5_8ELb0ES3_jPlPS6_PKS6_NS0_5tupleIJS9_S6_EEENSD_IJSA_SA_EEENS0_18inequality_wrapperIZN2at6native12_GLOBAL__N_124unique_dim_cuda_templateIaEESt5tupleIJNSH_6TensorESM_SM_EERKSM_lbbbEUlllE0_EEPmJS6_EEE10hipError_tPvRmT3_T4_T5_T6_T7_T9_mT8_P12ihipStream_tbDpT10_ENKUlT_T0_E_clISt17integral_constantIbLb1EES1B_IbLb0EEEEDaS17_S18_EUlS17_E_NS1_11comp_targetILNS1_3genE10ELNS1_11target_archE1200ELNS1_3gpuE4ELNS1_3repE0EEENS1_30default_config_static_selectorELNS0_4arch9wavefront6targetE0EEEvT1_
; %bb.0:
	.section	.rodata,"a",@progbits
	.p2align	6, 0x0
	.amdhsa_kernel _ZN7rocprim17ROCPRIM_400000_NS6detail17trampoline_kernelINS0_14default_configENS1_25partition_config_selectorILNS1_17partition_subalgoE8ElNS0_10empty_typeEbEEZZNS1_14partition_implILS5_8ELb0ES3_jPlPS6_PKS6_NS0_5tupleIJS9_S6_EEENSD_IJSA_SA_EEENS0_18inequality_wrapperIZN2at6native12_GLOBAL__N_124unique_dim_cuda_templateIaEESt5tupleIJNSH_6TensorESM_SM_EERKSM_lbbbEUlllE0_EEPmJS6_EEE10hipError_tPvRmT3_T4_T5_T6_T7_T9_mT8_P12ihipStream_tbDpT10_ENKUlT_T0_E_clISt17integral_constantIbLb1EES1B_IbLb0EEEEDaS17_S18_EUlS17_E_NS1_11comp_targetILNS1_3genE10ELNS1_11target_archE1200ELNS1_3gpuE4ELNS1_3repE0EEENS1_30default_config_static_selectorELNS0_4arch9wavefront6targetE0EEEvT1_
		.amdhsa_group_segment_fixed_size 0
		.amdhsa_private_segment_fixed_size 0
		.amdhsa_kernarg_size 120
		.amdhsa_user_sgpr_count 15
		.amdhsa_user_sgpr_dispatch_ptr 0
		.amdhsa_user_sgpr_queue_ptr 0
		.amdhsa_user_sgpr_kernarg_segment_ptr 1
		.amdhsa_user_sgpr_dispatch_id 0
		.amdhsa_user_sgpr_private_segment_size 0
		.amdhsa_wavefront_size32 1
		.amdhsa_uses_dynamic_stack 0
		.amdhsa_enable_private_segment 0
		.amdhsa_system_sgpr_workgroup_id_x 1
		.amdhsa_system_sgpr_workgroup_id_y 0
		.amdhsa_system_sgpr_workgroup_id_z 0
		.amdhsa_system_sgpr_workgroup_info 0
		.amdhsa_system_vgpr_workitem_id 0
		.amdhsa_next_free_vgpr 1
		.amdhsa_next_free_sgpr 1
		.amdhsa_reserve_vcc 0
		.amdhsa_float_round_mode_32 0
		.amdhsa_float_round_mode_16_64 0
		.amdhsa_float_denorm_mode_32 3
		.amdhsa_float_denorm_mode_16_64 3
		.amdhsa_dx10_clamp 1
		.amdhsa_ieee_mode 1
		.amdhsa_fp16_overflow 0
		.amdhsa_workgroup_processor_mode 1
		.amdhsa_memory_ordered 1
		.amdhsa_forward_progress 0
		.amdhsa_shared_vgpr_count 0
		.amdhsa_exception_fp_ieee_invalid_op 0
		.amdhsa_exception_fp_denorm_src 0
		.amdhsa_exception_fp_ieee_div_zero 0
		.amdhsa_exception_fp_ieee_overflow 0
		.amdhsa_exception_fp_ieee_underflow 0
		.amdhsa_exception_fp_ieee_inexact 0
		.amdhsa_exception_int_div_zero 0
	.end_amdhsa_kernel
	.section	.text._ZN7rocprim17ROCPRIM_400000_NS6detail17trampoline_kernelINS0_14default_configENS1_25partition_config_selectorILNS1_17partition_subalgoE8ElNS0_10empty_typeEbEEZZNS1_14partition_implILS5_8ELb0ES3_jPlPS6_PKS6_NS0_5tupleIJS9_S6_EEENSD_IJSA_SA_EEENS0_18inequality_wrapperIZN2at6native12_GLOBAL__N_124unique_dim_cuda_templateIaEESt5tupleIJNSH_6TensorESM_SM_EERKSM_lbbbEUlllE0_EEPmJS6_EEE10hipError_tPvRmT3_T4_T5_T6_T7_T9_mT8_P12ihipStream_tbDpT10_ENKUlT_T0_E_clISt17integral_constantIbLb1EES1B_IbLb0EEEEDaS17_S18_EUlS17_E_NS1_11comp_targetILNS1_3genE10ELNS1_11target_archE1200ELNS1_3gpuE4ELNS1_3repE0EEENS1_30default_config_static_selectorELNS0_4arch9wavefront6targetE0EEEvT1_,"axG",@progbits,_ZN7rocprim17ROCPRIM_400000_NS6detail17trampoline_kernelINS0_14default_configENS1_25partition_config_selectorILNS1_17partition_subalgoE8ElNS0_10empty_typeEbEEZZNS1_14partition_implILS5_8ELb0ES3_jPlPS6_PKS6_NS0_5tupleIJS9_S6_EEENSD_IJSA_SA_EEENS0_18inequality_wrapperIZN2at6native12_GLOBAL__N_124unique_dim_cuda_templateIaEESt5tupleIJNSH_6TensorESM_SM_EERKSM_lbbbEUlllE0_EEPmJS6_EEE10hipError_tPvRmT3_T4_T5_T6_T7_T9_mT8_P12ihipStream_tbDpT10_ENKUlT_T0_E_clISt17integral_constantIbLb1EES1B_IbLb0EEEEDaS17_S18_EUlS17_E_NS1_11comp_targetILNS1_3genE10ELNS1_11target_archE1200ELNS1_3gpuE4ELNS1_3repE0EEENS1_30default_config_static_selectorELNS0_4arch9wavefront6targetE0EEEvT1_,comdat
.Lfunc_end340:
	.size	_ZN7rocprim17ROCPRIM_400000_NS6detail17trampoline_kernelINS0_14default_configENS1_25partition_config_selectorILNS1_17partition_subalgoE8ElNS0_10empty_typeEbEEZZNS1_14partition_implILS5_8ELb0ES3_jPlPS6_PKS6_NS0_5tupleIJS9_S6_EEENSD_IJSA_SA_EEENS0_18inequality_wrapperIZN2at6native12_GLOBAL__N_124unique_dim_cuda_templateIaEESt5tupleIJNSH_6TensorESM_SM_EERKSM_lbbbEUlllE0_EEPmJS6_EEE10hipError_tPvRmT3_T4_T5_T6_T7_T9_mT8_P12ihipStream_tbDpT10_ENKUlT_T0_E_clISt17integral_constantIbLb1EES1B_IbLb0EEEEDaS17_S18_EUlS17_E_NS1_11comp_targetILNS1_3genE10ELNS1_11target_archE1200ELNS1_3gpuE4ELNS1_3repE0EEENS1_30default_config_static_selectorELNS0_4arch9wavefront6targetE0EEEvT1_, .Lfunc_end340-_ZN7rocprim17ROCPRIM_400000_NS6detail17trampoline_kernelINS0_14default_configENS1_25partition_config_selectorILNS1_17partition_subalgoE8ElNS0_10empty_typeEbEEZZNS1_14partition_implILS5_8ELb0ES3_jPlPS6_PKS6_NS0_5tupleIJS9_S6_EEENSD_IJSA_SA_EEENS0_18inequality_wrapperIZN2at6native12_GLOBAL__N_124unique_dim_cuda_templateIaEESt5tupleIJNSH_6TensorESM_SM_EERKSM_lbbbEUlllE0_EEPmJS6_EEE10hipError_tPvRmT3_T4_T5_T6_T7_T9_mT8_P12ihipStream_tbDpT10_ENKUlT_T0_E_clISt17integral_constantIbLb1EES1B_IbLb0EEEEDaS17_S18_EUlS17_E_NS1_11comp_targetILNS1_3genE10ELNS1_11target_archE1200ELNS1_3gpuE4ELNS1_3repE0EEENS1_30default_config_static_selectorELNS0_4arch9wavefront6targetE0EEEvT1_
                                        ; -- End function
	.section	.AMDGPU.csdata,"",@progbits
; Kernel info:
; codeLenInByte = 0
; NumSgprs: 0
; NumVgprs: 0
; ScratchSize: 0
; MemoryBound: 0
; FloatMode: 240
; IeeeMode: 1
; LDSByteSize: 0 bytes/workgroup (compile time only)
; SGPRBlocks: 0
; VGPRBlocks: 0
; NumSGPRsForWavesPerEU: 1
; NumVGPRsForWavesPerEU: 1
; Occupancy: 15
; WaveLimiterHint : 0
; COMPUTE_PGM_RSRC2:SCRATCH_EN: 0
; COMPUTE_PGM_RSRC2:USER_SGPR: 15
; COMPUTE_PGM_RSRC2:TRAP_HANDLER: 0
; COMPUTE_PGM_RSRC2:TGID_X_EN: 1
; COMPUTE_PGM_RSRC2:TGID_Y_EN: 0
; COMPUTE_PGM_RSRC2:TGID_Z_EN: 0
; COMPUTE_PGM_RSRC2:TIDIG_COMP_CNT: 0
	.section	.text._ZN7rocprim17ROCPRIM_400000_NS6detail17trampoline_kernelINS0_14default_configENS1_25partition_config_selectorILNS1_17partition_subalgoE8ElNS0_10empty_typeEbEEZZNS1_14partition_implILS5_8ELb0ES3_jPlPS6_PKS6_NS0_5tupleIJS9_S6_EEENSD_IJSA_SA_EEENS0_18inequality_wrapperIZN2at6native12_GLOBAL__N_124unique_dim_cuda_templateIaEESt5tupleIJNSH_6TensorESM_SM_EERKSM_lbbbEUlllE0_EEPmJS6_EEE10hipError_tPvRmT3_T4_T5_T6_T7_T9_mT8_P12ihipStream_tbDpT10_ENKUlT_T0_E_clISt17integral_constantIbLb1EES1B_IbLb0EEEEDaS17_S18_EUlS17_E_NS1_11comp_targetILNS1_3genE9ELNS1_11target_archE1100ELNS1_3gpuE3ELNS1_3repE0EEENS1_30default_config_static_selectorELNS0_4arch9wavefront6targetE0EEEvT1_,"axG",@progbits,_ZN7rocprim17ROCPRIM_400000_NS6detail17trampoline_kernelINS0_14default_configENS1_25partition_config_selectorILNS1_17partition_subalgoE8ElNS0_10empty_typeEbEEZZNS1_14partition_implILS5_8ELb0ES3_jPlPS6_PKS6_NS0_5tupleIJS9_S6_EEENSD_IJSA_SA_EEENS0_18inequality_wrapperIZN2at6native12_GLOBAL__N_124unique_dim_cuda_templateIaEESt5tupleIJNSH_6TensorESM_SM_EERKSM_lbbbEUlllE0_EEPmJS6_EEE10hipError_tPvRmT3_T4_T5_T6_T7_T9_mT8_P12ihipStream_tbDpT10_ENKUlT_T0_E_clISt17integral_constantIbLb1EES1B_IbLb0EEEEDaS17_S18_EUlS17_E_NS1_11comp_targetILNS1_3genE9ELNS1_11target_archE1100ELNS1_3gpuE3ELNS1_3repE0EEENS1_30default_config_static_selectorELNS0_4arch9wavefront6targetE0EEEvT1_,comdat
	.globl	_ZN7rocprim17ROCPRIM_400000_NS6detail17trampoline_kernelINS0_14default_configENS1_25partition_config_selectorILNS1_17partition_subalgoE8ElNS0_10empty_typeEbEEZZNS1_14partition_implILS5_8ELb0ES3_jPlPS6_PKS6_NS0_5tupleIJS9_S6_EEENSD_IJSA_SA_EEENS0_18inequality_wrapperIZN2at6native12_GLOBAL__N_124unique_dim_cuda_templateIaEESt5tupleIJNSH_6TensorESM_SM_EERKSM_lbbbEUlllE0_EEPmJS6_EEE10hipError_tPvRmT3_T4_T5_T6_T7_T9_mT8_P12ihipStream_tbDpT10_ENKUlT_T0_E_clISt17integral_constantIbLb1EES1B_IbLb0EEEEDaS17_S18_EUlS17_E_NS1_11comp_targetILNS1_3genE9ELNS1_11target_archE1100ELNS1_3gpuE3ELNS1_3repE0EEENS1_30default_config_static_selectorELNS0_4arch9wavefront6targetE0EEEvT1_ ; -- Begin function _ZN7rocprim17ROCPRIM_400000_NS6detail17trampoline_kernelINS0_14default_configENS1_25partition_config_selectorILNS1_17partition_subalgoE8ElNS0_10empty_typeEbEEZZNS1_14partition_implILS5_8ELb0ES3_jPlPS6_PKS6_NS0_5tupleIJS9_S6_EEENSD_IJSA_SA_EEENS0_18inequality_wrapperIZN2at6native12_GLOBAL__N_124unique_dim_cuda_templateIaEESt5tupleIJNSH_6TensorESM_SM_EERKSM_lbbbEUlllE0_EEPmJS6_EEE10hipError_tPvRmT3_T4_T5_T6_T7_T9_mT8_P12ihipStream_tbDpT10_ENKUlT_T0_E_clISt17integral_constantIbLb1EES1B_IbLb0EEEEDaS17_S18_EUlS17_E_NS1_11comp_targetILNS1_3genE9ELNS1_11target_archE1100ELNS1_3gpuE3ELNS1_3repE0EEENS1_30default_config_static_selectorELNS0_4arch9wavefront6targetE0EEEvT1_
	.p2align	8
	.type	_ZN7rocprim17ROCPRIM_400000_NS6detail17trampoline_kernelINS0_14default_configENS1_25partition_config_selectorILNS1_17partition_subalgoE8ElNS0_10empty_typeEbEEZZNS1_14partition_implILS5_8ELb0ES3_jPlPS6_PKS6_NS0_5tupleIJS9_S6_EEENSD_IJSA_SA_EEENS0_18inequality_wrapperIZN2at6native12_GLOBAL__N_124unique_dim_cuda_templateIaEESt5tupleIJNSH_6TensorESM_SM_EERKSM_lbbbEUlllE0_EEPmJS6_EEE10hipError_tPvRmT3_T4_T5_T6_T7_T9_mT8_P12ihipStream_tbDpT10_ENKUlT_T0_E_clISt17integral_constantIbLb1EES1B_IbLb0EEEEDaS17_S18_EUlS17_E_NS1_11comp_targetILNS1_3genE9ELNS1_11target_archE1100ELNS1_3gpuE3ELNS1_3repE0EEENS1_30default_config_static_selectorELNS0_4arch9wavefront6targetE0EEEvT1_,@function
_ZN7rocprim17ROCPRIM_400000_NS6detail17trampoline_kernelINS0_14default_configENS1_25partition_config_selectorILNS1_17partition_subalgoE8ElNS0_10empty_typeEbEEZZNS1_14partition_implILS5_8ELb0ES3_jPlPS6_PKS6_NS0_5tupleIJS9_S6_EEENSD_IJSA_SA_EEENS0_18inequality_wrapperIZN2at6native12_GLOBAL__N_124unique_dim_cuda_templateIaEESt5tupleIJNSH_6TensorESM_SM_EERKSM_lbbbEUlllE0_EEPmJS6_EEE10hipError_tPvRmT3_T4_T5_T6_T7_T9_mT8_P12ihipStream_tbDpT10_ENKUlT_T0_E_clISt17integral_constantIbLb1EES1B_IbLb0EEEEDaS17_S18_EUlS17_E_NS1_11comp_targetILNS1_3genE9ELNS1_11target_archE1100ELNS1_3gpuE3ELNS1_3repE0EEENS1_30default_config_static_selectorELNS0_4arch9wavefront6targetE0EEEvT1_: ; @_ZN7rocprim17ROCPRIM_400000_NS6detail17trampoline_kernelINS0_14default_configENS1_25partition_config_selectorILNS1_17partition_subalgoE8ElNS0_10empty_typeEbEEZZNS1_14partition_implILS5_8ELb0ES3_jPlPS6_PKS6_NS0_5tupleIJS9_S6_EEENSD_IJSA_SA_EEENS0_18inequality_wrapperIZN2at6native12_GLOBAL__N_124unique_dim_cuda_templateIaEESt5tupleIJNSH_6TensorESM_SM_EERKSM_lbbbEUlllE0_EEPmJS6_EEE10hipError_tPvRmT3_T4_T5_T6_T7_T9_mT8_P12ihipStream_tbDpT10_ENKUlT_T0_E_clISt17integral_constantIbLb1EES1B_IbLb0EEEEDaS17_S18_EUlS17_E_NS1_11comp_targetILNS1_3genE9ELNS1_11target_archE1100ELNS1_3gpuE3ELNS1_3repE0EEENS1_30default_config_static_selectorELNS0_4arch9wavefront6targetE0EEEvT1_
; %bb.0:
	s_clause 0x3
	s_load_b128 s[4:7], s[0:1], 0x8
	s_load_b256 s[16:23], s[0:1], 0x40
	s_load_b32 s14, s[0:1], 0x70
	s_load_b128 s[8:11], s[0:1], 0x60
	s_mov_b32 s3, 0
	v_lshlrev_b32_e32 v39, 3, v0
	v_lshrrev_b32_e32 v17, 2, v0
	v_or_b32_e32 v24, 0x200, v0
	v_or_b32_e32 v22, 0x400, v0
	;; [unrolled: 1-line block ×7, first 2 shown]
	s_waitcnt lgkmcnt(0)
	s_lshl_b64 s[24:25], s[6:7], 3
	s_load_b64 s[12:13], s[18:19], 0x0
	s_add_u32 s24, s4, s24
	s_addc_u32 s5, s5, s25
	s_add_i32 s25, s14, -1
	s_lshl_b32 s14, s14, 12
	s_lshl_b32 s4, s25, 12
	;; [unrolled: 1-line block ×3, first 2 shown]
	s_add_i32 s4, s6, s4
	s_add_u32 s18, s6, s14
	s_addc_u32 s19, s7, 0
	s_cmp_eq_u32 s15, s25
	v_cmp_ge_u64_e64 s18, s[18:19], s[20:21]
	s_cselect_b32 s14, -1, 0
	s_lshl_b64 s[2:3], s[2:3], 3
	s_delay_alu instid0(VALU_DEP_1) | instskip(NEXT) | instid1(SALU_CYCLE_1)
	s_and_b32 s19, s14, s18
	s_xor_b32 s18, s19, -1
	s_add_u32 s2, s24, s2
	s_addc_u32 s3, s5, s3
	s_and_b32 vcc_lo, exec_lo, s18
	s_mov_b32 s5, -1
	s_cbranch_vccz .LBB341_2
; %bb.1:
	v_add_co_u32 v9, s5, s2, v39
	s_delay_alu instid0(VALU_DEP_1)
	v_add_co_ci_u32_e64 v10, null, s3, 0, s5
	global_load_b64 v[1:2], v39, s[2:3]
	v_add_co_u32 v3, vcc_lo, v9, 0x2000
	v_add_co_ci_u32_e32 v4, vcc_lo, 0, v10, vcc_lo
	v_add_co_u32 v5, vcc_lo, v9, 0x4000
	v_add_co_ci_u32_e32 v6, vcc_lo, 0, v10, vcc_lo
	;; [unrolled: 2-line block ×4, first 2 shown]
	s_clause 0x6
	global_load_b64 v[11:12], v[3:4], off offset:-4096
	global_load_b64 v[3:4], v[3:4], off
	global_load_b64 v[13:14], v[5:6], off offset:-4096
	global_load_b64 v[5:6], v[5:6], off
	;; [unrolled: 2-line block ×3, first 2 shown]
	global_load_b64 v[9:10], v[9:10], off
	v_lshrrev_b32_e32 v26, 2, v24
	v_lshrrev_b32_e32 v27, 2, v22
	;; [unrolled: 1-line block ×4, first 2 shown]
	v_and_b32_e32 v25, 0x78, v17
	v_lshrrev_b32_e32 v30, 2, v20
	v_lshrrev_b32_e32 v31, 2, v19
	;; [unrolled: 1-line block ×3, first 2 shown]
	v_and_b32_e32 v26, 0xf8, v26
	v_and_b32_e32 v27, 0x178, v27
	;; [unrolled: 1-line block ×4, first 2 shown]
	v_add_nc_u32_e32 v25, v25, v39
	v_and_b32_e32 v30, 0x2f8, v30
	v_and_b32_e32 v31, 0x378, v31
	;; [unrolled: 1-line block ×3, first 2 shown]
	v_add_nc_u32_e32 v26, v26, v39
	v_add_nc_u32_e32 v27, v27, v39
	;; [unrolled: 1-line block ×4, first 2 shown]
	s_mov_b32 s5, 0
	v_add_nc_u32_e32 v30, v30, v39
	v_add_nc_u32_e32 v31, v31, v39
	;; [unrolled: 1-line block ×3, first 2 shown]
	s_waitcnt vmcnt(7)
	ds_store_b64 v25, v[1:2]
	s_waitcnt vmcnt(6)
	ds_store_b64 v26, v[11:12] offset:4096
	s_waitcnt vmcnt(5)
	ds_store_b64 v27, v[3:4] offset:8192
	;; [unrolled: 2-line block ×7, first 2 shown]
	s_waitcnt lgkmcnt(0)
	s_barrier
.LBB341_2:
	s_and_not1_b32 vcc_lo, exec_lo, s5
	s_sub_i32 s20, s20, s4
	s_cbranch_vccnz .LBB341_13
; %bb.3:
	s_mov_b32 s4, exec_lo
                                        ; implicit-def: $vgpr1_vgpr2_vgpr3_vgpr4_vgpr5_vgpr6_vgpr7_vgpr8_vgpr9_vgpr10_vgpr11_vgpr12_vgpr13_vgpr14_vgpr15_vgpr16
	v_cmpx_gt_u32_e64 s20, v0
	s_cbranch_execnz .LBB341_23
; %bb.4:
	s_or_b32 exec_lo, exec_lo, s4
	s_delay_alu instid0(SALU_CYCLE_1)
	s_mov_b32 s4, exec_lo
	v_cmpx_gt_u32_e64 s20, v24
	s_cbranch_execnz .LBB341_24
.LBB341_5:
	s_or_b32 exec_lo, exec_lo, s4
	s_delay_alu instid0(SALU_CYCLE_1)
	s_mov_b32 s4, exec_lo
	v_cmpx_gt_u32_e64 s20, v22
	s_cbranch_execnz .LBB341_25
.LBB341_6:
	s_or_b32 exec_lo, exec_lo, s4
	s_delay_alu instid0(SALU_CYCLE_1)
	s_mov_b32 s4, exec_lo
	v_cmpx_gt_u32_e64 s20, v23
	s_cbranch_execnz .LBB341_26
.LBB341_7:
	s_or_b32 exec_lo, exec_lo, s4
	s_delay_alu instid0(SALU_CYCLE_1)
	s_mov_b32 s4, exec_lo
	v_cmpx_gt_u32_e64 s20, v21
	s_cbranch_execnz .LBB341_27
.LBB341_8:
	s_or_b32 exec_lo, exec_lo, s4
	s_delay_alu instid0(SALU_CYCLE_1)
	s_mov_b32 s4, exec_lo
	v_cmpx_gt_u32_e64 s20, v20
	s_cbranch_execnz .LBB341_28
.LBB341_9:
	s_or_b32 exec_lo, exec_lo, s4
	s_delay_alu instid0(SALU_CYCLE_1)
	s_mov_b32 s4, exec_lo
	v_cmpx_gt_u32_e64 s20, v19
	s_cbranch_execnz .LBB341_29
.LBB341_10:
	s_or_b32 exec_lo, exec_lo, s4
	s_delay_alu instid0(SALU_CYCLE_1)
	s_mov_b32 s4, exec_lo
	v_cmpx_gt_u32_e64 s20, v18
	s_cbranch_execz .LBB341_12
.LBB341_11:
	v_lshlrev_b32_e32 v15, 3, v18
	global_load_b64 v[15:16], v15, s[2:3]
.LBB341_12:
	s_or_b32 exec_lo, exec_lo, s4
	v_lshrrev_b32_e32 v24, 2, v24
	v_lshrrev_b32_e32 v22, 2, v22
	;; [unrolled: 1-line block ×4, first 2 shown]
	v_and_b32_e32 v25, 0x78, v17
	v_lshrrev_b32_e32 v20, 2, v20
	v_lshrrev_b32_e32 v19, 2, v19
	;; [unrolled: 1-line block ×3, first 2 shown]
	v_and_b32_e32 v24, 0xf8, v24
	v_and_b32_e32 v22, 0x1f8, v22
	;; [unrolled: 1-line block ×4, first 2 shown]
	v_add_nc_u32_e32 v25, v25, v39
	v_and_b32_e32 v20, 0x3f8, v20
	v_and_b32_e32 v19, 0x3f8, v19
	v_and_b32_e32 v18, 0x3f8, v18
	v_add_nc_u32_e32 v24, v24, v39
	v_add_nc_u32_e32 v22, v22, v39
	;; [unrolled: 1-line block ×7, first 2 shown]
	s_waitcnt vmcnt(0)
	ds_store_b64 v25, v[1:2]
	ds_store_b64 v24, v[3:4] offset:4096
	ds_store_b64 v22, v[5:6] offset:8192
	;; [unrolled: 1-line block ×7, first 2 shown]
	s_waitcnt lgkmcnt(0)
	s_barrier
.LBB341_13:
	v_add_lshl_u32 v1, v17, v39, 3
	s_waitcnt lgkmcnt(0)
	buffer_gl0_inv
	s_cmp_lg_u32 s15, 0
	v_cmp_gt_i64_e64 s24, s[22:23], 0
	s_cselect_b32 s21, -1, 0
	ds_load_2addr_b64 v[13:16], v1 offset1:1
	ds_load_2addr_b64 v[9:12], v1 offset0:2 offset1:3
	ds_load_2addr_b64 v[5:8], v1 offset0:4 offset1:5
	;; [unrolled: 1-line block ×3, first 2 shown]
	s_cmp_lg_u64 s[6:7], 0
	s_mov_b32 s6, 0
	s_cselect_b32 s4, -1, 0
	s_waitcnt lgkmcnt(0)
	s_or_b32 s4, s21, s4
	s_barrier
	s_and_b32 vcc_lo, exec_lo, s4
	buffer_gl0_inv
	s_cbranch_vccz .LBB341_22
; %bb.14:
	s_add_u32 s2, s2, -8
	s_addc_u32 s3, s3, -1
	v_cndmask_b32_e64 v24, 0, 1, s24
	s_load_b64 s[4:5], s[2:3], 0x0
	s_and_b32 vcc_lo, exec_lo, s18
	ds_store_b64 v39, v[3:4]
	v_cmp_ne_u32_e64 s2, 1, v24
	s_cbranch_vccz .LBB341_30
; %bb.15:
	v_mul_lo_u32 v19, v2, s22
	v_mul_lo_u32 v20, v1, s23
	v_mad_u64_u32 v[17:18], null, v1, s22, 0
	s_mov_b32 s25, 0
	s_and_b32 vcc_lo, exec_lo, s2
	s_mov_b32 s26, 0
	s_delay_alu instid0(VALU_DEP_1)
	v_add3_u32 v25, v18, v20, v19
	s_cbranch_vccnz .LBB341_33
; %bb.16:
	v_mad_u64_u32 v[18:19], null, v3, s22, s[8:9]
	v_mul_lo_u32 v22, v3, s23
	v_mul_lo_u32 v23, v4, s22
	v_add_co_u32 v20, vcc_lo, s8, v17
	v_add_co_ci_u32_e32 v21, vcc_lo, s9, v25, vcc_lo
	s_mov_b32 s26, -1
	s_mov_b32 s27, exec_lo
	s_delay_alu instid0(VALU_DEP_3)
	v_add3_u32 v19, v23, v19, v22
	s_clause 0x1
	global_load_u8 v22, v[20:21], off
	global_load_u8 v23, v[18:19], off
	s_waitcnt vmcnt(0)
	v_cmpx_eq_u16_e64 v22, v23
	s_cbranch_execz .LBB341_32
; %bb.17:
	s_mov_b64 s[2:3], 1
	s_mov_b32 s26, 0
                                        ; implicit-def: $sgpr28
	s_set_inst_prefetch_distance 0x1
	s_branch .LBB341_20
	.p2align	6
.LBB341_18:                             ;   in Loop: Header=BB341_20 Depth=1
	v_add_co_u32 v22, vcc_lo, v20, s2
	v_add_co_ci_u32_e32 v23, vcc_lo, s3, v21, vcc_lo
	v_add_co_u32 v26, vcc_lo, v18, s2
	v_add_co_ci_u32_e32 v27, vcc_lo, s3, v19, vcc_lo
	s_add_u32 s6, s2, 1
	s_clause 0x1
	global_load_u8 v22, v[22:23], off
	global_load_u8 v23, v[26:27], off
	s_addc_u32 s7, s3, 0
	s_and_not1_b32 s28, s28, exec_lo
	s_waitcnt vmcnt(0)
	v_cmp_ne_u16_e32 vcc_lo, v22, v23
	s_and_b32 s29, vcc_lo, exec_lo
	s_delay_alu instid0(SALU_CYCLE_1)
	s_or_b32 s28, s28, s29
.LBB341_19:                             ;   in Loop: Header=BB341_20 Depth=1
	v_dual_mov_b32 v23, s3 :: v_dual_mov_b32 v22, s2
	s_and_b32 s29, exec_lo, s28
	s_mov_b64 s[2:3], s[6:7]
	s_or_b32 s26, s29, s26
	s_delay_alu instid0(SALU_CYCLE_1)
	s_and_not1_b32 exec_lo, exec_lo, s26
	s_cbranch_execz .LBB341_31
.LBB341_20:                             ; =>This Inner Loop Header: Depth=1
	s_or_b32 s28, s28, exec_lo
	s_cmp_eq_u64 s[22:23], s[2:3]
	s_cbranch_scc0 .LBB341_18
; %bb.21:                               ;   in Loop: Header=BB341_20 Depth=1
	s_mov_b64 s[2:3], s[22:23]
                                        ; implicit-def: $sgpr6_sgpr7
	s_branch .LBB341_19
.LBB341_22:
                                        ; implicit-def: $sgpr2
                                        ; implicit-def: $vgpr18
	s_branch .LBB341_191
.LBB341_23:
	global_load_b64 v[1:2], v39, s[2:3]
	s_or_b32 exec_lo, exec_lo, s4
	s_delay_alu instid0(SALU_CYCLE_1)
	s_mov_b32 s4, exec_lo
	v_cmpx_gt_u32_e64 s20, v24
	s_cbranch_execz .LBB341_5
.LBB341_24:
	v_lshlrev_b32_e32 v3, 3, v24
	global_load_b64 v[3:4], v3, s[2:3]
	s_or_b32 exec_lo, exec_lo, s4
	s_delay_alu instid0(SALU_CYCLE_1)
	s_mov_b32 s4, exec_lo
	v_cmpx_gt_u32_e64 s20, v22
	s_cbranch_execz .LBB341_6
.LBB341_25:
	v_lshlrev_b32_e32 v5, 3, v22
	global_load_b64 v[5:6], v5, s[2:3]
	s_or_b32 exec_lo, exec_lo, s4
	s_delay_alu instid0(SALU_CYCLE_1)
	s_mov_b32 s4, exec_lo
	v_cmpx_gt_u32_e64 s20, v23
	s_cbranch_execz .LBB341_7
.LBB341_26:
	v_lshlrev_b32_e32 v7, 3, v23
	global_load_b64 v[7:8], v7, s[2:3]
	s_or_b32 exec_lo, exec_lo, s4
	s_delay_alu instid0(SALU_CYCLE_1)
	s_mov_b32 s4, exec_lo
	v_cmpx_gt_u32_e64 s20, v21
	s_cbranch_execz .LBB341_8
.LBB341_27:
	v_lshlrev_b32_e32 v9, 3, v21
	global_load_b64 v[9:10], v9, s[2:3]
	s_or_b32 exec_lo, exec_lo, s4
	s_delay_alu instid0(SALU_CYCLE_1)
	s_mov_b32 s4, exec_lo
	v_cmpx_gt_u32_e64 s20, v20
	s_cbranch_execz .LBB341_9
.LBB341_28:
	v_lshlrev_b32_e32 v11, 3, v20
	global_load_b64 v[11:12], v11, s[2:3]
	s_or_b32 exec_lo, exec_lo, s4
	s_delay_alu instid0(SALU_CYCLE_1)
	s_mov_b32 s4, exec_lo
	v_cmpx_gt_u32_e64 s20, v19
	s_cbranch_execz .LBB341_10
.LBB341_29:
	v_lshlrev_b32_e32 v13, 3, v19
	global_load_b64 v[13:14], v13, s[2:3]
	s_or_b32 exec_lo, exec_lo, s4
	s_delay_alu instid0(SALU_CYCLE_1)
	s_mov_b32 s4, exec_lo
	v_cmpx_gt_u32_e64 s20, v18
	s_cbranch_execnz .LBB341_11
	s_branch .LBB341_12
.LBB341_30:
                                        ; implicit-def: $sgpr2
                                        ; implicit-def: $vgpr18
	s_cbranch_execnz .LBB341_99
	s_branch .LBB341_190
.LBB341_31:
	s_set_inst_prefetch_distance 0x2
	s_or_b32 exec_lo, exec_lo, s26
	v_cmp_gt_i64_e32 vcc_lo, s[22:23], v[22:23]
	s_or_not1_b32 s26, vcc_lo, exec_lo
.LBB341_32:
	s_or_b32 exec_lo, exec_lo, s27
.LBB341_33:
	v_mul_lo_u32 v18, v8, s22
	v_mul_lo_u32 v21, v7, s23
	v_mad_u64_u32 v[19:20], null, v7, s22, 0
	s_and_not1_b32 vcc_lo, exec_lo, s24
	s_delay_alu instid0(VALU_DEP_1)
	v_add3_u32 v26, v20, v21, v18
	s_cbranch_vccnz .LBB341_42
; %bb.34:
	s_delay_alu instid0(VALU_DEP_2) | instskip(NEXT) | instid1(VALU_DEP_2)
	v_add_co_u32 v20, vcc_lo, s8, v19
	v_add_co_ci_u32_e32 v21, vcc_lo, s9, v26, vcc_lo
	v_add_co_u32 v17, vcc_lo, s8, v17
	v_add_co_ci_u32_e32 v18, vcc_lo, s9, v25, vcc_lo
	s_mov_b32 s25, -1
	s_clause 0x1
	global_load_u8 v22, v[20:21], off
	global_load_u8 v23, v[17:18], off
	s_mov_b32 s27, exec_lo
	s_waitcnt vmcnt(0)
	v_cmpx_eq_u16_e64 v22, v23
	s_cbranch_execz .LBB341_41
; %bb.35:
	s_mov_b64 s[2:3], 1
	s_mov_b32 s25, 0
                                        ; implicit-def: $sgpr28
	s_set_inst_prefetch_distance 0x1
	s_branch .LBB341_38
	.p2align	6
.LBB341_36:                             ;   in Loop: Header=BB341_38 Depth=1
	v_add_co_u32 v22, vcc_lo, v20, s2
	v_add_co_ci_u32_e32 v23, vcc_lo, s3, v21, vcc_lo
	v_add_co_u32 v27, vcc_lo, v17, s2
	v_add_co_ci_u32_e32 v28, vcc_lo, s3, v18, vcc_lo
	s_add_u32 s6, s2, 1
	s_clause 0x1
	global_load_u8 v22, v[22:23], off
	global_load_u8 v23, v[27:28], off
	s_addc_u32 s7, s3, 0
	s_and_not1_b32 s28, s28, exec_lo
	s_waitcnt vmcnt(0)
	v_cmp_ne_u16_e32 vcc_lo, v22, v23
	s_and_b32 s29, vcc_lo, exec_lo
	s_delay_alu instid0(SALU_CYCLE_1)
	s_or_b32 s28, s28, s29
.LBB341_37:                             ;   in Loop: Header=BB341_38 Depth=1
	v_dual_mov_b32 v23, s3 :: v_dual_mov_b32 v22, s2
	s_and_b32 s29, exec_lo, s28
	s_mov_b64 s[2:3], s[6:7]
	s_or_b32 s25, s29, s25
	s_delay_alu instid0(SALU_CYCLE_1)
	s_and_not1_b32 exec_lo, exec_lo, s25
	s_cbranch_execz .LBB341_40
.LBB341_38:                             ; =>This Inner Loop Header: Depth=1
	s_or_b32 s28, s28, exec_lo
	s_cmp_eq_u64 s[22:23], s[2:3]
	s_cbranch_scc0 .LBB341_36
; %bb.39:                               ;   in Loop: Header=BB341_38 Depth=1
	s_mov_b64 s[2:3], s[22:23]
                                        ; implicit-def: $sgpr6_sgpr7
	s_branch .LBB341_37
.LBB341_40:
	s_set_inst_prefetch_distance 0x2
	s_or_b32 exec_lo, exec_lo, s25
	v_cmp_gt_i64_e32 vcc_lo, s[22:23], v[22:23]
	s_or_not1_b32 s25, vcc_lo, exec_lo
.LBB341_41:
	s_or_b32 exec_lo, exec_lo, s27
.LBB341_42:
	v_mul_lo_u32 v20, v6, s22
	v_mul_lo_u32 v21, v5, s23
	v_mad_u64_u32 v[17:18], null, v5, s22, 0
	s_mov_b32 s27, 0
	s_and_not1_b32 vcc_lo, exec_lo, s24
	s_mov_b32 s28, 0
	s_delay_alu instid0(VALU_DEP_1)
	v_add3_u32 v27, v18, v21, v20
	s_cbranch_vccnz .LBB341_51
; %bb.43:
	s_delay_alu instid0(VALU_DEP_2) | instskip(NEXT) | instid1(VALU_DEP_2)
	v_add_co_u32 v20, vcc_lo, s8, v17
	v_add_co_ci_u32_e32 v21, vcc_lo, s9, v27, vcc_lo
	v_add_co_u32 v18, vcc_lo, s8, v19
	v_add_co_ci_u32_e32 v19, vcc_lo, s9, v26, vcc_lo
	s_mov_b32 s28, -1
	s_clause 0x1
	global_load_u8 v22, v[20:21], off
	global_load_u8 v23, v[18:19], off
	s_mov_b32 s29, exec_lo
	s_waitcnt vmcnt(0)
	v_cmpx_eq_u16_e64 v22, v23
	s_cbranch_execz .LBB341_50
; %bb.44:
	s_mov_b64 s[2:3], 1
	s_mov_b32 s28, 0
                                        ; implicit-def: $sgpr30
	s_set_inst_prefetch_distance 0x1
	s_branch .LBB341_47
	.p2align	6
.LBB341_45:                             ;   in Loop: Header=BB341_47 Depth=1
	v_add_co_u32 v22, vcc_lo, v20, s2
	v_add_co_ci_u32_e32 v23, vcc_lo, s3, v21, vcc_lo
	v_add_co_u32 v25, vcc_lo, v18, s2
	v_add_co_ci_u32_e32 v26, vcc_lo, s3, v19, vcc_lo
	s_add_u32 s6, s2, 1
	s_clause 0x1
	global_load_u8 v22, v[22:23], off
	global_load_u8 v23, v[25:26], off
	s_addc_u32 s7, s3, 0
	s_and_not1_b32 s30, s30, exec_lo
	s_waitcnt vmcnt(0)
	v_cmp_ne_u16_e32 vcc_lo, v22, v23
	s_and_b32 s31, vcc_lo, exec_lo
	s_delay_alu instid0(SALU_CYCLE_1)
	s_or_b32 s30, s30, s31
.LBB341_46:                             ;   in Loop: Header=BB341_47 Depth=1
	v_dual_mov_b32 v23, s3 :: v_dual_mov_b32 v22, s2
	s_and_b32 s31, exec_lo, s30
	s_mov_b64 s[2:3], s[6:7]
	s_or_b32 s28, s31, s28
	s_delay_alu instid0(SALU_CYCLE_1)
	s_and_not1_b32 exec_lo, exec_lo, s28
	s_cbranch_execz .LBB341_49
.LBB341_47:                             ; =>This Inner Loop Header: Depth=1
	s_or_b32 s30, s30, exec_lo
	s_cmp_eq_u64 s[22:23], s[2:3]
	s_cbranch_scc0 .LBB341_45
; %bb.48:                               ;   in Loop: Header=BB341_47 Depth=1
	s_mov_b64 s[2:3], s[22:23]
                                        ; implicit-def: $sgpr6_sgpr7
	s_branch .LBB341_46
.LBB341_49:
	s_set_inst_prefetch_distance 0x2
	s_or_b32 exec_lo, exec_lo, s28
	v_cmp_gt_i64_e32 vcc_lo, s[22:23], v[22:23]
	s_or_not1_b32 s28, vcc_lo, exec_lo
.LBB341_50:
	s_or_b32 exec_lo, exec_lo, s29
.LBB341_51:
	v_mul_lo_u32 v18, v12, s22
	v_mul_lo_u32 v21, v11, s23
	v_mad_u64_u32 v[19:20], null, v11, s22, 0
	s_and_not1_b32 vcc_lo, exec_lo, s24
	s_delay_alu instid0(VALU_DEP_1)
	v_add3_u32 v25, v20, v21, v18
	s_cbranch_vccnz .LBB341_60
; %bb.52:
	s_delay_alu instid0(VALU_DEP_2) | instskip(NEXT) | instid1(VALU_DEP_2)
	v_add_co_u32 v20, vcc_lo, s8, v19
	v_add_co_ci_u32_e32 v21, vcc_lo, s9, v25, vcc_lo
	v_add_co_u32 v17, vcc_lo, s8, v17
	v_add_co_ci_u32_e32 v18, vcc_lo, s9, v27, vcc_lo
	s_mov_b32 s27, -1
	s_clause 0x1
	global_load_u8 v22, v[20:21], off
	global_load_u8 v23, v[17:18], off
	s_mov_b32 s29, exec_lo
	s_waitcnt vmcnt(0)
	v_cmpx_eq_u16_e64 v22, v23
	s_cbranch_execz .LBB341_59
; %bb.53:
	s_mov_b64 s[2:3], 1
	s_mov_b32 s27, 0
                                        ; implicit-def: $sgpr30
	s_set_inst_prefetch_distance 0x1
	s_branch .LBB341_56
	.p2align	6
.LBB341_54:                             ;   in Loop: Header=BB341_56 Depth=1
	v_add_co_u32 v22, vcc_lo, v20, s2
	v_add_co_ci_u32_e32 v23, vcc_lo, s3, v21, vcc_lo
	v_add_co_u32 v26, vcc_lo, v17, s2
	v_add_co_ci_u32_e32 v27, vcc_lo, s3, v18, vcc_lo
	s_add_u32 s6, s2, 1
	s_clause 0x1
	global_load_u8 v22, v[22:23], off
	global_load_u8 v23, v[26:27], off
	s_addc_u32 s7, s3, 0
	s_and_not1_b32 s30, s30, exec_lo
	s_waitcnt vmcnt(0)
	v_cmp_ne_u16_e32 vcc_lo, v22, v23
	s_and_b32 s31, vcc_lo, exec_lo
	s_delay_alu instid0(SALU_CYCLE_1)
	s_or_b32 s30, s30, s31
.LBB341_55:                             ;   in Loop: Header=BB341_56 Depth=1
	v_dual_mov_b32 v23, s3 :: v_dual_mov_b32 v22, s2
	s_and_b32 s31, exec_lo, s30
	s_mov_b64 s[2:3], s[6:7]
	s_or_b32 s27, s31, s27
	s_delay_alu instid0(SALU_CYCLE_1)
	s_and_not1_b32 exec_lo, exec_lo, s27
	s_cbranch_execz .LBB341_58
.LBB341_56:                             ; =>This Inner Loop Header: Depth=1
	s_or_b32 s30, s30, exec_lo
	s_cmp_eq_u64 s[22:23], s[2:3]
	s_cbranch_scc0 .LBB341_54
; %bb.57:                               ;   in Loop: Header=BB341_56 Depth=1
	s_mov_b64 s[2:3], s[22:23]
                                        ; implicit-def: $sgpr6_sgpr7
	s_branch .LBB341_55
.LBB341_58:
	s_set_inst_prefetch_distance 0x2
	s_or_b32 exec_lo, exec_lo, s27
	v_cmp_gt_i64_e32 vcc_lo, s[22:23], v[22:23]
	s_or_not1_b32 s27, vcc_lo, exec_lo
.LBB341_59:
	s_or_b32 exec_lo, exec_lo, s29
.LBB341_60:
	v_mul_lo_u32 v20, v10, s22
	v_mul_lo_u32 v21, v9, s23
	v_mad_u64_u32 v[17:18], null, v9, s22, 0
	s_mov_b32 s29, 0
	s_and_not1_b32 vcc_lo, exec_lo, s24
	s_mov_b32 s30, 0
	s_delay_alu instid0(VALU_DEP_1)
	v_add3_u32 v27, v18, v21, v20
	s_cbranch_vccnz .LBB341_69
; %bb.61:
	s_delay_alu instid0(VALU_DEP_2) | instskip(NEXT) | instid1(VALU_DEP_2)
	v_add_co_u32 v20, vcc_lo, s8, v17
	v_add_co_ci_u32_e32 v21, vcc_lo, s9, v27, vcc_lo
	v_add_co_u32 v18, vcc_lo, s8, v19
	v_add_co_ci_u32_e32 v19, vcc_lo, s9, v25, vcc_lo
	s_mov_b32 s30, -1
	s_clause 0x1
	global_load_u8 v22, v[20:21], off
	global_load_u8 v23, v[18:19], off
	s_mov_b32 s31, exec_lo
	s_waitcnt vmcnt(0)
	v_cmpx_eq_u16_e64 v22, v23
	s_cbranch_execz .LBB341_68
; %bb.62:
	s_mov_b64 s[2:3], 1
	s_mov_b32 s30, 0
                                        ; implicit-def: $sgpr33
	s_set_inst_prefetch_distance 0x1
	s_branch .LBB341_65
	.p2align	6
.LBB341_63:                             ;   in Loop: Header=BB341_65 Depth=1
	v_add_co_u32 v22, vcc_lo, v20, s2
	v_add_co_ci_u32_e32 v23, vcc_lo, s3, v21, vcc_lo
	v_add_co_u32 v25, vcc_lo, v18, s2
	v_add_co_ci_u32_e32 v26, vcc_lo, s3, v19, vcc_lo
	s_add_u32 s6, s2, 1
	s_clause 0x1
	global_load_u8 v22, v[22:23], off
	global_load_u8 v23, v[25:26], off
	s_addc_u32 s7, s3, 0
	s_and_not1_b32 s33, s33, exec_lo
	s_waitcnt vmcnt(0)
	v_cmp_ne_u16_e32 vcc_lo, v22, v23
	s_and_b32 s34, vcc_lo, exec_lo
	s_delay_alu instid0(SALU_CYCLE_1)
	s_or_b32 s33, s33, s34
.LBB341_64:                             ;   in Loop: Header=BB341_65 Depth=1
	v_dual_mov_b32 v23, s3 :: v_dual_mov_b32 v22, s2
	s_and_b32 s34, exec_lo, s33
	s_mov_b64 s[2:3], s[6:7]
	s_or_b32 s30, s34, s30
	s_delay_alu instid0(SALU_CYCLE_1)
	s_and_not1_b32 exec_lo, exec_lo, s30
	s_cbranch_execz .LBB341_67
.LBB341_65:                             ; =>This Inner Loop Header: Depth=1
	s_or_b32 s33, s33, exec_lo
	s_cmp_eq_u64 s[22:23], s[2:3]
	s_cbranch_scc0 .LBB341_63
; %bb.66:                               ;   in Loop: Header=BB341_65 Depth=1
	s_mov_b64 s[2:3], s[22:23]
                                        ; implicit-def: $sgpr6_sgpr7
	s_branch .LBB341_64
.LBB341_67:
	s_set_inst_prefetch_distance 0x2
	s_or_b32 exec_lo, exec_lo, s30
	v_cmp_gt_i64_e32 vcc_lo, s[22:23], v[22:23]
	s_or_not1_b32 s30, vcc_lo, exec_lo
.LBB341_68:
	s_or_b32 exec_lo, exec_lo, s31
.LBB341_69:
	v_mul_lo_u32 v18, v16, s22
	v_mul_lo_u32 v21, v15, s23
	v_mad_u64_u32 v[19:20], null, v15, s22, 0
	s_and_not1_b32 vcc_lo, exec_lo, s24
	s_delay_alu instid0(VALU_DEP_1)
	v_add3_u32 v26, v20, v21, v18
	s_cbranch_vccnz .LBB341_78
; %bb.70:
	s_delay_alu instid0(VALU_DEP_2) | instskip(NEXT) | instid1(VALU_DEP_2)
	v_add_co_u32 v20, vcc_lo, s8, v19
	v_add_co_ci_u32_e32 v21, vcc_lo, s9, v26, vcc_lo
	v_add_co_u32 v17, vcc_lo, s8, v17
	v_add_co_ci_u32_e32 v18, vcc_lo, s9, v27, vcc_lo
	s_mov_b32 s29, -1
	s_clause 0x1
	global_load_u8 v22, v[20:21], off
	global_load_u8 v23, v[17:18], off
	s_mov_b32 s31, exec_lo
	s_waitcnt vmcnt(0)
	v_cmpx_eq_u16_e64 v22, v23
	s_cbranch_execz .LBB341_77
; %bb.71:
	s_mov_b64 s[2:3], 1
	s_mov_b32 s29, 0
                                        ; implicit-def: $sgpr33
	s_set_inst_prefetch_distance 0x1
	s_branch .LBB341_74
	.p2align	6
.LBB341_72:                             ;   in Loop: Header=BB341_74 Depth=1
	v_add_co_u32 v22, vcc_lo, v20, s2
	v_add_co_ci_u32_e32 v23, vcc_lo, s3, v21, vcc_lo
	v_add_co_u32 v27, vcc_lo, v17, s2
	v_add_co_ci_u32_e32 v28, vcc_lo, s3, v18, vcc_lo
	s_add_u32 s6, s2, 1
	s_clause 0x1
	global_load_u8 v22, v[22:23], off
	global_load_u8 v23, v[27:28], off
	s_addc_u32 s7, s3, 0
	s_and_not1_b32 s33, s33, exec_lo
	s_waitcnt vmcnt(0)
	v_cmp_ne_u16_e32 vcc_lo, v22, v23
	s_and_b32 s34, vcc_lo, exec_lo
	s_delay_alu instid0(SALU_CYCLE_1)
	s_or_b32 s33, s33, s34
.LBB341_73:                             ;   in Loop: Header=BB341_74 Depth=1
	v_dual_mov_b32 v23, s3 :: v_dual_mov_b32 v22, s2
	s_and_b32 s34, exec_lo, s33
	s_mov_b64 s[2:3], s[6:7]
	s_or_b32 s29, s34, s29
	s_delay_alu instid0(SALU_CYCLE_1)
	s_and_not1_b32 exec_lo, exec_lo, s29
	s_cbranch_execz .LBB341_76
.LBB341_74:                             ; =>This Inner Loop Header: Depth=1
	s_or_b32 s33, s33, exec_lo
	s_cmp_eq_u64 s[22:23], s[2:3]
	s_cbranch_scc0 .LBB341_72
; %bb.75:                               ;   in Loop: Header=BB341_74 Depth=1
	s_mov_b64 s[2:3], s[22:23]
                                        ; implicit-def: $sgpr6_sgpr7
	s_branch .LBB341_73
.LBB341_76:
	s_set_inst_prefetch_distance 0x2
	s_or_b32 exec_lo, exec_lo, s29
	v_cmp_gt_i64_e32 vcc_lo, s[22:23], v[22:23]
	s_or_not1_b32 s29, vcc_lo, exec_lo
.LBB341_77:
	s_or_b32 exec_lo, exec_lo, s31
.LBB341_78:
	v_mul_lo_u32 v20, v14, s22
	v_mul_lo_u32 v21, v13, s23
	v_mad_u64_u32 v[17:18], null, v13, s22, 0
	s_and_not1_b32 vcc_lo, exec_lo, s24
	s_mov_b32 s2, 0
	s_delay_alu instid0(VALU_DEP_1)
	v_add3_u32 v25, v18, v21, v20
	s_cbranch_vccnz .LBB341_87
; %bb.79:
	s_delay_alu instid0(VALU_DEP_2) | instskip(NEXT) | instid1(VALU_DEP_2)
	v_add_co_u32 v20, vcc_lo, s8, v17
	v_add_co_ci_u32_e32 v21, vcc_lo, s9, v25, vcc_lo
	v_add_co_u32 v18, vcc_lo, s8, v19
	v_add_co_ci_u32_e32 v19, vcc_lo, s9, v26, vcc_lo
	s_mov_b32 s2, -1
	s_clause 0x1
	global_load_u8 v22, v[20:21], off
	global_load_u8 v23, v[18:19], off
	s_mov_b32 s31, exec_lo
	s_waitcnt vmcnt(0)
	v_cmpx_eq_u16_e64 v22, v23
	s_cbranch_execz .LBB341_86
; %bb.80:
	s_mov_b64 s[2:3], 1
	s_mov_b32 s33, 0
                                        ; implicit-def: $sgpr34
	s_set_inst_prefetch_distance 0x1
	s_branch .LBB341_83
	.p2align	6
.LBB341_81:                             ;   in Loop: Header=BB341_83 Depth=1
	v_add_co_u32 v22, vcc_lo, v20, s2
	v_add_co_ci_u32_e32 v23, vcc_lo, s3, v21, vcc_lo
	v_add_co_u32 v26, vcc_lo, v18, s2
	v_add_co_ci_u32_e32 v27, vcc_lo, s3, v19, vcc_lo
	s_add_u32 s6, s2, 1
	s_clause 0x1
	global_load_u8 v22, v[22:23], off
	global_load_u8 v23, v[26:27], off
	s_addc_u32 s7, s3, 0
	s_and_not1_b32 s34, s34, exec_lo
	s_waitcnt vmcnt(0)
	v_cmp_ne_u16_e32 vcc_lo, v22, v23
	s_and_b32 s35, vcc_lo, exec_lo
	s_delay_alu instid0(SALU_CYCLE_1)
	s_or_b32 s34, s34, s35
.LBB341_82:                             ;   in Loop: Header=BB341_83 Depth=1
	v_dual_mov_b32 v23, s3 :: v_dual_mov_b32 v22, s2
	s_and_b32 s35, exec_lo, s34
	s_mov_b64 s[2:3], s[6:7]
	s_or_b32 s33, s35, s33
	s_delay_alu instid0(SALU_CYCLE_1)
	s_and_not1_b32 exec_lo, exec_lo, s33
	s_cbranch_execz .LBB341_85
.LBB341_83:                             ; =>This Inner Loop Header: Depth=1
	s_or_b32 s34, s34, exec_lo
	s_cmp_eq_u64 s[22:23], s[2:3]
	s_cbranch_scc0 .LBB341_81
; %bb.84:                               ;   in Loop: Header=BB341_83 Depth=1
	s_mov_b64 s[2:3], s[22:23]
                                        ; implicit-def: $sgpr6_sgpr7
	s_branch .LBB341_82
.LBB341_85:
	s_set_inst_prefetch_distance 0x2
	s_or_b32 exec_lo, exec_lo, s33
	v_cmp_gt_i64_e32 vcc_lo, s[22:23], v[22:23]
	s_or_not1_b32 s2, vcc_lo, exec_lo
.LBB341_86:
	s_or_b32 exec_lo, exec_lo, s31
.LBB341_87:
	s_waitcnt lgkmcnt(0)
	v_dual_mov_b32 v21, s5 :: v_dual_mov_b32 v20, s4
	s_mov_b32 s3, exec_lo
	s_barrier
	buffer_gl0_inv
	v_cmpx_ne_u32_e32 0, v0
	s_cbranch_execz .LBB341_89
; %bb.88:
	v_add_nc_u32_e32 v18, -8, v39
	ds_load_b64 v[20:21], v18
.LBB341_89:
	s_or_b32 exec_lo, exec_lo, s3
	v_cndmask_b32_e64 v19, 0, 1, s30
	v_cndmask_b32_e64 v23, 0, 1, s28
	;; [unrolled: 1-line block ×7, first 2 shown]
	v_lshlrev_b16 v19, 8, v19
	v_lshlrev_b16 v23, 8, v23
	;; [unrolled: 1-line block ×4, first 2 shown]
	s_mov_b32 s25, 0
	v_or_b32_e32 v18, v18, v19
	v_or_b32_e32 v19, v22, v23
	;; [unrolled: 1-line block ×3, first 2 shown]
	v_and_b32_e32 v26, 0xffff, v27
	s_and_not1_b32 vcc_lo, exec_lo, s24
	v_lshlrev_b32_e32 v27, 16, v18
	v_and_b32_e32 v28, 0xffff, v19
	v_lshlrev_b32_e32 v29, 16, v22
	s_mov_b32 s2, 0
	s_cbranch_vccnz .LBB341_98
; %bb.90:
	s_waitcnt lgkmcnt(0)
	v_mad_u64_u32 v[18:19], null, v20, s22, s[8:9]
	v_mul_lo_u32 v20, v20, s23
	v_mul_lo_u32 v21, v21, s22
	s_mov_b32 s2, -1
	s_mov_b32 s26, exec_lo
	s_delay_alu instid0(VALU_DEP_1)
	v_add3_u32 v19, v21, v19, v20
	v_add_co_u32 v20, vcc_lo, s8, v17
	v_add_co_ci_u32_e32 v21, vcc_lo, s9, v25, vcc_lo
	s_clause 0x1
	global_load_u8 v17, v[18:19], off
	global_load_u8 v22, v[20:21], off
	s_waitcnt vmcnt(0)
	v_cmpx_eq_u16_e64 v17, v22
	s_cbranch_execz .LBB341_97
; %bb.91:
	s_mov_b64 s[2:3], 1
	s_mov_b32 s27, 0
                                        ; implicit-def: $sgpr28
	s_set_inst_prefetch_distance 0x1
	s_branch .LBB341_94
	.p2align	6
.LBB341_92:                             ;   in Loop: Header=BB341_94 Depth=1
	v_add_co_u32 v22, vcc_lo, v18, s2
	v_add_co_ci_u32_e32 v23, vcc_lo, s3, v19, vcc_lo
	v_add_co_u32 v30, vcc_lo, v20, s2
	v_add_co_ci_u32_e32 v31, vcc_lo, s3, v21, vcc_lo
	s_add_u32 s6, s2, 1
	s_clause 0x1
	global_load_u8 v17, v[22:23], off
	global_load_u8 v22, v[30:31], off
	s_addc_u32 s7, s3, 0
	s_and_not1_b32 s28, s28, exec_lo
	s_waitcnt vmcnt(0)
	v_cmp_ne_u16_e32 vcc_lo, v17, v22
	s_and_b32 s29, vcc_lo, exec_lo
	s_delay_alu instid0(SALU_CYCLE_1)
	s_or_b32 s28, s28, s29
.LBB341_93:                             ;   in Loop: Header=BB341_94 Depth=1
	v_dual_mov_b32 v23, s3 :: v_dual_mov_b32 v22, s2
	s_and_b32 s29, exec_lo, s28
	s_mov_b64 s[2:3], s[6:7]
	s_or_b32 s27, s29, s27
	s_delay_alu instid0(SALU_CYCLE_1)
	s_and_not1_b32 exec_lo, exec_lo, s27
	s_cbranch_execz .LBB341_96
.LBB341_94:                             ; =>This Inner Loop Header: Depth=1
	s_or_b32 s28, s28, exec_lo
	s_cmp_eq_u64 s[22:23], s[2:3]
	s_cbranch_scc0 .LBB341_92
; %bb.95:                               ;   in Loop: Header=BB341_94 Depth=1
	s_mov_b64 s[2:3], s[22:23]
                                        ; implicit-def: $sgpr6_sgpr7
	s_branch .LBB341_93
.LBB341_96:
	s_set_inst_prefetch_distance 0x2
	s_or_b32 exec_lo, exec_lo, s27
	v_cmp_gt_i64_e32 vcc_lo, s[22:23], v[22:23]
	s_or_not1_b32 s2, vcc_lo, exec_lo
.LBB341_97:
	s_or_b32 exec_lo, exec_lo, s26
.LBB341_98:
	v_or_b32_e32 v17, v26, v27
	s_delay_alu instid0(VALU_DEP_2)
	v_or_b32_e32 v18, v28, v29
	s_and_b32 vcc_lo, exec_lo, s25
	s_cbranch_vccz .LBB341_190
.LBB341_99:
	v_or_b32_e32 v17, 7, v39
	s_mov_b32 s25, 0
	s_mov_b32 s26, 0
	s_mov_b32 s27, exec_lo
	s_delay_alu instid0(VALU_DEP_1)
	v_cmpx_gt_u32_e64 s20, v17
	s_cbranch_execz .LBB341_110
; %bb.100:
	s_and_not1_b32 vcc_lo, exec_lo, s24
	s_mov_b32 s2, 0
	s_cbranch_vccnz .LBB341_109
; %bb.101:
	v_mad_u64_u32 v[17:18], null, v1, s22, s[8:9]
	s_waitcnt lgkmcnt(0)
	v_mul_lo_u32 v21, v1, s23
	v_mul_lo_u32 v22, v2, s22
	v_mad_u64_u32 v[19:20], null, v3, s22, s[8:9]
	v_mul_lo_u32 v23, v3, s23
	v_mul_lo_u32 v25, v4, s22
	s_mov_b32 s2, -1
	s_mov_b32 s24, exec_lo
	s_delay_alu instid0(VALU_DEP_4) | instskip(NEXT) | instid1(VALU_DEP_2)
	v_add3_u32 v18, v22, v18, v21
	v_add3_u32 v20, v25, v20, v23
	s_clause 0x1
	global_load_u8 v21, v[17:18], off
	global_load_u8 v22, v[19:20], off
	s_waitcnt vmcnt(0)
	v_cmpx_eq_u16_e64 v21, v22
	s_cbranch_execz .LBB341_108
; %bb.102:
	s_mov_b64 s[2:3], 1
                                        ; implicit-def: $sgpr28
	s_set_inst_prefetch_distance 0x1
	s_branch .LBB341_105
	.p2align	6
.LBB341_103:                            ;   in Loop: Header=BB341_105 Depth=1
	v_add_co_u32 v21, vcc_lo, v17, s2
	v_add_co_ci_u32_e32 v22, vcc_lo, s3, v18, vcc_lo
	v_add_co_u32 v25, vcc_lo, v19, s2
	v_add_co_ci_u32_e32 v26, vcc_lo, s3, v20, vcc_lo
	s_add_u32 s6, s2, 1
	s_clause 0x1
	global_load_u8 v21, v[21:22], off
	global_load_u8 v22, v[25:26], off
	s_addc_u32 s7, s3, 0
	s_and_not1_b32 s28, s28, exec_lo
	s_waitcnt vmcnt(0)
	v_cmp_ne_u16_e32 vcc_lo, v21, v22
	s_and_b32 s29, vcc_lo, exec_lo
	s_delay_alu instid0(SALU_CYCLE_1)
	s_or_b32 s28, s28, s29
.LBB341_104:                            ;   in Loop: Header=BB341_105 Depth=1
	v_dual_mov_b32 v22, s3 :: v_dual_mov_b32 v21, s2
	s_and_b32 s29, exec_lo, s28
	s_mov_b64 s[2:3], s[6:7]
	s_or_b32 s26, s29, s26
	s_delay_alu instid0(SALU_CYCLE_1)
	s_and_not1_b32 exec_lo, exec_lo, s26
	s_cbranch_execz .LBB341_107
.LBB341_105:                            ; =>This Inner Loop Header: Depth=1
	s_or_b32 s28, s28, exec_lo
	s_cmp_eq_u64 s[22:23], s[2:3]
	s_cbranch_scc0 .LBB341_103
; %bb.106:                              ;   in Loop: Header=BB341_105 Depth=1
	s_mov_b64 s[2:3], s[22:23]
                                        ; implicit-def: $sgpr6_sgpr7
	s_branch .LBB341_104
.LBB341_107:
	s_set_inst_prefetch_distance 0x2
	s_or_b32 exec_lo, exec_lo, s26
	v_cmp_gt_i64_e32 vcc_lo, s[22:23], v[21:22]
	s_or_not1_b32 s2, vcc_lo, exec_lo
.LBB341_108:
	s_or_b32 exec_lo, exec_lo, s24
.LBB341_109:
	s_delay_alu instid0(SALU_CYCLE_1)
	s_and_b32 s26, s2, exec_lo
.LBB341_110:
	s_or_b32 exec_lo, exec_lo, s27
	v_or_b32_e32 v17, 6, v39
	s_mov_b32 s24, exec_lo
	s_delay_alu instid0(VALU_DEP_1)
	v_cmpx_gt_u32_e64 s20, v17
	s_cbranch_execz .LBB341_121
; %bb.111:
	v_cmp_ne_u32_e32 vcc_lo, 1, v24
	s_mov_b32 s2, 0
	s_cbranch_vccnz .LBB341_120
; %bb.112:
	v_mad_u64_u32 v[17:18], null, v7, s22, s[8:9]
	s_waitcnt lgkmcnt(0)
	v_mul_lo_u32 v21, v7, s23
	v_mul_lo_u32 v22, v8, s22
	v_mad_u64_u32 v[19:20], null, v1, s22, s[8:9]
	v_mul_lo_u32 v23, v1, s23
	v_mul_lo_u32 v25, v2, s22
	s_mov_b32 s2, -1
	s_mov_b32 s25, exec_lo
	s_delay_alu instid0(VALU_DEP_4) | instskip(NEXT) | instid1(VALU_DEP_2)
	v_add3_u32 v18, v22, v18, v21
	v_add3_u32 v20, v25, v20, v23
	s_clause 0x1
	global_load_u8 v21, v[17:18], off
	global_load_u8 v22, v[19:20], off
	s_waitcnt vmcnt(0)
	v_cmpx_eq_u16_e64 v21, v22
	s_cbranch_execz .LBB341_119
; %bb.113:
	s_mov_b64 s[2:3], 1
	s_mov_b32 s27, 0
                                        ; implicit-def: $sgpr28
	s_set_inst_prefetch_distance 0x1
	s_branch .LBB341_116
	.p2align	6
.LBB341_114:                            ;   in Loop: Header=BB341_116 Depth=1
	v_add_co_u32 v21, vcc_lo, v17, s2
	v_add_co_ci_u32_e32 v22, vcc_lo, s3, v18, vcc_lo
	v_add_co_u32 v25, vcc_lo, v19, s2
	v_add_co_ci_u32_e32 v26, vcc_lo, s3, v20, vcc_lo
	s_add_u32 s6, s2, 1
	s_clause 0x1
	global_load_u8 v21, v[21:22], off
	global_load_u8 v22, v[25:26], off
	s_addc_u32 s7, s3, 0
	s_and_not1_b32 s28, s28, exec_lo
	s_waitcnt vmcnt(0)
	v_cmp_ne_u16_e32 vcc_lo, v21, v22
	s_and_b32 s29, vcc_lo, exec_lo
	s_delay_alu instid0(SALU_CYCLE_1)
	s_or_b32 s28, s28, s29
.LBB341_115:                            ;   in Loop: Header=BB341_116 Depth=1
	v_dual_mov_b32 v22, s3 :: v_dual_mov_b32 v21, s2
	s_and_b32 s29, exec_lo, s28
	s_mov_b64 s[2:3], s[6:7]
	s_or_b32 s27, s29, s27
	s_delay_alu instid0(SALU_CYCLE_1)
	s_and_not1_b32 exec_lo, exec_lo, s27
	s_cbranch_execz .LBB341_118
.LBB341_116:                            ; =>This Inner Loop Header: Depth=1
	s_or_b32 s28, s28, exec_lo
	s_cmp_eq_u64 s[22:23], s[2:3]
	s_cbranch_scc0 .LBB341_114
; %bb.117:                              ;   in Loop: Header=BB341_116 Depth=1
	s_mov_b64 s[2:3], s[22:23]
                                        ; implicit-def: $sgpr6_sgpr7
	s_branch .LBB341_115
.LBB341_118:
	s_set_inst_prefetch_distance 0x2
	s_or_b32 exec_lo, exec_lo, s27
	v_cmp_gt_i64_e32 vcc_lo, s[22:23], v[21:22]
	s_or_not1_b32 s2, vcc_lo, exec_lo
.LBB341_119:
	s_or_b32 exec_lo, exec_lo, s25
.LBB341_120:
	s_delay_alu instid0(SALU_CYCLE_1)
	s_and_b32 s25, s2, exec_lo
.LBB341_121:
	s_or_b32 exec_lo, exec_lo, s24
	v_or_b32_e32 v17, 5, v39
	s_mov_b32 s27, 0
	s_mov_b32 s24, 0
	s_mov_b32 s28, exec_lo
	s_delay_alu instid0(VALU_DEP_1)
	v_cmpx_gt_u32_e64 s20, v17
	s_cbranch_execz .LBB341_132
; %bb.122:
	v_cmp_ne_u32_e32 vcc_lo, 1, v24
	s_mov_b32 s2, 0
	s_cbranch_vccnz .LBB341_131
; %bb.123:
	v_mad_u64_u32 v[17:18], null, v5, s22, s[8:9]
	s_waitcnt lgkmcnt(0)
	v_mul_lo_u32 v21, v5, s23
	v_mul_lo_u32 v22, v6, s22
	v_mad_u64_u32 v[19:20], null, v7, s22, s[8:9]
	v_mul_lo_u32 v23, v7, s23
	v_mul_lo_u32 v25, v8, s22
	s_mov_b32 s2, -1
	s_mov_b32 s24, exec_lo
	s_delay_alu instid0(VALU_DEP_4) | instskip(NEXT) | instid1(VALU_DEP_2)
	v_add3_u32 v18, v22, v18, v21
	v_add3_u32 v20, v25, v20, v23
	s_clause 0x1
	global_load_u8 v21, v[17:18], off
	global_load_u8 v22, v[19:20], off
	s_waitcnt vmcnt(0)
	v_cmpx_eq_u16_e64 v21, v22
	s_cbranch_execz .LBB341_130
; %bb.124:
	s_mov_b64 s[2:3], 1
	s_mov_b32 s29, 0
                                        ; implicit-def: $sgpr30
	s_set_inst_prefetch_distance 0x1
	s_branch .LBB341_127
	.p2align	6
.LBB341_125:                            ;   in Loop: Header=BB341_127 Depth=1
	v_add_co_u32 v21, vcc_lo, v17, s2
	v_add_co_ci_u32_e32 v22, vcc_lo, s3, v18, vcc_lo
	v_add_co_u32 v25, vcc_lo, v19, s2
	v_add_co_ci_u32_e32 v26, vcc_lo, s3, v20, vcc_lo
	s_add_u32 s6, s2, 1
	s_clause 0x1
	global_load_u8 v21, v[21:22], off
	global_load_u8 v22, v[25:26], off
	s_addc_u32 s7, s3, 0
	s_and_not1_b32 s30, s30, exec_lo
	s_waitcnt vmcnt(0)
	v_cmp_ne_u16_e32 vcc_lo, v21, v22
	s_and_b32 s31, vcc_lo, exec_lo
	s_delay_alu instid0(SALU_CYCLE_1)
	s_or_b32 s30, s30, s31
.LBB341_126:                            ;   in Loop: Header=BB341_127 Depth=1
	v_dual_mov_b32 v22, s3 :: v_dual_mov_b32 v21, s2
	s_and_b32 s31, exec_lo, s30
	s_mov_b64 s[2:3], s[6:7]
	s_or_b32 s29, s31, s29
	s_delay_alu instid0(SALU_CYCLE_1)
	s_and_not1_b32 exec_lo, exec_lo, s29
	s_cbranch_execz .LBB341_129
.LBB341_127:                            ; =>This Inner Loop Header: Depth=1
	s_or_b32 s30, s30, exec_lo
	s_cmp_eq_u64 s[22:23], s[2:3]
	s_cbranch_scc0 .LBB341_125
; %bb.128:                              ;   in Loop: Header=BB341_127 Depth=1
	s_mov_b64 s[2:3], s[22:23]
                                        ; implicit-def: $sgpr6_sgpr7
	s_branch .LBB341_126
.LBB341_129:
	s_set_inst_prefetch_distance 0x2
	s_or_b32 exec_lo, exec_lo, s29
	v_cmp_gt_i64_e32 vcc_lo, s[22:23], v[21:22]
	s_or_not1_b32 s2, vcc_lo, exec_lo
.LBB341_130:
	s_or_b32 exec_lo, exec_lo, s24
.LBB341_131:
	s_delay_alu instid0(SALU_CYCLE_1)
	s_and_b32 s24, s2, exec_lo
.LBB341_132:
	s_or_b32 exec_lo, exec_lo, s28
	v_or_b32_e32 v17, 4, v39
	s_mov_b32 s28, exec_lo
	s_delay_alu instid0(VALU_DEP_1)
	v_cmpx_gt_u32_e64 s20, v17
	s_cbranch_execz .LBB341_143
; %bb.133:
	v_cmp_ne_u32_e32 vcc_lo, 1, v24
	s_mov_b32 s2, 0
	s_cbranch_vccnz .LBB341_142
; %bb.134:
	v_mad_u64_u32 v[17:18], null, v11, s22, s[8:9]
	s_waitcnt lgkmcnt(0)
	v_mul_lo_u32 v21, v11, s23
	v_mul_lo_u32 v22, v12, s22
	v_mad_u64_u32 v[19:20], null, v5, s22, s[8:9]
	v_mul_lo_u32 v23, v5, s23
	v_mul_lo_u32 v25, v6, s22
	s_mov_b32 s2, -1
	s_mov_b32 s27, exec_lo
	s_delay_alu instid0(VALU_DEP_4) | instskip(NEXT) | instid1(VALU_DEP_2)
	v_add3_u32 v18, v22, v18, v21
	v_add3_u32 v20, v25, v20, v23
	s_clause 0x1
	global_load_u8 v21, v[17:18], off
	global_load_u8 v22, v[19:20], off
	s_waitcnt vmcnt(0)
	v_cmpx_eq_u16_e64 v21, v22
	s_cbranch_execz .LBB341_141
; %bb.135:
	s_mov_b64 s[2:3], 1
	s_mov_b32 s29, 0
                                        ; implicit-def: $sgpr30
	s_set_inst_prefetch_distance 0x1
	s_branch .LBB341_138
	.p2align	6
.LBB341_136:                            ;   in Loop: Header=BB341_138 Depth=1
	v_add_co_u32 v21, vcc_lo, v17, s2
	v_add_co_ci_u32_e32 v22, vcc_lo, s3, v18, vcc_lo
	v_add_co_u32 v25, vcc_lo, v19, s2
	v_add_co_ci_u32_e32 v26, vcc_lo, s3, v20, vcc_lo
	s_add_u32 s6, s2, 1
	s_clause 0x1
	global_load_u8 v21, v[21:22], off
	global_load_u8 v22, v[25:26], off
	s_addc_u32 s7, s3, 0
	s_and_not1_b32 s30, s30, exec_lo
	s_waitcnt vmcnt(0)
	v_cmp_ne_u16_e32 vcc_lo, v21, v22
	s_and_b32 s31, vcc_lo, exec_lo
	s_delay_alu instid0(SALU_CYCLE_1)
	s_or_b32 s30, s30, s31
.LBB341_137:                            ;   in Loop: Header=BB341_138 Depth=1
	v_dual_mov_b32 v22, s3 :: v_dual_mov_b32 v21, s2
	s_and_b32 s31, exec_lo, s30
	s_mov_b64 s[2:3], s[6:7]
	s_or_b32 s29, s31, s29
	s_delay_alu instid0(SALU_CYCLE_1)
	s_and_not1_b32 exec_lo, exec_lo, s29
	s_cbranch_execz .LBB341_140
.LBB341_138:                            ; =>This Inner Loop Header: Depth=1
	s_or_b32 s30, s30, exec_lo
	s_cmp_eq_u64 s[22:23], s[2:3]
	s_cbranch_scc0 .LBB341_136
; %bb.139:                              ;   in Loop: Header=BB341_138 Depth=1
	s_mov_b64 s[2:3], s[22:23]
                                        ; implicit-def: $sgpr6_sgpr7
	s_branch .LBB341_137
.LBB341_140:
	s_set_inst_prefetch_distance 0x2
	s_or_b32 exec_lo, exec_lo, s29
	v_cmp_gt_i64_e32 vcc_lo, s[22:23], v[21:22]
	s_or_not1_b32 s2, vcc_lo, exec_lo
.LBB341_141:
	s_or_b32 exec_lo, exec_lo, s27
.LBB341_142:
	s_delay_alu instid0(SALU_CYCLE_1)
	s_and_b32 s27, s2, exec_lo
.LBB341_143:
	s_or_b32 exec_lo, exec_lo, s28
	v_or_b32_e32 v17, 3, v39
	s_mov_b32 s29, 0
	s_mov_b32 s28, 0
	s_mov_b32 s30, exec_lo
	s_delay_alu instid0(VALU_DEP_1)
	v_cmpx_gt_u32_e64 s20, v17
	s_cbranch_execz .LBB341_154
; %bb.144:
	v_cmp_ne_u32_e32 vcc_lo, 1, v24
	s_mov_b32 s2, 0
	s_cbranch_vccnz .LBB341_153
; %bb.145:
	v_mad_u64_u32 v[17:18], null, v9, s22, s[8:9]
	s_waitcnt lgkmcnt(0)
	v_mul_lo_u32 v21, v9, s23
	v_mul_lo_u32 v22, v10, s22
	v_mad_u64_u32 v[19:20], null, v11, s22, s[8:9]
	v_mul_lo_u32 v23, v11, s23
	v_mul_lo_u32 v25, v12, s22
	s_mov_b32 s2, -1
	s_mov_b32 s28, exec_lo
	s_delay_alu instid0(VALU_DEP_4) | instskip(NEXT) | instid1(VALU_DEP_2)
	v_add3_u32 v18, v22, v18, v21
	v_add3_u32 v20, v25, v20, v23
	s_clause 0x1
	global_load_u8 v21, v[17:18], off
	global_load_u8 v22, v[19:20], off
	s_waitcnt vmcnt(0)
	v_cmpx_eq_u16_e64 v21, v22
	s_cbranch_execz .LBB341_152
; %bb.146:
	s_mov_b64 s[2:3], 1
	s_mov_b32 s31, 0
                                        ; implicit-def: $sgpr33
	s_set_inst_prefetch_distance 0x1
	s_branch .LBB341_149
	.p2align	6
.LBB341_147:                            ;   in Loop: Header=BB341_149 Depth=1
	v_add_co_u32 v21, vcc_lo, v17, s2
	v_add_co_ci_u32_e32 v22, vcc_lo, s3, v18, vcc_lo
	v_add_co_u32 v25, vcc_lo, v19, s2
	v_add_co_ci_u32_e32 v26, vcc_lo, s3, v20, vcc_lo
	s_add_u32 s6, s2, 1
	s_clause 0x1
	global_load_u8 v21, v[21:22], off
	global_load_u8 v22, v[25:26], off
	s_addc_u32 s7, s3, 0
	s_and_not1_b32 s33, s33, exec_lo
	s_waitcnt vmcnt(0)
	v_cmp_ne_u16_e32 vcc_lo, v21, v22
	s_and_b32 s34, vcc_lo, exec_lo
	s_delay_alu instid0(SALU_CYCLE_1)
	s_or_b32 s33, s33, s34
.LBB341_148:                            ;   in Loop: Header=BB341_149 Depth=1
	v_dual_mov_b32 v22, s3 :: v_dual_mov_b32 v21, s2
	s_and_b32 s34, exec_lo, s33
	s_mov_b64 s[2:3], s[6:7]
	s_or_b32 s31, s34, s31
	s_delay_alu instid0(SALU_CYCLE_1)
	s_and_not1_b32 exec_lo, exec_lo, s31
	s_cbranch_execz .LBB341_151
.LBB341_149:                            ; =>This Inner Loop Header: Depth=1
	s_or_b32 s33, s33, exec_lo
	s_cmp_eq_u64 s[22:23], s[2:3]
	s_cbranch_scc0 .LBB341_147
; %bb.150:                              ;   in Loop: Header=BB341_149 Depth=1
	s_mov_b64 s[2:3], s[22:23]
                                        ; implicit-def: $sgpr6_sgpr7
	s_branch .LBB341_148
.LBB341_151:
	s_set_inst_prefetch_distance 0x2
	s_or_b32 exec_lo, exec_lo, s31
	v_cmp_gt_i64_e32 vcc_lo, s[22:23], v[21:22]
	s_or_not1_b32 s2, vcc_lo, exec_lo
.LBB341_152:
	s_or_b32 exec_lo, exec_lo, s28
.LBB341_153:
	s_delay_alu instid0(SALU_CYCLE_1)
	s_and_b32 s28, s2, exec_lo
.LBB341_154:
	s_or_b32 exec_lo, exec_lo, s30
	v_or_b32_e32 v17, 2, v39
	s_mov_b32 s30, exec_lo
	s_delay_alu instid0(VALU_DEP_1)
	v_cmpx_gt_u32_e64 s20, v17
	s_cbranch_execz .LBB341_165
; %bb.155:
	v_cmp_ne_u32_e32 vcc_lo, 1, v24
	s_mov_b32 s2, 0
	s_cbranch_vccnz .LBB341_164
; %bb.156:
	v_mad_u64_u32 v[17:18], null, v15, s22, s[8:9]
	s_waitcnt lgkmcnt(0)
	v_mul_lo_u32 v21, v15, s23
	v_mul_lo_u32 v22, v16, s22
	v_mad_u64_u32 v[19:20], null, v9, s22, s[8:9]
	v_mul_lo_u32 v23, v9, s23
	v_mul_lo_u32 v25, v10, s22
	s_mov_b32 s2, -1
	s_mov_b32 s29, exec_lo
	s_delay_alu instid0(VALU_DEP_4) | instskip(NEXT) | instid1(VALU_DEP_2)
	v_add3_u32 v18, v22, v18, v21
	v_add3_u32 v20, v25, v20, v23
	s_clause 0x1
	global_load_u8 v21, v[17:18], off
	global_load_u8 v22, v[19:20], off
	s_waitcnt vmcnt(0)
	v_cmpx_eq_u16_e64 v21, v22
	s_cbranch_execz .LBB341_163
; %bb.157:
	s_mov_b64 s[2:3], 1
	s_mov_b32 s31, 0
                                        ; implicit-def: $sgpr33
	s_set_inst_prefetch_distance 0x1
	s_branch .LBB341_160
	.p2align	6
.LBB341_158:                            ;   in Loop: Header=BB341_160 Depth=1
	v_add_co_u32 v21, vcc_lo, v17, s2
	v_add_co_ci_u32_e32 v22, vcc_lo, s3, v18, vcc_lo
	v_add_co_u32 v25, vcc_lo, v19, s2
	v_add_co_ci_u32_e32 v26, vcc_lo, s3, v20, vcc_lo
	s_add_u32 s6, s2, 1
	s_clause 0x1
	global_load_u8 v21, v[21:22], off
	global_load_u8 v22, v[25:26], off
	s_addc_u32 s7, s3, 0
	s_and_not1_b32 s33, s33, exec_lo
	s_waitcnt vmcnt(0)
	v_cmp_ne_u16_e32 vcc_lo, v21, v22
	s_and_b32 s34, vcc_lo, exec_lo
	s_delay_alu instid0(SALU_CYCLE_1)
	s_or_b32 s33, s33, s34
.LBB341_159:                            ;   in Loop: Header=BB341_160 Depth=1
	v_dual_mov_b32 v22, s3 :: v_dual_mov_b32 v21, s2
	s_and_b32 s34, exec_lo, s33
	s_mov_b64 s[2:3], s[6:7]
	s_or_b32 s31, s34, s31
	s_delay_alu instid0(SALU_CYCLE_1)
	s_and_not1_b32 exec_lo, exec_lo, s31
	s_cbranch_execz .LBB341_162
.LBB341_160:                            ; =>This Inner Loop Header: Depth=1
	s_or_b32 s33, s33, exec_lo
	s_cmp_eq_u64 s[22:23], s[2:3]
	s_cbranch_scc0 .LBB341_158
; %bb.161:                              ;   in Loop: Header=BB341_160 Depth=1
	s_mov_b64 s[2:3], s[22:23]
                                        ; implicit-def: $sgpr6_sgpr7
	s_branch .LBB341_159
.LBB341_162:
	s_set_inst_prefetch_distance 0x2
	s_or_b32 exec_lo, exec_lo, s31
	v_cmp_gt_i64_e32 vcc_lo, s[22:23], v[21:22]
	s_or_not1_b32 s2, vcc_lo, exec_lo
.LBB341_163:
	s_or_b32 exec_lo, exec_lo, s29
.LBB341_164:
	s_delay_alu instid0(SALU_CYCLE_1)
	s_and_b32 s29, s2, exec_lo
.LBB341_165:
	s_or_b32 exec_lo, exec_lo, s30
	v_or_b32_e32 v17, 1, v39
	s_mov_b32 s2, 0
	s_mov_b32 s30, exec_lo
	s_delay_alu instid0(VALU_DEP_1)
	v_cmpx_gt_u32_e64 s20, v17
	s_cbranch_execz .LBB341_176
; %bb.166:
	v_cmp_ne_u32_e32 vcc_lo, 1, v24
	s_cbranch_vccnz .LBB341_175
; %bb.167:
	v_mad_u64_u32 v[17:18], null, v13, s22, s[8:9]
	s_waitcnt lgkmcnt(0)
	v_mul_lo_u32 v21, v13, s23
	v_mul_lo_u32 v22, v14, s22
	v_mad_u64_u32 v[19:20], null, v15, s22, s[8:9]
	v_mul_lo_u32 v23, v15, s23
	v_mul_lo_u32 v25, v16, s22
	s_mov_b32 s2, -1
	s_mov_b32 s31, exec_lo
	s_delay_alu instid0(VALU_DEP_4) | instskip(NEXT) | instid1(VALU_DEP_2)
	v_add3_u32 v18, v22, v18, v21
	v_add3_u32 v20, v25, v20, v23
	s_clause 0x1
	global_load_u8 v21, v[17:18], off
	global_load_u8 v22, v[19:20], off
	s_waitcnt vmcnt(0)
	v_cmpx_eq_u16_e64 v21, v22
	s_cbranch_execz .LBB341_174
; %bb.168:
	s_mov_b64 s[2:3], 1
	s_mov_b32 s33, 0
                                        ; implicit-def: $sgpr34
	s_set_inst_prefetch_distance 0x1
	s_branch .LBB341_171
	.p2align	6
.LBB341_169:                            ;   in Loop: Header=BB341_171 Depth=1
	v_add_co_u32 v21, vcc_lo, v17, s2
	v_add_co_ci_u32_e32 v22, vcc_lo, s3, v18, vcc_lo
	v_add_co_u32 v25, vcc_lo, v19, s2
	v_add_co_ci_u32_e32 v26, vcc_lo, s3, v20, vcc_lo
	s_add_u32 s6, s2, 1
	s_clause 0x1
	global_load_u8 v21, v[21:22], off
	global_load_u8 v22, v[25:26], off
	s_addc_u32 s7, s3, 0
	s_and_not1_b32 s34, s34, exec_lo
	s_waitcnt vmcnt(0)
	v_cmp_ne_u16_e32 vcc_lo, v21, v22
	s_and_b32 s35, vcc_lo, exec_lo
	s_delay_alu instid0(SALU_CYCLE_1)
	s_or_b32 s34, s34, s35
.LBB341_170:                            ;   in Loop: Header=BB341_171 Depth=1
	v_dual_mov_b32 v22, s3 :: v_dual_mov_b32 v21, s2
	s_and_b32 s35, exec_lo, s34
	s_mov_b64 s[2:3], s[6:7]
	s_or_b32 s33, s35, s33
	s_delay_alu instid0(SALU_CYCLE_1)
	s_and_not1_b32 exec_lo, exec_lo, s33
	s_cbranch_execz .LBB341_173
.LBB341_171:                            ; =>This Inner Loop Header: Depth=1
	s_or_b32 s34, s34, exec_lo
	s_cmp_eq_u64 s[22:23], s[2:3]
	s_cbranch_scc0 .LBB341_169
; %bb.172:                              ;   in Loop: Header=BB341_171 Depth=1
	s_mov_b64 s[2:3], s[22:23]
                                        ; implicit-def: $sgpr6_sgpr7
	s_branch .LBB341_170
.LBB341_173:
	s_set_inst_prefetch_distance 0x2
	s_or_b32 exec_lo, exec_lo, s33
	v_cmp_gt_i64_e32 vcc_lo, s[22:23], v[21:22]
	s_or_not1_b32 s2, vcc_lo, exec_lo
.LBB341_174:
	s_or_b32 exec_lo, exec_lo, s31
.LBB341_175:
	s_delay_alu instid0(SALU_CYCLE_1)
	s_and_b32 s2, s2, exec_lo
.LBB341_176:
	s_or_b32 exec_lo, exec_lo, s30
	s_waitcnt lgkmcnt(0)
	v_dual_mov_b32 v20, s5 :: v_dual_mov_b32 v19, s4
	s_mov_b32 s3, exec_lo
	s_barrier
	buffer_gl0_inv
	v_cmpx_ne_u32_e32 0, v0
	s_cbranch_execz .LBB341_178
; %bb.177:
	v_add_nc_u32_e32 v17, -8, v39
	ds_load_b64 v[19:20], v17
.LBB341_178:
	s_or_b32 exec_lo, exec_lo, s3
	v_cndmask_b32_e64 v18, 0, 1, s28
	v_cndmask_b32_e64 v22, 0, 1, s24
	;; [unrolled: 1-line block ×7, first 2 shown]
	v_lshlrev_b16 v18, 8, v18
	v_lshlrev_b16 v22, 8, v22
	;; [unrolled: 1-line block ×3, first 2 shown]
	s_mov_b32 s2, 0
	v_lshlrev_b16 v26, 8, v26
	v_or_b32_e32 v17, v17, v18
	v_or_b32_e32 v18, v21, v22
	;; [unrolled: 1-line block ×3, first 2 shown]
	s_mov_b32 s6, exec_lo
	v_and_b32_e32 v23, 0xffff, v26
	v_lshlrev_b32_e32 v25, 16, v17
	v_and_b32_e32 v26, 0xffff, v18
	v_lshlrev_b32_e32 v27, 16, v21
	v_cmpx_gt_u32_e64 s20, v39
	s_cbranch_execz .LBB341_189
; %bb.179:
	v_cmp_ne_u32_e32 vcc_lo, 1, v24
	s_cbranch_vccnz .LBB341_188
; %bb.180:
	s_waitcnt lgkmcnt(0)
	v_mad_u64_u32 v[17:18], null, v19, s22, s[8:9]
	v_mul_lo_u32 v21, v19, s23
	v_mul_lo_u32 v22, v20, s22
	v_mad_u64_u32 v[19:20], null, v13, s22, s[8:9]
	v_mul_lo_u32 v24, v13, s23
	v_mul_lo_u32 v28, v14, s22
	s_mov_b32 s2, -1
	s_mov_b32 s7, exec_lo
	s_delay_alu instid0(VALU_DEP_4) | instskip(NEXT) | instid1(VALU_DEP_2)
	v_add3_u32 v18, v22, v18, v21
	v_add3_u32 v20, v28, v20, v24
	s_clause 0x1
	global_load_u8 v21, v[17:18], off
	global_load_u8 v22, v[19:20], off
	s_waitcnt vmcnt(0)
	v_cmpx_eq_u16_e64 v21, v22
	s_cbranch_execz .LBB341_187
; %bb.181:
	s_mov_b64 s[2:3], 1
	s_mov_b32 s24, 0
                                        ; implicit-def: $sgpr25
	s_set_inst_prefetch_distance 0x1
	s_branch .LBB341_184
	.p2align	6
.LBB341_182:                            ;   in Loop: Header=BB341_184 Depth=1
	v_add_co_u32 v21, vcc_lo, v17, s2
	v_add_co_ci_u32_e32 v22, vcc_lo, s3, v18, vcc_lo
	v_add_co_u32 v28, vcc_lo, v19, s2
	v_add_co_ci_u32_e32 v29, vcc_lo, s3, v20, vcc_lo
	s_add_u32 s4, s2, 1
	s_clause 0x1
	global_load_u8 v21, v[21:22], off
	global_load_u8 v22, v[28:29], off
	s_addc_u32 s5, s3, 0
	s_and_not1_b32 s25, s25, exec_lo
	s_waitcnt vmcnt(0)
	v_cmp_ne_u16_e32 vcc_lo, v21, v22
	s_and_b32 s26, vcc_lo, exec_lo
	s_delay_alu instid0(SALU_CYCLE_1)
	s_or_b32 s25, s25, s26
.LBB341_183:                            ;   in Loop: Header=BB341_184 Depth=1
	v_dual_mov_b32 v22, s3 :: v_dual_mov_b32 v21, s2
	s_and_b32 s26, exec_lo, s25
	s_mov_b64 s[2:3], s[4:5]
	s_or_b32 s24, s26, s24
	s_delay_alu instid0(SALU_CYCLE_1)
	s_and_not1_b32 exec_lo, exec_lo, s24
	s_cbranch_execz .LBB341_186
.LBB341_184:                            ; =>This Inner Loop Header: Depth=1
	s_or_b32 s25, s25, exec_lo
	s_cmp_eq_u64 s[22:23], s[2:3]
	s_cbranch_scc0 .LBB341_182
; %bb.185:                              ;   in Loop: Header=BB341_184 Depth=1
	s_mov_b64 s[2:3], s[22:23]
                                        ; implicit-def: $sgpr4_sgpr5
	s_branch .LBB341_183
.LBB341_186:
	s_set_inst_prefetch_distance 0x2
	s_or_b32 exec_lo, exec_lo, s24
	v_cmp_gt_i64_e32 vcc_lo, s[22:23], v[21:22]
	s_or_not1_b32 s2, vcc_lo, exec_lo
.LBB341_187:
	s_or_b32 exec_lo, exec_lo, s7
.LBB341_188:
	s_delay_alu instid0(SALU_CYCLE_1)
	s_and_b32 s2, s2, exec_lo
.LBB341_189:
	s_or_b32 exec_lo, exec_lo, s6
	v_or_b32_e32 v17, v23, v25
	v_or_b32_e32 v18, v26, v27
.LBB341_190:
	s_mov_b32 s6, -1
	s_cbranch_execnz .LBB341_359
.LBB341_191:
	v_cmp_gt_i64_e64 s7, s[22:23], 0
	s_and_b32 vcc_lo, exec_lo, s18
	ds_store_b64 v39, v[3:4]
	s_cbranch_vccz .LBB341_199
; %bb.192:
	s_waitcnt lgkmcnt(0)
	v_mul_lo_u32 v19, v2, s22
	v_mul_lo_u32 v20, v1, s23
	v_mad_u64_u32 v[17:18], null, v1, s22, 0
	s_mov_b32 s24, 0
	s_and_not1_b32 vcc_lo, exec_lo, s7
	s_mov_b32 s25, 0
	s_delay_alu instid0(VALU_DEP_1)
	v_add3_u32 v24, v18, v20, v19
	s_cbranch_vccnz .LBB341_202
; %bb.193:
	v_mad_u64_u32 v[18:19], null, v3, s22, s[8:9]
	v_mul_lo_u32 v22, v3, s23
	v_mul_lo_u32 v23, v4, s22
	v_add_co_u32 v20, vcc_lo, s8, v17
	v_add_co_ci_u32_e32 v21, vcc_lo, s9, v24, vcc_lo
	s_mov_b32 s25, -1
	s_mov_b32 s26, exec_lo
	s_delay_alu instid0(VALU_DEP_3)
	v_add3_u32 v19, v23, v19, v22
	s_clause 0x1
	global_load_u8 v22, v[20:21], off
	global_load_u8 v23, v[18:19], off
	s_waitcnt vmcnt(0)
	v_cmpx_eq_u16_e64 v22, v23
	s_cbranch_execz .LBB341_201
; %bb.194:
	s_mov_b64 s[2:3], 1
	s_mov_b32 s25, 0
                                        ; implicit-def: $sgpr27
	s_set_inst_prefetch_distance 0x1
	s_branch .LBB341_197
	.p2align	6
.LBB341_195:                            ;   in Loop: Header=BB341_197 Depth=1
	v_add_co_u32 v22, vcc_lo, v20, s2
	v_add_co_ci_u32_e32 v23, vcc_lo, s3, v21, vcc_lo
	v_add_co_u32 v25, vcc_lo, v18, s2
	v_add_co_ci_u32_e32 v26, vcc_lo, s3, v19, vcc_lo
	s_add_u32 s4, s2, 1
	s_clause 0x1
	global_load_u8 v22, v[22:23], off
	global_load_u8 v23, v[25:26], off
	s_addc_u32 s5, s3, 0
	s_and_not1_b32 s27, s27, exec_lo
	s_waitcnt vmcnt(0)
	v_cmp_ne_u16_e32 vcc_lo, v22, v23
	s_and_b32 s28, vcc_lo, exec_lo
	s_delay_alu instid0(SALU_CYCLE_1)
	s_or_b32 s27, s27, s28
.LBB341_196:                            ;   in Loop: Header=BB341_197 Depth=1
	v_dual_mov_b32 v23, s3 :: v_dual_mov_b32 v22, s2
	s_and_b32 s28, exec_lo, s27
	s_mov_b64 s[2:3], s[4:5]
	s_or_b32 s25, s28, s25
	s_delay_alu instid0(SALU_CYCLE_1)
	s_and_not1_b32 exec_lo, exec_lo, s25
	s_cbranch_execz .LBB341_200
.LBB341_197:                            ; =>This Inner Loop Header: Depth=1
	s_or_b32 s27, s27, exec_lo
	s_cmp_eq_u64 s[22:23], s[2:3]
	s_cbranch_scc0 .LBB341_195
; %bb.198:                              ;   in Loop: Header=BB341_197 Depth=1
	s_mov_b64 s[2:3], s[22:23]
                                        ; implicit-def: $sgpr4_sgpr5
	s_branch .LBB341_196
.LBB341_199:
                                        ; implicit-def: $sgpr2
                                        ; implicit-def: $vgpr18
	s_cbranch_execnz .LBB341_268
	s_branch .LBB341_359
.LBB341_200:
	s_set_inst_prefetch_distance 0x2
	s_or_b32 exec_lo, exec_lo, s25
	v_cmp_gt_i64_e32 vcc_lo, s[22:23], v[22:23]
	s_or_not1_b32 s25, vcc_lo, exec_lo
.LBB341_201:
	s_or_b32 exec_lo, exec_lo, s26
.LBB341_202:
	v_mul_lo_u32 v20, v8, s22
	v_mul_lo_u32 v21, v7, s23
	v_mad_u64_u32 v[18:19], null, v7, s22, 0
	s_and_not1_b32 vcc_lo, exec_lo, s7
	s_delay_alu instid0(VALU_DEP_1)
	v_add3_u32 v25, v19, v21, v20
	s_cbranch_vccnz .LBB341_211
; %bb.203:
	s_delay_alu instid0(VALU_DEP_2) | instskip(NEXT) | instid1(VALU_DEP_2)
	v_add_co_u32 v19, vcc_lo, s8, v18
	v_add_co_ci_u32_e32 v20, vcc_lo, s9, v25, vcc_lo
	v_add_co_u32 v21, vcc_lo, s8, v17
	v_add_co_ci_u32_e32 v22, vcc_lo, s9, v24, vcc_lo
	s_mov_b32 s24, -1
	s_clause 0x1
	global_load_u8 v17, v[19:20], off
	global_load_u8 v23, v[21:22], off
	s_mov_b32 s26, exec_lo
	s_waitcnt vmcnt(0)
	v_cmpx_eq_u16_e64 v17, v23
	s_cbranch_execz .LBB341_210
; %bb.204:
	s_mov_b64 s[2:3], 1
	s_mov_b32 s24, 0
                                        ; implicit-def: $sgpr27
	s_set_inst_prefetch_distance 0x1
	s_branch .LBB341_207
	.p2align	6
.LBB341_205:                            ;   in Loop: Header=BB341_207 Depth=1
	v_add_co_u32 v23, vcc_lo, v19, s2
	v_add_co_ci_u32_e32 v24, vcc_lo, s3, v20, vcc_lo
	v_add_co_u32 v26, vcc_lo, v21, s2
	v_add_co_ci_u32_e32 v27, vcc_lo, s3, v22, vcc_lo
	s_add_u32 s4, s2, 1
	s_clause 0x1
	global_load_u8 v17, v[23:24], off
	global_load_u8 v23, v[26:27], off
	s_addc_u32 s5, s3, 0
	s_and_not1_b32 s27, s27, exec_lo
	s_waitcnt vmcnt(0)
	v_cmp_ne_u16_e32 vcc_lo, v17, v23
	s_and_b32 s28, vcc_lo, exec_lo
	s_delay_alu instid0(SALU_CYCLE_1)
	s_or_b32 s27, s27, s28
.LBB341_206:                            ;   in Loop: Header=BB341_207 Depth=1
	v_dual_mov_b32 v24, s3 :: v_dual_mov_b32 v23, s2
	s_and_b32 s28, exec_lo, s27
	s_mov_b64 s[2:3], s[4:5]
	s_or_b32 s24, s28, s24
	s_delay_alu instid0(SALU_CYCLE_1)
	s_and_not1_b32 exec_lo, exec_lo, s24
	s_cbranch_execz .LBB341_209
.LBB341_207:                            ; =>This Inner Loop Header: Depth=1
	s_or_b32 s27, s27, exec_lo
	s_cmp_eq_u64 s[22:23], s[2:3]
	s_cbranch_scc0 .LBB341_205
; %bb.208:                              ;   in Loop: Header=BB341_207 Depth=1
	s_mov_b64 s[2:3], s[22:23]
                                        ; implicit-def: $sgpr4_sgpr5
	s_branch .LBB341_206
.LBB341_209:
	s_set_inst_prefetch_distance 0x2
	s_or_b32 exec_lo, exec_lo, s24
	v_cmp_gt_i64_e32 vcc_lo, s[22:23], v[23:24]
	s_or_not1_b32 s24, vcc_lo, exec_lo
.LBB341_210:
	s_or_b32 exec_lo, exec_lo, s26
.LBB341_211:
	v_mul_lo_u32 v17, v6, s22
	v_mul_lo_u32 v21, v5, s23
	v_mad_u64_u32 v[19:20], null, v5, s22, 0
	s_mov_b32 s26, 0
	s_and_not1_b32 vcc_lo, exec_lo, s7
	s_mov_b32 s27, 0
	s_delay_alu instid0(VALU_DEP_1)
	v_add3_u32 v26, v20, v21, v17
	s_cbranch_vccnz .LBB341_220
; %bb.212:
	s_delay_alu instid0(VALU_DEP_2) | instskip(NEXT) | instid1(VALU_DEP_2)
	v_add_co_u32 v20, vcc_lo, s8, v19
	v_add_co_ci_u32_e32 v21, vcc_lo, s9, v26, vcc_lo
	v_add_co_u32 v17, vcc_lo, s8, v18
	v_add_co_ci_u32_e32 v18, vcc_lo, s9, v25, vcc_lo
	s_mov_b32 s27, -1
	s_clause 0x1
	global_load_u8 v22, v[20:21], off
	global_load_u8 v23, v[17:18], off
	s_mov_b32 s28, exec_lo
	s_waitcnt vmcnt(0)
	v_cmpx_eq_u16_e64 v22, v23
	s_cbranch_execz .LBB341_219
; %bb.213:
	s_mov_b64 s[2:3], 1
	s_mov_b32 s27, 0
                                        ; implicit-def: $sgpr29
	s_set_inst_prefetch_distance 0x1
	s_branch .LBB341_216
	.p2align	6
.LBB341_214:                            ;   in Loop: Header=BB341_216 Depth=1
	v_add_co_u32 v22, vcc_lo, v20, s2
	v_add_co_ci_u32_e32 v23, vcc_lo, s3, v21, vcc_lo
	v_add_co_u32 v24, vcc_lo, v17, s2
	v_add_co_ci_u32_e32 v25, vcc_lo, s3, v18, vcc_lo
	s_add_u32 s4, s2, 1
	s_clause 0x1
	global_load_u8 v22, v[22:23], off
	global_load_u8 v23, v[24:25], off
	s_addc_u32 s5, s3, 0
	s_and_not1_b32 s29, s29, exec_lo
	s_waitcnt vmcnt(0)
	v_cmp_ne_u16_e32 vcc_lo, v22, v23
	s_and_b32 s30, vcc_lo, exec_lo
	s_delay_alu instid0(SALU_CYCLE_1)
	s_or_b32 s29, s29, s30
.LBB341_215:                            ;   in Loop: Header=BB341_216 Depth=1
	v_dual_mov_b32 v23, s3 :: v_dual_mov_b32 v22, s2
	s_and_b32 s30, exec_lo, s29
	s_mov_b64 s[2:3], s[4:5]
	s_or_b32 s27, s30, s27
	s_delay_alu instid0(SALU_CYCLE_1)
	s_and_not1_b32 exec_lo, exec_lo, s27
	s_cbranch_execz .LBB341_218
.LBB341_216:                            ; =>This Inner Loop Header: Depth=1
	s_or_b32 s29, s29, exec_lo
	s_cmp_eq_u64 s[22:23], s[2:3]
	s_cbranch_scc0 .LBB341_214
; %bb.217:                              ;   in Loop: Header=BB341_216 Depth=1
	s_mov_b64 s[2:3], s[22:23]
                                        ; implicit-def: $sgpr4_sgpr5
	s_branch .LBB341_215
.LBB341_218:
	s_set_inst_prefetch_distance 0x2
	s_or_b32 exec_lo, exec_lo, s27
	v_cmp_gt_i64_e32 vcc_lo, s[22:23], v[22:23]
	s_or_not1_b32 s27, vcc_lo, exec_lo
.LBB341_219:
	s_or_b32 exec_lo, exec_lo, s28
.LBB341_220:
	v_mul_lo_u32 v20, v12, s22
	v_mul_lo_u32 v21, v11, s23
	v_mad_u64_u32 v[17:18], null, v11, s22, 0
	s_and_not1_b32 vcc_lo, exec_lo, s7
	s_delay_alu instid0(VALU_DEP_1)
	v_add3_u32 v24, v18, v21, v20
	s_cbranch_vccnz .LBB341_229
; %bb.221:
	s_delay_alu instid0(VALU_DEP_2) | instskip(NEXT) | instid1(VALU_DEP_2)
	v_add_co_u32 v20, vcc_lo, s8, v17
	v_add_co_ci_u32_e32 v21, vcc_lo, s9, v24, vcc_lo
	v_add_co_u32 v18, vcc_lo, s8, v19
	v_add_co_ci_u32_e32 v19, vcc_lo, s9, v26, vcc_lo
	s_mov_b32 s26, -1
	s_clause 0x1
	global_load_u8 v22, v[20:21], off
	global_load_u8 v23, v[18:19], off
	s_mov_b32 s28, exec_lo
	s_waitcnt vmcnt(0)
	v_cmpx_eq_u16_e64 v22, v23
	s_cbranch_execz .LBB341_228
; %bb.222:
	s_mov_b64 s[2:3], 1
	s_mov_b32 s26, 0
                                        ; implicit-def: $sgpr29
	s_set_inst_prefetch_distance 0x1
	s_branch .LBB341_225
	.p2align	6
.LBB341_223:                            ;   in Loop: Header=BB341_225 Depth=1
	v_add_co_u32 v22, vcc_lo, v20, s2
	v_add_co_ci_u32_e32 v23, vcc_lo, s3, v21, vcc_lo
	v_add_co_u32 v25, vcc_lo, v18, s2
	v_add_co_ci_u32_e32 v26, vcc_lo, s3, v19, vcc_lo
	s_add_u32 s4, s2, 1
	s_clause 0x1
	global_load_u8 v22, v[22:23], off
	global_load_u8 v23, v[25:26], off
	s_addc_u32 s5, s3, 0
	s_and_not1_b32 s29, s29, exec_lo
	s_waitcnt vmcnt(0)
	v_cmp_ne_u16_e32 vcc_lo, v22, v23
	s_and_b32 s30, vcc_lo, exec_lo
	s_delay_alu instid0(SALU_CYCLE_1)
	s_or_b32 s29, s29, s30
.LBB341_224:                            ;   in Loop: Header=BB341_225 Depth=1
	v_dual_mov_b32 v23, s3 :: v_dual_mov_b32 v22, s2
	s_and_b32 s30, exec_lo, s29
	s_mov_b64 s[2:3], s[4:5]
	s_or_b32 s26, s30, s26
	s_delay_alu instid0(SALU_CYCLE_1)
	s_and_not1_b32 exec_lo, exec_lo, s26
	s_cbranch_execz .LBB341_227
.LBB341_225:                            ; =>This Inner Loop Header: Depth=1
	s_or_b32 s29, s29, exec_lo
	s_cmp_eq_u64 s[22:23], s[2:3]
	s_cbranch_scc0 .LBB341_223
; %bb.226:                              ;   in Loop: Header=BB341_225 Depth=1
	s_mov_b64 s[2:3], s[22:23]
                                        ; implicit-def: $sgpr4_sgpr5
	s_branch .LBB341_224
.LBB341_227:
	s_set_inst_prefetch_distance 0x2
	s_or_b32 exec_lo, exec_lo, s26
	v_cmp_gt_i64_e32 vcc_lo, s[22:23], v[22:23]
	s_or_not1_b32 s26, vcc_lo, exec_lo
.LBB341_228:
	s_or_b32 exec_lo, exec_lo, s28
.LBB341_229:
	v_mul_lo_u32 v18, v10, s22
	v_mul_lo_u32 v21, v9, s23
	v_mad_u64_u32 v[19:20], null, v9, s22, 0
	s_mov_b32 s28, 0
	s_and_not1_b32 vcc_lo, exec_lo, s7
	s_mov_b32 s29, 0
	s_delay_alu instid0(VALU_DEP_1)
	v_add3_u32 v26, v20, v21, v18
	s_cbranch_vccnz .LBB341_238
; %bb.230:
	s_delay_alu instid0(VALU_DEP_2) | instskip(NEXT) | instid1(VALU_DEP_2)
	v_add_co_u32 v20, vcc_lo, s8, v19
	v_add_co_ci_u32_e32 v21, vcc_lo, s9, v26, vcc_lo
	v_add_co_u32 v17, vcc_lo, s8, v17
	v_add_co_ci_u32_e32 v18, vcc_lo, s9, v24, vcc_lo
	s_mov_b32 s29, -1
	s_clause 0x1
	global_load_u8 v22, v[20:21], off
	global_load_u8 v23, v[17:18], off
	s_mov_b32 s30, exec_lo
	s_waitcnt vmcnt(0)
	v_cmpx_eq_u16_e64 v22, v23
	s_cbranch_execz .LBB341_237
; %bb.231:
	s_mov_b64 s[2:3], 1
	s_mov_b32 s29, 0
                                        ; implicit-def: $sgpr31
	s_set_inst_prefetch_distance 0x1
	s_branch .LBB341_234
	.p2align	6
.LBB341_232:                            ;   in Loop: Header=BB341_234 Depth=1
	v_add_co_u32 v22, vcc_lo, v20, s2
	v_add_co_ci_u32_e32 v23, vcc_lo, s3, v21, vcc_lo
	v_add_co_u32 v24, vcc_lo, v17, s2
	v_add_co_ci_u32_e32 v25, vcc_lo, s3, v18, vcc_lo
	s_add_u32 s4, s2, 1
	s_clause 0x1
	global_load_u8 v22, v[22:23], off
	global_load_u8 v23, v[24:25], off
	s_addc_u32 s5, s3, 0
	s_and_not1_b32 s31, s31, exec_lo
	s_waitcnt vmcnt(0)
	v_cmp_ne_u16_e32 vcc_lo, v22, v23
	s_and_b32 s33, vcc_lo, exec_lo
	s_delay_alu instid0(SALU_CYCLE_1)
	s_or_b32 s31, s31, s33
.LBB341_233:                            ;   in Loop: Header=BB341_234 Depth=1
	v_dual_mov_b32 v23, s3 :: v_dual_mov_b32 v22, s2
	s_and_b32 s33, exec_lo, s31
	s_mov_b64 s[2:3], s[4:5]
	s_or_b32 s29, s33, s29
	s_delay_alu instid0(SALU_CYCLE_1)
	s_and_not1_b32 exec_lo, exec_lo, s29
	s_cbranch_execz .LBB341_236
.LBB341_234:                            ; =>This Inner Loop Header: Depth=1
	s_or_b32 s31, s31, exec_lo
	s_cmp_eq_u64 s[22:23], s[2:3]
	s_cbranch_scc0 .LBB341_232
; %bb.235:                              ;   in Loop: Header=BB341_234 Depth=1
	s_mov_b64 s[2:3], s[22:23]
                                        ; implicit-def: $sgpr4_sgpr5
	s_branch .LBB341_233
.LBB341_236:
	s_set_inst_prefetch_distance 0x2
	s_or_b32 exec_lo, exec_lo, s29
	v_cmp_gt_i64_e32 vcc_lo, s[22:23], v[22:23]
	s_or_not1_b32 s29, vcc_lo, exec_lo
.LBB341_237:
	s_or_b32 exec_lo, exec_lo, s30
.LBB341_238:
	v_mul_lo_u32 v20, v16, s22
	v_mul_lo_u32 v21, v15, s23
	v_mad_u64_u32 v[17:18], null, v15, s22, 0
	s_and_not1_b32 vcc_lo, exec_lo, s7
	s_delay_alu instid0(VALU_DEP_1)
	v_add3_u32 v25, v18, v21, v20
	s_cbranch_vccnz .LBB341_247
; %bb.239:
	s_delay_alu instid0(VALU_DEP_2) | instskip(NEXT) | instid1(VALU_DEP_2)
	v_add_co_u32 v20, vcc_lo, s8, v17
	v_add_co_ci_u32_e32 v21, vcc_lo, s9, v25, vcc_lo
	v_add_co_u32 v18, vcc_lo, s8, v19
	v_add_co_ci_u32_e32 v19, vcc_lo, s9, v26, vcc_lo
	s_mov_b32 s28, -1
	s_clause 0x1
	global_load_u8 v22, v[20:21], off
	global_load_u8 v23, v[18:19], off
	s_mov_b32 s30, exec_lo
	s_waitcnt vmcnt(0)
	v_cmpx_eq_u16_e64 v22, v23
	s_cbranch_execz .LBB341_246
; %bb.240:
	s_mov_b64 s[2:3], 1
	s_mov_b32 s28, 0
                                        ; implicit-def: $sgpr31
	s_set_inst_prefetch_distance 0x1
	s_branch .LBB341_243
	.p2align	6
.LBB341_241:                            ;   in Loop: Header=BB341_243 Depth=1
	v_add_co_u32 v22, vcc_lo, v20, s2
	v_add_co_ci_u32_e32 v23, vcc_lo, s3, v21, vcc_lo
	v_add_co_u32 v26, vcc_lo, v18, s2
	v_add_co_ci_u32_e32 v27, vcc_lo, s3, v19, vcc_lo
	s_add_u32 s4, s2, 1
	s_clause 0x1
	global_load_u8 v22, v[22:23], off
	global_load_u8 v23, v[26:27], off
	s_addc_u32 s5, s3, 0
	s_and_not1_b32 s31, s31, exec_lo
	s_waitcnt vmcnt(0)
	v_cmp_ne_u16_e32 vcc_lo, v22, v23
	s_and_b32 s33, vcc_lo, exec_lo
	s_delay_alu instid0(SALU_CYCLE_1)
	s_or_b32 s31, s31, s33
.LBB341_242:                            ;   in Loop: Header=BB341_243 Depth=1
	v_dual_mov_b32 v23, s3 :: v_dual_mov_b32 v22, s2
	s_and_b32 s33, exec_lo, s31
	s_mov_b64 s[2:3], s[4:5]
	s_or_b32 s28, s33, s28
	s_delay_alu instid0(SALU_CYCLE_1)
	s_and_not1_b32 exec_lo, exec_lo, s28
	s_cbranch_execz .LBB341_245
.LBB341_243:                            ; =>This Inner Loop Header: Depth=1
	s_or_b32 s31, s31, exec_lo
	s_cmp_eq_u64 s[22:23], s[2:3]
	s_cbranch_scc0 .LBB341_241
; %bb.244:                              ;   in Loop: Header=BB341_243 Depth=1
	s_mov_b64 s[2:3], s[22:23]
                                        ; implicit-def: $sgpr4_sgpr5
	s_branch .LBB341_242
.LBB341_245:
	s_set_inst_prefetch_distance 0x2
	s_or_b32 exec_lo, exec_lo, s28
	v_cmp_gt_i64_e32 vcc_lo, s[22:23], v[22:23]
	s_or_not1_b32 s28, vcc_lo, exec_lo
.LBB341_246:
	s_or_b32 exec_lo, exec_lo, s30
.LBB341_247:
	v_mul_lo_u32 v18, v14, s22
	v_mul_lo_u32 v21, v13, s23
	v_mad_u64_u32 v[19:20], null, v13, s22, 0
	s_and_not1_b32 vcc_lo, exec_lo, s7
	s_mov_b32 s2, 0
	s_delay_alu instid0(VALU_DEP_1)
	v_add3_u32 v24, v20, v21, v18
	s_cbranch_vccnz .LBB341_256
; %bb.248:
	s_delay_alu instid0(VALU_DEP_2) | instskip(NEXT) | instid1(VALU_DEP_2)
	v_add_co_u32 v20, vcc_lo, s8, v19
	v_add_co_ci_u32_e32 v21, vcc_lo, s9, v24, vcc_lo
	v_add_co_u32 v17, vcc_lo, s8, v17
	v_add_co_ci_u32_e32 v18, vcc_lo, s9, v25, vcc_lo
	s_mov_b32 s2, -1
	s_clause 0x1
	global_load_u8 v22, v[20:21], off
	global_load_u8 v23, v[17:18], off
	s_mov_b32 s30, exec_lo
	s_waitcnt vmcnt(0)
	v_cmpx_eq_u16_e64 v22, v23
	s_cbranch_execz .LBB341_255
; %bb.249:
	s_mov_b64 s[2:3], 1
	s_mov_b32 s31, 0
                                        ; implicit-def: $sgpr33
	s_set_inst_prefetch_distance 0x1
	s_branch .LBB341_252
	.p2align	6
.LBB341_250:                            ;   in Loop: Header=BB341_252 Depth=1
	v_add_co_u32 v22, vcc_lo, v20, s2
	v_add_co_ci_u32_e32 v23, vcc_lo, s3, v21, vcc_lo
	v_add_co_u32 v25, vcc_lo, v17, s2
	v_add_co_ci_u32_e32 v26, vcc_lo, s3, v18, vcc_lo
	s_add_u32 s4, s2, 1
	s_clause 0x1
	global_load_u8 v22, v[22:23], off
	global_load_u8 v23, v[25:26], off
	s_addc_u32 s5, s3, 0
	s_and_not1_b32 s33, s33, exec_lo
	s_waitcnt vmcnt(0)
	v_cmp_ne_u16_e32 vcc_lo, v22, v23
	s_and_b32 s34, vcc_lo, exec_lo
	s_delay_alu instid0(SALU_CYCLE_1)
	s_or_b32 s33, s33, s34
.LBB341_251:                            ;   in Loop: Header=BB341_252 Depth=1
	v_dual_mov_b32 v23, s3 :: v_dual_mov_b32 v22, s2
	s_and_b32 s34, exec_lo, s33
	s_mov_b64 s[2:3], s[4:5]
	s_or_b32 s31, s34, s31
	s_delay_alu instid0(SALU_CYCLE_1)
	s_and_not1_b32 exec_lo, exec_lo, s31
	s_cbranch_execz .LBB341_254
.LBB341_252:                            ; =>This Inner Loop Header: Depth=1
	s_or_b32 s33, s33, exec_lo
	s_cmp_eq_u64 s[22:23], s[2:3]
	s_cbranch_scc0 .LBB341_250
; %bb.253:                              ;   in Loop: Header=BB341_252 Depth=1
	s_mov_b64 s[2:3], s[22:23]
                                        ; implicit-def: $sgpr4_sgpr5
	s_branch .LBB341_251
.LBB341_254:
	s_set_inst_prefetch_distance 0x2
	s_or_b32 exec_lo, exec_lo, s31
	v_cmp_gt_i64_e32 vcc_lo, s[22:23], v[22:23]
	s_or_not1_b32 s2, vcc_lo, exec_lo
.LBB341_255:
	s_or_b32 exec_lo, exec_lo, s30
.LBB341_256:
	v_cndmask_b32_e64 v18, 0, 1, s29
	v_cndmask_b32_e64 v20, 0, 1, s27
	;; [unrolled: 1-line block ×7, first 2 shown]
	v_lshlrev_b16 v20, 8, v20
	v_lshlrev_b16 v21, 8, v21
	;; [unrolled: 1-line block ×4, first 2 shown]
	s_delay_alu instid0(VALU_DEP_4) | instskip(NEXT) | instid1(VALU_DEP_4)
	v_or_b32_e32 v20, v23, v20
	v_or_b32_e32 v21, v25, v21
	s_delay_alu instid0(VALU_DEP_4) | instskip(NEXT) | instid1(VALU_DEP_4)
	v_or_b32_e32 v22, 1, v22
	v_or_b32_e32 v17, v17, v18
	s_barrier
	v_and_b32_e32 v18, 0xffff, v20
	v_lshlrev_b32_e32 v20, 16, v21
	v_and_b32_e32 v21, 0xffff, v22
	v_lshlrev_b32_e32 v17, 16, v17
	buffer_gl0_inv
                                        ; implicit-def: $sgpr2
	s_mov_b32 s3, exec_lo
	v_or_b32_e32 v18, v18, v20
	v_or_b32_e32 v17, v21, v17
	v_cmpx_ne_u32_e32 0, v0
	s_xor_b32 s24, exec_lo, s3
	s_cbranch_execz .LBB341_267
; %bb.257:
	s_and_not1_b32 vcc_lo, exec_lo, s7
	s_mov_b32 s2, 0
	s_cbranch_vccnz .LBB341_266
; %bb.258:
	v_add_nc_u32_e32 v20, -8, v39
	s_mov_b32 s2, -1
	s_mov_b32 s25, exec_lo
	ds_load_b64 v[22:23], v20
	s_waitcnt lgkmcnt(0)
	v_mul_lo_u32 v25, v22, s23
	v_mul_lo_u32 v23, v23, s22
	v_mad_u64_u32 v[20:21], null, v22, s22, s[8:9]
	v_add_co_u32 v22, vcc_lo, s8, v19
	s_delay_alu instid0(VALU_DEP_2)
	v_add3_u32 v21, v23, v21, v25
	v_add_co_ci_u32_e32 v23, vcc_lo, s9, v24, vcc_lo
	s_clause 0x1
	global_load_u8 v19, v[20:21], off
	global_load_u8 v24, v[22:23], off
	s_waitcnt vmcnt(0)
	v_cmpx_eq_u16_e64 v19, v24
	s_cbranch_execz .LBB341_265
; %bb.259:
	s_mov_b64 s[2:3], 1
	s_mov_b32 s26, 0
                                        ; implicit-def: $sgpr27
	s_set_inst_prefetch_distance 0x1
	s_branch .LBB341_262
	.p2align	6
.LBB341_260:                            ;   in Loop: Header=BB341_262 Depth=1
	v_add_co_u32 v24, vcc_lo, v20, s2
	v_add_co_ci_u32_e32 v25, vcc_lo, s3, v21, vcc_lo
	v_add_co_u32 v26, vcc_lo, v22, s2
	v_add_co_ci_u32_e32 v27, vcc_lo, s3, v23, vcc_lo
	s_add_u32 s4, s2, 1
	s_clause 0x1
	global_load_u8 v19, v[24:25], off
	global_load_u8 v24, v[26:27], off
	s_addc_u32 s5, s3, 0
	s_and_not1_b32 s27, s27, exec_lo
	s_waitcnt vmcnt(0)
	v_cmp_ne_u16_e32 vcc_lo, v19, v24
	s_and_b32 s28, vcc_lo, exec_lo
	s_delay_alu instid0(SALU_CYCLE_1)
	s_or_b32 s27, s27, s28
.LBB341_261:                            ;   in Loop: Header=BB341_262 Depth=1
	v_dual_mov_b32 v25, s3 :: v_dual_mov_b32 v24, s2
	s_and_b32 s28, exec_lo, s27
	s_mov_b64 s[2:3], s[4:5]
	s_or_b32 s26, s28, s26
	s_delay_alu instid0(SALU_CYCLE_1)
	s_and_not1_b32 exec_lo, exec_lo, s26
	s_cbranch_execz .LBB341_264
.LBB341_262:                            ; =>This Inner Loop Header: Depth=1
	s_or_b32 s27, s27, exec_lo
	s_cmp_eq_u64 s[22:23], s[2:3]
	s_cbranch_scc0 .LBB341_260
; %bb.263:                              ;   in Loop: Header=BB341_262 Depth=1
	s_mov_b64 s[2:3], s[22:23]
                                        ; implicit-def: $sgpr4_sgpr5
	s_branch .LBB341_261
.LBB341_264:
	s_set_inst_prefetch_distance 0x2
	s_or_b32 exec_lo, exec_lo, s26
	v_cmp_gt_i64_e32 vcc_lo, s[22:23], v[24:25]
	s_or_not1_b32 s2, vcc_lo, exec_lo
.LBB341_265:
	s_or_b32 exec_lo, exec_lo, s25
.LBB341_266:
	s_delay_alu instid0(SALU_CYCLE_1)
	s_and_b32 s2, s2, exec_lo
	s_or_b32 s6, s6, exec_lo
.LBB341_267:
	s_or_b32 exec_lo, exec_lo, s24
	s_branch .LBB341_359
.LBB341_268:
	v_or_b32_e32 v17, 7, v39
	s_mov_b32 s24, 0
	s_mov_b32 s25, 0
	s_mov_b32 s26, exec_lo
	s_delay_alu instid0(VALU_DEP_1)
	v_cmpx_gt_u32_e64 s20, v17
	s_cbranch_execz .LBB341_279
; %bb.269:
	s_and_not1_b32 vcc_lo, exec_lo, s7
	s_mov_b32 s2, 0
	s_cbranch_vccnz .LBB341_278
; %bb.270:
	v_mad_u64_u32 v[17:18], null, v1, s22, s[8:9]
	s_waitcnt lgkmcnt(0)
	v_mul_lo_u32 v21, v1, s23
	v_mul_lo_u32 v22, v2, s22
	v_mad_u64_u32 v[19:20], null, v3, s22, s[8:9]
	v_mul_lo_u32 v23, v3, s23
	v_mul_lo_u32 v24, v4, s22
	s_mov_b32 s2, -1
	s_mov_b32 s25, exec_lo
	s_delay_alu instid0(VALU_DEP_4) | instskip(NEXT) | instid1(VALU_DEP_2)
	v_add3_u32 v18, v22, v18, v21
	v_add3_u32 v20, v24, v20, v23
	s_clause 0x1
	global_load_u8 v21, v[17:18], off
	global_load_u8 v22, v[19:20], off
	s_waitcnt vmcnt(0)
	v_cmpx_eq_u16_e64 v21, v22
	s_cbranch_execz .LBB341_277
; %bb.271:
	s_mov_b64 s[2:3], 1
	s_mov_b32 s27, 0
                                        ; implicit-def: $sgpr28
	s_set_inst_prefetch_distance 0x1
	s_branch .LBB341_274
	.p2align	6
.LBB341_272:                            ;   in Loop: Header=BB341_274 Depth=1
	v_add_co_u32 v21, vcc_lo, v17, s2
	v_add_co_ci_u32_e32 v22, vcc_lo, s3, v18, vcc_lo
	v_add_co_u32 v23, vcc_lo, v19, s2
	v_add_co_ci_u32_e32 v24, vcc_lo, s3, v20, vcc_lo
	s_add_u32 s4, s2, 1
	s_clause 0x1
	global_load_u8 v21, v[21:22], off
	global_load_u8 v22, v[23:24], off
	s_addc_u32 s5, s3, 0
	s_and_not1_b32 s28, s28, exec_lo
	s_waitcnt vmcnt(0)
	v_cmp_ne_u16_e32 vcc_lo, v21, v22
	s_and_b32 s29, vcc_lo, exec_lo
	s_delay_alu instid0(SALU_CYCLE_1)
	s_or_b32 s28, s28, s29
.LBB341_273:                            ;   in Loop: Header=BB341_274 Depth=1
	v_dual_mov_b32 v22, s3 :: v_dual_mov_b32 v21, s2
	s_and_b32 s29, exec_lo, s28
	s_mov_b64 s[2:3], s[4:5]
	s_or_b32 s27, s29, s27
	s_delay_alu instid0(SALU_CYCLE_1)
	s_and_not1_b32 exec_lo, exec_lo, s27
	s_cbranch_execz .LBB341_276
.LBB341_274:                            ; =>This Inner Loop Header: Depth=1
	s_or_b32 s28, s28, exec_lo
	s_cmp_eq_u64 s[22:23], s[2:3]
	s_cbranch_scc0 .LBB341_272
; %bb.275:                              ;   in Loop: Header=BB341_274 Depth=1
	s_mov_b64 s[2:3], s[22:23]
                                        ; implicit-def: $sgpr4_sgpr5
	s_branch .LBB341_273
.LBB341_276:
	s_set_inst_prefetch_distance 0x2
	s_or_b32 exec_lo, exec_lo, s27
	v_cmp_gt_i64_e32 vcc_lo, s[22:23], v[21:22]
	s_or_not1_b32 s2, vcc_lo, exec_lo
.LBB341_277:
	s_or_b32 exec_lo, exec_lo, s25
.LBB341_278:
	s_delay_alu instid0(SALU_CYCLE_1)
	s_and_b32 s25, s2, exec_lo
.LBB341_279:
	s_or_b32 exec_lo, exec_lo, s26
	v_or_b32_e32 v17, 6, v39
	s_mov_b32 s26, exec_lo
	s_delay_alu instid0(VALU_DEP_1)
	v_cmpx_gt_u32_e64 s20, v17
	s_cbranch_execz .LBB341_290
; %bb.280:
	s_and_not1_b32 vcc_lo, exec_lo, s7
	s_mov_b32 s2, 0
	s_cbranch_vccnz .LBB341_289
; %bb.281:
	v_mad_u64_u32 v[17:18], null, v7, s22, s[8:9]
	s_waitcnt lgkmcnt(0)
	v_mul_lo_u32 v21, v7, s23
	v_mul_lo_u32 v22, v8, s22
	v_mad_u64_u32 v[19:20], null, v1, s22, s[8:9]
	v_mul_lo_u32 v23, v1, s23
	v_mul_lo_u32 v24, v2, s22
	s_mov_b32 s2, -1
	s_mov_b32 s24, exec_lo
	s_delay_alu instid0(VALU_DEP_4) | instskip(NEXT) | instid1(VALU_DEP_2)
	v_add3_u32 v18, v22, v18, v21
	v_add3_u32 v20, v24, v20, v23
	s_clause 0x1
	global_load_u8 v21, v[17:18], off
	global_load_u8 v22, v[19:20], off
	s_waitcnt vmcnt(0)
	v_cmpx_eq_u16_e64 v21, v22
	s_cbranch_execz .LBB341_288
; %bb.282:
	s_mov_b64 s[2:3], 1
	s_mov_b32 s27, 0
                                        ; implicit-def: $sgpr28
	s_set_inst_prefetch_distance 0x1
	s_branch .LBB341_285
	.p2align	6
.LBB341_283:                            ;   in Loop: Header=BB341_285 Depth=1
	v_add_co_u32 v21, vcc_lo, v17, s2
	v_add_co_ci_u32_e32 v22, vcc_lo, s3, v18, vcc_lo
	v_add_co_u32 v23, vcc_lo, v19, s2
	v_add_co_ci_u32_e32 v24, vcc_lo, s3, v20, vcc_lo
	s_add_u32 s4, s2, 1
	s_clause 0x1
	global_load_u8 v21, v[21:22], off
	global_load_u8 v22, v[23:24], off
	s_addc_u32 s5, s3, 0
	s_and_not1_b32 s28, s28, exec_lo
	s_waitcnt vmcnt(0)
	v_cmp_ne_u16_e32 vcc_lo, v21, v22
	s_and_b32 s29, vcc_lo, exec_lo
	s_delay_alu instid0(SALU_CYCLE_1)
	s_or_b32 s28, s28, s29
.LBB341_284:                            ;   in Loop: Header=BB341_285 Depth=1
	v_dual_mov_b32 v22, s3 :: v_dual_mov_b32 v21, s2
	s_and_b32 s29, exec_lo, s28
	s_mov_b64 s[2:3], s[4:5]
	s_or_b32 s27, s29, s27
	s_delay_alu instid0(SALU_CYCLE_1)
	s_and_not1_b32 exec_lo, exec_lo, s27
	s_cbranch_execz .LBB341_287
.LBB341_285:                            ; =>This Inner Loop Header: Depth=1
	s_or_b32 s28, s28, exec_lo
	s_cmp_eq_u64 s[22:23], s[2:3]
	s_cbranch_scc0 .LBB341_283
; %bb.286:                              ;   in Loop: Header=BB341_285 Depth=1
	s_mov_b64 s[2:3], s[22:23]
                                        ; implicit-def: $sgpr4_sgpr5
	s_branch .LBB341_284
.LBB341_287:
	s_set_inst_prefetch_distance 0x2
	s_or_b32 exec_lo, exec_lo, s27
	v_cmp_gt_i64_e32 vcc_lo, s[22:23], v[21:22]
	s_or_not1_b32 s2, vcc_lo, exec_lo
.LBB341_288:
	s_or_b32 exec_lo, exec_lo, s24
.LBB341_289:
	s_delay_alu instid0(SALU_CYCLE_1)
	s_and_b32 s24, s2, exec_lo
.LBB341_290:
	s_or_b32 exec_lo, exec_lo, s26
	v_or_b32_e32 v17, 5, v39
	s_mov_b32 s26, 0
	s_mov_b32 s27, 0
	s_mov_b32 s28, exec_lo
	s_delay_alu instid0(VALU_DEP_1)
	v_cmpx_gt_u32_e64 s20, v17
	s_cbranch_execz .LBB341_301
; %bb.291:
	s_and_not1_b32 vcc_lo, exec_lo, s7
	s_mov_b32 s2, 0
	s_cbranch_vccnz .LBB341_300
; %bb.292:
	v_mad_u64_u32 v[17:18], null, v5, s22, s[8:9]
	s_waitcnt lgkmcnt(0)
	v_mul_lo_u32 v21, v5, s23
	v_mul_lo_u32 v22, v6, s22
	v_mad_u64_u32 v[19:20], null, v7, s22, s[8:9]
	v_mul_lo_u32 v23, v7, s23
	v_mul_lo_u32 v24, v8, s22
	s_mov_b32 s2, -1
	s_mov_b32 s27, exec_lo
	s_delay_alu instid0(VALU_DEP_4) | instskip(NEXT) | instid1(VALU_DEP_2)
	v_add3_u32 v18, v22, v18, v21
	v_add3_u32 v20, v24, v20, v23
	s_clause 0x1
	global_load_u8 v21, v[17:18], off
	global_load_u8 v22, v[19:20], off
	s_waitcnt vmcnt(0)
	v_cmpx_eq_u16_e64 v21, v22
	s_cbranch_execz .LBB341_299
; %bb.293:
	s_mov_b64 s[2:3], 1
	s_mov_b32 s29, 0
                                        ; implicit-def: $sgpr30
	s_set_inst_prefetch_distance 0x1
	s_branch .LBB341_296
	.p2align	6
.LBB341_294:                            ;   in Loop: Header=BB341_296 Depth=1
	v_add_co_u32 v21, vcc_lo, v17, s2
	v_add_co_ci_u32_e32 v22, vcc_lo, s3, v18, vcc_lo
	v_add_co_u32 v23, vcc_lo, v19, s2
	v_add_co_ci_u32_e32 v24, vcc_lo, s3, v20, vcc_lo
	s_add_u32 s4, s2, 1
	s_clause 0x1
	global_load_u8 v21, v[21:22], off
	global_load_u8 v22, v[23:24], off
	s_addc_u32 s5, s3, 0
	s_and_not1_b32 s30, s30, exec_lo
	s_waitcnt vmcnt(0)
	v_cmp_ne_u16_e32 vcc_lo, v21, v22
	s_and_b32 s31, vcc_lo, exec_lo
	s_delay_alu instid0(SALU_CYCLE_1)
	s_or_b32 s30, s30, s31
.LBB341_295:                            ;   in Loop: Header=BB341_296 Depth=1
	v_dual_mov_b32 v22, s3 :: v_dual_mov_b32 v21, s2
	s_and_b32 s31, exec_lo, s30
	s_mov_b64 s[2:3], s[4:5]
	s_or_b32 s29, s31, s29
	s_delay_alu instid0(SALU_CYCLE_1)
	s_and_not1_b32 exec_lo, exec_lo, s29
	s_cbranch_execz .LBB341_298
.LBB341_296:                            ; =>This Inner Loop Header: Depth=1
	s_or_b32 s30, s30, exec_lo
	s_cmp_eq_u64 s[22:23], s[2:3]
	s_cbranch_scc0 .LBB341_294
; %bb.297:                              ;   in Loop: Header=BB341_296 Depth=1
	s_mov_b64 s[2:3], s[22:23]
                                        ; implicit-def: $sgpr4_sgpr5
	s_branch .LBB341_295
.LBB341_298:
	s_set_inst_prefetch_distance 0x2
	s_or_b32 exec_lo, exec_lo, s29
	v_cmp_gt_i64_e32 vcc_lo, s[22:23], v[21:22]
	s_or_not1_b32 s2, vcc_lo, exec_lo
.LBB341_299:
	s_or_b32 exec_lo, exec_lo, s27
.LBB341_300:
	s_delay_alu instid0(SALU_CYCLE_1)
	s_and_b32 s27, s2, exec_lo
.LBB341_301:
	s_or_b32 exec_lo, exec_lo, s28
	v_or_b32_e32 v17, 4, v39
	s_mov_b32 s28, exec_lo
	s_delay_alu instid0(VALU_DEP_1)
	v_cmpx_gt_u32_e64 s20, v17
	s_cbranch_execz .LBB341_312
; %bb.302:
	s_and_not1_b32 vcc_lo, exec_lo, s7
	s_mov_b32 s2, 0
	s_cbranch_vccnz .LBB341_311
; %bb.303:
	v_mad_u64_u32 v[17:18], null, v11, s22, s[8:9]
	s_waitcnt lgkmcnt(0)
	v_mul_lo_u32 v21, v11, s23
	v_mul_lo_u32 v22, v12, s22
	v_mad_u64_u32 v[19:20], null, v5, s22, s[8:9]
	v_mul_lo_u32 v23, v5, s23
	v_mul_lo_u32 v24, v6, s22
	s_mov_b32 s2, -1
	s_mov_b32 s26, exec_lo
	s_delay_alu instid0(VALU_DEP_4) | instskip(NEXT) | instid1(VALU_DEP_2)
	v_add3_u32 v18, v22, v18, v21
	v_add3_u32 v20, v24, v20, v23
	s_clause 0x1
	global_load_u8 v21, v[17:18], off
	global_load_u8 v22, v[19:20], off
	s_waitcnt vmcnt(0)
	v_cmpx_eq_u16_e64 v21, v22
	s_cbranch_execz .LBB341_310
; %bb.304:
	s_mov_b64 s[2:3], 1
	s_mov_b32 s29, 0
                                        ; implicit-def: $sgpr30
	s_set_inst_prefetch_distance 0x1
	s_branch .LBB341_307
	.p2align	6
.LBB341_305:                            ;   in Loop: Header=BB341_307 Depth=1
	v_add_co_u32 v21, vcc_lo, v17, s2
	v_add_co_ci_u32_e32 v22, vcc_lo, s3, v18, vcc_lo
	v_add_co_u32 v23, vcc_lo, v19, s2
	v_add_co_ci_u32_e32 v24, vcc_lo, s3, v20, vcc_lo
	s_add_u32 s4, s2, 1
	s_clause 0x1
	global_load_u8 v21, v[21:22], off
	global_load_u8 v22, v[23:24], off
	s_addc_u32 s5, s3, 0
	s_and_not1_b32 s30, s30, exec_lo
	s_waitcnt vmcnt(0)
	v_cmp_ne_u16_e32 vcc_lo, v21, v22
	s_and_b32 s31, vcc_lo, exec_lo
	s_delay_alu instid0(SALU_CYCLE_1)
	s_or_b32 s30, s30, s31
.LBB341_306:                            ;   in Loop: Header=BB341_307 Depth=1
	v_dual_mov_b32 v22, s3 :: v_dual_mov_b32 v21, s2
	s_and_b32 s31, exec_lo, s30
	s_mov_b64 s[2:3], s[4:5]
	s_or_b32 s29, s31, s29
	s_delay_alu instid0(SALU_CYCLE_1)
	s_and_not1_b32 exec_lo, exec_lo, s29
	s_cbranch_execz .LBB341_309
.LBB341_307:                            ; =>This Inner Loop Header: Depth=1
	s_or_b32 s30, s30, exec_lo
	s_cmp_eq_u64 s[22:23], s[2:3]
	s_cbranch_scc0 .LBB341_305
; %bb.308:                              ;   in Loop: Header=BB341_307 Depth=1
	s_mov_b64 s[2:3], s[22:23]
                                        ; implicit-def: $sgpr4_sgpr5
	s_branch .LBB341_306
.LBB341_309:
	s_set_inst_prefetch_distance 0x2
	s_or_b32 exec_lo, exec_lo, s29
	v_cmp_gt_i64_e32 vcc_lo, s[22:23], v[21:22]
	s_or_not1_b32 s2, vcc_lo, exec_lo
.LBB341_310:
	s_or_b32 exec_lo, exec_lo, s26
.LBB341_311:
	s_delay_alu instid0(SALU_CYCLE_1)
	s_and_b32 s26, s2, exec_lo
.LBB341_312:
	s_or_b32 exec_lo, exec_lo, s28
	v_or_b32_e32 v17, 3, v39
	s_mov_b32 s29, 0
	s_mov_b32 s28, 0
	s_mov_b32 s30, exec_lo
	s_delay_alu instid0(VALU_DEP_1)
	v_cmpx_gt_u32_e64 s20, v17
	s_cbranch_execz .LBB341_323
; %bb.313:
	s_and_not1_b32 vcc_lo, exec_lo, s7
	s_mov_b32 s2, 0
	s_cbranch_vccnz .LBB341_322
; %bb.314:
	v_mad_u64_u32 v[17:18], null, v9, s22, s[8:9]
	s_waitcnt lgkmcnt(0)
	v_mul_lo_u32 v21, v9, s23
	v_mul_lo_u32 v22, v10, s22
	v_mad_u64_u32 v[19:20], null, v11, s22, s[8:9]
	v_mul_lo_u32 v23, v11, s23
	v_mul_lo_u32 v24, v12, s22
	s_mov_b32 s2, -1
	s_mov_b32 s28, exec_lo
	s_delay_alu instid0(VALU_DEP_4) | instskip(NEXT) | instid1(VALU_DEP_2)
	v_add3_u32 v18, v22, v18, v21
	v_add3_u32 v20, v24, v20, v23
	s_clause 0x1
	global_load_u8 v21, v[17:18], off
	global_load_u8 v22, v[19:20], off
	s_waitcnt vmcnt(0)
	v_cmpx_eq_u16_e64 v21, v22
	s_cbranch_execz .LBB341_321
; %bb.315:
	s_mov_b64 s[2:3], 1
	s_mov_b32 s31, 0
                                        ; implicit-def: $sgpr33
	s_set_inst_prefetch_distance 0x1
	s_branch .LBB341_318
	.p2align	6
.LBB341_316:                            ;   in Loop: Header=BB341_318 Depth=1
	v_add_co_u32 v21, vcc_lo, v17, s2
	v_add_co_ci_u32_e32 v22, vcc_lo, s3, v18, vcc_lo
	v_add_co_u32 v23, vcc_lo, v19, s2
	v_add_co_ci_u32_e32 v24, vcc_lo, s3, v20, vcc_lo
	s_add_u32 s4, s2, 1
	s_clause 0x1
	global_load_u8 v21, v[21:22], off
	global_load_u8 v22, v[23:24], off
	s_addc_u32 s5, s3, 0
	s_and_not1_b32 s33, s33, exec_lo
	s_waitcnt vmcnt(0)
	v_cmp_ne_u16_e32 vcc_lo, v21, v22
	s_and_b32 s34, vcc_lo, exec_lo
	s_delay_alu instid0(SALU_CYCLE_1)
	s_or_b32 s33, s33, s34
.LBB341_317:                            ;   in Loop: Header=BB341_318 Depth=1
	v_dual_mov_b32 v22, s3 :: v_dual_mov_b32 v21, s2
	s_and_b32 s34, exec_lo, s33
	s_mov_b64 s[2:3], s[4:5]
	s_or_b32 s31, s34, s31
	s_delay_alu instid0(SALU_CYCLE_1)
	s_and_not1_b32 exec_lo, exec_lo, s31
	s_cbranch_execz .LBB341_320
.LBB341_318:                            ; =>This Inner Loop Header: Depth=1
	s_or_b32 s33, s33, exec_lo
	s_cmp_eq_u64 s[22:23], s[2:3]
	s_cbranch_scc0 .LBB341_316
; %bb.319:                              ;   in Loop: Header=BB341_318 Depth=1
	s_mov_b64 s[2:3], s[22:23]
                                        ; implicit-def: $sgpr4_sgpr5
	s_branch .LBB341_317
.LBB341_320:
	s_set_inst_prefetch_distance 0x2
	s_or_b32 exec_lo, exec_lo, s31
	v_cmp_gt_i64_e32 vcc_lo, s[22:23], v[21:22]
	s_or_not1_b32 s2, vcc_lo, exec_lo
.LBB341_321:
	s_or_b32 exec_lo, exec_lo, s28
.LBB341_322:
	s_delay_alu instid0(SALU_CYCLE_1)
	s_and_b32 s28, s2, exec_lo
.LBB341_323:
	s_or_b32 exec_lo, exec_lo, s30
	v_or_b32_e32 v17, 2, v39
	s_mov_b32 s30, exec_lo
	s_delay_alu instid0(VALU_DEP_1)
	v_cmpx_gt_u32_e64 s20, v17
	s_cbranch_execz .LBB341_334
; %bb.324:
	s_and_not1_b32 vcc_lo, exec_lo, s7
	s_mov_b32 s2, 0
	s_cbranch_vccnz .LBB341_333
; %bb.325:
	v_mad_u64_u32 v[17:18], null, v15, s22, s[8:9]
	s_waitcnt lgkmcnt(0)
	v_mul_lo_u32 v21, v15, s23
	v_mul_lo_u32 v22, v16, s22
	v_mad_u64_u32 v[19:20], null, v9, s22, s[8:9]
	v_mul_lo_u32 v23, v9, s23
	v_mul_lo_u32 v24, v10, s22
	s_mov_b32 s2, -1
	s_mov_b32 s29, exec_lo
	s_delay_alu instid0(VALU_DEP_4) | instskip(NEXT) | instid1(VALU_DEP_2)
	v_add3_u32 v18, v22, v18, v21
	v_add3_u32 v20, v24, v20, v23
	s_clause 0x1
	global_load_u8 v21, v[17:18], off
	global_load_u8 v22, v[19:20], off
	s_waitcnt vmcnt(0)
	v_cmpx_eq_u16_e64 v21, v22
	s_cbranch_execz .LBB341_332
; %bb.326:
	s_mov_b64 s[2:3], 1
	s_mov_b32 s31, 0
                                        ; implicit-def: $sgpr33
	s_set_inst_prefetch_distance 0x1
	s_branch .LBB341_329
	.p2align	6
.LBB341_327:                            ;   in Loop: Header=BB341_329 Depth=1
	v_add_co_u32 v21, vcc_lo, v17, s2
	v_add_co_ci_u32_e32 v22, vcc_lo, s3, v18, vcc_lo
	v_add_co_u32 v23, vcc_lo, v19, s2
	v_add_co_ci_u32_e32 v24, vcc_lo, s3, v20, vcc_lo
	s_add_u32 s4, s2, 1
	s_clause 0x1
	global_load_u8 v21, v[21:22], off
	global_load_u8 v22, v[23:24], off
	s_addc_u32 s5, s3, 0
	s_and_not1_b32 s33, s33, exec_lo
	s_waitcnt vmcnt(0)
	v_cmp_ne_u16_e32 vcc_lo, v21, v22
	s_and_b32 s34, vcc_lo, exec_lo
	s_delay_alu instid0(SALU_CYCLE_1)
	s_or_b32 s33, s33, s34
.LBB341_328:                            ;   in Loop: Header=BB341_329 Depth=1
	v_dual_mov_b32 v22, s3 :: v_dual_mov_b32 v21, s2
	s_and_b32 s34, exec_lo, s33
	s_mov_b64 s[2:3], s[4:5]
	s_or_b32 s31, s34, s31
	s_delay_alu instid0(SALU_CYCLE_1)
	s_and_not1_b32 exec_lo, exec_lo, s31
	s_cbranch_execz .LBB341_331
.LBB341_329:                            ; =>This Inner Loop Header: Depth=1
	s_or_b32 s33, s33, exec_lo
	s_cmp_eq_u64 s[22:23], s[2:3]
	s_cbranch_scc0 .LBB341_327
; %bb.330:                              ;   in Loop: Header=BB341_329 Depth=1
	s_mov_b64 s[2:3], s[22:23]
                                        ; implicit-def: $sgpr4_sgpr5
	s_branch .LBB341_328
.LBB341_331:
	s_set_inst_prefetch_distance 0x2
	s_or_b32 exec_lo, exec_lo, s31
	v_cmp_gt_i64_e32 vcc_lo, s[22:23], v[21:22]
	s_or_not1_b32 s2, vcc_lo, exec_lo
.LBB341_332:
	s_or_b32 exec_lo, exec_lo, s29
.LBB341_333:
	s_delay_alu instid0(SALU_CYCLE_1)
	s_and_b32 s29, s2, exec_lo
.LBB341_334:
	s_or_b32 exec_lo, exec_lo, s30
	v_or_b32_e32 v17, 1, v39
	s_mov_b32 s2, 0
	s_mov_b32 s30, exec_lo
	s_delay_alu instid0(VALU_DEP_1)
	v_cmpx_gt_u32_e64 s20, v17
	s_cbranch_execz .LBB341_345
; %bb.335:
	s_and_not1_b32 vcc_lo, exec_lo, s7
	s_cbranch_vccnz .LBB341_344
; %bb.336:
	v_mad_u64_u32 v[17:18], null, v13, s22, s[8:9]
	s_waitcnt lgkmcnt(0)
	v_mul_lo_u32 v21, v13, s23
	v_mul_lo_u32 v22, v14, s22
	v_mad_u64_u32 v[19:20], null, v15, s22, s[8:9]
	v_mul_lo_u32 v23, v15, s23
	v_mul_lo_u32 v24, v16, s22
	s_mov_b32 s2, -1
	s_mov_b32 s31, exec_lo
	s_delay_alu instid0(VALU_DEP_4) | instskip(NEXT) | instid1(VALU_DEP_2)
	v_add3_u32 v18, v22, v18, v21
	v_add3_u32 v20, v24, v20, v23
	s_clause 0x1
	global_load_u8 v21, v[17:18], off
	global_load_u8 v22, v[19:20], off
	s_waitcnt vmcnt(0)
	v_cmpx_eq_u16_e64 v21, v22
	s_cbranch_execz .LBB341_343
; %bb.337:
	s_mov_b64 s[2:3], 1
	s_mov_b32 s33, 0
                                        ; implicit-def: $sgpr34
	s_set_inst_prefetch_distance 0x1
	s_branch .LBB341_340
	.p2align	6
.LBB341_338:                            ;   in Loop: Header=BB341_340 Depth=1
	v_add_co_u32 v21, vcc_lo, v17, s2
	v_add_co_ci_u32_e32 v22, vcc_lo, s3, v18, vcc_lo
	v_add_co_u32 v23, vcc_lo, v19, s2
	v_add_co_ci_u32_e32 v24, vcc_lo, s3, v20, vcc_lo
	s_add_u32 s4, s2, 1
	s_clause 0x1
	global_load_u8 v21, v[21:22], off
	global_load_u8 v22, v[23:24], off
	s_addc_u32 s5, s3, 0
	s_and_not1_b32 s34, s34, exec_lo
	s_waitcnt vmcnt(0)
	v_cmp_ne_u16_e32 vcc_lo, v21, v22
	s_and_b32 s35, vcc_lo, exec_lo
	s_delay_alu instid0(SALU_CYCLE_1)
	s_or_b32 s34, s34, s35
.LBB341_339:                            ;   in Loop: Header=BB341_340 Depth=1
	v_dual_mov_b32 v22, s3 :: v_dual_mov_b32 v21, s2
	s_and_b32 s35, exec_lo, s34
	s_mov_b64 s[2:3], s[4:5]
	s_or_b32 s33, s35, s33
	s_delay_alu instid0(SALU_CYCLE_1)
	s_and_not1_b32 exec_lo, exec_lo, s33
	s_cbranch_execz .LBB341_342
.LBB341_340:                            ; =>This Inner Loop Header: Depth=1
	s_or_b32 s34, s34, exec_lo
	s_cmp_eq_u64 s[22:23], s[2:3]
	s_cbranch_scc0 .LBB341_338
; %bb.341:                              ;   in Loop: Header=BB341_340 Depth=1
	s_mov_b64 s[2:3], s[22:23]
                                        ; implicit-def: $sgpr4_sgpr5
	s_branch .LBB341_339
.LBB341_342:
	s_set_inst_prefetch_distance 0x2
	s_or_b32 exec_lo, exec_lo, s33
	v_cmp_gt_i64_e32 vcc_lo, s[22:23], v[21:22]
	s_or_not1_b32 s2, vcc_lo, exec_lo
.LBB341_343:
	s_or_b32 exec_lo, exec_lo, s31
.LBB341_344:
	s_delay_alu instid0(SALU_CYCLE_1)
	s_and_b32 s2, s2, exec_lo
.LBB341_345:
	s_or_b32 exec_lo, exec_lo, s30
	v_cndmask_b32_e64 v18, 0, 1, s28
	s_waitcnt lgkmcnt(0)
	v_cndmask_b32_e64 v19, 0, 1, s27
	v_cndmask_b32_e64 v20, 0, 1, s25
	;; [unrolled: 1-line block ×6, first 2 shown]
	v_lshlrev_b16 v19, 8, v19
	v_lshlrev_b16 v20, 8, v20
	v_lshlrev_b16 v21, 8, v21
	v_lshlrev_b16 v18, 8, v18
	s_mov_b32 s24, exec_lo
	v_or_b32_e32 v19, v22, v19
	v_or_b32_e32 v20, v23, v20
	;; [unrolled: 1-line block ×4, first 2 shown]
	s_delay_alu instid0(VALU_DEP_4) | instskip(NEXT) | instid1(VALU_DEP_4)
	v_and_b32_e32 v18, 0xffff, v19
	v_lshlrev_b32_e32 v19, 16, v20
	s_delay_alu instid0(VALU_DEP_4) | instskip(NEXT) | instid1(VALU_DEP_4)
	v_and_b32_e32 v20, 0xffff, v21
	v_lshlrev_b32_e32 v17, 16, v17
	s_barrier
	buffer_gl0_inv
	v_or_b32_e32 v18, v18, v19
                                        ; implicit-def: $sgpr2
	v_or_b32_e32 v17, v20, v17
	v_cmpx_ne_u32_e32 0, v0
	s_cbranch_execz .LBB341_358
; %bb.346:
	s_mov_b32 s2, 0
	s_mov_b32 s25, exec_lo
	v_cmpx_gt_u32_e64 s20, v39
	s_cbranch_execz .LBB341_357
; %bb.347:
	s_and_not1_b32 vcc_lo, exec_lo, s7
	s_cbranch_vccnz .LBB341_356
; %bb.348:
	v_add_nc_u32_e32 v19, -8, v39
	v_mul_lo_u32 v25, v13, s23
	s_mov_b32 s2, -1
	s_mov_b32 s7, exec_lo
	ds_load_b64 v[23:24], v19
	v_mad_u64_u32 v[19:20], null, v13, s22, s[8:9]
	s_waitcnt lgkmcnt(0)
	v_mul_lo_u32 v26, v23, s23
	v_mul_lo_u32 v24, v24, s22
	v_mad_u64_u32 v[21:22], null, v23, s22, s[8:9]
	v_mul_lo_u32 v23, v14, s22
	s_delay_alu instid0(VALU_DEP_2) | instskip(NEXT) | instid1(VALU_DEP_2)
	v_add3_u32 v22, v24, v22, v26
	v_add3_u32 v20, v23, v20, v25
	s_clause 0x1
	global_load_u8 v23, v[21:22], off
	global_load_u8 v24, v[19:20], off
	s_waitcnt vmcnt(0)
	v_cmpx_eq_u16_e64 v23, v24
	s_cbranch_execz .LBB341_355
; %bb.349:
	s_mov_b64 s[2:3], 1
	s_mov_b32 s8, 0
                                        ; implicit-def: $sgpr9
	s_set_inst_prefetch_distance 0x1
	s_branch .LBB341_352
	.p2align	6
.LBB341_350:                            ;   in Loop: Header=BB341_352 Depth=1
	v_add_co_u32 v23, vcc_lo, v21, s2
	v_add_co_ci_u32_e32 v24, vcc_lo, s3, v22, vcc_lo
	v_add_co_u32 v25, vcc_lo, v19, s2
	v_add_co_ci_u32_e32 v26, vcc_lo, s3, v20, vcc_lo
	s_add_u32 s4, s2, 1
	s_clause 0x1
	global_load_u8 v23, v[23:24], off
	global_load_u8 v24, v[25:26], off
	s_addc_u32 s5, s3, 0
	s_and_not1_b32 s9, s9, exec_lo
	s_waitcnt vmcnt(0)
	v_cmp_ne_u16_e32 vcc_lo, v23, v24
	s_and_b32 s26, vcc_lo, exec_lo
	s_delay_alu instid0(SALU_CYCLE_1)
	s_or_b32 s9, s9, s26
.LBB341_351:                            ;   in Loop: Header=BB341_352 Depth=1
	v_dual_mov_b32 v24, s3 :: v_dual_mov_b32 v23, s2
	s_and_b32 s26, exec_lo, s9
	s_mov_b64 s[2:3], s[4:5]
	s_or_b32 s8, s26, s8
	s_delay_alu instid0(SALU_CYCLE_1)
	s_and_not1_b32 exec_lo, exec_lo, s8
	s_cbranch_execz .LBB341_354
.LBB341_352:                            ; =>This Inner Loop Header: Depth=1
	s_or_b32 s9, s9, exec_lo
	s_cmp_eq_u64 s[22:23], s[2:3]
	s_cbranch_scc0 .LBB341_350
; %bb.353:                              ;   in Loop: Header=BB341_352 Depth=1
	s_mov_b64 s[2:3], s[22:23]
                                        ; implicit-def: $sgpr4_sgpr5
	s_branch .LBB341_351
.LBB341_354:
	s_set_inst_prefetch_distance 0x2
	s_or_b32 exec_lo, exec_lo, s8
	v_cmp_gt_i64_e32 vcc_lo, s[22:23], v[23:24]
	s_or_not1_b32 s2, vcc_lo, exec_lo
.LBB341_355:
	s_or_b32 exec_lo, exec_lo, s7
.LBB341_356:
	s_delay_alu instid0(SALU_CYCLE_1)
	s_and_b32 s2, s2, exec_lo
.LBB341_357:
	s_or_b32 exec_lo, exec_lo, s25
	s_delay_alu instid0(SALU_CYCLE_1)
	s_and_b32 s2, s2, exec_lo
	s_or_b32 s6, s6, exec_lo
.LBB341_358:
	s_or_b32 exec_lo, exec_lo, s24
.LBB341_359:
	s_and_saveexec_b32 s3, s6
	s_cbranch_execz .LBB341_361
; %bb.360:
	s_waitcnt lgkmcnt(0)
	v_and_b32_e32 v19, 0xffffff00, v17
	v_cndmask_b32_e64 v20, 0, 1, s2
	s_delay_alu instid0(VALU_DEP_1) | instskip(NEXT) | instid1(VALU_DEP_1)
	v_or_b32_e32 v19, v20, v19
	v_and_b32_e32 v19, 0xffff, v19
	s_delay_alu instid0(VALU_DEP_1)
	v_and_or_b32 v17, 0xffff0000, v17, v19
.LBB341_361:
	s_or_b32 exec_lo, exec_lo, s3
	s_delay_alu instid0(SALU_CYCLE_1)
	s_and_not1_b32 vcc_lo, exec_lo, s19
	s_cbranch_vccnz .LBB341_363
; %bb.362:
	v_cmp_gt_u32_e32 vcc_lo, s20, v39
	s_waitcnt lgkmcnt(0)
	v_or_b32_e32 v20, 1, v39
	v_and_b32_e32 v21, 0xffffff00, v18
	v_or_b32_e32 v22, 2, v39
	v_cndmask_b32_e32 v19, 0, v17, vcc_lo
	s_delay_alu instid0(VALU_DEP_4) | instskip(SKIP_1) | instid1(VALU_DEP_4)
	v_cmp_gt_u32_e32 vcc_lo, s20, v20
	v_or_b32_e32 v20, 4, v39
	v_cmp_gt_u32_e64 s2, s20, v22
	v_or_b32_e32 v22, 3, v39
	v_and_b32_e32 v19, 0xff, v19
	s_delay_alu instid0(VALU_DEP_2) | instskip(NEXT) | instid1(VALU_DEP_2)
	v_cmp_gt_u32_e64 s3, s20, v22
	v_cndmask_b32_e32 v19, v19, v17, vcc_lo
	v_cmp_gt_u32_e32 vcc_lo, s20, v20
	v_cndmask_b32_e32 v20, v21, v18, vcc_lo
	v_or_b32_e32 v21, 5, v39
	s_delay_alu instid0(VALU_DEP_2) | instskip(SKIP_1) | instid1(VALU_DEP_1)
	v_and_b32_e32 v20, 0xffff00ff, v20
	v_and_b32_e32 v19, 0xffff, v19
	v_cndmask_b32_e64 v19, v19, v17, s2
	s_delay_alu instid0(VALU_DEP_4) | instskip(SKIP_1) | instid1(VALU_DEP_3)
	v_cmp_gt_u32_e64 s2, s20, v21
	v_or_b32_e32 v21, 6, v39
	v_and_b32_e32 v19, 0xffffff, v19
	s_delay_alu instid0(VALU_DEP_3) | instskip(NEXT) | instid1(VALU_DEP_2)
	v_cndmask_b32_e64 v20, v20, v18, s2
	v_cndmask_b32_e64 v19, v19, v17, s3
	s_delay_alu instid0(VALU_DEP_1) | instskip(SKIP_2) | instid1(VALU_DEP_3)
	v_dual_cndmask_b32 v19, v19, v17 :: v_dual_and_b32 v20, 0xff00ffff, v20
	v_cmp_gt_u32_e32 vcc_lo, s20, v21
	v_or_b32_e32 v21, 7, v39
	v_cndmask_b32_e64 v19, v19, v17, s2
	s_delay_alu instid0(VALU_DEP_1) | instskip(NEXT) | instid1(VALU_DEP_1)
	v_dual_cndmask_b32 v20, v20, v18 :: v_dual_cndmask_b32 v19, v19, v17
	v_and_b32_e32 v20, 0xffffff, v20
	s_delay_alu instid0(VALU_DEP_4) | instskip(NEXT) | instid1(VALU_DEP_2)
	v_cmp_gt_u32_e32 vcc_lo, s20, v21
	v_dual_cndmask_b32 v18, v20, v18 :: v_dual_cndmask_b32 v17, v19, v17
.LBB341_363:
	s_delay_alu instid0(VALU_DEP_1) | instskip(SKIP_1) | instid1(VALU_DEP_2)
	v_and_b32_e32 v26, 0xff, v17
	s_waitcnt lgkmcnt(0)
	v_alignbit_b32 v19, v18, v17, 24
	v_bfe_u32 v28, v17, 8, 8
	v_bfe_u32 v30, v17, 16, 8
	v_and_b32_e32 v34, 0xff, v18
	v_bfe_u32 v36, v18, 8, 8
	v_and_b32_e32 v32, 0xff, v19
	v_add_nc_u32_e32 v19, v28, v26
	v_mbcnt_lo_u32_b32 v41, -1, 0
	v_bfe_u32 v38, v18, 16, 8
	v_lshrrev_b32_e32 v40, 24, v18
	v_lshrrev_b32_e32 v42, 5, v0
	v_add3_u32 v19, v19, v30, v32
	v_and_b32_e32 v20, 15, v41
	v_and_b32_e32 v21, 16, v41
	s_and_b32 vcc_lo, exec_lo, s21
	s_mov_b32 s19, -1
	v_add3_u32 v19, v19, v34, v36
	v_cmp_eq_u32_e64 s4, 0, v20
	v_cmp_lt_u32_e64 s2, 1, v20
	v_cmp_lt_u32_e64 s5, 3, v20
	;; [unrolled: 1-line block ×3, first 2 shown]
	v_add3_u32 v43, v19, v38, v40
	v_or_b32_e32 v19, 31, v0
	v_cmp_eq_u32_e64 s7, 0, v21
	s_barrier
	buffer_gl0_inv
	v_cmp_eq_u32_e64 s6, v19, v0
	s_cbranch_vccz .LBB341_394
; %bb.364:
	v_mov_b32_dpp v19, v43 row_shr:1 row_mask:0xf bank_mask:0xf
	s_delay_alu instid0(VALU_DEP_1) | instskip(NEXT) | instid1(VALU_DEP_1)
	v_cndmask_b32_e64 v19, v19, 0, s4
	v_add_nc_u32_e32 v19, v19, v43
	s_delay_alu instid0(VALU_DEP_1) | instskip(NEXT) | instid1(VALU_DEP_1)
	v_mov_b32_dpp v20, v19 row_shr:2 row_mask:0xf bank_mask:0xf
	v_cndmask_b32_e64 v20, 0, v20, s2
	s_delay_alu instid0(VALU_DEP_1) | instskip(NEXT) | instid1(VALU_DEP_1)
	v_add_nc_u32_e32 v19, v19, v20
	v_mov_b32_dpp v20, v19 row_shr:4 row_mask:0xf bank_mask:0xf
	s_delay_alu instid0(VALU_DEP_1) | instskip(NEXT) | instid1(VALU_DEP_1)
	v_cndmask_b32_e64 v20, 0, v20, s5
	v_add_nc_u32_e32 v19, v19, v20
	s_delay_alu instid0(VALU_DEP_1) | instskip(NEXT) | instid1(VALU_DEP_1)
	v_mov_b32_dpp v20, v19 row_shr:8 row_mask:0xf bank_mask:0xf
	v_cndmask_b32_e64 v20, 0, v20, s3
	s_delay_alu instid0(VALU_DEP_1) | instskip(SKIP_3) | instid1(VALU_DEP_1)
	v_add_nc_u32_e32 v19, v19, v20
	ds_swizzle_b32 v20, v19 offset:swizzle(BROADCAST,32,15)
	s_waitcnt lgkmcnt(0)
	v_cndmask_b32_e64 v20, v20, 0, s7
	v_add_nc_u32_e32 v19, v19, v20
	s_and_saveexec_b32 s8, s6
	s_cbranch_execz .LBB341_366
; %bb.365:
	v_lshlrev_b32_e32 v20, 2, v42
	ds_store_b32 v20, v19
.LBB341_366:
	s_or_b32 exec_lo, exec_lo, s8
	s_delay_alu instid0(SALU_CYCLE_1)
	s_mov_b32 s8, exec_lo
	s_waitcnt lgkmcnt(0)
	s_barrier
	buffer_gl0_inv
	v_cmpx_gt_u32_e32 16, v0
	s_cbranch_execz .LBB341_368
; %bb.367:
	v_lshlrev_b32_e32 v20, 2, v0
	ds_load_b32 v21, v20
	s_waitcnt lgkmcnt(0)
	v_mov_b32_dpp v22, v21 row_shr:1 row_mask:0xf bank_mask:0xf
	s_delay_alu instid0(VALU_DEP_1) | instskip(NEXT) | instid1(VALU_DEP_1)
	v_cndmask_b32_e64 v22, v22, 0, s4
	v_add_nc_u32_e32 v21, v22, v21
	s_delay_alu instid0(VALU_DEP_1) | instskip(NEXT) | instid1(VALU_DEP_1)
	v_mov_b32_dpp v22, v21 row_shr:2 row_mask:0xf bank_mask:0xf
	v_cndmask_b32_e64 v22, 0, v22, s2
	s_delay_alu instid0(VALU_DEP_1) | instskip(NEXT) | instid1(VALU_DEP_1)
	v_add_nc_u32_e32 v21, v21, v22
	v_mov_b32_dpp v22, v21 row_shr:4 row_mask:0xf bank_mask:0xf
	s_delay_alu instid0(VALU_DEP_1) | instskip(NEXT) | instid1(VALU_DEP_1)
	v_cndmask_b32_e64 v22, 0, v22, s5
	v_add_nc_u32_e32 v21, v21, v22
	s_delay_alu instid0(VALU_DEP_1) | instskip(NEXT) | instid1(VALU_DEP_1)
	v_mov_b32_dpp v22, v21 row_shr:8 row_mask:0xf bank_mask:0xf
	v_cndmask_b32_e64 v22, 0, v22, s3
	s_delay_alu instid0(VALU_DEP_1)
	v_add_nc_u32_e32 v21, v21, v22
	ds_store_b32 v20, v21
.LBB341_368:
	s_or_b32 exec_lo, exec_lo, s8
	v_cmp_gt_u32_e32 vcc_lo, 32, v0
	s_mov_b32 s9, exec_lo
	s_waitcnt lgkmcnt(0)
	s_barrier
	buffer_gl0_inv
                                        ; implicit-def: $vgpr27
	v_cmpx_lt_u32_e32 31, v0
	s_cbranch_execz .LBB341_370
; %bb.369:
	v_lshl_add_u32 v20, v42, 2, -4
	ds_load_b32 v27, v20
	s_waitcnt lgkmcnt(0)
	v_add_nc_u32_e32 v19, v27, v19
.LBB341_370:
	s_or_b32 exec_lo, exec_lo, s9
	v_add_nc_u32_e32 v20, -1, v41
	s_delay_alu instid0(VALU_DEP_1) | instskip(NEXT) | instid1(VALU_DEP_1)
	v_cmp_gt_i32_e64 s8, 0, v20
	v_cndmask_b32_e64 v20, v20, v41, s8
	v_cmp_eq_u32_e64 s8, 0, v41
	s_delay_alu instid0(VALU_DEP_2)
	v_lshlrev_b32_e32 v20, 2, v20
	ds_bpermute_b32 v29, v20, v19
	s_and_saveexec_b32 s9, vcc_lo
	s_cbranch_execz .LBB341_393
; %bb.371:
	v_mov_b32_e32 v22, 0
	ds_load_b32 v19, v22 offset:60
	s_and_saveexec_b32 s19, s8
	s_cbranch_execz .LBB341_373
; %bb.372:
	s_add_i32 s20, s15, 32
	s_mov_b32 s21, 0
	v_mov_b32_e32 v20, 1
	s_lshl_b64 s[20:21], s[20:21], 3
	s_delay_alu instid0(SALU_CYCLE_1)
	s_add_u32 s20, s10, s20
	s_addc_u32 s21, s11, s21
	s_waitcnt lgkmcnt(0)
	global_store_b64 v22, v[19:20], s[20:21]
.LBB341_373:
	s_or_b32 exec_lo, exec_lo, s19
	v_xad_u32 v20, v41, -1, s15
	s_mov_b32 s20, 0
	s_mov_b32 s19, exec_lo
	s_delay_alu instid0(VALU_DEP_1) | instskip(NEXT) | instid1(VALU_DEP_1)
	v_add_nc_u32_e32 v21, 32, v20
	v_lshlrev_b64 v[21:22], 3, v[21:22]
	s_delay_alu instid0(VALU_DEP_1) | instskip(NEXT) | instid1(VALU_DEP_2)
	v_add_co_u32 v24, vcc_lo, s10, v21
	v_add_co_ci_u32_e32 v25, vcc_lo, s11, v22, vcc_lo
	global_load_b64 v[22:23], v[24:25], off glc
	s_waitcnt vmcnt(0)
	v_and_b32_e32 v21, 0xff, v23
	s_delay_alu instid0(VALU_DEP_1)
	v_cmpx_eq_u16_e32 0, v21
	s_cbranch_execz .LBB341_379
; %bb.374:
	s_mov_b32 s21, 1
	.p2align	6
.LBB341_375:                            ; =>This Loop Header: Depth=1
                                        ;     Child Loop BB341_376 Depth 2
	s_delay_alu instid0(SALU_CYCLE_1)
	s_max_u32 s22, s21, 1
.LBB341_376:                            ;   Parent Loop BB341_375 Depth=1
                                        ; =>  This Inner Loop Header: Depth=2
	s_delay_alu instid0(SALU_CYCLE_1)
	s_add_i32 s22, s22, -1
	s_sleep 1
	s_cmp_eq_u32 s22, 0
	s_cbranch_scc0 .LBB341_376
; %bb.377:                              ;   in Loop: Header=BB341_375 Depth=1
	global_load_b64 v[22:23], v[24:25], off glc
	s_cmp_lt_u32 s21, 32
	s_cselect_b32 s22, -1, 0
	s_delay_alu instid0(SALU_CYCLE_1) | instskip(SKIP_3) | instid1(VALU_DEP_1)
	s_cmp_lg_u32 s22, 0
	s_addc_u32 s21, s21, 0
	s_waitcnt vmcnt(0)
	v_and_b32_e32 v21, 0xff, v23
	v_cmp_ne_u16_e32 vcc_lo, 0, v21
	s_or_b32 s20, vcc_lo, s20
	s_delay_alu instid0(SALU_CYCLE_1)
	s_and_not1_b32 exec_lo, exec_lo, s20
	s_cbranch_execnz .LBB341_375
; %bb.378:
	s_or_b32 exec_lo, exec_lo, s20
.LBB341_379:
	s_delay_alu instid0(SALU_CYCLE_1)
	s_or_b32 exec_lo, exec_lo, s19
	v_cmp_ne_u32_e32 vcc_lo, 31, v41
	v_lshlrev_b32_e64 v33, v41, -1
	v_add_nc_u32_e32 v37, 2, v41
	v_add_nc_u32_e32 v46, 4, v41
	;; [unrolled: 1-line block ×3, first 2 shown]
	v_add_co_ci_u32_e32 v21, vcc_lo, 0, v41, vcc_lo
	v_add_nc_u32_e32 v50, 16, v41
	s_delay_alu instid0(VALU_DEP_2)
	v_lshlrev_b32_e32 v31, 2, v21
	v_and_b32_e32 v21, 0xff, v23
	ds_bpermute_b32 v24, v31, v22
	v_cmp_eq_u16_e32 vcc_lo, 2, v21
	v_and_or_b32 v21, vcc_lo, v33, 0x80000000
	v_cmp_gt_u32_e32 vcc_lo, 30, v41
	s_delay_alu instid0(VALU_DEP_2) | instskip(SKIP_1) | instid1(VALU_DEP_2)
	v_ctz_i32_b32_e32 v21, v21
	v_cndmask_b32_e64 v25, 0, 1, vcc_lo
	v_cmp_lt_u32_e32 vcc_lo, v41, v21
	s_waitcnt lgkmcnt(0)
	s_delay_alu instid0(VALU_DEP_2) | instskip(NEXT) | instid1(VALU_DEP_1)
	v_dual_cndmask_b32 v24, 0, v24 :: v_dual_lshlrev_b32 v25, 1, v25
	v_add_lshl_u32 v35, v25, v41, 2
	v_cmp_gt_u32_e32 vcc_lo, 28, v41
	s_delay_alu instid0(VALU_DEP_3) | instskip(SKIP_4) | instid1(VALU_DEP_1)
	v_add_nc_u32_e32 v22, v24, v22
	v_cndmask_b32_e64 v25, 0, 1, vcc_lo
	v_cmp_le_u32_e32 vcc_lo, v37, v21
	ds_bpermute_b32 v24, v35, v22
	v_lshlrev_b32_e32 v25, 2, v25
	v_add_lshl_u32 v44, v25, v41, 2
	s_waitcnt lgkmcnt(0)
	v_cndmask_b32_e32 v24, 0, v24, vcc_lo
	v_cmp_gt_u32_e32 vcc_lo, 24, v41
	s_delay_alu instid0(VALU_DEP_2) | instskip(SKIP_4) | instid1(VALU_DEP_1)
	v_add_nc_u32_e32 v22, v22, v24
	v_cndmask_b32_e64 v25, 0, 1, vcc_lo
	v_cmp_le_u32_e32 vcc_lo, v46, v21
	ds_bpermute_b32 v24, v44, v22
	v_lshlrev_b32_e32 v25, 3, v25
	v_add_lshl_u32 v47, v25, v41, 2
	s_waitcnt lgkmcnt(0)
	v_cndmask_b32_e32 v24, 0, v24, vcc_lo
	v_cmp_gt_u32_e32 vcc_lo, 16, v41
	s_delay_alu instid0(VALU_DEP_2) | instskip(SKIP_4) | instid1(VALU_DEP_1)
	v_add_nc_u32_e32 v22, v22, v24
	v_cndmask_b32_e64 v25, 0, 1, vcc_lo
	v_cmp_le_u32_e32 vcc_lo, v48, v21
	ds_bpermute_b32 v24, v47, v22
	v_lshlrev_b32_e32 v25, 4, v25
	v_add_lshl_u32 v49, v25, v41, 2
	s_waitcnt lgkmcnt(0)
	v_cndmask_b32_e32 v24, 0, v24, vcc_lo
	v_cmp_le_u32_e32 vcc_lo, v50, v21
	s_delay_alu instid0(VALU_DEP_2) | instskip(SKIP_3) | instid1(VALU_DEP_1)
	v_add_nc_u32_e32 v22, v22, v24
	ds_bpermute_b32 v24, v49, v22
	s_waitcnt lgkmcnt(0)
	v_cndmask_b32_e32 v21, 0, v24, vcc_lo
	v_dual_mov_b32 v21, 0 :: v_dual_add_nc_u32 v22, v22, v21
	s_branch .LBB341_381
.LBB341_380:                            ;   in Loop: Header=BB341_381 Depth=1
	s_or_b32 exec_lo, exec_lo, s19
	ds_bpermute_b32 v25, v31, v22
	v_and_b32_e32 v24, 0xff, v23
	v_subrev_nc_u32_e32 v20, 32, v20
	s_delay_alu instid0(VALU_DEP_2) | instskip(SKIP_1) | instid1(VALU_DEP_1)
	v_cmp_eq_u16_e32 vcc_lo, 2, v24
	v_and_or_b32 v24, vcc_lo, v33, 0x80000000
	v_ctz_i32_b32_e32 v24, v24
	s_delay_alu instid0(VALU_DEP_1) | instskip(SKIP_3) | instid1(VALU_DEP_2)
	v_cmp_lt_u32_e32 vcc_lo, v41, v24
	s_waitcnt lgkmcnt(0)
	v_cndmask_b32_e32 v25, 0, v25, vcc_lo
	v_cmp_le_u32_e32 vcc_lo, v37, v24
	v_add_nc_u32_e32 v22, v25, v22
	ds_bpermute_b32 v25, v35, v22
	s_waitcnt lgkmcnt(0)
	v_cndmask_b32_e32 v25, 0, v25, vcc_lo
	v_cmp_le_u32_e32 vcc_lo, v46, v24
	s_delay_alu instid0(VALU_DEP_2) | instskip(SKIP_4) | instid1(VALU_DEP_2)
	v_add_nc_u32_e32 v22, v22, v25
	ds_bpermute_b32 v25, v44, v22
	s_waitcnt lgkmcnt(0)
	v_cndmask_b32_e32 v25, 0, v25, vcc_lo
	v_cmp_le_u32_e32 vcc_lo, v48, v24
	v_add_nc_u32_e32 v22, v22, v25
	ds_bpermute_b32 v25, v47, v22
	s_waitcnt lgkmcnt(0)
	v_cndmask_b32_e32 v25, 0, v25, vcc_lo
	v_cmp_le_u32_e32 vcc_lo, v50, v24
	s_delay_alu instid0(VALU_DEP_2) | instskip(SKIP_3) | instid1(VALU_DEP_1)
	v_add_nc_u32_e32 v22, v22, v25
	ds_bpermute_b32 v25, v49, v22
	s_waitcnt lgkmcnt(0)
	v_cndmask_b32_e32 v24, 0, v25, vcc_lo
	v_add3_u32 v22, v24, v45, v22
.LBB341_381:                            ; =>This Loop Header: Depth=1
                                        ;     Child Loop BB341_384 Depth 2
                                        ;       Child Loop BB341_385 Depth 3
	v_and_b32_e32 v23, 0xff, v23
	s_delay_alu instid0(VALU_DEP_2) | instskip(NEXT) | instid1(VALU_DEP_2)
	v_mov_b32_e32 v45, v22
	v_cmp_ne_u16_e32 vcc_lo, 2, v23
	v_cndmask_b32_e64 v23, 0, 1, vcc_lo
	;;#ASMSTART
	;;#ASMEND
	s_delay_alu instid0(VALU_DEP_1)
	v_cmp_ne_u32_e32 vcc_lo, 0, v23
	s_cmp_lg_u32 vcc_lo, exec_lo
	s_cbranch_scc1 .LBB341_388
; %bb.382:                              ;   in Loop: Header=BB341_381 Depth=1
	v_lshlrev_b64 v[22:23], 3, v[20:21]
	s_mov_b32 s19, exec_lo
	s_delay_alu instid0(VALU_DEP_1) | instskip(NEXT) | instid1(VALU_DEP_2)
	v_add_co_u32 v24, vcc_lo, s10, v22
	v_add_co_ci_u32_e32 v25, vcc_lo, s11, v23, vcc_lo
	global_load_b64 v[22:23], v[24:25], off glc
	s_waitcnt vmcnt(0)
	v_and_b32_e32 v51, 0xff, v23
	s_delay_alu instid0(VALU_DEP_1)
	v_cmpx_eq_u16_e32 0, v51
	s_cbranch_execz .LBB341_380
; %bb.383:                              ;   in Loop: Header=BB341_381 Depth=1
	s_mov_b32 s21, 1
	s_mov_b32 s20, 0
	.p2align	6
.LBB341_384:                            ;   Parent Loop BB341_381 Depth=1
                                        ; =>  This Loop Header: Depth=2
                                        ;       Child Loop BB341_385 Depth 3
	s_max_u32 s22, s21, 1
.LBB341_385:                            ;   Parent Loop BB341_381 Depth=1
                                        ;     Parent Loop BB341_384 Depth=2
                                        ; =>    This Inner Loop Header: Depth=3
	s_delay_alu instid0(SALU_CYCLE_1)
	s_add_i32 s22, s22, -1
	s_sleep 1
	s_cmp_eq_u32 s22, 0
	s_cbranch_scc0 .LBB341_385
; %bb.386:                              ;   in Loop: Header=BB341_384 Depth=2
	global_load_b64 v[22:23], v[24:25], off glc
	s_cmp_lt_u32 s21, 32
	s_cselect_b32 s22, -1, 0
	s_delay_alu instid0(SALU_CYCLE_1) | instskip(SKIP_3) | instid1(VALU_DEP_1)
	s_cmp_lg_u32 s22, 0
	s_addc_u32 s21, s21, 0
	s_waitcnt vmcnt(0)
	v_and_b32_e32 v51, 0xff, v23
	v_cmp_ne_u16_e32 vcc_lo, 0, v51
	s_or_b32 s20, vcc_lo, s20
	s_delay_alu instid0(SALU_CYCLE_1)
	s_and_not1_b32 exec_lo, exec_lo, s20
	s_cbranch_execnz .LBB341_384
; %bb.387:                              ;   in Loop: Header=BB341_381 Depth=1
	s_or_b32 exec_lo, exec_lo, s20
	s_branch .LBB341_380
.LBB341_388:                            ;   in Loop: Header=BB341_381 Depth=1
                                        ; implicit-def: $vgpr22
                                        ; implicit-def: $vgpr23
	s_cbranch_execz .LBB341_381
; %bb.389:
	s_and_saveexec_b32 s19, s8
	s_cbranch_execz .LBB341_391
; %bb.390:
	s_add_i32 s20, s15, 32
	s_mov_b32 s21, 0
	v_dual_mov_b32 v21, 2 :: v_dual_add_nc_u32 v20, v45, v19
	s_lshl_b64 s[20:21], s[20:21], 3
	v_mov_b32_e32 v22, 0
	v_add_nc_u32_e64 v23, 0x8400, 0
	s_add_u32 s20, s10, s20
	s_addc_u32 s21, s11, s21
	global_store_b64 v22, v[20:21], s[20:21]
	ds_store_2addr_b32 v23, v19, v45 offset1:2
.LBB341_391:
	s_or_b32 exec_lo, exec_lo, s19
	v_cmp_eq_u32_e32 vcc_lo, 0, v0
	s_and_b32 exec_lo, exec_lo, vcc_lo
	s_cbranch_execz .LBB341_393
; %bb.392:
	v_mov_b32_e32 v19, 0
	ds_store_b32 v19, v45 offset:60
.LBB341_393:
	s_or_b32 exec_lo, exec_lo, s9
	s_waitcnt lgkmcnt(0)
	v_cndmask_b32_e64 v20, v29, v27, s8
	v_cmp_ne_u32_e32 vcc_lo, 0, v0
	v_mov_b32_e32 v19, 0
	s_waitcnt_vscnt null, 0x0
	s_barrier
	buffer_gl0_inv
	v_cndmask_b32_e32 v20, 0, v20, vcc_lo
	ds_load_b32 v19, v19 offset:60
	s_waitcnt lgkmcnt(0)
	s_barrier
	buffer_gl0_inv
	v_add_nc_u32_e32 v37, v19, v20
	v_add_nc_u32_e64 v19, 0x8400, 0
	s_delay_alu instid0(VALU_DEP_2) | instskip(SKIP_2) | instid1(VALU_DEP_1)
	v_add_nc_u32_e32 v35, v37, v26
	ds_load_2addr_b32 v[19:20], v19 offset1:2
	v_add_nc_u32_e32 v33, v35, v28
	v_add_nc_u32_e32 v31, v33, v30
	s_delay_alu instid0(VALU_DEP_1) | instskip(NEXT) | instid1(VALU_DEP_1)
	v_add_nc_u32_e32 v29, v31, v32
	v_add_nc_u32_e32 v27, v29, v34
	s_delay_alu instid0(VALU_DEP_1) | instskip(NEXT) | instid1(VALU_DEP_1)
	v_add_nc_u32_e32 v25, v27, v36
	v_add_nc_u32_e32 v23, v25, v38
	s_load_b64 s[8:9], s[0:1], 0x28
	v_lshrrev_b64 v[21:22], 24, v[17:18]
	s_branch .LBB341_404
.LBB341_394:
                                        ; implicit-def: $vgpr23
                                        ; implicit-def: $vgpr25
                                        ; implicit-def: $vgpr27
                                        ; implicit-def: $vgpr29
                                        ; implicit-def: $vgpr31
                                        ; implicit-def: $vgpr33
                                        ; implicit-def: $vgpr35
                                        ; implicit-def: $vgpr37
                                        ; implicit-def: $vgpr20
	s_load_b64 s[8:9], s[0:1], 0x28
	v_lshrrev_b64 v[21:22], 24, v[17:18]
	s_and_b32 vcc_lo, exec_lo, s19
	s_cbranch_vccz .LBB341_404
; %bb.395:
	s_waitcnt lgkmcnt(0)
	v_mov_b32_dpp v19, v43 row_shr:1 row_mask:0xf bank_mask:0xf
	s_delay_alu instid0(VALU_DEP_1) | instskip(NEXT) | instid1(VALU_DEP_1)
	v_cndmask_b32_e64 v19, v19, 0, s4
	v_add_nc_u32_e32 v19, v19, v43
	s_delay_alu instid0(VALU_DEP_1) | instskip(NEXT) | instid1(VALU_DEP_1)
	v_mov_b32_dpp v20, v19 row_shr:2 row_mask:0xf bank_mask:0xf
	v_cndmask_b32_e64 v20, 0, v20, s2
	s_delay_alu instid0(VALU_DEP_1) | instskip(NEXT) | instid1(VALU_DEP_1)
	v_add_nc_u32_e32 v19, v19, v20
	v_mov_b32_dpp v20, v19 row_shr:4 row_mask:0xf bank_mask:0xf
	s_delay_alu instid0(VALU_DEP_1) | instskip(NEXT) | instid1(VALU_DEP_1)
	v_cndmask_b32_e64 v20, 0, v20, s5
	v_add_nc_u32_e32 v19, v19, v20
	s_delay_alu instid0(VALU_DEP_1) | instskip(NEXT) | instid1(VALU_DEP_1)
	v_mov_b32_dpp v20, v19 row_shr:8 row_mask:0xf bank_mask:0xf
	v_cndmask_b32_e64 v20, 0, v20, s3
	s_delay_alu instid0(VALU_DEP_1) | instskip(SKIP_3) | instid1(VALU_DEP_1)
	v_add_nc_u32_e32 v19, v19, v20
	ds_swizzle_b32 v20, v19 offset:swizzle(BROADCAST,32,15)
	s_waitcnt lgkmcnt(0)
	v_cndmask_b32_e64 v20, v20, 0, s7
	v_add_nc_u32_e32 v19, v19, v20
	s_and_saveexec_b32 s0, s6
	s_cbranch_execz .LBB341_397
; %bb.396:
	v_lshlrev_b32_e32 v20, 2, v42
	ds_store_b32 v20, v19
.LBB341_397:
	s_or_b32 exec_lo, exec_lo, s0
	s_delay_alu instid0(SALU_CYCLE_1)
	s_mov_b32 s0, exec_lo
	s_waitcnt lgkmcnt(0)
	s_barrier
	buffer_gl0_inv
	v_cmpx_gt_u32_e32 16, v0
	s_cbranch_execz .LBB341_399
; %bb.398:
	v_lshlrev_b32_e32 v20, 2, v0
	ds_load_b32 v22, v20
	s_waitcnt lgkmcnt(0)
	v_mov_b32_dpp v23, v22 row_shr:1 row_mask:0xf bank_mask:0xf
	s_delay_alu instid0(VALU_DEP_1) | instskip(NEXT) | instid1(VALU_DEP_1)
	v_cndmask_b32_e64 v23, v23, 0, s4
	v_add_nc_u32_e32 v22, v23, v22
	s_delay_alu instid0(VALU_DEP_1) | instskip(NEXT) | instid1(VALU_DEP_1)
	v_mov_b32_dpp v23, v22 row_shr:2 row_mask:0xf bank_mask:0xf
	v_cndmask_b32_e64 v23, 0, v23, s2
	s_delay_alu instid0(VALU_DEP_1) | instskip(NEXT) | instid1(VALU_DEP_1)
	v_add_nc_u32_e32 v22, v22, v23
	v_mov_b32_dpp v23, v22 row_shr:4 row_mask:0xf bank_mask:0xf
	s_delay_alu instid0(VALU_DEP_1) | instskip(NEXT) | instid1(VALU_DEP_1)
	v_cndmask_b32_e64 v23, 0, v23, s5
	v_add_nc_u32_e32 v22, v22, v23
	s_delay_alu instid0(VALU_DEP_1) | instskip(NEXT) | instid1(VALU_DEP_1)
	v_mov_b32_dpp v23, v22 row_shr:8 row_mask:0xf bank_mask:0xf
	v_cndmask_b32_e64 v23, 0, v23, s3
	s_delay_alu instid0(VALU_DEP_1)
	v_add_nc_u32_e32 v22, v22, v23
	ds_store_b32 v20, v22
.LBB341_399:
	s_or_b32 exec_lo, exec_lo, s0
	v_mov_b32_e32 v20, 0
	v_mov_b32_e32 v22, 0
	s_mov_b32 s0, exec_lo
	s_waitcnt lgkmcnt(0)
	s_barrier
	buffer_gl0_inv
	v_cmpx_lt_u32_e32 31, v0
	s_cbranch_execz .LBB341_401
; %bb.400:
	v_lshl_add_u32 v22, v42, 2, -4
	ds_load_b32 v22, v22
.LBB341_401:
	s_or_b32 exec_lo, exec_lo, s0
	v_add_nc_u32_e32 v23, -1, v41
	s_waitcnt lgkmcnt(0)
	v_add_nc_u32_e32 v19, v22, v19
	s_delay_alu instid0(VALU_DEP_2) | instskip(SKIP_2) | instid1(VALU_DEP_2)
	v_cmp_gt_i32_e32 vcc_lo, 0, v23
	v_cndmask_b32_e32 v23, v23, v41, vcc_lo
	v_cmp_eq_u32_e32 vcc_lo, 0, v0
	v_lshlrev_b32_e32 v23, 2, v23
	ds_bpermute_b32 v23, v23, v19
	ds_load_b32 v19, v20 offset:60
	s_and_saveexec_b32 s0, vcc_lo
	s_cbranch_execz .LBB341_403
; %bb.402:
	v_mov_b32_e32 v24, 0
	v_mov_b32_e32 v20, 2
	s_waitcnt lgkmcnt(0)
	global_store_b64 v24, v[19:20], s[10:11] offset:256
.LBB341_403:
	s_or_b32 exec_lo, exec_lo, s0
	v_cmp_eq_u32_e64 s0, 0, v41
	s_waitcnt lgkmcnt(0)
	s_waitcnt_vscnt null, 0x0
	s_barrier
	buffer_gl0_inv
	v_cndmask_b32_e64 v20, v23, v22, s0
	s_delay_alu instid0(VALU_DEP_1) | instskip(NEXT) | instid1(VALU_DEP_1)
	v_cndmask_b32_e64 v37, v20, 0, vcc_lo
	v_dual_mov_b32 v20, 0 :: v_dual_add_nc_u32 v35, v37, v26
	s_delay_alu instid0(VALU_DEP_1) | instskip(NEXT) | instid1(VALU_DEP_1)
	v_add_nc_u32_e32 v33, v35, v28
	v_add_nc_u32_e32 v31, v33, v30
	s_delay_alu instid0(VALU_DEP_1) | instskip(NEXT) | instid1(VALU_DEP_1)
	v_add_nc_u32_e32 v29, v31, v32
	v_add_nc_u32_e32 v27, v29, v34
	;; [unrolled: 3-line block ×3, first 2 shown]
.LBB341_404:
	s_waitcnt lgkmcnt(0)
	v_cmp_gt_u32_e32 vcc_lo, 0x201, v19
	v_lshrrev_b32_e32 v43, 8, v17
	v_lshrrev_b32_e32 v42, 16, v17
	;; [unrolled: 1-line block ×4, first 2 shown]
	s_mov_b32 s0, -1
	s_cbranch_vccnz .LBB341_408
; %bb.405:
	s_and_b32 vcc_lo, exec_lo, s0
	s_cbranch_vccnz .LBB341_433
.LBB341_406:
	v_cmp_eq_u32_e32 vcc_lo, 0, v0
	s_and_b32 s0, vcc_lo, s14
	s_delay_alu instid0(SALU_CYCLE_1)
	s_and_saveexec_b32 s1, s0
	s_cbranch_execnz .LBB341_453
.LBB341_407:
	s_nop 0
	s_sendmsg sendmsg(MSG_DEALLOC_VGPRS)
	s_endpgm
.LBB341_408:
	v_add_nc_u32_e32 v24, v20, v19
	s_delay_alu instid0(VALU_DEP_1) | instskip(SKIP_1) | instid1(SALU_CYCLE_1)
	v_cmp_lt_u32_e32 vcc_lo, v37, v24
	s_or_b32 s1, s18, vcc_lo
	s_and_saveexec_b32 s0, s1
	s_cbranch_execz .LBB341_411
; %bb.409:
	v_and_b32_e32 v26, 1, v17
	s_delay_alu instid0(VALU_DEP_1)
	v_cmp_eq_u32_e32 vcc_lo, 1, v26
	s_and_b32 exec_lo, exec_lo, vcc_lo
	s_cbranch_execz .LBB341_411
; %bb.410:
	v_mov_b32_e32 v38, 0
	s_lshl_b64 s[2:3], s[12:13], 3
	s_delay_alu instid0(SALU_CYCLE_1) | instskip(SKIP_1) | instid1(VALU_DEP_1)
	s_add_u32 s1, s8, s2
	s_addc_u32 s2, s9, s3
	v_lshlrev_b64 v[44:45], 3, v[37:38]
	s_delay_alu instid0(VALU_DEP_1) | instskip(NEXT) | instid1(VALU_DEP_2)
	v_add_co_u32 v44, vcc_lo, s1, v44
	v_add_co_ci_u32_e32 v45, vcc_lo, s2, v45, vcc_lo
	global_store_b64 v[44:45], v[13:14], off
.LBB341_411:
	s_or_b32 exec_lo, exec_lo, s0
	v_cmp_lt_u32_e32 vcc_lo, v35, v24
	s_or_b32 s1, s18, vcc_lo
	s_delay_alu instid0(SALU_CYCLE_1)
	s_and_saveexec_b32 s0, s1
	s_cbranch_execz .LBB341_414
; %bb.412:
	v_and_b32_e32 v26, 1, v43
	s_delay_alu instid0(VALU_DEP_1)
	v_cmp_eq_u32_e32 vcc_lo, 1, v26
	s_and_b32 exec_lo, exec_lo, vcc_lo
	s_cbranch_execz .LBB341_414
; %bb.413:
	v_mov_b32_e32 v36, 0
	s_lshl_b64 s[2:3], s[12:13], 3
	s_delay_alu instid0(SALU_CYCLE_1) | instskip(SKIP_1) | instid1(VALU_DEP_1)
	s_add_u32 s1, s8, s2
	s_addc_u32 s2, s9, s3
	v_lshlrev_b64 v[44:45], 3, v[35:36]
	s_delay_alu instid0(VALU_DEP_1) | instskip(NEXT) | instid1(VALU_DEP_2)
	v_add_co_u32 v44, vcc_lo, s1, v44
	v_add_co_ci_u32_e32 v45, vcc_lo, s2, v45, vcc_lo
	global_store_b64 v[44:45], v[15:16], off
.LBB341_414:
	s_or_b32 exec_lo, exec_lo, s0
	v_cmp_lt_u32_e32 vcc_lo, v33, v24
	s_or_b32 s1, s18, vcc_lo
	s_delay_alu instid0(SALU_CYCLE_1)
	s_and_saveexec_b32 s0, s1
	s_cbranch_execz .LBB341_417
; %bb.415:
	v_and_b32_e32 v26, 1, v42
	s_delay_alu instid0(VALU_DEP_1)
	v_cmp_eq_u32_e32 vcc_lo, 1, v26
	s_and_b32 exec_lo, exec_lo, vcc_lo
	s_cbranch_execz .LBB341_417
; %bb.416:
	v_mov_b32_e32 v34, 0
	s_lshl_b64 s[2:3], s[12:13], 3
	s_delay_alu instid0(SALU_CYCLE_1) | instskip(SKIP_1) | instid1(VALU_DEP_1)
	s_add_u32 s1, s8, s2
	s_addc_u32 s2, s9, s3
	v_lshlrev_b64 v[44:45], 3, v[33:34]
	s_delay_alu instid0(VALU_DEP_1) | instskip(NEXT) | instid1(VALU_DEP_2)
	v_add_co_u32 v44, vcc_lo, s1, v44
	v_add_co_ci_u32_e32 v45, vcc_lo, s2, v45, vcc_lo
	global_store_b64 v[44:45], v[9:10], off
.LBB341_417:
	s_or_b32 exec_lo, exec_lo, s0
	v_cmp_lt_u32_e32 vcc_lo, v31, v24
	s_or_b32 s1, s18, vcc_lo
	s_delay_alu instid0(SALU_CYCLE_1)
	s_and_saveexec_b32 s0, s1
	s_cbranch_execz .LBB341_420
; %bb.418:
	v_and_b32_e32 v26, 1, v21
	s_delay_alu instid0(VALU_DEP_1)
	v_cmp_eq_u32_e32 vcc_lo, 1, v26
	s_and_b32 exec_lo, exec_lo, vcc_lo
	s_cbranch_execz .LBB341_420
; %bb.419:
	v_mov_b32_e32 v32, 0
	s_lshl_b64 s[2:3], s[12:13], 3
	s_delay_alu instid0(SALU_CYCLE_1) | instskip(SKIP_1) | instid1(VALU_DEP_1)
	s_add_u32 s1, s8, s2
	s_addc_u32 s2, s9, s3
	v_lshlrev_b64 v[44:45], 3, v[31:32]
	s_delay_alu instid0(VALU_DEP_1) | instskip(NEXT) | instid1(VALU_DEP_2)
	v_add_co_u32 v44, vcc_lo, s1, v44
	v_add_co_ci_u32_e32 v45, vcc_lo, s2, v45, vcc_lo
	global_store_b64 v[44:45], v[11:12], off
.LBB341_420:
	s_or_b32 exec_lo, exec_lo, s0
	v_cmp_lt_u32_e32 vcc_lo, v29, v24
	s_or_b32 s1, s18, vcc_lo
	s_delay_alu instid0(SALU_CYCLE_1)
	s_and_saveexec_b32 s0, s1
	s_cbranch_execz .LBB341_423
; %bb.421:
	v_and_b32_e32 v26, 1, v18
	s_delay_alu instid0(VALU_DEP_1)
	v_cmp_eq_u32_e32 vcc_lo, 1, v26
	s_and_b32 exec_lo, exec_lo, vcc_lo
	s_cbranch_execz .LBB341_423
; %bb.422:
	v_mov_b32_e32 v30, 0
	s_lshl_b64 s[2:3], s[12:13], 3
	s_delay_alu instid0(SALU_CYCLE_1) | instskip(SKIP_1) | instid1(VALU_DEP_1)
	s_add_u32 s1, s8, s2
	s_addc_u32 s2, s9, s3
	v_lshlrev_b64 v[44:45], 3, v[29:30]
	s_delay_alu instid0(VALU_DEP_1) | instskip(NEXT) | instid1(VALU_DEP_2)
	v_add_co_u32 v44, vcc_lo, s1, v44
	v_add_co_ci_u32_e32 v45, vcc_lo, s2, v45, vcc_lo
	global_store_b64 v[44:45], v[5:6], off
.LBB341_423:
	s_or_b32 exec_lo, exec_lo, s0
	v_cmp_lt_u32_e32 vcc_lo, v27, v24
	s_or_b32 s1, s18, vcc_lo
	s_delay_alu instid0(SALU_CYCLE_1)
	s_and_saveexec_b32 s0, s1
	s_cbranch_execz .LBB341_426
; %bb.424:
	v_and_b32_e32 v26, 1, v41
	s_delay_alu instid0(VALU_DEP_1)
	v_cmp_eq_u32_e32 vcc_lo, 1, v26
	s_and_b32 exec_lo, exec_lo, vcc_lo
	s_cbranch_execz .LBB341_426
; %bb.425:
	v_mov_b32_e32 v28, 0
	s_lshl_b64 s[2:3], s[12:13], 3
	s_delay_alu instid0(SALU_CYCLE_1) | instskip(SKIP_1) | instid1(VALU_DEP_1)
	s_add_u32 s1, s8, s2
	s_addc_u32 s2, s9, s3
	v_lshlrev_b64 v[44:45], 3, v[27:28]
	s_delay_alu instid0(VALU_DEP_1) | instskip(NEXT) | instid1(VALU_DEP_2)
	v_add_co_u32 v44, vcc_lo, s1, v44
	v_add_co_ci_u32_e32 v45, vcc_lo, s2, v45, vcc_lo
	global_store_b64 v[44:45], v[7:8], off
.LBB341_426:
	s_or_b32 exec_lo, exec_lo, s0
	v_cmp_lt_u32_e32 vcc_lo, v25, v24
	s_or_b32 s1, s18, vcc_lo
	s_delay_alu instid0(SALU_CYCLE_1)
	s_and_saveexec_b32 s0, s1
	s_cbranch_execz .LBB341_429
; %bb.427:
	v_and_b32_e32 v26, 1, v22
	s_delay_alu instid0(VALU_DEP_1)
	v_cmp_eq_u32_e32 vcc_lo, 1, v26
	s_and_b32 exec_lo, exec_lo, vcc_lo
	s_cbranch_execz .LBB341_429
; %bb.428:
	v_mov_b32_e32 v26, 0
	s_lshl_b64 s[2:3], s[12:13], 3
	s_delay_alu instid0(SALU_CYCLE_1) | instskip(SKIP_1) | instid1(VALU_DEP_1)
	s_add_u32 s1, s8, s2
	s_addc_u32 s2, s9, s3
	v_lshlrev_b64 v[44:45], 3, v[25:26]
	s_delay_alu instid0(VALU_DEP_1) | instskip(NEXT) | instid1(VALU_DEP_2)
	v_add_co_u32 v44, vcc_lo, s1, v44
	v_add_co_ci_u32_e32 v45, vcc_lo, s2, v45, vcc_lo
	global_store_b64 v[44:45], v[1:2], off
.LBB341_429:
	s_or_b32 exec_lo, exec_lo, s0
	v_cmp_lt_u32_e32 vcc_lo, v23, v24
	s_or_b32 s1, s18, vcc_lo
	s_delay_alu instid0(SALU_CYCLE_1)
	s_and_saveexec_b32 s0, s1
	s_cbranch_execz .LBB341_432
; %bb.430:
	v_and_b32_e32 v24, 1, v40
	s_delay_alu instid0(VALU_DEP_1)
	v_cmp_eq_u32_e32 vcc_lo, 1, v24
	s_and_b32 exec_lo, exec_lo, vcc_lo
	s_cbranch_execz .LBB341_432
; %bb.431:
	v_mov_b32_e32 v24, 0
	s_lshl_b64 s[2:3], s[12:13], 3
	s_delay_alu instid0(SALU_CYCLE_1) | instskip(SKIP_1) | instid1(VALU_DEP_1)
	s_add_u32 s1, s8, s2
	s_addc_u32 s2, s9, s3
	v_lshlrev_b64 v[44:45], 3, v[23:24]
	s_delay_alu instid0(VALU_DEP_1) | instskip(NEXT) | instid1(VALU_DEP_2)
	v_add_co_u32 v44, vcc_lo, s1, v44
	v_add_co_ci_u32_e32 v45, vcc_lo, s2, v45, vcc_lo
	global_store_b64 v[44:45], v[3:4], off
.LBB341_432:
	s_or_b32 exec_lo, exec_lo, s0
	s_branch .LBB341_406
.LBB341_433:
	v_and_b32_e32 v17, 1, v17
	s_mov_b32 s0, exec_lo
	s_delay_alu instid0(VALU_DEP_1)
	v_cmpx_eq_u32_e32 1, v17
	s_cbranch_execz .LBB341_435
; %bb.434:
	v_sub_nc_u32_e32 v17, v37, v20
	s_delay_alu instid0(VALU_DEP_1)
	v_lshlrev_b32_e32 v17, 3, v17
	ds_store_b64 v17, v[13:14]
.LBB341_435:
	s_or_b32 exec_lo, exec_lo, s0
	v_and_b32_e32 v13, 1, v43
	s_mov_b32 s0, exec_lo
	s_delay_alu instid0(VALU_DEP_1)
	v_cmpx_eq_u32_e32 1, v13
	s_cbranch_execz .LBB341_437
; %bb.436:
	v_sub_nc_u32_e32 v13, v35, v20
	s_delay_alu instid0(VALU_DEP_1)
	v_lshlrev_b32_e32 v13, 3, v13
	ds_store_b64 v13, v[15:16]
.LBB341_437:
	s_or_b32 exec_lo, exec_lo, s0
	;; [unrolled: 12-line block ×8, first 2 shown]
	s_delay_alu instid0(SALU_CYCLE_1)
	s_mov_b32 s1, exec_lo
	s_waitcnt lgkmcnt(0)
	s_waitcnt_vscnt null, 0x0
	s_barrier
	buffer_gl0_inv
	v_cmpx_lt_u32_e64 v0, v19
	s_cbranch_execz .LBB341_452
; %bb.450:
	v_dual_mov_b32 v2, 0 :: v_dual_mov_b32 v1, v20
	s_lshl_b64 s[2:3], s[12:13], 3
	v_mov_b32_e32 v3, v0
	s_delay_alu instid0(VALU_DEP_2) | instskip(NEXT) | instid1(VALU_DEP_1)
	v_lshlrev_b64 v[1:2], 3, v[1:2]
	v_add_co_u32 v1, vcc_lo, s2, v1
	s_delay_alu instid0(VALU_DEP_2) | instskip(SKIP_1) | instid1(VALU_DEP_2)
	v_add_co_ci_u32_e32 v2, vcc_lo, s3, v2, vcc_lo
	s_mov_b32 s2, 0
	v_add_co_u32 v1, vcc_lo, s8, v1
	s_delay_alu instid0(VALU_DEP_2) | instskip(NEXT) | instid1(VALU_DEP_2)
	v_add_co_ci_u32_e32 v2, vcc_lo, s9, v2, vcc_lo
	v_add_co_u32 v1, vcc_lo, v1, v39
	s_delay_alu instid0(VALU_DEP_2)
	v_add_co_ci_u32_e32 v2, vcc_lo, 0, v2, vcc_lo
	.p2align	6
.LBB341_451:                            ; =>This Inner Loop Header: Depth=1
	ds_load_b64 v[4:5], v39
	v_add_nc_u32_e32 v3, 0x200, v3
	v_add_nc_u32_e32 v39, 0x1000, v39
	s_delay_alu instid0(VALU_DEP_2) | instskip(SKIP_4) | instid1(VALU_DEP_1)
	v_cmp_ge_u32_e32 vcc_lo, v3, v19
	s_or_b32 s2, vcc_lo, s2
	s_waitcnt lgkmcnt(0)
	global_store_b64 v[1:2], v[4:5], off
	v_add_co_u32 v1, s0, 0x1000, v1
	v_add_co_ci_u32_e64 v2, s0, 0, v2, s0
	s_and_not1_b32 exec_lo, exec_lo, s2
	s_cbranch_execnz .LBB341_451
.LBB341_452:
	s_or_b32 exec_lo, exec_lo, s1
	v_cmp_eq_u32_e32 vcc_lo, 0, v0
	s_and_b32 s0, vcc_lo, s14
	s_delay_alu instid0(SALU_CYCLE_1)
	s_and_saveexec_b32 s1, s0
	s_cbranch_execz .LBB341_407
.LBB341_453:
	v_add_co_u32 v0, s0, s12, v19
	s_delay_alu instid0(VALU_DEP_1) | instskip(SKIP_1) | instid1(VALU_DEP_3)
	v_add_co_ci_u32_e64 v1, null, s13, 0, s0
	v_mov_b32_e32 v2, 0
	v_add_co_u32 v0, vcc_lo, v0, v20
	s_delay_alu instid0(VALU_DEP_3)
	v_add_co_ci_u32_e32 v1, vcc_lo, 0, v1, vcc_lo
	global_store_b64 v2, v[0:1], s[16:17]
	s_nop 0
	s_sendmsg sendmsg(MSG_DEALLOC_VGPRS)
	s_endpgm
	.section	.rodata,"a",@progbits
	.p2align	6, 0x0
	.amdhsa_kernel _ZN7rocprim17ROCPRIM_400000_NS6detail17trampoline_kernelINS0_14default_configENS1_25partition_config_selectorILNS1_17partition_subalgoE8ElNS0_10empty_typeEbEEZZNS1_14partition_implILS5_8ELb0ES3_jPlPS6_PKS6_NS0_5tupleIJS9_S6_EEENSD_IJSA_SA_EEENS0_18inequality_wrapperIZN2at6native12_GLOBAL__N_124unique_dim_cuda_templateIaEESt5tupleIJNSH_6TensorESM_SM_EERKSM_lbbbEUlllE0_EEPmJS6_EEE10hipError_tPvRmT3_T4_T5_T6_T7_T9_mT8_P12ihipStream_tbDpT10_ENKUlT_T0_E_clISt17integral_constantIbLb1EES1B_IbLb0EEEEDaS17_S18_EUlS17_E_NS1_11comp_targetILNS1_3genE9ELNS1_11target_archE1100ELNS1_3gpuE3ELNS1_3repE0EEENS1_30default_config_static_selectorELNS0_4arch9wavefront6targetE0EEEvT1_
		.amdhsa_group_segment_fixed_size 33804
		.amdhsa_private_segment_fixed_size 0
		.amdhsa_kernarg_size 120
		.amdhsa_user_sgpr_count 15
		.amdhsa_user_sgpr_dispatch_ptr 0
		.amdhsa_user_sgpr_queue_ptr 0
		.amdhsa_user_sgpr_kernarg_segment_ptr 1
		.amdhsa_user_sgpr_dispatch_id 0
		.amdhsa_user_sgpr_private_segment_size 0
		.amdhsa_wavefront_size32 1
		.amdhsa_uses_dynamic_stack 0
		.amdhsa_enable_private_segment 0
		.amdhsa_system_sgpr_workgroup_id_x 1
		.amdhsa_system_sgpr_workgroup_id_y 0
		.amdhsa_system_sgpr_workgroup_id_z 0
		.amdhsa_system_sgpr_workgroup_info 0
		.amdhsa_system_vgpr_workitem_id 0
		.amdhsa_next_free_vgpr 52
		.amdhsa_next_free_sgpr 36
		.amdhsa_reserve_vcc 1
		.amdhsa_float_round_mode_32 0
		.amdhsa_float_round_mode_16_64 0
		.amdhsa_float_denorm_mode_32 3
		.amdhsa_float_denorm_mode_16_64 3
		.amdhsa_dx10_clamp 1
		.amdhsa_ieee_mode 1
		.amdhsa_fp16_overflow 0
		.amdhsa_workgroup_processor_mode 1
		.amdhsa_memory_ordered 1
		.amdhsa_forward_progress 0
		.amdhsa_shared_vgpr_count 0
		.amdhsa_exception_fp_ieee_invalid_op 0
		.amdhsa_exception_fp_denorm_src 0
		.amdhsa_exception_fp_ieee_div_zero 0
		.amdhsa_exception_fp_ieee_overflow 0
		.amdhsa_exception_fp_ieee_underflow 0
		.amdhsa_exception_fp_ieee_inexact 0
		.amdhsa_exception_int_div_zero 0
	.end_amdhsa_kernel
	.section	.text._ZN7rocprim17ROCPRIM_400000_NS6detail17trampoline_kernelINS0_14default_configENS1_25partition_config_selectorILNS1_17partition_subalgoE8ElNS0_10empty_typeEbEEZZNS1_14partition_implILS5_8ELb0ES3_jPlPS6_PKS6_NS0_5tupleIJS9_S6_EEENSD_IJSA_SA_EEENS0_18inequality_wrapperIZN2at6native12_GLOBAL__N_124unique_dim_cuda_templateIaEESt5tupleIJNSH_6TensorESM_SM_EERKSM_lbbbEUlllE0_EEPmJS6_EEE10hipError_tPvRmT3_T4_T5_T6_T7_T9_mT8_P12ihipStream_tbDpT10_ENKUlT_T0_E_clISt17integral_constantIbLb1EES1B_IbLb0EEEEDaS17_S18_EUlS17_E_NS1_11comp_targetILNS1_3genE9ELNS1_11target_archE1100ELNS1_3gpuE3ELNS1_3repE0EEENS1_30default_config_static_selectorELNS0_4arch9wavefront6targetE0EEEvT1_,"axG",@progbits,_ZN7rocprim17ROCPRIM_400000_NS6detail17trampoline_kernelINS0_14default_configENS1_25partition_config_selectorILNS1_17partition_subalgoE8ElNS0_10empty_typeEbEEZZNS1_14partition_implILS5_8ELb0ES3_jPlPS6_PKS6_NS0_5tupleIJS9_S6_EEENSD_IJSA_SA_EEENS0_18inequality_wrapperIZN2at6native12_GLOBAL__N_124unique_dim_cuda_templateIaEESt5tupleIJNSH_6TensorESM_SM_EERKSM_lbbbEUlllE0_EEPmJS6_EEE10hipError_tPvRmT3_T4_T5_T6_T7_T9_mT8_P12ihipStream_tbDpT10_ENKUlT_T0_E_clISt17integral_constantIbLb1EES1B_IbLb0EEEEDaS17_S18_EUlS17_E_NS1_11comp_targetILNS1_3genE9ELNS1_11target_archE1100ELNS1_3gpuE3ELNS1_3repE0EEENS1_30default_config_static_selectorELNS0_4arch9wavefront6targetE0EEEvT1_,comdat
.Lfunc_end341:
	.size	_ZN7rocprim17ROCPRIM_400000_NS6detail17trampoline_kernelINS0_14default_configENS1_25partition_config_selectorILNS1_17partition_subalgoE8ElNS0_10empty_typeEbEEZZNS1_14partition_implILS5_8ELb0ES3_jPlPS6_PKS6_NS0_5tupleIJS9_S6_EEENSD_IJSA_SA_EEENS0_18inequality_wrapperIZN2at6native12_GLOBAL__N_124unique_dim_cuda_templateIaEESt5tupleIJNSH_6TensorESM_SM_EERKSM_lbbbEUlllE0_EEPmJS6_EEE10hipError_tPvRmT3_T4_T5_T6_T7_T9_mT8_P12ihipStream_tbDpT10_ENKUlT_T0_E_clISt17integral_constantIbLb1EES1B_IbLb0EEEEDaS17_S18_EUlS17_E_NS1_11comp_targetILNS1_3genE9ELNS1_11target_archE1100ELNS1_3gpuE3ELNS1_3repE0EEENS1_30default_config_static_selectorELNS0_4arch9wavefront6targetE0EEEvT1_, .Lfunc_end341-_ZN7rocprim17ROCPRIM_400000_NS6detail17trampoline_kernelINS0_14default_configENS1_25partition_config_selectorILNS1_17partition_subalgoE8ElNS0_10empty_typeEbEEZZNS1_14partition_implILS5_8ELb0ES3_jPlPS6_PKS6_NS0_5tupleIJS9_S6_EEENSD_IJSA_SA_EEENS0_18inequality_wrapperIZN2at6native12_GLOBAL__N_124unique_dim_cuda_templateIaEESt5tupleIJNSH_6TensorESM_SM_EERKSM_lbbbEUlllE0_EEPmJS6_EEE10hipError_tPvRmT3_T4_T5_T6_T7_T9_mT8_P12ihipStream_tbDpT10_ENKUlT_T0_E_clISt17integral_constantIbLb1EES1B_IbLb0EEEEDaS17_S18_EUlS17_E_NS1_11comp_targetILNS1_3genE9ELNS1_11target_archE1100ELNS1_3gpuE3ELNS1_3repE0EEENS1_30default_config_static_selectorELNS0_4arch9wavefront6targetE0EEEvT1_
                                        ; -- End function
	.section	.AMDGPU.csdata,"",@progbits
; Kernel info:
; codeLenInByte = 16280
; NumSgprs: 38
; NumVgprs: 52
; ScratchSize: 0
; MemoryBound: 0
; FloatMode: 240
; IeeeMode: 1
; LDSByteSize: 33804 bytes/workgroup (compile time only)
; SGPRBlocks: 4
; VGPRBlocks: 6
; NumSGPRsForWavesPerEU: 38
; NumVGPRsForWavesPerEU: 52
; Occupancy: 12
; WaveLimiterHint : 1
; COMPUTE_PGM_RSRC2:SCRATCH_EN: 0
; COMPUTE_PGM_RSRC2:USER_SGPR: 15
; COMPUTE_PGM_RSRC2:TRAP_HANDLER: 0
; COMPUTE_PGM_RSRC2:TGID_X_EN: 1
; COMPUTE_PGM_RSRC2:TGID_Y_EN: 0
; COMPUTE_PGM_RSRC2:TGID_Z_EN: 0
; COMPUTE_PGM_RSRC2:TIDIG_COMP_CNT: 0
	.section	.text._ZN7rocprim17ROCPRIM_400000_NS6detail17trampoline_kernelINS0_14default_configENS1_25partition_config_selectorILNS1_17partition_subalgoE8ElNS0_10empty_typeEbEEZZNS1_14partition_implILS5_8ELb0ES3_jPlPS6_PKS6_NS0_5tupleIJS9_S6_EEENSD_IJSA_SA_EEENS0_18inequality_wrapperIZN2at6native12_GLOBAL__N_124unique_dim_cuda_templateIaEESt5tupleIJNSH_6TensorESM_SM_EERKSM_lbbbEUlllE0_EEPmJS6_EEE10hipError_tPvRmT3_T4_T5_T6_T7_T9_mT8_P12ihipStream_tbDpT10_ENKUlT_T0_E_clISt17integral_constantIbLb1EES1B_IbLb0EEEEDaS17_S18_EUlS17_E_NS1_11comp_targetILNS1_3genE8ELNS1_11target_archE1030ELNS1_3gpuE2ELNS1_3repE0EEENS1_30default_config_static_selectorELNS0_4arch9wavefront6targetE0EEEvT1_,"axG",@progbits,_ZN7rocprim17ROCPRIM_400000_NS6detail17trampoline_kernelINS0_14default_configENS1_25partition_config_selectorILNS1_17partition_subalgoE8ElNS0_10empty_typeEbEEZZNS1_14partition_implILS5_8ELb0ES3_jPlPS6_PKS6_NS0_5tupleIJS9_S6_EEENSD_IJSA_SA_EEENS0_18inequality_wrapperIZN2at6native12_GLOBAL__N_124unique_dim_cuda_templateIaEESt5tupleIJNSH_6TensorESM_SM_EERKSM_lbbbEUlllE0_EEPmJS6_EEE10hipError_tPvRmT3_T4_T5_T6_T7_T9_mT8_P12ihipStream_tbDpT10_ENKUlT_T0_E_clISt17integral_constantIbLb1EES1B_IbLb0EEEEDaS17_S18_EUlS17_E_NS1_11comp_targetILNS1_3genE8ELNS1_11target_archE1030ELNS1_3gpuE2ELNS1_3repE0EEENS1_30default_config_static_selectorELNS0_4arch9wavefront6targetE0EEEvT1_,comdat
	.globl	_ZN7rocprim17ROCPRIM_400000_NS6detail17trampoline_kernelINS0_14default_configENS1_25partition_config_selectorILNS1_17partition_subalgoE8ElNS0_10empty_typeEbEEZZNS1_14partition_implILS5_8ELb0ES3_jPlPS6_PKS6_NS0_5tupleIJS9_S6_EEENSD_IJSA_SA_EEENS0_18inequality_wrapperIZN2at6native12_GLOBAL__N_124unique_dim_cuda_templateIaEESt5tupleIJNSH_6TensorESM_SM_EERKSM_lbbbEUlllE0_EEPmJS6_EEE10hipError_tPvRmT3_T4_T5_T6_T7_T9_mT8_P12ihipStream_tbDpT10_ENKUlT_T0_E_clISt17integral_constantIbLb1EES1B_IbLb0EEEEDaS17_S18_EUlS17_E_NS1_11comp_targetILNS1_3genE8ELNS1_11target_archE1030ELNS1_3gpuE2ELNS1_3repE0EEENS1_30default_config_static_selectorELNS0_4arch9wavefront6targetE0EEEvT1_ ; -- Begin function _ZN7rocprim17ROCPRIM_400000_NS6detail17trampoline_kernelINS0_14default_configENS1_25partition_config_selectorILNS1_17partition_subalgoE8ElNS0_10empty_typeEbEEZZNS1_14partition_implILS5_8ELb0ES3_jPlPS6_PKS6_NS0_5tupleIJS9_S6_EEENSD_IJSA_SA_EEENS0_18inequality_wrapperIZN2at6native12_GLOBAL__N_124unique_dim_cuda_templateIaEESt5tupleIJNSH_6TensorESM_SM_EERKSM_lbbbEUlllE0_EEPmJS6_EEE10hipError_tPvRmT3_T4_T5_T6_T7_T9_mT8_P12ihipStream_tbDpT10_ENKUlT_T0_E_clISt17integral_constantIbLb1EES1B_IbLb0EEEEDaS17_S18_EUlS17_E_NS1_11comp_targetILNS1_3genE8ELNS1_11target_archE1030ELNS1_3gpuE2ELNS1_3repE0EEENS1_30default_config_static_selectorELNS0_4arch9wavefront6targetE0EEEvT1_
	.p2align	8
	.type	_ZN7rocprim17ROCPRIM_400000_NS6detail17trampoline_kernelINS0_14default_configENS1_25partition_config_selectorILNS1_17partition_subalgoE8ElNS0_10empty_typeEbEEZZNS1_14partition_implILS5_8ELb0ES3_jPlPS6_PKS6_NS0_5tupleIJS9_S6_EEENSD_IJSA_SA_EEENS0_18inequality_wrapperIZN2at6native12_GLOBAL__N_124unique_dim_cuda_templateIaEESt5tupleIJNSH_6TensorESM_SM_EERKSM_lbbbEUlllE0_EEPmJS6_EEE10hipError_tPvRmT3_T4_T5_T6_T7_T9_mT8_P12ihipStream_tbDpT10_ENKUlT_T0_E_clISt17integral_constantIbLb1EES1B_IbLb0EEEEDaS17_S18_EUlS17_E_NS1_11comp_targetILNS1_3genE8ELNS1_11target_archE1030ELNS1_3gpuE2ELNS1_3repE0EEENS1_30default_config_static_selectorELNS0_4arch9wavefront6targetE0EEEvT1_,@function
_ZN7rocprim17ROCPRIM_400000_NS6detail17trampoline_kernelINS0_14default_configENS1_25partition_config_selectorILNS1_17partition_subalgoE8ElNS0_10empty_typeEbEEZZNS1_14partition_implILS5_8ELb0ES3_jPlPS6_PKS6_NS0_5tupleIJS9_S6_EEENSD_IJSA_SA_EEENS0_18inequality_wrapperIZN2at6native12_GLOBAL__N_124unique_dim_cuda_templateIaEESt5tupleIJNSH_6TensorESM_SM_EERKSM_lbbbEUlllE0_EEPmJS6_EEE10hipError_tPvRmT3_T4_T5_T6_T7_T9_mT8_P12ihipStream_tbDpT10_ENKUlT_T0_E_clISt17integral_constantIbLb1EES1B_IbLb0EEEEDaS17_S18_EUlS17_E_NS1_11comp_targetILNS1_3genE8ELNS1_11target_archE1030ELNS1_3gpuE2ELNS1_3repE0EEENS1_30default_config_static_selectorELNS0_4arch9wavefront6targetE0EEEvT1_: ; @_ZN7rocprim17ROCPRIM_400000_NS6detail17trampoline_kernelINS0_14default_configENS1_25partition_config_selectorILNS1_17partition_subalgoE8ElNS0_10empty_typeEbEEZZNS1_14partition_implILS5_8ELb0ES3_jPlPS6_PKS6_NS0_5tupleIJS9_S6_EEENSD_IJSA_SA_EEENS0_18inequality_wrapperIZN2at6native12_GLOBAL__N_124unique_dim_cuda_templateIaEESt5tupleIJNSH_6TensorESM_SM_EERKSM_lbbbEUlllE0_EEPmJS6_EEE10hipError_tPvRmT3_T4_T5_T6_T7_T9_mT8_P12ihipStream_tbDpT10_ENKUlT_T0_E_clISt17integral_constantIbLb1EES1B_IbLb0EEEEDaS17_S18_EUlS17_E_NS1_11comp_targetILNS1_3genE8ELNS1_11target_archE1030ELNS1_3gpuE2ELNS1_3repE0EEENS1_30default_config_static_selectorELNS0_4arch9wavefront6targetE0EEEvT1_
; %bb.0:
	.section	.rodata,"a",@progbits
	.p2align	6, 0x0
	.amdhsa_kernel _ZN7rocprim17ROCPRIM_400000_NS6detail17trampoline_kernelINS0_14default_configENS1_25partition_config_selectorILNS1_17partition_subalgoE8ElNS0_10empty_typeEbEEZZNS1_14partition_implILS5_8ELb0ES3_jPlPS6_PKS6_NS0_5tupleIJS9_S6_EEENSD_IJSA_SA_EEENS0_18inequality_wrapperIZN2at6native12_GLOBAL__N_124unique_dim_cuda_templateIaEESt5tupleIJNSH_6TensorESM_SM_EERKSM_lbbbEUlllE0_EEPmJS6_EEE10hipError_tPvRmT3_T4_T5_T6_T7_T9_mT8_P12ihipStream_tbDpT10_ENKUlT_T0_E_clISt17integral_constantIbLb1EES1B_IbLb0EEEEDaS17_S18_EUlS17_E_NS1_11comp_targetILNS1_3genE8ELNS1_11target_archE1030ELNS1_3gpuE2ELNS1_3repE0EEENS1_30default_config_static_selectorELNS0_4arch9wavefront6targetE0EEEvT1_
		.amdhsa_group_segment_fixed_size 0
		.amdhsa_private_segment_fixed_size 0
		.amdhsa_kernarg_size 120
		.amdhsa_user_sgpr_count 15
		.amdhsa_user_sgpr_dispatch_ptr 0
		.amdhsa_user_sgpr_queue_ptr 0
		.amdhsa_user_sgpr_kernarg_segment_ptr 1
		.amdhsa_user_sgpr_dispatch_id 0
		.amdhsa_user_sgpr_private_segment_size 0
		.amdhsa_wavefront_size32 1
		.amdhsa_uses_dynamic_stack 0
		.amdhsa_enable_private_segment 0
		.amdhsa_system_sgpr_workgroup_id_x 1
		.amdhsa_system_sgpr_workgroup_id_y 0
		.amdhsa_system_sgpr_workgroup_id_z 0
		.amdhsa_system_sgpr_workgroup_info 0
		.amdhsa_system_vgpr_workitem_id 0
		.amdhsa_next_free_vgpr 1
		.amdhsa_next_free_sgpr 1
		.amdhsa_reserve_vcc 0
		.amdhsa_float_round_mode_32 0
		.amdhsa_float_round_mode_16_64 0
		.amdhsa_float_denorm_mode_32 3
		.amdhsa_float_denorm_mode_16_64 3
		.amdhsa_dx10_clamp 1
		.amdhsa_ieee_mode 1
		.amdhsa_fp16_overflow 0
		.amdhsa_workgroup_processor_mode 1
		.amdhsa_memory_ordered 1
		.amdhsa_forward_progress 0
		.amdhsa_shared_vgpr_count 0
		.amdhsa_exception_fp_ieee_invalid_op 0
		.amdhsa_exception_fp_denorm_src 0
		.amdhsa_exception_fp_ieee_div_zero 0
		.amdhsa_exception_fp_ieee_overflow 0
		.amdhsa_exception_fp_ieee_underflow 0
		.amdhsa_exception_fp_ieee_inexact 0
		.amdhsa_exception_int_div_zero 0
	.end_amdhsa_kernel
	.section	.text._ZN7rocprim17ROCPRIM_400000_NS6detail17trampoline_kernelINS0_14default_configENS1_25partition_config_selectorILNS1_17partition_subalgoE8ElNS0_10empty_typeEbEEZZNS1_14partition_implILS5_8ELb0ES3_jPlPS6_PKS6_NS0_5tupleIJS9_S6_EEENSD_IJSA_SA_EEENS0_18inequality_wrapperIZN2at6native12_GLOBAL__N_124unique_dim_cuda_templateIaEESt5tupleIJNSH_6TensorESM_SM_EERKSM_lbbbEUlllE0_EEPmJS6_EEE10hipError_tPvRmT3_T4_T5_T6_T7_T9_mT8_P12ihipStream_tbDpT10_ENKUlT_T0_E_clISt17integral_constantIbLb1EES1B_IbLb0EEEEDaS17_S18_EUlS17_E_NS1_11comp_targetILNS1_3genE8ELNS1_11target_archE1030ELNS1_3gpuE2ELNS1_3repE0EEENS1_30default_config_static_selectorELNS0_4arch9wavefront6targetE0EEEvT1_,"axG",@progbits,_ZN7rocprim17ROCPRIM_400000_NS6detail17trampoline_kernelINS0_14default_configENS1_25partition_config_selectorILNS1_17partition_subalgoE8ElNS0_10empty_typeEbEEZZNS1_14partition_implILS5_8ELb0ES3_jPlPS6_PKS6_NS0_5tupleIJS9_S6_EEENSD_IJSA_SA_EEENS0_18inequality_wrapperIZN2at6native12_GLOBAL__N_124unique_dim_cuda_templateIaEESt5tupleIJNSH_6TensorESM_SM_EERKSM_lbbbEUlllE0_EEPmJS6_EEE10hipError_tPvRmT3_T4_T5_T6_T7_T9_mT8_P12ihipStream_tbDpT10_ENKUlT_T0_E_clISt17integral_constantIbLb1EES1B_IbLb0EEEEDaS17_S18_EUlS17_E_NS1_11comp_targetILNS1_3genE8ELNS1_11target_archE1030ELNS1_3gpuE2ELNS1_3repE0EEENS1_30default_config_static_selectorELNS0_4arch9wavefront6targetE0EEEvT1_,comdat
.Lfunc_end342:
	.size	_ZN7rocprim17ROCPRIM_400000_NS6detail17trampoline_kernelINS0_14default_configENS1_25partition_config_selectorILNS1_17partition_subalgoE8ElNS0_10empty_typeEbEEZZNS1_14partition_implILS5_8ELb0ES3_jPlPS6_PKS6_NS0_5tupleIJS9_S6_EEENSD_IJSA_SA_EEENS0_18inequality_wrapperIZN2at6native12_GLOBAL__N_124unique_dim_cuda_templateIaEESt5tupleIJNSH_6TensorESM_SM_EERKSM_lbbbEUlllE0_EEPmJS6_EEE10hipError_tPvRmT3_T4_T5_T6_T7_T9_mT8_P12ihipStream_tbDpT10_ENKUlT_T0_E_clISt17integral_constantIbLb1EES1B_IbLb0EEEEDaS17_S18_EUlS17_E_NS1_11comp_targetILNS1_3genE8ELNS1_11target_archE1030ELNS1_3gpuE2ELNS1_3repE0EEENS1_30default_config_static_selectorELNS0_4arch9wavefront6targetE0EEEvT1_, .Lfunc_end342-_ZN7rocprim17ROCPRIM_400000_NS6detail17trampoline_kernelINS0_14default_configENS1_25partition_config_selectorILNS1_17partition_subalgoE8ElNS0_10empty_typeEbEEZZNS1_14partition_implILS5_8ELb0ES3_jPlPS6_PKS6_NS0_5tupleIJS9_S6_EEENSD_IJSA_SA_EEENS0_18inequality_wrapperIZN2at6native12_GLOBAL__N_124unique_dim_cuda_templateIaEESt5tupleIJNSH_6TensorESM_SM_EERKSM_lbbbEUlllE0_EEPmJS6_EEE10hipError_tPvRmT3_T4_T5_T6_T7_T9_mT8_P12ihipStream_tbDpT10_ENKUlT_T0_E_clISt17integral_constantIbLb1EES1B_IbLb0EEEEDaS17_S18_EUlS17_E_NS1_11comp_targetILNS1_3genE8ELNS1_11target_archE1030ELNS1_3gpuE2ELNS1_3repE0EEENS1_30default_config_static_selectorELNS0_4arch9wavefront6targetE0EEEvT1_
                                        ; -- End function
	.section	.AMDGPU.csdata,"",@progbits
; Kernel info:
; codeLenInByte = 0
; NumSgprs: 0
; NumVgprs: 0
; ScratchSize: 0
; MemoryBound: 0
; FloatMode: 240
; IeeeMode: 1
; LDSByteSize: 0 bytes/workgroup (compile time only)
; SGPRBlocks: 0
; VGPRBlocks: 0
; NumSGPRsForWavesPerEU: 1
; NumVGPRsForWavesPerEU: 1
; Occupancy: 16
; WaveLimiterHint : 0
; COMPUTE_PGM_RSRC2:SCRATCH_EN: 0
; COMPUTE_PGM_RSRC2:USER_SGPR: 15
; COMPUTE_PGM_RSRC2:TRAP_HANDLER: 0
; COMPUTE_PGM_RSRC2:TGID_X_EN: 1
; COMPUTE_PGM_RSRC2:TGID_Y_EN: 0
; COMPUTE_PGM_RSRC2:TGID_Z_EN: 0
; COMPUTE_PGM_RSRC2:TIDIG_COMP_CNT: 0
	.section	.text._ZN7rocprim17ROCPRIM_400000_NS6detail17trampoline_kernelINS0_14default_configENS1_25partition_config_selectorILNS1_17partition_subalgoE8ElNS0_10empty_typeEbEEZZNS1_14partition_implILS5_8ELb0ES3_jPlPS6_PKS6_NS0_5tupleIJS9_S6_EEENSD_IJSA_SA_EEENS0_18inequality_wrapperIZN2at6native12_GLOBAL__N_124unique_dim_cuda_templateIaEESt5tupleIJNSH_6TensorESM_SM_EERKSM_lbbbEUlllE0_EEPmJS6_EEE10hipError_tPvRmT3_T4_T5_T6_T7_T9_mT8_P12ihipStream_tbDpT10_ENKUlT_T0_E_clISt17integral_constantIbLb0EES1B_IbLb1EEEEDaS17_S18_EUlS17_E_NS1_11comp_targetILNS1_3genE0ELNS1_11target_archE4294967295ELNS1_3gpuE0ELNS1_3repE0EEENS1_30default_config_static_selectorELNS0_4arch9wavefront6targetE0EEEvT1_,"axG",@progbits,_ZN7rocprim17ROCPRIM_400000_NS6detail17trampoline_kernelINS0_14default_configENS1_25partition_config_selectorILNS1_17partition_subalgoE8ElNS0_10empty_typeEbEEZZNS1_14partition_implILS5_8ELb0ES3_jPlPS6_PKS6_NS0_5tupleIJS9_S6_EEENSD_IJSA_SA_EEENS0_18inequality_wrapperIZN2at6native12_GLOBAL__N_124unique_dim_cuda_templateIaEESt5tupleIJNSH_6TensorESM_SM_EERKSM_lbbbEUlllE0_EEPmJS6_EEE10hipError_tPvRmT3_T4_T5_T6_T7_T9_mT8_P12ihipStream_tbDpT10_ENKUlT_T0_E_clISt17integral_constantIbLb0EES1B_IbLb1EEEEDaS17_S18_EUlS17_E_NS1_11comp_targetILNS1_3genE0ELNS1_11target_archE4294967295ELNS1_3gpuE0ELNS1_3repE0EEENS1_30default_config_static_selectorELNS0_4arch9wavefront6targetE0EEEvT1_,comdat
	.globl	_ZN7rocprim17ROCPRIM_400000_NS6detail17trampoline_kernelINS0_14default_configENS1_25partition_config_selectorILNS1_17partition_subalgoE8ElNS0_10empty_typeEbEEZZNS1_14partition_implILS5_8ELb0ES3_jPlPS6_PKS6_NS0_5tupleIJS9_S6_EEENSD_IJSA_SA_EEENS0_18inequality_wrapperIZN2at6native12_GLOBAL__N_124unique_dim_cuda_templateIaEESt5tupleIJNSH_6TensorESM_SM_EERKSM_lbbbEUlllE0_EEPmJS6_EEE10hipError_tPvRmT3_T4_T5_T6_T7_T9_mT8_P12ihipStream_tbDpT10_ENKUlT_T0_E_clISt17integral_constantIbLb0EES1B_IbLb1EEEEDaS17_S18_EUlS17_E_NS1_11comp_targetILNS1_3genE0ELNS1_11target_archE4294967295ELNS1_3gpuE0ELNS1_3repE0EEENS1_30default_config_static_selectorELNS0_4arch9wavefront6targetE0EEEvT1_ ; -- Begin function _ZN7rocprim17ROCPRIM_400000_NS6detail17trampoline_kernelINS0_14default_configENS1_25partition_config_selectorILNS1_17partition_subalgoE8ElNS0_10empty_typeEbEEZZNS1_14partition_implILS5_8ELb0ES3_jPlPS6_PKS6_NS0_5tupleIJS9_S6_EEENSD_IJSA_SA_EEENS0_18inequality_wrapperIZN2at6native12_GLOBAL__N_124unique_dim_cuda_templateIaEESt5tupleIJNSH_6TensorESM_SM_EERKSM_lbbbEUlllE0_EEPmJS6_EEE10hipError_tPvRmT3_T4_T5_T6_T7_T9_mT8_P12ihipStream_tbDpT10_ENKUlT_T0_E_clISt17integral_constantIbLb0EES1B_IbLb1EEEEDaS17_S18_EUlS17_E_NS1_11comp_targetILNS1_3genE0ELNS1_11target_archE4294967295ELNS1_3gpuE0ELNS1_3repE0EEENS1_30default_config_static_selectorELNS0_4arch9wavefront6targetE0EEEvT1_
	.p2align	8
	.type	_ZN7rocprim17ROCPRIM_400000_NS6detail17trampoline_kernelINS0_14default_configENS1_25partition_config_selectorILNS1_17partition_subalgoE8ElNS0_10empty_typeEbEEZZNS1_14partition_implILS5_8ELb0ES3_jPlPS6_PKS6_NS0_5tupleIJS9_S6_EEENSD_IJSA_SA_EEENS0_18inequality_wrapperIZN2at6native12_GLOBAL__N_124unique_dim_cuda_templateIaEESt5tupleIJNSH_6TensorESM_SM_EERKSM_lbbbEUlllE0_EEPmJS6_EEE10hipError_tPvRmT3_T4_T5_T6_T7_T9_mT8_P12ihipStream_tbDpT10_ENKUlT_T0_E_clISt17integral_constantIbLb0EES1B_IbLb1EEEEDaS17_S18_EUlS17_E_NS1_11comp_targetILNS1_3genE0ELNS1_11target_archE4294967295ELNS1_3gpuE0ELNS1_3repE0EEENS1_30default_config_static_selectorELNS0_4arch9wavefront6targetE0EEEvT1_,@function
_ZN7rocprim17ROCPRIM_400000_NS6detail17trampoline_kernelINS0_14default_configENS1_25partition_config_selectorILNS1_17partition_subalgoE8ElNS0_10empty_typeEbEEZZNS1_14partition_implILS5_8ELb0ES3_jPlPS6_PKS6_NS0_5tupleIJS9_S6_EEENSD_IJSA_SA_EEENS0_18inequality_wrapperIZN2at6native12_GLOBAL__N_124unique_dim_cuda_templateIaEESt5tupleIJNSH_6TensorESM_SM_EERKSM_lbbbEUlllE0_EEPmJS6_EEE10hipError_tPvRmT3_T4_T5_T6_T7_T9_mT8_P12ihipStream_tbDpT10_ENKUlT_T0_E_clISt17integral_constantIbLb0EES1B_IbLb1EEEEDaS17_S18_EUlS17_E_NS1_11comp_targetILNS1_3genE0ELNS1_11target_archE4294967295ELNS1_3gpuE0ELNS1_3repE0EEENS1_30default_config_static_selectorELNS0_4arch9wavefront6targetE0EEEvT1_: ; @_ZN7rocprim17ROCPRIM_400000_NS6detail17trampoline_kernelINS0_14default_configENS1_25partition_config_selectorILNS1_17partition_subalgoE8ElNS0_10empty_typeEbEEZZNS1_14partition_implILS5_8ELb0ES3_jPlPS6_PKS6_NS0_5tupleIJS9_S6_EEENSD_IJSA_SA_EEENS0_18inequality_wrapperIZN2at6native12_GLOBAL__N_124unique_dim_cuda_templateIaEESt5tupleIJNSH_6TensorESM_SM_EERKSM_lbbbEUlllE0_EEPmJS6_EEE10hipError_tPvRmT3_T4_T5_T6_T7_T9_mT8_P12ihipStream_tbDpT10_ENKUlT_T0_E_clISt17integral_constantIbLb0EES1B_IbLb1EEEEDaS17_S18_EUlS17_E_NS1_11comp_targetILNS1_3genE0ELNS1_11target_archE4294967295ELNS1_3gpuE0ELNS1_3repE0EEENS1_30default_config_static_selectorELNS0_4arch9wavefront6targetE0EEEvT1_
; %bb.0:
	.section	.rodata,"a",@progbits
	.p2align	6, 0x0
	.amdhsa_kernel _ZN7rocprim17ROCPRIM_400000_NS6detail17trampoline_kernelINS0_14default_configENS1_25partition_config_selectorILNS1_17partition_subalgoE8ElNS0_10empty_typeEbEEZZNS1_14partition_implILS5_8ELb0ES3_jPlPS6_PKS6_NS0_5tupleIJS9_S6_EEENSD_IJSA_SA_EEENS0_18inequality_wrapperIZN2at6native12_GLOBAL__N_124unique_dim_cuda_templateIaEESt5tupleIJNSH_6TensorESM_SM_EERKSM_lbbbEUlllE0_EEPmJS6_EEE10hipError_tPvRmT3_T4_T5_T6_T7_T9_mT8_P12ihipStream_tbDpT10_ENKUlT_T0_E_clISt17integral_constantIbLb0EES1B_IbLb1EEEEDaS17_S18_EUlS17_E_NS1_11comp_targetILNS1_3genE0ELNS1_11target_archE4294967295ELNS1_3gpuE0ELNS1_3repE0EEENS1_30default_config_static_selectorELNS0_4arch9wavefront6targetE0EEEvT1_
		.amdhsa_group_segment_fixed_size 0
		.amdhsa_private_segment_fixed_size 0
		.amdhsa_kernarg_size 136
		.amdhsa_user_sgpr_count 15
		.amdhsa_user_sgpr_dispatch_ptr 0
		.amdhsa_user_sgpr_queue_ptr 0
		.amdhsa_user_sgpr_kernarg_segment_ptr 1
		.amdhsa_user_sgpr_dispatch_id 0
		.amdhsa_user_sgpr_private_segment_size 0
		.amdhsa_wavefront_size32 1
		.amdhsa_uses_dynamic_stack 0
		.amdhsa_enable_private_segment 0
		.amdhsa_system_sgpr_workgroup_id_x 1
		.amdhsa_system_sgpr_workgroup_id_y 0
		.amdhsa_system_sgpr_workgroup_id_z 0
		.amdhsa_system_sgpr_workgroup_info 0
		.amdhsa_system_vgpr_workitem_id 0
		.amdhsa_next_free_vgpr 1
		.amdhsa_next_free_sgpr 1
		.amdhsa_reserve_vcc 0
		.amdhsa_float_round_mode_32 0
		.amdhsa_float_round_mode_16_64 0
		.amdhsa_float_denorm_mode_32 3
		.amdhsa_float_denorm_mode_16_64 3
		.amdhsa_dx10_clamp 1
		.amdhsa_ieee_mode 1
		.amdhsa_fp16_overflow 0
		.amdhsa_workgroup_processor_mode 1
		.amdhsa_memory_ordered 1
		.amdhsa_forward_progress 0
		.amdhsa_shared_vgpr_count 0
		.amdhsa_exception_fp_ieee_invalid_op 0
		.amdhsa_exception_fp_denorm_src 0
		.amdhsa_exception_fp_ieee_div_zero 0
		.amdhsa_exception_fp_ieee_overflow 0
		.amdhsa_exception_fp_ieee_underflow 0
		.amdhsa_exception_fp_ieee_inexact 0
		.amdhsa_exception_int_div_zero 0
	.end_amdhsa_kernel
	.section	.text._ZN7rocprim17ROCPRIM_400000_NS6detail17trampoline_kernelINS0_14default_configENS1_25partition_config_selectorILNS1_17partition_subalgoE8ElNS0_10empty_typeEbEEZZNS1_14partition_implILS5_8ELb0ES3_jPlPS6_PKS6_NS0_5tupleIJS9_S6_EEENSD_IJSA_SA_EEENS0_18inequality_wrapperIZN2at6native12_GLOBAL__N_124unique_dim_cuda_templateIaEESt5tupleIJNSH_6TensorESM_SM_EERKSM_lbbbEUlllE0_EEPmJS6_EEE10hipError_tPvRmT3_T4_T5_T6_T7_T9_mT8_P12ihipStream_tbDpT10_ENKUlT_T0_E_clISt17integral_constantIbLb0EES1B_IbLb1EEEEDaS17_S18_EUlS17_E_NS1_11comp_targetILNS1_3genE0ELNS1_11target_archE4294967295ELNS1_3gpuE0ELNS1_3repE0EEENS1_30default_config_static_selectorELNS0_4arch9wavefront6targetE0EEEvT1_,"axG",@progbits,_ZN7rocprim17ROCPRIM_400000_NS6detail17trampoline_kernelINS0_14default_configENS1_25partition_config_selectorILNS1_17partition_subalgoE8ElNS0_10empty_typeEbEEZZNS1_14partition_implILS5_8ELb0ES3_jPlPS6_PKS6_NS0_5tupleIJS9_S6_EEENSD_IJSA_SA_EEENS0_18inequality_wrapperIZN2at6native12_GLOBAL__N_124unique_dim_cuda_templateIaEESt5tupleIJNSH_6TensorESM_SM_EERKSM_lbbbEUlllE0_EEPmJS6_EEE10hipError_tPvRmT3_T4_T5_T6_T7_T9_mT8_P12ihipStream_tbDpT10_ENKUlT_T0_E_clISt17integral_constantIbLb0EES1B_IbLb1EEEEDaS17_S18_EUlS17_E_NS1_11comp_targetILNS1_3genE0ELNS1_11target_archE4294967295ELNS1_3gpuE0ELNS1_3repE0EEENS1_30default_config_static_selectorELNS0_4arch9wavefront6targetE0EEEvT1_,comdat
.Lfunc_end343:
	.size	_ZN7rocprim17ROCPRIM_400000_NS6detail17trampoline_kernelINS0_14default_configENS1_25partition_config_selectorILNS1_17partition_subalgoE8ElNS0_10empty_typeEbEEZZNS1_14partition_implILS5_8ELb0ES3_jPlPS6_PKS6_NS0_5tupleIJS9_S6_EEENSD_IJSA_SA_EEENS0_18inequality_wrapperIZN2at6native12_GLOBAL__N_124unique_dim_cuda_templateIaEESt5tupleIJNSH_6TensorESM_SM_EERKSM_lbbbEUlllE0_EEPmJS6_EEE10hipError_tPvRmT3_T4_T5_T6_T7_T9_mT8_P12ihipStream_tbDpT10_ENKUlT_T0_E_clISt17integral_constantIbLb0EES1B_IbLb1EEEEDaS17_S18_EUlS17_E_NS1_11comp_targetILNS1_3genE0ELNS1_11target_archE4294967295ELNS1_3gpuE0ELNS1_3repE0EEENS1_30default_config_static_selectorELNS0_4arch9wavefront6targetE0EEEvT1_, .Lfunc_end343-_ZN7rocprim17ROCPRIM_400000_NS6detail17trampoline_kernelINS0_14default_configENS1_25partition_config_selectorILNS1_17partition_subalgoE8ElNS0_10empty_typeEbEEZZNS1_14partition_implILS5_8ELb0ES3_jPlPS6_PKS6_NS0_5tupleIJS9_S6_EEENSD_IJSA_SA_EEENS0_18inequality_wrapperIZN2at6native12_GLOBAL__N_124unique_dim_cuda_templateIaEESt5tupleIJNSH_6TensorESM_SM_EERKSM_lbbbEUlllE0_EEPmJS6_EEE10hipError_tPvRmT3_T4_T5_T6_T7_T9_mT8_P12ihipStream_tbDpT10_ENKUlT_T0_E_clISt17integral_constantIbLb0EES1B_IbLb1EEEEDaS17_S18_EUlS17_E_NS1_11comp_targetILNS1_3genE0ELNS1_11target_archE4294967295ELNS1_3gpuE0ELNS1_3repE0EEENS1_30default_config_static_selectorELNS0_4arch9wavefront6targetE0EEEvT1_
                                        ; -- End function
	.section	.AMDGPU.csdata,"",@progbits
; Kernel info:
; codeLenInByte = 0
; NumSgprs: 0
; NumVgprs: 0
; ScratchSize: 0
; MemoryBound: 0
; FloatMode: 240
; IeeeMode: 1
; LDSByteSize: 0 bytes/workgroup (compile time only)
; SGPRBlocks: 0
; VGPRBlocks: 0
; NumSGPRsForWavesPerEU: 1
; NumVGPRsForWavesPerEU: 1
; Occupancy: 16
; WaveLimiterHint : 0
; COMPUTE_PGM_RSRC2:SCRATCH_EN: 0
; COMPUTE_PGM_RSRC2:USER_SGPR: 15
; COMPUTE_PGM_RSRC2:TRAP_HANDLER: 0
; COMPUTE_PGM_RSRC2:TGID_X_EN: 1
; COMPUTE_PGM_RSRC2:TGID_Y_EN: 0
; COMPUTE_PGM_RSRC2:TGID_Z_EN: 0
; COMPUTE_PGM_RSRC2:TIDIG_COMP_CNT: 0
	.section	.text._ZN7rocprim17ROCPRIM_400000_NS6detail17trampoline_kernelINS0_14default_configENS1_25partition_config_selectorILNS1_17partition_subalgoE8ElNS0_10empty_typeEbEEZZNS1_14partition_implILS5_8ELb0ES3_jPlPS6_PKS6_NS0_5tupleIJS9_S6_EEENSD_IJSA_SA_EEENS0_18inequality_wrapperIZN2at6native12_GLOBAL__N_124unique_dim_cuda_templateIaEESt5tupleIJNSH_6TensorESM_SM_EERKSM_lbbbEUlllE0_EEPmJS6_EEE10hipError_tPvRmT3_T4_T5_T6_T7_T9_mT8_P12ihipStream_tbDpT10_ENKUlT_T0_E_clISt17integral_constantIbLb0EES1B_IbLb1EEEEDaS17_S18_EUlS17_E_NS1_11comp_targetILNS1_3genE5ELNS1_11target_archE942ELNS1_3gpuE9ELNS1_3repE0EEENS1_30default_config_static_selectorELNS0_4arch9wavefront6targetE0EEEvT1_,"axG",@progbits,_ZN7rocprim17ROCPRIM_400000_NS6detail17trampoline_kernelINS0_14default_configENS1_25partition_config_selectorILNS1_17partition_subalgoE8ElNS0_10empty_typeEbEEZZNS1_14partition_implILS5_8ELb0ES3_jPlPS6_PKS6_NS0_5tupleIJS9_S6_EEENSD_IJSA_SA_EEENS0_18inequality_wrapperIZN2at6native12_GLOBAL__N_124unique_dim_cuda_templateIaEESt5tupleIJNSH_6TensorESM_SM_EERKSM_lbbbEUlllE0_EEPmJS6_EEE10hipError_tPvRmT3_T4_T5_T6_T7_T9_mT8_P12ihipStream_tbDpT10_ENKUlT_T0_E_clISt17integral_constantIbLb0EES1B_IbLb1EEEEDaS17_S18_EUlS17_E_NS1_11comp_targetILNS1_3genE5ELNS1_11target_archE942ELNS1_3gpuE9ELNS1_3repE0EEENS1_30default_config_static_selectorELNS0_4arch9wavefront6targetE0EEEvT1_,comdat
	.globl	_ZN7rocprim17ROCPRIM_400000_NS6detail17trampoline_kernelINS0_14default_configENS1_25partition_config_selectorILNS1_17partition_subalgoE8ElNS0_10empty_typeEbEEZZNS1_14partition_implILS5_8ELb0ES3_jPlPS6_PKS6_NS0_5tupleIJS9_S6_EEENSD_IJSA_SA_EEENS0_18inequality_wrapperIZN2at6native12_GLOBAL__N_124unique_dim_cuda_templateIaEESt5tupleIJNSH_6TensorESM_SM_EERKSM_lbbbEUlllE0_EEPmJS6_EEE10hipError_tPvRmT3_T4_T5_T6_T7_T9_mT8_P12ihipStream_tbDpT10_ENKUlT_T0_E_clISt17integral_constantIbLb0EES1B_IbLb1EEEEDaS17_S18_EUlS17_E_NS1_11comp_targetILNS1_3genE5ELNS1_11target_archE942ELNS1_3gpuE9ELNS1_3repE0EEENS1_30default_config_static_selectorELNS0_4arch9wavefront6targetE0EEEvT1_ ; -- Begin function _ZN7rocprim17ROCPRIM_400000_NS6detail17trampoline_kernelINS0_14default_configENS1_25partition_config_selectorILNS1_17partition_subalgoE8ElNS0_10empty_typeEbEEZZNS1_14partition_implILS5_8ELb0ES3_jPlPS6_PKS6_NS0_5tupleIJS9_S6_EEENSD_IJSA_SA_EEENS0_18inequality_wrapperIZN2at6native12_GLOBAL__N_124unique_dim_cuda_templateIaEESt5tupleIJNSH_6TensorESM_SM_EERKSM_lbbbEUlllE0_EEPmJS6_EEE10hipError_tPvRmT3_T4_T5_T6_T7_T9_mT8_P12ihipStream_tbDpT10_ENKUlT_T0_E_clISt17integral_constantIbLb0EES1B_IbLb1EEEEDaS17_S18_EUlS17_E_NS1_11comp_targetILNS1_3genE5ELNS1_11target_archE942ELNS1_3gpuE9ELNS1_3repE0EEENS1_30default_config_static_selectorELNS0_4arch9wavefront6targetE0EEEvT1_
	.p2align	8
	.type	_ZN7rocprim17ROCPRIM_400000_NS6detail17trampoline_kernelINS0_14default_configENS1_25partition_config_selectorILNS1_17partition_subalgoE8ElNS0_10empty_typeEbEEZZNS1_14partition_implILS5_8ELb0ES3_jPlPS6_PKS6_NS0_5tupleIJS9_S6_EEENSD_IJSA_SA_EEENS0_18inequality_wrapperIZN2at6native12_GLOBAL__N_124unique_dim_cuda_templateIaEESt5tupleIJNSH_6TensorESM_SM_EERKSM_lbbbEUlllE0_EEPmJS6_EEE10hipError_tPvRmT3_T4_T5_T6_T7_T9_mT8_P12ihipStream_tbDpT10_ENKUlT_T0_E_clISt17integral_constantIbLb0EES1B_IbLb1EEEEDaS17_S18_EUlS17_E_NS1_11comp_targetILNS1_3genE5ELNS1_11target_archE942ELNS1_3gpuE9ELNS1_3repE0EEENS1_30default_config_static_selectorELNS0_4arch9wavefront6targetE0EEEvT1_,@function
_ZN7rocprim17ROCPRIM_400000_NS6detail17trampoline_kernelINS0_14default_configENS1_25partition_config_selectorILNS1_17partition_subalgoE8ElNS0_10empty_typeEbEEZZNS1_14partition_implILS5_8ELb0ES3_jPlPS6_PKS6_NS0_5tupleIJS9_S6_EEENSD_IJSA_SA_EEENS0_18inequality_wrapperIZN2at6native12_GLOBAL__N_124unique_dim_cuda_templateIaEESt5tupleIJNSH_6TensorESM_SM_EERKSM_lbbbEUlllE0_EEPmJS6_EEE10hipError_tPvRmT3_T4_T5_T6_T7_T9_mT8_P12ihipStream_tbDpT10_ENKUlT_T0_E_clISt17integral_constantIbLb0EES1B_IbLb1EEEEDaS17_S18_EUlS17_E_NS1_11comp_targetILNS1_3genE5ELNS1_11target_archE942ELNS1_3gpuE9ELNS1_3repE0EEENS1_30default_config_static_selectorELNS0_4arch9wavefront6targetE0EEEvT1_: ; @_ZN7rocprim17ROCPRIM_400000_NS6detail17trampoline_kernelINS0_14default_configENS1_25partition_config_selectorILNS1_17partition_subalgoE8ElNS0_10empty_typeEbEEZZNS1_14partition_implILS5_8ELb0ES3_jPlPS6_PKS6_NS0_5tupleIJS9_S6_EEENSD_IJSA_SA_EEENS0_18inequality_wrapperIZN2at6native12_GLOBAL__N_124unique_dim_cuda_templateIaEESt5tupleIJNSH_6TensorESM_SM_EERKSM_lbbbEUlllE0_EEPmJS6_EEE10hipError_tPvRmT3_T4_T5_T6_T7_T9_mT8_P12ihipStream_tbDpT10_ENKUlT_T0_E_clISt17integral_constantIbLb0EES1B_IbLb1EEEEDaS17_S18_EUlS17_E_NS1_11comp_targetILNS1_3genE5ELNS1_11target_archE942ELNS1_3gpuE9ELNS1_3repE0EEENS1_30default_config_static_selectorELNS0_4arch9wavefront6targetE0EEEvT1_
; %bb.0:
	.section	.rodata,"a",@progbits
	.p2align	6, 0x0
	.amdhsa_kernel _ZN7rocprim17ROCPRIM_400000_NS6detail17trampoline_kernelINS0_14default_configENS1_25partition_config_selectorILNS1_17partition_subalgoE8ElNS0_10empty_typeEbEEZZNS1_14partition_implILS5_8ELb0ES3_jPlPS6_PKS6_NS0_5tupleIJS9_S6_EEENSD_IJSA_SA_EEENS0_18inequality_wrapperIZN2at6native12_GLOBAL__N_124unique_dim_cuda_templateIaEESt5tupleIJNSH_6TensorESM_SM_EERKSM_lbbbEUlllE0_EEPmJS6_EEE10hipError_tPvRmT3_T4_T5_T6_T7_T9_mT8_P12ihipStream_tbDpT10_ENKUlT_T0_E_clISt17integral_constantIbLb0EES1B_IbLb1EEEEDaS17_S18_EUlS17_E_NS1_11comp_targetILNS1_3genE5ELNS1_11target_archE942ELNS1_3gpuE9ELNS1_3repE0EEENS1_30default_config_static_selectorELNS0_4arch9wavefront6targetE0EEEvT1_
		.amdhsa_group_segment_fixed_size 0
		.amdhsa_private_segment_fixed_size 0
		.amdhsa_kernarg_size 136
		.amdhsa_user_sgpr_count 15
		.amdhsa_user_sgpr_dispatch_ptr 0
		.amdhsa_user_sgpr_queue_ptr 0
		.amdhsa_user_sgpr_kernarg_segment_ptr 1
		.amdhsa_user_sgpr_dispatch_id 0
		.amdhsa_user_sgpr_private_segment_size 0
		.amdhsa_wavefront_size32 1
		.amdhsa_uses_dynamic_stack 0
		.amdhsa_enable_private_segment 0
		.amdhsa_system_sgpr_workgroup_id_x 1
		.amdhsa_system_sgpr_workgroup_id_y 0
		.amdhsa_system_sgpr_workgroup_id_z 0
		.amdhsa_system_sgpr_workgroup_info 0
		.amdhsa_system_vgpr_workitem_id 0
		.amdhsa_next_free_vgpr 1
		.amdhsa_next_free_sgpr 1
		.amdhsa_reserve_vcc 0
		.amdhsa_float_round_mode_32 0
		.amdhsa_float_round_mode_16_64 0
		.amdhsa_float_denorm_mode_32 3
		.amdhsa_float_denorm_mode_16_64 3
		.amdhsa_dx10_clamp 1
		.amdhsa_ieee_mode 1
		.amdhsa_fp16_overflow 0
		.amdhsa_workgroup_processor_mode 1
		.amdhsa_memory_ordered 1
		.amdhsa_forward_progress 0
		.amdhsa_shared_vgpr_count 0
		.amdhsa_exception_fp_ieee_invalid_op 0
		.amdhsa_exception_fp_denorm_src 0
		.amdhsa_exception_fp_ieee_div_zero 0
		.amdhsa_exception_fp_ieee_overflow 0
		.amdhsa_exception_fp_ieee_underflow 0
		.amdhsa_exception_fp_ieee_inexact 0
		.amdhsa_exception_int_div_zero 0
	.end_amdhsa_kernel
	.section	.text._ZN7rocprim17ROCPRIM_400000_NS6detail17trampoline_kernelINS0_14default_configENS1_25partition_config_selectorILNS1_17partition_subalgoE8ElNS0_10empty_typeEbEEZZNS1_14partition_implILS5_8ELb0ES3_jPlPS6_PKS6_NS0_5tupleIJS9_S6_EEENSD_IJSA_SA_EEENS0_18inequality_wrapperIZN2at6native12_GLOBAL__N_124unique_dim_cuda_templateIaEESt5tupleIJNSH_6TensorESM_SM_EERKSM_lbbbEUlllE0_EEPmJS6_EEE10hipError_tPvRmT3_T4_T5_T6_T7_T9_mT8_P12ihipStream_tbDpT10_ENKUlT_T0_E_clISt17integral_constantIbLb0EES1B_IbLb1EEEEDaS17_S18_EUlS17_E_NS1_11comp_targetILNS1_3genE5ELNS1_11target_archE942ELNS1_3gpuE9ELNS1_3repE0EEENS1_30default_config_static_selectorELNS0_4arch9wavefront6targetE0EEEvT1_,"axG",@progbits,_ZN7rocprim17ROCPRIM_400000_NS6detail17trampoline_kernelINS0_14default_configENS1_25partition_config_selectorILNS1_17partition_subalgoE8ElNS0_10empty_typeEbEEZZNS1_14partition_implILS5_8ELb0ES3_jPlPS6_PKS6_NS0_5tupleIJS9_S6_EEENSD_IJSA_SA_EEENS0_18inequality_wrapperIZN2at6native12_GLOBAL__N_124unique_dim_cuda_templateIaEESt5tupleIJNSH_6TensorESM_SM_EERKSM_lbbbEUlllE0_EEPmJS6_EEE10hipError_tPvRmT3_T4_T5_T6_T7_T9_mT8_P12ihipStream_tbDpT10_ENKUlT_T0_E_clISt17integral_constantIbLb0EES1B_IbLb1EEEEDaS17_S18_EUlS17_E_NS1_11comp_targetILNS1_3genE5ELNS1_11target_archE942ELNS1_3gpuE9ELNS1_3repE0EEENS1_30default_config_static_selectorELNS0_4arch9wavefront6targetE0EEEvT1_,comdat
.Lfunc_end344:
	.size	_ZN7rocprim17ROCPRIM_400000_NS6detail17trampoline_kernelINS0_14default_configENS1_25partition_config_selectorILNS1_17partition_subalgoE8ElNS0_10empty_typeEbEEZZNS1_14partition_implILS5_8ELb0ES3_jPlPS6_PKS6_NS0_5tupleIJS9_S6_EEENSD_IJSA_SA_EEENS0_18inequality_wrapperIZN2at6native12_GLOBAL__N_124unique_dim_cuda_templateIaEESt5tupleIJNSH_6TensorESM_SM_EERKSM_lbbbEUlllE0_EEPmJS6_EEE10hipError_tPvRmT3_T4_T5_T6_T7_T9_mT8_P12ihipStream_tbDpT10_ENKUlT_T0_E_clISt17integral_constantIbLb0EES1B_IbLb1EEEEDaS17_S18_EUlS17_E_NS1_11comp_targetILNS1_3genE5ELNS1_11target_archE942ELNS1_3gpuE9ELNS1_3repE0EEENS1_30default_config_static_selectorELNS0_4arch9wavefront6targetE0EEEvT1_, .Lfunc_end344-_ZN7rocprim17ROCPRIM_400000_NS6detail17trampoline_kernelINS0_14default_configENS1_25partition_config_selectorILNS1_17partition_subalgoE8ElNS0_10empty_typeEbEEZZNS1_14partition_implILS5_8ELb0ES3_jPlPS6_PKS6_NS0_5tupleIJS9_S6_EEENSD_IJSA_SA_EEENS0_18inequality_wrapperIZN2at6native12_GLOBAL__N_124unique_dim_cuda_templateIaEESt5tupleIJNSH_6TensorESM_SM_EERKSM_lbbbEUlllE0_EEPmJS6_EEE10hipError_tPvRmT3_T4_T5_T6_T7_T9_mT8_P12ihipStream_tbDpT10_ENKUlT_T0_E_clISt17integral_constantIbLb0EES1B_IbLb1EEEEDaS17_S18_EUlS17_E_NS1_11comp_targetILNS1_3genE5ELNS1_11target_archE942ELNS1_3gpuE9ELNS1_3repE0EEENS1_30default_config_static_selectorELNS0_4arch9wavefront6targetE0EEEvT1_
                                        ; -- End function
	.section	.AMDGPU.csdata,"",@progbits
; Kernel info:
; codeLenInByte = 0
; NumSgprs: 0
; NumVgprs: 0
; ScratchSize: 0
; MemoryBound: 0
; FloatMode: 240
; IeeeMode: 1
; LDSByteSize: 0 bytes/workgroup (compile time only)
; SGPRBlocks: 0
; VGPRBlocks: 0
; NumSGPRsForWavesPerEU: 1
; NumVGPRsForWavesPerEU: 1
; Occupancy: 16
; WaveLimiterHint : 0
; COMPUTE_PGM_RSRC2:SCRATCH_EN: 0
; COMPUTE_PGM_RSRC2:USER_SGPR: 15
; COMPUTE_PGM_RSRC2:TRAP_HANDLER: 0
; COMPUTE_PGM_RSRC2:TGID_X_EN: 1
; COMPUTE_PGM_RSRC2:TGID_Y_EN: 0
; COMPUTE_PGM_RSRC2:TGID_Z_EN: 0
; COMPUTE_PGM_RSRC2:TIDIG_COMP_CNT: 0
	.section	.text._ZN7rocprim17ROCPRIM_400000_NS6detail17trampoline_kernelINS0_14default_configENS1_25partition_config_selectorILNS1_17partition_subalgoE8ElNS0_10empty_typeEbEEZZNS1_14partition_implILS5_8ELb0ES3_jPlPS6_PKS6_NS0_5tupleIJS9_S6_EEENSD_IJSA_SA_EEENS0_18inequality_wrapperIZN2at6native12_GLOBAL__N_124unique_dim_cuda_templateIaEESt5tupleIJNSH_6TensorESM_SM_EERKSM_lbbbEUlllE0_EEPmJS6_EEE10hipError_tPvRmT3_T4_T5_T6_T7_T9_mT8_P12ihipStream_tbDpT10_ENKUlT_T0_E_clISt17integral_constantIbLb0EES1B_IbLb1EEEEDaS17_S18_EUlS17_E_NS1_11comp_targetILNS1_3genE4ELNS1_11target_archE910ELNS1_3gpuE8ELNS1_3repE0EEENS1_30default_config_static_selectorELNS0_4arch9wavefront6targetE0EEEvT1_,"axG",@progbits,_ZN7rocprim17ROCPRIM_400000_NS6detail17trampoline_kernelINS0_14default_configENS1_25partition_config_selectorILNS1_17partition_subalgoE8ElNS0_10empty_typeEbEEZZNS1_14partition_implILS5_8ELb0ES3_jPlPS6_PKS6_NS0_5tupleIJS9_S6_EEENSD_IJSA_SA_EEENS0_18inequality_wrapperIZN2at6native12_GLOBAL__N_124unique_dim_cuda_templateIaEESt5tupleIJNSH_6TensorESM_SM_EERKSM_lbbbEUlllE0_EEPmJS6_EEE10hipError_tPvRmT3_T4_T5_T6_T7_T9_mT8_P12ihipStream_tbDpT10_ENKUlT_T0_E_clISt17integral_constantIbLb0EES1B_IbLb1EEEEDaS17_S18_EUlS17_E_NS1_11comp_targetILNS1_3genE4ELNS1_11target_archE910ELNS1_3gpuE8ELNS1_3repE0EEENS1_30default_config_static_selectorELNS0_4arch9wavefront6targetE0EEEvT1_,comdat
	.globl	_ZN7rocprim17ROCPRIM_400000_NS6detail17trampoline_kernelINS0_14default_configENS1_25partition_config_selectorILNS1_17partition_subalgoE8ElNS0_10empty_typeEbEEZZNS1_14partition_implILS5_8ELb0ES3_jPlPS6_PKS6_NS0_5tupleIJS9_S6_EEENSD_IJSA_SA_EEENS0_18inequality_wrapperIZN2at6native12_GLOBAL__N_124unique_dim_cuda_templateIaEESt5tupleIJNSH_6TensorESM_SM_EERKSM_lbbbEUlllE0_EEPmJS6_EEE10hipError_tPvRmT3_T4_T5_T6_T7_T9_mT8_P12ihipStream_tbDpT10_ENKUlT_T0_E_clISt17integral_constantIbLb0EES1B_IbLb1EEEEDaS17_S18_EUlS17_E_NS1_11comp_targetILNS1_3genE4ELNS1_11target_archE910ELNS1_3gpuE8ELNS1_3repE0EEENS1_30default_config_static_selectorELNS0_4arch9wavefront6targetE0EEEvT1_ ; -- Begin function _ZN7rocprim17ROCPRIM_400000_NS6detail17trampoline_kernelINS0_14default_configENS1_25partition_config_selectorILNS1_17partition_subalgoE8ElNS0_10empty_typeEbEEZZNS1_14partition_implILS5_8ELb0ES3_jPlPS6_PKS6_NS0_5tupleIJS9_S6_EEENSD_IJSA_SA_EEENS0_18inequality_wrapperIZN2at6native12_GLOBAL__N_124unique_dim_cuda_templateIaEESt5tupleIJNSH_6TensorESM_SM_EERKSM_lbbbEUlllE0_EEPmJS6_EEE10hipError_tPvRmT3_T4_T5_T6_T7_T9_mT8_P12ihipStream_tbDpT10_ENKUlT_T0_E_clISt17integral_constantIbLb0EES1B_IbLb1EEEEDaS17_S18_EUlS17_E_NS1_11comp_targetILNS1_3genE4ELNS1_11target_archE910ELNS1_3gpuE8ELNS1_3repE0EEENS1_30default_config_static_selectorELNS0_4arch9wavefront6targetE0EEEvT1_
	.p2align	8
	.type	_ZN7rocprim17ROCPRIM_400000_NS6detail17trampoline_kernelINS0_14default_configENS1_25partition_config_selectorILNS1_17partition_subalgoE8ElNS0_10empty_typeEbEEZZNS1_14partition_implILS5_8ELb0ES3_jPlPS6_PKS6_NS0_5tupleIJS9_S6_EEENSD_IJSA_SA_EEENS0_18inequality_wrapperIZN2at6native12_GLOBAL__N_124unique_dim_cuda_templateIaEESt5tupleIJNSH_6TensorESM_SM_EERKSM_lbbbEUlllE0_EEPmJS6_EEE10hipError_tPvRmT3_T4_T5_T6_T7_T9_mT8_P12ihipStream_tbDpT10_ENKUlT_T0_E_clISt17integral_constantIbLb0EES1B_IbLb1EEEEDaS17_S18_EUlS17_E_NS1_11comp_targetILNS1_3genE4ELNS1_11target_archE910ELNS1_3gpuE8ELNS1_3repE0EEENS1_30default_config_static_selectorELNS0_4arch9wavefront6targetE0EEEvT1_,@function
_ZN7rocprim17ROCPRIM_400000_NS6detail17trampoline_kernelINS0_14default_configENS1_25partition_config_selectorILNS1_17partition_subalgoE8ElNS0_10empty_typeEbEEZZNS1_14partition_implILS5_8ELb0ES3_jPlPS6_PKS6_NS0_5tupleIJS9_S6_EEENSD_IJSA_SA_EEENS0_18inequality_wrapperIZN2at6native12_GLOBAL__N_124unique_dim_cuda_templateIaEESt5tupleIJNSH_6TensorESM_SM_EERKSM_lbbbEUlllE0_EEPmJS6_EEE10hipError_tPvRmT3_T4_T5_T6_T7_T9_mT8_P12ihipStream_tbDpT10_ENKUlT_T0_E_clISt17integral_constantIbLb0EES1B_IbLb1EEEEDaS17_S18_EUlS17_E_NS1_11comp_targetILNS1_3genE4ELNS1_11target_archE910ELNS1_3gpuE8ELNS1_3repE0EEENS1_30default_config_static_selectorELNS0_4arch9wavefront6targetE0EEEvT1_: ; @_ZN7rocprim17ROCPRIM_400000_NS6detail17trampoline_kernelINS0_14default_configENS1_25partition_config_selectorILNS1_17partition_subalgoE8ElNS0_10empty_typeEbEEZZNS1_14partition_implILS5_8ELb0ES3_jPlPS6_PKS6_NS0_5tupleIJS9_S6_EEENSD_IJSA_SA_EEENS0_18inequality_wrapperIZN2at6native12_GLOBAL__N_124unique_dim_cuda_templateIaEESt5tupleIJNSH_6TensorESM_SM_EERKSM_lbbbEUlllE0_EEPmJS6_EEE10hipError_tPvRmT3_T4_T5_T6_T7_T9_mT8_P12ihipStream_tbDpT10_ENKUlT_T0_E_clISt17integral_constantIbLb0EES1B_IbLb1EEEEDaS17_S18_EUlS17_E_NS1_11comp_targetILNS1_3genE4ELNS1_11target_archE910ELNS1_3gpuE8ELNS1_3repE0EEENS1_30default_config_static_selectorELNS0_4arch9wavefront6targetE0EEEvT1_
; %bb.0:
	.section	.rodata,"a",@progbits
	.p2align	6, 0x0
	.amdhsa_kernel _ZN7rocprim17ROCPRIM_400000_NS6detail17trampoline_kernelINS0_14default_configENS1_25partition_config_selectorILNS1_17partition_subalgoE8ElNS0_10empty_typeEbEEZZNS1_14partition_implILS5_8ELb0ES3_jPlPS6_PKS6_NS0_5tupleIJS9_S6_EEENSD_IJSA_SA_EEENS0_18inequality_wrapperIZN2at6native12_GLOBAL__N_124unique_dim_cuda_templateIaEESt5tupleIJNSH_6TensorESM_SM_EERKSM_lbbbEUlllE0_EEPmJS6_EEE10hipError_tPvRmT3_T4_T5_T6_T7_T9_mT8_P12ihipStream_tbDpT10_ENKUlT_T0_E_clISt17integral_constantIbLb0EES1B_IbLb1EEEEDaS17_S18_EUlS17_E_NS1_11comp_targetILNS1_3genE4ELNS1_11target_archE910ELNS1_3gpuE8ELNS1_3repE0EEENS1_30default_config_static_selectorELNS0_4arch9wavefront6targetE0EEEvT1_
		.amdhsa_group_segment_fixed_size 0
		.amdhsa_private_segment_fixed_size 0
		.amdhsa_kernarg_size 136
		.amdhsa_user_sgpr_count 15
		.amdhsa_user_sgpr_dispatch_ptr 0
		.amdhsa_user_sgpr_queue_ptr 0
		.amdhsa_user_sgpr_kernarg_segment_ptr 1
		.amdhsa_user_sgpr_dispatch_id 0
		.amdhsa_user_sgpr_private_segment_size 0
		.amdhsa_wavefront_size32 1
		.amdhsa_uses_dynamic_stack 0
		.amdhsa_enable_private_segment 0
		.amdhsa_system_sgpr_workgroup_id_x 1
		.amdhsa_system_sgpr_workgroup_id_y 0
		.amdhsa_system_sgpr_workgroup_id_z 0
		.amdhsa_system_sgpr_workgroup_info 0
		.amdhsa_system_vgpr_workitem_id 0
		.amdhsa_next_free_vgpr 1
		.amdhsa_next_free_sgpr 1
		.amdhsa_reserve_vcc 0
		.amdhsa_float_round_mode_32 0
		.amdhsa_float_round_mode_16_64 0
		.amdhsa_float_denorm_mode_32 3
		.amdhsa_float_denorm_mode_16_64 3
		.amdhsa_dx10_clamp 1
		.amdhsa_ieee_mode 1
		.amdhsa_fp16_overflow 0
		.amdhsa_workgroup_processor_mode 1
		.amdhsa_memory_ordered 1
		.amdhsa_forward_progress 0
		.amdhsa_shared_vgpr_count 0
		.amdhsa_exception_fp_ieee_invalid_op 0
		.amdhsa_exception_fp_denorm_src 0
		.amdhsa_exception_fp_ieee_div_zero 0
		.amdhsa_exception_fp_ieee_overflow 0
		.amdhsa_exception_fp_ieee_underflow 0
		.amdhsa_exception_fp_ieee_inexact 0
		.amdhsa_exception_int_div_zero 0
	.end_amdhsa_kernel
	.section	.text._ZN7rocprim17ROCPRIM_400000_NS6detail17trampoline_kernelINS0_14default_configENS1_25partition_config_selectorILNS1_17partition_subalgoE8ElNS0_10empty_typeEbEEZZNS1_14partition_implILS5_8ELb0ES3_jPlPS6_PKS6_NS0_5tupleIJS9_S6_EEENSD_IJSA_SA_EEENS0_18inequality_wrapperIZN2at6native12_GLOBAL__N_124unique_dim_cuda_templateIaEESt5tupleIJNSH_6TensorESM_SM_EERKSM_lbbbEUlllE0_EEPmJS6_EEE10hipError_tPvRmT3_T4_T5_T6_T7_T9_mT8_P12ihipStream_tbDpT10_ENKUlT_T0_E_clISt17integral_constantIbLb0EES1B_IbLb1EEEEDaS17_S18_EUlS17_E_NS1_11comp_targetILNS1_3genE4ELNS1_11target_archE910ELNS1_3gpuE8ELNS1_3repE0EEENS1_30default_config_static_selectorELNS0_4arch9wavefront6targetE0EEEvT1_,"axG",@progbits,_ZN7rocprim17ROCPRIM_400000_NS6detail17trampoline_kernelINS0_14default_configENS1_25partition_config_selectorILNS1_17partition_subalgoE8ElNS0_10empty_typeEbEEZZNS1_14partition_implILS5_8ELb0ES3_jPlPS6_PKS6_NS0_5tupleIJS9_S6_EEENSD_IJSA_SA_EEENS0_18inequality_wrapperIZN2at6native12_GLOBAL__N_124unique_dim_cuda_templateIaEESt5tupleIJNSH_6TensorESM_SM_EERKSM_lbbbEUlllE0_EEPmJS6_EEE10hipError_tPvRmT3_T4_T5_T6_T7_T9_mT8_P12ihipStream_tbDpT10_ENKUlT_T0_E_clISt17integral_constantIbLb0EES1B_IbLb1EEEEDaS17_S18_EUlS17_E_NS1_11comp_targetILNS1_3genE4ELNS1_11target_archE910ELNS1_3gpuE8ELNS1_3repE0EEENS1_30default_config_static_selectorELNS0_4arch9wavefront6targetE0EEEvT1_,comdat
.Lfunc_end345:
	.size	_ZN7rocprim17ROCPRIM_400000_NS6detail17trampoline_kernelINS0_14default_configENS1_25partition_config_selectorILNS1_17partition_subalgoE8ElNS0_10empty_typeEbEEZZNS1_14partition_implILS5_8ELb0ES3_jPlPS6_PKS6_NS0_5tupleIJS9_S6_EEENSD_IJSA_SA_EEENS0_18inequality_wrapperIZN2at6native12_GLOBAL__N_124unique_dim_cuda_templateIaEESt5tupleIJNSH_6TensorESM_SM_EERKSM_lbbbEUlllE0_EEPmJS6_EEE10hipError_tPvRmT3_T4_T5_T6_T7_T9_mT8_P12ihipStream_tbDpT10_ENKUlT_T0_E_clISt17integral_constantIbLb0EES1B_IbLb1EEEEDaS17_S18_EUlS17_E_NS1_11comp_targetILNS1_3genE4ELNS1_11target_archE910ELNS1_3gpuE8ELNS1_3repE0EEENS1_30default_config_static_selectorELNS0_4arch9wavefront6targetE0EEEvT1_, .Lfunc_end345-_ZN7rocprim17ROCPRIM_400000_NS6detail17trampoline_kernelINS0_14default_configENS1_25partition_config_selectorILNS1_17partition_subalgoE8ElNS0_10empty_typeEbEEZZNS1_14partition_implILS5_8ELb0ES3_jPlPS6_PKS6_NS0_5tupleIJS9_S6_EEENSD_IJSA_SA_EEENS0_18inequality_wrapperIZN2at6native12_GLOBAL__N_124unique_dim_cuda_templateIaEESt5tupleIJNSH_6TensorESM_SM_EERKSM_lbbbEUlllE0_EEPmJS6_EEE10hipError_tPvRmT3_T4_T5_T6_T7_T9_mT8_P12ihipStream_tbDpT10_ENKUlT_T0_E_clISt17integral_constantIbLb0EES1B_IbLb1EEEEDaS17_S18_EUlS17_E_NS1_11comp_targetILNS1_3genE4ELNS1_11target_archE910ELNS1_3gpuE8ELNS1_3repE0EEENS1_30default_config_static_selectorELNS0_4arch9wavefront6targetE0EEEvT1_
                                        ; -- End function
	.section	.AMDGPU.csdata,"",@progbits
; Kernel info:
; codeLenInByte = 0
; NumSgprs: 0
; NumVgprs: 0
; ScratchSize: 0
; MemoryBound: 0
; FloatMode: 240
; IeeeMode: 1
; LDSByteSize: 0 bytes/workgroup (compile time only)
; SGPRBlocks: 0
; VGPRBlocks: 0
; NumSGPRsForWavesPerEU: 1
; NumVGPRsForWavesPerEU: 1
; Occupancy: 16
; WaveLimiterHint : 0
; COMPUTE_PGM_RSRC2:SCRATCH_EN: 0
; COMPUTE_PGM_RSRC2:USER_SGPR: 15
; COMPUTE_PGM_RSRC2:TRAP_HANDLER: 0
; COMPUTE_PGM_RSRC2:TGID_X_EN: 1
; COMPUTE_PGM_RSRC2:TGID_Y_EN: 0
; COMPUTE_PGM_RSRC2:TGID_Z_EN: 0
; COMPUTE_PGM_RSRC2:TIDIG_COMP_CNT: 0
	.section	.text._ZN7rocprim17ROCPRIM_400000_NS6detail17trampoline_kernelINS0_14default_configENS1_25partition_config_selectorILNS1_17partition_subalgoE8ElNS0_10empty_typeEbEEZZNS1_14partition_implILS5_8ELb0ES3_jPlPS6_PKS6_NS0_5tupleIJS9_S6_EEENSD_IJSA_SA_EEENS0_18inequality_wrapperIZN2at6native12_GLOBAL__N_124unique_dim_cuda_templateIaEESt5tupleIJNSH_6TensorESM_SM_EERKSM_lbbbEUlllE0_EEPmJS6_EEE10hipError_tPvRmT3_T4_T5_T6_T7_T9_mT8_P12ihipStream_tbDpT10_ENKUlT_T0_E_clISt17integral_constantIbLb0EES1B_IbLb1EEEEDaS17_S18_EUlS17_E_NS1_11comp_targetILNS1_3genE3ELNS1_11target_archE908ELNS1_3gpuE7ELNS1_3repE0EEENS1_30default_config_static_selectorELNS0_4arch9wavefront6targetE0EEEvT1_,"axG",@progbits,_ZN7rocprim17ROCPRIM_400000_NS6detail17trampoline_kernelINS0_14default_configENS1_25partition_config_selectorILNS1_17partition_subalgoE8ElNS0_10empty_typeEbEEZZNS1_14partition_implILS5_8ELb0ES3_jPlPS6_PKS6_NS0_5tupleIJS9_S6_EEENSD_IJSA_SA_EEENS0_18inequality_wrapperIZN2at6native12_GLOBAL__N_124unique_dim_cuda_templateIaEESt5tupleIJNSH_6TensorESM_SM_EERKSM_lbbbEUlllE0_EEPmJS6_EEE10hipError_tPvRmT3_T4_T5_T6_T7_T9_mT8_P12ihipStream_tbDpT10_ENKUlT_T0_E_clISt17integral_constantIbLb0EES1B_IbLb1EEEEDaS17_S18_EUlS17_E_NS1_11comp_targetILNS1_3genE3ELNS1_11target_archE908ELNS1_3gpuE7ELNS1_3repE0EEENS1_30default_config_static_selectorELNS0_4arch9wavefront6targetE0EEEvT1_,comdat
	.globl	_ZN7rocprim17ROCPRIM_400000_NS6detail17trampoline_kernelINS0_14default_configENS1_25partition_config_selectorILNS1_17partition_subalgoE8ElNS0_10empty_typeEbEEZZNS1_14partition_implILS5_8ELb0ES3_jPlPS6_PKS6_NS0_5tupleIJS9_S6_EEENSD_IJSA_SA_EEENS0_18inequality_wrapperIZN2at6native12_GLOBAL__N_124unique_dim_cuda_templateIaEESt5tupleIJNSH_6TensorESM_SM_EERKSM_lbbbEUlllE0_EEPmJS6_EEE10hipError_tPvRmT3_T4_T5_T6_T7_T9_mT8_P12ihipStream_tbDpT10_ENKUlT_T0_E_clISt17integral_constantIbLb0EES1B_IbLb1EEEEDaS17_S18_EUlS17_E_NS1_11comp_targetILNS1_3genE3ELNS1_11target_archE908ELNS1_3gpuE7ELNS1_3repE0EEENS1_30default_config_static_selectorELNS0_4arch9wavefront6targetE0EEEvT1_ ; -- Begin function _ZN7rocprim17ROCPRIM_400000_NS6detail17trampoline_kernelINS0_14default_configENS1_25partition_config_selectorILNS1_17partition_subalgoE8ElNS0_10empty_typeEbEEZZNS1_14partition_implILS5_8ELb0ES3_jPlPS6_PKS6_NS0_5tupleIJS9_S6_EEENSD_IJSA_SA_EEENS0_18inequality_wrapperIZN2at6native12_GLOBAL__N_124unique_dim_cuda_templateIaEESt5tupleIJNSH_6TensorESM_SM_EERKSM_lbbbEUlllE0_EEPmJS6_EEE10hipError_tPvRmT3_T4_T5_T6_T7_T9_mT8_P12ihipStream_tbDpT10_ENKUlT_T0_E_clISt17integral_constantIbLb0EES1B_IbLb1EEEEDaS17_S18_EUlS17_E_NS1_11comp_targetILNS1_3genE3ELNS1_11target_archE908ELNS1_3gpuE7ELNS1_3repE0EEENS1_30default_config_static_selectorELNS0_4arch9wavefront6targetE0EEEvT1_
	.p2align	8
	.type	_ZN7rocprim17ROCPRIM_400000_NS6detail17trampoline_kernelINS0_14default_configENS1_25partition_config_selectorILNS1_17partition_subalgoE8ElNS0_10empty_typeEbEEZZNS1_14partition_implILS5_8ELb0ES3_jPlPS6_PKS6_NS0_5tupleIJS9_S6_EEENSD_IJSA_SA_EEENS0_18inequality_wrapperIZN2at6native12_GLOBAL__N_124unique_dim_cuda_templateIaEESt5tupleIJNSH_6TensorESM_SM_EERKSM_lbbbEUlllE0_EEPmJS6_EEE10hipError_tPvRmT3_T4_T5_T6_T7_T9_mT8_P12ihipStream_tbDpT10_ENKUlT_T0_E_clISt17integral_constantIbLb0EES1B_IbLb1EEEEDaS17_S18_EUlS17_E_NS1_11comp_targetILNS1_3genE3ELNS1_11target_archE908ELNS1_3gpuE7ELNS1_3repE0EEENS1_30default_config_static_selectorELNS0_4arch9wavefront6targetE0EEEvT1_,@function
_ZN7rocprim17ROCPRIM_400000_NS6detail17trampoline_kernelINS0_14default_configENS1_25partition_config_selectorILNS1_17partition_subalgoE8ElNS0_10empty_typeEbEEZZNS1_14partition_implILS5_8ELb0ES3_jPlPS6_PKS6_NS0_5tupleIJS9_S6_EEENSD_IJSA_SA_EEENS0_18inequality_wrapperIZN2at6native12_GLOBAL__N_124unique_dim_cuda_templateIaEESt5tupleIJNSH_6TensorESM_SM_EERKSM_lbbbEUlllE0_EEPmJS6_EEE10hipError_tPvRmT3_T4_T5_T6_T7_T9_mT8_P12ihipStream_tbDpT10_ENKUlT_T0_E_clISt17integral_constantIbLb0EES1B_IbLb1EEEEDaS17_S18_EUlS17_E_NS1_11comp_targetILNS1_3genE3ELNS1_11target_archE908ELNS1_3gpuE7ELNS1_3repE0EEENS1_30default_config_static_selectorELNS0_4arch9wavefront6targetE0EEEvT1_: ; @_ZN7rocprim17ROCPRIM_400000_NS6detail17trampoline_kernelINS0_14default_configENS1_25partition_config_selectorILNS1_17partition_subalgoE8ElNS0_10empty_typeEbEEZZNS1_14partition_implILS5_8ELb0ES3_jPlPS6_PKS6_NS0_5tupleIJS9_S6_EEENSD_IJSA_SA_EEENS0_18inequality_wrapperIZN2at6native12_GLOBAL__N_124unique_dim_cuda_templateIaEESt5tupleIJNSH_6TensorESM_SM_EERKSM_lbbbEUlllE0_EEPmJS6_EEE10hipError_tPvRmT3_T4_T5_T6_T7_T9_mT8_P12ihipStream_tbDpT10_ENKUlT_T0_E_clISt17integral_constantIbLb0EES1B_IbLb1EEEEDaS17_S18_EUlS17_E_NS1_11comp_targetILNS1_3genE3ELNS1_11target_archE908ELNS1_3gpuE7ELNS1_3repE0EEENS1_30default_config_static_selectorELNS0_4arch9wavefront6targetE0EEEvT1_
; %bb.0:
	.section	.rodata,"a",@progbits
	.p2align	6, 0x0
	.amdhsa_kernel _ZN7rocprim17ROCPRIM_400000_NS6detail17trampoline_kernelINS0_14default_configENS1_25partition_config_selectorILNS1_17partition_subalgoE8ElNS0_10empty_typeEbEEZZNS1_14partition_implILS5_8ELb0ES3_jPlPS6_PKS6_NS0_5tupleIJS9_S6_EEENSD_IJSA_SA_EEENS0_18inequality_wrapperIZN2at6native12_GLOBAL__N_124unique_dim_cuda_templateIaEESt5tupleIJNSH_6TensorESM_SM_EERKSM_lbbbEUlllE0_EEPmJS6_EEE10hipError_tPvRmT3_T4_T5_T6_T7_T9_mT8_P12ihipStream_tbDpT10_ENKUlT_T0_E_clISt17integral_constantIbLb0EES1B_IbLb1EEEEDaS17_S18_EUlS17_E_NS1_11comp_targetILNS1_3genE3ELNS1_11target_archE908ELNS1_3gpuE7ELNS1_3repE0EEENS1_30default_config_static_selectorELNS0_4arch9wavefront6targetE0EEEvT1_
		.amdhsa_group_segment_fixed_size 0
		.amdhsa_private_segment_fixed_size 0
		.amdhsa_kernarg_size 136
		.amdhsa_user_sgpr_count 15
		.amdhsa_user_sgpr_dispatch_ptr 0
		.amdhsa_user_sgpr_queue_ptr 0
		.amdhsa_user_sgpr_kernarg_segment_ptr 1
		.amdhsa_user_sgpr_dispatch_id 0
		.amdhsa_user_sgpr_private_segment_size 0
		.amdhsa_wavefront_size32 1
		.amdhsa_uses_dynamic_stack 0
		.amdhsa_enable_private_segment 0
		.amdhsa_system_sgpr_workgroup_id_x 1
		.amdhsa_system_sgpr_workgroup_id_y 0
		.amdhsa_system_sgpr_workgroup_id_z 0
		.amdhsa_system_sgpr_workgroup_info 0
		.amdhsa_system_vgpr_workitem_id 0
		.amdhsa_next_free_vgpr 1
		.amdhsa_next_free_sgpr 1
		.amdhsa_reserve_vcc 0
		.amdhsa_float_round_mode_32 0
		.amdhsa_float_round_mode_16_64 0
		.amdhsa_float_denorm_mode_32 3
		.amdhsa_float_denorm_mode_16_64 3
		.amdhsa_dx10_clamp 1
		.amdhsa_ieee_mode 1
		.amdhsa_fp16_overflow 0
		.amdhsa_workgroup_processor_mode 1
		.amdhsa_memory_ordered 1
		.amdhsa_forward_progress 0
		.amdhsa_shared_vgpr_count 0
		.amdhsa_exception_fp_ieee_invalid_op 0
		.amdhsa_exception_fp_denorm_src 0
		.amdhsa_exception_fp_ieee_div_zero 0
		.amdhsa_exception_fp_ieee_overflow 0
		.amdhsa_exception_fp_ieee_underflow 0
		.amdhsa_exception_fp_ieee_inexact 0
		.amdhsa_exception_int_div_zero 0
	.end_amdhsa_kernel
	.section	.text._ZN7rocprim17ROCPRIM_400000_NS6detail17trampoline_kernelINS0_14default_configENS1_25partition_config_selectorILNS1_17partition_subalgoE8ElNS0_10empty_typeEbEEZZNS1_14partition_implILS5_8ELb0ES3_jPlPS6_PKS6_NS0_5tupleIJS9_S6_EEENSD_IJSA_SA_EEENS0_18inequality_wrapperIZN2at6native12_GLOBAL__N_124unique_dim_cuda_templateIaEESt5tupleIJNSH_6TensorESM_SM_EERKSM_lbbbEUlllE0_EEPmJS6_EEE10hipError_tPvRmT3_T4_T5_T6_T7_T9_mT8_P12ihipStream_tbDpT10_ENKUlT_T0_E_clISt17integral_constantIbLb0EES1B_IbLb1EEEEDaS17_S18_EUlS17_E_NS1_11comp_targetILNS1_3genE3ELNS1_11target_archE908ELNS1_3gpuE7ELNS1_3repE0EEENS1_30default_config_static_selectorELNS0_4arch9wavefront6targetE0EEEvT1_,"axG",@progbits,_ZN7rocprim17ROCPRIM_400000_NS6detail17trampoline_kernelINS0_14default_configENS1_25partition_config_selectorILNS1_17partition_subalgoE8ElNS0_10empty_typeEbEEZZNS1_14partition_implILS5_8ELb0ES3_jPlPS6_PKS6_NS0_5tupleIJS9_S6_EEENSD_IJSA_SA_EEENS0_18inequality_wrapperIZN2at6native12_GLOBAL__N_124unique_dim_cuda_templateIaEESt5tupleIJNSH_6TensorESM_SM_EERKSM_lbbbEUlllE0_EEPmJS6_EEE10hipError_tPvRmT3_T4_T5_T6_T7_T9_mT8_P12ihipStream_tbDpT10_ENKUlT_T0_E_clISt17integral_constantIbLb0EES1B_IbLb1EEEEDaS17_S18_EUlS17_E_NS1_11comp_targetILNS1_3genE3ELNS1_11target_archE908ELNS1_3gpuE7ELNS1_3repE0EEENS1_30default_config_static_selectorELNS0_4arch9wavefront6targetE0EEEvT1_,comdat
.Lfunc_end346:
	.size	_ZN7rocprim17ROCPRIM_400000_NS6detail17trampoline_kernelINS0_14default_configENS1_25partition_config_selectorILNS1_17partition_subalgoE8ElNS0_10empty_typeEbEEZZNS1_14partition_implILS5_8ELb0ES3_jPlPS6_PKS6_NS0_5tupleIJS9_S6_EEENSD_IJSA_SA_EEENS0_18inequality_wrapperIZN2at6native12_GLOBAL__N_124unique_dim_cuda_templateIaEESt5tupleIJNSH_6TensorESM_SM_EERKSM_lbbbEUlllE0_EEPmJS6_EEE10hipError_tPvRmT3_T4_T5_T6_T7_T9_mT8_P12ihipStream_tbDpT10_ENKUlT_T0_E_clISt17integral_constantIbLb0EES1B_IbLb1EEEEDaS17_S18_EUlS17_E_NS1_11comp_targetILNS1_3genE3ELNS1_11target_archE908ELNS1_3gpuE7ELNS1_3repE0EEENS1_30default_config_static_selectorELNS0_4arch9wavefront6targetE0EEEvT1_, .Lfunc_end346-_ZN7rocprim17ROCPRIM_400000_NS6detail17trampoline_kernelINS0_14default_configENS1_25partition_config_selectorILNS1_17partition_subalgoE8ElNS0_10empty_typeEbEEZZNS1_14partition_implILS5_8ELb0ES3_jPlPS6_PKS6_NS0_5tupleIJS9_S6_EEENSD_IJSA_SA_EEENS0_18inequality_wrapperIZN2at6native12_GLOBAL__N_124unique_dim_cuda_templateIaEESt5tupleIJNSH_6TensorESM_SM_EERKSM_lbbbEUlllE0_EEPmJS6_EEE10hipError_tPvRmT3_T4_T5_T6_T7_T9_mT8_P12ihipStream_tbDpT10_ENKUlT_T0_E_clISt17integral_constantIbLb0EES1B_IbLb1EEEEDaS17_S18_EUlS17_E_NS1_11comp_targetILNS1_3genE3ELNS1_11target_archE908ELNS1_3gpuE7ELNS1_3repE0EEENS1_30default_config_static_selectorELNS0_4arch9wavefront6targetE0EEEvT1_
                                        ; -- End function
	.section	.AMDGPU.csdata,"",@progbits
; Kernel info:
; codeLenInByte = 0
; NumSgprs: 0
; NumVgprs: 0
; ScratchSize: 0
; MemoryBound: 0
; FloatMode: 240
; IeeeMode: 1
; LDSByteSize: 0 bytes/workgroup (compile time only)
; SGPRBlocks: 0
; VGPRBlocks: 0
; NumSGPRsForWavesPerEU: 1
; NumVGPRsForWavesPerEU: 1
; Occupancy: 16
; WaveLimiterHint : 0
; COMPUTE_PGM_RSRC2:SCRATCH_EN: 0
; COMPUTE_PGM_RSRC2:USER_SGPR: 15
; COMPUTE_PGM_RSRC2:TRAP_HANDLER: 0
; COMPUTE_PGM_RSRC2:TGID_X_EN: 1
; COMPUTE_PGM_RSRC2:TGID_Y_EN: 0
; COMPUTE_PGM_RSRC2:TGID_Z_EN: 0
; COMPUTE_PGM_RSRC2:TIDIG_COMP_CNT: 0
	.section	.text._ZN7rocprim17ROCPRIM_400000_NS6detail17trampoline_kernelINS0_14default_configENS1_25partition_config_selectorILNS1_17partition_subalgoE8ElNS0_10empty_typeEbEEZZNS1_14partition_implILS5_8ELb0ES3_jPlPS6_PKS6_NS0_5tupleIJS9_S6_EEENSD_IJSA_SA_EEENS0_18inequality_wrapperIZN2at6native12_GLOBAL__N_124unique_dim_cuda_templateIaEESt5tupleIJNSH_6TensorESM_SM_EERKSM_lbbbEUlllE0_EEPmJS6_EEE10hipError_tPvRmT3_T4_T5_T6_T7_T9_mT8_P12ihipStream_tbDpT10_ENKUlT_T0_E_clISt17integral_constantIbLb0EES1B_IbLb1EEEEDaS17_S18_EUlS17_E_NS1_11comp_targetILNS1_3genE2ELNS1_11target_archE906ELNS1_3gpuE6ELNS1_3repE0EEENS1_30default_config_static_selectorELNS0_4arch9wavefront6targetE0EEEvT1_,"axG",@progbits,_ZN7rocprim17ROCPRIM_400000_NS6detail17trampoline_kernelINS0_14default_configENS1_25partition_config_selectorILNS1_17partition_subalgoE8ElNS0_10empty_typeEbEEZZNS1_14partition_implILS5_8ELb0ES3_jPlPS6_PKS6_NS0_5tupleIJS9_S6_EEENSD_IJSA_SA_EEENS0_18inequality_wrapperIZN2at6native12_GLOBAL__N_124unique_dim_cuda_templateIaEESt5tupleIJNSH_6TensorESM_SM_EERKSM_lbbbEUlllE0_EEPmJS6_EEE10hipError_tPvRmT3_T4_T5_T6_T7_T9_mT8_P12ihipStream_tbDpT10_ENKUlT_T0_E_clISt17integral_constantIbLb0EES1B_IbLb1EEEEDaS17_S18_EUlS17_E_NS1_11comp_targetILNS1_3genE2ELNS1_11target_archE906ELNS1_3gpuE6ELNS1_3repE0EEENS1_30default_config_static_selectorELNS0_4arch9wavefront6targetE0EEEvT1_,comdat
	.globl	_ZN7rocprim17ROCPRIM_400000_NS6detail17trampoline_kernelINS0_14default_configENS1_25partition_config_selectorILNS1_17partition_subalgoE8ElNS0_10empty_typeEbEEZZNS1_14partition_implILS5_8ELb0ES3_jPlPS6_PKS6_NS0_5tupleIJS9_S6_EEENSD_IJSA_SA_EEENS0_18inequality_wrapperIZN2at6native12_GLOBAL__N_124unique_dim_cuda_templateIaEESt5tupleIJNSH_6TensorESM_SM_EERKSM_lbbbEUlllE0_EEPmJS6_EEE10hipError_tPvRmT3_T4_T5_T6_T7_T9_mT8_P12ihipStream_tbDpT10_ENKUlT_T0_E_clISt17integral_constantIbLb0EES1B_IbLb1EEEEDaS17_S18_EUlS17_E_NS1_11comp_targetILNS1_3genE2ELNS1_11target_archE906ELNS1_3gpuE6ELNS1_3repE0EEENS1_30default_config_static_selectorELNS0_4arch9wavefront6targetE0EEEvT1_ ; -- Begin function _ZN7rocprim17ROCPRIM_400000_NS6detail17trampoline_kernelINS0_14default_configENS1_25partition_config_selectorILNS1_17partition_subalgoE8ElNS0_10empty_typeEbEEZZNS1_14partition_implILS5_8ELb0ES3_jPlPS6_PKS6_NS0_5tupleIJS9_S6_EEENSD_IJSA_SA_EEENS0_18inequality_wrapperIZN2at6native12_GLOBAL__N_124unique_dim_cuda_templateIaEESt5tupleIJNSH_6TensorESM_SM_EERKSM_lbbbEUlllE0_EEPmJS6_EEE10hipError_tPvRmT3_T4_T5_T6_T7_T9_mT8_P12ihipStream_tbDpT10_ENKUlT_T0_E_clISt17integral_constantIbLb0EES1B_IbLb1EEEEDaS17_S18_EUlS17_E_NS1_11comp_targetILNS1_3genE2ELNS1_11target_archE906ELNS1_3gpuE6ELNS1_3repE0EEENS1_30default_config_static_selectorELNS0_4arch9wavefront6targetE0EEEvT1_
	.p2align	8
	.type	_ZN7rocprim17ROCPRIM_400000_NS6detail17trampoline_kernelINS0_14default_configENS1_25partition_config_selectorILNS1_17partition_subalgoE8ElNS0_10empty_typeEbEEZZNS1_14partition_implILS5_8ELb0ES3_jPlPS6_PKS6_NS0_5tupleIJS9_S6_EEENSD_IJSA_SA_EEENS0_18inequality_wrapperIZN2at6native12_GLOBAL__N_124unique_dim_cuda_templateIaEESt5tupleIJNSH_6TensorESM_SM_EERKSM_lbbbEUlllE0_EEPmJS6_EEE10hipError_tPvRmT3_T4_T5_T6_T7_T9_mT8_P12ihipStream_tbDpT10_ENKUlT_T0_E_clISt17integral_constantIbLb0EES1B_IbLb1EEEEDaS17_S18_EUlS17_E_NS1_11comp_targetILNS1_3genE2ELNS1_11target_archE906ELNS1_3gpuE6ELNS1_3repE0EEENS1_30default_config_static_selectorELNS0_4arch9wavefront6targetE0EEEvT1_,@function
_ZN7rocprim17ROCPRIM_400000_NS6detail17trampoline_kernelINS0_14default_configENS1_25partition_config_selectorILNS1_17partition_subalgoE8ElNS0_10empty_typeEbEEZZNS1_14partition_implILS5_8ELb0ES3_jPlPS6_PKS6_NS0_5tupleIJS9_S6_EEENSD_IJSA_SA_EEENS0_18inequality_wrapperIZN2at6native12_GLOBAL__N_124unique_dim_cuda_templateIaEESt5tupleIJNSH_6TensorESM_SM_EERKSM_lbbbEUlllE0_EEPmJS6_EEE10hipError_tPvRmT3_T4_T5_T6_T7_T9_mT8_P12ihipStream_tbDpT10_ENKUlT_T0_E_clISt17integral_constantIbLb0EES1B_IbLb1EEEEDaS17_S18_EUlS17_E_NS1_11comp_targetILNS1_3genE2ELNS1_11target_archE906ELNS1_3gpuE6ELNS1_3repE0EEENS1_30default_config_static_selectorELNS0_4arch9wavefront6targetE0EEEvT1_: ; @_ZN7rocprim17ROCPRIM_400000_NS6detail17trampoline_kernelINS0_14default_configENS1_25partition_config_selectorILNS1_17partition_subalgoE8ElNS0_10empty_typeEbEEZZNS1_14partition_implILS5_8ELb0ES3_jPlPS6_PKS6_NS0_5tupleIJS9_S6_EEENSD_IJSA_SA_EEENS0_18inequality_wrapperIZN2at6native12_GLOBAL__N_124unique_dim_cuda_templateIaEESt5tupleIJNSH_6TensorESM_SM_EERKSM_lbbbEUlllE0_EEPmJS6_EEE10hipError_tPvRmT3_T4_T5_T6_T7_T9_mT8_P12ihipStream_tbDpT10_ENKUlT_T0_E_clISt17integral_constantIbLb0EES1B_IbLb1EEEEDaS17_S18_EUlS17_E_NS1_11comp_targetILNS1_3genE2ELNS1_11target_archE906ELNS1_3gpuE6ELNS1_3repE0EEENS1_30default_config_static_selectorELNS0_4arch9wavefront6targetE0EEEvT1_
; %bb.0:
	.section	.rodata,"a",@progbits
	.p2align	6, 0x0
	.amdhsa_kernel _ZN7rocprim17ROCPRIM_400000_NS6detail17trampoline_kernelINS0_14default_configENS1_25partition_config_selectorILNS1_17partition_subalgoE8ElNS0_10empty_typeEbEEZZNS1_14partition_implILS5_8ELb0ES3_jPlPS6_PKS6_NS0_5tupleIJS9_S6_EEENSD_IJSA_SA_EEENS0_18inequality_wrapperIZN2at6native12_GLOBAL__N_124unique_dim_cuda_templateIaEESt5tupleIJNSH_6TensorESM_SM_EERKSM_lbbbEUlllE0_EEPmJS6_EEE10hipError_tPvRmT3_T4_T5_T6_T7_T9_mT8_P12ihipStream_tbDpT10_ENKUlT_T0_E_clISt17integral_constantIbLb0EES1B_IbLb1EEEEDaS17_S18_EUlS17_E_NS1_11comp_targetILNS1_3genE2ELNS1_11target_archE906ELNS1_3gpuE6ELNS1_3repE0EEENS1_30default_config_static_selectorELNS0_4arch9wavefront6targetE0EEEvT1_
		.amdhsa_group_segment_fixed_size 0
		.amdhsa_private_segment_fixed_size 0
		.amdhsa_kernarg_size 136
		.amdhsa_user_sgpr_count 15
		.amdhsa_user_sgpr_dispatch_ptr 0
		.amdhsa_user_sgpr_queue_ptr 0
		.amdhsa_user_sgpr_kernarg_segment_ptr 1
		.amdhsa_user_sgpr_dispatch_id 0
		.amdhsa_user_sgpr_private_segment_size 0
		.amdhsa_wavefront_size32 1
		.amdhsa_uses_dynamic_stack 0
		.amdhsa_enable_private_segment 0
		.amdhsa_system_sgpr_workgroup_id_x 1
		.amdhsa_system_sgpr_workgroup_id_y 0
		.amdhsa_system_sgpr_workgroup_id_z 0
		.amdhsa_system_sgpr_workgroup_info 0
		.amdhsa_system_vgpr_workitem_id 0
		.amdhsa_next_free_vgpr 1
		.amdhsa_next_free_sgpr 1
		.amdhsa_reserve_vcc 0
		.amdhsa_float_round_mode_32 0
		.amdhsa_float_round_mode_16_64 0
		.amdhsa_float_denorm_mode_32 3
		.amdhsa_float_denorm_mode_16_64 3
		.amdhsa_dx10_clamp 1
		.amdhsa_ieee_mode 1
		.amdhsa_fp16_overflow 0
		.amdhsa_workgroup_processor_mode 1
		.amdhsa_memory_ordered 1
		.amdhsa_forward_progress 0
		.amdhsa_shared_vgpr_count 0
		.amdhsa_exception_fp_ieee_invalid_op 0
		.amdhsa_exception_fp_denorm_src 0
		.amdhsa_exception_fp_ieee_div_zero 0
		.amdhsa_exception_fp_ieee_overflow 0
		.amdhsa_exception_fp_ieee_underflow 0
		.amdhsa_exception_fp_ieee_inexact 0
		.amdhsa_exception_int_div_zero 0
	.end_amdhsa_kernel
	.section	.text._ZN7rocprim17ROCPRIM_400000_NS6detail17trampoline_kernelINS0_14default_configENS1_25partition_config_selectorILNS1_17partition_subalgoE8ElNS0_10empty_typeEbEEZZNS1_14partition_implILS5_8ELb0ES3_jPlPS6_PKS6_NS0_5tupleIJS9_S6_EEENSD_IJSA_SA_EEENS0_18inequality_wrapperIZN2at6native12_GLOBAL__N_124unique_dim_cuda_templateIaEESt5tupleIJNSH_6TensorESM_SM_EERKSM_lbbbEUlllE0_EEPmJS6_EEE10hipError_tPvRmT3_T4_T5_T6_T7_T9_mT8_P12ihipStream_tbDpT10_ENKUlT_T0_E_clISt17integral_constantIbLb0EES1B_IbLb1EEEEDaS17_S18_EUlS17_E_NS1_11comp_targetILNS1_3genE2ELNS1_11target_archE906ELNS1_3gpuE6ELNS1_3repE0EEENS1_30default_config_static_selectorELNS0_4arch9wavefront6targetE0EEEvT1_,"axG",@progbits,_ZN7rocprim17ROCPRIM_400000_NS6detail17trampoline_kernelINS0_14default_configENS1_25partition_config_selectorILNS1_17partition_subalgoE8ElNS0_10empty_typeEbEEZZNS1_14partition_implILS5_8ELb0ES3_jPlPS6_PKS6_NS0_5tupleIJS9_S6_EEENSD_IJSA_SA_EEENS0_18inequality_wrapperIZN2at6native12_GLOBAL__N_124unique_dim_cuda_templateIaEESt5tupleIJNSH_6TensorESM_SM_EERKSM_lbbbEUlllE0_EEPmJS6_EEE10hipError_tPvRmT3_T4_T5_T6_T7_T9_mT8_P12ihipStream_tbDpT10_ENKUlT_T0_E_clISt17integral_constantIbLb0EES1B_IbLb1EEEEDaS17_S18_EUlS17_E_NS1_11comp_targetILNS1_3genE2ELNS1_11target_archE906ELNS1_3gpuE6ELNS1_3repE0EEENS1_30default_config_static_selectorELNS0_4arch9wavefront6targetE0EEEvT1_,comdat
.Lfunc_end347:
	.size	_ZN7rocprim17ROCPRIM_400000_NS6detail17trampoline_kernelINS0_14default_configENS1_25partition_config_selectorILNS1_17partition_subalgoE8ElNS0_10empty_typeEbEEZZNS1_14partition_implILS5_8ELb0ES3_jPlPS6_PKS6_NS0_5tupleIJS9_S6_EEENSD_IJSA_SA_EEENS0_18inequality_wrapperIZN2at6native12_GLOBAL__N_124unique_dim_cuda_templateIaEESt5tupleIJNSH_6TensorESM_SM_EERKSM_lbbbEUlllE0_EEPmJS6_EEE10hipError_tPvRmT3_T4_T5_T6_T7_T9_mT8_P12ihipStream_tbDpT10_ENKUlT_T0_E_clISt17integral_constantIbLb0EES1B_IbLb1EEEEDaS17_S18_EUlS17_E_NS1_11comp_targetILNS1_3genE2ELNS1_11target_archE906ELNS1_3gpuE6ELNS1_3repE0EEENS1_30default_config_static_selectorELNS0_4arch9wavefront6targetE0EEEvT1_, .Lfunc_end347-_ZN7rocprim17ROCPRIM_400000_NS6detail17trampoline_kernelINS0_14default_configENS1_25partition_config_selectorILNS1_17partition_subalgoE8ElNS0_10empty_typeEbEEZZNS1_14partition_implILS5_8ELb0ES3_jPlPS6_PKS6_NS0_5tupleIJS9_S6_EEENSD_IJSA_SA_EEENS0_18inequality_wrapperIZN2at6native12_GLOBAL__N_124unique_dim_cuda_templateIaEESt5tupleIJNSH_6TensorESM_SM_EERKSM_lbbbEUlllE0_EEPmJS6_EEE10hipError_tPvRmT3_T4_T5_T6_T7_T9_mT8_P12ihipStream_tbDpT10_ENKUlT_T0_E_clISt17integral_constantIbLb0EES1B_IbLb1EEEEDaS17_S18_EUlS17_E_NS1_11comp_targetILNS1_3genE2ELNS1_11target_archE906ELNS1_3gpuE6ELNS1_3repE0EEENS1_30default_config_static_selectorELNS0_4arch9wavefront6targetE0EEEvT1_
                                        ; -- End function
	.section	.AMDGPU.csdata,"",@progbits
; Kernel info:
; codeLenInByte = 0
; NumSgprs: 0
; NumVgprs: 0
; ScratchSize: 0
; MemoryBound: 0
; FloatMode: 240
; IeeeMode: 1
; LDSByteSize: 0 bytes/workgroup (compile time only)
; SGPRBlocks: 0
; VGPRBlocks: 0
; NumSGPRsForWavesPerEU: 1
; NumVGPRsForWavesPerEU: 1
; Occupancy: 16
; WaveLimiterHint : 0
; COMPUTE_PGM_RSRC2:SCRATCH_EN: 0
; COMPUTE_PGM_RSRC2:USER_SGPR: 15
; COMPUTE_PGM_RSRC2:TRAP_HANDLER: 0
; COMPUTE_PGM_RSRC2:TGID_X_EN: 1
; COMPUTE_PGM_RSRC2:TGID_Y_EN: 0
; COMPUTE_PGM_RSRC2:TGID_Z_EN: 0
; COMPUTE_PGM_RSRC2:TIDIG_COMP_CNT: 0
	.section	.text._ZN7rocprim17ROCPRIM_400000_NS6detail17trampoline_kernelINS0_14default_configENS1_25partition_config_selectorILNS1_17partition_subalgoE8ElNS0_10empty_typeEbEEZZNS1_14partition_implILS5_8ELb0ES3_jPlPS6_PKS6_NS0_5tupleIJS9_S6_EEENSD_IJSA_SA_EEENS0_18inequality_wrapperIZN2at6native12_GLOBAL__N_124unique_dim_cuda_templateIaEESt5tupleIJNSH_6TensorESM_SM_EERKSM_lbbbEUlllE0_EEPmJS6_EEE10hipError_tPvRmT3_T4_T5_T6_T7_T9_mT8_P12ihipStream_tbDpT10_ENKUlT_T0_E_clISt17integral_constantIbLb0EES1B_IbLb1EEEEDaS17_S18_EUlS17_E_NS1_11comp_targetILNS1_3genE10ELNS1_11target_archE1200ELNS1_3gpuE4ELNS1_3repE0EEENS1_30default_config_static_selectorELNS0_4arch9wavefront6targetE0EEEvT1_,"axG",@progbits,_ZN7rocprim17ROCPRIM_400000_NS6detail17trampoline_kernelINS0_14default_configENS1_25partition_config_selectorILNS1_17partition_subalgoE8ElNS0_10empty_typeEbEEZZNS1_14partition_implILS5_8ELb0ES3_jPlPS6_PKS6_NS0_5tupleIJS9_S6_EEENSD_IJSA_SA_EEENS0_18inequality_wrapperIZN2at6native12_GLOBAL__N_124unique_dim_cuda_templateIaEESt5tupleIJNSH_6TensorESM_SM_EERKSM_lbbbEUlllE0_EEPmJS6_EEE10hipError_tPvRmT3_T4_T5_T6_T7_T9_mT8_P12ihipStream_tbDpT10_ENKUlT_T0_E_clISt17integral_constantIbLb0EES1B_IbLb1EEEEDaS17_S18_EUlS17_E_NS1_11comp_targetILNS1_3genE10ELNS1_11target_archE1200ELNS1_3gpuE4ELNS1_3repE0EEENS1_30default_config_static_selectorELNS0_4arch9wavefront6targetE0EEEvT1_,comdat
	.globl	_ZN7rocprim17ROCPRIM_400000_NS6detail17trampoline_kernelINS0_14default_configENS1_25partition_config_selectorILNS1_17partition_subalgoE8ElNS0_10empty_typeEbEEZZNS1_14partition_implILS5_8ELb0ES3_jPlPS6_PKS6_NS0_5tupleIJS9_S6_EEENSD_IJSA_SA_EEENS0_18inequality_wrapperIZN2at6native12_GLOBAL__N_124unique_dim_cuda_templateIaEESt5tupleIJNSH_6TensorESM_SM_EERKSM_lbbbEUlllE0_EEPmJS6_EEE10hipError_tPvRmT3_T4_T5_T6_T7_T9_mT8_P12ihipStream_tbDpT10_ENKUlT_T0_E_clISt17integral_constantIbLb0EES1B_IbLb1EEEEDaS17_S18_EUlS17_E_NS1_11comp_targetILNS1_3genE10ELNS1_11target_archE1200ELNS1_3gpuE4ELNS1_3repE0EEENS1_30default_config_static_selectorELNS0_4arch9wavefront6targetE0EEEvT1_ ; -- Begin function _ZN7rocprim17ROCPRIM_400000_NS6detail17trampoline_kernelINS0_14default_configENS1_25partition_config_selectorILNS1_17partition_subalgoE8ElNS0_10empty_typeEbEEZZNS1_14partition_implILS5_8ELb0ES3_jPlPS6_PKS6_NS0_5tupleIJS9_S6_EEENSD_IJSA_SA_EEENS0_18inequality_wrapperIZN2at6native12_GLOBAL__N_124unique_dim_cuda_templateIaEESt5tupleIJNSH_6TensorESM_SM_EERKSM_lbbbEUlllE0_EEPmJS6_EEE10hipError_tPvRmT3_T4_T5_T6_T7_T9_mT8_P12ihipStream_tbDpT10_ENKUlT_T0_E_clISt17integral_constantIbLb0EES1B_IbLb1EEEEDaS17_S18_EUlS17_E_NS1_11comp_targetILNS1_3genE10ELNS1_11target_archE1200ELNS1_3gpuE4ELNS1_3repE0EEENS1_30default_config_static_selectorELNS0_4arch9wavefront6targetE0EEEvT1_
	.p2align	8
	.type	_ZN7rocprim17ROCPRIM_400000_NS6detail17trampoline_kernelINS0_14default_configENS1_25partition_config_selectorILNS1_17partition_subalgoE8ElNS0_10empty_typeEbEEZZNS1_14partition_implILS5_8ELb0ES3_jPlPS6_PKS6_NS0_5tupleIJS9_S6_EEENSD_IJSA_SA_EEENS0_18inequality_wrapperIZN2at6native12_GLOBAL__N_124unique_dim_cuda_templateIaEESt5tupleIJNSH_6TensorESM_SM_EERKSM_lbbbEUlllE0_EEPmJS6_EEE10hipError_tPvRmT3_T4_T5_T6_T7_T9_mT8_P12ihipStream_tbDpT10_ENKUlT_T0_E_clISt17integral_constantIbLb0EES1B_IbLb1EEEEDaS17_S18_EUlS17_E_NS1_11comp_targetILNS1_3genE10ELNS1_11target_archE1200ELNS1_3gpuE4ELNS1_3repE0EEENS1_30default_config_static_selectorELNS0_4arch9wavefront6targetE0EEEvT1_,@function
_ZN7rocprim17ROCPRIM_400000_NS6detail17trampoline_kernelINS0_14default_configENS1_25partition_config_selectorILNS1_17partition_subalgoE8ElNS0_10empty_typeEbEEZZNS1_14partition_implILS5_8ELb0ES3_jPlPS6_PKS6_NS0_5tupleIJS9_S6_EEENSD_IJSA_SA_EEENS0_18inequality_wrapperIZN2at6native12_GLOBAL__N_124unique_dim_cuda_templateIaEESt5tupleIJNSH_6TensorESM_SM_EERKSM_lbbbEUlllE0_EEPmJS6_EEE10hipError_tPvRmT3_T4_T5_T6_T7_T9_mT8_P12ihipStream_tbDpT10_ENKUlT_T0_E_clISt17integral_constantIbLb0EES1B_IbLb1EEEEDaS17_S18_EUlS17_E_NS1_11comp_targetILNS1_3genE10ELNS1_11target_archE1200ELNS1_3gpuE4ELNS1_3repE0EEENS1_30default_config_static_selectorELNS0_4arch9wavefront6targetE0EEEvT1_: ; @_ZN7rocprim17ROCPRIM_400000_NS6detail17trampoline_kernelINS0_14default_configENS1_25partition_config_selectorILNS1_17partition_subalgoE8ElNS0_10empty_typeEbEEZZNS1_14partition_implILS5_8ELb0ES3_jPlPS6_PKS6_NS0_5tupleIJS9_S6_EEENSD_IJSA_SA_EEENS0_18inequality_wrapperIZN2at6native12_GLOBAL__N_124unique_dim_cuda_templateIaEESt5tupleIJNSH_6TensorESM_SM_EERKSM_lbbbEUlllE0_EEPmJS6_EEE10hipError_tPvRmT3_T4_T5_T6_T7_T9_mT8_P12ihipStream_tbDpT10_ENKUlT_T0_E_clISt17integral_constantIbLb0EES1B_IbLb1EEEEDaS17_S18_EUlS17_E_NS1_11comp_targetILNS1_3genE10ELNS1_11target_archE1200ELNS1_3gpuE4ELNS1_3repE0EEENS1_30default_config_static_selectorELNS0_4arch9wavefront6targetE0EEEvT1_
; %bb.0:
	.section	.rodata,"a",@progbits
	.p2align	6, 0x0
	.amdhsa_kernel _ZN7rocprim17ROCPRIM_400000_NS6detail17trampoline_kernelINS0_14default_configENS1_25partition_config_selectorILNS1_17partition_subalgoE8ElNS0_10empty_typeEbEEZZNS1_14partition_implILS5_8ELb0ES3_jPlPS6_PKS6_NS0_5tupleIJS9_S6_EEENSD_IJSA_SA_EEENS0_18inequality_wrapperIZN2at6native12_GLOBAL__N_124unique_dim_cuda_templateIaEESt5tupleIJNSH_6TensorESM_SM_EERKSM_lbbbEUlllE0_EEPmJS6_EEE10hipError_tPvRmT3_T4_T5_T6_T7_T9_mT8_P12ihipStream_tbDpT10_ENKUlT_T0_E_clISt17integral_constantIbLb0EES1B_IbLb1EEEEDaS17_S18_EUlS17_E_NS1_11comp_targetILNS1_3genE10ELNS1_11target_archE1200ELNS1_3gpuE4ELNS1_3repE0EEENS1_30default_config_static_selectorELNS0_4arch9wavefront6targetE0EEEvT1_
		.amdhsa_group_segment_fixed_size 0
		.amdhsa_private_segment_fixed_size 0
		.amdhsa_kernarg_size 136
		.amdhsa_user_sgpr_count 15
		.amdhsa_user_sgpr_dispatch_ptr 0
		.amdhsa_user_sgpr_queue_ptr 0
		.amdhsa_user_sgpr_kernarg_segment_ptr 1
		.amdhsa_user_sgpr_dispatch_id 0
		.amdhsa_user_sgpr_private_segment_size 0
		.amdhsa_wavefront_size32 1
		.amdhsa_uses_dynamic_stack 0
		.amdhsa_enable_private_segment 0
		.amdhsa_system_sgpr_workgroup_id_x 1
		.amdhsa_system_sgpr_workgroup_id_y 0
		.amdhsa_system_sgpr_workgroup_id_z 0
		.amdhsa_system_sgpr_workgroup_info 0
		.amdhsa_system_vgpr_workitem_id 0
		.amdhsa_next_free_vgpr 1
		.amdhsa_next_free_sgpr 1
		.amdhsa_reserve_vcc 0
		.amdhsa_float_round_mode_32 0
		.amdhsa_float_round_mode_16_64 0
		.amdhsa_float_denorm_mode_32 3
		.amdhsa_float_denorm_mode_16_64 3
		.amdhsa_dx10_clamp 1
		.amdhsa_ieee_mode 1
		.amdhsa_fp16_overflow 0
		.amdhsa_workgroup_processor_mode 1
		.amdhsa_memory_ordered 1
		.amdhsa_forward_progress 0
		.amdhsa_shared_vgpr_count 0
		.amdhsa_exception_fp_ieee_invalid_op 0
		.amdhsa_exception_fp_denorm_src 0
		.amdhsa_exception_fp_ieee_div_zero 0
		.amdhsa_exception_fp_ieee_overflow 0
		.amdhsa_exception_fp_ieee_underflow 0
		.amdhsa_exception_fp_ieee_inexact 0
		.amdhsa_exception_int_div_zero 0
	.end_amdhsa_kernel
	.section	.text._ZN7rocprim17ROCPRIM_400000_NS6detail17trampoline_kernelINS0_14default_configENS1_25partition_config_selectorILNS1_17partition_subalgoE8ElNS0_10empty_typeEbEEZZNS1_14partition_implILS5_8ELb0ES3_jPlPS6_PKS6_NS0_5tupleIJS9_S6_EEENSD_IJSA_SA_EEENS0_18inequality_wrapperIZN2at6native12_GLOBAL__N_124unique_dim_cuda_templateIaEESt5tupleIJNSH_6TensorESM_SM_EERKSM_lbbbEUlllE0_EEPmJS6_EEE10hipError_tPvRmT3_T4_T5_T6_T7_T9_mT8_P12ihipStream_tbDpT10_ENKUlT_T0_E_clISt17integral_constantIbLb0EES1B_IbLb1EEEEDaS17_S18_EUlS17_E_NS1_11comp_targetILNS1_3genE10ELNS1_11target_archE1200ELNS1_3gpuE4ELNS1_3repE0EEENS1_30default_config_static_selectorELNS0_4arch9wavefront6targetE0EEEvT1_,"axG",@progbits,_ZN7rocprim17ROCPRIM_400000_NS6detail17trampoline_kernelINS0_14default_configENS1_25partition_config_selectorILNS1_17partition_subalgoE8ElNS0_10empty_typeEbEEZZNS1_14partition_implILS5_8ELb0ES3_jPlPS6_PKS6_NS0_5tupleIJS9_S6_EEENSD_IJSA_SA_EEENS0_18inequality_wrapperIZN2at6native12_GLOBAL__N_124unique_dim_cuda_templateIaEESt5tupleIJNSH_6TensorESM_SM_EERKSM_lbbbEUlllE0_EEPmJS6_EEE10hipError_tPvRmT3_T4_T5_T6_T7_T9_mT8_P12ihipStream_tbDpT10_ENKUlT_T0_E_clISt17integral_constantIbLb0EES1B_IbLb1EEEEDaS17_S18_EUlS17_E_NS1_11comp_targetILNS1_3genE10ELNS1_11target_archE1200ELNS1_3gpuE4ELNS1_3repE0EEENS1_30default_config_static_selectorELNS0_4arch9wavefront6targetE0EEEvT1_,comdat
.Lfunc_end348:
	.size	_ZN7rocprim17ROCPRIM_400000_NS6detail17trampoline_kernelINS0_14default_configENS1_25partition_config_selectorILNS1_17partition_subalgoE8ElNS0_10empty_typeEbEEZZNS1_14partition_implILS5_8ELb0ES3_jPlPS6_PKS6_NS0_5tupleIJS9_S6_EEENSD_IJSA_SA_EEENS0_18inequality_wrapperIZN2at6native12_GLOBAL__N_124unique_dim_cuda_templateIaEESt5tupleIJNSH_6TensorESM_SM_EERKSM_lbbbEUlllE0_EEPmJS6_EEE10hipError_tPvRmT3_T4_T5_T6_T7_T9_mT8_P12ihipStream_tbDpT10_ENKUlT_T0_E_clISt17integral_constantIbLb0EES1B_IbLb1EEEEDaS17_S18_EUlS17_E_NS1_11comp_targetILNS1_3genE10ELNS1_11target_archE1200ELNS1_3gpuE4ELNS1_3repE0EEENS1_30default_config_static_selectorELNS0_4arch9wavefront6targetE0EEEvT1_, .Lfunc_end348-_ZN7rocprim17ROCPRIM_400000_NS6detail17trampoline_kernelINS0_14default_configENS1_25partition_config_selectorILNS1_17partition_subalgoE8ElNS0_10empty_typeEbEEZZNS1_14partition_implILS5_8ELb0ES3_jPlPS6_PKS6_NS0_5tupleIJS9_S6_EEENSD_IJSA_SA_EEENS0_18inequality_wrapperIZN2at6native12_GLOBAL__N_124unique_dim_cuda_templateIaEESt5tupleIJNSH_6TensorESM_SM_EERKSM_lbbbEUlllE0_EEPmJS6_EEE10hipError_tPvRmT3_T4_T5_T6_T7_T9_mT8_P12ihipStream_tbDpT10_ENKUlT_T0_E_clISt17integral_constantIbLb0EES1B_IbLb1EEEEDaS17_S18_EUlS17_E_NS1_11comp_targetILNS1_3genE10ELNS1_11target_archE1200ELNS1_3gpuE4ELNS1_3repE0EEENS1_30default_config_static_selectorELNS0_4arch9wavefront6targetE0EEEvT1_
                                        ; -- End function
	.section	.AMDGPU.csdata,"",@progbits
; Kernel info:
; codeLenInByte = 0
; NumSgprs: 0
; NumVgprs: 0
; ScratchSize: 0
; MemoryBound: 0
; FloatMode: 240
; IeeeMode: 1
; LDSByteSize: 0 bytes/workgroup (compile time only)
; SGPRBlocks: 0
; VGPRBlocks: 0
; NumSGPRsForWavesPerEU: 1
; NumVGPRsForWavesPerEU: 1
; Occupancy: 15
; WaveLimiterHint : 0
; COMPUTE_PGM_RSRC2:SCRATCH_EN: 0
; COMPUTE_PGM_RSRC2:USER_SGPR: 15
; COMPUTE_PGM_RSRC2:TRAP_HANDLER: 0
; COMPUTE_PGM_RSRC2:TGID_X_EN: 1
; COMPUTE_PGM_RSRC2:TGID_Y_EN: 0
; COMPUTE_PGM_RSRC2:TGID_Z_EN: 0
; COMPUTE_PGM_RSRC2:TIDIG_COMP_CNT: 0
	.section	.text._ZN7rocprim17ROCPRIM_400000_NS6detail17trampoline_kernelINS0_14default_configENS1_25partition_config_selectorILNS1_17partition_subalgoE8ElNS0_10empty_typeEbEEZZNS1_14partition_implILS5_8ELb0ES3_jPlPS6_PKS6_NS0_5tupleIJS9_S6_EEENSD_IJSA_SA_EEENS0_18inequality_wrapperIZN2at6native12_GLOBAL__N_124unique_dim_cuda_templateIaEESt5tupleIJNSH_6TensorESM_SM_EERKSM_lbbbEUlllE0_EEPmJS6_EEE10hipError_tPvRmT3_T4_T5_T6_T7_T9_mT8_P12ihipStream_tbDpT10_ENKUlT_T0_E_clISt17integral_constantIbLb0EES1B_IbLb1EEEEDaS17_S18_EUlS17_E_NS1_11comp_targetILNS1_3genE9ELNS1_11target_archE1100ELNS1_3gpuE3ELNS1_3repE0EEENS1_30default_config_static_selectorELNS0_4arch9wavefront6targetE0EEEvT1_,"axG",@progbits,_ZN7rocprim17ROCPRIM_400000_NS6detail17trampoline_kernelINS0_14default_configENS1_25partition_config_selectorILNS1_17partition_subalgoE8ElNS0_10empty_typeEbEEZZNS1_14partition_implILS5_8ELb0ES3_jPlPS6_PKS6_NS0_5tupleIJS9_S6_EEENSD_IJSA_SA_EEENS0_18inequality_wrapperIZN2at6native12_GLOBAL__N_124unique_dim_cuda_templateIaEESt5tupleIJNSH_6TensorESM_SM_EERKSM_lbbbEUlllE0_EEPmJS6_EEE10hipError_tPvRmT3_T4_T5_T6_T7_T9_mT8_P12ihipStream_tbDpT10_ENKUlT_T0_E_clISt17integral_constantIbLb0EES1B_IbLb1EEEEDaS17_S18_EUlS17_E_NS1_11comp_targetILNS1_3genE9ELNS1_11target_archE1100ELNS1_3gpuE3ELNS1_3repE0EEENS1_30default_config_static_selectorELNS0_4arch9wavefront6targetE0EEEvT1_,comdat
	.globl	_ZN7rocprim17ROCPRIM_400000_NS6detail17trampoline_kernelINS0_14default_configENS1_25partition_config_selectorILNS1_17partition_subalgoE8ElNS0_10empty_typeEbEEZZNS1_14partition_implILS5_8ELb0ES3_jPlPS6_PKS6_NS0_5tupleIJS9_S6_EEENSD_IJSA_SA_EEENS0_18inequality_wrapperIZN2at6native12_GLOBAL__N_124unique_dim_cuda_templateIaEESt5tupleIJNSH_6TensorESM_SM_EERKSM_lbbbEUlllE0_EEPmJS6_EEE10hipError_tPvRmT3_T4_T5_T6_T7_T9_mT8_P12ihipStream_tbDpT10_ENKUlT_T0_E_clISt17integral_constantIbLb0EES1B_IbLb1EEEEDaS17_S18_EUlS17_E_NS1_11comp_targetILNS1_3genE9ELNS1_11target_archE1100ELNS1_3gpuE3ELNS1_3repE0EEENS1_30default_config_static_selectorELNS0_4arch9wavefront6targetE0EEEvT1_ ; -- Begin function _ZN7rocprim17ROCPRIM_400000_NS6detail17trampoline_kernelINS0_14default_configENS1_25partition_config_selectorILNS1_17partition_subalgoE8ElNS0_10empty_typeEbEEZZNS1_14partition_implILS5_8ELb0ES3_jPlPS6_PKS6_NS0_5tupleIJS9_S6_EEENSD_IJSA_SA_EEENS0_18inequality_wrapperIZN2at6native12_GLOBAL__N_124unique_dim_cuda_templateIaEESt5tupleIJNSH_6TensorESM_SM_EERKSM_lbbbEUlllE0_EEPmJS6_EEE10hipError_tPvRmT3_T4_T5_T6_T7_T9_mT8_P12ihipStream_tbDpT10_ENKUlT_T0_E_clISt17integral_constantIbLb0EES1B_IbLb1EEEEDaS17_S18_EUlS17_E_NS1_11comp_targetILNS1_3genE9ELNS1_11target_archE1100ELNS1_3gpuE3ELNS1_3repE0EEENS1_30default_config_static_selectorELNS0_4arch9wavefront6targetE0EEEvT1_
	.p2align	8
	.type	_ZN7rocprim17ROCPRIM_400000_NS6detail17trampoline_kernelINS0_14default_configENS1_25partition_config_selectorILNS1_17partition_subalgoE8ElNS0_10empty_typeEbEEZZNS1_14partition_implILS5_8ELb0ES3_jPlPS6_PKS6_NS0_5tupleIJS9_S6_EEENSD_IJSA_SA_EEENS0_18inequality_wrapperIZN2at6native12_GLOBAL__N_124unique_dim_cuda_templateIaEESt5tupleIJNSH_6TensorESM_SM_EERKSM_lbbbEUlllE0_EEPmJS6_EEE10hipError_tPvRmT3_T4_T5_T6_T7_T9_mT8_P12ihipStream_tbDpT10_ENKUlT_T0_E_clISt17integral_constantIbLb0EES1B_IbLb1EEEEDaS17_S18_EUlS17_E_NS1_11comp_targetILNS1_3genE9ELNS1_11target_archE1100ELNS1_3gpuE3ELNS1_3repE0EEENS1_30default_config_static_selectorELNS0_4arch9wavefront6targetE0EEEvT1_,@function
_ZN7rocprim17ROCPRIM_400000_NS6detail17trampoline_kernelINS0_14default_configENS1_25partition_config_selectorILNS1_17partition_subalgoE8ElNS0_10empty_typeEbEEZZNS1_14partition_implILS5_8ELb0ES3_jPlPS6_PKS6_NS0_5tupleIJS9_S6_EEENSD_IJSA_SA_EEENS0_18inequality_wrapperIZN2at6native12_GLOBAL__N_124unique_dim_cuda_templateIaEESt5tupleIJNSH_6TensorESM_SM_EERKSM_lbbbEUlllE0_EEPmJS6_EEE10hipError_tPvRmT3_T4_T5_T6_T7_T9_mT8_P12ihipStream_tbDpT10_ENKUlT_T0_E_clISt17integral_constantIbLb0EES1B_IbLb1EEEEDaS17_S18_EUlS17_E_NS1_11comp_targetILNS1_3genE9ELNS1_11target_archE1100ELNS1_3gpuE3ELNS1_3repE0EEENS1_30default_config_static_selectorELNS0_4arch9wavefront6targetE0EEEvT1_: ; @_ZN7rocprim17ROCPRIM_400000_NS6detail17trampoline_kernelINS0_14default_configENS1_25partition_config_selectorILNS1_17partition_subalgoE8ElNS0_10empty_typeEbEEZZNS1_14partition_implILS5_8ELb0ES3_jPlPS6_PKS6_NS0_5tupleIJS9_S6_EEENSD_IJSA_SA_EEENS0_18inequality_wrapperIZN2at6native12_GLOBAL__N_124unique_dim_cuda_templateIaEESt5tupleIJNSH_6TensorESM_SM_EERKSM_lbbbEUlllE0_EEPmJS6_EEE10hipError_tPvRmT3_T4_T5_T6_T7_T9_mT8_P12ihipStream_tbDpT10_ENKUlT_T0_E_clISt17integral_constantIbLb0EES1B_IbLb1EEEEDaS17_S18_EUlS17_E_NS1_11comp_targetILNS1_3genE9ELNS1_11target_archE1100ELNS1_3gpuE3ELNS1_3repE0EEENS1_30default_config_static_selectorELNS0_4arch9wavefront6targetE0EEEvT1_
; %bb.0:
	s_clause 0x2
	s_load_b64 s[20:21], s[0:1], 0x28
	s_load_b256 s[8:15], s[0:1], 0x40
	s_load_b128 s[16:19], s[0:1], 0x60
	v_cmp_ne_u32_e64 s3, 0, v0
	v_cmp_eq_u32_e64 s2, 0, v0
	s_delay_alu instid0(VALU_DEP_1)
	s_and_saveexec_b32 s4, s2
	s_cbranch_execz .LBB349_4
; %bb.1:
	s_mov_b32 s6, exec_lo
	s_mov_b32 s5, exec_lo
	v_mbcnt_lo_u32_b32 v1, s6, 0
                                        ; implicit-def: $vgpr2
	s_delay_alu instid0(VALU_DEP_1)
	v_cmpx_eq_u32_e32 0, v1
	s_cbranch_execz .LBB349_3
; %bb.2:
	s_load_b64 s[22:23], s[0:1], 0x78
	s_bcnt1_i32_b32 s6, s6
	s_delay_alu instid0(SALU_CYCLE_1)
	v_dual_mov_b32 v2, 0 :: v_dual_mov_b32 v3, s6
	s_waitcnt lgkmcnt(0)
	global_atomic_add_u32 v2, v2, v3, s[22:23] glc
.LBB349_3:
	s_or_b32 exec_lo, exec_lo, s5
	s_waitcnt vmcnt(0)
	v_readfirstlane_b32 s5, v2
	s_delay_alu instid0(VALU_DEP_1)
	v_dual_mov_b32 v2, 0 :: v_dual_add_nc_u32 v1, s5, v1
	ds_store_b32 v2, v1
.LBB349_4:
	s_or_b32 exec_lo, exec_lo, s4
	v_dual_mov_b32 v2, 0 :: v_dual_lshlrev_b32 v39, 3, v0
	s_clause 0x1
	s_load_b128 s[4:7], s[0:1], 0x8
	s_load_b32 s0, s[0:1], 0x70
	s_waitcnt lgkmcnt(0)
	s_barrier
	buffer_gl0_inv
	ds_load_b32 v1, v2
	s_waitcnt lgkmcnt(0)
	s_barrier
	buffer_gl0_inv
	global_load_b64 v[3:4], v2, s[10:11]
	v_lshrrev_b32_e32 v19, 2, v0
	v_or_b32_e32 v26, 0x200, v0
	v_or_b32_e32 v25, 0x400, v0
	v_or_b32_e32 v24, 0x600, v0
	v_or_b32_e32 v23, 0x800, v0
	v_or_b32_e32 v22, 0xa00, v0
	v_or_b32_e32 v21, 0xc00, v0
	v_or_b32_e32 v20, 0xe00, v0
	s_lshl_b64 s[10:11], s[6:7], 3
	s_delay_alu instid0(SALU_CYCLE_1)
	s_add_u32 s1, s4, s10
	s_addc_u32 s10, s5, s11
	s_add_i32 s11, s0, -1
	v_readfirstlane_b32 s23, v1
	s_lshl_b32 s4, s11, 12
	v_lshlrev_b32_e32 v1, 12, v1
	s_lshl_b32 s5, s0, 12
	s_add_i32 s0, s6, s4
	s_add_u32 s4, s6, s5
	s_addc_u32 s5, s7, 0
	v_lshlrev_b64 v[1:2], 3, v[1:2]
	v_cmp_ge_u64_e64 s4, s[4:5], s[12:13]
	s_cmp_eq_u32 s23, s11
	s_cselect_b32 s13, -1, 0
	s_delay_alu instid0(VALU_DEP_2) | instskip(NEXT) | instid1(VALU_DEP_2)
	v_add_co_u32 v17, vcc_lo, s1, v1
	s_and_b32 s24, s4, s13
	v_add_co_ci_u32_e32 v18, vcc_lo, s10, v2, vcc_lo
	s_xor_b32 s22, s24, -1
	s_mov_b32 s1, -1
	s_and_b32 vcc_lo, exec_lo, s22
	s_waitcnt vmcnt(0)
	v_readfirstlane_b32 s10, v3
	v_readfirstlane_b32 s11, v4
	s_cbranch_vccz .LBB349_6
; %bb.5:
	v_add_co_u32 v9, vcc_lo, v17, v39
	v_add_co_ci_u32_e32 v10, vcc_lo, 0, v18, vcc_lo
	v_readfirstlane_b32 s4, v17
	s_delay_alu instid0(VALU_DEP_3) | instskip(NEXT) | instid1(VALU_DEP_3)
	v_add_co_u32 v3, vcc_lo, v9, 0x2000
	v_add_co_ci_u32_e32 v4, vcc_lo, 0, v10, vcc_lo
	v_add_co_u32 v5, vcc_lo, v9, 0x4000
	v_add_co_ci_u32_e32 v6, vcc_lo, 0, v10, vcc_lo
	v_add_co_u32 v7, vcc_lo, v9, 0x6000
	v_readfirstlane_b32 s5, v18
	v_add_co_ci_u32_e32 v8, vcc_lo, 0, v10, vcc_lo
	v_add_co_u32 v9, vcc_lo, 0x7000, v9
	v_add_co_ci_u32_e32 v10, vcc_lo, 0, v10, vcc_lo
	s_clause 0x7
	global_load_b64 v[1:2], v39, s[4:5]
	global_load_b64 v[11:12], v[3:4], off offset:-4096
	global_load_b64 v[3:4], v[3:4], off
	global_load_b64 v[13:14], v[5:6], off offset:-4096
	global_load_b64 v[5:6], v[5:6], off
	;; [unrolled: 2-line block ×3, first 2 shown]
	global_load_b64 v[9:10], v[9:10], off
	v_lshrrev_b32_e32 v28, 2, v26
	v_lshrrev_b32_e32 v29, 2, v25
	;; [unrolled: 1-line block ×4, first 2 shown]
	v_and_b32_e32 v27, 0x78, v19
	v_lshrrev_b32_e32 v32, 2, v22
	v_lshrrev_b32_e32 v33, 2, v21
	;; [unrolled: 1-line block ×3, first 2 shown]
	v_and_b32_e32 v28, 0xf8, v28
	v_and_b32_e32 v29, 0x178, v29
	;; [unrolled: 1-line block ×4, first 2 shown]
	v_add_nc_u32_e32 v27, v27, v39
	v_and_b32_e32 v32, 0x2f8, v32
	v_and_b32_e32 v33, 0x378, v33
	;; [unrolled: 1-line block ×3, first 2 shown]
	v_add_nc_u32_e32 v28, v28, v39
	v_add_nc_u32_e32 v29, v29, v39
	;; [unrolled: 1-line block ×4, first 2 shown]
	s_mov_b32 s1, 0
	v_add_nc_u32_e32 v32, v32, v39
	v_add_nc_u32_e32 v33, v33, v39
	;; [unrolled: 1-line block ×3, first 2 shown]
	s_waitcnt vmcnt(7)
	ds_store_b64 v27, v[1:2]
	s_waitcnt vmcnt(6)
	ds_store_b64 v28, v[11:12] offset:4096
	s_waitcnt vmcnt(5)
	ds_store_b64 v29, v[3:4] offset:8192
	;; [unrolled: 2-line block ×7, first 2 shown]
	s_waitcnt lgkmcnt(0)
	s_barrier
.LBB349_6:
	s_and_not1_b32 vcc_lo, exec_lo, s1
	s_sub_i32 s12, s12, s0
	s_cbranch_vccnz .LBB349_17
; %bb.7:
	s_mov_b32 s0, exec_lo
                                        ; implicit-def: $vgpr1_vgpr2_vgpr3_vgpr4_vgpr5_vgpr6_vgpr7_vgpr8_vgpr9_vgpr10_vgpr11_vgpr12_vgpr13_vgpr14_vgpr15_vgpr16
	v_cmpx_gt_u32_e64 s12, v0
	s_cbranch_execnz .LBB349_27
; %bb.8:
	s_or_b32 exec_lo, exec_lo, s0
	s_delay_alu instid0(SALU_CYCLE_1)
	s_mov_b32 s0, exec_lo
	v_cmpx_gt_u32_e64 s12, v26
	s_cbranch_execnz .LBB349_28
.LBB349_9:
	s_or_b32 exec_lo, exec_lo, s0
	s_delay_alu instid0(SALU_CYCLE_1)
	s_mov_b32 s0, exec_lo
	v_cmpx_gt_u32_e64 s12, v25
	s_cbranch_execnz .LBB349_29
.LBB349_10:
	s_or_b32 exec_lo, exec_lo, s0
	s_delay_alu instid0(SALU_CYCLE_1)
	s_mov_b32 s0, exec_lo
	v_cmpx_gt_u32_e64 s12, v24
	s_cbranch_execnz .LBB349_30
.LBB349_11:
	s_or_b32 exec_lo, exec_lo, s0
	s_delay_alu instid0(SALU_CYCLE_1)
	s_mov_b32 s0, exec_lo
	v_cmpx_gt_u32_e64 s12, v23
	s_cbranch_execnz .LBB349_31
.LBB349_12:
	s_or_b32 exec_lo, exec_lo, s0
	s_delay_alu instid0(SALU_CYCLE_1)
	s_mov_b32 s0, exec_lo
	v_cmpx_gt_u32_e64 s12, v22
	s_cbranch_execnz .LBB349_32
.LBB349_13:
	s_or_b32 exec_lo, exec_lo, s0
	s_delay_alu instid0(SALU_CYCLE_1)
	s_mov_b32 s0, exec_lo
	v_cmpx_gt_u32_e64 s12, v21
	s_cbranch_execnz .LBB349_33
.LBB349_14:
	s_or_b32 exec_lo, exec_lo, s0
	s_delay_alu instid0(SALU_CYCLE_1)
	s_mov_b32 s0, exec_lo
	v_cmpx_gt_u32_e64 s12, v20
	s_cbranch_execz .LBB349_16
.LBB349_15:
	v_lshlrev_b32_e32 v15, 3, v20
	v_readfirstlane_b32 s4, v17
	v_readfirstlane_b32 s5, v18
	global_load_b64 v[15:16], v15, s[4:5]
.LBB349_16:
	s_or_b32 exec_lo, exec_lo, s0
	v_lshrrev_b32_e32 v26, 2, v26
	v_lshrrev_b32_e32 v25, 2, v25
	;; [unrolled: 1-line block ×4, first 2 shown]
	v_and_b32_e32 v27, 0x78, v19
	v_lshrrev_b32_e32 v22, 2, v22
	v_lshrrev_b32_e32 v21, 2, v21
	v_lshrrev_b32_e32 v20, 2, v20
	v_and_b32_e32 v26, 0xf8, v26
	v_and_b32_e32 v25, 0x1f8, v25
	;; [unrolled: 1-line block ×4, first 2 shown]
	v_add_nc_u32_e32 v27, v27, v39
	v_and_b32_e32 v22, 0x3f8, v22
	v_and_b32_e32 v21, 0x3f8, v21
	;; [unrolled: 1-line block ×3, first 2 shown]
	v_add_nc_u32_e32 v26, v26, v39
	v_add_nc_u32_e32 v25, v25, v39
	;; [unrolled: 1-line block ×7, first 2 shown]
	s_waitcnt vmcnt(0)
	ds_store_b64 v27, v[1:2]
	ds_store_b64 v26, v[3:4] offset:4096
	ds_store_b64 v25, v[5:6] offset:8192
	;; [unrolled: 1-line block ×7, first 2 shown]
	s_waitcnt lgkmcnt(0)
	s_barrier
.LBB349_17:
	v_add_lshl_u32 v1, v19, v39, 3
	buffer_gl0_inv
	s_cmp_lg_u32 s23, 0
	ds_load_2addr_b64 v[13:16], v1 offset1:1
	ds_load_2addr_b64 v[9:12], v1 offset0:2 offset1:3
	ds_load_2addr_b64 v[5:8], v1 offset0:4 offset1:5
	;; [unrolled: 1-line block ×3, first 2 shown]
	s_cselect_b32 s25, -1, 0
	s_cmp_lg_u64 s[6:7], 0
	v_cmp_gt_i64_e64 s7, s[14:15], 0
	s_cselect_b32 s0, -1, 0
	s_mov_b32 s6, 0
	s_or_b32 s0, s0, s25
	s_waitcnt lgkmcnt(0)
	s_and_b32 vcc_lo, exec_lo, s0
	s_barrier
	buffer_gl0_inv
	s_cbranch_vccz .LBB349_26
; %bb.18:
	global_load_b64 v[17:18], v[17:18], off offset:-8
	v_cndmask_b32_e64 v26, 0, 1, s7
	s_and_b32 vcc_lo, exec_lo, s22
	ds_store_b64 v39, v[3:4]
	v_cmp_ne_u32_e64 s0, 1, v26
	s_cbranch_vccz .LBB349_34
; %bb.19:
	v_mul_lo_u32 v21, v2, s14
	v_mul_lo_u32 v22, v1, s15
	v_mad_u64_u32 v[19:20], null, v1, s14, 0
	s_and_b32 vcc_lo, exec_lo, s0
	s_mov_b32 s26, 0
	s_delay_alu instid0(VALU_DEP_1)
	v_add3_u32 v27, v20, v22, v21
	s_cbranch_vccnz .LBB349_37
; %bb.20:
	v_mad_u64_u32 v[20:21], null, v3, s14, s[16:17]
	v_mul_lo_u32 v24, v3, s15
	v_mul_lo_u32 v25, v4, s14
	v_add_co_u32 v22, vcc_lo, s16, v19
	v_add_co_ci_u32_e32 v23, vcc_lo, s17, v27, vcc_lo
	s_mov_b32 s26, -1
	s_mov_b32 s27, exec_lo
	s_delay_alu instid0(VALU_DEP_3)
	v_add3_u32 v21, v25, v21, v24
	s_clause 0x1
	global_load_u8 v24, v[22:23], off
	global_load_u8 v25, v[20:21], off
	s_waitcnt vmcnt(0)
	v_cmpx_eq_u16_e64 v24, v25
	s_cbranch_execz .LBB349_36
; %bb.21:
	s_mov_b64 s[0:1], 1
	s_mov_b32 s26, 0
                                        ; implicit-def: $sgpr28
	s_set_inst_prefetch_distance 0x1
	s_branch .LBB349_24
	.p2align	6
.LBB349_22:                             ;   in Loop: Header=BB349_24 Depth=1
	v_add_co_u32 v24, vcc_lo, v22, s0
	v_add_co_ci_u32_e32 v25, vcc_lo, s1, v23, vcc_lo
	v_add_co_u32 v28, vcc_lo, v20, s0
	v_add_co_ci_u32_e32 v29, vcc_lo, s1, v21, vcc_lo
	s_add_u32 s4, s0, 1
	s_clause 0x1
	global_load_u8 v24, v[24:25], off
	global_load_u8 v25, v[28:29], off
	s_addc_u32 s5, s1, 0
	s_and_not1_b32 s28, s28, exec_lo
	s_waitcnt vmcnt(0)
	v_cmp_ne_u16_e32 vcc_lo, v24, v25
	s_and_b32 s29, vcc_lo, exec_lo
	s_delay_alu instid0(SALU_CYCLE_1)
	s_or_b32 s28, s28, s29
.LBB349_23:                             ;   in Loop: Header=BB349_24 Depth=1
	v_dual_mov_b32 v25, s1 :: v_dual_mov_b32 v24, s0
	s_and_b32 s29, exec_lo, s28
	s_mov_b64 s[0:1], s[4:5]
	s_or_b32 s26, s29, s26
	s_delay_alu instid0(SALU_CYCLE_1)
	s_and_not1_b32 exec_lo, exec_lo, s26
	s_cbranch_execz .LBB349_35
.LBB349_24:                             ; =>This Inner Loop Header: Depth=1
	s_or_b32 s28, s28, exec_lo
	s_cmp_eq_u64 s[14:15], s[0:1]
	s_cbranch_scc0 .LBB349_22
; %bb.25:                               ;   in Loop: Header=BB349_24 Depth=1
	s_mov_b64 s[0:1], s[14:15]
                                        ; implicit-def: $sgpr4_sgpr5
	s_branch .LBB349_23
.LBB349_26:
                                        ; implicit-def: $sgpr0
                                        ; implicit-def: $vgpr20
	s_branch .LBB349_195
.LBB349_27:
	v_readfirstlane_b32 s4, v17
	v_readfirstlane_b32 s5, v18
	global_load_b64 v[1:2], v39, s[4:5]
	s_or_b32 exec_lo, exec_lo, s0
	s_delay_alu instid0(SALU_CYCLE_1)
	s_mov_b32 s0, exec_lo
	v_cmpx_gt_u32_e64 s12, v26
	s_cbranch_execz .LBB349_9
.LBB349_28:
	v_lshlrev_b32_e32 v3, 3, v26
	v_readfirstlane_b32 s4, v17
	v_readfirstlane_b32 s5, v18
	global_load_b64 v[3:4], v3, s[4:5]
	s_or_b32 exec_lo, exec_lo, s0
	s_delay_alu instid0(SALU_CYCLE_1)
	s_mov_b32 s0, exec_lo
	v_cmpx_gt_u32_e64 s12, v25
	s_cbranch_execz .LBB349_10
.LBB349_29:
	v_lshlrev_b32_e32 v5, 3, v25
	v_readfirstlane_b32 s4, v17
	v_readfirstlane_b32 s5, v18
	global_load_b64 v[5:6], v5, s[4:5]
	s_or_b32 exec_lo, exec_lo, s0
	s_delay_alu instid0(SALU_CYCLE_1)
	s_mov_b32 s0, exec_lo
	v_cmpx_gt_u32_e64 s12, v24
	s_cbranch_execz .LBB349_11
.LBB349_30:
	v_lshlrev_b32_e32 v7, 3, v24
	v_readfirstlane_b32 s4, v17
	v_readfirstlane_b32 s5, v18
	global_load_b64 v[7:8], v7, s[4:5]
	s_or_b32 exec_lo, exec_lo, s0
	s_delay_alu instid0(SALU_CYCLE_1)
	s_mov_b32 s0, exec_lo
	v_cmpx_gt_u32_e64 s12, v23
	s_cbranch_execz .LBB349_12
.LBB349_31:
	v_lshlrev_b32_e32 v9, 3, v23
	v_readfirstlane_b32 s4, v17
	v_readfirstlane_b32 s5, v18
	global_load_b64 v[9:10], v9, s[4:5]
	s_or_b32 exec_lo, exec_lo, s0
	s_delay_alu instid0(SALU_CYCLE_1)
	s_mov_b32 s0, exec_lo
	v_cmpx_gt_u32_e64 s12, v22
	s_cbranch_execz .LBB349_13
.LBB349_32:
	v_lshlrev_b32_e32 v11, 3, v22
	v_readfirstlane_b32 s4, v17
	v_readfirstlane_b32 s5, v18
	global_load_b64 v[11:12], v11, s[4:5]
	s_or_b32 exec_lo, exec_lo, s0
	s_delay_alu instid0(SALU_CYCLE_1)
	s_mov_b32 s0, exec_lo
	v_cmpx_gt_u32_e64 s12, v21
	s_cbranch_execz .LBB349_14
.LBB349_33:
	v_lshlrev_b32_e32 v13, 3, v21
	v_readfirstlane_b32 s4, v17
	v_readfirstlane_b32 s5, v18
	global_load_b64 v[13:14], v13, s[4:5]
	s_or_b32 exec_lo, exec_lo, s0
	s_delay_alu instid0(SALU_CYCLE_1)
	s_mov_b32 s0, exec_lo
	v_cmpx_gt_u32_e64 s12, v20
	s_cbranch_execnz .LBB349_15
	s_branch .LBB349_16
.LBB349_34:
                                        ; implicit-def: $sgpr0
                                        ; implicit-def: $vgpr20
	s_cbranch_execnz .LBB349_103
	s_branch .LBB349_194
.LBB349_35:
	s_set_inst_prefetch_distance 0x2
	s_or_b32 exec_lo, exec_lo, s26
	v_cmp_gt_i64_e32 vcc_lo, s[14:15], v[24:25]
	s_or_not1_b32 s26, vcc_lo, exec_lo
.LBB349_36:
	s_or_b32 exec_lo, exec_lo, s27
.LBB349_37:
	v_mul_lo_u32 v20, v8, s14
	v_mul_lo_u32 v23, v7, s15
	v_mad_u64_u32 v[21:22], null, v7, s14, 0
	s_and_not1_b32 vcc_lo, exec_lo, s7
	s_delay_alu instid0(VALU_DEP_1)
	v_add3_u32 v28, v22, v23, v20
	s_cbranch_vccnz .LBB349_46
; %bb.38:
	s_delay_alu instid0(VALU_DEP_2) | instskip(NEXT) | instid1(VALU_DEP_2)
	v_add_co_u32 v22, vcc_lo, s16, v21
	v_add_co_ci_u32_e32 v23, vcc_lo, s17, v28, vcc_lo
	v_add_co_u32 v19, vcc_lo, s16, v19
	v_add_co_ci_u32_e32 v20, vcc_lo, s17, v27, vcc_lo
	s_mov_b32 s6, -1
	s_clause 0x1
	global_load_u8 v24, v[22:23], off
	global_load_u8 v25, v[19:20], off
	s_mov_b32 s27, exec_lo
	s_waitcnt vmcnt(0)
	v_cmpx_eq_u16_e64 v24, v25
	s_cbranch_execz .LBB349_45
; %bb.39:
	s_mov_b64 s[0:1], 1
	s_mov_b32 s6, 0
                                        ; implicit-def: $sgpr28
	s_set_inst_prefetch_distance 0x1
	s_branch .LBB349_42
	.p2align	6
.LBB349_40:                             ;   in Loop: Header=BB349_42 Depth=1
	v_add_co_u32 v24, vcc_lo, v22, s0
	v_add_co_ci_u32_e32 v25, vcc_lo, s1, v23, vcc_lo
	v_add_co_u32 v29, vcc_lo, v19, s0
	v_add_co_ci_u32_e32 v30, vcc_lo, s1, v20, vcc_lo
	s_add_u32 s4, s0, 1
	s_clause 0x1
	global_load_u8 v24, v[24:25], off
	global_load_u8 v25, v[29:30], off
	s_addc_u32 s5, s1, 0
	s_and_not1_b32 s28, s28, exec_lo
	s_waitcnt vmcnt(0)
	v_cmp_ne_u16_e32 vcc_lo, v24, v25
	s_and_b32 s29, vcc_lo, exec_lo
	s_delay_alu instid0(SALU_CYCLE_1)
	s_or_b32 s28, s28, s29
.LBB349_41:                             ;   in Loop: Header=BB349_42 Depth=1
	v_dual_mov_b32 v25, s1 :: v_dual_mov_b32 v24, s0
	s_and_b32 s29, exec_lo, s28
	s_mov_b64 s[0:1], s[4:5]
	s_or_b32 s6, s29, s6
	s_delay_alu instid0(SALU_CYCLE_1)
	s_and_not1_b32 exec_lo, exec_lo, s6
	s_cbranch_execz .LBB349_44
.LBB349_42:                             ; =>This Inner Loop Header: Depth=1
	s_or_b32 s28, s28, exec_lo
	s_cmp_eq_u64 s[14:15], s[0:1]
	s_cbranch_scc0 .LBB349_40
; %bb.43:                               ;   in Loop: Header=BB349_42 Depth=1
	s_mov_b64 s[0:1], s[14:15]
                                        ; implicit-def: $sgpr4_sgpr5
	s_branch .LBB349_41
.LBB349_44:
	s_set_inst_prefetch_distance 0x2
	s_or_b32 exec_lo, exec_lo, s6
	v_cmp_gt_i64_e32 vcc_lo, s[14:15], v[24:25]
	s_or_not1_b32 s6, vcc_lo, exec_lo
.LBB349_45:
	s_or_b32 exec_lo, exec_lo, s27
.LBB349_46:
	v_mul_lo_u32 v22, v6, s14
	v_mul_lo_u32 v23, v5, s15
	v_mad_u64_u32 v[19:20], null, v5, s14, 0
	s_mov_b32 s27, 0
	s_and_not1_b32 vcc_lo, exec_lo, s7
	s_mov_b32 s28, 0
	s_delay_alu instid0(VALU_DEP_1)
	v_add3_u32 v29, v20, v23, v22
	s_cbranch_vccnz .LBB349_55
; %bb.47:
	s_delay_alu instid0(VALU_DEP_2) | instskip(NEXT) | instid1(VALU_DEP_2)
	v_add_co_u32 v22, vcc_lo, s16, v19
	v_add_co_ci_u32_e32 v23, vcc_lo, s17, v29, vcc_lo
	v_add_co_u32 v20, vcc_lo, s16, v21
	v_add_co_ci_u32_e32 v21, vcc_lo, s17, v28, vcc_lo
	s_mov_b32 s28, -1
	s_clause 0x1
	global_load_u8 v24, v[22:23], off
	global_load_u8 v25, v[20:21], off
	s_mov_b32 s29, exec_lo
	s_waitcnt vmcnt(0)
	v_cmpx_eq_u16_e64 v24, v25
	s_cbranch_execz .LBB349_54
; %bb.48:
	s_mov_b64 s[0:1], 1
	s_mov_b32 s28, 0
                                        ; implicit-def: $sgpr30
	s_set_inst_prefetch_distance 0x1
	s_branch .LBB349_51
	.p2align	6
.LBB349_49:                             ;   in Loop: Header=BB349_51 Depth=1
	v_add_co_u32 v24, vcc_lo, v22, s0
	v_add_co_ci_u32_e32 v25, vcc_lo, s1, v23, vcc_lo
	v_add_co_u32 v27, vcc_lo, v20, s0
	v_add_co_ci_u32_e32 v28, vcc_lo, s1, v21, vcc_lo
	s_add_u32 s4, s0, 1
	s_clause 0x1
	global_load_u8 v24, v[24:25], off
	global_load_u8 v25, v[27:28], off
	s_addc_u32 s5, s1, 0
	s_and_not1_b32 s30, s30, exec_lo
	s_waitcnt vmcnt(0)
	v_cmp_ne_u16_e32 vcc_lo, v24, v25
	s_and_b32 s31, vcc_lo, exec_lo
	s_delay_alu instid0(SALU_CYCLE_1)
	s_or_b32 s30, s30, s31
.LBB349_50:                             ;   in Loop: Header=BB349_51 Depth=1
	v_dual_mov_b32 v25, s1 :: v_dual_mov_b32 v24, s0
	s_and_b32 s31, exec_lo, s30
	s_mov_b64 s[0:1], s[4:5]
	s_or_b32 s28, s31, s28
	s_delay_alu instid0(SALU_CYCLE_1)
	s_and_not1_b32 exec_lo, exec_lo, s28
	s_cbranch_execz .LBB349_53
.LBB349_51:                             ; =>This Inner Loop Header: Depth=1
	s_or_b32 s30, s30, exec_lo
	s_cmp_eq_u64 s[14:15], s[0:1]
	s_cbranch_scc0 .LBB349_49
; %bb.52:                               ;   in Loop: Header=BB349_51 Depth=1
	s_mov_b64 s[0:1], s[14:15]
                                        ; implicit-def: $sgpr4_sgpr5
	s_branch .LBB349_50
.LBB349_53:
	s_set_inst_prefetch_distance 0x2
	s_or_b32 exec_lo, exec_lo, s28
	v_cmp_gt_i64_e32 vcc_lo, s[14:15], v[24:25]
	s_or_not1_b32 s28, vcc_lo, exec_lo
.LBB349_54:
	s_or_b32 exec_lo, exec_lo, s29
.LBB349_55:
	v_mul_lo_u32 v20, v12, s14
	v_mul_lo_u32 v23, v11, s15
	v_mad_u64_u32 v[21:22], null, v11, s14, 0
	s_and_not1_b32 vcc_lo, exec_lo, s7
	s_delay_alu instid0(VALU_DEP_1)
	v_add3_u32 v27, v22, v23, v20
	s_cbranch_vccnz .LBB349_64
; %bb.56:
	s_delay_alu instid0(VALU_DEP_2) | instskip(NEXT) | instid1(VALU_DEP_2)
	v_add_co_u32 v22, vcc_lo, s16, v21
	v_add_co_ci_u32_e32 v23, vcc_lo, s17, v27, vcc_lo
	v_add_co_u32 v19, vcc_lo, s16, v19
	v_add_co_ci_u32_e32 v20, vcc_lo, s17, v29, vcc_lo
	s_mov_b32 s27, -1
	s_clause 0x1
	global_load_u8 v24, v[22:23], off
	global_load_u8 v25, v[19:20], off
	s_mov_b32 s29, exec_lo
	s_waitcnt vmcnt(0)
	v_cmpx_eq_u16_e64 v24, v25
	s_cbranch_execz .LBB349_63
; %bb.57:
	s_mov_b64 s[0:1], 1
	s_mov_b32 s27, 0
                                        ; implicit-def: $sgpr30
	s_set_inst_prefetch_distance 0x1
	s_branch .LBB349_60
	.p2align	6
.LBB349_58:                             ;   in Loop: Header=BB349_60 Depth=1
	v_add_co_u32 v24, vcc_lo, v22, s0
	v_add_co_ci_u32_e32 v25, vcc_lo, s1, v23, vcc_lo
	v_add_co_u32 v28, vcc_lo, v19, s0
	v_add_co_ci_u32_e32 v29, vcc_lo, s1, v20, vcc_lo
	s_add_u32 s4, s0, 1
	s_clause 0x1
	global_load_u8 v24, v[24:25], off
	global_load_u8 v25, v[28:29], off
	s_addc_u32 s5, s1, 0
	s_and_not1_b32 s30, s30, exec_lo
	s_waitcnt vmcnt(0)
	v_cmp_ne_u16_e32 vcc_lo, v24, v25
	s_and_b32 s31, vcc_lo, exec_lo
	s_delay_alu instid0(SALU_CYCLE_1)
	s_or_b32 s30, s30, s31
.LBB349_59:                             ;   in Loop: Header=BB349_60 Depth=1
	v_dual_mov_b32 v25, s1 :: v_dual_mov_b32 v24, s0
	s_and_b32 s31, exec_lo, s30
	s_mov_b64 s[0:1], s[4:5]
	s_or_b32 s27, s31, s27
	s_delay_alu instid0(SALU_CYCLE_1)
	s_and_not1_b32 exec_lo, exec_lo, s27
	s_cbranch_execz .LBB349_62
.LBB349_60:                             ; =>This Inner Loop Header: Depth=1
	s_or_b32 s30, s30, exec_lo
	s_cmp_eq_u64 s[14:15], s[0:1]
	s_cbranch_scc0 .LBB349_58
; %bb.61:                               ;   in Loop: Header=BB349_60 Depth=1
	s_mov_b64 s[0:1], s[14:15]
                                        ; implicit-def: $sgpr4_sgpr5
	s_branch .LBB349_59
.LBB349_62:
	s_set_inst_prefetch_distance 0x2
	s_or_b32 exec_lo, exec_lo, s27
	v_cmp_gt_i64_e32 vcc_lo, s[14:15], v[24:25]
	s_or_not1_b32 s27, vcc_lo, exec_lo
.LBB349_63:
	s_or_b32 exec_lo, exec_lo, s29
.LBB349_64:
	v_mul_lo_u32 v22, v10, s14
	v_mul_lo_u32 v23, v9, s15
	v_mad_u64_u32 v[19:20], null, v9, s14, 0
	s_mov_b32 s29, 0
	s_and_not1_b32 vcc_lo, exec_lo, s7
	s_mov_b32 s30, 0
	s_delay_alu instid0(VALU_DEP_1)
	v_add3_u32 v29, v20, v23, v22
	s_cbranch_vccnz .LBB349_73
; %bb.65:
	s_delay_alu instid0(VALU_DEP_2) | instskip(NEXT) | instid1(VALU_DEP_2)
	v_add_co_u32 v22, vcc_lo, s16, v19
	v_add_co_ci_u32_e32 v23, vcc_lo, s17, v29, vcc_lo
	v_add_co_u32 v20, vcc_lo, s16, v21
	v_add_co_ci_u32_e32 v21, vcc_lo, s17, v27, vcc_lo
	s_mov_b32 s30, -1
	s_clause 0x1
	global_load_u8 v24, v[22:23], off
	global_load_u8 v25, v[20:21], off
	s_mov_b32 s31, exec_lo
	s_waitcnt vmcnt(0)
	v_cmpx_eq_u16_e64 v24, v25
	s_cbranch_execz .LBB349_72
; %bb.66:
	s_mov_b64 s[0:1], 1
	s_mov_b32 s30, 0
                                        ; implicit-def: $sgpr33
	s_set_inst_prefetch_distance 0x1
	s_branch .LBB349_69
	.p2align	6
.LBB349_67:                             ;   in Loop: Header=BB349_69 Depth=1
	v_add_co_u32 v24, vcc_lo, v22, s0
	v_add_co_ci_u32_e32 v25, vcc_lo, s1, v23, vcc_lo
	v_add_co_u32 v27, vcc_lo, v20, s0
	v_add_co_ci_u32_e32 v28, vcc_lo, s1, v21, vcc_lo
	s_add_u32 s4, s0, 1
	s_clause 0x1
	global_load_u8 v24, v[24:25], off
	global_load_u8 v25, v[27:28], off
	s_addc_u32 s5, s1, 0
	s_and_not1_b32 s33, s33, exec_lo
	s_waitcnt vmcnt(0)
	v_cmp_ne_u16_e32 vcc_lo, v24, v25
	s_and_b32 s34, vcc_lo, exec_lo
	s_delay_alu instid0(SALU_CYCLE_1)
	s_or_b32 s33, s33, s34
.LBB349_68:                             ;   in Loop: Header=BB349_69 Depth=1
	v_dual_mov_b32 v25, s1 :: v_dual_mov_b32 v24, s0
	s_and_b32 s34, exec_lo, s33
	s_mov_b64 s[0:1], s[4:5]
	s_or_b32 s30, s34, s30
	s_delay_alu instid0(SALU_CYCLE_1)
	s_and_not1_b32 exec_lo, exec_lo, s30
	s_cbranch_execz .LBB349_71
.LBB349_69:                             ; =>This Inner Loop Header: Depth=1
	s_or_b32 s33, s33, exec_lo
	s_cmp_eq_u64 s[14:15], s[0:1]
	s_cbranch_scc0 .LBB349_67
; %bb.70:                               ;   in Loop: Header=BB349_69 Depth=1
	s_mov_b64 s[0:1], s[14:15]
                                        ; implicit-def: $sgpr4_sgpr5
	s_branch .LBB349_68
.LBB349_71:
	s_set_inst_prefetch_distance 0x2
	s_or_b32 exec_lo, exec_lo, s30
	v_cmp_gt_i64_e32 vcc_lo, s[14:15], v[24:25]
	s_or_not1_b32 s30, vcc_lo, exec_lo
.LBB349_72:
	s_or_b32 exec_lo, exec_lo, s31
.LBB349_73:
	v_mul_lo_u32 v20, v16, s14
	v_mul_lo_u32 v23, v15, s15
	v_mad_u64_u32 v[21:22], null, v15, s14, 0
	s_and_not1_b32 vcc_lo, exec_lo, s7
	s_delay_alu instid0(VALU_DEP_1)
	v_add3_u32 v28, v22, v23, v20
	s_cbranch_vccnz .LBB349_82
; %bb.74:
	s_delay_alu instid0(VALU_DEP_2) | instskip(NEXT) | instid1(VALU_DEP_2)
	v_add_co_u32 v22, vcc_lo, s16, v21
	v_add_co_ci_u32_e32 v23, vcc_lo, s17, v28, vcc_lo
	v_add_co_u32 v19, vcc_lo, s16, v19
	v_add_co_ci_u32_e32 v20, vcc_lo, s17, v29, vcc_lo
	s_mov_b32 s29, -1
	s_clause 0x1
	global_load_u8 v24, v[22:23], off
	global_load_u8 v25, v[19:20], off
	s_mov_b32 s31, exec_lo
	s_waitcnt vmcnt(0)
	v_cmpx_eq_u16_e64 v24, v25
	s_cbranch_execz .LBB349_81
; %bb.75:
	s_mov_b64 s[0:1], 1
	s_mov_b32 s29, 0
                                        ; implicit-def: $sgpr33
	s_set_inst_prefetch_distance 0x1
	s_branch .LBB349_78
	.p2align	6
.LBB349_76:                             ;   in Loop: Header=BB349_78 Depth=1
	v_add_co_u32 v24, vcc_lo, v22, s0
	v_add_co_ci_u32_e32 v25, vcc_lo, s1, v23, vcc_lo
	v_add_co_u32 v29, vcc_lo, v19, s0
	v_add_co_ci_u32_e32 v30, vcc_lo, s1, v20, vcc_lo
	s_add_u32 s4, s0, 1
	s_clause 0x1
	global_load_u8 v24, v[24:25], off
	global_load_u8 v25, v[29:30], off
	s_addc_u32 s5, s1, 0
	s_and_not1_b32 s33, s33, exec_lo
	s_waitcnt vmcnt(0)
	v_cmp_ne_u16_e32 vcc_lo, v24, v25
	s_and_b32 s34, vcc_lo, exec_lo
	s_delay_alu instid0(SALU_CYCLE_1)
	s_or_b32 s33, s33, s34
.LBB349_77:                             ;   in Loop: Header=BB349_78 Depth=1
	v_dual_mov_b32 v25, s1 :: v_dual_mov_b32 v24, s0
	s_and_b32 s34, exec_lo, s33
	s_mov_b64 s[0:1], s[4:5]
	s_or_b32 s29, s34, s29
	s_delay_alu instid0(SALU_CYCLE_1)
	s_and_not1_b32 exec_lo, exec_lo, s29
	s_cbranch_execz .LBB349_80
.LBB349_78:                             ; =>This Inner Loop Header: Depth=1
	s_or_b32 s33, s33, exec_lo
	s_cmp_eq_u64 s[14:15], s[0:1]
	s_cbranch_scc0 .LBB349_76
; %bb.79:                               ;   in Loop: Header=BB349_78 Depth=1
	s_mov_b64 s[0:1], s[14:15]
                                        ; implicit-def: $sgpr4_sgpr5
	s_branch .LBB349_77
.LBB349_80:
	s_set_inst_prefetch_distance 0x2
	s_or_b32 exec_lo, exec_lo, s29
	v_cmp_gt_i64_e32 vcc_lo, s[14:15], v[24:25]
	s_or_not1_b32 s29, vcc_lo, exec_lo
.LBB349_81:
	s_or_b32 exec_lo, exec_lo, s31
.LBB349_82:
	v_mul_lo_u32 v22, v14, s14
	v_mul_lo_u32 v23, v13, s15
	v_mad_u64_u32 v[19:20], null, v13, s14, 0
	s_and_not1_b32 vcc_lo, exec_lo, s7
	s_mov_b32 s0, 0
	s_delay_alu instid0(VALU_DEP_1)
	v_add3_u32 v27, v20, v23, v22
	s_cbranch_vccnz .LBB349_91
; %bb.83:
	s_delay_alu instid0(VALU_DEP_2) | instskip(NEXT) | instid1(VALU_DEP_2)
	v_add_co_u32 v22, vcc_lo, s16, v19
	v_add_co_ci_u32_e32 v23, vcc_lo, s17, v27, vcc_lo
	v_add_co_u32 v20, vcc_lo, s16, v21
	v_add_co_ci_u32_e32 v21, vcc_lo, s17, v28, vcc_lo
	s_mov_b32 s0, -1
	s_clause 0x1
	global_load_u8 v24, v[22:23], off
	global_load_u8 v25, v[20:21], off
	s_mov_b32 s31, exec_lo
	s_waitcnt vmcnt(0)
	v_cmpx_eq_u16_e64 v24, v25
	s_cbranch_execz .LBB349_90
; %bb.84:
	s_mov_b64 s[0:1], 1
	s_mov_b32 s33, 0
                                        ; implicit-def: $sgpr34
	s_set_inst_prefetch_distance 0x1
	s_branch .LBB349_87
	.p2align	6
.LBB349_85:                             ;   in Loop: Header=BB349_87 Depth=1
	v_add_co_u32 v24, vcc_lo, v22, s0
	v_add_co_ci_u32_e32 v25, vcc_lo, s1, v23, vcc_lo
	v_add_co_u32 v28, vcc_lo, v20, s0
	v_add_co_ci_u32_e32 v29, vcc_lo, s1, v21, vcc_lo
	s_add_u32 s4, s0, 1
	s_clause 0x1
	global_load_u8 v24, v[24:25], off
	global_load_u8 v25, v[28:29], off
	s_addc_u32 s5, s1, 0
	s_and_not1_b32 s34, s34, exec_lo
	s_waitcnt vmcnt(0)
	v_cmp_ne_u16_e32 vcc_lo, v24, v25
	s_and_b32 s35, vcc_lo, exec_lo
	s_delay_alu instid0(SALU_CYCLE_1)
	s_or_b32 s34, s34, s35
.LBB349_86:                             ;   in Loop: Header=BB349_87 Depth=1
	v_dual_mov_b32 v25, s1 :: v_dual_mov_b32 v24, s0
	s_and_b32 s35, exec_lo, s34
	s_mov_b64 s[0:1], s[4:5]
	s_or_b32 s33, s35, s33
	s_delay_alu instid0(SALU_CYCLE_1)
	s_and_not1_b32 exec_lo, exec_lo, s33
	s_cbranch_execz .LBB349_89
.LBB349_87:                             ; =>This Inner Loop Header: Depth=1
	s_or_b32 s34, s34, exec_lo
	s_cmp_eq_u64 s[14:15], s[0:1]
	s_cbranch_scc0 .LBB349_85
; %bb.88:                               ;   in Loop: Header=BB349_87 Depth=1
	s_mov_b64 s[0:1], s[14:15]
                                        ; implicit-def: $sgpr4_sgpr5
	s_branch .LBB349_86
.LBB349_89:
	s_set_inst_prefetch_distance 0x2
	s_or_b32 exec_lo, exec_lo, s33
	v_cmp_gt_i64_e32 vcc_lo, s[14:15], v[24:25]
	s_or_not1_b32 s0, vcc_lo, exec_lo
.LBB349_90:
	s_or_b32 exec_lo, exec_lo, s31
.LBB349_91:
	s_waitcnt vmcnt(0)
	v_dual_mov_b32 v23, v18 :: v_dual_mov_b32 v22, v17
	s_waitcnt lgkmcnt(0)
	s_barrier
	buffer_gl0_inv
	s_and_saveexec_b32 s1, s3
	s_cbranch_execz .LBB349_93
; %bb.92:
	v_add_nc_u32_e32 v20, -8, v39
	ds_load_b64 v[22:23], v20
.LBB349_93:
	s_or_b32 exec_lo, exec_lo, s1
	v_cndmask_b32_e64 v21, 0, 1, s30
	v_cndmask_b32_e64 v25, 0, 1, s28
	;; [unrolled: 1-line block ×7, first 2 shown]
	v_lshlrev_b16 v21, 8, v21
	v_lshlrev_b16 v25, 8, v25
	;; [unrolled: 1-line block ×4, first 2 shown]
	s_mov_b32 s6, 0
	v_or_b32_e32 v20, v20, v21
	v_or_b32_e32 v21, v24, v25
	;; [unrolled: 1-line block ×3, first 2 shown]
	v_and_b32_e32 v28, 0xffff, v29
	s_and_not1_b32 vcc_lo, exec_lo, s7
	v_lshlrev_b32_e32 v29, 16, v20
	v_and_b32_e32 v30, 0xffff, v21
	v_lshlrev_b32_e32 v31, 16, v24
	s_mov_b32 s0, 0
	s_cbranch_vccnz .LBB349_102
; %bb.94:
	s_waitcnt lgkmcnt(0)
	v_mad_u64_u32 v[20:21], null, v22, s14, s[16:17]
	v_mul_lo_u32 v22, v22, s15
	v_mul_lo_u32 v23, v23, s14
	s_mov_b32 s0, -1
	s_mov_b32 s26, exec_lo
	s_delay_alu instid0(VALU_DEP_1)
	v_add3_u32 v21, v23, v21, v22
	v_add_co_u32 v22, vcc_lo, s16, v19
	v_add_co_ci_u32_e32 v23, vcc_lo, s17, v27, vcc_lo
	s_clause 0x1
	global_load_u8 v19, v[20:21], off
	global_load_u8 v24, v[22:23], off
	s_waitcnt vmcnt(0)
	v_cmpx_eq_u16_e64 v19, v24
	s_cbranch_execz .LBB349_101
; %bb.95:
	s_mov_b64 s[0:1], 1
	s_mov_b32 s27, 0
                                        ; implicit-def: $sgpr28
	s_set_inst_prefetch_distance 0x1
	s_branch .LBB349_98
	.p2align	6
.LBB349_96:                             ;   in Loop: Header=BB349_98 Depth=1
	v_add_co_u32 v24, vcc_lo, v20, s0
	v_add_co_ci_u32_e32 v25, vcc_lo, s1, v21, vcc_lo
	v_add_co_u32 v32, vcc_lo, v22, s0
	v_add_co_ci_u32_e32 v33, vcc_lo, s1, v23, vcc_lo
	s_add_u32 s4, s0, 1
	s_clause 0x1
	global_load_u8 v19, v[24:25], off
	global_load_u8 v24, v[32:33], off
	s_addc_u32 s5, s1, 0
	s_and_not1_b32 s28, s28, exec_lo
	s_waitcnt vmcnt(0)
	v_cmp_ne_u16_e32 vcc_lo, v19, v24
	s_and_b32 s29, vcc_lo, exec_lo
	s_delay_alu instid0(SALU_CYCLE_1)
	s_or_b32 s28, s28, s29
.LBB349_97:                             ;   in Loop: Header=BB349_98 Depth=1
	v_dual_mov_b32 v25, s1 :: v_dual_mov_b32 v24, s0
	s_and_b32 s29, exec_lo, s28
	s_mov_b64 s[0:1], s[4:5]
	s_or_b32 s27, s29, s27
	s_delay_alu instid0(SALU_CYCLE_1)
	s_and_not1_b32 exec_lo, exec_lo, s27
	s_cbranch_execz .LBB349_100
.LBB349_98:                             ; =>This Inner Loop Header: Depth=1
	s_or_b32 s28, s28, exec_lo
	s_cmp_eq_u64 s[14:15], s[0:1]
	s_cbranch_scc0 .LBB349_96
; %bb.99:                               ;   in Loop: Header=BB349_98 Depth=1
	s_mov_b64 s[0:1], s[14:15]
                                        ; implicit-def: $sgpr4_sgpr5
	s_branch .LBB349_97
.LBB349_100:
	s_set_inst_prefetch_distance 0x2
	s_or_b32 exec_lo, exec_lo, s27
	v_cmp_gt_i64_e32 vcc_lo, s[14:15], v[24:25]
	s_or_not1_b32 s0, vcc_lo, exec_lo
.LBB349_101:
	s_or_b32 exec_lo, exec_lo, s26
.LBB349_102:
	v_or_b32_e32 v19, v28, v29
	s_delay_alu instid0(VALU_DEP_2)
	v_or_b32_e32 v20, v30, v31
	s_and_b32 vcc_lo, exec_lo, s6
	s_cbranch_vccz .LBB349_194
.LBB349_103:
	v_or_b32_e32 v19, 7, v39
	s_mov_b32 s6, 0
	s_mov_b32 s26, 0
	s_mov_b32 s27, exec_lo
	s_delay_alu instid0(VALU_DEP_1)
	v_cmpx_gt_u32_e64 s12, v19
	s_cbranch_execz .LBB349_114
; %bb.104:
	s_and_not1_b32 vcc_lo, exec_lo, s7
	s_mov_b32 s0, 0
	s_cbranch_vccnz .LBB349_113
; %bb.105:
	v_mad_u64_u32 v[19:20], null, v1, s14, s[16:17]
	s_waitcnt lgkmcnt(0)
	v_mul_lo_u32 v23, v1, s15
	v_mul_lo_u32 v24, v2, s14
	v_mad_u64_u32 v[21:22], null, v3, s14, s[16:17]
	v_mul_lo_u32 v25, v3, s15
	v_mul_lo_u32 v27, v4, s14
	s_mov_b32 s0, -1
	s_mov_b32 s7, exec_lo
	s_delay_alu instid0(VALU_DEP_4) | instskip(NEXT) | instid1(VALU_DEP_2)
	v_add3_u32 v20, v24, v20, v23
	v_add3_u32 v22, v27, v22, v25
	s_clause 0x1
	global_load_u8 v23, v[19:20], off
	global_load_u8 v24, v[21:22], off
	s_waitcnt vmcnt(0)
	v_cmpx_eq_u16_e64 v23, v24
	s_cbranch_execz .LBB349_112
; %bb.106:
	s_mov_b64 s[0:1], 1
                                        ; implicit-def: $sgpr28
	s_set_inst_prefetch_distance 0x1
	s_branch .LBB349_109
	.p2align	6
.LBB349_107:                            ;   in Loop: Header=BB349_109 Depth=1
	v_add_co_u32 v23, vcc_lo, v19, s0
	v_add_co_ci_u32_e32 v24, vcc_lo, s1, v20, vcc_lo
	v_add_co_u32 v27, vcc_lo, v21, s0
	v_add_co_ci_u32_e32 v28, vcc_lo, s1, v22, vcc_lo
	s_add_u32 s4, s0, 1
	s_clause 0x1
	global_load_u8 v23, v[23:24], off
	global_load_u8 v24, v[27:28], off
	s_addc_u32 s5, s1, 0
	s_and_not1_b32 s28, s28, exec_lo
	s_waitcnt vmcnt(0)
	v_cmp_ne_u16_e32 vcc_lo, v23, v24
	s_and_b32 s29, vcc_lo, exec_lo
	s_delay_alu instid0(SALU_CYCLE_1)
	s_or_b32 s28, s28, s29
.LBB349_108:                            ;   in Loop: Header=BB349_109 Depth=1
	v_dual_mov_b32 v24, s1 :: v_dual_mov_b32 v23, s0
	s_and_b32 s29, exec_lo, s28
	s_mov_b64 s[0:1], s[4:5]
	s_or_b32 s26, s29, s26
	s_delay_alu instid0(SALU_CYCLE_1)
	s_and_not1_b32 exec_lo, exec_lo, s26
	s_cbranch_execz .LBB349_111
.LBB349_109:                            ; =>This Inner Loop Header: Depth=1
	s_or_b32 s28, s28, exec_lo
	s_cmp_eq_u64 s[14:15], s[0:1]
	s_cbranch_scc0 .LBB349_107
; %bb.110:                              ;   in Loop: Header=BB349_109 Depth=1
	s_mov_b64 s[0:1], s[14:15]
                                        ; implicit-def: $sgpr4_sgpr5
	s_branch .LBB349_108
.LBB349_111:
	s_set_inst_prefetch_distance 0x2
	s_or_b32 exec_lo, exec_lo, s26
	v_cmp_gt_i64_e32 vcc_lo, s[14:15], v[23:24]
	s_or_not1_b32 s0, vcc_lo, exec_lo
.LBB349_112:
	s_or_b32 exec_lo, exec_lo, s7
.LBB349_113:
	s_delay_alu instid0(SALU_CYCLE_1)
	s_and_b32 s26, s0, exec_lo
.LBB349_114:
	s_or_b32 exec_lo, exec_lo, s27
	v_or_b32_e32 v19, 6, v39
	s_mov_b32 s7, exec_lo
	s_delay_alu instid0(VALU_DEP_1)
	v_cmpx_gt_u32_e64 s12, v19
	s_cbranch_execz .LBB349_125
; %bb.115:
	v_cmp_ne_u32_e32 vcc_lo, 1, v26
	s_mov_b32 s0, 0
	s_cbranch_vccnz .LBB349_124
; %bb.116:
	v_mad_u64_u32 v[19:20], null, v7, s14, s[16:17]
	s_waitcnt lgkmcnt(0)
	v_mul_lo_u32 v23, v7, s15
	v_mul_lo_u32 v24, v8, s14
	v_mad_u64_u32 v[21:22], null, v1, s14, s[16:17]
	v_mul_lo_u32 v25, v1, s15
	v_mul_lo_u32 v27, v2, s14
	s_mov_b32 s0, -1
	s_mov_b32 s6, exec_lo
	s_delay_alu instid0(VALU_DEP_4) | instskip(NEXT) | instid1(VALU_DEP_2)
	v_add3_u32 v20, v24, v20, v23
	v_add3_u32 v22, v27, v22, v25
	s_clause 0x1
	global_load_u8 v23, v[19:20], off
	global_load_u8 v24, v[21:22], off
	s_waitcnt vmcnt(0)
	v_cmpx_eq_u16_e64 v23, v24
	s_cbranch_execz .LBB349_123
; %bb.117:
	s_mov_b64 s[0:1], 1
	s_mov_b32 s27, 0
                                        ; implicit-def: $sgpr28
	s_set_inst_prefetch_distance 0x1
	s_branch .LBB349_120
	.p2align	6
.LBB349_118:                            ;   in Loop: Header=BB349_120 Depth=1
	v_add_co_u32 v23, vcc_lo, v19, s0
	v_add_co_ci_u32_e32 v24, vcc_lo, s1, v20, vcc_lo
	v_add_co_u32 v27, vcc_lo, v21, s0
	v_add_co_ci_u32_e32 v28, vcc_lo, s1, v22, vcc_lo
	s_add_u32 s4, s0, 1
	s_clause 0x1
	global_load_u8 v23, v[23:24], off
	global_load_u8 v24, v[27:28], off
	s_addc_u32 s5, s1, 0
	s_and_not1_b32 s28, s28, exec_lo
	s_waitcnt vmcnt(0)
	v_cmp_ne_u16_e32 vcc_lo, v23, v24
	s_and_b32 s29, vcc_lo, exec_lo
	s_delay_alu instid0(SALU_CYCLE_1)
	s_or_b32 s28, s28, s29
.LBB349_119:                            ;   in Loop: Header=BB349_120 Depth=1
	v_dual_mov_b32 v24, s1 :: v_dual_mov_b32 v23, s0
	s_and_b32 s29, exec_lo, s28
	s_mov_b64 s[0:1], s[4:5]
	s_or_b32 s27, s29, s27
	s_delay_alu instid0(SALU_CYCLE_1)
	s_and_not1_b32 exec_lo, exec_lo, s27
	s_cbranch_execz .LBB349_122
.LBB349_120:                            ; =>This Inner Loop Header: Depth=1
	s_or_b32 s28, s28, exec_lo
	s_cmp_eq_u64 s[14:15], s[0:1]
	s_cbranch_scc0 .LBB349_118
; %bb.121:                              ;   in Loop: Header=BB349_120 Depth=1
	s_mov_b64 s[0:1], s[14:15]
                                        ; implicit-def: $sgpr4_sgpr5
	s_branch .LBB349_119
.LBB349_122:
	s_set_inst_prefetch_distance 0x2
	s_or_b32 exec_lo, exec_lo, s27
	v_cmp_gt_i64_e32 vcc_lo, s[14:15], v[23:24]
	s_or_not1_b32 s0, vcc_lo, exec_lo
.LBB349_123:
	s_or_b32 exec_lo, exec_lo, s6
.LBB349_124:
	s_delay_alu instid0(SALU_CYCLE_1)
	s_and_b32 s6, s0, exec_lo
.LBB349_125:
	s_or_b32 exec_lo, exec_lo, s7
	v_or_b32_e32 v19, 5, v39
	s_mov_b32 s27, 0
	s_mov_b32 s7, 0
	s_mov_b32 s28, exec_lo
	s_delay_alu instid0(VALU_DEP_1)
	v_cmpx_gt_u32_e64 s12, v19
	s_cbranch_execz .LBB349_136
; %bb.126:
	v_cmp_ne_u32_e32 vcc_lo, 1, v26
	s_mov_b32 s0, 0
	s_cbranch_vccnz .LBB349_135
; %bb.127:
	v_mad_u64_u32 v[19:20], null, v5, s14, s[16:17]
	s_waitcnt lgkmcnt(0)
	v_mul_lo_u32 v23, v5, s15
	v_mul_lo_u32 v24, v6, s14
	v_mad_u64_u32 v[21:22], null, v7, s14, s[16:17]
	v_mul_lo_u32 v25, v7, s15
	v_mul_lo_u32 v27, v8, s14
	s_mov_b32 s0, -1
	s_mov_b32 s7, exec_lo
	s_delay_alu instid0(VALU_DEP_4) | instskip(NEXT) | instid1(VALU_DEP_2)
	v_add3_u32 v20, v24, v20, v23
	v_add3_u32 v22, v27, v22, v25
	s_clause 0x1
	global_load_u8 v23, v[19:20], off
	global_load_u8 v24, v[21:22], off
	s_waitcnt vmcnt(0)
	v_cmpx_eq_u16_e64 v23, v24
	s_cbranch_execz .LBB349_134
; %bb.128:
	s_mov_b64 s[0:1], 1
	s_mov_b32 s29, 0
                                        ; implicit-def: $sgpr30
	s_set_inst_prefetch_distance 0x1
	s_branch .LBB349_131
	.p2align	6
.LBB349_129:                            ;   in Loop: Header=BB349_131 Depth=1
	v_add_co_u32 v23, vcc_lo, v19, s0
	v_add_co_ci_u32_e32 v24, vcc_lo, s1, v20, vcc_lo
	v_add_co_u32 v27, vcc_lo, v21, s0
	v_add_co_ci_u32_e32 v28, vcc_lo, s1, v22, vcc_lo
	s_add_u32 s4, s0, 1
	s_clause 0x1
	global_load_u8 v23, v[23:24], off
	global_load_u8 v24, v[27:28], off
	s_addc_u32 s5, s1, 0
	s_and_not1_b32 s30, s30, exec_lo
	s_waitcnt vmcnt(0)
	v_cmp_ne_u16_e32 vcc_lo, v23, v24
	s_and_b32 s31, vcc_lo, exec_lo
	s_delay_alu instid0(SALU_CYCLE_1)
	s_or_b32 s30, s30, s31
.LBB349_130:                            ;   in Loop: Header=BB349_131 Depth=1
	v_dual_mov_b32 v24, s1 :: v_dual_mov_b32 v23, s0
	s_and_b32 s31, exec_lo, s30
	s_mov_b64 s[0:1], s[4:5]
	s_or_b32 s29, s31, s29
	s_delay_alu instid0(SALU_CYCLE_1)
	s_and_not1_b32 exec_lo, exec_lo, s29
	s_cbranch_execz .LBB349_133
.LBB349_131:                            ; =>This Inner Loop Header: Depth=1
	s_or_b32 s30, s30, exec_lo
	s_cmp_eq_u64 s[14:15], s[0:1]
	s_cbranch_scc0 .LBB349_129
; %bb.132:                              ;   in Loop: Header=BB349_131 Depth=1
	s_mov_b64 s[0:1], s[14:15]
                                        ; implicit-def: $sgpr4_sgpr5
	s_branch .LBB349_130
.LBB349_133:
	s_set_inst_prefetch_distance 0x2
	s_or_b32 exec_lo, exec_lo, s29
	v_cmp_gt_i64_e32 vcc_lo, s[14:15], v[23:24]
	s_or_not1_b32 s0, vcc_lo, exec_lo
.LBB349_134:
	s_or_b32 exec_lo, exec_lo, s7
.LBB349_135:
	s_delay_alu instid0(SALU_CYCLE_1)
	s_and_b32 s7, s0, exec_lo
.LBB349_136:
	s_or_b32 exec_lo, exec_lo, s28
	v_or_b32_e32 v19, 4, v39
	s_mov_b32 s28, exec_lo
	s_delay_alu instid0(VALU_DEP_1)
	v_cmpx_gt_u32_e64 s12, v19
	s_cbranch_execz .LBB349_147
; %bb.137:
	v_cmp_ne_u32_e32 vcc_lo, 1, v26
	s_mov_b32 s0, 0
	s_cbranch_vccnz .LBB349_146
; %bb.138:
	v_mad_u64_u32 v[19:20], null, v11, s14, s[16:17]
	s_waitcnt lgkmcnt(0)
	v_mul_lo_u32 v23, v11, s15
	v_mul_lo_u32 v24, v12, s14
	v_mad_u64_u32 v[21:22], null, v5, s14, s[16:17]
	v_mul_lo_u32 v25, v5, s15
	v_mul_lo_u32 v27, v6, s14
	s_mov_b32 s0, -1
	s_mov_b32 s27, exec_lo
	s_delay_alu instid0(VALU_DEP_4) | instskip(NEXT) | instid1(VALU_DEP_2)
	v_add3_u32 v20, v24, v20, v23
	v_add3_u32 v22, v27, v22, v25
	s_clause 0x1
	global_load_u8 v23, v[19:20], off
	global_load_u8 v24, v[21:22], off
	s_waitcnt vmcnt(0)
	v_cmpx_eq_u16_e64 v23, v24
	s_cbranch_execz .LBB349_145
; %bb.139:
	s_mov_b64 s[0:1], 1
	s_mov_b32 s29, 0
                                        ; implicit-def: $sgpr30
	s_set_inst_prefetch_distance 0x1
	s_branch .LBB349_142
	.p2align	6
.LBB349_140:                            ;   in Loop: Header=BB349_142 Depth=1
	v_add_co_u32 v23, vcc_lo, v19, s0
	v_add_co_ci_u32_e32 v24, vcc_lo, s1, v20, vcc_lo
	v_add_co_u32 v27, vcc_lo, v21, s0
	v_add_co_ci_u32_e32 v28, vcc_lo, s1, v22, vcc_lo
	s_add_u32 s4, s0, 1
	s_clause 0x1
	global_load_u8 v23, v[23:24], off
	global_load_u8 v24, v[27:28], off
	s_addc_u32 s5, s1, 0
	s_and_not1_b32 s30, s30, exec_lo
	s_waitcnt vmcnt(0)
	v_cmp_ne_u16_e32 vcc_lo, v23, v24
	s_and_b32 s31, vcc_lo, exec_lo
	s_delay_alu instid0(SALU_CYCLE_1)
	s_or_b32 s30, s30, s31
.LBB349_141:                            ;   in Loop: Header=BB349_142 Depth=1
	v_dual_mov_b32 v24, s1 :: v_dual_mov_b32 v23, s0
	s_and_b32 s31, exec_lo, s30
	s_mov_b64 s[0:1], s[4:5]
	s_or_b32 s29, s31, s29
	s_delay_alu instid0(SALU_CYCLE_1)
	s_and_not1_b32 exec_lo, exec_lo, s29
	s_cbranch_execz .LBB349_144
.LBB349_142:                            ; =>This Inner Loop Header: Depth=1
	s_or_b32 s30, s30, exec_lo
	s_cmp_eq_u64 s[14:15], s[0:1]
	s_cbranch_scc0 .LBB349_140
; %bb.143:                              ;   in Loop: Header=BB349_142 Depth=1
	s_mov_b64 s[0:1], s[14:15]
                                        ; implicit-def: $sgpr4_sgpr5
	s_branch .LBB349_141
.LBB349_144:
	s_set_inst_prefetch_distance 0x2
	s_or_b32 exec_lo, exec_lo, s29
	v_cmp_gt_i64_e32 vcc_lo, s[14:15], v[23:24]
	s_or_not1_b32 s0, vcc_lo, exec_lo
.LBB349_145:
	s_or_b32 exec_lo, exec_lo, s27
.LBB349_146:
	s_delay_alu instid0(SALU_CYCLE_1)
	s_and_b32 s27, s0, exec_lo
.LBB349_147:
	s_or_b32 exec_lo, exec_lo, s28
	v_or_b32_e32 v19, 3, v39
	s_mov_b32 s29, 0
	s_mov_b32 s28, 0
	s_mov_b32 s30, exec_lo
	s_delay_alu instid0(VALU_DEP_1)
	v_cmpx_gt_u32_e64 s12, v19
	s_cbranch_execz .LBB349_158
; %bb.148:
	v_cmp_ne_u32_e32 vcc_lo, 1, v26
	s_mov_b32 s0, 0
	s_cbranch_vccnz .LBB349_157
; %bb.149:
	v_mad_u64_u32 v[19:20], null, v9, s14, s[16:17]
	s_waitcnt lgkmcnt(0)
	v_mul_lo_u32 v23, v9, s15
	v_mul_lo_u32 v24, v10, s14
	v_mad_u64_u32 v[21:22], null, v11, s14, s[16:17]
	v_mul_lo_u32 v25, v11, s15
	v_mul_lo_u32 v27, v12, s14
	s_mov_b32 s0, -1
	s_mov_b32 s28, exec_lo
	s_delay_alu instid0(VALU_DEP_4) | instskip(NEXT) | instid1(VALU_DEP_2)
	v_add3_u32 v20, v24, v20, v23
	v_add3_u32 v22, v27, v22, v25
	s_clause 0x1
	global_load_u8 v23, v[19:20], off
	global_load_u8 v24, v[21:22], off
	s_waitcnt vmcnt(0)
	v_cmpx_eq_u16_e64 v23, v24
	s_cbranch_execz .LBB349_156
; %bb.150:
	s_mov_b64 s[0:1], 1
	s_mov_b32 s31, 0
                                        ; implicit-def: $sgpr33
	s_set_inst_prefetch_distance 0x1
	s_branch .LBB349_153
	.p2align	6
.LBB349_151:                            ;   in Loop: Header=BB349_153 Depth=1
	v_add_co_u32 v23, vcc_lo, v19, s0
	v_add_co_ci_u32_e32 v24, vcc_lo, s1, v20, vcc_lo
	v_add_co_u32 v27, vcc_lo, v21, s0
	v_add_co_ci_u32_e32 v28, vcc_lo, s1, v22, vcc_lo
	s_add_u32 s4, s0, 1
	s_clause 0x1
	global_load_u8 v23, v[23:24], off
	global_load_u8 v24, v[27:28], off
	s_addc_u32 s5, s1, 0
	s_and_not1_b32 s33, s33, exec_lo
	s_waitcnt vmcnt(0)
	v_cmp_ne_u16_e32 vcc_lo, v23, v24
	s_and_b32 s34, vcc_lo, exec_lo
	s_delay_alu instid0(SALU_CYCLE_1)
	s_or_b32 s33, s33, s34
.LBB349_152:                            ;   in Loop: Header=BB349_153 Depth=1
	v_dual_mov_b32 v24, s1 :: v_dual_mov_b32 v23, s0
	s_and_b32 s34, exec_lo, s33
	s_mov_b64 s[0:1], s[4:5]
	s_or_b32 s31, s34, s31
	s_delay_alu instid0(SALU_CYCLE_1)
	s_and_not1_b32 exec_lo, exec_lo, s31
	s_cbranch_execz .LBB349_155
.LBB349_153:                            ; =>This Inner Loop Header: Depth=1
	s_or_b32 s33, s33, exec_lo
	s_cmp_eq_u64 s[14:15], s[0:1]
	s_cbranch_scc0 .LBB349_151
; %bb.154:                              ;   in Loop: Header=BB349_153 Depth=1
	s_mov_b64 s[0:1], s[14:15]
                                        ; implicit-def: $sgpr4_sgpr5
	s_branch .LBB349_152
.LBB349_155:
	s_set_inst_prefetch_distance 0x2
	s_or_b32 exec_lo, exec_lo, s31
	v_cmp_gt_i64_e32 vcc_lo, s[14:15], v[23:24]
	s_or_not1_b32 s0, vcc_lo, exec_lo
.LBB349_156:
	s_or_b32 exec_lo, exec_lo, s28
.LBB349_157:
	s_delay_alu instid0(SALU_CYCLE_1)
	s_and_b32 s28, s0, exec_lo
.LBB349_158:
	s_or_b32 exec_lo, exec_lo, s30
	v_or_b32_e32 v19, 2, v39
	s_mov_b32 s30, exec_lo
	s_delay_alu instid0(VALU_DEP_1)
	v_cmpx_gt_u32_e64 s12, v19
	s_cbranch_execz .LBB349_169
; %bb.159:
	v_cmp_ne_u32_e32 vcc_lo, 1, v26
	s_mov_b32 s0, 0
	s_cbranch_vccnz .LBB349_168
; %bb.160:
	v_mad_u64_u32 v[19:20], null, v15, s14, s[16:17]
	s_waitcnt lgkmcnt(0)
	v_mul_lo_u32 v23, v15, s15
	v_mul_lo_u32 v24, v16, s14
	v_mad_u64_u32 v[21:22], null, v9, s14, s[16:17]
	v_mul_lo_u32 v25, v9, s15
	v_mul_lo_u32 v27, v10, s14
	s_mov_b32 s0, -1
	s_mov_b32 s29, exec_lo
	s_delay_alu instid0(VALU_DEP_4) | instskip(NEXT) | instid1(VALU_DEP_2)
	v_add3_u32 v20, v24, v20, v23
	v_add3_u32 v22, v27, v22, v25
	s_clause 0x1
	global_load_u8 v23, v[19:20], off
	global_load_u8 v24, v[21:22], off
	s_waitcnt vmcnt(0)
	v_cmpx_eq_u16_e64 v23, v24
	s_cbranch_execz .LBB349_167
; %bb.161:
	s_mov_b64 s[0:1], 1
	s_mov_b32 s31, 0
                                        ; implicit-def: $sgpr33
	s_set_inst_prefetch_distance 0x1
	s_branch .LBB349_164
	.p2align	6
.LBB349_162:                            ;   in Loop: Header=BB349_164 Depth=1
	v_add_co_u32 v23, vcc_lo, v19, s0
	v_add_co_ci_u32_e32 v24, vcc_lo, s1, v20, vcc_lo
	v_add_co_u32 v27, vcc_lo, v21, s0
	v_add_co_ci_u32_e32 v28, vcc_lo, s1, v22, vcc_lo
	s_add_u32 s4, s0, 1
	s_clause 0x1
	global_load_u8 v23, v[23:24], off
	global_load_u8 v24, v[27:28], off
	s_addc_u32 s5, s1, 0
	s_and_not1_b32 s33, s33, exec_lo
	s_waitcnt vmcnt(0)
	v_cmp_ne_u16_e32 vcc_lo, v23, v24
	s_and_b32 s34, vcc_lo, exec_lo
	s_delay_alu instid0(SALU_CYCLE_1)
	s_or_b32 s33, s33, s34
.LBB349_163:                            ;   in Loop: Header=BB349_164 Depth=1
	v_dual_mov_b32 v24, s1 :: v_dual_mov_b32 v23, s0
	s_and_b32 s34, exec_lo, s33
	s_mov_b64 s[0:1], s[4:5]
	s_or_b32 s31, s34, s31
	s_delay_alu instid0(SALU_CYCLE_1)
	s_and_not1_b32 exec_lo, exec_lo, s31
	s_cbranch_execz .LBB349_166
.LBB349_164:                            ; =>This Inner Loop Header: Depth=1
	s_or_b32 s33, s33, exec_lo
	s_cmp_eq_u64 s[14:15], s[0:1]
	s_cbranch_scc0 .LBB349_162
; %bb.165:                              ;   in Loop: Header=BB349_164 Depth=1
	s_mov_b64 s[0:1], s[14:15]
                                        ; implicit-def: $sgpr4_sgpr5
	s_branch .LBB349_163
.LBB349_166:
	s_set_inst_prefetch_distance 0x2
	s_or_b32 exec_lo, exec_lo, s31
	v_cmp_gt_i64_e32 vcc_lo, s[14:15], v[23:24]
	s_or_not1_b32 s0, vcc_lo, exec_lo
.LBB349_167:
	s_or_b32 exec_lo, exec_lo, s29
.LBB349_168:
	s_delay_alu instid0(SALU_CYCLE_1)
	s_and_b32 s29, s0, exec_lo
.LBB349_169:
	s_or_b32 exec_lo, exec_lo, s30
	v_or_b32_e32 v19, 1, v39
	s_mov_b32 s0, 0
	s_mov_b32 s30, exec_lo
	s_delay_alu instid0(VALU_DEP_1)
	v_cmpx_gt_u32_e64 s12, v19
	s_cbranch_execz .LBB349_180
; %bb.170:
	v_cmp_ne_u32_e32 vcc_lo, 1, v26
	s_cbranch_vccnz .LBB349_179
; %bb.171:
	v_mad_u64_u32 v[19:20], null, v13, s14, s[16:17]
	s_waitcnt lgkmcnt(0)
	v_mul_lo_u32 v23, v13, s15
	v_mul_lo_u32 v24, v14, s14
	v_mad_u64_u32 v[21:22], null, v15, s14, s[16:17]
	v_mul_lo_u32 v25, v15, s15
	v_mul_lo_u32 v27, v16, s14
	s_mov_b32 s0, -1
	s_mov_b32 s31, exec_lo
	s_delay_alu instid0(VALU_DEP_4) | instskip(NEXT) | instid1(VALU_DEP_2)
	v_add3_u32 v20, v24, v20, v23
	v_add3_u32 v22, v27, v22, v25
	s_clause 0x1
	global_load_u8 v23, v[19:20], off
	global_load_u8 v24, v[21:22], off
	s_waitcnt vmcnt(0)
	v_cmpx_eq_u16_e64 v23, v24
	s_cbranch_execz .LBB349_178
; %bb.172:
	s_mov_b64 s[0:1], 1
	s_mov_b32 s33, 0
                                        ; implicit-def: $sgpr34
	s_set_inst_prefetch_distance 0x1
	s_branch .LBB349_175
	.p2align	6
.LBB349_173:                            ;   in Loop: Header=BB349_175 Depth=1
	v_add_co_u32 v23, vcc_lo, v19, s0
	v_add_co_ci_u32_e32 v24, vcc_lo, s1, v20, vcc_lo
	v_add_co_u32 v27, vcc_lo, v21, s0
	v_add_co_ci_u32_e32 v28, vcc_lo, s1, v22, vcc_lo
	s_add_u32 s4, s0, 1
	s_clause 0x1
	global_load_u8 v23, v[23:24], off
	global_load_u8 v24, v[27:28], off
	s_addc_u32 s5, s1, 0
	s_and_not1_b32 s34, s34, exec_lo
	s_waitcnt vmcnt(0)
	v_cmp_ne_u16_e32 vcc_lo, v23, v24
	s_and_b32 s35, vcc_lo, exec_lo
	s_delay_alu instid0(SALU_CYCLE_1)
	s_or_b32 s34, s34, s35
.LBB349_174:                            ;   in Loop: Header=BB349_175 Depth=1
	v_dual_mov_b32 v24, s1 :: v_dual_mov_b32 v23, s0
	s_and_b32 s35, exec_lo, s34
	s_mov_b64 s[0:1], s[4:5]
	s_or_b32 s33, s35, s33
	s_delay_alu instid0(SALU_CYCLE_1)
	s_and_not1_b32 exec_lo, exec_lo, s33
	s_cbranch_execz .LBB349_177
.LBB349_175:                            ; =>This Inner Loop Header: Depth=1
	s_or_b32 s34, s34, exec_lo
	s_cmp_eq_u64 s[14:15], s[0:1]
	s_cbranch_scc0 .LBB349_173
; %bb.176:                              ;   in Loop: Header=BB349_175 Depth=1
	s_mov_b64 s[0:1], s[14:15]
                                        ; implicit-def: $sgpr4_sgpr5
	s_branch .LBB349_174
.LBB349_177:
	s_set_inst_prefetch_distance 0x2
	s_or_b32 exec_lo, exec_lo, s33
	v_cmp_gt_i64_e32 vcc_lo, s[14:15], v[23:24]
	s_or_not1_b32 s0, vcc_lo, exec_lo
.LBB349_178:
	s_or_b32 exec_lo, exec_lo, s31
.LBB349_179:
	s_delay_alu instid0(SALU_CYCLE_1)
	s_and_b32 s0, s0, exec_lo
.LBB349_180:
	s_or_b32 exec_lo, exec_lo, s30
	s_waitcnt vmcnt(0) lgkmcnt(0)
	s_barrier
	buffer_gl0_inv
	s_and_saveexec_b32 s1, s3
	s_cbranch_execz .LBB349_182
; %bb.181:
	v_add_nc_u32_e32 v17, -8, v39
	ds_load_b64 v[17:18], v17
.LBB349_182:
	s_or_b32 exec_lo, exec_lo, s1
	v_cndmask_b32_e64 v20, 0, 1, s28
	v_cndmask_b32_e64 v22, 0, 1, s7
	v_cndmask_b32_e64 v23, 0, 1, s26
	v_cndmask_b32_e64 v19, 0, 1, s29
	v_cndmask_b32_e64 v21, 0, 1, s27
	v_cndmask_b32_e64 v24, 0, 1, s6
	v_cndmask_b32_e64 v25, 0, 1, s0
	v_lshlrev_b16 v20, 8, v20
	v_lshlrev_b16 v22, 8, v22
	;; [unrolled: 1-line block ×3, first 2 shown]
	s_mov_b32 s0, 0
	v_lshlrev_b16 v25, 8, v25
	v_or_b32_e32 v19, v19, v20
	v_or_b32_e32 v20, v21, v22
	;; [unrolled: 1-line block ×3, first 2 shown]
	s_mov_b32 s6, exec_lo
	v_and_b32_e32 v23, 0xffff, v25
	v_lshlrev_b32_e32 v24, 16, v19
	v_and_b32_e32 v25, 0xffff, v20
	v_lshlrev_b32_e32 v27, 16, v21
	v_cmpx_gt_u32_e64 s12, v39
	s_cbranch_execz .LBB349_193
; %bb.183:
	v_cmp_ne_u32_e32 vcc_lo, 1, v26
	s_cbranch_vccnz .LBB349_192
; %bb.184:
	s_waitcnt lgkmcnt(0)
	v_mad_u64_u32 v[19:20], null, v17, s14, s[16:17]
	v_mul_lo_u32 v21, v17, s15
	v_mul_lo_u32 v22, v18, s14
	v_mad_u64_u32 v[17:18], null, v13, s14, s[16:17]
	v_mul_lo_u32 v26, v13, s15
	v_mul_lo_u32 v28, v14, s14
	s_mov_b32 s0, -1
	s_mov_b32 s7, exec_lo
	s_delay_alu instid0(VALU_DEP_4) | instskip(NEXT) | instid1(VALU_DEP_2)
	v_add3_u32 v20, v22, v20, v21
	v_add3_u32 v18, v28, v18, v26
	s_clause 0x1
	global_load_u8 v21, v[19:20], off
	global_load_u8 v22, v[17:18], off
	s_waitcnt vmcnt(0)
	v_cmpx_eq_u16_e64 v21, v22
	s_cbranch_execz .LBB349_191
; %bb.185:
	s_mov_b64 s[0:1], 1
	s_mov_b32 s26, 0
                                        ; implicit-def: $sgpr27
	s_set_inst_prefetch_distance 0x1
	s_branch .LBB349_188
	.p2align	6
.LBB349_186:                            ;   in Loop: Header=BB349_188 Depth=1
	v_add_co_u32 v21, vcc_lo, v19, s0
	v_add_co_ci_u32_e32 v22, vcc_lo, s1, v20, vcc_lo
	v_add_co_u32 v28, vcc_lo, v17, s0
	v_add_co_ci_u32_e32 v29, vcc_lo, s1, v18, vcc_lo
	s_add_u32 s4, s0, 1
	s_clause 0x1
	global_load_u8 v21, v[21:22], off
	global_load_u8 v22, v[28:29], off
	s_addc_u32 s5, s1, 0
	s_and_not1_b32 s27, s27, exec_lo
	s_waitcnt vmcnt(0)
	v_cmp_ne_u16_e32 vcc_lo, v21, v22
	s_and_b32 s28, vcc_lo, exec_lo
	s_delay_alu instid0(SALU_CYCLE_1)
	s_or_b32 s27, s27, s28
.LBB349_187:                            ;   in Loop: Header=BB349_188 Depth=1
	v_dual_mov_b32 v22, s1 :: v_dual_mov_b32 v21, s0
	s_and_b32 s28, exec_lo, s27
	s_mov_b64 s[0:1], s[4:5]
	s_or_b32 s26, s28, s26
	s_delay_alu instid0(SALU_CYCLE_1)
	s_and_not1_b32 exec_lo, exec_lo, s26
	s_cbranch_execz .LBB349_190
.LBB349_188:                            ; =>This Inner Loop Header: Depth=1
	s_or_b32 s27, s27, exec_lo
	s_cmp_eq_u64 s[14:15], s[0:1]
	s_cbranch_scc0 .LBB349_186
; %bb.189:                              ;   in Loop: Header=BB349_188 Depth=1
	s_mov_b64 s[0:1], s[14:15]
                                        ; implicit-def: $sgpr4_sgpr5
	s_branch .LBB349_187
.LBB349_190:
	s_set_inst_prefetch_distance 0x2
	s_or_b32 exec_lo, exec_lo, s26
	v_cmp_gt_i64_e32 vcc_lo, s[14:15], v[21:22]
	s_or_not1_b32 s0, vcc_lo, exec_lo
.LBB349_191:
	s_or_b32 exec_lo, exec_lo, s7
.LBB349_192:
	s_delay_alu instid0(SALU_CYCLE_1)
	s_and_b32 s0, s0, exec_lo
.LBB349_193:
	s_or_b32 exec_lo, exec_lo, s6
	v_or_b32_e32 v19, v23, v24
	v_or_b32_e32 v20, v25, v27
.LBB349_194:
	s_mov_b32 s6, -1
	s_cbranch_execnz .LBB349_363
.LBB349_195:
	v_cmp_gt_i64_e64 s7, s[14:15], 0
	s_and_b32 vcc_lo, exec_lo, s22
	ds_store_b64 v39, v[3:4]
	s_cbranch_vccz .LBB349_203
; %bb.196:
	v_mul_lo_u32 v19, v2, s14
	v_mul_lo_u32 v20, v1, s15
	s_waitcnt vmcnt(0) lgkmcnt(1)
	v_mad_u64_u32 v[17:18], null, v1, s14, 0
	s_mov_b32 s26, 0
	s_and_not1_b32 vcc_lo, exec_lo, s7
	s_mov_b32 s27, 0
	s_delay_alu instid0(VALU_DEP_1)
	v_add3_u32 v24, v18, v20, v19
	s_cbranch_vccnz .LBB349_206
; %bb.197:
	v_mad_u64_u32 v[18:19], null, v3, s14, s[16:17]
	v_mul_lo_u32 v22, v3, s15
	v_mul_lo_u32 v23, v4, s14
	v_add_co_u32 v20, vcc_lo, s16, v17
	v_add_co_ci_u32_e32 v21, vcc_lo, s17, v24, vcc_lo
	s_mov_b32 s27, -1
	s_mov_b32 s28, exec_lo
	s_delay_alu instid0(VALU_DEP_3)
	v_add3_u32 v19, v23, v19, v22
	s_clause 0x1
	global_load_u8 v22, v[20:21], off
	global_load_u8 v23, v[18:19], off
	s_waitcnt vmcnt(0)
	v_cmpx_eq_u16_e64 v22, v23
	s_cbranch_execz .LBB349_205
; %bb.198:
	s_mov_b64 s[0:1], 1
	s_mov_b32 s27, 0
                                        ; implicit-def: $sgpr29
	s_set_inst_prefetch_distance 0x1
	s_branch .LBB349_201
	.p2align	6
.LBB349_199:                            ;   in Loop: Header=BB349_201 Depth=1
	v_add_co_u32 v22, vcc_lo, v20, s0
	v_add_co_ci_u32_e32 v23, vcc_lo, s1, v21, vcc_lo
	v_add_co_u32 v25, vcc_lo, v18, s0
	v_add_co_ci_u32_e32 v26, vcc_lo, s1, v19, vcc_lo
	s_add_u32 s4, s0, 1
	s_clause 0x1
	global_load_u8 v22, v[22:23], off
	global_load_u8 v23, v[25:26], off
	s_addc_u32 s5, s1, 0
	s_and_not1_b32 s29, s29, exec_lo
	s_waitcnt vmcnt(0)
	v_cmp_ne_u16_e32 vcc_lo, v22, v23
	s_and_b32 s30, vcc_lo, exec_lo
	s_delay_alu instid0(SALU_CYCLE_1)
	s_or_b32 s29, s29, s30
.LBB349_200:                            ;   in Loop: Header=BB349_201 Depth=1
	v_dual_mov_b32 v23, s1 :: v_dual_mov_b32 v22, s0
	s_and_b32 s30, exec_lo, s29
	s_mov_b64 s[0:1], s[4:5]
	s_or_b32 s27, s30, s27
	s_delay_alu instid0(SALU_CYCLE_1)
	s_and_not1_b32 exec_lo, exec_lo, s27
	s_cbranch_execz .LBB349_204
.LBB349_201:                            ; =>This Inner Loop Header: Depth=1
	s_or_b32 s29, s29, exec_lo
	s_cmp_eq_u64 s[14:15], s[0:1]
	s_cbranch_scc0 .LBB349_199
; %bb.202:                              ;   in Loop: Header=BB349_201 Depth=1
	s_mov_b64 s[0:1], s[14:15]
                                        ; implicit-def: $sgpr4_sgpr5
	s_branch .LBB349_200
.LBB349_203:
                                        ; implicit-def: $sgpr0
                                        ; implicit-def: $vgpr20
	s_cbranch_execnz .LBB349_272
	s_branch .LBB349_363
.LBB349_204:
	s_set_inst_prefetch_distance 0x2
	s_or_b32 exec_lo, exec_lo, s27
	v_cmp_gt_i64_e32 vcc_lo, s[14:15], v[22:23]
	s_or_not1_b32 s27, vcc_lo, exec_lo
.LBB349_205:
	s_or_b32 exec_lo, exec_lo, s28
.LBB349_206:
	v_mul_lo_u32 v18, v8, s14
	v_mul_lo_u32 v21, v7, s15
	v_mad_u64_u32 v[19:20], null, v7, s14, 0
	s_and_not1_b32 vcc_lo, exec_lo, s7
	s_delay_alu instid0(VALU_DEP_1)
	v_add3_u32 v25, v20, v21, v18
	s_cbranch_vccnz .LBB349_215
; %bb.207:
	s_delay_alu instid0(VALU_DEP_2) | instskip(NEXT) | instid1(VALU_DEP_2)
	v_add_co_u32 v20, vcc_lo, s16, v19
	v_add_co_ci_u32_e32 v21, vcc_lo, s17, v25, vcc_lo
	v_add_co_u32 v17, vcc_lo, s16, v17
	v_add_co_ci_u32_e32 v18, vcc_lo, s17, v24, vcc_lo
	s_mov_b32 s26, -1
	s_clause 0x1
	global_load_u8 v22, v[20:21], off
	global_load_u8 v23, v[17:18], off
	s_mov_b32 s28, exec_lo
	s_waitcnt vmcnt(0)
	v_cmpx_eq_u16_e64 v22, v23
	s_cbranch_execz .LBB349_214
; %bb.208:
	s_mov_b64 s[0:1], 1
	s_mov_b32 s26, 0
                                        ; implicit-def: $sgpr29
	s_set_inst_prefetch_distance 0x1
	s_branch .LBB349_211
	.p2align	6
.LBB349_209:                            ;   in Loop: Header=BB349_211 Depth=1
	v_add_co_u32 v22, vcc_lo, v20, s0
	v_add_co_ci_u32_e32 v23, vcc_lo, s1, v21, vcc_lo
	v_add_co_u32 v26, vcc_lo, v17, s0
	v_add_co_ci_u32_e32 v27, vcc_lo, s1, v18, vcc_lo
	s_add_u32 s4, s0, 1
	s_clause 0x1
	global_load_u8 v22, v[22:23], off
	global_load_u8 v23, v[26:27], off
	s_addc_u32 s5, s1, 0
	s_and_not1_b32 s29, s29, exec_lo
	s_waitcnt vmcnt(0)
	v_cmp_ne_u16_e32 vcc_lo, v22, v23
	s_and_b32 s30, vcc_lo, exec_lo
	s_delay_alu instid0(SALU_CYCLE_1)
	s_or_b32 s29, s29, s30
.LBB349_210:                            ;   in Loop: Header=BB349_211 Depth=1
	v_dual_mov_b32 v23, s1 :: v_dual_mov_b32 v22, s0
	s_and_b32 s30, exec_lo, s29
	s_mov_b64 s[0:1], s[4:5]
	s_or_b32 s26, s30, s26
	s_delay_alu instid0(SALU_CYCLE_1)
	s_and_not1_b32 exec_lo, exec_lo, s26
	s_cbranch_execz .LBB349_213
.LBB349_211:                            ; =>This Inner Loop Header: Depth=1
	s_or_b32 s29, s29, exec_lo
	s_cmp_eq_u64 s[14:15], s[0:1]
	s_cbranch_scc0 .LBB349_209
; %bb.212:                              ;   in Loop: Header=BB349_211 Depth=1
	s_mov_b64 s[0:1], s[14:15]
                                        ; implicit-def: $sgpr4_sgpr5
	s_branch .LBB349_210
.LBB349_213:
	s_set_inst_prefetch_distance 0x2
	s_or_b32 exec_lo, exec_lo, s26
	v_cmp_gt_i64_e32 vcc_lo, s[14:15], v[22:23]
	s_or_not1_b32 s26, vcc_lo, exec_lo
.LBB349_214:
	s_or_b32 exec_lo, exec_lo, s28
.LBB349_215:
	v_mul_lo_u32 v20, v6, s14
	v_mul_lo_u32 v21, v5, s15
	v_mad_u64_u32 v[17:18], null, v5, s14, 0
	s_mov_b32 s28, 0
	s_and_not1_b32 vcc_lo, exec_lo, s7
	s_mov_b32 s29, 0
	s_delay_alu instid0(VALU_DEP_1)
	v_add3_u32 v26, v18, v21, v20
	s_cbranch_vccnz .LBB349_224
; %bb.216:
	s_delay_alu instid0(VALU_DEP_2) | instskip(NEXT) | instid1(VALU_DEP_2)
	v_add_co_u32 v20, vcc_lo, s16, v17
	v_add_co_ci_u32_e32 v21, vcc_lo, s17, v26, vcc_lo
	v_add_co_u32 v18, vcc_lo, s16, v19
	v_add_co_ci_u32_e32 v19, vcc_lo, s17, v25, vcc_lo
	s_mov_b32 s29, -1
	s_clause 0x1
	global_load_u8 v22, v[20:21], off
	global_load_u8 v23, v[18:19], off
	s_mov_b32 s30, exec_lo
	s_waitcnt vmcnt(0)
	v_cmpx_eq_u16_e64 v22, v23
	s_cbranch_execz .LBB349_223
; %bb.217:
	s_mov_b64 s[0:1], 1
	s_mov_b32 s29, 0
                                        ; implicit-def: $sgpr31
	s_set_inst_prefetch_distance 0x1
	s_branch .LBB349_220
	.p2align	6
.LBB349_218:                            ;   in Loop: Header=BB349_220 Depth=1
	v_add_co_u32 v22, vcc_lo, v20, s0
	v_add_co_ci_u32_e32 v23, vcc_lo, s1, v21, vcc_lo
	v_add_co_u32 v24, vcc_lo, v18, s0
	v_add_co_ci_u32_e32 v25, vcc_lo, s1, v19, vcc_lo
	s_add_u32 s4, s0, 1
	s_clause 0x1
	global_load_u8 v22, v[22:23], off
	global_load_u8 v23, v[24:25], off
	s_addc_u32 s5, s1, 0
	s_and_not1_b32 s31, s31, exec_lo
	s_waitcnt vmcnt(0)
	v_cmp_ne_u16_e32 vcc_lo, v22, v23
	s_and_b32 s33, vcc_lo, exec_lo
	s_delay_alu instid0(SALU_CYCLE_1)
	s_or_b32 s31, s31, s33
.LBB349_219:                            ;   in Loop: Header=BB349_220 Depth=1
	v_dual_mov_b32 v23, s1 :: v_dual_mov_b32 v22, s0
	s_and_b32 s33, exec_lo, s31
	s_mov_b64 s[0:1], s[4:5]
	s_or_b32 s29, s33, s29
	s_delay_alu instid0(SALU_CYCLE_1)
	s_and_not1_b32 exec_lo, exec_lo, s29
	s_cbranch_execz .LBB349_222
.LBB349_220:                            ; =>This Inner Loop Header: Depth=1
	s_or_b32 s31, s31, exec_lo
	s_cmp_eq_u64 s[14:15], s[0:1]
	s_cbranch_scc0 .LBB349_218
; %bb.221:                              ;   in Loop: Header=BB349_220 Depth=1
	s_mov_b64 s[0:1], s[14:15]
                                        ; implicit-def: $sgpr4_sgpr5
	s_branch .LBB349_219
.LBB349_222:
	s_set_inst_prefetch_distance 0x2
	s_or_b32 exec_lo, exec_lo, s29
	v_cmp_gt_i64_e32 vcc_lo, s[14:15], v[22:23]
	s_or_not1_b32 s29, vcc_lo, exec_lo
.LBB349_223:
	s_or_b32 exec_lo, exec_lo, s30
.LBB349_224:
	v_mul_lo_u32 v18, v12, s14
	v_mul_lo_u32 v21, v11, s15
	v_mad_u64_u32 v[19:20], null, v11, s14, 0
	s_and_not1_b32 vcc_lo, exec_lo, s7
	s_delay_alu instid0(VALU_DEP_1)
	v_add3_u32 v24, v20, v21, v18
	s_cbranch_vccnz .LBB349_233
; %bb.225:
	s_delay_alu instid0(VALU_DEP_2) | instskip(NEXT) | instid1(VALU_DEP_2)
	v_add_co_u32 v20, vcc_lo, s16, v19
	v_add_co_ci_u32_e32 v21, vcc_lo, s17, v24, vcc_lo
	v_add_co_u32 v17, vcc_lo, s16, v17
	v_add_co_ci_u32_e32 v18, vcc_lo, s17, v26, vcc_lo
	s_mov_b32 s28, -1
	s_clause 0x1
	global_load_u8 v22, v[20:21], off
	global_load_u8 v23, v[17:18], off
	s_mov_b32 s30, exec_lo
	s_waitcnt vmcnt(0)
	v_cmpx_eq_u16_e64 v22, v23
	s_cbranch_execz .LBB349_232
; %bb.226:
	s_mov_b64 s[0:1], 1
	s_mov_b32 s28, 0
                                        ; implicit-def: $sgpr31
	s_set_inst_prefetch_distance 0x1
	s_branch .LBB349_229
	.p2align	6
.LBB349_227:                            ;   in Loop: Header=BB349_229 Depth=1
	v_add_co_u32 v22, vcc_lo, v20, s0
	v_add_co_ci_u32_e32 v23, vcc_lo, s1, v21, vcc_lo
	v_add_co_u32 v25, vcc_lo, v17, s0
	v_add_co_ci_u32_e32 v26, vcc_lo, s1, v18, vcc_lo
	s_add_u32 s4, s0, 1
	s_clause 0x1
	global_load_u8 v22, v[22:23], off
	global_load_u8 v23, v[25:26], off
	s_addc_u32 s5, s1, 0
	s_and_not1_b32 s31, s31, exec_lo
	s_waitcnt vmcnt(0)
	v_cmp_ne_u16_e32 vcc_lo, v22, v23
	s_and_b32 s33, vcc_lo, exec_lo
	s_delay_alu instid0(SALU_CYCLE_1)
	s_or_b32 s31, s31, s33
.LBB349_228:                            ;   in Loop: Header=BB349_229 Depth=1
	v_dual_mov_b32 v23, s1 :: v_dual_mov_b32 v22, s0
	s_and_b32 s33, exec_lo, s31
	s_mov_b64 s[0:1], s[4:5]
	s_or_b32 s28, s33, s28
	s_delay_alu instid0(SALU_CYCLE_1)
	s_and_not1_b32 exec_lo, exec_lo, s28
	s_cbranch_execz .LBB349_231
.LBB349_229:                            ; =>This Inner Loop Header: Depth=1
	s_or_b32 s31, s31, exec_lo
	s_cmp_eq_u64 s[14:15], s[0:1]
	s_cbranch_scc0 .LBB349_227
; %bb.230:                              ;   in Loop: Header=BB349_229 Depth=1
	s_mov_b64 s[0:1], s[14:15]
                                        ; implicit-def: $sgpr4_sgpr5
	s_branch .LBB349_228
.LBB349_231:
	s_set_inst_prefetch_distance 0x2
	s_or_b32 exec_lo, exec_lo, s28
	v_cmp_gt_i64_e32 vcc_lo, s[14:15], v[22:23]
	s_or_not1_b32 s28, vcc_lo, exec_lo
.LBB349_232:
	s_or_b32 exec_lo, exec_lo, s30
.LBB349_233:
	v_mul_lo_u32 v20, v10, s14
	v_mul_lo_u32 v21, v9, s15
	v_mad_u64_u32 v[17:18], null, v9, s14, 0
	s_mov_b32 s30, 0
	s_and_not1_b32 vcc_lo, exec_lo, s7
	s_mov_b32 s31, 0
	s_delay_alu instid0(VALU_DEP_1)
	v_add3_u32 v26, v18, v21, v20
	s_cbranch_vccnz .LBB349_242
; %bb.234:
	s_delay_alu instid0(VALU_DEP_2) | instskip(NEXT) | instid1(VALU_DEP_2)
	v_add_co_u32 v20, vcc_lo, s16, v17
	v_add_co_ci_u32_e32 v21, vcc_lo, s17, v26, vcc_lo
	v_add_co_u32 v18, vcc_lo, s16, v19
	v_add_co_ci_u32_e32 v19, vcc_lo, s17, v24, vcc_lo
	s_mov_b32 s31, -1
	s_clause 0x1
	global_load_u8 v22, v[20:21], off
	global_load_u8 v23, v[18:19], off
	s_mov_b32 s33, exec_lo
	s_waitcnt vmcnt(0)
	v_cmpx_eq_u16_e64 v22, v23
	s_cbranch_execz .LBB349_241
; %bb.235:
	s_mov_b64 s[0:1], 1
	s_mov_b32 s31, 0
                                        ; implicit-def: $sgpr34
	s_set_inst_prefetch_distance 0x1
	s_branch .LBB349_238
	.p2align	6
.LBB349_236:                            ;   in Loop: Header=BB349_238 Depth=1
	v_add_co_u32 v22, vcc_lo, v20, s0
	v_add_co_ci_u32_e32 v23, vcc_lo, s1, v21, vcc_lo
	v_add_co_u32 v24, vcc_lo, v18, s0
	v_add_co_ci_u32_e32 v25, vcc_lo, s1, v19, vcc_lo
	s_add_u32 s4, s0, 1
	s_clause 0x1
	global_load_u8 v22, v[22:23], off
	global_load_u8 v23, v[24:25], off
	s_addc_u32 s5, s1, 0
	s_and_not1_b32 s34, s34, exec_lo
	s_waitcnt vmcnt(0)
	v_cmp_ne_u16_e32 vcc_lo, v22, v23
	s_and_b32 s35, vcc_lo, exec_lo
	s_delay_alu instid0(SALU_CYCLE_1)
	s_or_b32 s34, s34, s35
.LBB349_237:                            ;   in Loop: Header=BB349_238 Depth=1
	v_dual_mov_b32 v23, s1 :: v_dual_mov_b32 v22, s0
	s_and_b32 s35, exec_lo, s34
	s_mov_b64 s[0:1], s[4:5]
	s_or_b32 s31, s35, s31
	s_delay_alu instid0(SALU_CYCLE_1)
	s_and_not1_b32 exec_lo, exec_lo, s31
	s_cbranch_execz .LBB349_240
.LBB349_238:                            ; =>This Inner Loop Header: Depth=1
	s_or_b32 s34, s34, exec_lo
	s_cmp_eq_u64 s[14:15], s[0:1]
	s_cbranch_scc0 .LBB349_236
; %bb.239:                              ;   in Loop: Header=BB349_238 Depth=1
	s_mov_b64 s[0:1], s[14:15]
                                        ; implicit-def: $sgpr4_sgpr5
	s_branch .LBB349_237
.LBB349_240:
	s_set_inst_prefetch_distance 0x2
	s_or_b32 exec_lo, exec_lo, s31
	v_cmp_gt_i64_e32 vcc_lo, s[14:15], v[22:23]
	s_or_not1_b32 s31, vcc_lo, exec_lo
.LBB349_241:
	s_or_b32 exec_lo, exec_lo, s33
.LBB349_242:
	v_mul_lo_u32 v18, v16, s14
	v_mul_lo_u32 v21, v15, s15
	v_mad_u64_u32 v[19:20], null, v15, s14, 0
	s_and_not1_b32 vcc_lo, exec_lo, s7
	s_delay_alu instid0(VALU_DEP_1)
	v_add3_u32 v25, v20, v21, v18
	s_cbranch_vccnz .LBB349_251
; %bb.243:
	s_delay_alu instid0(VALU_DEP_2) | instskip(NEXT) | instid1(VALU_DEP_2)
	v_add_co_u32 v20, vcc_lo, s16, v19
	v_add_co_ci_u32_e32 v21, vcc_lo, s17, v25, vcc_lo
	v_add_co_u32 v17, vcc_lo, s16, v17
	v_add_co_ci_u32_e32 v18, vcc_lo, s17, v26, vcc_lo
	s_mov_b32 s30, -1
	s_clause 0x1
	global_load_u8 v22, v[20:21], off
	global_load_u8 v23, v[17:18], off
	s_mov_b32 s33, exec_lo
	s_waitcnt vmcnt(0)
	v_cmpx_eq_u16_e64 v22, v23
	s_cbranch_execz .LBB349_250
; %bb.244:
	s_mov_b64 s[0:1], 1
	s_mov_b32 s30, 0
                                        ; implicit-def: $sgpr34
	s_set_inst_prefetch_distance 0x1
	s_branch .LBB349_247
	.p2align	6
.LBB349_245:                            ;   in Loop: Header=BB349_247 Depth=1
	v_add_co_u32 v22, vcc_lo, v20, s0
	v_add_co_ci_u32_e32 v23, vcc_lo, s1, v21, vcc_lo
	v_add_co_u32 v26, vcc_lo, v17, s0
	v_add_co_ci_u32_e32 v27, vcc_lo, s1, v18, vcc_lo
	s_add_u32 s4, s0, 1
	s_clause 0x1
	global_load_u8 v22, v[22:23], off
	global_load_u8 v23, v[26:27], off
	s_addc_u32 s5, s1, 0
	s_and_not1_b32 s34, s34, exec_lo
	s_waitcnt vmcnt(0)
	v_cmp_ne_u16_e32 vcc_lo, v22, v23
	s_and_b32 s35, vcc_lo, exec_lo
	s_delay_alu instid0(SALU_CYCLE_1)
	s_or_b32 s34, s34, s35
.LBB349_246:                            ;   in Loop: Header=BB349_247 Depth=1
	v_dual_mov_b32 v23, s1 :: v_dual_mov_b32 v22, s0
	s_and_b32 s35, exec_lo, s34
	s_mov_b64 s[0:1], s[4:5]
	s_or_b32 s30, s35, s30
	s_delay_alu instid0(SALU_CYCLE_1)
	s_and_not1_b32 exec_lo, exec_lo, s30
	s_cbranch_execz .LBB349_249
.LBB349_247:                            ; =>This Inner Loop Header: Depth=1
	s_or_b32 s34, s34, exec_lo
	s_cmp_eq_u64 s[14:15], s[0:1]
	s_cbranch_scc0 .LBB349_245
; %bb.248:                              ;   in Loop: Header=BB349_247 Depth=1
	s_mov_b64 s[0:1], s[14:15]
                                        ; implicit-def: $sgpr4_sgpr5
	s_branch .LBB349_246
.LBB349_249:
	s_set_inst_prefetch_distance 0x2
	s_or_b32 exec_lo, exec_lo, s30
	v_cmp_gt_i64_e32 vcc_lo, s[14:15], v[22:23]
	s_or_not1_b32 s30, vcc_lo, exec_lo
.LBB349_250:
	s_or_b32 exec_lo, exec_lo, s33
.LBB349_251:
	v_mul_lo_u32 v20, v14, s14
	v_mul_lo_u32 v21, v13, s15
	v_mad_u64_u32 v[17:18], null, v13, s14, 0
	s_and_not1_b32 vcc_lo, exec_lo, s7
	s_mov_b32 s0, 0
	s_delay_alu instid0(VALU_DEP_1)
	v_add3_u32 v24, v18, v21, v20
	s_cbranch_vccnz .LBB349_260
; %bb.252:
	s_delay_alu instid0(VALU_DEP_2) | instskip(NEXT) | instid1(VALU_DEP_2)
	v_add_co_u32 v20, vcc_lo, s16, v17
	v_add_co_ci_u32_e32 v21, vcc_lo, s17, v24, vcc_lo
	v_add_co_u32 v18, vcc_lo, s16, v19
	v_add_co_ci_u32_e32 v19, vcc_lo, s17, v25, vcc_lo
	s_mov_b32 s0, -1
	s_clause 0x1
	global_load_u8 v22, v[20:21], off
	global_load_u8 v23, v[18:19], off
	s_mov_b32 s33, exec_lo
	s_waitcnt vmcnt(0)
	v_cmpx_eq_u16_e64 v22, v23
	s_cbranch_execz .LBB349_259
; %bb.253:
	s_mov_b64 s[0:1], 1
	s_mov_b32 s34, 0
                                        ; implicit-def: $sgpr35
	s_set_inst_prefetch_distance 0x1
	s_branch .LBB349_256
	.p2align	6
.LBB349_254:                            ;   in Loop: Header=BB349_256 Depth=1
	v_add_co_u32 v22, vcc_lo, v20, s0
	v_add_co_ci_u32_e32 v23, vcc_lo, s1, v21, vcc_lo
	v_add_co_u32 v25, vcc_lo, v18, s0
	v_add_co_ci_u32_e32 v26, vcc_lo, s1, v19, vcc_lo
	s_add_u32 s4, s0, 1
	s_clause 0x1
	global_load_u8 v22, v[22:23], off
	global_load_u8 v23, v[25:26], off
	s_addc_u32 s5, s1, 0
	s_and_not1_b32 s35, s35, exec_lo
	s_waitcnt vmcnt(0)
	v_cmp_ne_u16_e32 vcc_lo, v22, v23
	s_and_b32 s36, vcc_lo, exec_lo
	s_delay_alu instid0(SALU_CYCLE_1)
	s_or_b32 s35, s35, s36
.LBB349_255:                            ;   in Loop: Header=BB349_256 Depth=1
	v_dual_mov_b32 v23, s1 :: v_dual_mov_b32 v22, s0
	s_and_b32 s36, exec_lo, s35
	s_mov_b64 s[0:1], s[4:5]
	s_or_b32 s34, s36, s34
	s_delay_alu instid0(SALU_CYCLE_1)
	s_and_not1_b32 exec_lo, exec_lo, s34
	s_cbranch_execz .LBB349_258
.LBB349_256:                            ; =>This Inner Loop Header: Depth=1
	s_or_b32 s35, s35, exec_lo
	s_cmp_eq_u64 s[14:15], s[0:1]
	s_cbranch_scc0 .LBB349_254
; %bb.257:                              ;   in Loop: Header=BB349_256 Depth=1
	s_mov_b64 s[0:1], s[14:15]
                                        ; implicit-def: $sgpr4_sgpr5
	s_branch .LBB349_255
.LBB349_258:
	s_set_inst_prefetch_distance 0x2
	s_or_b32 exec_lo, exec_lo, s34
	v_cmp_gt_i64_e32 vcc_lo, s[14:15], v[22:23]
	s_or_not1_b32 s0, vcc_lo, exec_lo
.LBB349_259:
	s_or_b32 exec_lo, exec_lo, s33
.LBB349_260:
	v_cndmask_b32_e64 v19, 0, 1, s31
	v_cndmask_b32_e64 v20, 0, 1, s29
	;; [unrolled: 1-line block ×7, first 2 shown]
	v_lshlrev_b16 v20, 8, v20
	v_lshlrev_b16 v21, 8, v21
	;; [unrolled: 1-line block ×4, first 2 shown]
	s_waitcnt lgkmcnt(0)
	v_or_b32_e32 v20, v23, v20
	v_or_b32_e32 v21, v25, v21
	;; [unrolled: 1-line block ×4, first 2 shown]
	s_barrier
	v_and_b32_e32 v19, 0xffff, v20
	v_lshlrev_b32_e32 v20, 16, v21
	v_and_b32_e32 v21, 0xffff, v22
	v_lshlrev_b32_e32 v18, 16, v18
	buffer_gl0_inv
                                        ; implicit-def: $sgpr0
	v_or_b32_e32 v20, v19, v20
	v_or_b32_e32 v19, v21, v18
	s_and_saveexec_b32 s1, s3
	s_delay_alu instid0(SALU_CYCLE_1)
	s_xor_b32 s26, exec_lo, s1
	s_cbranch_execz .LBB349_271
; %bb.261:
	s_and_not1_b32 vcc_lo, exec_lo, s7
	s_mov_b32 s0, 0
	s_cbranch_vccnz .LBB349_270
; %bb.262:
	v_add_nc_u32_e32 v18, -8, v39
	v_add_co_u32 v17, vcc_lo, s16, v17
	s_mov_b32 s0, -1
	s_mov_b32 s27, exec_lo
	ds_load_b64 v[25:26], v18
	s_waitcnt lgkmcnt(0)
	v_mul_lo_u32 v18, v25, s15
	v_mul_lo_u32 v23, v26, s14
	v_mad_u64_u32 v[21:22], null, v25, s14, s[16:17]
	s_delay_alu instid0(VALU_DEP_1)
	v_add3_u32 v22, v23, v22, v18
	v_add_co_ci_u32_e32 v18, vcc_lo, s17, v24, vcc_lo
	s_clause 0x1
	global_load_u8 v23, v[21:22], off
	global_load_u8 v24, v[17:18], off
	s_waitcnt vmcnt(0)
	v_cmpx_eq_u16_e64 v23, v24
	s_cbranch_execz .LBB349_269
; %bb.263:
	s_mov_b64 s[0:1], 1
	s_mov_b32 s28, 0
                                        ; implicit-def: $sgpr29
	s_set_inst_prefetch_distance 0x1
	s_branch .LBB349_266
	.p2align	6
.LBB349_264:                            ;   in Loop: Header=BB349_266 Depth=1
	v_add_co_u32 v23, vcc_lo, v21, s0
	v_add_co_ci_u32_e32 v24, vcc_lo, s1, v22, vcc_lo
	v_add_co_u32 v25, vcc_lo, v17, s0
	v_add_co_ci_u32_e32 v26, vcc_lo, s1, v18, vcc_lo
	s_add_u32 s4, s0, 1
	s_clause 0x1
	global_load_u8 v23, v[23:24], off
	global_load_u8 v24, v[25:26], off
	s_addc_u32 s5, s1, 0
	s_and_not1_b32 s29, s29, exec_lo
	s_waitcnt vmcnt(0)
	v_cmp_ne_u16_e32 vcc_lo, v23, v24
	s_and_b32 s30, vcc_lo, exec_lo
	s_delay_alu instid0(SALU_CYCLE_1)
	s_or_b32 s29, s29, s30
.LBB349_265:                            ;   in Loop: Header=BB349_266 Depth=1
	v_dual_mov_b32 v24, s1 :: v_dual_mov_b32 v23, s0
	s_and_b32 s30, exec_lo, s29
	s_mov_b64 s[0:1], s[4:5]
	s_or_b32 s28, s30, s28
	s_delay_alu instid0(SALU_CYCLE_1)
	s_and_not1_b32 exec_lo, exec_lo, s28
	s_cbranch_execz .LBB349_268
.LBB349_266:                            ; =>This Inner Loop Header: Depth=1
	s_or_b32 s29, s29, exec_lo
	s_cmp_eq_u64 s[14:15], s[0:1]
	s_cbranch_scc0 .LBB349_264
; %bb.267:                              ;   in Loop: Header=BB349_266 Depth=1
	s_mov_b64 s[0:1], s[14:15]
                                        ; implicit-def: $sgpr4_sgpr5
	s_branch .LBB349_265
.LBB349_268:
	s_set_inst_prefetch_distance 0x2
	s_or_b32 exec_lo, exec_lo, s28
	v_cmp_gt_i64_e32 vcc_lo, s[14:15], v[23:24]
	s_or_not1_b32 s0, vcc_lo, exec_lo
.LBB349_269:
	s_or_b32 exec_lo, exec_lo, s27
.LBB349_270:
	s_delay_alu instid0(SALU_CYCLE_1)
	s_and_b32 s0, s0, exec_lo
	s_or_b32 s6, s6, exec_lo
.LBB349_271:
	s_or_b32 exec_lo, exec_lo, s26
	s_branch .LBB349_363
.LBB349_272:
	s_waitcnt vmcnt(0) lgkmcnt(1)
	v_or_b32_e32 v17, 7, v39
	s_mov_b32 s26, 0
	s_mov_b32 s27, 0
	s_mov_b32 s28, exec_lo
	s_delay_alu instid0(VALU_DEP_1)
	v_cmpx_gt_u32_e64 s12, v17
	s_cbranch_execz .LBB349_283
; %bb.273:
	s_and_not1_b32 vcc_lo, exec_lo, s7
	s_mov_b32 s0, 0
	s_cbranch_vccnz .LBB349_282
; %bb.274:
	v_mad_u64_u32 v[17:18], null, v1, s14, s[16:17]
	v_mul_lo_u32 v21, v1, s15
	v_mul_lo_u32 v22, v2, s14
	v_mad_u64_u32 v[19:20], null, v3, s14, s[16:17]
	v_mul_lo_u32 v23, v3, s15
	v_mul_lo_u32 v24, v4, s14
	s_mov_b32 s0, -1
	s_mov_b32 s27, exec_lo
	s_delay_alu instid0(VALU_DEP_4) | instskip(NEXT) | instid1(VALU_DEP_2)
	v_add3_u32 v18, v22, v18, v21
	v_add3_u32 v20, v24, v20, v23
	s_clause 0x1
	global_load_u8 v21, v[17:18], off
	global_load_u8 v22, v[19:20], off
	s_waitcnt vmcnt(0)
	v_cmpx_eq_u16_e64 v21, v22
	s_cbranch_execz .LBB349_281
; %bb.275:
	s_mov_b64 s[0:1], 1
	s_mov_b32 s29, 0
                                        ; implicit-def: $sgpr30
	s_set_inst_prefetch_distance 0x1
	s_branch .LBB349_278
	.p2align	6
.LBB349_276:                            ;   in Loop: Header=BB349_278 Depth=1
	v_add_co_u32 v21, vcc_lo, v17, s0
	v_add_co_ci_u32_e32 v22, vcc_lo, s1, v18, vcc_lo
	v_add_co_u32 v23, vcc_lo, v19, s0
	v_add_co_ci_u32_e32 v24, vcc_lo, s1, v20, vcc_lo
	s_add_u32 s4, s0, 1
	s_clause 0x1
	global_load_u8 v21, v[21:22], off
	global_load_u8 v22, v[23:24], off
	s_addc_u32 s5, s1, 0
	s_and_not1_b32 s30, s30, exec_lo
	s_waitcnt vmcnt(0)
	v_cmp_ne_u16_e32 vcc_lo, v21, v22
	s_and_b32 s31, vcc_lo, exec_lo
	s_delay_alu instid0(SALU_CYCLE_1)
	s_or_b32 s30, s30, s31
.LBB349_277:                            ;   in Loop: Header=BB349_278 Depth=1
	v_dual_mov_b32 v22, s1 :: v_dual_mov_b32 v21, s0
	s_and_b32 s31, exec_lo, s30
	s_mov_b64 s[0:1], s[4:5]
	s_or_b32 s29, s31, s29
	s_delay_alu instid0(SALU_CYCLE_1)
	s_and_not1_b32 exec_lo, exec_lo, s29
	s_cbranch_execz .LBB349_280
.LBB349_278:                            ; =>This Inner Loop Header: Depth=1
	s_or_b32 s30, s30, exec_lo
	s_cmp_eq_u64 s[14:15], s[0:1]
	s_cbranch_scc0 .LBB349_276
; %bb.279:                              ;   in Loop: Header=BB349_278 Depth=1
	s_mov_b64 s[0:1], s[14:15]
                                        ; implicit-def: $sgpr4_sgpr5
	s_branch .LBB349_277
.LBB349_280:
	s_set_inst_prefetch_distance 0x2
	s_or_b32 exec_lo, exec_lo, s29
	v_cmp_gt_i64_e32 vcc_lo, s[14:15], v[21:22]
	s_or_not1_b32 s0, vcc_lo, exec_lo
.LBB349_281:
	s_or_b32 exec_lo, exec_lo, s27
.LBB349_282:
	s_delay_alu instid0(SALU_CYCLE_1)
	s_and_b32 s27, s0, exec_lo
.LBB349_283:
	s_or_b32 exec_lo, exec_lo, s28
	v_or_b32_e32 v17, 6, v39
	s_mov_b32 s28, exec_lo
	s_delay_alu instid0(VALU_DEP_1)
	v_cmpx_gt_u32_e64 s12, v17
	s_cbranch_execz .LBB349_294
; %bb.284:
	s_and_not1_b32 vcc_lo, exec_lo, s7
	s_mov_b32 s0, 0
	s_cbranch_vccnz .LBB349_293
; %bb.285:
	v_mad_u64_u32 v[17:18], null, v7, s14, s[16:17]
	v_mul_lo_u32 v21, v7, s15
	v_mul_lo_u32 v22, v8, s14
	v_mad_u64_u32 v[19:20], null, v1, s14, s[16:17]
	v_mul_lo_u32 v23, v1, s15
	v_mul_lo_u32 v24, v2, s14
	s_mov_b32 s0, -1
	s_mov_b32 s26, exec_lo
	s_delay_alu instid0(VALU_DEP_4) | instskip(NEXT) | instid1(VALU_DEP_2)
	v_add3_u32 v18, v22, v18, v21
	v_add3_u32 v20, v24, v20, v23
	s_clause 0x1
	global_load_u8 v21, v[17:18], off
	global_load_u8 v22, v[19:20], off
	s_waitcnt vmcnt(0)
	v_cmpx_eq_u16_e64 v21, v22
	s_cbranch_execz .LBB349_292
; %bb.286:
	s_mov_b64 s[0:1], 1
	s_mov_b32 s29, 0
                                        ; implicit-def: $sgpr30
	s_set_inst_prefetch_distance 0x1
	s_branch .LBB349_289
	.p2align	6
.LBB349_287:                            ;   in Loop: Header=BB349_289 Depth=1
	v_add_co_u32 v21, vcc_lo, v17, s0
	v_add_co_ci_u32_e32 v22, vcc_lo, s1, v18, vcc_lo
	v_add_co_u32 v23, vcc_lo, v19, s0
	v_add_co_ci_u32_e32 v24, vcc_lo, s1, v20, vcc_lo
	s_add_u32 s4, s0, 1
	s_clause 0x1
	global_load_u8 v21, v[21:22], off
	global_load_u8 v22, v[23:24], off
	s_addc_u32 s5, s1, 0
	s_and_not1_b32 s30, s30, exec_lo
	s_waitcnt vmcnt(0)
	v_cmp_ne_u16_e32 vcc_lo, v21, v22
	s_and_b32 s31, vcc_lo, exec_lo
	s_delay_alu instid0(SALU_CYCLE_1)
	s_or_b32 s30, s30, s31
.LBB349_288:                            ;   in Loop: Header=BB349_289 Depth=1
	v_dual_mov_b32 v22, s1 :: v_dual_mov_b32 v21, s0
	s_and_b32 s31, exec_lo, s30
	s_mov_b64 s[0:1], s[4:5]
	s_or_b32 s29, s31, s29
	s_delay_alu instid0(SALU_CYCLE_1)
	s_and_not1_b32 exec_lo, exec_lo, s29
	s_cbranch_execz .LBB349_291
.LBB349_289:                            ; =>This Inner Loop Header: Depth=1
	s_or_b32 s30, s30, exec_lo
	s_cmp_eq_u64 s[14:15], s[0:1]
	s_cbranch_scc0 .LBB349_287
; %bb.290:                              ;   in Loop: Header=BB349_289 Depth=1
	s_mov_b64 s[0:1], s[14:15]
                                        ; implicit-def: $sgpr4_sgpr5
	s_branch .LBB349_288
.LBB349_291:
	s_set_inst_prefetch_distance 0x2
	s_or_b32 exec_lo, exec_lo, s29
	v_cmp_gt_i64_e32 vcc_lo, s[14:15], v[21:22]
	s_or_not1_b32 s0, vcc_lo, exec_lo
.LBB349_292:
	s_or_b32 exec_lo, exec_lo, s26
.LBB349_293:
	s_delay_alu instid0(SALU_CYCLE_1)
	s_and_b32 s26, s0, exec_lo
.LBB349_294:
	s_or_b32 exec_lo, exec_lo, s28
	v_or_b32_e32 v17, 5, v39
	s_mov_b32 s28, 0
	s_mov_b32 s29, 0
	s_mov_b32 s30, exec_lo
	s_delay_alu instid0(VALU_DEP_1)
	v_cmpx_gt_u32_e64 s12, v17
	s_cbranch_execz .LBB349_305
; %bb.295:
	s_and_not1_b32 vcc_lo, exec_lo, s7
	s_mov_b32 s0, 0
	s_cbranch_vccnz .LBB349_304
; %bb.296:
	v_mad_u64_u32 v[17:18], null, v5, s14, s[16:17]
	v_mul_lo_u32 v21, v5, s15
	v_mul_lo_u32 v22, v6, s14
	v_mad_u64_u32 v[19:20], null, v7, s14, s[16:17]
	v_mul_lo_u32 v23, v7, s15
	v_mul_lo_u32 v24, v8, s14
	s_mov_b32 s0, -1
	s_mov_b32 s29, exec_lo
	s_delay_alu instid0(VALU_DEP_4) | instskip(NEXT) | instid1(VALU_DEP_2)
	v_add3_u32 v18, v22, v18, v21
	v_add3_u32 v20, v24, v20, v23
	s_clause 0x1
	global_load_u8 v21, v[17:18], off
	global_load_u8 v22, v[19:20], off
	s_waitcnt vmcnt(0)
	v_cmpx_eq_u16_e64 v21, v22
	s_cbranch_execz .LBB349_303
; %bb.297:
	s_mov_b64 s[0:1], 1
	s_mov_b32 s31, 0
                                        ; implicit-def: $sgpr33
	s_set_inst_prefetch_distance 0x1
	s_branch .LBB349_300
	.p2align	6
.LBB349_298:                            ;   in Loop: Header=BB349_300 Depth=1
	v_add_co_u32 v21, vcc_lo, v17, s0
	v_add_co_ci_u32_e32 v22, vcc_lo, s1, v18, vcc_lo
	v_add_co_u32 v23, vcc_lo, v19, s0
	v_add_co_ci_u32_e32 v24, vcc_lo, s1, v20, vcc_lo
	s_add_u32 s4, s0, 1
	s_clause 0x1
	global_load_u8 v21, v[21:22], off
	global_load_u8 v22, v[23:24], off
	s_addc_u32 s5, s1, 0
	s_and_not1_b32 s33, s33, exec_lo
	s_waitcnt vmcnt(0)
	v_cmp_ne_u16_e32 vcc_lo, v21, v22
	s_and_b32 s34, vcc_lo, exec_lo
	s_delay_alu instid0(SALU_CYCLE_1)
	s_or_b32 s33, s33, s34
.LBB349_299:                            ;   in Loop: Header=BB349_300 Depth=1
	v_dual_mov_b32 v22, s1 :: v_dual_mov_b32 v21, s0
	s_and_b32 s34, exec_lo, s33
	s_mov_b64 s[0:1], s[4:5]
	s_or_b32 s31, s34, s31
	s_delay_alu instid0(SALU_CYCLE_1)
	s_and_not1_b32 exec_lo, exec_lo, s31
	s_cbranch_execz .LBB349_302
.LBB349_300:                            ; =>This Inner Loop Header: Depth=1
	s_or_b32 s33, s33, exec_lo
	s_cmp_eq_u64 s[14:15], s[0:1]
	s_cbranch_scc0 .LBB349_298
; %bb.301:                              ;   in Loop: Header=BB349_300 Depth=1
	s_mov_b64 s[0:1], s[14:15]
                                        ; implicit-def: $sgpr4_sgpr5
	s_branch .LBB349_299
.LBB349_302:
	s_set_inst_prefetch_distance 0x2
	s_or_b32 exec_lo, exec_lo, s31
	v_cmp_gt_i64_e32 vcc_lo, s[14:15], v[21:22]
	s_or_not1_b32 s0, vcc_lo, exec_lo
.LBB349_303:
	s_or_b32 exec_lo, exec_lo, s29
.LBB349_304:
	s_delay_alu instid0(SALU_CYCLE_1)
	s_and_b32 s29, s0, exec_lo
.LBB349_305:
	s_or_b32 exec_lo, exec_lo, s30
	v_or_b32_e32 v17, 4, v39
	s_mov_b32 s30, exec_lo
	s_delay_alu instid0(VALU_DEP_1)
	v_cmpx_gt_u32_e64 s12, v17
	s_cbranch_execz .LBB349_316
; %bb.306:
	s_and_not1_b32 vcc_lo, exec_lo, s7
	s_mov_b32 s0, 0
	s_cbranch_vccnz .LBB349_315
; %bb.307:
	v_mad_u64_u32 v[17:18], null, v11, s14, s[16:17]
	v_mul_lo_u32 v21, v11, s15
	v_mul_lo_u32 v22, v12, s14
	v_mad_u64_u32 v[19:20], null, v5, s14, s[16:17]
	v_mul_lo_u32 v23, v5, s15
	v_mul_lo_u32 v24, v6, s14
	s_mov_b32 s0, -1
	s_mov_b32 s28, exec_lo
	s_delay_alu instid0(VALU_DEP_4) | instskip(NEXT) | instid1(VALU_DEP_2)
	v_add3_u32 v18, v22, v18, v21
	v_add3_u32 v20, v24, v20, v23
	s_clause 0x1
	global_load_u8 v21, v[17:18], off
	global_load_u8 v22, v[19:20], off
	s_waitcnt vmcnt(0)
	v_cmpx_eq_u16_e64 v21, v22
	s_cbranch_execz .LBB349_314
; %bb.308:
	s_mov_b64 s[0:1], 1
	s_mov_b32 s31, 0
                                        ; implicit-def: $sgpr33
	s_set_inst_prefetch_distance 0x1
	s_branch .LBB349_311
	.p2align	6
.LBB349_309:                            ;   in Loop: Header=BB349_311 Depth=1
	v_add_co_u32 v21, vcc_lo, v17, s0
	v_add_co_ci_u32_e32 v22, vcc_lo, s1, v18, vcc_lo
	v_add_co_u32 v23, vcc_lo, v19, s0
	v_add_co_ci_u32_e32 v24, vcc_lo, s1, v20, vcc_lo
	s_add_u32 s4, s0, 1
	s_clause 0x1
	global_load_u8 v21, v[21:22], off
	global_load_u8 v22, v[23:24], off
	s_addc_u32 s5, s1, 0
	s_and_not1_b32 s33, s33, exec_lo
	s_waitcnt vmcnt(0)
	v_cmp_ne_u16_e32 vcc_lo, v21, v22
	s_and_b32 s34, vcc_lo, exec_lo
	s_delay_alu instid0(SALU_CYCLE_1)
	s_or_b32 s33, s33, s34
.LBB349_310:                            ;   in Loop: Header=BB349_311 Depth=1
	v_dual_mov_b32 v22, s1 :: v_dual_mov_b32 v21, s0
	s_and_b32 s34, exec_lo, s33
	s_mov_b64 s[0:1], s[4:5]
	s_or_b32 s31, s34, s31
	s_delay_alu instid0(SALU_CYCLE_1)
	s_and_not1_b32 exec_lo, exec_lo, s31
	s_cbranch_execz .LBB349_313
.LBB349_311:                            ; =>This Inner Loop Header: Depth=1
	s_or_b32 s33, s33, exec_lo
	s_cmp_eq_u64 s[14:15], s[0:1]
	s_cbranch_scc0 .LBB349_309
; %bb.312:                              ;   in Loop: Header=BB349_311 Depth=1
	s_mov_b64 s[0:1], s[14:15]
                                        ; implicit-def: $sgpr4_sgpr5
	s_branch .LBB349_310
.LBB349_313:
	s_set_inst_prefetch_distance 0x2
	s_or_b32 exec_lo, exec_lo, s31
	v_cmp_gt_i64_e32 vcc_lo, s[14:15], v[21:22]
	s_or_not1_b32 s0, vcc_lo, exec_lo
.LBB349_314:
	s_or_b32 exec_lo, exec_lo, s28
.LBB349_315:
	s_delay_alu instid0(SALU_CYCLE_1)
	s_and_b32 s28, s0, exec_lo
.LBB349_316:
	s_or_b32 exec_lo, exec_lo, s30
	v_or_b32_e32 v17, 3, v39
	s_mov_b32 s31, 0
	s_mov_b32 s30, 0
	s_mov_b32 s33, exec_lo
	s_delay_alu instid0(VALU_DEP_1)
	v_cmpx_gt_u32_e64 s12, v17
	s_cbranch_execz .LBB349_327
; %bb.317:
	s_and_not1_b32 vcc_lo, exec_lo, s7
	s_mov_b32 s0, 0
	s_cbranch_vccnz .LBB349_326
; %bb.318:
	v_mad_u64_u32 v[17:18], null, v9, s14, s[16:17]
	v_mul_lo_u32 v21, v9, s15
	v_mul_lo_u32 v22, v10, s14
	v_mad_u64_u32 v[19:20], null, v11, s14, s[16:17]
	v_mul_lo_u32 v23, v11, s15
	v_mul_lo_u32 v24, v12, s14
	s_mov_b32 s0, -1
	s_mov_b32 s30, exec_lo
	s_delay_alu instid0(VALU_DEP_4) | instskip(NEXT) | instid1(VALU_DEP_2)
	v_add3_u32 v18, v22, v18, v21
	v_add3_u32 v20, v24, v20, v23
	s_clause 0x1
	global_load_u8 v21, v[17:18], off
	global_load_u8 v22, v[19:20], off
	s_waitcnt vmcnt(0)
	v_cmpx_eq_u16_e64 v21, v22
	s_cbranch_execz .LBB349_325
; %bb.319:
	s_mov_b64 s[0:1], 1
	s_mov_b32 s34, 0
                                        ; implicit-def: $sgpr35
	s_set_inst_prefetch_distance 0x1
	s_branch .LBB349_322
	.p2align	6
.LBB349_320:                            ;   in Loop: Header=BB349_322 Depth=1
	v_add_co_u32 v21, vcc_lo, v17, s0
	v_add_co_ci_u32_e32 v22, vcc_lo, s1, v18, vcc_lo
	v_add_co_u32 v23, vcc_lo, v19, s0
	v_add_co_ci_u32_e32 v24, vcc_lo, s1, v20, vcc_lo
	s_add_u32 s4, s0, 1
	s_clause 0x1
	global_load_u8 v21, v[21:22], off
	global_load_u8 v22, v[23:24], off
	s_addc_u32 s5, s1, 0
	s_and_not1_b32 s35, s35, exec_lo
	s_waitcnt vmcnt(0)
	v_cmp_ne_u16_e32 vcc_lo, v21, v22
	s_and_b32 s36, vcc_lo, exec_lo
	s_delay_alu instid0(SALU_CYCLE_1)
	s_or_b32 s35, s35, s36
.LBB349_321:                            ;   in Loop: Header=BB349_322 Depth=1
	v_dual_mov_b32 v22, s1 :: v_dual_mov_b32 v21, s0
	s_and_b32 s36, exec_lo, s35
	s_mov_b64 s[0:1], s[4:5]
	s_or_b32 s34, s36, s34
	s_delay_alu instid0(SALU_CYCLE_1)
	s_and_not1_b32 exec_lo, exec_lo, s34
	s_cbranch_execz .LBB349_324
.LBB349_322:                            ; =>This Inner Loop Header: Depth=1
	s_or_b32 s35, s35, exec_lo
	s_cmp_eq_u64 s[14:15], s[0:1]
	s_cbranch_scc0 .LBB349_320
; %bb.323:                              ;   in Loop: Header=BB349_322 Depth=1
	s_mov_b64 s[0:1], s[14:15]
                                        ; implicit-def: $sgpr4_sgpr5
	s_branch .LBB349_321
.LBB349_324:
	s_set_inst_prefetch_distance 0x2
	s_or_b32 exec_lo, exec_lo, s34
	v_cmp_gt_i64_e32 vcc_lo, s[14:15], v[21:22]
	s_or_not1_b32 s0, vcc_lo, exec_lo
.LBB349_325:
	s_or_b32 exec_lo, exec_lo, s30
.LBB349_326:
	s_delay_alu instid0(SALU_CYCLE_1)
	s_and_b32 s30, s0, exec_lo
.LBB349_327:
	s_or_b32 exec_lo, exec_lo, s33
	v_or_b32_e32 v17, 2, v39
	s_mov_b32 s33, exec_lo
	s_delay_alu instid0(VALU_DEP_1)
	v_cmpx_gt_u32_e64 s12, v17
	s_cbranch_execz .LBB349_338
; %bb.328:
	s_and_not1_b32 vcc_lo, exec_lo, s7
	s_mov_b32 s0, 0
	s_cbranch_vccnz .LBB349_337
; %bb.329:
	v_mad_u64_u32 v[17:18], null, v15, s14, s[16:17]
	v_mul_lo_u32 v21, v15, s15
	v_mul_lo_u32 v22, v16, s14
	v_mad_u64_u32 v[19:20], null, v9, s14, s[16:17]
	v_mul_lo_u32 v23, v9, s15
	v_mul_lo_u32 v24, v10, s14
	s_mov_b32 s0, -1
	s_mov_b32 s31, exec_lo
	s_delay_alu instid0(VALU_DEP_4) | instskip(NEXT) | instid1(VALU_DEP_2)
	v_add3_u32 v18, v22, v18, v21
	v_add3_u32 v20, v24, v20, v23
	s_clause 0x1
	global_load_u8 v21, v[17:18], off
	global_load_u8 v22, v[19:20], off
	s_waitcnt vmcnt(0)
	v_cmpx_eq_u16_e64 v21, v22
	s_cbranch_execz .LBB349_336
; %bb.330:
	s_mov_b64 s[0:1], 1
	s_mov_b32 s34, 0
                                        ; implicit-def: $sgpr35
	s_set_inst_prefetch_distance 0x1
	s_branch .LBB349_333
	.p2align	6
.LBB349_331:                            ;   in Loop: Header=BB349_333 Depth=1
	v_add_co_u32 v21, vcc_lo, v17, s0
	v_add_co_ci_u32_e32 v22, vcc_lo, s1, v18, vcc_lo
	v_add_co_u32 v23, vcc_lo, v19, s0
	v_add_co_ci_u32_e32 v24, vcc_lo, s1, v20, vcc_lo
	s_add_u32 s4, s0, 1
	s_clause 0x1
	global_load_u8 v21, v[21:22], off
	global_load_u8 v22, v[23:24], off
	s_addc_u32 s5, s1, 0
	s_and_not1_b32 s35, s35, exec_lo
	s_waitcnt vmcnt(0)
	v_cmp_ne_u16_e32 vcc_lo, v21, v22
	s_and_b32 s36, vcc_lo, exec_lo
	s_delay_alu instid0(SALU_CYCLE_1)
	s_or_b32 s35, s35, s36
.LBB349_332:                            ;   in Loop: Header=BB349_333 Depth=1
	v_dual_mov_b32 v22, s1 :: v_dual_mov_b32 v21, s0
	s_and_b32 s36, exec_lo, s35
	s_mov_b64 s[0:1], s[4:5]
	s_or_b32 s34, s36, s34
	s_delay_alu instid0(SALU_CYCLE_1)
	s_and_not1_b32 exec_lo, exec_lo, s34
	s_cbranch_execz .LBB349_335
.LBB349_333:                            ; =>This Inner Loop Header: Depth=1
	s_or_b32 s35, s35, exec_lo
	s_cmp_eq_u64 s[14:15], s[0:1]
	s_cbranch_scc0 .LBB349_331
; %bb.334:                              ;   in Loop: Header=BB349_333 Depth=1
	s_mov_b64 s[0:1], s[14:15]
                                        ; implicit-def: $sgpr4_sgpr5
	s_branch .LBB349_332
.LBB349_335:
	s_set_inst_prefetch_distance 0x2
	s_or_b32 exec_lo, exec_lo, s34
	v_cmp_gt_i64_e32 vcc_lo, s[14:15], v[21:22]
	s_or_not1_b32 s0, vcc_lo, exec_lo
.LBB349_336:
	s_or_b32 exec_lo, exec_lo, s31
.LBB349_337:
	s_delay_alu instid0(SALU_CYCLE_1)
	s_and_b32 s31, s0, exec_lo
.LBB349_338:
	s_or_b32 exec_lo, exec_lo, s33
	v_or_b32_e32 v17, 1, v39
	s_mov_b32 s0, 0
	s_mov_b32 s33, exec_lo
	s_delay_alu instid0(VALU_DEP_1)
	v_cmpx_gt_u32_e64 s12, v17
	s_cbranch_execz .LBB349_349
; %bb.339:
	s_and_not1_b32 vcc_lo, exec_lo, s7
	s_cbranch_vccnz .LBB349_348
; %bb.340:
	v_mad_u64_u32 v[17:18], null, v13, s14, s[16:17]
	v_mul_lo_u32 v21, v13, s15
	v_mul_lo_u32 v22, v14, s14
	v_mad_u64_u32 v[19:20], null, v15, s14, s[16:17]
	v_mul_lo_u32 v23, v15, s15
	v_mul_lo_u32 v24, v16, s14
	s_mov_b32 s0, -1
	s_mov_b32 s34, exec_lo
	s_delay_alu instid0(VALU_DEP_4) | instskip(NEXT) | instid1(VALU_DEP_2)
	v_add3_u32 v18, v22, v18, v21
	v_add3_u32 v20, v24, v20, v23
	s_clause 0x1
	global_load_u8 v21, v[17:18], off
	global_load_u8 v22, v[19:20], off
	s_waitcnt vmcnt(0)
	v_cmpx_eq_u16_e64 v21, v22
	s_cbranch_execz .LBB349_347
; %bb.341:
	s_mov_b64 s[0:1], 1
	s_mov_b32 s35, 0
                                        ; implicit-def: $sgpr36
	s_set_inst_prefetch_distance 0x1
	s_branch .LBB349_344
	.p2align	6
.LBB349_342:                            ;   in Loop: Header=BB349_344 Depth=1
	v_add_co_u32 v21, vcc_lo, v17, s0
	v_add_co_ci_u32_e32 v22, vcc_lo, s1, v18, vcc_lo
	v_add_co_u32 v23, vcc_lo, v19, s0
	v_add_co_ci_u32_e32 v24, vcc_lo, s1, v20, vcc_lo
	s_add_u32 s4, s0, 1
	s_clause 0x1
	global_load_u8 v21, v[21:22], off
	global_load_u8 v22, v[23:24], off
	s_addc_u32 s5, s1, 0
	s_and_not1_b32 s36, s36, exec_lo
	s_waitcnt vmcnt(0)
	v_cmp_ne_u16_e32 vcc_lo, v21, v22
	s_and_b32 s37, vcc_lo, exec_lo
	s_delay_alu instid0(SALU_CYCLE_1)
	s_or_b32 s36, s36, s37
.LBB349_343:                            ;   in Loop: Header=BB349_344 Depth=1
	v_dual_mov_b32 v22, s1 :: v_dual_mov_b32 v21, s0
	s_and_b32 s37, exec_lo, s36
	s_mov_b64 s[0:1], s[4:5]
	s_or_b32 s35, s37, s35
	s_delay_alu instid0(SALU_CYCLE_1)
	s_and_not1_b32 exec_lo, exec_lo, s35
	s_cbranch_execz .LBB349_346
.LBB349_344:                            ; =>This Inner Loop Header: Depth=1
	s_or_b32 s36, s36, exec_lo
	s_cmp_eq_u64 s[14:15], s[0:1]
	s_cbranch_scc0 .LBB349_342
; %bb.345:                              ;   in Loop: Header=BB349_344 Depth=1
	s_mov_b64 s[0:1], s[14:15]
                                        ; implicit-def: $sgpr4_sgpr5
	s_branch .LBB349_343
.LBB349_346:
	s_set_inst_prefetch_distance 0x2
	s_or_b32 exec_lo, exec_lo, s35
	v_cmp_gt_i64_e32 vcc_lo, s[14:15], v[21:22]
	s_or_not1_b32 s0, vcc_lo, exec_lo
.LBB349_347:
	s_or_b32 exec_lo, exec_lo, s34
.LBB349_348:
	s_delay_alu instid0(SALU_CYCLE_1)
	s_and_b32 s0, s0, exec_lo
.LBB349_349:
	s_or_b32 exec_lo, exec_lo, s33
	v_cndmask_b32_e64 v18, 0, 1, s30
	v_cndmask_b32_e64 v19, 0, 1, s29
	;; [unrolled: 1-line block ×7, first 2 shown]
	v_lshlrev_b16 v19, 8, v19
	v_lshlrev_b16 v20, 8, v20
	;; [unrolled: 1-line block ×4, first 2 shown]
	s_waitcnt lgkmcnt(0)
	v_or_b32_e32 v19, v22, v19
	v_or_b32_e32 v20, v23, v20
	;; [unrolled: 1-line block ×4, first 2 shown]
	s_barrier
	v_and_b32_e32 v18, 0xffff, v19
	v_lshlrev_b32_e32 v19, 16, v20
	v_and_b32_e32 v21, 0xffff, v21
	v_lshlrev_b32_e32 v17, 16, v17
	buffer_gl0_inv
                                        ; implicit-def: $sgpr0
	v_or_b32_e32 v20, v18, v19
	v_or_b32_e32 v19, v21, v17
	s_and_saveexec_b32 s26, s3
	s_cbranch_execz .LBB349_362
; %bb.350:
	s_mov_b32 s0, 0
	s_mov_b32 s3, exec_lo
	v_cmpx_gt_u32_e64 s12, v39
	s_cbranch_execz .LBB349_361
; %bb.351:
	s_and_not1_b32 vcc_lo, exec_lo, s7
	s_cbranch_vccnz .LBB349_360
; %bb.352:
	v_add_nc_u32_e32 v17, -8, v39
	v_mul_lo_u32 v25, v13, s15
	s_mov_b32 s0, -1
	s_mov_b32 s7, exec_lo
	ds_load_b64 v[23:24], v17
	v_mad_u64_u32 v[17:18], null, v13, s14, s[16:17]
	s_waitcnt lgkmcnt(0)
	v_mul_lo_u32 v26, v23, s15
	v_mul_lo_u32 v24, v24, s14
	v_mad_u64_u32 v[21:22], null, v23, s14, s[16:17]
	v_mul_lo_u32 v23, v14, s14
	s_delay_alu instid0(VALU_DEP_2) | instskip(NEXT) | instid1(VALU_DEP_2)
	v_add3_u32 v22, v24, v22, v26
	v_add3_u32 v18, v23, v18, v25
	s_clause 0x1
	global_load_u8 v23, v[21:22], off
	global_load_u8 v24, v[17:18], off
	s_waitcnt vmcnt(0)
	v_cmpx_eq_u16_e64 v23, v24
	s_cbranch_execz .LBB349_359
; %bb.353:
	s_mov_b64 s[0:1], 1
	s_mov_b32 s16, 0
                                        ; implicit-def: $sgpr17
	s_set_inst_prefetch_distance 0x1
	s_branch .LBB349_356
	.p2align	6
.LBB349_354:                            ;   in Loop: Header=BB349_356 Depth=1
	v_add_co_u32 v23, vcc_lo, v21, s0
	v_add_co_ci_u32_e32 v24, vcc_lo, s1, v22, vcc_lo
	v_add_co_u32 v25, vcc_lo, v17, s0
	v_add_co_ci_u32_e32 v26, vcc_lo, s1, v18, vcc_lo
	s_add_u32 s4, s0, 1
	s_clause 0x1
	global_load_u8 v23, v[23:24], off
	global_load_u8 v24, v[25:26], off
	s_addc_u32 s5, s1, 0
	s_and_not1_b32 s17, s17, exec_lo
	s_waitcnt vmcnt(0)
	v_cmp_ne_u16_e32 vcc_lo, v23, v24
	s_and_b32 s27, vcc_lo, exec_lo
	s_delay_alu instid0(SALU_CYCLE_1)
	s_or_b32 s17, s17, s27
.LBB349_355:                            ;   in Loop: Header=BB349_356 Depth=1
	v_dual_mov_b32 v24, s1 :: v_dual_mov_b32 v23, s0
	s_and_b32 s27, exec_lo, s17
	s_mov_b64 s[0:1], s[4:5]
	s_or_b32 s16, s27, s16
	s_delay_alu instid0(SALU_CYCLE_1)
	s_and_not1_b32 exec_lo, exec_lo, s16
	s_cbranch_execz .LBB349_358
.LBB349_356:                            ; =>This Inner Loop Header: Depth=1
	s_or_b32 s17, s17, exec_lo
	s_cmp_eq_u64 s[14:15], s[0:1]
	s_cbranch_scc0 .LBB349_354
; %bb.357:                              ;   in Loop: Header=BB349_356 Depth=1
	s_mov_b64 s[0:1], s[14:15]
                                        ; implicit-def: $sgpr4_sgpr5
	s_branch .LBB349_355
.LBB349_358:
	s_set_inst_prefetch_distance 0x2
	s_or_b32 exec_lo, exec_lo, s16
	v_cmp_gt_i64_e32 vcc_lo, s[14:15], v[23:24]
	s_or_not1_b32 s0, vcc_lo, exec_lo
.LBB349_359:
	s_or_b32 exec_lo, exec_lo, s7
.LBB349_360:
	s_delay_alu instid0(SALU_CYCLE_1)
	s_and_b32 s0, s0, exec_lo
.LBB349_361:
	s_or_b32 exec_lo, exec_lo, s3
	s_delay_alu instid0(SALU_CYCLE_1)
	s_and_b32 s0, s0, exec_lo
	s_or_b32 s6, s6, exec_lo
.LBB349_362:
	s_or_b32 exec_lo, exec_lo, s26
.LBB349_363:
	s_and_saveexec_b32 s1, s6
	s_cbranch_execz .LBB349_365
; %bb.364:
	s_waitcnt vmcnt(0) lgkmcnt(0)
	v_and_b32_e32 v17, 0xffffff00, v19
	v_cndmask_b32_e64 v18, 0, 1, s0
	s_delay_alu instid0(VALU_DEP_1) | instskip(NEXT) | instid1(VALU_DEP_1)
	v_or_b32_e32 v17, v18, v17
	v_and_b32_e32 v17, 0xffff, v17
	s_delay_alu instid0(VALU_DEP_1)
	v_and_or_b32 v19, 0xffff0000, v19, v17
.LBB349_365:
	s_or_b32 exec_lo, exec_lo, s1
	s_delay_alu instid0(SALU_CYCLE_1)
	s_and_not1_b32 vcc_lo, exec_lo, s24
	s_cbranch_vccnz .LBB349_367
; %bb.366:
	v_cmp_gt_u32_e32 vcc_lo, s12, v39
	s_waitcnt vmcnt(0) lgkmcnt(0)
	v_or_b32_e32 v18, 1, v39
	v_and_b32_e32 v21, 0xffffff00, v20
	v_or_b32_e32 v22, 2, v39
	v_cndmask_b32_e32 v17, 0, v19, vcc_lo
	s_delay_alu instid0(VALU_DEP_4) | instskip(SKIP_1) | instid1(VALU_DEP_4)
	v_cmp_gt_u32_e32 vcc_lo, s12, v18
	v_or_b32_e32 v18, 4, v39
	v_cmp_gt_u32_e64 s0, s12, v22
	v_or_b32_e32 v22, 3, v39
	v_and_b32_e32 v17, 0xff, v17
	s_delay_alu instid0(VALU_DEP_2) | instskip(NEXT) | instid1(VALU_DEP_2)
	v_cmp_gt_u32_e64 s1, s12, v22
	v_cndmask_b32_e32 v17, v17, v19, vcc_lo
	v_cmp_gt_u32_e32 vcc_lo, s12, v18
	v_cndmask_b32_e32 v18, v21, v20, vcc_lo
	v_or_b32_e32 v21, 5, v39
	s_delay_alu instid0(VALU_DEP_2) | instskip(SKIP_1) | instid1(VALU_DEP_1)
	v_and_b32_e32 v18, 0xffff00ff, v18
	v_and_b32_e32 v17, 0xffff, v17
	v_cndmask_b32_e64 v17, v17, v19, s0
	s_delay_alu instid0(VALU_DEP_4) | instskip(SKIP_1) | instid1(VALU_DEP_3)
	v_cmp_gt_u32_e64 s0, s12, v21
	v_or_b32_e32 v21, 6, v39
	v_and_b32_e32 v17, 0xffffff, v17
	s_delay_alu instid0(VALU_DEP_3) | instskip(NEXT) | instid1(VALU_DEP_2)
	v_cndmask_b32_e64 v18, v18, v20, s0
	v_cndmask_b32_e64 v17, v17, v19, s1
	s_delay_alu instid0(VALU_DEP_1) | instskip(SKIP_2) | instid1(VALU_DEP_3)
	v_dual_cndmask_b32 v17, v17, v19 :: v_dual_and_b32 v18, 0xff00ffff, v18
	v_cmp_gt_u32_e32 vcc_lo, s12, v21
	v_or_b32_e32 v21, 7, v39
	v_cndmask_b32_e64 v17, v17, v19, s0
	s_delay_alu instid0(VALU_DEP_1) | instskip(NEXT) | instid1(VALU_DEP_1)
	v_dual_cndmask_b32 v18, v18, v20 :: v_dual_cndmask_b32 v17, v17, v19
	v_and_b32_e32 v18, 0xffffff, v18
	s_delay_alu instid0(VALU_DEP_4) | instskip(NEXT) | instid1(VALU_DEP_2)
	v_cmp_gt_u32_e32 vcc_lo, s12, v21
	v_dual_cndmask_b32 v20, v18, v20 :: v_dual_cndmask_b32 v19, v17, v19
.LBB349_367:
	s_delay_alu instid0(VALU_DEP_1) | instskip(SKIP_1) | instid1(VALU_DEP_2)
	v_and_b32_e32 v28, 0xff, v19
	s_waitcnt vmcnt(0) lgkmcnt(0)
	v_alignbit_b32 v17, v20, v19, 24
	v_bfe_u32 v30, v19, 8, 8
	v_bfe_u32 v32, v19, 16, 8
	v_and_b32_e32 v36, 0xff, v20
	v_bfe_u32 v38, v20, 8, 8
	v_and_b32_e32 v34, 0xff, v17
	v_add_nc_u32_e32 v17, v30, v28
	v_mbcnt_lo_u32_b32 v42, -1, 0
	v_bfe_u32 v41, v20, 16, 8
	v_lshrrev_b32_e32 v40, 24, v20
	v_lshrrev_b32_e32 v43, 5, v0
	v_add3_u32 v17, v17, v32, v34
	v_and_b32_e32 v18, 15, v42
	v_and_b32_e32 v21, 16, v42
	s_and_b32 vcc_lo, exec_lo, s25
	s_mov_b32 s7, -1
	v_add3_u32 v17, v17, v36, v38
	v_cmp_eq_u32_e64 s3, 0, v18
	v_cmp_lt_u32_e64 s0, 1, v18
	v_cmp_lt_u32_e64 s4, 3, v18
	v_cmp_lt_u32_e64 s1, 7, v18
	v_add3_u32 v44, v17, v41, v40
	v_or_b32_e32 v17, 31, v0
	v_cmp_eq_u32_e64 s6, 0, v21
	s_barrier
	buffer_gl0_inv
	v_cmp_eq_u32_e64 s5, v17, v0
	s_cbranch_vccz .LBB349_393
; %bb.368:
	v_mov_b32_dpp v17, v44 row_shr:1 row_mask:0xf bank_mask:0xf
	s_delay_alu instid0(VALU_DEP_1) | instskip(NEXT) | instid1(VALU_DEP_1)
	v_cndmask_b32_e64 v17, v17, 0, s3
	v_add_nc_u32_e32 v17, v17, v44
	s_delay_alu instid0(VALU_DEP_1) | instskip(NEXT) | instid1(VALU_DEP_1)
	v_mov_b32_dpp v18, v17 row_shr:2 row_mask:0xf bank_mask:0xf
	v_cndmask_b32_e64 v18, 0, v18, s0
	s_delay_alu instid0(VALU_DEP_1) | instskip(NEXT) | instid1(VALU_DEP_1)
	v_add_nc_u32_e32 v17, v17, v18
	v_mov_b32_dpp v18, v17 row_shr:4 row_mask:0xf bank_mask:0xf
	s_delay_alu instid0(VALU_DEP_1) | instskip(NEXT) | instid1(VALU_DEP_1)
	v_cndmask_b32_e64 v18, 0, v18, s4
	v_add_nc_u32_e32 v17, v17, v18
	s_delay_alu instid0(VALU_DEP_1) | instskip(NEXT) | instid1(VALU_DEP_1)
	v_mov_b32_dpp v18, v17 row_shr:8 row_mask:0xf bank_mask:0xf
	v_cndmask_b32_e64 v18, 0, v18, s1
	s_delay_alu instid0(VALU_DEP_1) | instskip(SKIP_3) | instid1(VALU_DEP_1)
	v_add_nc_u32_e32 v17, v17, v18
	ds_swizzle_b32 v18, v17 offset:swizzle(BROADCAST,32,15)
	s_waitcnt lgkmcnt(0)
	v_cndmask_b32_e64 v18, v18, 0, s6
	v_add_nc_u32_e32 v17, v17, v18
	s_and_saveexec_b32 s7, s5
	s_cbranch_execz .LBB349_370
; %bb.369:
	v_lshlrev_b32_e32 v18, 2, v43
	ds_store_b32 v18, v17
.LBB349_370:
	s_or_b32 exec_lo, exec_lo, s7
	s_delay_alu instid0(SALU_CYCLE_1)
	s_mov_b32 s7, exec_lo
	s_waitcnt lgkmcnt(0)
	s_barrier
	buffer_gl0_inv
	v_cmpx_gt_u32_e32 16, v0
	s_cbranch_execz .LBB349_372
; %bb.371:
	v_lshlrev_b32_e32 v18, 2, v0
	ds_load_b32 v21, v18
	s_waitcnt lgkmcnt(0)
	v_mov_b32_dpp v22, v21 row_shr:1 row_mask:0xf bank_mask:0xf
	s_delay_alu instid0(VALU_DEP_1) | instskip(NEXT) | instid1(VALU_DEP_1)
	v_cndmask_b32_e64 v22, v22, 0, s3
	v_add_nc_u32_e32 v21, v22, v21
	s_delay_alu instid0(VALU_DEP_1) | instskip(NEXT) | instid1(VALU_DEP_1)
	v_mov_b32_dpp v22, v21 row_shr:2 row_mask:0xf bank_mask:0xf
	v_cndmask_b32_e64 v22, 0, v22, s0
	s_delay_alu instid0(VALU_DEP_1) | instskip(NEXT) | instid1(VALU_DEP_1)
	v_add_nc_u32_e32 v21, v21, v22
	v_mov_b32_dpp v22, v21 row_shr:4 row_mask:0xf bank_mask:0xf
	s_delay_alu instid0(VALU_DEP_1) | instskip(NEXT) | instid1(VALU_DEP_1)
	v_cndmask_b32_e64 v22, 0, v22, s4
	v_add_nc_u32_e32 v21, v21, v22
	s_delay_alu instid0(VALU_DEP_1) | instskip(NEXT) | instid1(VALU_DEP_1)
	v_mov_b32_dpp v22, v21 row_shr:8 row_mask:0xf bank_mask:0xf
	v_cndmask_b32_e64 v22, 0, v22, s1
	s_delay_alu instid0(VALU_DEP_1)
	v_add_nc_u32_e32 v21, v21, v22
	ds_store_b32 v18, v21
.LBB349_372:
	s_or_b32 exec_lo, exec_lo, s7
	v_cmp_gt_u32_e32 vcc_lo, 32, v0
	s_mov_b32 s12, exec_lo
	s_waitcnt lgkmcnt(0)
	s_barrier
	buffer_gl0_inv
                                        ; implicit-def: $vgpr27
	v_cmpx_lt_u32_e32 31, v0
	s_cbranch_execz .LBB349_374
; %bb.373:
	v_lshl_add_u32 v18, v43, 2, -4
	ds_load_b32 v27, v18
	s_waitcnt lgkmcnt(0)
	v_add_nc_u32_e32 v17, v27, v17
.LBB349_374:
	s_or_b32 exec_lo, exec_lo, s12
	v_add_nc_u32_e32 v18, -1, v42
	s_delay_alu instid0(VALU_DEP_1) | instskip(NEXT) | instid1(VALU_DEP_1)
	v_cmp_gt_i32_e64 s7, 0, v18
	v_cndmask_b32_e64 v18, v18, v42, s7
	v_cmp_eq_u32_e64 s7, 0, v42
	s_delay_alu instid0(VALU_DEP_2)
	v_lshlrev_b32_e32 v18, 2, v18
	ds_bpermute_b32 v29, v18, v17
	s_and_saveexec_b32 s12, vcc_lo
	s_cbranch_execz .LBB349_392
; %bb.375:
	v_mov_b32_e32 v23, 0
	ds_load_b32 v17, v23 offset:60
	s_and_saveexec_b32 s14, s7
	s_cbranch_execz .LBB349_377
; %bb.376:
	s_add_i32 s16, s23, 32
	s_mov_b32 s17, 0
	v_mov_b32_e32 v18, 1
	s_lshl_b64 s[16:17], s[16:17], 3
	s_delay_alu instid0(SALU_CYCLE_1)
	s_add_u32 s16, s18, s16
	s_addc_u32 s17, s19, s17
	s_waitcnt lgkmcnt(0)
	global_store_b64 v23, v[17:18], s[16:17]
.LBB349_377:
	s_or_b32 exec_lo, exec_lo, s14
	v_xad_u32 v21, v42, -1, s23
	s_mov_b32 s15, 0
	s_mov_b32 s14, exec_lo
	s_delay_alu instid0(VALU_DEP_1) | instskip(NEXT) | instid1(VALU_DEP_1)
	v_add_nc_u32_e32 v22, 32, v21
	v_lshlrev_b64 v[22:23], 3, v[22:23]
	s_delay_alu instid0(VALU_DEP_1) | instskip(NEXT) | instid1(VALU_DEP_2)
	v_add_co_u32 v25, vcc_lo, s18, v22
	v_add_co_ci_u32_e32 v26, vcc_lo, s19, v23, vcc_lo
	global_load_b64 v[23:24], v[25:26], off glc
	s_waitcnt vmcnt(0)
	v_and_b32_e32 v18, 0xff, v24
	s_delay_alu instid0(VALU_DEP_1)
	v_cmpx_eq_u16_e32 0, v18
	s_cbranch_execz .LBB349_380
.LBB349_378:                            ; =>This Inner Loop Header: Depth=1
	global_load_b64 v[23:24], v[25:26], off glc
	s_waitcnt vmcnt(0)
	v_and_b32_e32 v18, 0xff, v24
	s_delay_alu instid0(VALU_DEP_1) | instskip(SKIP_1) | instid1(SALU_CYCLE_1)
	v_cmp_ne_u16_e32 vcc_lo, 0, v18
	s_or_b32 s15, vcc_lo, s15
	s_and_not1_b32 exec_lo, exec_lo, s15
	s_cbranch_execnz .LBB349_378
; %bb.379:
	s_or_b32 exec_lo, exec_lo, s15
.LBB349_380:
	s_delay_alu instid0(SALU_CYCLE_1)
	s_or_b32 exec_lo, exec_lo, s14
	v_cmp_ne_u32_e32 vcc_lo, 31, v42
	v_and_b32_e32 v22, 0xff, v24
	v_lshlrev_b32_e64 v31, v42, -1
	v_add_nc_u32_e32 v35, 2, v42
	v_add_nc_u32_e32 v45, 4, v42
	v_add_co_ci_u32_e32 v18, vcc_lo, 0, v42, vcc_lo
	v_cmp_eq_u16_e32 vcc_lo, 2, v22
	v_add_nc_u32_e32 v48, 8, v42
	v_add_nc_u32_e32 v50, 16, v42
	v_and_or_b32 v22, vcc_lo, v31, 0x80000000
	v_cmp_gt_u32_e32 vcc_lo, 30, v42
	s_delay_alu instid0(VALU_DEP_2) | instskip(SKIP_1) | instid1(VALU_DEP_2)
	v_ctz_i32_b32_e32 v22, v22
	v_cndmask_b32_e64 v26, 0, 1, vcc_lo
	v_cmp_lt_u32_e32 vcc_lo, v42, v22
	v_lshlrev_b32_e32 v18, 2, v18
	s_delay_alu instid0(VALU_DEP_3)
	v_lshlrev_b32_e32 v26, 1, v26
	ds_bpermute_b32 v25, v18, v23
	v_add_lshl_u32 v33, v26, v42, 2
	s_waitcnt lgkmcnt(0)
	v_cndmask_b32_e32 v25, 0, v25, vcc_lo
	v_cmp_gt_u32_e32 vcc_lo, 28, v42
	s_delay_alu instid0(VALU_DEP_2) | instskip(SKIP_4) | instid1(VALU_DEP_1)
	v_add_nc_u32_e32 v23, v25, v23
	v_cndmask_b32_e64 v26, 0, 1, vcc_lo
	v_cmp_le_u32_e32 vcc_lo, v35, v22
	ds_bpermute_b32 v25, v33, v23
	v_lshlrev_b32_e32 v26, 2, v26
	v_add_lshl_u32 v37, v26, v42, 2
	s_waitcnt lgkmcnt(0)
	v_cndmask_b32_e32 v25, 0, v25, vcc_lo
	v_cmp_gt_u32_e32 vcc_lo, 24, v42
	s_delay_alu instid0(VALU_DEP_2) | instskip(SKIP_4) | instid1(VALU_DEP_1)
	v_add_nc_u32_e32 v23, v23, v25
	v_cndmask_b32_e64 v26, 0, 1, vcc_lo
	v_cmp_le_u32_e32 vcc_lo, v45, v22
	ds_bpermute_b32 v25, v37, v23
	v_lshlrev_b32_e32 v26, 3, v26
	;; [unrolled: 10-line block ×3, first 2 shown]
	v_add_lshl_u32 v49, v26, v42, 2
	s_waitcnt lgkmcnt(0)
	v_cndmask_b32_e32 v25, 0, v25, vcc_lo
	v_cmp_le_u32_e32 vcc_lo, v50, v22
	s_delay_alu instid0(VALU_DEP_2) | instskip(SKIP_3) | instid1(VALU_DEP_1)
	v_add_nc_u32_e32 v23, v23, v25
	ds_bpermute_b32 v25, v49, v23
	s_waitcnt lgkmcnt(0)
	v_cndmask_b32_e32 v22, 0, v25, vcc_lo
	v_dual_mov_b32 v22, 0 :: v_dual_add_nc_u32 v23, v23, v22
	s_branch .LBB349_382
.LBB349_381:                            ;   in Loop: Header=BB349_382 Depth=1
	s_or_b32 exec_lo, exec_lo, s14
	ds_bpermute_b32 v26, v18, v23
	v_and_b32_e32 v25, 0xff, v24
	v_subrev_nc_u32_e32 v21, 32, v21
	s_delay_alu instid0(VALU_DEP_2) | instskip(SKIP_1) | instid1(VALU_DEP_1)
	v_cmp_eq_u16_e32 vcc_lo, 2, v25
	v_and_or_b32 v25, vcc_lo, v31, 0x80000000
	v_ctz_i32_b32_e32 v25, v25
	s_delay_alu instid0(VALU_DEP_1) | instskip(SKIP_3) | instid1(VALU_DEP_2)
	v_cmp_lt_u32_e32 vcc_lo, v42, v25
	s_waitcnt lgkmcnt(0)
	v_cndmask_b32_e32 v26, 0, v26, vcc_lo
	v_cmp_le_u32_e32 vcc_lo, v35, v25
	v_add_nc_u32_e32 v23, v26, v23
	ds_bpermute_b32 v26, v33, v23
	s_waitcnt lgkmcnt(0)
	v_cndmask_b32_e32 v26, 0, v26, vcc_lo
	v_cmp_le_u32_e32 vcc_lo, v45, v25
	s_delay_alu instid0(VALU_DEP_2) | instskip(SKIP_4) | instid1(VALU_DEP_2)
	v_add_nc_u32_e32 v23, v23, v26
	ds_bpermute_b32 v26, v37, v23
	s_waitcnt lgkmcnt(0)
	v_cndmask_b32_e32 v26, 0, v26, vcc_lo
	v_cmp_le_u32_e32 vcc_lo, v48, v25
	v_add_nc_u32_e32 v23, v23, v26
	ds_bpermute_b32 v26, v47, v23
	s_waitcnt lgkmcnt(0)
	v_cndmask_b32_e32 v26, 0, v26, vcc_lo
	v_cmp_le_u32_e32 vcc_lo, v50, v25
	s_delay_alu instid0(VALU_DEP_2) | instskip(SKIP_3) | instid1(VALU_DEP_1)
	v_add_nc_u32_e32 v23, v23, v26
	ds_bpermute_b32 v26, v49, v23
	s_waitcnt lgkmcnt(0)
	v_cndmask_b32_e32 v25, 0, v26, vcc_lo
	v_add3_u32 v23, v25, v46, v23
.LBB349_382:                            ; =>This Loop Header: Depth=1
                                        ;     Child Loop BB349_385 Depth 2
	v_and_b32_e32 v24, 0xff, v24
	s_delay_alu instid0(VALU_DEP_2) | instskip(NEXT) | instid1(VALU_DEP_2)
	v_mov_b32_e32 v46, v23
	v_cmp_ne_u16_e32 vcc_lo, 2, v24
	v_cndmask_b32_e64 v24, 0, 1, vcc_lo
	;;#ASMSTART
	;;#ASMEND
	s_delay_alu instid0(VALU_DEP_1)
	v_cmp_ne_u32_e32 vcc_lo, 0, v24
	s_cmp_lg_u32 vcc_lo, exec_lo
	s_cbranch_scc1 .LBB349_387
; %bb.383:                              ;   in Loop: Header=BB349_382 Depth=1
	v_lshlrev_b64 v[23:24], 3, v[21:22]
	s_mov_b32 s14, exec_lo
	s_delay_alu instid0(VALU_DEP_1) | instskip(NEXT) | instid1(VALU_DEP_2)
	v_add_co_u32 v25, vcc_lo, s18, v23
	v_add_co_ci_u32_e32 v26, vcc_lo, s19, v24, vcc_lo
	global_load_b64 v[23:24], v[25:26], off glc
	s_waitcnt vmcnt(0)
	v_and_b32_e32 v51, 0xff, v24
	s_delay_alu instid0(VALU_DEP_1)
	v_cmpx_eq_u16_e32 0, v51
	s_cbranch_execz .LBB349_381
; %bb.384:                              ;   in Loop: Header=BB349_382 Depth=1
	s_mov_b32 s15, 0
.LBB349_385:                            ;   Parent Loop BB349_382 Depth=1
                                        ; =>  This Inner Loop Header: Depth=2
	global_load_b64 v[23:24], v[25:26], off glc
	s_waitcnt vmcnt(0)
	v_and_b32_e32 v51, 0xff, v24
	s_delay_alu instid0(VALU_DEP_1) | instskip(SKIP_1) | instid1(SALU_CYCLE_1)
	v_cmp_ne_u16_e32 vcc_lo, 0, v51
	s_or_b32 s15, vcc_lo, s15
	s_and_not1_b32 exec_lo, exec_lo, s15
	s_cbranch_execnz .LBB349_385
; %bb.386:                              ;   in Loop: Header=BB349_382 Depth=1
	s_or_b32 exec_lo, exec_lo, s15
	s_branch .LBB349_381
.LBB349_387:                            ;   in Loop: Header=BB349_382 Depth=1
                                        ; implicit-def: $vgpr23
                                        ; implicit-def: $vgpr24
	s_cbranch_execz .LBB349_382
; %bb.388:
	s_and_saveexec_b32 s14, s7
	s_cbranch_execz .LBB349_390
; %bb.389:
	s_add_i32 s16, s23, 32
	s_mov_b32 s17, 0
	v_dual_mov_b32 v22, 2 :: v_dual_add_nc_u32 v21, v46, v17
	s_lshl_b64 s[16:17], s[16:17], 3
	v_mov_b32_e32 v18, 0
	v_add_nc_u32_e64 v23, 0x8400, 0
	s_add_u32 s16, s18, s16
	s_addc_u32 s17, s19, s17
	global_store_b64 v18, v[21:22], s[16:17]
	ds_store_2addr_b32 v23, v17, v46 offset1:2
.LBB349_390:
	s_or_b32 exec_lo, exec_lo, s14
	s_delay_alu instid0(SALU_CYCLE_1)
	s_and_b32 exec_lo, exec_lo, s2
	s_cbranch_execz .LBB349_392
; %bb.391:
	v_mov_b32_e32 v17, 0
	ds_store_b32 v17, v46 offset:60
.LBB349_392:
	s_or_b32 exec_lo, exec_lo, s12
	v_mov_b32_e32 v17, 0
	s_waitcnt lgkmcnt(0)
	s_waitcnt_vscnt null, 0x0
	s_barrier
	buffer_gl0_inv
	v_cndmask_b32_e64 v18, v29, v27, s7
	ds_load_b32 v17, v17 offset:60
	s_waitcnt lgkmcnt(0)
	s_barrier
	buffer_gl0_inv
	v_cndmask_b32_e64 v18, v18, 0, s2
	s_delay_alu instid0(VALU_DEP_1) | instskip(SKIP_1) | instid1(VALU_DEP_2)
	v_add_nc_u32_e32 v37, v17, v18
	v_add_nc_u32_e64 v17, 0x8400, 0
	v_add_nc_u32_e32 v35, v37, v28
	ds_load_2addr_b32 v[17:18], v17 offset1:2
	v_add_nc_u32_e32 v33, v35, v30
	s_delay_alu instid0(VALU_DEP_1) | instskip(NEXT) | instid1(VALU_DEP_1)
	v_add_nc_u32_e32 v31, v33, v32
	v_add_nc_u32_e32 v29, v31, v34
	s_delay_alu instid0(VALU_DEP_1) | instskip(NEXT) | instid1(VALU_DEP_1)
	v_add_nc_u32_e32 v27, v29, v36
	v_add_nc_u32_e32 v25, v27, v38
	s_delay_alu instid0(VALU_DEP_1)
	v_add_nc_u32_e32 v23, v25, v41
	v_lshrrev_b64 v[21:22], 24, v[19:20]
	s_branch .LBB349_403
.LBB349_393:
                                        ; implicit-def: $vgpr23
                                        ; implicit-def: $vgpr25
                                        ; implicit-def: $vgpr27
                                        ; implicit-def: $vgpr29
                                        ; implicit-def: $vgpr31
                                        ; implicit-def: $vgpr33
                                        ; implicit-def: $vgpr35
                                        ; implicit-def: $vgpr37
                                        ; implicit-def: $vgpr18
	v_lshrrev_b64 v[21:22], 24, v[19:20]
	s_and_b32 vcc_lo, exec_lo, s7
	s_cbranch_vccz .LBB349_403
; %bb.394:
	s_waitcnt lgkmcnt(0)
	v_mov_b32_dpp v17, v44 row_shr:1 row_mask:0xf bank_mask:0xf
	s_delay_alu instid0(VALU_DEP_1) | instskip(NEXT) | instid1(VALU_DEP_1)
	v_cndmask_b32_e64 v17, v17, 0, s3
	v_add_nc_u32_e32 v17, v17, v44
	s_delay_alu instid0(VALU_DEP_1) | instskip(NEXT) | instid1(VALU_DEP_1)
	v_mov_b32_dpp v18, v17 row_shr:2 row_mask:0xf bank_mask:0xf
	v_cndmask_b32_e64 v18, 0, v18, s0
	s_delay_alu instid0(VALU_DEP_1) | instskip(NEXT) | instid1(VALU_DEP_1)
	v_add_nc_u32_e32 v17, v17, v18
	v_mov_b32_dpp v18, v17 row_shr:4 row_mask:0xf bank_mask:0xf
	s_delay_alu instid0(VALU_DEP_1) | instskip(NEXT) | instid1(VALU_DEP_1)
	v_cndmask_b32_e64 v18, 0, v18, s4
	v_add_nc_u32_e32 v17, v17, v18
	s_delay_alu instid0(VALU_DEP_1) | instskip(NEXT) | instid1(VALU_DEP_1)
	v_mov_b32_dpp v18, v17 row_shr:8 row_mask:0xf bank_mask:0xf
	v_cndmask_b32_e64 v18, 0, v18, s1
	s_delay_alu instid0(VALU_DEP_1) | instskip(SKIP_3) | instid1(VALU_DEP_1)
	v_add_nc_u32_e32 v17, v17, v18
	ds_swizzle_b32 v18, v17 offset:swizzle(BROADCAST,32,15)
	s_waitcnt lgkmcnt(0)
	v_cndmask_b32_e64 v18, v18, 0, s6
	v_add_nc_u32_e32 v17, v17, v18
	s_and_saveexec_b32 s6, s5
	s_cbranch_execz .LBB349_396
; %bb.395:
	v_lshlrev_b32_e32 v18, 2, v43
	ds_store_b32 v18, v17
.LBB349_396:
	s_or_b32 exec_lo, exec_lo, s6
	s_delay_alu instid0(SALU_CYCLE_1)
	s_mov_b32 s5, exec_lo
	s_waitcnt lgkmcnt(0)
	s_barrier
	buffer_gl0_inv
	v_cmpx_gt_u32_e32 16, v0
	s_cbranch_execz .LBB349_398
; %bb.397:
	v_lshlrev_b32_e32 v18, 2, v0
	ds_load_b32 v22, v18
	s_waitcnt lgkmcnt(0)
	v_mov_b32_dpp v23, v22 row_shr:1 row_mask:0xf bank_mask:0xf
	s_delay_alu instid0(VALU_DEP_1) | instskip(NEXT) | instid1(VALU_DEP_1)
	v_cndmask_b32_e64 v23, v23, 0, s3
	v_add_nc_u32_e32 v22, v23, v22
	s_delay_alu instid0(VALU_DEP_1) | instskip(NEXT) | instid1(VALU_DEP_1)
	v_mov_b32_dpp v23, v22 row_shr:2 row_mask:0xf bank_mask:0xf
	v_cndmask_b32_e64 v23, 0, v23, s0
	s_delay_alu instid0(VALU_DEP_1) | instskip(NEXT) | instid1(VALU_DEP_1)
	v_add_nc_u32_e32 v22, v22, v23
	v_mov_b32_dpp v23, v22 row_shr:4 row_mask:0xf bank_mask:0xf
	s_delay_alu instid0(VALU_DEP_1) | instskip(NEXT) | instid1(VALU_DEP_1)
	v_cndmask_b32_e64 v23, 0, v23, s4
	v_add_nc_u32_e32 v22, v22, v23
	s_delay_alu instid0(VALU_DEP_1) | instskip(NEXT) | instid1(VALU_DEP_1)
	v_mov_b32_dpp v23, v22 row_shr:8 row_mask:0xf bank_mask:0xf
	v_cndmask_b32_e64 v23, 0, v23, s1
	s_delay_alu instid0(VALU_DEP_1)
	v_add_nc_u32_e32 v22, v22, v23
	ds_store_b32 v18, v22
.LBB349_398:
	s_or_b32 exec_lo, exec_lo, s5
	v_mov_b32_e32 v18, 0
	v_mov_b32_e32 v22, 0
	s_mov_b32 s0, exec_lo
	s_waitcnt lgkmcnt(0)
	s_barrier
	buffer_gl0_inv
	v_cmpx_lt_u32_e32 31, v0
	s_cbranch_execz .LBB349_400
; %bb.399:
	v_lshl_add_u32 v22, v43, 2, -4
	ds_load_b32 v22, v22
.LBB349_400:
	s_or_b32 exec_lo, exec_lo, s0
	v_add_nc_u32_e32 v23, -1, v42
	s_waitcnt lgkmcnt(0)
	v_add_nc_u32_e32 v17, v22, v17
	s_delay_alu instid0(VALU_DEP_2) | instskip(SKIP_1) | instid1(VALU_DEP_1)
	v_cmp_gt_i32_e32 vcc_lo, 0, v23
	v_cndmask_b32_e32 v23, v23, v42, vcc_lo
	v_lshlrev_b32_e32 v23, 2, v23
	ds_bpermute_b32 v23, v23, v17
	ds_load_b32 v17, v18 offset:60
	s_and_saveexec_b32 s0, s2
	s_cbranch_execz .LBB349_402
; %bb.401:
	v_mov_b32_e32 v24, 0
	v_mov_b32_e32 v18, 2
	s_waitcnt lgkmcnt(0)
	global_store_b64 v24, v[17:18], s[18:19] offset:256
.LBB349_402:
	s_or_b32 exec_lo, exec_lo, s0
	v_cmp_eq_u32_e32 vcc_lo, 0, v42
	s_waitcnt lgkmcnt(0)
	s_waitcnt_vscnt null, 0x0
	s_barrier
	buffer_gl0_inv
	v_cndmask_b32_e32 v18, v23, v22, vcc_lo
	s_delay_alu instid0(VALU_DEP_1) | instskip(NEXT) | instid1(VALU_DEP_1)
	v_cndmask_b32_e64 v37, v18, 0, s2
	v_dual_mov_b32 v18, 0 :: v_dual_add_nc_u32 v35, v37, v28
	s_delay_alu instid0(VALU_DEP_1) | instskip(NEXT) | instid1(VALU_DEP_1)
	v_add_nc_u32_e32 v33, v35, v30
	v_add_nc_u32_e32 v31, v33, v32
	s_delay_alu instid0(VALU_DEP_1) | instskip(NEXT) | instid1(VALU_DEP_1)
	v_add_nc_u32_e32 v29, v31, v34
	v_add_nc_u32_e32 v27, v29, v36
	;; [unrolled: 3-line block ×3, first 2 shown]
.LBB349_403:
	s_waitcnt lgkmcnt(0)
	v_cmp_gt_u32_e32 vcc_lo, 0x201, v17
	v_lshrrev_b32_e32 v43, 8, v19
	v_lshrrev_b32_e32 v42, 16, v19
	;; [unrolled: 1-line block ×4, first 2 shown]
	s_mov_b32 s0, -1
	s_cbranch_vccnz .LBB349_407
; %bb.404:
	s_and_b32 vcc_lo, exec_lo, s0
	s_cbranch_vccnz .LBB349_432
.LBB349_405:
	s_and_b32 s0, s2, s13
	s_delay_alu instid0(SALU_CYCLE_1)
	s_and_saveexec_b32 s1, s0
	s_cbranch_execnz .LBB349_452
.LBB349_406:
	s_nop 0
	s_sendmsg sendmsg(MSG_DEALLOC_VGPRS)
	s_endpgm
.LBB349_407:
	v_add_nc_u32_e32 v24, v18, v17
	s_delay_alu instid0(VALU_DEP_1) | instskip(SKIP_1) | instid1(SALU_CYCLE_1)
	v_cmp_lt_u32_e32 vcc_lo, v37, v24
	s_or_b32 s1, s22, vcc_lo
	s_and_saveexec_b32 s0, s1
	s_cbranch_execz .LBB349_410
; %bb.408:
	v_and_b32_e32 v26, 1, v19
	s_delay_alu instid0(VALU_DEP_1)
	v_cmp_eq_u32_e32 vcc_lo, 1, v26
	s_and_b32 exec_lo, exec_lo, vcc_lo
	s_cbranch_execz .LBB349_410
; %bb.409:
	v_mov_b32_e32 v38, 0
	s_lshl_b64 s[4:5], s[10:11], 3
	s_delay_alu instid0(SALU_CYCLE_1) | instskip(SKIP_1) | instid1(VALU_DEP_1)
	s_add_u32 s1, s20, s4
	s_addc_u32 s3, s21, s5
	v_lshlrev_b64 v[44:45], 3, v[37:38]
	s_delay_alu instid0(VALU_DEP_1) | instskip(NEXT) | instid1(VALU_DEP_2)
	v_add_co_u32 v44, vcc_lo, s1, v44
	v_add_co_ci_u32_e32 v45, vcc_lo, s3, v45, vcc_lo
	global_store_b64 v[44:45], v[13:14], off
.LBB349_410:
	s_or_b32 exec_lo, exec_lo, s0
	v_cmp_lt_u32_e32 vcc_lo, v35, v24
	s_or_b32 s1, s22, vcc_lo
	s_delay_alu instid0(SALU_CYCLE_1)
	s_and_saveexec_b32 s0, s1
	s_cbranch_execz .LBB349_413
; %bb.411:
	v_and_b32_e32 v26, 1, v43
	s_delay_alu instid0(VALU_DEP_1)
	v_cmp_eq_u32_e32 vcc_lo, 1, v26
	s_and_b32 exec_lo, exec_lo, vcc_lo
	s_cbranch_execz .LBB349_413
; %bb.412:
	v_mov_b32_e32 v36, 0
	s_lshl_b64 s[4:5], s[10:11], 3
	s_delay_alu instid0(SALU_CYCLE_1) | instskip(SKIP_1) | instid1(VALU_DEP_1)
	s_add_u32 s1, s20, s4
	s_addc_u32 s3, s21, s5
	v_lshlrev_b64 v[44:45], 3, v[35:36]
	s_delay_alu instid0(VALU_DEP_1) | instskip(NEXT) | instid1(VALU_DEP_2)
	v_add_co_u32 v44, vcc_lo, s1, v44
	v_add_co_ci_u32_e32 v45, vcc_lo, s3, v45, vcc_lo
	global_store_b64 v[44:45], v[15:16], off
.LBB349_413:
	s_or_b32 exec_lo, exec_lo, s0
	v_cmp_lt_u32_e32 vcc_lo, v33, v24
	s_or_b32 s1, s22, vcc_lo
	s_delay_alu instid0(SALU_CYCLE_1)
	;; [unrolled: 24-line block ×7, first 2 shown]
	s_and_saveexec_b32 s0, s1
	s_cbranch_execz .LBB349_431
; %bb.429:
	v_and_b32_e32 v24, 1, v40
	s_delay_alu instid0(VALU_DEP_1)
	v_cmp_eq_u32_e32 vcc_lo, 1, v24
	s_and_b32 exec_lo, exec_lo, vcc_lo
	s_cbranch_execz .LBB349_431
; %bb.430:
	v_mov_b32_e32 v24, 0
	s_lshl_b64 s[4:5], s[10:11], 3
	s_delay_alu instid0(SALU_CYCLE_1) | instskip(SKIP_1) | instid1(VALU_DEP_1)
	s_add_u32 s1, s20, s4
	s_addc_u32 s3, s21, s5
	v_lshlrev_b64 v[44:45], 3, v[23:24]
	s_delay_alu instid0(VALU_DEP_1) | instskip(NEXT) | instid1(VALU_DEP_2)
	v_add_co_u32 v44, vcc_lo, s1, v44
	v_add_co_ci_u32_e32 v45, vcc_lo, s3, v45, vcc_lo
	global_store_b64 v[44:45], v[3:4], off
.LBB349_431:
	s_or_b32 exec_lo, exec_lo, s0
	s_branch .LBB349_405
.LBB349_432:
	v_and_b32_e32 v19, 1, v19
	s_mov_b32 s0, exec_lo
	s_delay_alu instid0(VALU_DEP_1)
	v_cmpx_eq_u32_e32 1, v19
	s_cbranch_execz .LBB349_434
; %bb.433:
	v_sub_nc_u32_e32 v19, v37, v18
	s_delay_alu instid0(VALU_DEP_1)
	v_lshlrev_b32_e32 v19, 3, v19
	ds_store_b64 v19, v[13:14]
.LBB349_434:
	s_or_b32 exec_lo, exec_lo, s0
	v_and_b32_e32 v13, 1, v43
	s_mov_b32 s0, exec_lo
	s_delay_alu instid0(VALU_DEP_1)
	v_cmpx_eq_u32_e32 1, v13
	s_cbranch_execz .LBB349_436
; %bb.435:
	v_sub_nc_u32_e32 v13, v35, v18
	s_delay_alu instid0(VALU_DEP_1)
	v_lshlrev_b32_e32 v13, 3, v13
	ds_store_b64 v13, v[15:16]
.LBB349_436:
	s_or_b32 exec_lo, exec_lo, s0
	;; [unrolled: 12-line block ×8, first 2 shown]
	s_delay_alu instid0(SALU_CYCLE_1)
	s_mov_b32 s1, exec_lo
	s_waitcnt lgkmcnt(0)
	s_waitcnt_vscnt null, 0x0
	s_barrier
	buffer_gl0_inv
	v_cmpx_lt_u32_e64 v0, v17
	s_cbranch_execz .LBB349_451
; %bb.449:
	v_dual_mov_b32 v2, 0 :: v_dual_mov_b32 v1, v18
	s_lshl_b64 s[4:5], s[10:11], 3
	s_mov_b32 s3, 0
	s_delay_alu instid0(VALU_DEP_1) | instskip(NEXT) | instid1(VALU_DEP_1)
	v_lshlrev_b64 v[1:2], 3, v[1:2]
	v_add_co_u32 v1, vcc_lo, s4, v1
	s_delay_alu instid0(VALU_DEP_2) | instskip(NEXT) | instid1(VALU_DEP_2)
	v_add_co_ci_u32_e32 v2, vcc_lo, s5, v2, vcc_lo
	v_add_co_u32 v1, vcc_lo, s20, v1
	s_delay_alu instid0(VALU_DEP_2) | instskip(NEXT) | instid1(VALU_DEP_2)
	v_add_co_ci_u32_e32 v2, vcc_lo, s21, v2, vcc_lo
	v_add_co_u32 v1, vcc_lo, v1, v39
	s_delay_alu instid0(VALU_DEP_2)
	v_add_co_ci_u32_e32 v2, vcc_lo, 0, v2, vcc_lo
	.p2align	6
.LBB349_450:                            ; =>This Inner Loop Header: Depth=1
	ds_load_b64 v[3:4], v39
	v_add_nc_u32_e32 v0, 0x200, v0
	v_add_nc_u32_e32 v39, 0x1000, v39
	s_delay_alu instid0(VALU_DEP_2) | instskip(SKIP_4) | instid1(VALU_DEP_1)
	v_cmp_ge_u32_e32 vcc_lo, v0, v17
	s_or_b32 s3, vcc_lo, s3
	s_waitcnt lgkmcnt(0)
	global_store_b64 v[1:2], v[3:4], off
	v_add_co_u32 v1, s0, 0x1000, v1
	v_add_co_ci_u32_e64 v2, s0, 0, v2, s0
	s_and_not1_b32 exec_lo, exec_lo, s3
	s_cbranch_execnz .LBB349_450
.LBB349_451:
	s_or_b32 exec_lo, exec_lo, s1
	s_and_b32 s0, s2, s13
	s_delay_alu instid0(SALU_CYCLE_1)
	s_and_saveexec_b32 s1, s0
	s_cbranch_execz .LBB349_406
.LBB349_452:
	v_add_co_u32 v0, s0, s10, v17
	s_delay_alu instid0(VALU_DEP_1) | instskip(SKIP_1) | instid1(VALU_DEP_3)
	v_add_co_ci_u32_e64 v1, null, s11, 0, s0
	v_mov_b32_e32 v2, 0
	v_add_co_u32 v0, vcc_lo, v0, v18
	s_delay_alu instid0(VALU_DEP_3)
	v_add_co_ci_u32_e32 v1, vcc_lo, 0, v1, vcc_lo
	global_store_b64 v2, v[0:1], s[8:9]
	s_nop 0
	s_sendmsg sendmsg(MSG_DEALLOC_VGPRS)
	s_endpgm
	.section	.rodata,"a",@progbits
	.p2align	6, 0x0
	.amdhsa_kernel _ZN7rocprim17ROCPRIM_400000_NS6detail17trampoline_kernelINS0_14default_configENS1_25partition_config_selectorILNS1_17partition_subalgoE8ElNS0_10empty_typeEbEEZZNS1_14partition_implILS5_8ELb0ES3_jPlPS6_PKS6_NS0_5tupleIJS9_S6_EEENSD_IJSA_SA_EEENS0_18inequality_wrapperIZN2at6native12_GLOBAL__N_124unique_dim_cuda_templateIaEESt5tupleIJNSH_6TensorESM_SM_EERKSM_lbbbEUlllE0_EEPmJS6_EEE10hipError_tPvRmT3_T4_T5_T6_T7_T9_mT8_P12ihipStream_tbDpT10_ENKUlT_T0_E_clISt17integral_constantIbLb0EES1B_IbLb1EEEEDaS17_S18_EUlS17_E_NS1_11comp_targetILNS1_3genE9ELNS1_11target_archE1100ELNS1_3gpuE3ELNS1_3repE0EEENS1_30default_config_static_selectorELNS0_4arch9wavefront6targetE0EEEvT1_
		.amdhsa_group_segment_fixed_size 33804
		.amdhsa_private_segment_fixed_size 0
		.amdhsa_kernarg_size 136
		.amdhsa_user_sgpr_count 15
		.amdhsa_user_sgpr_dispatch_ptr 0
		.amdhsa_user_sgpr_queue_ptr 0
		.amdhsa_user_sgpr_kernarg_segment_ptr 1
		.amdhsa_user_sgpr_dispatch_id 0
		.amdhsa_user_sgpr_private_segment_size 0
		.amdhsa_wavefront_size32 1
		.amdhsa_uses_dynamic_stack 0
		.amdhsa_enable_private_segment 0
		.amdhsa_system_sgpr_workgroup_id_x 1
		.amdhsa_system_sgpr_workgroup_id_y 0
		.amdhsa_system_sgpr_workgroup_id_z 0
		.amdhsa_system_sgpr_workgroup_info 0
		.amdhsa_system_vgpr_workitem_id 0
		.amdhsa_next_free_vgpr 52
		.amdhsa_next_free_sgpr 38
		.amdhsa_reserve_vcc 1
		.amdhsa_float_round_mode_32 0
		.amdhsa_float_round_mode_16_64 0
		.amdhsa_float_denorm_mode_32 3
		.amdhsa_float_denorm_mode_16_64 3
		.amdhsa_dx10_clamp 1
		.amdhsa_ieee_mode 1
		.amdhsa_fp16_overflow 0
		.amdhsa_workgroup_processor_mode 1
		.amdhsa_memory_ordered 1
		.amdhsa_forward_progress 0
		.amdhsa_shared_vgpr_count 0
		.amdhsa_exception_fp_ieee_invalid_op 0
		.amdhsa_exception_fp_denorm_src 0
		.amdhsa_exception_fp_ieee_div_zero 0
		.amdhsa_exception_fp_ieee_overflow 0
		.amdhsa_exception_fp_ieee_underflow 0
		.amdhsa_exception_fp_ieee_inexact 0
		.amdhsa_exception_int_div_zero 0
	.end_amdhsa_kernel
	.section	.text._ZN7rocprim17ROCPRIM_400000_NS6detail17trampoline_kernelINS0_14default_configENS1_25partition_config_selectorILNS1_17partition_subalgoE8ElNS0_10empty_typeEbEEZZNS1_14partition_implILS5_8ELb0ES3_jPlPS6_PKS6_NS0_5tupleIJS9_S6_EEENSD_IJSA_SA_EEENS0_18inequality_wrapperIZN2at6native12_GLOBAL__N_124unique_dim_cuda_templateIaEESt5tupleIJNSH_6TensorESM_SM_EERKSM_lbbbEUlllE0_EEPmJS6_EEE10hipError_tPvRmT3_T4_T5_T6_T7_T9_mT8_P12ihipStream_tbDpT10_ENKUlT_T0_E_clISt17integral_constantIbLb0EES1B_IbLb1EEEEDaS17_S18_EUlS17_E_NS1_11comp_targetILNS1_3genE9ELNS1_11target_archE1100ELNS1_3gpuE3ELNS1_3repE0EEENS1_30default_config_static_selectorELNS0_4arch9wavefront6targetE0EEEvT1_,"axG",@progbits,_ZN7rocprim17ROCPRIM_400000_NS6detail17trampoline_kernelINS0_14default_configENS1_25partition_config_selectorILNS1_17partition_subalgoE8ElNS0_10empty_typeEbEEZZNS1_14partition_implILS5_8ELb0ES3_jPlPS6_PKS6_NS0_5tupleIJS9_S6_EEENSD_IJSA_SA_EEENS0_18inequality_wrapperIZN2at6native12_GLOBAL__N_124unique_dim_cuda_templateIaEESt5tupleIJNSH_6TensorESM_SM_EERKSM_lbbbEUlllE0_EEPmJS6_EEE10hipError_tPvRmT3_T4_T5_T6_T7_T9_mT8_P12ihipStream_tbDpT10_ENKUlT_T0_E_clISt17integral_constantIbLb0EES1B_IbLb1EEEEDaS17_S18_EUlS17_E_NS1_11comp_targetILNS1_3genE9ELNS1_11target_archE1100ELNS1_3gpuE3ELNS1_3repE0EEENS1_30default_config_static_selectorELNS0_4arch9wavefront6targetE0EEEvT1_,comdat
.Lfunc_end349:
	.size	_ZN7rocprim17ROCPRIM_400000_NS6detail17trampoline_kernelINS0_14default_configENS1_25partition_config_selectorILNS1_17partition_subalgoE8ElNS0_10empty_typeEbEEZZNS1_14partition_implILS5_8ELb0ES3_jPlPS6_PKS6_NS0_5tupleIJS9_S6_EEENSD_IJSA_SA_EEENS0_18inequality_wrapperIZN2at6native12_GLOBAL__N_124unique_dim_cuda_templateIaEESt5tupleIJNSH_6TensorESM_SM_EERKSM_lbbbEUlllE0_EEPmJS6_EEE10hipError_tPvRmT3_T4_T5_T6_T7_T9_mT8_P12ihipStream_tbDpT10_ENKUlT_T0_E_clISt17integral_constantIbLb0EES1B_IbLb1EEEEDaS17_S18_EUlS17_E_NS1_11comp_targetILNS1_3genE9ELNS1_11target_archE1100ELNS1_3gpuE3ELNS1_3repE0EEENS1_30default_config_static_selectorELNS0_4arch9wavefront6targetE0EEEvT1_, .Lfunc_end349-_ZN7rocprim17ROCPRIM_400000_NS6detail17trampoline_kernelINS0_14default_configENS1_25partition_config_selectorILNS1_17partition_subalgoE8ElNS0_10empty_typeEbEEZZNS1_14partition_implILS5_8ELb0ES3_jPlPS6_PKS6_NS0_5tupleIJS9_S6_EEENSD_IJSA_SA_EEENS0_18inequality_wrapperIZN2at6native12_GLOBAL__N_124unique_dim_cuda_templateIaEESt5tupleIJNSH_6TensorESM_SM_EERKSM_lbbbEUlllE0_EEPmJS6_EEE10hipError_tPvRmT3_T4_T5_T6_T7_T9_mT8_P12ihipStream_tbDpT10_ENKUlT_T0_E_clISt17integral_constantIbLb0EES1B_IbLb1EEEEDaS17_S18_EUlS17_E_NS1_11comp_targetILNS1_3genE9ELNS1_11target_archE1100ELNS1_3gpuE3ELNS1_3repE0EEENS1_30default_config_static_selectorELNS0_4arch9wavefront6targetE0EEEvT1_
                                        ; -- End function
	.section	.AMDGPU.csdata,"",@progbits
; Kernel info:
; codeLenInByte = 16344
; NumSgprs: 40
; NumVgprs: 52
; ScratchSize: 0
; MemoryBound: 0
; FloatMode: 240
; IeeeMode: 1
; LDSByteSize: 33804 bytes/workgroup (compile time only)
; SGPRBlocks: 4
; VGPRBlocks: 6
; NumSGPRsForWavesPerEU: 40
; NumVGPRsForWavesPerEU: 52
; Occupancy: 12
; WaveLimiterHint : 1
; COMPUTE_PGM_RSRC2:SCRATCH_EN: 0
; COMPUTE_PGM_RSRC2:USER_SGPR: 15
; COMPUTE_PGM_RSRC2:TRAP_HANDLER: 0
; COMPUTE_PGM_RSRC2:TGID_X_EN: 1
; COMPUTE_PGM_RSRC2:TGID_Y_EN: 0
; COMPUTE_PGM_RSRC2:TGID_Z_EN: 0
; COMPUTE_PGM_RSRC2:TIDIG_COMP_CNT: 0
	.section	.text._ZN7rocprim17ROCPRIM_400000_NS6detail17trampoline_kernelINS0_14default_configENS1_25partition_config_selectorILNS1_17partition_subalgoE8ElNS0_10empty_typeEbEEZZNS1_14partition_implILS5_8ELb0ES3_jPlPS6_PKS6_NS0_5tupleIJS9_S6_EEENSD_IJSA_SA_EEENS0_18inequality_wrapperIZN2at6native12_GLOBAL__N_124unique_dim_cuda_templateIaEESt5tupleIJNSH_6TensorESM_SM_EERKSM_lbbbEUlllE0_EEPmJS6_EEE10hipError_tPvRmT3_T4_T5_T6_T7_T9_mT8_P12ihipStream_tbDpT10_ENKUlT_T0_E_clISt17integral_constantIbLb0EES1B_IbLb1EEEEDaS17_S18_EUlS17_E_NS1_11comp_targetILNS1_3genE8ELNS1_11target_archE1030ELNS1_3gpuE2ELNS1_3repE0EEENS1_30default_config_static_selectorELNS0_4arch9wavefront6targetE0EEEvT1_,"axG",@progbits,_ZN7rocprim17ROCPRIM_400000_NS6detail17trampoline_kernelINS0_14default_configENS1_25partition_config_selectorILNS1_17partition_subalgoE8ElNS0_10empty_typeEbEEZZNS1_14partition_implILS5_8ELb0ES3_jPlPS6_PKS6_NS0_5tupleIJS9_S6_EEENSD_IJSA_SA_EEENS0_18inequality_wrapperIZN2at6native12_GLOBAL__N_124unique_dim_cuda_templateIaEESt5tupleIJNSH_6TensorESM_SM_EERKSM_lbbbEUlllE0_EEPmJS6_EEE10hipError_tPvRmT3_T4_T5_T6_T7_T9_mT8_P12ihipStream_tbDpT10_ENKUlT_T0_E_clISt17integral_constantIbLb0EES1B_IbLb1EEEEDaS17_S18_EUlS17_E_NS1_11comp_targetILNS1_3genE8ELNS1_11target_archE1030ELNS1_3gpuE2ELNS1_3repE0EEENS1_30default_config_static_selectorELNS0_4arch9wavefront6targetE0EEEvT1_,comdat
	.globl	_ZN7rocprim17ROCPRIM_400000_NS6detail17trampoline_kernelINS0_14default_configENS1_25partition_config_selectorILNS1_17partition_subalgoE8ElNS0_10empty_typeEbEEZZNS1_14partition_implILS5_8ELb0ES3_jPlPS6_PKS6_NS0_5tupleIJS9_S6_EEENSD_IJSA_SA_EEENS0_18inequality_wrapperIZN2at6native12_GLOBAL__N_124unique_dim_cuda_templateIaEESt5tupleIJNSH_6TensorESM_SM_EERKSM_lbbbEUlllE0_EEPmJS6_EEE10hipError_tPvRmT3_T4_T5_T6_T7_T9_mT8_P12ihipStream_tbDpT10_ENKUlT_T0_E_clISt17integral_constantIbLb0EES1B_IbLb1EEEEDaS17_S18_EUlS17_E_NS1_11comp_targetILNS1_3genE8ELNS1_11target_archE1030ELNS1_3gpuE2ELNS1_3repE0EEENS1_30default_config_static_selectorELNS0_4arch9wavefront6targetE0EEEvT1_ ; -- Begin function _ZN7rocprim17ROCPRIM_400000_NS6detail17trampoline_kernelINS0_14default_configENS1_25partition_config_selectorILNS1_17partition_subalgoE8ElNS0_10empty_typeEbEEZZNS1_14partition_implILS5_8ELb0ES3_jPlPS6_PKS6_NS0_5tupleIJS9_S6_EEENSD_IJSA_SA_EEENS0_18inequality_wrapperIZN2at6native12_GLOBAL__N_124unique_dim_cuda_templateIaEESt5tupleIJNSH_6TensorESM_SM_EERKSM_lbbbEUlllE0_EEPmJS6_EEE10hipError_tPvRmT3_T4_T5_T6_T7_T9_mT8_P12ihipStream_tbDpT10_ENKUlT_T0_E_clISt17integral_constantIbLb0EES1B_IbLb1EEEEDaS17_S18_EUlS17_E_NS1_11comp_targetILNS1_3genE8ELNS1_11target_archE1030ELNS1_3gpuE2ELNS1_3repE0EEENS1_30default_config_static_selectorELNS0_4arch9wavefront6targetE0EEEvT1_
	.p2align	8
	.type	_ZN7rocprim17ROCPRIM_400000_NS6detail17trampoline_kernelINS0_14default_configENS1_25partition_config_selectorILNS1_17partition_subalgoE8ElNS0_10empty_typeEbEEZZNS1_14partition_implILS5_8ELb0ES3_jPlPS6_PKS6_NS0_5tupleIJS9_S6_EEENSD_IJSA_SA_EEENS0_18inequality_wrapperIZN2at6native12_GLOBAL__N_124unique_dim_cuda_templateIaEESt5tupleIJNSH_6TensorESM_SM_EERKSM_lbbbEUlllE0_EEPmJS6_EEE10hipError_tPvRmT3_T4_T5_T6_T7_T9_mT8_P12ihipStream_tbDpT10_ENKUlT_T0_E_clISt17integral_constantIbLb0EES1B_IbLb1EEEEDaS17_S18_EUlS17_E_NS1_11comp_targetILNS1_3genE8ELNS1_11target_archE1030ELNS1_3gpuE2ELNS1_3repE0EEENS1_30default_config_static_selectorELNS0_4arch9wavefront6targetE0EEEvT1_,@function
_ZN7rocprim17ROCPRIM_400000_NS6detail17trampoline_kernelINS0_14default_configENS1_25partition_config_selectorILNS1_17partition_subalgoE8ElNS0_10empty_typeEbEEZZNS1_14partition_implILS5_8ELb0ES3_jPlPS6_PKS6_NS0_5tupleIJS9_S6_EEENSD_IJSA_SA_EEENS0_18inequality_wrapperIZN2at6native12_GLOBAL__N_124unique_dim_cuda_templateIaEESt5tupleIJNSH_6TensorESM_SM_EERKSM_lbbbEUlllE0_EEPmJS6_EEE10hipError_tPvRmT3_T4_T5_T6_T7_T9_mT8_P12ihipStream_tbDpT10_ENKUlT_T0_E_clISt17integral_constantIbLb0EES1B_IbLb1EEEEDaS17_S18_EUlS17_E_NS1_11comp_targetILNS1_3genE8ELNS1_11target_archE1030ELNS1_3gpuE2ELNS1_3repE0EEENS1_30default_config_static_selectorELNS0_4arch9wavefront6targetE0EEEvT1_: ; @_ZN7rocprim17ROCPRIM_400000_NS6detail17trampoline_kernelINS0_14default_configENS1_25partition_config_selectorILNS1_17partition_subalgoE8ElNS0_10empty_typeEbEEZZNS1_14partition_implILS5_8ELb0ES3_jPlPS6_PKS6_NS0_5tupleIJS9_S6_EEENSD_IJSA_SA_EEENS0_18inequality_wrapperIZN2at6native12_GLOBAL__N_124unique_dim_cuda_templateIaEESt5tupleIJNSH_6TensorESM_SM_EERKSM_lbbbEUlllE0_EEPmJS6_EEE10hipError_tPvRmT3_T4_T5_T6_T7_T9_mT8_P12ihipStream_tbDpT10_ENKUlT_T0_E_clISt17integral_constantIbLb0EES1B_IbLb1EEEEDaS17_S18_EUlS17_E_NS1_11comp_targetILNS1_3genE8ELNS1_11target_archE1030ELNS1_3gpuE2ELNS1_3repE0EEENS1_30default_config_static_selectorELNS0_4arch9wavefront6targetE0EEEvT1_
; %bb.0:
	.section	.rodata,"a",@progbits
	.p2align	6, 0x0
	.amdhsa_kernel _ZN7rocprim17ROCPRIM_400000_NS6detail17trampoline_kernelINS0_14default_configENS1_25partition_config_selectorILNS1_17partition_subalgoE8ElNS0_10empty_typeEbEEZZNS1_14partition_implILS5_8ELb0ES3_jPlPS6_PKS6_NS0_5tupleIJS9_S6_EEENSD_IJSA_SA_EEENS0_18inequality_wrapperIZN2at6native12_GLOBAL__N_124unique_dim_cuda_templateIaEESt5tupleIJNSH_6TensorESM_SM_EERKSM_lbbbEUlllE0_EEPmJS6_EEE10hipError_tPvRmT3_T4_T5_T6_T7_T9_mT8_P12ihipStream_tbDpT10_ENKUlT_T0_E_clISt17integral_constantIbLb0EES1B_IbLb1EEEEDaS17_S18_EUlS17_E_NS1_11comp_targetILNS1_3genE8ELNS1_11target_archE1030ELNS1_3gpuE2ELNS1_3repE0EEENS1_30default_config_static_selectorELNS0_4arch9wavefront6targetE0EEEvT1_
		.amdhsa_group_segment_fixed_size 0
		.amdhsa_private_segment_fixed_size 0
		.amdhsa_kernarg_size 136
		.amdhsa_user_sgpr_count 15
		.amdhsa_user_sgpr_dispatch_ptr 0
		.amdhsa_user_sgpr_queue_ptr 0
		.amdhsa_user_sgpr_kernarg_segment_ptr 1
		.amdhsa_user_sgpr_dispatch_id 0
		.amdhsa_user_sgpr_private_segment_size 0
		.amdhsa_wavefront_size32 1
		.amdhsa_uses_dynamic_stack 0
		.amdhsa_enable_private_segment 0
		.amdhsa_system_sgpr_workgroup_id_x 1
		.amdhsa_system_sgpr_workgroup_id_y 0
		.amdhsa_system_sgpr_workgroup_id_z 0
		.amdhsa_system_sgpr_workgroup_info 0
		.amdhsa_system_vgpr_workitem_id 0
		.amdhsa_next_free_vgpr 1
		.amdhsa_next_free_sgpr 1
		.amdhsa_reserve_vcc 0
		.amdhsa_float_round_mode_32 0
		.amdhsa_float_round_mode_16_64 0
		.amdhsa_float_denorm_mode_32 3
		.amdhsa_float_denorm_mode_16_64 3
		.amdhsa_dx10_clamp 1
		.amdhsa_ieee_mode 1
		.amdhsa_fp16_overflow 0
		.amdhsa_workgroup_processor_mode 1
		.amdhsa_memory_ordered 1
		.amdhsa_forward_progress 0
		.amdhsa_shared_vgpr_count 0
		.amdhsa_exception_fp_ieee_invalid_op 0
		.amdhsa_exception_fp_denorm_src 0
		.amdhsa_exception_fp_ieee_div_zero 0
		.amdhsa_exception_fp_ieee_overflow 0
		.amdhsa_exception_fp_ieee_underflow 0
		.amdhsa_exception_fp_ieee_inexact 0
		.amdhsa_exception_int_div_zero 0
	.end_amdhsa_kernel
	.section	.text._ZN7rocprim17ROCPRIM_400000_NS6detail17trampoline_kernelINS0_14default_configENS1_25partition_config_selectorILNS1_17partition_subalgoE8ElNS0_10empty_typeEbEEZZNS1_14partition_implILS5_8ELb0ES3_jPlPS6_PKS6_NS0_5tupleIJS9_S6_EEENSD_IJSA_SA_EEENS0_18inequality_wrapperIZN2at6native12_GLOBAL__N_124unique_dim_cuda_templateIaEESt5tupleIJNSH_6TensorESM_SM_EERKSM_lbbbEUlllE0_EEPmJS6_EEE10hipError_tPvRmT3_T4_T5_T6_T7_T9_mT8_P12ihipStream_tbDpT10_ENKUlT_T0_E_clISt17integral_constantIbLb0EES1B_IbLb1EEEEDaS17_S18_EUlS17_E_NS1_11comp_targetILNS1_3genE8ELNS1_11target_archE1030ELNS1_3gpuE2ELNS1_3repE0EEENS1_30default_config_static_selectorELNS0_4arch9wavefront6targetE0EEEvT1_,"axG",@progbits,_ZN7rocprim17ROCPRIM_400000_NS6detail17trampoline_kernelINS0_14default_configENS1_25partition_config_selectorILNS1_17partition_subalgoE8ElNS0_10empty_typeEbEEZZNS1_14partition_implILS5_8ELb0ES3_jPlPS6_PKS6_NS0_5tupleIJS9_S6_EEENSD_IJSA_SA_EEENS0_18inequality_wrapperIZN2at6native12_GLOBAL__N_124unique_dim_cuda_templateIaEESt5tupleIJNSH_6TensorESM_SM_EERKSM_lbbbEUlllE0_EEPmJS6_EEE10hipError_tPvRmT3_T4_T5_T6_T7_T9_mT8_P12ihipStream_tbDpT10_ENKUlT_T0_E_clISt17integral_constantIbLb0EES1B_IbLb1EEEEDaS17_S18_EUlS17_E_NS1_11comp_targetILNS1_3genE8ELNS1_11target_archE1030ELNS1_3gpuE2ELNS1_3repE0EEENS1_30default_config_static_selectorELNS0_4arch9wavefront6targetE0EEEvT1_,comdat
.Lfunc_end350:
	.size	_ZN7rocprim17ROCPRIM_400000_NS6detail17trampoline_kernelINS0_14default_configENS1_25partition_config_selectorILNS1_17partition_subalgoE8ElNS0_10empty_typeEbEEZZNS1_14partition_implILS5_8ELb0ES3_jPlPS6_PKS6_NS0_5tupleIJS9_S6_EEENSD_IJSA_SA_EEENS0_18inequality_wrapperIZN2at6native12_GLOBAL__N_124unique_dim_cuda_templateIaEESt5tupleIJNSH_6TensorESM_SM_EERKSM_lbbbEUlllE0_EEPmJS6_EEE10hipError_tPvRmT3_T4_T5_T6_T7_T9_mT8_P12ihipStream_tbDpT10_ENKUlT_T0_E_clISt17integral_constantIbLb0EES1B_IbLb1EEEEDaS17_S18_EUlS17_E_NS1_11comp_targetILNS1_3genE8ELNS1_11target_archE1030ELNS1_3gpuE2ELNS1_3repE0EEENS1_30default_config_static_selectorELNS0_4arch9wavefront6targetE0EEEvT1_, .Lfunc_end350-_ZN7rocprim17ROCPRIM_400000_NS6detail17trampoline_kernelINS0_14default_configENS1_25partition_config_selectorILNS1_17partition_subalgoE8ElNS0_10empty_typeEbEEZZNS1_14partition_implILS5_8ELb0ES3_jPlPS6_PKS6_NS0_5tupleIJS9_S6_EEENSD_IJSA_SA_EEENS0_18inequality_wrapperIZN2at6native12_GLOBAL__N_124unique_dim_cuda_templateIaEESt5tupleIJNSH_6TensorESM_SM_EERKSM_lbbbEUlllE0_EEPmJS6_EEE10hipError_tPvRmT3_T4_T5_T6_T7_T9_mT8_P12ihipStream_tbDpT10_ENKUlT_T0_E_clISt17integral_constantIbLb0EES1B_IbLb1EEEEDaS17_S18_EUlS17_E_NS1_11comp_targetILNS1_3genE8ELNS1_11target_archE1030ELNS1_3gpuE2ELNS1_3repE0EEENS1_30default_config_static_selectorELNS0_4arch9wavefront6targetE0EEEvT1_
                                        ; -- End function
	.section	.AMDGPU.csdata,"",@progbits
; Kernel info:
; codeLenInByte = 0
; NumSgprs: 0
; NumVgprs: 0
; ScratchSize: 0
; MemoryBound: 0
; FloatMode: 240
; IeeeMode: 1
; LDSByteSize: 0 bytes/workgroup (compile time only)
; SGPRBlocks: 0
; VGPRBlocks: 0
; NumSGPRsForWavesPerEU: 1
; NumVGPRsForWavesPerEU: 1
; Occupancy: 16
; WaveLimiterHint : 0
; COMPUTE_PGM_RSRC2:SCRATCH_EN: 0
; COMPUTE_PGM_RSRC2:USER_SGPR: 15
; COMPUTE_PGM_RSRC2:TRAP_HANDLER: 0
; COMPUTE_PGM_RSRC2:TGID_X_EN: 1
; COMPUTE_PGM_RSRC2:TGID_Y_EN: 0
; COMPUTE_PGM_RSRC2:TGID_Z_EN: 0
; COMPUTE_PGM_RSRC2:TIDIG_COMP_CNT: 0
	.section	.text._ZN7rocprim17ROCPRIM_400000_NS6detail17trampoline_kernelINS0_14default_configENS1_25partition_config_selectorILNS1_17partition_subalgoE9EllbEEZZNS1_14partition_implILS5_9ELb0ES3_jPlS8_PNS0_10empty_typeENS0_5tupleIJS8_S9_EEENSB_IJS8_SA_EEENS0_18inequality_wrapperIZN2at6native12_GLOBAL__N_124unique_dim_cuda_templateIaEESt5tupleIJNSF_6TensorESK_SK_EERKSK_lbbbEUlllE0_EEPmJS9_EEE10hipError_tPvRmT3_T4_T5_T6_T7_T9_mT8_P12ihipStream_tbDpT10_ENKUlT_T0_E_clISt17integral_constantIbLb0EES1A_EEDaS15_S16_EUlS15_E_NS1_11comp_targetILNS1_3genE0ELNS1_11target_archE4294967295ELNS1_3gpuE0ELNS1_3repE0EEENS1_30default_config_static_selectorELNS0_4arch9wavefront6targetE0EEEvT1_,"axG",@progbits,_ZN7rocprim17ROCPRIM_400000_NS6detail17trampoline_kernelINS0_14default_configENS1_25partition_config_selectorILNS1_17partition_subalgoE9EllbEEZZNS1_14partition_implILS5_9ELb0ES3_jPlS8_PNS0_10empty_typeENS0_5tupleIJS8_S9_EEENSB_IJS8_SA_EEENS0_18inequality_wrapperIZN2at6native12_GLOBAL__N_124unique_dim_cuda_templateIaEESt5tupleIJNSF_6TensorESK_SK_EERKSK_lbbbEUlllE0_EEPmJS9_EEE10hipError_tPvRmT3_T4_T5_T6_T7_T9_mT8_P12ihipStream_tbDpT10_ENKUlT_T0_E_clISt17integral_constantIbLb0EES1A_EEDaS15_S16_EUlS15_E_NS1_11comp_targetILNS1_3genE0ELNS1_11target_archE4294967295ELNS1_3gpuE0ELNS1_3repE0EEENS1_30default_config_static_selectorELNS0_4arch9wavefront6targetE0EEEvT1_,comdat
	.globl	_ZN7rocprim17ROCPRIM_400000_NS6detail17trampoline_kernelINS0_14default_configENS1_25partition_config_selectorILNS1_17partition_subalgoE9EllbEEZZNS1_14partition_implILS5_9ELb0ES3_jPlS8_PNS0_10empty_typeENS0_5tupleIJS8_S9_EEENSB_IJS8_SA_EEENS0_18inequality_wrapperIZN2at6native12_GLOBAL__N_124unique_dim_cuda_templateIaEESt5tupleIJNSF_6TensorESK_SK_EERKSK_lbbbEUlllE0_EEPmJS9_EEE10hipError_tPvRmT3_T4_T5_T6_T7_T9_mT8_P12ihipStream_tbDpT10_ENKUlT_T0_E_clISt17integral_constantIbLb0EES1A_EEDaS15_S16_EUlS15_E_NS1_11comp_targetILNS1_3genE0ELNS1_11target_archE4294967295ELNS1_3gpuE0ELNS1_3repE0EEENS1_30default_config_static_selectorELNS0_4arch9wavefront6targetE0EEEvT1_ ; -- Begin function _ZN7rocprim17ROCPRIM_400000_NS6detail17trampoline_kernelINS0_14default_configENS1_25partition_config_selectorILNS1_17partition_subalgoE9EllbEEZZNS1_14partition_implILS5_9ELb0ES3_jPlS8_PNS0_10empty_typeENS0_5tupleIJS8_S9_EEENSB_IJS8_SA_EEENS0_18inequality_wrapperIZN2at6native12_GLOBAL__N_124unique_dim_cuda_templateIaEESt5tupleIJNSF_6TensorESK_SK_EERKSK_lbbbEUlllE0_EEPmJS9_EEE10hipError_tPvRmT3_T4_T5_T6_T7_T9_mT8_P12ihipStream_tbDpT10_ENKUlT_T0_E_clISt17integral_constantIbLb0EES1A_EEDaS15_S16_EUlS15_E_NS1_11comp_targetILNS1_3genE0ELNS1_11target_archE4294967295ELNS1_3gpuE0ELNS1_3repE0EEENS1_30default_config_static_selectorELNS0_4arch9wavefront6targetE0EEEvT1_
	.p2align	8
	.type	_ZN7rocprim17ROCPRIM_400000_NS6detail17trampoline_kernelINS0_14default_configENS1_25partition_config_selectorILNS1_17partition_subalgoE9EllbEEZZNS1_14partition_implILS5_9ELb0ES3_jPlS8_PNS0_10empty_typeENS0_5tupleIJS8_S9_EEENSB_IJS8_SA_EEENS0_18inequality_wrapperIZN2at6native12_GLOBAL__N_124unique_dim_cuda_templateIaEESt5tupleIJNSF_6TensorESK_SK_EERKSK_lbbbEUlllE0_EEPmJS9_EEE10hipError_tPvRmT3_T4_T5_T6_T7_T9_mT8_P12ihipStream_tbDpT10_ENKUlT_T0_E_clISt17integral_constantIbLb0EES1A_EEDaS15_S16_EUlS15_E_NS1_11comp_targetILNS1_3genE0ELNS1_11target_archE4294967295ELNS1_3gpuE0ELNS1_3repE0EEENS1_30default_config_static_selectorELNS0_4arch9wavefront6targetE0EEEvT1_,@function
_ZN7rocprim17ROCPRIM_400000_NS6detail17trampoline_kernelINS0_14default_configENS1_25partition_config_selectorILNS1_17partition_subalgoE9EllbEEZZNS1_14partition_implILS5_9ELb0ES3_jPlS8_PNS0_10empty_typeENS0_5tupleIJS8_S9_EEENSB_IJS8_SA_EEENS0_18inequality_wrapperIZN2at6native12_GLOBAL__N_124unique_dim_cuda_templateIaEESt5tupleIJNSF_6TensorESK_SK_EERKSK_lbbbEUlllE0_EEPmJS9_EEE10hipError_tPvRmT3_T4_T5_T6_T7_T9_mT8_P12ihipStream_tbDpT10_ENKUlT_T0_E_clISt17integral_constantIbLb0EES1A_EEDaS15_S16_EUlS15_E_NS1_11comp_targetILNS1_3genE0ELNS1_11target_archE4294967295ELNS1_3gpuE0ELNS1_3repE0EEENS1_30default_config_static_selectorELNS0_4arch9wavefront6targetE0EEEvT1_: ; @_ZN7rocprim17ROCPRIM_400000_NS6detail17trampoline_kernelINS0_14default_configENS1_25partition_config_selectorILNS1_17partition_subalgoE9EllbEEZZNS1_14partition_implILS5_9ELb0ES3_jPlS8_PNS0_10empty_typeENS0_5tupleIJS8_S9_EEENSB_IJS8_SA_EEENS0_18inequality_wrapperIZN2at6native12_GLOBAL__N_124unique_dim_cuda_templateIaEESt5tupleIJNSF_6TensorESK_SK_EERKSK_lbbbEUlllE0_EEPmJS9_EEE10hipError_tPvRmT3_T4_T5_T6_T7_T9_mT8_P12ihipStream_tbDpT10_ENKUlT_T0_E_clISt17integral_constantIbLb0EES1A_EEDaS15_S16_EUlS15_E_NS1_11comp_targetILNS1_3genE0ELNS1_11target_archE4294967295ELNS1_3gpuE0ELNS1_3repE0EEENS1_30default_config_static_selectorELNS0_4arch9wavefront6targetE0EEEvT1_
; %bb.0:
	.section	.rodata,"a",@progbits
	.p2align	6, 0x0
	.amdhsa_kernel _ZN7rocprim17ROCPRIM_400000_NS6detail17trampoline_kernelINS0_14default_configENS1_25partition_config_selectorILNS1_17partition_subalgoE9EllbEEZZNS1_14partition_implILS5_9ELb0ES3_jPlS8_PNS0_10empty_typeENS0_5tupleIJS8_S9_EEENSB_IJS8_SA_EEENS0_18inequality_wrapperIZN2at6native12_GLOBAL__N_124unique_dim_cuda_templateIaEESt5tupleIJNSF_6TensorESK_SK_EERKSK_lbbbEUlllE0_EEPmJS9_EEE10hipError_tPvRmT3_T4_T5_T6_T7_T9_mT8_P12ihipStream_tbDpT10_ENKUlT_T0_E_clISt17integral_constantIbLb0EES1A_EEDaS15_S16_EUlS15_E_NS1_11comp_targetILNS1_3genE0ELNS1_11target_archE4294967295ELNS1_3gpuE0ELNS1_3repE0EEENS1_30default_config_static_selectorELNS0_4arch9wavefront6targetE0EEEvT1_
		.amdhsa_group_segment_fixed_size 0
		.amdhsa_private_segment_fixed_size 0
		.amdhsa_kernarg_size 120
		.amdhsa_user_sgpr_count 15
		.amdhsa_user_sgpr_dispatch_ptr 0
		.amdhsa_user_sgpr_queue_ptr 0
		.amdhsa_user_sgpr_kernarg_segment_ptr 1
		.amdhsa_user_sgpr_dispatch_id 0
		.amdhsa_user_sgpr_private_segment_size 0
		.amdhsa_wavefront_size32 1
		.amdhsa_uses_dynamic_stack 0
		.amdhsa_enable_private_segment 0
		.amdhsa_system_sgpr_workgroup_id_x 1
		.amdhsa_system_sgpr_workgroup_id_y 0
		.amdhsa_system_sgpr_workgroup_id_z 0
		.amdhsa_system_sgpr_workgroup_info 0
		.amdhsa_system_vgpr_workitem_id 0
		.amdhsa_next_free_vgpr 1
		.amdhsa_next_free_sgpr 1
		.amdhsa_reserve_vcc 0
		.amdhsa_float_round_mode_32 0
		.amdhsa_float_round_mode_16_64 0
		.amdhsa_float_denorm_mode_32 3
		.amdhsa_float_denorm_mode_16_64 3
		.amdhsa_dx10_clamp 1
		.amdhsa_ieee_mode 1
		.amdhsa_fp16_overflow 0
		.amdhsa_workgroup_processor_mode 1
		.amdhsa_memory_ordered 1
		.amdhsa_forward_progress 0
		.amdhsa_shared_vgpr_count 0
		.amdhsa_exception_fp_ieee_invalid_op 0
		.amdhsa_exception_fp_denorm_src 0
		.amdhsa_exception_fp_ieee_div_zero 0
		.amdhsa_exception_fp_ieee_overflow 0
		.amdhsa_exception_fp_ieee_underflow 0
		.amdhsa_exception_fp_ieee_inexact 0
		.amdhsa_exception_int_div_zero 0
	.end_amdhsa_kernel
	.section	.text._ZN7rocprim17ROCPRIM_400000_NS6detail17trampoline_kernelINS0_14default_configENS1_25partition_config_selectorILNS1_17partition_subalgoE9EllbEEZZNS1_14partition_implILS5_9ELb0ES3_jPlS8_PNS0_10empty_typeENS0_5tupleIJS8_S9_EEENSB_IJS8_SA_EEENS0_18inequality_wrapperIZN2at6native12_GLOBAL__N_124unique_dim_cuda_templateIaEESt5tupleIJNSF_6TensorESK_SK_EERKSK_lbbbEUlllE0_EEPmJS9_EEE10hipError_tPvRmT3_T4_T5_T6_T7_T9_mT8_P12ihipStream_tbDpT10_ENKUlT_T0_E_clISt17integral_constantIbLb0EES1A_EEDaS15_S16_EUlS15_E_NS1_11comp_targetILNS1_3genE0ELNS1_11target_archE4294967295ELNS1_3gpuE0ELNS1_3repE0EEENS1_30default_config_static_selectorELNS0_4arch9wavefront6targetE0EEEvT1_,"axG",@progbits,_ZN7rocprim17ROCPRIM_400000_NS6detail17trampoline_kernelINS0_14default_configENS1_25partition_config_selectorILNS1_17partition_subalgoE9EllbEEZZNS1_14partition_implILS5_9ELb0ES3_jPlS8_PNS0_10empty_typeENS0_5tupleIJS8_S9_EEENSB_IJS8_SA_EEENS0_18inequality_wrapperIZN2at6native12_GLOBAL__N_124unique_dim_cuda_templateIaEESt5tupleIJNSF_6TensorESK_SK_EERKSK_lbbbEUlllE0_EEPmJS9_EEE10hipError_tPvRmT3_T4_T5_T6_T7_T9_mT8_P12ihipStream_tbDpT10_ENKUlT_T0_E_clISt17integral_constantIbLb0EES1A_EEDaS15_S16_EUlS15_E_NS1_11comp_targetILNS1_3genE0ELNS1_11target_archE4294967295ELNS1_3gpuE0ELNS1_3repE0EEENS1_30default_config_static_selectorELNS0_4arch9wavefront6targetE0EEEvT1_,comdat
.Lfunc_end351:
	.size	_ZN7rocprim17ROCPRIM_400000_NS6detail17trampoline_kernelINS0_14default_configENS1_25partition_config_selectorILNS1_17partition_subalgoE9EllbEEZZNS1_14partition_implILS5_9ELb0ES3_jPlS8_PNS0_10empty_typeENS0_5tupleIJS8_S9_EEENSB_IJS8_SA_EEENS0_18inequality_wrapperIZN2at6native12_GLOBAL__N_124unique_dim_cuda_templateIaEESt5tupleIJNSF_6TensorESK_SK_EERKSK_lbbbEUlllE0_EEPmJS9_EEE10hipError_tPvRmT3_T4_T5_T6_T7_T9_mT8_P12ihipStream_tbDpT10_ENKUlT_T0_E_clISt17integral_constantIbLb0EES1A_EEDaS15_S16_EUlS15_E_NS1_11comp_targetILNS1_3genE0ELNS1_11target_archE4294967295ELNS1_3gpuE0ELNS1_3repE0EEENS1_30default_config_static_selectorELNS0_4arch9wavefront6targetE0EEEvT1_, .Lfunc_end351-_ZN7rocprim17ROCPRIM_400000_NS6detail17trampoline_kernelINS0_14default_configENS1_25partition_config_selectorILNS1_17partition_subalgoE9EllbEEZZNS1_14partition_implILS5_9ELb0ES3_jPlS8_PNS0_10empty_typeENS0_5tupleIJS8_S9_EEENSB_IJS8_SA_EEENS0_18inequality_wrapperIZN2at6native12_GLOBAL__N_124unique_dim_cuda_templateIaEESt5tupleIJNSF_6TensorESK_SK_EERKSK_lbbbEUlllE0_EEPmJS9_EEE10hipError_tPvRmT3_T4_T5_T6_T7_T9_mT8_P12ihipStream_tbDpT10_ENKUlT_T0_E_clISt17integral_constantIbLb0EES1A_EEDaS15_S16_EUlS15_E_NS1_11comp_targetILNS1_3genE0ELNS1_11target_archE4294967295ELNS1_3gpuE0ELNS1_3repE0EEENS1_30default_config_static_selectorELNS0_4arch9wavefront6targetE0EEEvT1_
                                        ; -- End function
	.section	.AMDGPU.csdata,"",@progbits
; Kernel info:
; codeLenInByte = 0
; NumSgprs: 0
; NumVgprs: 0
; ScratchSize: 0
; MemoryBound: 0
; FloatMode: 240
; IeeeMode: 1
; LDSByteSize: 0 bytes/workgroup (compile time only)
; SGPRBlocks: 0
; VGPRBlocks: 0
; NumSGPRsForWavesPerEU: 1
; NumVGPRsForWavesPerEU: 1
; Occupancy: 16
; WaveLimiterHint : 0
; COMPUTE_PGM_RSRC2:SCRATCH_EN: 0
; COMPUTE_PGM_RSRC2:USER_SGPR: 15
; COMPUTE_PGM_RSRC2:TRAP_HANDLER: 0
; COMPUTE_PGM_RSRC2:TGID_X_EN: 1
; COMPUTE_PGM_RSRC2:TGID_Y_EN: 0
; COMPUTE_PGM_RSRC2:TGID_Z_EN: 0
; COMPUTE_PGM_RSRC2:TIDIG_COMP_CNT: 0
	.section	.text._ZN7rocprim17ROCPRIM_400000_NS6detail17trampoline_kernelINS0_14default_configENS1_25partition_config_selectorILNS1_17partition_subalgoE9EllbEEZZNS1_14partition_implILS5_9ELb0ES3_jPlS8_PNS0_10empty_typeENS0_5tupleIJS8_S9_EEENSB_IJS8_SA_EEENS0_18inequality_wrapperIZN2at6native12_GLOBAL__N_124unique_dim_cuda_templateIaEESt5tupleIJNSF_6TensorESK_SK_EERKSK_lbbbEUlllE0_EEPmJS9_EEE10hipError_tPvRmT3_T4_T5_T6_T7_T9_mT8_P12ihipStream_tbDpT10_ENKUlT_T0_E_clISt17integral_constantIbLb0EES1A_EEDaS15_S16_EUlS15_E_NS1_11comp_targetILNS1_3genE5ELNS1_11target_archE942ELNS1_3gpuE9ELNS1_3repE0EEENS1_30default_config_static_selectorELNS0_4arch9wavefront6targetE0EEEvT1_,"axG",@progbits,_ZN7rocprim17ROCPRIM_400000_NS6detail17trampoline_kernelINS0_14default_configENS1_25partition_config_selectorILNS1_17partition_subalgoE9EllbEEZZNS1_14partition_implILS5_9ELb0ES3_jPlS8_PNS0_10empty_typeENS0_5tupleIJS8_S9_EEENSB_IJS8_SA_EEENS0_18inequality_wrapperIZN2at6native12_GLOBAL__N_124unique_dim_cuda_templateIaEESt5tupleIJNSF_6TensorESK_SK_EERKSK_lbbbEUlllE0_EEPmJS9_EEE10hipError_tPvRmT3_T4_T5_T6_T7_T9_mT8_P12ihipStream_tbDpT10_ENKUlT_T0_E_clISt17integral_constantIbLb0EES1A_EEDaS15_S16_EUlS15_E_NS1_11comp_targetILNS1_3genE5ELNS1_11target_archE942ELNS1_3gpuE9ELNS1_3repE0EEENS1_30default_config_static_selectorELNS0_4arch9wavefront6targetE0EEEvT1_,comdat
	.globl	_ZN7rocprim17ROCPRIM_400000_NS6detail17trampoline_kernelINS0_14default_configENS1_25partition_config_selectorILNS1_17partition_subalgoE9EllbEEZZNS1_14partition_implILS5_9ELb0ES3_jPlS8_PNS0_10empty_typeENS0_5tupleIJS8_S9_EEENSB_IJS8_SA_EEENS0_18inequality_wrapperIZN2at6native12_GLOBAL__N_124unique_dim_cuda_templateIaEESt5tupleIJNSF_6TensorESK_SK_EERKSK_lbbbEUlllE0_EEPmJS9_EEE10hipError_tPvRmT3_T4_T5_T6_T7_T9_mT8_P12ihipStream_tbDpT10_ENKUlT_T0_E_clISt17integral_constantIbLb0EES1A_EEDaS15_S16_EUlS15_E_NS1_11comp_targetILNS1_3genE5ELNS1_11target_archE942ELNS1_3gpuE9ELNS1_3repE0EEENS1_30default_config_static_selectorELNS0_4arch9wavefront6targetE0EEEvT1_ ; -- Begin function _ZN7rocprim17ROCPRIM_400000_NS6detail17trampoline_kernelINS0_14default_configENS1_25partition_config_selectorILNS1_17partition_subalgoE9EllbEEZZNS1_14partition_implILS5_9ELb0ES3_jPlS8_PNS0_10empty_typeENS0_5tupleIJS8_S9_EEENSB_IJS8_SA_EEENS0_18inequality_wrapperIZN2at6native12_GLOBAL__N_124unique_dim_cuda_templateIaEESt5tupleIJNSF_6TensorESK_SK_EERKSK_lbbbEUlllE0_EEPmJS9_EEE10hipError_tPvRmT3_T4_T5_T6_T7_T9_mT8_P12ihipStream_tbDpT10_ENKUlT_T0_E_clISt17integral_constantIbLb0EES1A_EEDaS15_S16_EUlS15_E_NS1_11comp_targetILNS1_3genE5ELNS1_11target_archE942ELNS1_3gpuE9ELNS1_3repE0EEENS1_30default_config_static_selectorELNS0_4arch9wavefront6targetE0EEEvT1_
	.p2align	8
	.type	_ZN7rocprim17ROCPRIM_400000_NS6detail17trampoline_kernelINS0_14default_configENS1_25partition_config_selectorILNS1_17partition_subalgoE9EllbEEZZNS1_14partition_implILS5_9ELb0ES3_jPlS8_PNS0_10empty_typeENS0_5tupleIJS8_S9_EEENSB_IJS8_SA_EEENS0_18inequality_wrapperIZN2at6native12_GLOBAL__N_124unique_dim_cuda_templateIaEESt5tupleIJNSF_6TensorESK_SK_EERKSK_lbbbEUlllE0_EEPmJS9_EEE10hipError_tPvRmT3_T4_T5_T6_T7_T9_mT8_P12ihipStream_tbDpT10_ENKUlT_T0_E_clISt17integral_constantIbLb0EES1A_EEDaS15_S16_EUlS15_E_NS1_11comp_targetILNS1_3genE5ELNS1_11target_archE942ELNS1_3gpuE9ELNS1_3repE0EEENS1_30default_config_static_selectorELNS0_4arch9wavefront6targetE0EEEvT1_,@function
_ZN7rocprim17ROCPRIM_400000_NS6detail17trampoline_kernelINS0_14default_configENS1_25partition_config_selectorILNS1_17partition_subalgoE9EllbEEZZNS1_14partition_implILS5_9ELb0ES3_jPlS8_PNS0_10empty_typeENS0_5tupleIJS8_S9_EEENSB_IJS8_SA_EEENS0_18inequality_wrapperIZN2at6native12_GLOBAL__N_124unique_dim_cuda_templateIaEESt5tupleIJNSF_6TensorESK_SK_EERKSK_lbbbEUlllE0_EEPmJS9_EEE10hipError_tPvRmT3_T4_T5_T6_T7_T9_mT8_P12ihipStream_tbDpT10_ENKUlT_T0_E_clISt17integral_constantIbLb0EES1A_EEDaS15_S16_EUlS15_E_NS1_11comp_targetILNS1_3genE5ELNS1_11target_archE942ELNS1_3gpuE9ELNS1_3repE0EEENS1_30default_config_static_selectorELNS0_4arch9wavefront6targetE0EEEvT1_: ; @_ZN7rocprim17ROCPRIM_400000_NS6detail17trampoline_kernelINS0_14default_configENS1_25partition_config_selectorILNS1_17partition_subalgoE9EllbEEZZNS1_14partition_implILS5_9ELb0ES3_jPlS8_PNS0_10empty_typeENS0_5tupleIJS8_S9_EEENSB_IJS8_SA_EEENS0_18inequality_wrapperIZN2at6native12_GLOBAL__N_124unique_dim_cuda_templateIaEESt5tupleIJNSF_6TensorESK_SK_EERKSK_lbbbEUlllE0_EEPmJS9_EEE10hipError_tPvRmT3_T4_T5_T6_T7_T9_mT8_P12ihipStream_tbDpT10_ENKUlT_T0_E_clISt17integral_constantIbLb0EES1A_EEDaS15_S16_EUlS15_E_NS1_11comp_targetILNS1_3genE5ELNS1_11target_archE942ELNS1_3gpuE9ELNS1_3repE0EEENS1_30default_config_static_selectorELNS0_4arch9wavefront6targetE0EEEvT1_
; %bb.0:
	.section	.rodata,"a",@progbits
	.p2align	6, 0x0
	.amdhsa_kernel _ZN7rocprim17ROCPRIM_400000_NS6detail17trampoline_kernelINS0_14default_configENS1_25partition_config_selectorILNS1_17partition_subalgoE9EllbEEZZNS1_14partition_implILS5_9ELb0ES3_jPlS8_PNS0_10empty_typeENS0_5tupleIJS8_S9_EEENSB_IJS8_SA_EEENS0_18inequality_wrapperIZN2at6native12_GLOBAL__N_124unique_dim_cuda_templateIaEESt5tupleIJNSF_6TensorESK_SK_EERKSK_lbbbEUlllE0_EEPmJS9_EEE10hipError_tPvRmT3_T4_T5_T6_T7_T9_mT8_P12ihipStream_tbDpT10_ENKUlT_T0_E_clISt17integral_constantIbLb0EES1A_EEDaS15_S16_EUlS15_E_NS1_11comp_targetILNS1_3genE5ELNS1_11target_archE942ELNS1_3gpuE9ELNS1_3repE0EEENS1_30default_config_static_selectorELNS0_4arch9wavefront6targetE0EEEvT1_
		.amdhsa_group_segment_fixed_size 0
		.amdhsa_private_segment_fixed_size 0
		.amdhsa_kernarg_size 120
		.amdhsa_user_sgpr_count 15
		.amdhsa_user_sgpr_dispatch_ptr 0
		.amdhsa_user_sgpr_queue_ptr 0
		.amdhsa_user_sgpr_kernarg_segment_ptr 1
		.amdhsa_user_sgpr_dispatch_id 0
		.amdhsa_user_sgpr_private_segment_size 0
		.amdhsa_wavefront_size32 1
		.amdhsa_uses_dynamic_stack 0
		.amdhsa_enable_private_segment 0
		.amdhsa_system_sgpr_workgroup_id_x 1
		.amdhsa_system_sgpr_workgroup_id_y 0
		.amdhsa_system_sgpr_workgroup_id_z 0
		.amdhsa_system_sgpr_workgroup_info 0
		.amdhsa_system_vgpr_workitem_id 0
		.amdhsa_next_free_vgpr 1
		.amdhsa_next_free_sgpr 1
		.amdhsa_reserve_vcc 0
		.amdhsa_float_round_mode_32 0
		.amdhsa_float_round_mode_16_64 0
		.amdhsa_float_denorm_mode_32 3
		.amdhsa_float_denorm_mode_16_64 3
		.amdhsa_dx10_clamp 1
		.amdhsa_ieee_mode 1
		.amdhsa_fp16_overflow 0
		.amdhsa_workgroup_processor_mode 1
		.amdhsa_memory_ordered 1
		.amdhsa_forward_progress 0
		.amdhsa_shared_vgpr_count 0
		.amdhsa_exception_fp_ieee_invalid_op 0
		.amdhsa_exception_fp_denorm_src 0
		.amdhsa_exception_fp_ieee_div_zero 0
		.amdhsa_exception_fp_ieee_overflow 0
		.amdhsa_exception_fp_ieee_underflow 0
		.amdhsa_exception_fp_ieee_inexact 0
		.amdhsa_exception_int_div_zero 0
	.end_amdhsa_kernel
	.section	.text._ZN7rocprim17ROCPRIM_400000_NS6detail17trampoline_kernelINS0_14default_configENS1_25partition_config_selectorILNS1_17partition_subalgoE9EllbEEZZNS1_14partition_implILS5_9ELb0ES3_jPlS8_PNS0_10empty_typeENS0_5tupleIJS8_S9_EEENSB_IJS8_SA_EEENS0_18inequality_wrapperIZN2at6native12_GLOBAL__N_124unique_dim_cuda_templateIaEESt5tupleIJNSF_6TensorESK_SK_EERKSK_lbbbEUlllE0_EEPmJS9_EEE10hipError_tPvRmT3_T4_T5_T6_T7_T9_mT8_P12ihipStream_tbDpT10_ENKUlT_T0_E_clISt17integral_constantIbLb0EES1A_EEDaS15_S16_EUlS15_E_NS1_11comp_targetILNS1_3genE5ELNS1_11target_archE942ELNS1_3gpuE9ELNS1_3repE0EEENS1_30default_config_static_selectorELNS0_4arch9wavefront6targetE0EEEvT1_,"axG",@progbits,_ZN7rocprim17ROCPRIM_400000_NS6detail17trampoline_kernelINS0_14default_configENS1_25partition_config_selectorILNS1_17partition_subalgoE9EllbEEZZNS1_14partition_implILS5_9ELb0ES3_jPlS8_PNS0_10empty_typeENS0_5tupleIJS8_S9_EEENSB_IJS8_SA_EEENS0_18inequality_wrapperIZN2at6native12_GLOBAL__N_124unique_dim_cuda_templateIaEESt5tupleIJNSF_6TensorESK_SK_EERKSK_lbbbEUlllE0_EEPmJS9_EEE10hipError_tPvRmT3_T4_T5_T6_T7_T9_mT8_P12ihipStream_tbDpT10_ENKUlT_T0_E_clISt17integral_constantIbLb0EES1A_EEDaS15_S16_EUlS15_E_NS1_11comp_targetILNS1_3genE5ELNS1_11target_archE942ELNS1_3gpuE9ELNS1_3repE0EEENS1_30default_config_static_selectorELNS0_4arch9wavefront6targetE0EEEvT1_,comdat
.Lfunc_end352:
	.size	_ZN7rocprim17ROCPRIM_400000_NS6detail17trampoline_kernelINS0_14default_configENS1_25partition_config_selectorILNS1_17partition_subalgoE9EllbEEZZNS1_14partition_implILS5_9ELb0ES3_jPlS8_PNS0_10empty_typeENS0_5tupleIJS8_S9_EEENSB_IJS8_SA_EEENS0_18inequality_wrapperIZN2at6native12_GLOBAL__N_124unique_dim_cuda_templateIaEESt5tupleIJNSF_6TensorESK_SK_EERKSK_lbbbEUlllE0_EEPmJS9_EEE10hipError_tPvRmT3_T4_T5_T6_T7_T9_mT8_P12ihipStream_tbDpT10_ENKUlT_T0_E_clISt17integral_constantIbLb0EES1A_EEDaS15_S16_EUlS15_E_NS1_11comp_targetILNS1_3genE5ELNS1_11target_archE942ELNS1_3gpuE9ELNS1_3repE0EEENS1_30default_config_static_selectorELNS0_4arch9wavefront6targetE0EEEvT1_, .Lfunc_end352-_ZN7rocprim17ROCPRIM_400000_NS6detail17trampoline_kernelINS0_14default_configENS1_25partition_config_selectorILNS1_17partition_subalgoE9EllbEEZZNS1_14partition_implILS5_9ELb0ES3_jPlS8_PNS0_10empty_typeENS0_5tupleIJS8_S9_EEENSB_IJS8_SA_EEENS0_18inequality_wrapperIZN2at6native12_GLOBAL__N_124unique_dim_cuda_templateIaEESt5tupleIJNSF_6TensorESK_SK_EERKSK_lbbbEUlllE0_EEPmJS9_EEE10hipError_tPvRmT3_T4_T5_T6_T7_T9_mT8_P12ihipStream_tbDpT10_ENKUlT_T0_E_clISt17integral_constantIbLb0EES1A_EEDaS15_S16_EUlS15_E_NS1_11comp_targetILNS1_3genE5ELNS1_11target_archE942ELNS1_3gpuE9ELNS1_3repE0EEENS1_30default_config_static_selectorELNS0_4arch9wavefront6targetE0EEEvT1_
                                        ; -- End function
	.section	.AMDGPU.csdata,"",@progbits
; Kernel info:
; codeLenInByte = 0
; NumSgprs: 0
; NumVgprs: 0
; ScratchSize: 0
; MemoryBound: 0
; FloatMode: 240
; IeeeMode: 1
; LDSByteSize: 0 bytes/workgroup (compile time only)
; SGPRBlocks: 0
; VGPRBlocks: 0
; NumSGPRsForWavesPerEU: 1
; NumVGPRsForWavesPerEU: 1
; Occupancy: 16
; WaveLimiterHint : 0
; COMPUTE_PGM_RSRC2:SCRATCH_EN: 0
; COMPUTE_PGM_RSRC2:USER_SGPR: 15
; COMPUTE_PGM_RSRC2:TRAP_HANDLER: 0
; COMPUTE_PGM_RSRC2:TGID_X_EN: 1
; COMPUTE_PGM_RSRC2:TGID_Y_EN: 0
; COMPUTE_PGM_RSRC2:TGID_Z_EN: 0
; COMPUTE_PGM_RSRC2:TIDIG_COMP_CNT: 0
	.section	.text._ZN7rocprim17ROCPRIM_400000_NS6detail17trampoline_kernelINS0_14default_configENS1_25partition_config_selectorILNS1_17partition_subalgoE9EllbEEZZNS1_14partition_implILS5_9ELb0ES3_jPlS8_PNS0_10empty_typeENS0_5tupleIJS8_S9_EEENSB_IJS8_SA_EEENS0_18inequality_wrapperIZN2at6native12_GLOBAL__N_124unique_dim_cuda_templateIaEESt5tupleIJNSF_6TensorESK_SK_EERKSK_lbbbEUlllE0_EEPmJS9_EEE10hipError_tPvRmT3_T4_T5_T6_T7_T9_mT8_P12ihipStream_tbDpT10_ENKUlT_T0_E_clISt17integral_constantIbLb0EES1A_EEDaS15_S16_EUlS15_E_NS1_11comp_targetILNS1_3genE4ELNS1_11target_archE910ELNS1_3gpuE8ELNS1_3repE0EEENS1_30default_config_static_selectorELNS0_4arch9wavefront6targetE0EEEvT1_,"axG",@progbits,_ZN7rocprim17ROCPRIM_400000_NS6detail17trampoline_kernelINS0_14default_configENS1_25partition_config_selectorILNS1_17partition_subalgoE9EllbEEZZNS1_14partition_implILS5_9ELb0ES3_jPlS8_PNS0_10empty_typeENS0_5tupleIJS8_S9_EEENSB_IJS8_SA_EEENS0_18inequality_wrapperIZN2at6native12_GLOBAL__N_124unique_dim_cuda_templateIaEESt5tupleIJNSF_6TensorESK_SK_EERKSK_lbbbEUlllE0_EEPmJS9_EEE10hipError_tPvRmT3_T4_T5_T6_T7_T9_mT8_P12ihipStream_tbDpT10_ENKUlT_T0_E_clISt17integral_constantIbLb0EES1A_EEDaS15_S16_EUlS15_E_NS1_11comp_targetILNS1_3genE4ELNS1_11target_archE910ELNS1_3gpuE8ELNS1_3repE0EEENS1_30default_config_static_selectorELNS0_4arch9wavefront6targetE0EEEvT1_,comdat
	.globl	_ZN7rocprim17ROCPRIM_400000_NS6detail17trampoline_kernelINS0_14default_configENS1_25partition_config_selectorILNS1_17partition_subalgoE9EllbEEZZNS1_14partition_implILS5_9ELb0ES3_jPlS8_PNS0_10empty_typeENS0_5tupleIJS8_S9_EEENSB_IJS8_SA_EEENS0_18inequality_wrapperIZN2at6native12_GLOBAL__N_124unique_dim_cuda_templateIaEESt5tupleIJNSF_6TensorESK_SK_EERKSK_lbbbEUlllE0_EEPmJS9_EEE10hipError_tPvRmT3_T4_T5_T6_T7_T9_mT8_P12ihipStream_tbDpT10_ENKUlT_T0_E_clISt17integral_constantIbLb0EES1A_EEDaS15_S16_EUlS15_E_NS1_11comp_targetILNS1_3genE4ELNS1_11target_archE910ELNS1_3gpuE8ELNS1_3repE0EEENS1_30default_config_static_selectorELNS0_4arch9wavefront6targetE0EEEvT1_ ; -- Begin function _ZN7rocprim17ROCPRIM_400000_NS6detail17trampoline_kernelINS0_14default_configENS1_25partition_config_selectorILNS1_17partition_subalgoE9EllbEEZZNS1_14partition_implILS5_9ELb0ES3_jPlS8_PNS0_10empty_typeENS0_5tupleIJS8_S9_EEENSB_IJS8_SA_EEENS0_18inequality_wrapperIZN2at6native12_GLOBAL__N_124unique_dim_cuda_templateIaEESt5tupleIJNSF_6TensorESK_SK_EERKSK_lbbbEUlllE0_EEPmJS9_EEE10hipError_tPvRmT3_T4_T5_T6_T7_T9_mT8_P12ihipStream_tbDpT10_ENKUlT_T0_E_clISt17integral_constantIbLb0EES1A_EEDaS15_S16_EUlS15_E_NS1_11comp_targetILNS1_3genE4ELNS1_11target_archE910ELNS1_3gpuE8ELNS1_3repE0EEENS1_30default_config_static_selectorELNS0_4arch9wavefront6targetE0EEEvT1_
	.p2align	8
	.type	_ZN7rocprim17ROCPRIM_400000_NS6detail17trampoline_kernelINS0_14default_configENS1_25partition_config_selectorILNS1_17partition_subalgoE9EllbEEZZNS1_14partition_implILS5_9ELb0ES3_jPlS8_PNS0_10empty_typeENS0_5tupleIJS8_S9_EEENSB_IJS8_SA_EEENS0_18inequality_wrapperIZN2at6native12_GLOBAL__N_124unique_dim_cuda_templateIaEESt5tupleIJNSF_6TensorESK_SK_EERKSK_lbbbEUlllE0_EEPmJS9_EEE10hipError_tPvRmT3_T4_T5_T6_T7_T9_mT8_P12ihipStream_tbDpT10_ENKUlT_T0_E_clISt17integral_constantIbLb0EES1A_EEDaS15_S16_EUlS15_E_NS1_11comp_targetILNS1_3genE4ELNS1_11target_archE910ELNS1_3gpuE8ELNS1_3repE0EEENS1_30default_config_static_selectorELNS0_4arch9wavefront6targetE0EEEvT1_,@function
_ZN7rocprim17ROCPRIM_400000_NS6detail17trampoline_kernelINS0_14default_configENS1_25partition_config_selectorILNS1_17partition_subalgoE9EllbEEZZNS1_14partition_implILS5_9ELb0ES3_jPlS8_PNS0_10empty_typeENS0_5tupleIJS8_S9_EEENSB_IJS8_SA_EEENS0_18inequality_wrapperIZN2at6native12_GLOBAL__N_124unique_dim_cuda_templateIaEESt5tupleIJNSF_6TensorESK_SK_EERKSK_lbbbEUlllE0_EEPmJS9_EEE10hipError_tPvRmT3_T4_T5_T6_T7_T9_mT8_P12ihipStream_tbDpT10_ENKUlT_T0_E_clISt17integral_constantIbLb0EES1A_EEDaS15_S16_EUlS15_E_NS1_11comp_targetILNS1_3genE4ELNS1_11target_archE910ELNS1_3gpuE8ELNS1_3repE0EEENS1_30default_config_static_selectorELNS0_4arch9wavefront6targetE0EEEvT1_: ; @_ZN7rocprim17ROCPRIM_400000_NS6detail17trampoline_kernelINS0_14default_configENS1_25partition_config_selectorILNS1_17partition_subalgoE9EllbEEZZNS1_14partition_implILS5_9ELb0ES3_jPlS8_PNS0_10empty_typeENS0_5tupleIJS8_S9_EEENSB_IJS8_SA_EEENS0_18inequality_wrapperIZN2at6native12_GLOBAL__N_124unique_dim_cuda_templateIaEESt5tupleIJNSF_6TensorESK_SK_EERKSK_lbbbEUlllE0_EEPmJS9_EEE10hipError_tPvRmT3_T4_T5_T6_T7_T9_mT8_P12ihipStream_tbDpT10_ENKUlT_T0_E_clISt17integral_constantIbLb0EES1A_EEDaS15_S16_EUlS15_E_NS1_11comp_targetILNS1_3genE4ELNS1_11target_archE910ELNS1_3gpuE8ELNS1_3repE0EEENS1_30default_config_static_selectorELNS0_4arch9wavefront6targetE0EEEvT1_
; %bb.0:
	.section	.rodata,"a",@progbits
	.p2align	6, 0x0
	.amdhsa_kernel _ZN7rocprim17ROCPRIM_400000_NS6detail17trampoline_kernelINS0_14default_configENS1_25partition_config_selectorILNS1_17partition_subalgoE9EllbEEZZNS1_14partition_implILS5_9ELb0ES3_jPlS8_PNS0_10empty_typeENS0_5tupleIJS8_S9_EEENSB_IJS8_SA_EEENS0_18inequality_wrapperIZN2at6native12_GLOBAL__N_124unique_dim_cuda_templateIaEESt5tupleIJNSF_6TensorESK_SK_EERKSK_lbbbEUlllE0_EEPmJS9_EEE10hipError_tPvRmT3_T4_T5_T6_T7_T9_mT8_P12ihipStream_tbDpT10_ENKUlT_T0_E_clISt17integral_constantIbLb0EES1A_EEDaS15_S16_EUlS15_E_NS1_11comp_targetILNS1_3genE4ELNS1_11target_archE910ELNS1_3gpuE8ELNS1_3repE0EEENS1_30default_config_static_selectorELNS0_4arch9wavefront6targetE0EEEvT1_
		.amdhsa_group_segment_fixed_size 0
		.amdhsa_private_segment_fixed_size 0
		.amdhsa_kernarg_size 120
		.amdhsa_user_sgpr_count 15
		.amdhsa_user_sgpr_dispatch_ptr 0
		.amdhsa_user_sgpr_queue_ptr 0
		.amdhsa_user_sgpr_kernarg_segment_ptr 1
		.amdhsa_user_sgpr_dispatch_id 0
		.amdhsa_user_sgpr_private_segment_size 0
		.amdhsa_wavefront_size32 1
		.amdhsa_uses_dynamic_stack 0
		.amdhsa_enable_private_segment 0
		.amdhsa_system_sgpr_workgroup_id_x 1
		.amdhsa_system_sgpr_workgroup_id_y 0
		.amdhsa_system_sgpr_workgroup_id_z 0
		.amdhsa_system_sgpr_workgroup_info 0
		.amdhsa_system_vgpr_workitem_id 0
		.amdhsa_next_free_vgpr 1
		.amdhsa_next_free_sgpr 1
		.amdhsa_reserve_vcc 0
		.amdhsa_float_round_mode_32 0
		.amdhsa_float_round_mode_16_64 0
		.amdhsa_float_denorm_mode_32 3
		.amdhsa_float_denorm_mode_16_64 3
		.amdhsa_dx10_clamp 1
		.amdhsa_ieee_mode 1
		.amdhsa_fp16_overflow 0
		.amdhsa_workgroup_processor_mode 1
		.amdhsa_memory_ordered 1
		.amdhsa_forward_progress 0
		.amdhsa_shared_vgpr_count 0
		.amdhsa_exception_fp_ieee_invalid_op 0
		.amdhsa_exception_fp_denorm_src 0
		.amdhsa_exception_fp_ieee_div_zero 0
		.amdhsa_exception_fp_ieee_overflow 0
		.amdhsa_exception_fp_ieee_underflow 0
		.amdhsa_exception_fp_ieee_inexact 0
		.amdhsa_exception_int_div_zero 0
	.end_amdhsa_kernel
	.section	.text._ZN7rocprim17ROCPRIM_400000_NS6detail17trampoline_kernelINS0_14default_configENS1_25partition_config_selectorILNS1_17partition_subalgoE9EllbEEZZNS1_14partition_implILS5_9ELb0ES3_jPlS8_PNS0_10empty_typeENS0_5tupleIJS8_S9_EEENSB_IJS8_SA_EEENS0_18inequality_wrapperIZN2at6native12_GLOBAL__N_124unique_dim_cuda_templateIaEESt5tupleIJNSF_6TensorESK_SK_EERKSK_lbbbEUlllE0_EEPmJS9_EEE10hipError_tPvRmT3_T4_T5_T6_T7_T9_mT8_P12ihipStream_tbDpT10_ENKUlT_T0_E_clISt17integral_constantIbLb0EES1A_EEDaS15_S16_EUlS15_E_NS1_11comp_targetILNS1_3genE4ELNS1_11target_archE910ELNS1_3gpuE8ELNS1_3repE0EEENS1_30default_config_static_selectorELNS0_4arch9wavefront6targetE0EEEvT1_,"axG",@progbits,_ZN7rocprim17ROCPRIM_400000_NS6detail17trampoline_kernelINS0_14default_configENS1_25partition_config_selectorILNS1_17partition_subalgoE9EllbEEZZNS1_14partition_implILS5_9ELb0ES3_jPlS8_PNS0_10empty_typeENS0_5tupleIJS8_S9_EEENSB_IJS8_SA_EEENS0_18inequality_wrapperIZN2at6native12_GLOBAL__N_124unique_dim_cuda_templateIaEESt5tupleIJNSF_6TensorESK_SK_EERKSK_lbbbEUlllE0_EEPmJS9_EEE10hipError_tPvRmT3_T4_T5_T6_T7_T9_mT8_P12ihipStream_tbDpT10_ENKUlT_T0_E_clISt17integral_constantIbLb0EES1A_EEDaS15_S16_EUlS15_E_NS1_11comp_targetILNS1_3genE4ELNS1_11target_archE910ELNS1_3gpuE8ELNS1_3repE0EEENS1_30default_config_static_selectorELNS0_4arch9wavefront6targetE0EEEvT1_,comdat
.Lfunc_end353:
	.size	_ZN7rocprim17ROCPRIM_400000_NS6detail17trampoline_kernelINS0_14default_configENS1_25partition_config_selectorILNS1_17partition_subalgoE9EllbEEZZNS1_14partition_implILS5_9ELb0ES3_jPlS8_PNS0_10empty_typeENS0_5tupleIJS8_S9_EEENSB_IJS8_SA_EEENS0_18inequality_wrapperIZN2at6native12_GLOBAL__N_124unique_dim_cuda_templateIaEESt5tupleIJNSF_6TensorESK_SK_EERKSK_lbbbEUlllE0_EEPmJS9_EEE10hipError_tPvRmT3_T4_T5_T6_T7_T9_mT8_P12ihipStream_tbDpT10_ENKUlT_T0_E_clISt17integral_constantIbLb0EES1A_EEDaS15_S16_EUlS15_E_NS1_11comp_targetILNS1_3genE4ELNS1_11target_archE910ELNS1_3gpuE8ELNS1_3repE0EEENS1_30default_config_static_selectorELNS0_4arch9wavefront6targetE0EEEvT1_, .Lfunc_end353-_ZN7rocprim17ROCPRIM_400000_NS6detail17trampoline_kernelINS0_14default_configENS1_25partition_config_selectorILNS1_17partition_subalgoE9EllbEEZZNS1_14partition_implILS5_9ELb0ES3_jPlS8_PNS0_10empty_typeENS0_5tupleIJS8_S9_EEENSB_IJS8_SA_EEENS0_18inequality_wrapperIZN2at6native12_GLOBAL__N_124unique_dim_cuda_templateIaEESt5tupleIJNSF_6TensorESK_SK_EERKSK_lbbbEUlllE0_EEPmJS9_EEE10hipError_tPvRmT3_T4_T5_T6_T7_T9_mT8_P12ihipStream_tbDpT10_ENKUlT_T0_E_clISt17integral_constantIbLb0EES1A_EEDaS15_S16_EUlS15_E_NS1_11comp_targetILNS1_3genE4ELNS1_11target_archE910ELNS1_3gpuE8ELNS1_3repE0EEENS1_30default_config_static_selectorELNS0_4arch9wavefront6targetE0EEEvT1_
                                        ; -- End function
	.section	.AMDGPU.csdata,"",@progbits
; Kernel info:
; codeLenInByte = 0
; NumSgprs: 0
; NumVgprs: 0
; ScratchSize: 0
; MemoryBound: 0
; FloatMode: 240
; IeeeMode: 1
; LDSByteSize: 0 bytes/workgroup (compile time only)
; SGPRBlocks: 0
; VGPRBlocks: 0
; NumSGPRsForWavesPerEU: 1
; NumVGPRsForWavesPerEU: 1
; Occupancy: 16
; WaveLimiterHint : 0
; COMPUTE_PGM_RSRC2:SCRATCH_EN: 0
; COMPUTE_PGM_RSRC2:USER_SGPR: 15
; COMPUTE_PGM_RSRC2:TRAP_HANDLER: 0
; COMPUTE_PGM_RSRC2:TGID_X_EN: 1
; COMPUTE_PGM_RSRC2:TGID_Y_EN: 0
; COMPUTE_PGM_RSRC2:TGID_Z_EN: 0
; COMPUTE_PGM_RSRC2:TIDIG_COMP_CNT: 0
	.section	.text._ZN7rocprim17ROCPRIM_400000_NS6detail17trampoline_kernelINS0_14default_configENS1_25partition_config_selectorILNS1_17partition_subalgoE9EllbEEZZNS1_14partition_implILS5_9ELb0ES3_jPlS8_PNS0_10empty_typeENS0_5tupleIJS8_S9_EEENSB_IJS8_SA_EEENS0_18inequality_wrapperIZN2at6native12_GLOBAL__N_124unique_dim_cuda_templateIaEESt5tupleIJNSF_6TensorESK_SK_EERKSK_lbbbEUlllE0_EEPmJS9_EEE10hipError_tPvRmT3_T4_T5_T6_T7_T9_mT8_P12ihipStream_tbDpT10_ENKUlT_T0_E_clISt17integral_constantIbLb0EES1A_EEDaS15_S16_EUlS15_E_NS1_11comp_targetILNS1_3genE3ELNS1_11target_archE908ELNS1_3gpuE7ELNS1_3repE0EEENS1_30default_config_static_selectorELNS0_4arch9wavefront6targetE0EEEvT1_,"axG",@progbits,_ZN7rocprim17ROCPRIM_400000_NS6detail17trampoline_kernelINS0_14default_configENS1_25partition_config_selectorILNS1_17partition_subalgoE9EllbEEZZNS1_14partition_implILS5_9ELb0ES3_jPlS8_PNS0_10empty_typeENS0_5tupleIJS8_S9_EEENSB_IJS8_SA_EEENS0_18inequality_wrapperIZN2at6native12_GLOBAL__N_124unique_dim_cuda_templateIaEESt5tupleIJNSF_6TensorESK_SK_EERKSK_lbbbEUlllE0_EEPmJS9_EEE10hipError_tPvRmT3_T4_T5_T6_T7_T9_mT8_P12ihipStream_tbDpT10_ENKUlT_T0_E_clISt17integral_constantIbLb0EES1A_EEDaS15_S16_EUlS15_E_NS1_11comp_targetILNS1_3genE3ELNS1_11target_archE908ELNS1_3gpuE7ELNS1_3repE0EEENS1_30default_config_static_selectorELNS0_4arch9wavefront6targetE0EEEvT1_,comdat
	.globl	_ZN7rocprim17ROCPRIM_400000_NS6detail17trampoline_kernelINS0_14default_configENS1_25partition_config_selectorILNS1_17partition_subalgoE9EllbEEZZNS1_14partition_implILS5_9ELb0ES3_jPlS8_PNS0_10empty_typeENS0_5tupleIJS8_S9_EEENSB_IJS8_SA_EEENS0_18inequality_wrapperIZN2at6native12_GLOBAL__N_124unique_dim_cuda_templateIaEESt5tupleIJNSF_6TensorESK_SK_EERKSK_lbbbEUlllE0_EEPmJS9_EEE10hipError_tPvRmT3_T4_T5_T6_T7_T9_mT8_P12ihipStream_tbDpT10_ENKUlT_T0_E_clISt17integral_constantIbLb0EES1A_EEDaS15_S16_EUlS15_E_NS1_11comp_targetILNS1_3genE3ELNS1_11target_archE908ELNS1_3gpuE7ELNS1_3repE0EEENS1_30default_config_static_selectorELNS0_4arch9wavefront6targetE0EEEvT1_ ; -- Begin function _ZN7rocprim17ROCPRIM_400000_NS6detail17trampoline_kernelINS0_14default_configENS1_25partition_config_selectorILNS1_17partition_subalgoE9EllbEEZZNS1_14partition_implILS5_9ELb0ES3_jPlS8_PNS0_10empty_typeENS0_5tupleIJS8_S9_EEENSB_IJS8_SA_EEENS0_18inequality_wrapperIZN2at6native12_GLOBAL__N_124unique_dim_cuda_templateIaEESt5tupleIJNSF_6TensorESK_SK_EERKSK_lbbbEUlllE0_EEPmJS9_EEE10hipError_tPvRmT3_T4_T5_T6_T7_T9_mT8_P12ihipStream_tbDpT10_ENKUlT_T0_E_clISt17integral_constantIbLb0EES1A_EEDaS15_S16_EUlS15_E_NS1_11comp_targetILNS1_3genE3ELNS1_11target_archE908ELNS1_3gpuE7ELNS1_3repE0EEENS1_30default_config_static_selectorELNS0_4arch9wavefront6targetE0EEEvT1_
	.p2align	8
	.type	_ZN7rocprim17ROCPRIM_400000_NS6detail17trampoline_kernelINS0_14default_configENS1_25partition_config_selectorILNS1_17partition_subalgoE9EllbEEZZNS1_14partition_implILS5_9ELb0ES3_jPlS8_PNS0_10empty_typeENS0_5tupleIJS8_S9_EEENSB_IJS8_SA_EEENS0_18inequality_wrapperIZN2at6native12_GLOBAL__N_124unique_dim_cuda_templateIaEESt5tupleIJNSF_6TensorESK_SK_EERKSK_lbbbEUlllE0_EEPmJS9_EEE10hipError_tPvRmT3_T4_T5_T6_T7_T9_mT8_P12ihipStream_tbDpT10_ENKUlT_T0_E_clISt17integral_constantIbLb0EES1A_EEDaS15_S16_EUlS15_E_NS1_11comp_targetILNS1_3genE3ELNS1_11target_archE908ELNS1_3gpuE7ELNS1_3repE0EEENS1_30default_config_static_selectorELNS0_4arch9wavefront6targetE0EEEvT1_,@function
_ZN7rocprim17ROCPRIM_400000_NS6detail17trampoline_kernelINS0_14default_configENS1_25partition_config_selectorILNS1_17partition_subalgoE9EllbEEZZNS1_14partition_implILS5_9ELb0ES3_jPlS8_PNS0_10empty_typeENS0_5tupleIJS8_S9_EEENSB_IJS8_SA_EEENS0_18inequality_wrapperIZN2at6native12_GLOBAL__N_124unique_dim_cuda_templateIaEESt5tupleIJNSF_6TensorESK_SK_EERKSK_lbbbEUlllE0_EEPmJS9_EEE10hipError_tPvRmT3_T4_T5_T6_T7_T9_mT8_P12ihipStream_tbDpT10_ENKUlT_T0_E_clISt17integral_constantIbLb0EES1A_EEDaS15_S16_EUlS15_E_NS1_11comp_targetILNS1_3genE3ELNS1_11target_archE908ELNS1_3gpuE7ELNS1_3repE0EEENS1_30default_config_static_selectorELNS0_4arch9wavefront6targetE0EEEvT1_: ; @_ZN7rocprim17ROCPRIM_400000_NS6detail17trampoline_kernelINS0_14default_configENS1_25partition_config_selectorILNS1_17partition_subalgoE9EllbEEZZNS1_14partition_implILS5_9ELb0ES3_jPlS8_PNS0_10empty_typeENS0_5tupleIJS8_S9_EEENSB_IJS8_SA_EEENS0_18inequality_wrapperIZN2at6native12_GLOBAL__N_124unique_dim_cuda_templateIaEESt5tupleIJNSF_6TensorESK_SK_EERKSK_lbbbEUlllE0_EEPmJS9_EEE10hipError_tPvRmT3_T4_T5_T6_T7_T9_mT8_P12ihipStream_tbDpT10_ENKUlT_T0_E_clISt17integral_constantIbLb0EES1A_EEDaS15_S16_EUlS15_E_NS1_11comp_targetILNS1_3genE3ELNS1_11target_archE908ELNS1_3gpuE7ELNS1_3repE0EEENS1_30default_config_static_selectorELNS0_4arch9wavefront6targetE0EEEvT1_
; %bb.0:
	.section	.rodata,"a",@progbits
	.p2align	6, 0x0
	.amdhsa_kernel _ZN7rocprim17ROCPRIM_400000_NS6detail17trampoline_kernelINS0_14default_configENS1_25partition_config_selectorILNS1_17partition_subalgoE9EllbEEZZNS1_14partition_implILS5_9ELb0ES3_jPlS8_PNS0_10empty_typeENS0_5tupleIJS8_S9_EEENSB_IJS8_SA_EEENS0_18inequality_wrapperIZN2at6native12_GLOBAL__N_124unique_dim_cuda_templateIaEESt5tupleIJNSF_6TensorESK_SK_EERKSK_lbbbEUlllE0_EEPmJS9_EEE10hipError_tPvRmT3_T4_T5_T6_T7_T9_mT8_P12ihipStream_tbDpT10_ENKUlT_T0_E_clISt17integral_constantIbLb0EES1A_EEDaS15_S16_EUlS15_E_NS1_11comp_targetILNS1_3genE3ELNS1_11target_archE908ELNS1_3gpuE7ELNS1_3repE0EEENS1_30default_config_static_selectorELNS0_4arch9wavefront6targetE0EEEvT1_
		.amdhsa_group_segment_fixed_size 0
		.amdhsa_private_segment_fixed_size 0
		.amdhsa_kernarg_size 120
		.amdhsa_user_sgpr_count 15
		.amdhsa_user_sgpr_dispatch_ptr 0
		.amdhsa_user_sgpr_queue_ptr 0
		.amdhsa_user_sgpr_kernarg_segment_ptr 1
		.amdhsa_user_sgpr_dispatch_id 0
		.amdhsa_user_sgpr_private_segment_size 0
		.amdhsa_wavefront_size32 1
		.amdhsa_uses_dynamic_stack 0
		.amdhsa_enable_private_segment 0
		.amdhsa_system_sgpr_workgroup_id_x 1
		.amdhsa_system_sgpr_workgroup_id_y 0
		.amdhsa_system_sgpr_workgroup_id_z 0
		.amdhsa_system_sgpr_workgroup_info 0
		.amdhsa_system_vgpr_workitem_id 0
		.amdhsa_next_free_vgpr 1
		.amdhsa_next_free_sgpr 1
		.amdhsa_reserve_vcc 0
		.amdhsa_float_round_mode_32 0
		.amdhsa_float_round_mode_16_64 0
		.amdhsa_float_denorm_mode_32 3
		.amdhsa_float_denorm_mode_16_64 3
		.amdhsa_dx10_clamp 1
		.amdhsa_ieee_mode 1
		.amdhsa_fp16_overflow 0
		.amdhsa_workgroup_processor_mode 1
		.amdhsa_memory_ordered 1
		.amdhsa_forward_progress 0
		.amdhsa_shared_vgpr_count 0
		.amdhsa_exception_fp_ieee_invalid_op 0
		.amdhsa_exception_fp_denorm_src 0
		.amdhsa_exception_fp_ieee_div_zero 0
		.amdhsa_exception_fp_ieee_overflow 0
		.amdhsa_exception_fp_ieee_underflow 0
		.amdhsa_exception_fp_ieee_inexact 0
		.amdhsa_exception_int_div_zero 0
	.end_amdhsa_kernel
	.section	.text._ZN7rocprim17ROCPRIM_400000_NS6detail17trampoline_kernelINS0_14default_configENS1_25partition_config_selectorILNS1_17partition_subalgoE9EllbEEZZNS1_14partition_implILS5_9ELb0ES3_jPlS8_PNS0_10empty_typeENS0_5tupleIJS8_S9_EEENSB_IJS8_SA_EEENS0_18inequality_wrapperIZN2at6native12_GLOBAL__N_124unique_dim_cuda_templateIaEESt5tupleIJNSF_6TensorESK_SK_EERKSK_lbbbEUlllE0_EEPmJS9_EEE10hipError_tPvRmT3_T4_T5_T6_T7_T9_mT8_P12ihipStream_tbDpT10_ENKUlT_T0_E_clISt17integral_constantIbLb0EES1A_EEDaS15_S16_EUlS15_E_NS1_11comp_targetILNS1_3genE3ELNS1_11target_archE908ELNS1_3gpuE7ELNS1_3repE0EEENS1_30default_config_static_selectorELNS0_4arch9wavefront6targetE0EEEvT1_,"axG",@progbits,_ZN7rocprim17ROCPRIM_400000_NS6detail17trampoline_kernelINS0_14default_configENS1_25partition_config_selectorILNS1_17partition_subalgoE9EllbEEZZNS1_14partition_implILS5_9ELb0ES3_jPlS8_PNS0_10empty_typeENS0_5tupleIJS8_S9_EEENSB_IJS8_SA_EEENS0_18inequality_wrapperIZN2at6native12_GLOBAL__N_124unique_dim_cuda_templateIaEESt5tupleIJNSF_6TensorESK_SK_EERKSK_lbbbEUlllE0_EEPmJS9_EEE10hipError_tPvRmT3_T4_T5_T6_T7_T9_mT8_P12ihipStream_tbDpT10_ENKUlT_T0_E_clISt17integral_constantIbLb0EES1A_EEDaS15_S16_EUlS15_E_NS1_11comp_targetILNS1_3genE3ELNS1_11target_archE908ELNS1_3gpuE7ELNS1_3repE0EEENS1_30default_config_static_selectorELNS0_4arch9wavefront6targetE0EEEvT1_,comdat
.Lfunc_end354:
	.size	_ZN7rocprim17ROCPRIM_400000_NS6detail17trampoline_kernelINS0_14default_configENS1_25partition_config_selectorILNS1_17partition_subalgoE9EllbEEZZNS1_14partition_implILS5_9ELb0ES3_jPlS8_PNS0_10empty_typeENS0_5tupleIJS8_S9_EEENSB_IJS8_SA_EEENS0_18inequality_wrapperIZN2at6native12_GLOBAL__N_124unique_dim_cuda_templateIaEESt5tupleIJNSF_6TensorESK_SK_EERKSK_lbbbEUlllE0_EEPmJS9_EEE10hipError_tPvRmT3_T4_T5_T6_T7_T9_mT8_P12ihipStream_tbDpT10_ENKUlT_T0_E_clISt17integral_constantIbLb0EES1A_EEDaS15_S16_EUlS15_E_NS1_11comp_targetILNS1_3genE3ELNS1_11target_archE908ELNS1_3gpuE7ELNS1_3repE0EEENS1_30default_config_static_selectorELNS0_4arch9wavefront6targetE0EEEvT1_, .Lfunc_end354-_ZN7rocprim17ROCPRIM_400000_NS6detail17trampoline_kernelINS0_14default_configENS1_25partition_config_selectorILNS1_17partition_subalgoE9EllbEEZZNS1_14partition_implILS5_9ELb0ES3_jPlS8_PNS0_10empty_typeENS0_5tupleIJS8_S9_EEENSB_IJS8_SA_EEENS0_18inequality_wrapperIZN2at6native12_GLOBAL__N_124unique_dim_cuda_templateIaEESt5tupleIJNSF_6TensorESK_SK_EERKSK_lbbbEUlllE0_EEPmJS9_EEE10hipError_tPvRmT3_T4_T5_T6_T7_T9_mT8_P12ihipStream_tbDpT10_ENKUlT_T0_E_clISt17integral_constantIbLb0EES1A_EEDaS15_S16_EUlS15_E_NS1_11comp_targetILNS1_3genE3ELNS1_11target_archE908ELNS1_3gpuE7ELNS1_3repE0EEENS1_30default_config_static_selectorELNS0_4arch9wavefront6targetE0EEEvT1_
                                        ; -- End function
	.section	.AMDGPU.csdata,"",@progbits
; Kernel info:
; codeLenInByte = 0
; NumSgprs: 0
; NumVgprs: 0
; ScratchSize: 0
; MemoryBound: 0
; FloatMode: 240
; IeeeMode: 1
; LDSByteSize: 0 bytes/workgroup (compile time only)
; SGPRBlocks: 0
; VGPRBlocks: 0
; NumSGPRsForWavesPerEU: 1
; NumVGPRsForWavesPerEU: 1
; Occupancy: 16
; WaveLimiterHint : 0
; COMPUTE_PGM_RSRC2:SCRATCH_EN: 0
; COMPUTE_PGM_RSRC2:USER_SGPR: 15
; COMPUTE_PGM_RSRC2:TRAP_HANDLER: 0
; COMPUTE_PGM_RSRC2:TGID_X_EN: 1
; COMPUTE_PGM_RSRC2:TGID_Y_EN: 0
; COMPUTE_PGM_RSRC2:TGID_Z_EN: 0
; COMPUTE_PGM_RSRC2:TIDIG_COMP_CNT: 0
	.section	.text._ZN7rocprim17ROCPRIM_400000_NS6detail17trampoline_kernelINS0_14default_configENS1_25partition_config_selectorILNS1_17partition_subalgoE9EllbEEZZNS1_14partition_implILS5_9ELb0ES3_jPlS8_PNS0_10empty_typeENS0_5tupleIJS8_S9_EEENSB_IJS8_SA_EEENS0_18inequality_wrapperIZN2at6native12_GLOBAL__N_124unique_dim_cuda_templateIaEESt5tupleIJNSF_6TensorESK_SK_EERKSK_lbbbEUlllE0_EEPmJS9_EEE10hipError_tPvRmT3_T4_T5_T6_T7_T9_mT8_P12ihipStream_tbDpT10_ENKUlT_T0_E_clISt17integral_constantIbLb0EES1A_EEDaS15_S16_EUlS15_E_NS1_11comp_targetILNS1_3genE2ELNS1_11target_archE906ELNS1_3gpuE6ELNS1_3repE0EEENS1_30default_config_static_selectorELNS0_4arch9wavefront6targetE0EEEvT1_,"axG",@progbits,_ZN7rocprim17ROCPRIM_400000_NS6detail17trampoline_kernelINS0_14default_configENS1_25partition_config_selectorILNS1_17partition_subalgoE9EllbEEZZNS1_14partition_implILS5_9ELb0ES3_jPlS8_PNS0_10empty_typeENS0_5tupleIJS8_S9_EEENSB_IJS8_SA_EEENS0_18inequality_wrapperIZN2at6native12_GLOBAL__N_124unique_dim_cuda_templateIaEESt5tupleIJNSF_6TensorESK_SK_EERKSK_lbbbEUlllE0_EEPmJS9_EEE10hipError_tPvRmT3_T4_T5_T6_T7_T9_mT8_P12ihipStream_tbDpT10_ENKUlT_T0_E_clISt17integral_constantIbLb0EES1A_EEDaS15_S16_EUlS15_E_NS1_11comp_targetILNS1_3genE2ELNS1_11target_archE906ELNS1_3gpuE6ELNS1_3repE0EEENS1_30default_config_static_selectorELNS0_4arch9wavefront6targetE0EEEvT1_,comdat
	.globl	_ZN7rocprim17ROCPRIM_400000_NS6detail17trampoline_kernelINS0_14default_configENS1_25partition_config_selectorILNS1_17partition_subalgoE9EllbEEZZNS1_14partition_implILS5_9ELb0ES3_jPlS8_PNS0_10empty_typeENS0_5tupleIJS8_S9_EEENSB_IJS8_SA_EEENS0_18inequality_wrapperIZN2at6native12_GLOBAL__N_124unique_dim_cuda_templateIaEESt5tupleIJNSF_6TensorESK_SK_EERKSK_lbbbEUlllE0_EEPmJS9_EEE10hipError_tPvRmT3_T4_T5_T6_T7_T9_mT8_P12ihipStream_tbDpT10_ENKUlT_T0_E_clISt17integral_constantIbLb0EES1A_EEDaS15_S16_EUlS15_E_NS1_11comp_targetILNS1_3genE2ELNS1_11target_archE906ELNS1_3gpuE6ELNS1_3repE0EEENS1_30default_config_static_selectorELNS0_4arch9wavefront6targetE0EEEvT1_ ; -- Begin function _ZN7rocprim17ROCPRIM_400000_NS6detail17trampoline_kernelINS0_14default_configENS1_25partition_config_selectorILNS1_17partition_subalgoE9EllbEEZZNS1_14partition_implILS5_9ELb0ES3_jPlS8_PNS0_10empty_typeENS0_5tupleIJS8_S9_EEENSB_IJS8_SA_EEENS0_18inequality_wrapperIZN2at6native12_GLOBAL__N_124unique_dim_cuda_templateIaEESt5tupleIJNSF_6TensorESK_SK_EERKSK_lbbbEUlllE0_EEPmJS9_EEE10hipError_tPvRmT3_T4_T5_T6_T7_T9_mT8_P12ihipStream_tbDpT10_ENKUlT_T0_E_clISt17integral_constantIbLb0EES1A_EEDaS15_S16_EUlS15_E_NS1_11comp_targetILNS1_3genE2ELNS1_11target_archE906ELNS1_3gpuE6ELNS1_3repE0EEENS1_30default_config_static_selectorELNS0_4arch9wavefront6targetE0EEEvT1_
	.p2align	8
	.type	_ZN7rocprim17ROCPRIM_400000_NS6detail17trampoline_kernelINS0_14default_configENS1_25partition_config_selectorILNS1_17partition_subalgoE9EllbEEZZNS1_14partition_implILS5_9ELb0ES3_jPlS8_PNS0_10empty_typeENS0_5tupleIJS8_S9_EEENSB_IJS8_SA_EEENS0_18inequality_wrapperIZN2at6native12_GLOBAL__N_124unique_dim_cuda_templateIaEESt5tupleIJNSF_6TensorESK_SK_EERKSK_lbbbEUlllE0_EEPmJS9_EEE10hipError_tPvRmT3_T4_T5_T6_T7_T9_mT8_P12ihipStream_tbDpT10_ENKUlT_T0_E_clISt17integral_constantIbLb0EES1A_EEDaS15_S16_EUlS15_E_NS1_11comp_targetILNS1_3genE2ELNS1_11target_archE906ELNS1_3gpuE6ELNS1_3repE0EEENS1_30default_config_static_selectorELNS0_4arch9wavefront6targetE0EEEvT1_,@function
_ZN7rocprim17ROCPRIM_400000_NS6detail17trampoline_kernelINS0_14default_configENS1_25partition_config_selectorILNS1_17partition_subalgoE9EllbEEZZNS1_14partition_implILS5_9ELb0ES3_jPlS8_PNS0_10empty_typeENS0_5tupleIJS8_S9_EEENSB_IJS8_SA_EEENS0_18inequality_wrapperIZN2at6native12_GLOBAL__N_124unique_dim_cuda_templateIaEESt5tupleIJNSF_6TensorESK_SK_EERKSK_lbbbEUlllE0_EEPmJS9_EEE10hipError_tPvRmT3_T4_T5_T6_T7_T9_mT8_P12ihipStream_tbDpT10_ENKUlT_T0_E_clISt17integral_constantIbLb0EES1A_EEDaS15_S16_EUlS15_E_NS1_11comp_targetILNS1_3genE2ELNS1_11target_archE906ELNS1_3gpuE6ELNS1_3repE0EEENS1_30default_config_static_selectorELNS0_4arch9wavefront6targetE0EEEvT1_: ; @_ZN7rocprim17ROCPRIM_400000_NS6detail17trampoline_kernelINS0_14default_configENS1_25partition_config_selectorILNS1_17partition_subalgoE9EllbEEZZNS1_14partition_implILS5_9ELb0ES3_jPlS8_PNS0_10empty_typeENS0_5tupleIJS8_S9_EEENSB_IJS8_SA_EEENS0_18inequality_wrapperIZN2at6native12_GLOBAL__N_124unique_dim_cuda_templateIaEESt5tupleIJNSF_6TensorESK_SK_EERKSK_lbbbEUlllE0_EEPmJS9_EEE10hipError_tPvRmT3_T4_T5_T6_T7_T9_mT8_P12ihipStream_tbDpT10_ENKUlT_T0_E_clISt17integral_constantIbLb0EES1A_EEDaS15_S16_EUlS15_E_NS1_11comp_targetILNS1_3genE2ELNS1_11target_archE906ELNS1_3gpuE6ELNS1_3repE0EEENS1_30default_config_static_selectorELNS0_4arch9wavefront6targetE0EEEvT1_
; %bb.0:
	.section	.rodata,"a",@progbits
	.p2align	6, 0x0
	.amdhsa_kernel _ZN7rocprim17ROCPRIM_400000_NS6detail17trampoline_kernelINS0_14default_configENS1_25partition_config_selectorILNS1_17partition_subalgoE9EllbEEZZNS1_14partition_implILS5_9ELb0ES3_jPlS8_PNS0_10empty_typeENS0_5tupleIJS8_S9_EEENSB_IJS8_SA_EEENS0_18inequality_wrapperIZN2at6native12_GLOBAL__N_124unique_dim_cuda_templateIaEESt5tupleIJNSF_6TensorESK_SK_EERKSK_lbbbEUlllE0_EEPmJS9_EEE10hipError_tPvRmT3_T4_T5_T6_T7_T9_mT8_P12ihipStream_tbDpT10_ENKUlT_T0_E_clISt17integral_constantIbLb0EES1A_EEDaS15_S16_EUlS15_E_NS1_11comp_targetILNS1_3genE2ELNS1_11target_archE906ELNS1_3gpuE6ELNS1_3repE0EEENS1_30default_config_static_selectorELNS0_4arch9wavefront6targetE0EEEvT1_
		.amdhsa_group_segment_fixed_size 0
		.amdhsa_private_segment_fixed_size 0
		.amdhsa_kernarg_size 120
		.amdhsa_user_sgpr_count 15
		.amdhsa_user_sgpr_dispatch_ptr 0
		.amdhsa_user_sgpr_queue_ptr 0
		.amdhsa_user_sgpr_kernarg_segment_ptr 1
		.amdhsa_user_sgpr_dispatch_id 0
		.amdhsa_user_sgpr_private_segment_size 0
		.amdhsa_wavefront_size32 1
		.amdhsa_uses_dynamic_stack 0
		.amdhsa_enable_private_segment 0
		.amdhsa_system_sgpr_workgroup_id_x 1
		.amdhsa_system_sgpr_workgroup_id_y 0
		.amdhsa_system_sgpr_workgroup_id_z 0
		.amdhsa_system_sgpr_workgroup_info 0
		.amdhsa_system_vgpr_workitem_id 0
		.amdhsa_next_free_vgpr 1
		.amdhsa_next_free_sgpr 1
		.amdhsa_reserve_vcc 0
		.amdhsa_float_round_mode_32 0
		.amdhsa_float_round_mode_16_64 0
		.amdhsa_float_denorm_mode_32 3
		.amdhsa_float_denorm_mode_16_64 3
		.amdhsa_dx10_clamp 1
		.amdhsa_ieee_mode 1
		.amdhsa_fp16_overflow 0
		.amdhsa_workgroup_processor_mode 1
		.amdhsa_memory_ordered 1
		.amdhsa_forward_progress 0
		.amdhsa_shared_vgpr_count 0
		.amdhsa_exception_fp_ieee_invalid_op 0
		.amdhsa_exception_fp_denorm_src 0
		.amdhsa_exception_fp_ieee_div_zero 0
		.amdhsa_exception_fp_ieee_overflow 0
		.amdhsa_exception_fp_ieee_underflow 0
		.amdhsa_exception_fp_ieee_inexact 0
		.amdhsa_exception_int_div_zero 0
	.end_amdhsa_kernel
	.section	.text._ZN7rocprim17ROCPRIM_400000_NS6detail17trampoline_kernelINS0_14default_configENS1_25partition_config_selectorILNS1_17partition_subalgoE9EllbEEZZNS1_14partition_implILS5_9ELb0ES3_jPlS8_PNS0_10empty_typeENS0_5tupleIJS8_S9_EEENSB_IJS8_SA_EEENS0_18inequality_wrapperIZN2at6native12_GLOBAL__N_124unique_dim_cuda_templateIaEESt5tupleIJNSF_6TensorESK_SK_EERKSK_lbbbEUlllE0_EEPmJS9_EEE10hipError_tPvRmT3_T4_T5_T6_T7_T9_mT8_P12ihipStream_tbDpT10_ENKUlT_T0_E_clISt17integral_constantIbLb0EES1A_EEDaS15_S16_EUlS15_E_NS1_11comp_targetILNS1_3genE2ELNS1_11target_archE906ELNS1_3gpuE6ELNS1_3repE0EEENS1_30default_config_static_selectorELNS0_4arch9wavefront6targetE0EEEvT1_,"axG",@progbits,_ZN7rocprim17ROCPRIM_400000_NS6detail17trampoline_kernelINS0_14default_configENS1_25partition_config_selectorILNS1_17partition_subalgoE9EllbEEZZNS1_14partition_implILS5_9ELb0ES3_jPlS8_PNS0_10empty_typeENS0_5tupleIJS8_S9_EEENSB_IJS8_SA_EEENS0_18inequality_wrapperIZN2at6native12_GLOBAL__N_124unique_dim_cuda_templateIaEESt5tupleIJNSF_6TensorESK_SK_EERKSK_lbbbEUlllE0_EEPmJS9_EEE10hipError_tPvRmT3_T4_T5_T6_T7_T9_mT8_P12ihipStream_tbDpT10_ENKUlT_T0_E_clISt17integral_constantIbLb0EES1A_EEDaS15_S16_EUlS15_E_NS1_11comp_targetILNS1_3genE2ELNS1_11target_archE906ELNS1_3gpuE6ELNS1_3repE0EEENS1_30default_config_static_selectorELNS0_4arch9wavefront6targetE0EEEvT1_,comdat
.Lfunc_end355:
	.size	_ZN7rocprim17ROCPRIM_400000_NS6detail17trampoline_kernelINS0_14default_configENS1_25partition_config_selectorILNS1_17partition_subalgoE9EllbEEZZNS1_14partition_implILS5_9ELb0ES3_jPlS8_PNS0_10empty_typeENS0_5tupleIJS8_S9_EEENSB_IJS8_SA_EEENS0_18inequality_wrapperIZN2at6native12_GLOBAL__N_124unique_dim_cuda_templateIaEESt5tupleIJNSF_6TensorESK_SK_EERKSK_lbbbEUlllE0_EEPmJS9_EEE10hipError_tPvRmT3_T4_T5_T6_T7_T9_mT8_P12ihipStream_tbDpT10_ENKUlT_T0_E_clISt17integral_constantIbLb0EES1A_EEDaS15_S16_EUlS15_E_NS1_11comp_targetILNS1_3genE2ELNS1_11target_archE906ELNS1_3gpuE6ELNS1_3repE0EEENS1_30default_config_static_selectorELNS0_4arch9wavefront6targetE0EEEvT1_, .Lfunc_end355-_ZN7rocprim17ROCPRIM_400000_NS6detail17trampoline_kernelINS0_14default_configENS1_25partition_config_selectorILNS1_17partition_subalgoE9EllbEEZZNS1_14partition_implILS5_9ELb0ES3_jPlS8_PNS0_10empty_typeENS0_5tupleIJS8_S9_EEENSB_IJS8_SA_EEENS0_18inequality_wrapperIZN2at6native12_GLOBAL__N_124unique_dim_cuda_templateIaEESt5tupleIJNSF_6TensorESK_SK_EERKSK_lbbbEUlllE0_EEPmJS9_EEE10hipError_tPvRmT3_T4_T5_T6_T7_T9_mT8_P12ihipStream_tbDpT10_ENKUlT_T0_E_clISt17integral_constantIbLb0EES1A_EEDaS15_S16_EUlS15_E_NS1_11comp_targetILNS1_3genE2ELNS1_11target_archE906ELNS1_3gpuE6ELNS1_3repE0EEENS1_30default_config_static_selectorELNS0_4arch9wavefront6targetE0EEEvT1_
                                        ; -- End function
	.section	.AMDGPU.csdata,"",@progbits
; Kernel info:
; codeLenInByte = 0
; NumSgprs: 0
; NumVgprs: 0
; ScratchSize: 0
; MemoryBound: 0
; FloatMode: 240
; IeeeMode: 1
; LDSByteSize: 0 bytes/workgroup (compile time only)
; SGPRBlocks: 0
; VGPRBlocks: 0
; NumSGPRsForWavesPerEU: 1
; NumVGPRsForWavesPerEU: 1
; Occupancy: 15
; WaveLimiterHint : 0
; COMPUTE_PGM_RSRC2:SCRATCH_EN: 0
; COMPUTE_PGM_RSRC2:USER_SGPR: 15
; COMPUTE_PGM_RSRC2:TRAP_HANDLER: 0
; COMPUTE_PGM_RSRC2:TGID_X_EN: 1
; COMPUTE_PGM_RSRC2:TGID_Y_EN: 0
; COMPUTE_PGM_RSRC2:TGID_Z_EN: 0
; COMPUTE_PGM_RSRC2:TIDIG_COMP_CNT: 0
	.section	.text._ZN7rocprim17ROCPRIM_400000_NS6detail17trampoline_kernelINS0_14default_configENS1_25partition_config_selectorILNS1_17partition_subalgoE9EllbEEZZNS1_14partition_implILS5_9ELb0ES3_jPlS8_PNS0_10empty_typeENS0_5tupleIJS8_S9_EEENSB_IJS8_SA_EEENS0_18inequality_wrapperIZN2at6native12_GLOBAL__N_124unique_dim_cuda_templateIaEESt5tupleIJNSF_6TensorESK_SK_EERKSK_lbbbEUlllE0_EEPmJS9_EEE10hipError_tPvRmT3_T4_T5_T6_T7_T9_mT8_P12ihipStream_tbDpT10_ENKUlT_T0_E_clISt17integral_constantIbLb0EES1A_EEDaS15_S16_EUlS15_E_NS1_11comp_targetILNS1_3genE10ELNS1_11target_archE1200ELNS1_3gpuE4ELNS1_3repE0EEENS1_30default_config_static_selectorELNS0_4arch9wavefront6targetE0EEEvT1_,"axG",@progbits,_ZN7rocprim17ROCPRIM_400000_NS6detail17trampoline_kernelINS0_14default_configENS1_25partition_config_selectorILNS1_17partition_subalgoE9EllbEEZZNS1_14partition_implILS5_9ELb0ES3_jPlS8_PNS0_10empty_typeENS0_5tupleIJS8_S9_EEENSB_IJS8_SA_EEENS0_18inequality_wrapperIZN2at6native12_GLOBAL__N_124unique_dim_cuda_templateIaEESt5tupleIJNSF_6TensorESK_SK_EERKSK_lbbbEUlllE0_EEPmJS9_EEE10hipError_tPvRmT3_T4_T5_T6_T7_T9_mT8_P12ihipStream_tbDpT10_ENKUlT_T0_E_clISt17integral_constantIbLb0EES1A_EEDaS15_S16_EUlS15_E_NS1_11comp_targetILNS1_3genE10ELNS1_11target_archE1200ELNS1_3gpuE4ELNS1_3repE0EEENS1_30default_config_static_selectorELNS0_4arch9wavefront6targetE0EEEvT1_,comdat
	.globl	_ZN7rocprim17ROCPRIM_400000_NS6detail17trampoline_kernelINS0_14default_configENS1_25partition_config_selectorILNS1_17partition_subalgoE9EllbEEZZNS1_14partition_implILS5_9ELb0ES3_jPlS8_PNS0_10empty_typeENS0_5tupleIJS8_S9_EEENSB_IJS8_SA_EEENS0_18inequality_wrapperIZN2at6native12_GLOBAL__N_124unique_dim_cuda_templateIaEESt5tupleIJNSF_6TensorESK_SK_EERKSK_lbbbEUlllE0_EEPmJS9_EEE10hipError_tPvRmT3_T4_T5_T6_T7_T9_mT8_P12ihipStream_tbDpT10_ENKUlT_T0_E_clISt17integral_constantIbLb0EES1A_EEDaS15_S16_EUlS15_E_NS1_11comp_targetILNS1_3genE10ELNS1_11target_archE1200ELNS1_3gpuE4ELNS1_3repE0EEENS1_30default_config_static_selectorELNS0_4arch9wavefront6targetE0EEEvT1_ ; -- Begin function _ZN7rocprim17ROCPRIM_400000_NS6detail17trampoline_kernelINS0_14default_configENS1_25partition_config_selectorILNS1_17partition_subalgoE9EllbEEZZNS1_14partition_implILS5_9ELb0ES3_jPlS8_PNS0_10empty_typeENS0_5tupleIJS8_S9_EEENSB_IJS8_SA_EEENS0_18inequality_wrapperIZN2at6native12_GLOBAL__N_124unique_dim_cuda_templateIaEESt5tupleIJNSF_6TensorESK_SK_EERKSK_lbbbEUlllE0_EEPmJS9_EEE10hipError_tPvRmT3_T4_T5_T6_T7_T9_mT8_P12ihipStream_tbDpT10_ENKUlT_T0_E_clISt17integral_constantIbLb0EES1A_EEDaS15_S16_EUlS15_E_NS1_11comp_targetILNS1_3genE10ELNS1_11target_archE1200ELNS1_3gpuE4ELNS1_3repE0EEENS1_30default_config_static_selectorELNS0_4arch9wavefront6targetE0EEEvT1_
	.p2align	8
	.type	_ZN7rocprim17ROCPRIM_400000_NS6detail17trampoline_kernelINS0_14default_configENS1_25partition_config_selectorILNS1_17partition_subalgoE9EllbEEZZNS1_14partition_implILS5_9ELb0ES3_jPlS8_PNS0_10empty_typeENS0_5tupleIJS8_S9_EEENSB_IJS8_SA_EEENS0_18inequality_wrapperIZN2at6native12_GLOBAL__N_124unique_dim_cuda_templateIaEESt5tupleIJNSF_6TensorESK_SK_EERKSK_lbbbEUlllE0_EEPmJS9_EEE10hipError_tPvRmT3_T4_T5_T6_T7_T9_mT8_P12ihipStream_tbDpT10_ENKUlT_T0_E_clISt17integral_constantIbLb0EES1A_EEDaS15_S16_EUlS15_E_NS1_11comp_targetILNS1_3genE10ELNS1_11target_archE1200ELNS1_3gpuE4ELNS1_3repE0EEENS1_30default_config_static_selectorELNS0_4arch9wavefront6targetE0EEEvT1_,@function
_ZN7rocprim17ROCPRIM_400000_NS6detail17trampoline_kernelINS0_14default_configENS1_25partition_config_selectorILNS1_17partition_subalgoE9EllbEEZZNS1_14partition_implILS5_9ELb0ES3_jPlS8_PNS0_10empty_typeENS0_5tupleIJS8_S9_EEENSB_IJS8_SA_EEENS0_18inequality_wrapperIZN2at6native12_GLOBAL__N_124unique_dim_cuda_templateIaEESt5tupleIJNSF_6TensorESK_SK_EERKSK_lbbbEUlllE0_EEPmJS9_EEE10hipError_tPvRmT3_T4_T5_T6_T7_T9_mT8_P12ihipStream_tbDpT10_ENKUlT_T0_E_clISt17integral_constantIbLb0EES1A_EEDaS15_S16_EUlS15_E_NS1_11comp_targetILNS1_3genE10ELNS1_11target_archE1200ELNS1_3gpuE4ELNS1_3repE0EEENS1_30default_config_static_selectorELNS0_4arch9wavefront6targetE0EEEvT1_: ; @_ZN7rocprim17ROCPRIM_400000_NS6detail17trampoline_kernelINS0_14default_configENS1_25partition_config_selectorILNS1_17partition_subalgoE9EllbEEZZNS1_14partition_implILS5_9ELb0ES3_jPlS8_PNS0_10empty_typeENS0_5tupleIJS8_S9_EEENSB_IJS8_SA_EEENS0_18inequality_wrapperIZN2at6native12_GLOBAL__N_124unique_dim_cuda_templateIaEESt5tupleIJNSF_6TensorESK_SK_EERKSK_lbbbEUlllE0_EEPmJS9_EEE10hipError_tPvRmT3_T4_T5_T6_T7_T9_mT8_P12ihipStream_tbDpT10_ENKUlT_T0_E_clISt17integral_constantIbLb0EES1A_EEDaS15_S16_EUlS15_E_NS1_11comp_targetILNS1_3genE10ELNS1_11target_archE1200ELNS1_3gpuE4ELNS1_3repE0EEENS1_30default_config_static_selectorELNS0_4arch9wavefront6targetE0EEEvT1_
; %bb.0:
	.section	.rodata,"a",@progbits
	.p2align	6, 0x0
	.amdhsa_kernel _ZN7rocprim17ROCPRIM_400000_NS6detail17trampoline_kernelINS0_14default_configENS1_25partition_config_selectorILNS1_17partition_subalgoE9EllbEEZZNS1_14partition_implILS5_9ELb0ES3_jPlS8_PNS0_10empty_typeENS0_5tupleIJS8_S9_EEENSB_IJS8_SA_EEENS0_18inequality_wrapperIZN2at6native12_GLOBAL__N_124unique_dim_cuda_templateIaEESt5tupleIJNSF_6TensorESK_SK_EERKSK_lbbbEUlllE0_EEPmJS9_EEE10hipError_tPvRmT3_T4_T5_T6_T7_T9_mT8_P12ihipStream_tbDpT10_ENKUlT_T0_E_clISt17integral_constantIbLb0EES1A_EEDaS15_S16_EUlS15_E_NS1_11comp_targetILNS1_3genE10ELNS1_11target_archE1200ELNS1_3gpuE4ELNS1_3repE0EEENS1_30default_config_static_selectorELNS0_4arch9wavefront6targetE0EEEvT1_
		.amdhsa_group_segment_fixed_size 0
		.amdhsa_private_segment_fixed_size 0
		.amdhsa_kernarg_size 120
		.amdhsa_user_sgpr_count 15
		.amdhsa_user_sgpr_dispatch_ptr 0
		.amdhsa_user_sgpr_queue_ptr 0
		.amdhsa_user_sgpr_kernarg_segment_ptr 1
		.amdhsa_user_sgpr_dispatch_id 0
		.amdhsa_user_sgpr_private_segment_size 0
		.amdhsa_wavefront_size32 1
		.amdhsa_uses_dynamic_stack 0
		.amdhsa_enable_private_segment 0
		.amdhsa_system_sgpr_workgroup_id_x 1
		.amdhsa_system_sgpr_workgroup_id_y 0
		.amdhsa_system_sgpr_workgroup_id_z 0
		.amdhsa_system_sgpr_workgroup_info 0
		.amdhsa_system_vgpr_workitem_id 0
		.amdhsa_next_free_vgpr 1
		.amdhsa_next_free_sgpr 1
		.amdhsa_reserve_vcc 0
		.amdhsa_float_round_mode_32 0
		.amdhsa_float_round_mode_16_64 0
		.amdhsa_float_denorm_mode_32 3
		.amdhsa_float_denorm_mode_16_64 3
		.amdhsa_dx10_clamp 1
		.amdhsa_ieee_mode 1
		.amdhsa_fp16_overflow 0
		.amdhsa_workgroup_processor_mode 1
		.amdhsa_memory_ordered 1
		.amdhsa_forward_progress 0
		.amdhsa_shared_vgpr_count 0
		.amdhsa_exception_fp_ieee_invalid_op 0
		.amdhsa_exception_fp_denorm_src 0
		.amdhsa_exception_fp_ieee_div_zero 0
		.amdhsa_exception_fp_ieee_overflow 0
		.amdhsa_exception_fp_ieee_underflow 0
		.amdhsa_exception_fp_ieee_inexact 0
		.amdhsa_exception_int_div_zero 0
	.end_amdhsa_kernel
	.section	.text._ZN7rocprim17ROCPRIM_400000_NS6detail17trampoline_kernelINS0_14default_configENS1_25partition_config_selectorILNS1_17partition_subalgoE9EllbEEZZNS1_14partition_implILS5_9ELb0ES3_jPlS8_PNS0_10empty_typeENS0_5tupleIJS8_S9_EEENSB_IJS8_SA_EEENS0_18inequality_wrapperIZN2at6native12_GLOBAL__N_124unique_dim_cuda_templateIaEESt5tupleIJNSF_6TensorESK_SK_EERKSK_lbbbEUlllE0_EEPmJS9_EEE10hipError_tPvRmT3_T4_T5_T6_T7_T9_mT8_P12ihipStream_tbDpT10_ENKUlT_T0_E_clISt17integral_constantIbLb0EES1A_EEDaS15_S16_EUlS15_E_NS1_11comp_targetILNS1_3genE10ELNS1_11target_archE1200ELNS1_3gpuE4ELNS1_3repE0EEENS1_30default_config_static_selectorELNS0_4arch9wavefront6targetE0EEEvT1_,"axG",@progbits,_ZN7rocprim17ROCPRIM_400000_NS6detail17trampoline_kernelINS0_14default_configENS1_25partition_config_selectorILNS1_17partition_subalgoE9EllbEEZZNS1_14partition_implILS5_9ELb0ES3_jPlS8_PNS0_10empty_typeENS0_5tupleIJS8_S9_EEENSB_IJS8_SA_EEENS0_18inequality_wrapperIZN2at6native12_GLOBAL__N_124unique_dim_cuda_templateIaEESt5tupleIJNSF_6TensorESK_SK_EERKSK_lbbbEUlllE0_EEPmJS9_EEE10hipError_tPvRmT3_T4_T5_T6_T7_T9_mT8_P12ihipStream_tbDpT10_ENKUlT_T0_E_clISt17integral_constantIbLb0EES1A_EEDaS15_S16_EUlS15_E_NS1_11comp_targetILNS1_3genE10ELNS1_11target_archE1200ELNS1_3gpuE4ELNS1_3repE0EEENS1_30default_config_static_selectorELNS0_4arch9wavefront6targetE0EEEvT1_,comdat
.Lfunc_end356:
	.size	_ZN7rocprim17ROCPRIM_400000_NS6detail17trampoline_kernelINS0_14default_configENS1_25partition_config_selectorILNS1_17partition_subalgoE9EllbEEZZNS1_14partition_implILS5_9ELb0ES3_jPlS8_PNS0_10empty_typeENS0_5tupleIJS8_S9_EEENSB_IJS8_SA_EEENS0_18inequality_wrapperIZN2at6native12_GLOBAL__N_124unique_dim_cuda_templateIaEESt5tupleIJNSF_6TensorESK_SK_EERKSK_lbbbEUlllE0_EEPmJS9_EEE10hipError_tPvRmT3_T4_T5_T6_T7_T9_mT8_P12ihipStream_tbDpT10_ENKUlT_T0_E_clISt17integral_constantIbLb0EES1A_EEDaS15_S16_EUlS15_E_NS1_11comp_targetILNS1_3genE10ELNS1_11target_archE1200ELNS1_3gpuE4ELNS1_3repE0EEENS1_30default_config_static_selectorELNS0_4arch9wavefront6targetE0EEEvT1_, .Lfunc_end356-_ZN7rocprim17ROCPRIM_400000_NS6detail17trampoline_kernelINS0_14default_configENS1_25partition_config_selectorILNS1_17partition_subalgoE9EllbEEZZNS1_14partition_implILS5_9ELb0ES3_jPlS8_PNS0_10empty_typeENS0_5tupleIJS8_S9_EEENSB_IJS8_SA_EEENS0_18inequality_wrapperIZN2at6native12_GLOBAL__N_124unique_dim_cuda_templateIaEESt5tupleIJNSF_6TensorESK_SK_EERKSK_lbbbEUlllE0_EEPmJS9_EEE10hipError_tPvRmT3_T4_T5_T6_T7_T9_mT8_P12ihipStream_tbDpT10_ENKUlT_T0_E_clISt17integral_constantIbLb0EES1A_EEDaS15_S16_EUlS15_E_NS1_11comp_targetILNS1_3genE10ELNS1_11target_archE1200ELNS1_3gpuE4ELNS1_3repE0EEENS1_30default_config_static_selectorELNS0_4arch9wavefront6targetE0EEEvT1_
                                        ; -- End function
	.section	.AMDGPU.csdata,"",@progbits
; Kernel info:
; codeLenInByte = 0
; NumSgprs: 0
; NumVgprs: 0
; ScratchSize: 0
; MemoryBound: 0
; FloatMode: 240
; IeeeMode: 1
; LDSByteSize: 0 bytes/workgroup (compile time only)
; SGPRBlocks: 0
; VGPRBlocks: 0
; NumSGPRsForWavesPerEU: 1
; NumVGPRsForWavesPerEU: 1
; Occupancy: 15
; WaveLimiterHint : 0
; COMPUTE_PGM_RSRC2:SCRATCH_EN: 0
; COMPUTE_PGM_RSRC2:USER_SGPR: 15
; COMPUTE_PGM_RSRC2:TRAP_HANDLER: 0
; COMPUTE_PGM_RSRC2:TGID_X_EN: 1
; COMPUTE_PGM_RSRC2:TGID_Y_EN: 0
; COMPUTE_PGM_RSRC2:TGID_Z_EN: 0
; COMPUTE_PGM_RSRC2:TIDIG_COMP_CNT: 0
	.section	.text._ZN7rocprim17ROCPRIM_400000_NS6detail17trampoline_kernelINS0_14default_configENS1_25partition_config_selectorILNS1_17partition_subalgoE9EllbEEZZNS1_14partition_implILS5_9ELb0ES3_jPlS8_PNS0_10empty_typeENS0_5tupleIJS8_S9_EEENSB_IJS8_SA_EEENS0_18inequality_wrapperIZN2at6native12_GLOBAL__N_124unique_dim_cuda_templateIaEESt5tupleIJNSF_6TensorESK_SK_EERKSK_lbbbEUlllE0_EEPmJS9_EEE10hipError_tPvRmT3_T4_T5_T6_T7_T9_mT8_P12ihipStream_tbDpT10_ENKUlT_T0_E_clISt17integral_constantIbLb0EES1A_EEDaS15_S16_EUlS15_E_NS1_11comp_targetILNS1_3genE9ELNS1_11target_archE1100ELNS1_3gpuE3ELNS1_3repE0EEENS1_30default_config_static_selectorELNS0_4arch9wavefront6targetE0EEEvT1_,"axG",@progbits,_ZN7rocprim17ROCPRIM_400000_NS6detail17trampoline_kernelINS0_14default_configENS1_25partition_config_selectorILNS1_17partition_subalgoE9EllbEEZZNS1_14partition_implILS5_9ELb0ES3_jPlS8_PNS0_10empty_typeENS0_5tupleIJS8_S9_EEENSB_IJS8_SA_EEENS0_18inequality_wrapperIZN2at6native12_GLOBAL__N_124unique_dim_cuda_templateIaEESt5tupleIJNSF_6TensorESK_SK_EERKSK_lbbbEUlllE0_EEPmJS9_EEE10hipError_tPvRmT3_T4_T5_T6_T7_T9_mT8_P12ihipStream_tbDpT10_ENKUlT_T0_E_clISt17integral_constantIbLb0EES1A_EEDaS15_S16_EUlS15_E_NS1_11comp_targetILNS1_3genE9ELNS1_11target_archE1100ELNS1_3gpuE3ELNS1_3repE0EEENS1_30default_config_static_selectorELNS0_4arch9wavefront6targetE0EEEvT1_,comdat
	.globl	_ZN7rocprim17ROCPRIM_400000_NS6detail17trampoline_kernelINS0_14default_configENS1_25partition_config_selectorILNS1_17partition_subalgoE9EllbEEZZNS1_14partition_implILS5_9ELb0ES3_jPlS8_PNS0_10empty_typeENS0_5tupleIJS8_S9_EEENSB_IJS8_SA_EEENS0_18inequality_wrapperIZN2at6native12_GLOBAL__N_124unique_dim_cuda_templateIaEESt5tupleIJNSF_6TensorESK_SK_EERKSK_lbbbEUlllE0_EEPmJS9_EEE10hipError_tPvRmT3_T4_T5_T6_T7_T9_mT8_P12ihipStream_tbDpT10_ENKUlT_T0_E_clISt17integral_constantIbLb0EES1A_EEDaS15_S16_EUlS15_E_NS1_11comp_targetILNS1_3genE9ELNS1_11target_archE1100ELNS1_3gpuE3ELNS1_3repE0EEENS1_30default_config_static_selectorELNS0_4arch9wavefront6targetE0EEEvT1_ ; -- Begin function _ZN7rocprim17ROCPRIM_400000_NS6detail17trampoline_kernelINS0_14default_configENS1_25partition_config_selectorILNS1_17partition_subalgoE9EllbEEZZNS1_14partition_implILS5_9ELb0ES3_jPlS8_PNS0_10empty_typeENS0_5tupleIJS8_S9_EEENSB_IJS8_SA_EEENS0_18inequality_wrapperIZN2at6native12_GLOBAL__N_124unique_dim_cuda_templateIaEESt5tupleIJNSF_6TensorESK_SK_EERKSK_lbbbEUlllE0_EEPmJS9_EEE10hipError_tPvRmT3_T4_T5_T6_T7_T9_mT8_P12ihipStream_tbDpT10_ENKUlT_T0_E_clISt17integral_constantIbLb0EES1A_EEDaS15_S16_EUlS15_E_NS1_11comp_targetILNS1_3genE9ELNS1_11target_archE1100ELNS1_3gpuE3ELNS1_3repE0EEENS1_30default_config_static_selectorELNS0_4arch9wavefront6targetE0EEEvT1_
	.p2align	8
	.type	_ZN7rocprim17ROCPRIM_400000_NS6detail17trampoline_kernelINS0_14default_configENS1_25partition_config_selectorILNS1_17partition_subalgoE9EllbEEZZNS1_14partition_implILS5_9ELb0ES3_jPlS8_PNS0_10empty_typeENS0_5tupleIJS8_S9_EEENSB_IJS8_SA_EEENS0_18inequality_wrapperIZN2at6native12_GLOBAL__N_124unique_dim_cuda_templateIaEESt5tupleIJNSF_6TensorESK_SK_EERKSK_lbbbEUlllE0_EEPmJS9_EEE10hipError_tPvRmT3_T4_T5_T6_T7_T9_mT8_P12ihipStream_tbDpT10_ENKUlT_T0_E_clISt17integral_constantIbLb0EES1A_EEDaS15_S16_EUlS15_E_NS1_11comp_targetILNS1_3genE9ELNS1_11target_archE1100ELNS1_3gpuE3ELNS1_3repE0EEENS1_30default_config_static_selectorELNS0_4arch9wavefront6targetE0EEEvT1_,@function
_ZN7rocprim17ROCPRIM_400000_NS6detail17trampoline_kernelINS0_14default_configENS1_25partition_config_selectorILNS1_17partition_subalgoE9EllbEEZZNS1_14partition_implILS5_9ELb0ES3_jPlS8_PNS0_10empty_typeENS0_5tupleIJS8_S9_EEENSB_IJS8_SA_EEENS0_18inequality_wrapperIZN2at6native12_GLOBAL__N_124unique_dim_cuda_templateIaEESt5tupleIJNSF_6TensorESK_SK_EERKSK_lbbbEUlllE0_EEPmJS9_EEE10hipError_tPvRmT3_T4_T5_T6_T7_T9_mT8_P12ihipStream_tbDpT10_ENKUlT_T0_E_clISt17integral_constantIbLb0EES1A_EEDaS15_S16_EUlS15_E_NS1_11comp_targetILNS1_3genE9ELNS1_11target_archE1100ELNS1_3gpuE3ELNS1_3repE0EEENS1_30default_config_static_selectorELNS0_4arch9wavefront6targetE0EEEvT1_: ; @_ZN7rocprim17ROCPRIM_400000_NS6detail17trampoline_kernelINS0_14default_configENS1_25partition_config_selectorILNS1_17partition_subalgoE9EllbEEZZNS1_14partition_implILS5_9ELb0ES3_jPlS8_PNS0_10empty_typeENS0_5tupleIJS8_S9_EEENSB_IJS8_SA_EEENS0_18inequality_wrapperIZN2at6native12_GLOBAL__N_124unique_dim_cuda_templateIaEESt5tupleIJNSF_6TensorESK_SK_EERKSK_lbbbEUlllE0_EEPmJS9_EEE10hipError_tPvRmT3_T4_T5_T6_T7_T9_mT8_P12ihipStream_tbDpT10_ENKUlT_T0_E_clISt17integral_constantIbLb0EES1A_EEDaS15_S16_EUlS15_E_NS1_11comp_targetILNS1_3genE9ELNS1_11target_archE1100ELNS1_3gpuE3ELNS1_3repE0EEENS1_30default_config_static_selectorELNS0_4arch9wavefront6targetE0EEEvT1_
; %bb.0:
	s_clause 0x3
	s_load_b128 s[4:7], s[0:1], 0x8
	s_load_b32 s8, s[0:1], 0x70
	s_load_b256 s[16:23], s[0:1], 0x40
	s_load_b64 s[24:25], s[0:1], 0x18
	s_mov_b32 s3, 0
	v_lshlrev_b32_e32 v55, 3, v0
	v_lshrrev_b32_e32 v33, 2, v0
	v_or_b32_e32 v38, 0x200, v0
	v_or_b32_e32 v36, 0x400, v0
	;; [unrolled: 1-line block ×7, first 2 shown]
	s_waitcnt lgkmcnt(0)
	s_lshl_b64 s[26:27], s[6:7], 3
	s_delay_alu instid0(SALU_CYCLE_1)
	s_add_u32 s9, s4, s26
	s_addc_u32 s10, s5, s27
	s_add_i32 s11, s8, -1
	s_load_b64 s[12:13], s[18:19], 0x0
	s_lshl_b32 s4, s11, 12
	s_lshl_b32 s5, s8, 12
	s_add_i32 s4, s6, s4
	s_lshl_b32 s2, s15, 12
	s_sub_i32 s28, s20, s4
	s_add_u32 s4, s6, s5
	s_addc_u32 s5, s7, 0
	s_cmp_eq_u32 s15, s11
	v_cmp_ge_u64_e64 s4, s[4:5], s[20:21]
	s_cselect_b32 s14, -1, 0
	s_lshl_b64 s[18:19], s[2:3], 3
	s_mov_b32 s3, -1
	s_delay_alu instid0(VALU_DEP_1) | instskip(NEXT) | instid1(SALU_CYCLE_1)
	s_and_b32 s21, s14, s4
	s_xor_b32 s20, s21, -1
	s_add_u32 s4, s9, s18
	s_addc_u32 s5, s10, s19
	s_and_b32 vcc_lo, exec_lo, s20
	s_cbranch_vccz .LBB357_2
; %bb.1:
	v_add_co_u32 v9, s2, s4, v55
	s_delay_alu instid0(VALU_DEP_1)
	v_add_co_ci_u32_e64 v10, null, s5, 0, s2
	global_load_b64 v[1:2], v55, s[4:5]
	v_add_co_u32 v3, vcc_lo, v9, 0x2000
	v_add_co_ci_u32_e32 v4, vcc_lo, 0, v10, vcc_lo
	v_add_co_u32 v5, vcc_lo, v9, 0x4000
	v_add_co_ci_u32_e32 v6, vcc_lo, 0, v10, vcc_lo
	;; [unrolled: 2-line block ×4, first 2 shown]
	s_clause 0x6
	global_load_b64 v[11:12], v[3:4], off offset:-4096
	global_load_b64 v[3:4], v[3:4], off
	global_load_b64 v[13:14], v[5:6], off offset:-4096
	global_load_b64 v[5:6], v[5:6], off
	;; [unrolled: 2-line block ×3, first 2 shown]
	global_load_b64 v[9:10], v[9:10], off
	v_lshrrev_b32_e32 v18, 2, v38
	v_lshrrev_b32_e32 v19, 2, v36
	;; [unrolled: 1-line block ×4, first 2 shown]
	v_and_b32_e32 v17, 0x78, v33
	v_lshrrev_b32_e32 v22, 2, v37
	v_lshrrev_b32_e32 v23, 2, v34
	;; [unrolled: 1-line block ×3, first 2 shown]
	v_and_b32_e32 v18, 0xf8, v18
	v_and_b32_e32 v19, 0x178, v19
	v_and_b32_e32 v20, 0x1f8, v20
	v_and_b32_e32 v21, 0x278, v21
	v_add_nc_u32_e32 v17, v17, v55
	v_and_b32_e32 v22, 0x2f8, v22
	v_and_b32_e32 v23, 0x378, v23
	;; [unrolled: 1-line block ×3, first 2 shown]
	v_add_nc_u32_e32 v18, v18, v55
	v_add_nc_u32_e32 v19, v19, v55
	;; [unrolled: 1-line block ×4, first 2 shown]
	s_mov_b32 s3, 0
	v_add_nc_u32_e32 v22, v22, v55
	v_add_nc_u32_e32 v23, v23, v55
	;; [unrolled: 1-line block ×3, first 2 shown]
	s_waitcnt vmcnt(7)
	ds_store_b64 v17, v[1:2]
	s_waitcnt vmcnt(6)
	ds_store_b64 v18, v[11:12] offset:4096
	s_waitcnt vmcnt(5)
	ds_store_b64 v19, v[3:4] offset:8192
	;; [unrolled: 2-line block ×7, first 2 shown]
	s_waitcnt lgkmcnt(0)
	s_barrier
.LBB357_2:
	s_load_b128 s[8:11], s[0:1], 0x60
	v_cmp_gt_u32_e64 s2, s28, v0
	s_and_not1_b32 vcc_lo, exec_lo, s3
	s_cbranch_vccnz .LBB357_20
; %bb.3:
                                        ; implicit-def: $vgpr1_vgpr2_vgpr3_vgpr4_vgpr5_vgpr6_vgpr7_vgpr8_vgpr9_vgpr10_vgpr11_vgpr12_vgpr13_vgpr14_vgpr15_vgpr16
	s_delay_alu instid0(VALU_DEP_1)
	s_and_saveexec_b32 s3, s2
	s_cbranch_execz .LBB357_11
; %bb.4:
	global_load_b64 v[1:2], v55, s[4:5]
	s_or_b32 exec_lo, exec_lo, s3
	s_delay_alu instid0(SALU_CYCLE_1)
	s_mov_b32 s2, exec_lo
	v_cmpx_gt_u32_e64 s28, v38
	s_cbranch_execnz .LBB357_12
.LBB357_5:
	s_or_b32 exec_lo, exec_lo, s2
	s_delay_alu instid0(SALU_CYCLE_1)
	s_mov_b32 s2, exec_lo
	v_cmpx_gt_u32_e64 s28, v36
	s_cbranch_execz .LBB357_13
.LBB357_6:
	v_lshlrev_b32_e32 v5, 3, v36
	global_load_b64 v[5:6], v5, s[4:5]
	s_or_b32 exec_lo, exec_lo, s2
	s_delay_alu instid0(SALU_CYCLE_1)
	s_mov_b32 s2, exec_lo
	v_cmpx_gt_u32_e64 s28, v40
	s_cbranch_execnz .LBB357_14
.LBB357_7:
	s_or_b32 exec_lo, exec_lo, s2
	s_delay_alu instid0(SALU_CYCLE_1)
	s_mov_b32 s2, exec_lo
	v_cmpx_gt_u32_e64 s28, v39
	s_cbranch_execz .LBB357_15
.LBB357_8:
	v_lshlrev_b32_e32 v9, 3, v39
	global_load_b64 v[9:10], v9, s[4:5]
	s_or_b32 exec_lo, exec_lo, s2
	s_delay_alu instid0(SALU_CYCLE_1)
	s_mov_b32 s2, exec_lo
	v_cmpx_gt_u32_e64 s28, v37
	s_cbranch_execnz .LBB357_16
.LBB357_9:
	s_or_b32 exec_lo, exec_lo, s2
	s_delay_alu instid0(SALU_CYCLE_1)
	s_mov_b32 s2, exec_lo
	v_cmpx_gt_u32_e64 s28, v34
	s_cbranch_execz .LBB357_17
.LBB357_10:
	v_lshlrev_b32_e32 v13, 3, v34
	global_load_b64 v[13:14], v13, s[4:5]
	s_or_b32 exec_lo, exec_lo, s2
	s_delay_alu instid0(SALU_CYCLE_1)
	s_mov_b32 s2, exec_lo
	v_cmpx_gt_u32_e64 s28, v35
	s_cbranch_execnz .LBB357_18
	s_branch .LBB357_19
.LBB357_11:
	s_or_b32 exec_lo, exec_lo, s3
	s_delay_alu instid0(SALU_CYCLE_1)
	s_mov_b32 s2, exec_lo
	v_cmpx_gt_u32_e64 s28, v38
	s_cbranch_execz .LBB357_5
.LBB357_12:
	v_lshlrev_b32_e32 v3, 3, v38
	global_load_b64 v[3:4], v3, s[4:5]
	s_or_b32 exec_lo, exec_lo, s2
	s_delay_alu instid0(SALU_CYCLE_1)
	s_mov_b32 s2, exec_lo
	v_cmpx_gt_u32_e64 s28, v36
	s_cbranch_execnz .LBB357_6
.LBB357_13:
	s_or_b32 exec_lo, exec_lo, s2
	s_delay_alu instid0(SALU_CYCLE_1)
	s_mov_b32 s2, exec_lo
	v_cmpx_gt_u32_e64 s28, v40
	s_cbranch_execz .LBB357_7
.LBB357_14:
	v_lshlrev_b32_e32 v7, 3, v40
	global_load_b64 v[7:8], v7, s[4:5]
	s_or_b32 exec_lo, exec_lo, s2
	s_delay_alu instid0(SALU_CYCLE_1)
	s_mov_b32 s2, exec_lo
	v_cmpx_gt_u32_e64 s28, v39
	s_cbranch_execnz .LBB357_8
.LBB357_15:
	s_or_b32 exec_lo, exec_lo, s2
	s_delay_alu instid0(SALU_CYCLE_1)
	s_mov_b32 s2, exec_lo
	v_cmpx_gt_u32_e64 s28, v37
	s_cbranch_execz .LBB357_9
.LBB357_16:
	v_lshlrev_b32_e32 v11, 3, v37
	global_load_b64 v[11:12], v11, s[4:5]
	s_or_b32 exec_lo, exec_lo, s2
	s_delay_alu instid0(SALU_CYCLE_1)
	s_mov_b32 s2, exec_lo
	v_cmpx_gt_u32_e64 s28, v34
	s_cbranch_execnz .LBB357_10
.LBB357_17:
	s_or_b32 exec_lo, exec_lo, s2
	s_delay_alu instid0(SALU_CYCLE_1)
	s_mov_b32 s2, exec_lo
	v_cmpx_gt_u32_e64 s28, v35
	s_cbranch_execz .LBB357_19
.LBB357_18:
	v_lshlrev_b32_e32 v15, 3, v35
	global_load_b64 v[15:16], v15, s[4:5]
.LBB357_19:
	s_or_b32 exec_lo, exec_lo, s2
	v_lshrrev_b32_e32 v17, 2, v38
	v_lshrrev_b32_e32 v18, 2, v36
	v_lshrrev_b32_e32 v20, 2, v40
	v_lshrrev_b32_e32 v21, 2, v39
	v_and_b32_e32 v19, 0x78, v33
	v_lshrrev_b32_e32 v22, 2, v37
	v_lshrrev_b32_e32 v23, 2, v34
	;; [unrolled: 1-line block ×3, first 2 shown]
	v_and_b32_e32 v17, 0xf8, v17
	v_and_b32_e32 v18, 0x1f8, v18
	;; [unrolled: 1-line block ×4, first 2 shown]
	v_add_nc_u32_e32 v19, v19, v55
	v_and_b32_e32 v22, 0x3f8, v22
	v_and_b32_e32 v23, 0x3f8, v23
	;; [unrolled: 1-line block ×3, first 2 shown]
	v_add_nc_u32_e32 v17, v17, v55
	v_add_nc_u32_e32 v18, v18, v55
	;; [unrolled: 1-line block ×7, first 2 shown]
	s_waitcnt vmcnt(0)
	ds_store_b64 v19, v[1:2]
	ds_store_b64 v17, v[3:4] offset:4096
	ds_store_b64 v18, v[5:6] offset:8192
	;; [unrolled: 1-line block ×7, first 2 shown]
	s_waitcnt lgkmcnt(0)
	s_barrier
.LBB357_20:
	v_add_lshl_u32 v41, v33, v55, 3
	s_waitcnt lgkmcnt(0)
	buffer_gl0_inv
	s_add_u32 s2, s24, s26
	s_addc_u32 s3, s25, s27
	s_add_u32 s2, s2, s18
	ds_load_2addr_b64 v[29:32], v41 offset1:1
	ds_load_2addr_b64 v[25:28], v41 offset0:2 offset1:3
	ds_load_2addr_b64 v[21:24], v41 offset0:4 offset1:5
	;; [unrolled: 1-line block ×3, first 2 shown]
	s_addc_u32 s3, s3, s19
	s_and_b32 vcc_lo, exec_lo, s20
	s_mov_b32 s18, -1
	s_waitcnt lgkmcnt(0)
	s_barrier
	buffer_gl0_inv
	s_cbranch_vccz .LBB357_22
; %bb.21:
	v_add_co_u32 v9, s18, s2, v55
	s_delay_alu instid0(VALU_DEP_1)
	v_add_co_ci_u32_e64 v10, null, s3, 0, s18
	global_load_b64 v[1:2], v55, s[2:3]
	v_add_co_u32 v3, vcc_lo, v9, 0x2000
	v_add_co_ci_u32_e32 v4, vcc_lo, 0, v10, vcc_lo
	v_add_co_u32 v5, vcc_lo, v9, 0x4000
	v_add_co_ci_u32_e32 v6, vcc_lo, 0, v10, vcc_lo
	;; [unrolled: 2-line block ×4, first 2 shown]
	s_clause 0x6
	global_load_b64 v[11:12], v[3:4], off offset:-4096
	global_load_b64 v[3:4], v[3:4], off
	global_load_b64 v[13:14], v[5:6], off offset:-4096
	global_load_b64 v[5:6], v[5:6], off
	global_load_b64 v[15:16], v[7:8], off offset:-4096
	global_load_b64 v[7:8], v[7:8], off
	global_load_b64 v[9:10], v[9:10], off
	v_lshrrev_b32_e32 v43, 2, v38
	v_lshrrev_b32_e32 v44, 2, v36
	;; [unrolled: 1-line block ×4, first 2 shown]
	v_and_b32_e32 v42, 0x78, v33
	v_lshrrev_b32_e32 v47, 2, v37
	v_lshrrev_b32_e32 v48, 2, v34
	;; [unrolled: 1-line block ×3, first 2 shown]
	v_and_b32_e32 v43, 0xf8, v43
	v_and_b32_e32 v44, 0x178, v44
	;; [unrolled: 1-line block ×4, first 2 shown]
	v_add_nc_u32_e32 v42, v42, v55
	v_and_b32_e32 v47, 0x2f8, v47
	v_and_b32_e32 v48, 0x378, v48
	;; [unrolled: 1-line block ×3, first 2 shown]
	v_add_nc_u32_e32 v43, v43, v55
	v_add_nc_u32_e32 v44, v44, v55
	;; [unrolled: 1-line block ×4, first 2 shown]
	s_mov_b32 s18, 0
	v_add_nc_u32_e32 v47, v47, v55
	v_add_nc_u32_e32 v48, v48, v55
	v_add_nc_u32_e32 v49, v49, v55
	s_waitcnt vmcnt(7)
	ds_store_b64 v42, v[1:2]
	s_waitcnt vmcnt(6)
	ds_store_b64 v43, v[11:12] offset:4096
	s_waitcnt vmcnt(5)
	ds_store_b64 v44, v[3:4] offset:8192
	;; [unrolled: 2-line block ×7, first 2 shown]
	s_waitcnt lgkmcnt(0)
	s_barrier
.LBB357_22:
	s_and_not1_b32 vcc_lo, exec_lo, s18
	s_cbranch_vccnz .LBB357_40
; %bb.23:
	s_mov_b32 s18, exec_lo
                                        ; implicit-def: $vgpr1_vgpr2
	v_cmpx_gt_u32_e64 s28, v0
	s_cbranch_execz .LBB357_25
; %bb.24:
	global_load_b64 v[1:2], v55, s[2:3]
.LBB357_25:
	s_or_b32 exec_lo, exec_lo, s18
	s_delay_alu instid0(SALU_CYCLE_1)
	s_mov_b32 s18, exec_lo
                                        ; implicit-def: $vgpr3_vgpr4
	v_cmpx_gt_u32_e64 s28, v38
	s_cbranch_execz .LBB357_27
; %bb.26:
	v_lshlrev_b32_e32 v3, 3, v38
	global_load_b64 v[3:4], v3, s[2:3]
.LBB357_27:
	s_or_b32 exec_lo, exec_lo, s18
	s_delay_alu instid0(SALU_CYCLE_1)
	s_mov_b32 s18, exec_lo
                                        ; implicit-def: $vgpr5_vgpr6
	v_cmpx_gt_u32_e64 s28, v36
	s_cbranch_execz .LBB357_29
; %bb.28:
	v_lshlrev_b32_e32 v5, 3, v36
	global_load_b64 v[5:6], v5, s[2:3]
.LBB357_29:
	s_or_b32 exec_lo, exec_lo, s18
	s_delay_alu instid0(SALU_CYCLE_1)
	s_mov_b32 s18, exec_lo
                                        ; implicit-def: $vgpr7_vgpr8
	v_cmpx_gt_u32_e64 s28, v40
	s_cbranch_execz .LBB357_31
; %bb.30:
	v_lshlrev_b32_e32 v7, 3, v40
	global_load_b64 v[7:8], v7, s[2:3]
.LBB357_31:
	s_or_b32 exec_lo, exec_lo, s18
	s_delay_alu instid0(SALU_CYCLE_1)
	s_mov_b32 s18, exec_lo
                                        ; implicit-def: $vgpr9_vgpr10
	v_cmpx_gt_u32_e64 s28, v39
	s_cbranch_execz .LBB357_33
; %bb.32:
	v_lshlrev_b32_e32 v9, 3, v39
	global_load_b64 v[9:10], v9, s[2:3]
.LBB357_33:
	s_or_b32 exec_lo, exec_lo, s18
	s_delay_alu instid0(SALU_CYCLE_1)
	s_mov_b32 s18, exec_lo
                                        ; implicit-def: $vgpr11_vgpr12
	v_cmpx_gt_u32_e64 s28, v37
	s_cbranch_execz .LBB357_35
; %bb.34:
	v_lshlrev_b32_e32 v11, 3, v37
	global_load_b64 v[11:12], v11, s[2:3]
.LBB357_35:
	s_or_b32 exec_lo, exec_lo, s18
	s_delay_alu instid0(SALU_CYCLE_1)
	s_mov_b32 s18, exec_lo
                                        ; implicit-def: $vgpr13_vgpr14
	v_cmpx_gt_u32_e64 s28, v34
	s_cbranch_execz .LBB357_37
; %bb.36:
	v_lshlrev_b32_e32 v13, 3, v34
	global_load_b64 v[13:14], v13, s[2:3]
.LBB357_37:
	s_or_b32 exec_lo, exec_lo, s18
	s_delay_alu instid0(SALU_CYCLE_1)
	s_mov_b32 s18, exec_lo
                                        ; implicit-def: $vgpr15_vgpr16
	v_cmpx_gt_u32_e64 s28, v35
	s_cbranch_execz .LBB357_39
; %bb.38:
	v_lshlrev_b32_e32 v15, 3, v35
	global_load_b64 v[15:16], v15, s[2:3]
.LBB357_39:
	s_or_b32 exec_lo, exec_lo, s18
	v_lshrrev_b32_e32 v38, 2, v38
	v_lshrrev_b32_e32 v36, 2, v36
	v_lshrrev_b32_e32 v40, 2, v40
	v_lshrrev_b32_e32 v39, 2, v39
	v_and_b32_e32 v33, 0x78, v33
	v_lshrrev_b32_e32 v37, 2, v37
	v_lshrrev_b32_e32 v34, 2, v34
	;; [unrolled: 1-line block ×3, first 2 shown]
	v_and_b32_e32 v38, 0xf8, v38
	v_and_b32_e32 v36, 0x1f8, v36
	;; [unrolled: 1-line block ×4, first 2 shown]
	v_add_nc_u32_e32 v33, v33, v55
	v_and_b32_e32 v37, 0x3f8, v37
	v_and_b32_e32 v34, 0x3f8, v34
	;; [unrolled: 1-line block ×3, first 2 shown]
	v_add_nc_u32_e32 v38, v38, v55
	v_add_nc_u32_e32 v36, v36, v55
	;; [unrolled: 1-line block ×7, first 2 shown]
	s_waitcnt vmcnt(0)
	ds_store_b64 v33, v[1:2]
	ds_store_b64 v38, v[3:4] offset:4096
	ds_store_b64 v36, v[5:6] offset:8192
	;; [unrolled: 1-line block ×7, first 2 shown]
	s_waitcnt lgkmcnt(0)
	s_barrier
.LBB357_40:
	buffer_gl0_inv
	ds_load_2addr_b64 v[13:16], v41 offset1:1
	ds_load_2addr_b64 v[9:12], v41 offset0:2 offset1:3
	ds_load_2addr_b64 v[5:8], v41 offset0:4 offset1:5
	;; [unrolled: 1-line block ×3, first 2 shown]
	s_cmp_lg_u32 s15, 0
	v_cmp_gt_i64_e64 s19, s[22:23], 0
	s_cselect_b32 s18, -1, 0
	s_cmp_lg_u64 s[6:7], 0
	s_mov_b32 s6, 0
	s_cselect_b32 s2, -1, 0
	s_waitcnt lgkmcnt(0)
	s_or_b32 s2, s18, s2
	s_barrier
	s_and_b32 vcc_lo, exec_lo, s2
	buffer_gl0_inv
	s_cbranch_vccz .LBB357_49
; %bb.41:
	s_add_u32 s2, s4, -8
	s_addc_u32 s3, s5, -1
	v_cndmask_b32_e64 v40, 0, 1, s19
	s_load_b64 s[4:5], s[2:3], 0x0
	s_and_b32 vcc_lo, exec_lo, s20
	ds_store_b64 v55, v[19:20]
	v_cmp_ne_u32_e64 s2, 1, v40
	s_cbranch_vccz .LBB357_50
; %bb.42:
	v_mul_lo_u32 v35, v18, s22
	v_mul_lo_u32 v36, v17, s23
	v_mad_u64_u32 v[33:34], null, v17, s22, 0
	s_mov_b32 s24, 0
	s_and_b32 vcc_lo, exec_lo, s2
	s_mov_b32 s25, 0
	s_delay_alu instid0(VALU_DEP_1)
	v_add3_u32 v41, v34, v36, v35
	s_cbranch_vccnz .LBB357_53
; %bb.43:
	v_mad_u64_u32 v[34:35], null, v19, s22, s[8:9]
	v_mul_lo_u32 v38, v19, s23
	v_mul_lo_u32 v39, v20, s22
	v_add_co_u32 v36, vcc_lo, s8, v33
	v_add_co_ci_u32_e32 v37, vcc_lo, s9, v41, vcc_lo
	s_mov_b32 s25, -1
	s_mov_b32 s26, exec_lo
	s_delay_alu instid0(VALU_DEP_3)
	v_add3_u32 v35, v39, v35, v38
	s_clause 0x1
	global_load_u8 v38, v[36:37], off
	global_load_u8 v39, v[34:35], off
	s_waitcnt vmcnt(0)
	v_cmpx_eq_u16_e64 v38, v39
	s_cbranch_execz .LBB357_52
; %bb.44:
	s_mov_b64 s[2:3], 1
	s_mov_b32 s25, 0
                                        ; implicit-def: $sgpr27
	s_set_inst_prefetch_distance 0x1
	s_branch .LBB357_47
	.p2align	6
.LBB357_45:                             ;   in Loop: Header=BB357_47 Depth=1
	v_add_co_u32 v38, vcc_lo, v36, s2
	v_add_co_ci_u32_e32 v39, vcc_lo, s3, v37, vcc_lo
	v_add_co_u32 v42, vcc_lo, v34, s2
	v_add_co_ci_u32_e32 v43, vcc_lo, s3, v35, vcc_lo
	s_add_u32 s6, s2, 1
	s_clause 0x1
	global_load_u8 v38, v[38:39], off
	global_load_u8 v39, v[42:43], off
	s_addc_u32 s7, s3, 0
	s_and_not1_b32 s27, s27, exec_lo
	s_waitcnt vmcnt(0)
	v_cmp_ne_u16_e32 vcc_lo, v38, v39
	s_and_b32 s29, vcc_lo, exec_lo
	s_delay_alu instid0(SALU_CYCLE_1)
	s_or_b32 s27, s27, s29
.LBB357_46:                             ;   in Loop: Header=BB357_47 Depth=1
	v_dual_mov_b32 v39, s3 :: v_dual_mov_b32 v38, s2
	s_and_b32 s29, exec_lo, s27
	s_mov_b64 s[2:3], s[6:7]
	s_or_b32 s25, s29, s25
	s_delay_alu instid0(SALU_CYCLE_1)
	s_and_not1_b32 exec_lo, exec_lo, s25
	s_cbranch_execz .LBB357_51
.LBB357_47:                             ; =>This Inner Loop Header: Depth=1
	s_or_b32 s27, s27, exec_lo
	s_cmp_eq_u64 s[22:23], s[2:3]
	s_cbranch_scc0 .LBB357_45
; %bb.48:                               ;   in Loop: Header=BB357_47 Depth=1
	s_mov_b64 s[2:3], s[22:23]
                                        ; implicit-def: $sgpr6_sgpr7
	s_branch .LBB357_46
.LBB357_49:
                                        ; implicit-def: $sgpr2
                                        ; implicit-def: $vgpr34
	s_branch .LBB357_211
.LBB357_50:
                                        ; implicit-def: $sgpr2
                                        ; implicit-def: $vgpr34
	s_cbranch_execnz .LBB357_119
	s_branch .LBB357_210
.LBB357_51:
	s_set_inst_prefetch_distance 0x2
	s_or_b32 exec_lo, exec_lo, s25
	v_cmp_gt_i64_e32 vcc_lo, s[22:23], v[38:39]
	s_or_not1_b32 s25, vcc_lo, exec_lo
.LBB357_52:
	s_or_b32 exec_lo, exec_lo, s26
.LBB357_53:
	v_mul_lo_u32 v34, v24, s22
	v_mul_lo_u32 v37, v23, s23
	v_mad_u64_u32 v[35:36], null, v23, s22, 0
	s_and_not1_b32 vcc_lo, exec_lo, s19
	s_delay_alu instid0(VALU_DEP_1)
	v_add3_u32 v42, v36, v37, v34
	s_cbranch_vccnz .LBB357_62
; %bb.54:
	s_delay_alu instid0(VALU_DEP_2) | instskip(NEXT) | instid1(VALU_DEP_2)
	v_add_co_u32 v36, vcc_lo, s8, v35
	v_add_co_ci_u32_e32 v37, vcc_lo, s9, v42, vcc_lo
	v_add_co_u32 v33, vcc_lo, s8, v33
	v_add_co_ci_u32_e32 v34, vcc_lo, s9, v41, vcc_lo
	s_mov_b32 s24, -1
	s_clause 0x1
	global_load_u8 v38, v[36:37], off
	global_load_u8 v39, v[33:34], off
	s_mov_b32 s26, exec_lo
	s_waitcnt vmcnt(0)
	v_cmpx_eq_u16_e64 v38, v39
	s_cbranch_execz .LBB357_61
; %bb.55:
	s_mov_b64 s[2:3], 1
	s_mov_b32 s24, 0
                                        ; implicit-def: $sgpr27
	s_set_inst_prefetch_distance 0x1
	s_branch .LBB357_58
	.p2align	6
.LBB357_56:                             ;   in Loop: Header=BB357_58 Depth=1
	v_add_co_u32 v38, vcc_lo, v36, s2
	v_add_co_ci_u32_e32 v39, vcc_lo, s3, v37, vcc_lo
	v_add_co_u32 v43, vcc_lo, v33, s2
	v_add_co_ci_u32_e32 v44, vcc_lo, s3, v34, vcc_lo
	s_add_u32 s6, s2, 1
	s_clause 0x1
	global_load_u8 v38, v[38:39], off
	global_load_u8 v39, v[43:44], off
	s_addc_u32 s7, s3, 0
	s_and_not1_b32 s27, s27, exec_lo
	s_waitcnt vmcnt(0)
	v_cmp_ne_u16_e32 vcc_lo, v38, v39
	s_and_b32 s29, vcc_lo, exec_lo
	s_delay_alu instid0(SALU_CYCLE_1)
	s_or_b32 s27, s27, s29
.LBB357_57:                             ;   in Loop: Header=BB357_58 Depth=1
	v_dual_mov_b32 v39, s3 :: v_dual_mov_b32 v38, s2
	s_and_b32 s29, exec_lo, s27
	s_mov_b64 s[2:3], s[6:7]
	s_or_b32 s24, s29, s24
	s_delay_alu instid0(SALU_CYCLE_1)
	s_and_not1_b32 exec_lo, exec_lo, s24
	s_cbranch_execz .LBB357_60
.LBB357_58:                             ; =>This Inner Loop Header: Depth=1
	s_or_b32 s27, s27, exec_lo
	s_cmp_eq_u64 s[22:23], s[2:3]
	s_cbranch_scc0 .LBB357_56
; %bb.59:                               ;   in Loop: Header=BB357_58 Depth=1
	s_mov_b64 s[2:3], s[22:23]
                                        ; implicit-def: $sgpr6_sgpr7
	s_branch .LBB357_57
.LBB357_60:
	s_set_inst_prefetch_distance 0x2
	s_or_b32 exec_lo, exec_lo, s24
	v_cmp_gt_i64_e32 vcc_lo, s[22:23], v[38:39]
	s_or_not1_b32 s24, vcc_lo, exec_lo
.LBB357_61:
	s_or_b32 exec_lo, exec_lo, s26
.LBB357_62:
	v_mul_lo_u32 v36, v22, s22
	v_mul_lo_u32 v37, v21, s23
	v_mad_u64_u32 v[33:34], null, v21, s22, 0
	s_mov_b32 s26, 0
	s_and_not1_b32 vcc_lo, exec_lo, s19
	s_mov_b32 s27, 0
	s_delay_alu instid0(VALU_DEP_1)
	v_add3_u32 v43, v34, v37, v36
	s_cbranch_vccnz .LBB357_71
; %bb.63:
	s_delay_alu instid0(VALU_DEP_2) | instskip(NEXT) | instid1(VALU_DEP_2)
	v_add_co_u32 v36, vcc_lo, s8, v33
	v_add_co_ci_u32_e32 v37, vcc_lo, s9, v43, vcc_lo
	v_add_co_u32 v34, vcc_lo, s8, v35
	v_add_co_ci_u32_e32 v35, vcc_lo, s9, v42, vcc_lo
	s_mov_b32 s27, -1
	s_clause 0x1
	global_load_u8 v38, v[36:37], off
	global_load_u8 v39, v[34:35], off
	s_mov_b32 s29, exec_lo
	s_waitcnt vmcnt(0)
	v_cmpx_eq_u16_e64 v38, v39
	s_cbranch_execz .LBB357_70
; %bb.64:
	s_mov_b64 s[2:3], 1
	s_mov_b32 s27, 0
                                        ; implicit-def: $sgpr30
	s_set_inst_prefetch_distance 0x1
	s_branch .LBB357_67
	.p2align	6
.LBB357_65:                             ;   in Loop: Header=BB357_67 Depth=1
	v_add_co_u32 v38, vcc_lo, v36, s2
	v_add_co_ci_u32_e32 v39, vcc_lo, s3, v37, vcc_lo
	v_add_co_u32 v41, vcc_lo, v34, s2
	v_add_co_ci_u32_e32 v42, vcc_lo, s3, v35, vcc_lo
	s_add_u32 s6, s2, 1
	s_clause 0x1
	global_load_u8 v38, v[38:39], off
	global_load_u8 v39, v[41:42], off
	s_addc_u32 s7, s3, 0
	s_and_not1_b32 s30, s30, exec_lo
	s_waitcnt vmcnt(0)
	v_cmp_ne_u16_e32 vcc_lo, v38, v39
	s_and_b32 s31, vcc_lo, exec_lo
	s_delay_alu instid0(SALU_CYCLE_1)
	s_or_b32 s30, s30, s31
.LBB357_66:                             ;   in Loop: Header=BB357_67 Depth=1
	v_dual_mov_b32 v39, s3 :: v_dual_mov_b32 v38, s2
	s_and_b32 s31, exec_lo, s30
	s_mov_b64 s[2:3], s[6:7]
	s_or_b32 s27, s31, s27
	s_delay_alu instid0(SALU_CYCLE_1)
	s_and_not1_b32 exec_lo, exec_lo, s27
	s_cbranch_execz .LBB357_69
.LBB357_67:                             ; =>This Inner Loop Header: Depth=1
	s_or_b32 s30, s30, exec_lo
	s_cmp_eq_u64 s[22:23], s[2:3]
	s_cbranch_scc0 .LBB357_65
; %bb.68:                               ;   in Loop: Header=BB357_67 Depth=1
	s_mov_b64 s[2:3], s[22:23]
                                        ; implicit-def: $sgpr6_sgpr7
	s_branch .LBB357_66
.LBB357_69:
	s_set_inst_prefetch_distance 0x2
	s_or_b32 exec_lo, exec_lo, s27
	v_cmp_gt_i64_e32 vcc_lo, s[22:23], v[38:39]
	s_or_not1_b32 s27, vcc_lo, exec_lo
.LBB357_70:
	s_or_b32 exec_lo, exec_lo, s29
.LBB357_71:
	v_mul_lo_u32 v34, v28, s22
	v_mul_lo_u32 v37, v27, s23
	v_mad_u64_u32 v[35:36], null, v27, s22, 0
	s_and_not1_b32 vcc_lo, exec_lo, s19
	s_delay_alu instid0(VALU_DEP_1)
	v_add3_u32 v41, v36, v37, v34
	s_cbranch_vccnz .LBB357_80
; %bb.72:
	s_delay_alu instid0(VALU_DEP_2) | instskip(NEXT) | instid1(VALU_DEP_2)
	v_add_co_u32 v36, vcc_lo, s8, v35
	v_add_co_ci_u32_e32 v37, vcc_lo, s9, v41, vcc_lo
	v_add_co_u32 v33, vcc_lo, s8, v33
	v_add_co_ci_u32_e32 v34, vcc_lo, s9, v43, vcc_lo
	s_mov_b32 s26, -1
	s_clause 0x1
	global_load_u8 v38, v[36:37], off
	global_load_u8 v39, v[33:34], off
	s_mov_b32 s29, exec_lo
	s_waitcnt vmcnt(0)
	v_cmpx_eq_u16_e64 v38, v39
	s_cbranch_execz .LBB357_79
; %bb.73:
	s_mov_b64 s[2:3], 1
	s_mov_b32 s26, 0
                                        ; implicit-def: $sgpr30
	s_set_inst_prefetch_distance 0x1
	s_branch .LBB357_76
	.p2align	6
.LBB357_74:                             ;   in Loop: Header=BB357_76 Depth=1
	v_add_co_u32 v38, vcc_lo, v36, s2
	v_add_co_ci_u32_e32 v39, vcc_lo, s3, v37, vcc_lo
	v_add_co_u32 v42, vcc_lo, v33, s2
	v_add_co_ci_u32_e32 v43, vcc_lo, s3, v34, vcc_lo
	s_add_u32 s6, s2, 1
	s_clause 0x1
	global_load_u8 v38, v[38:39], off
	global_load_u8 v39, v[42:43], off
	s_addc_u32 s7, s3, 0
	s_and_not1_b32 s30, s30, exec_lo
	s_waitcnt vmcnt(0)
	v_cmp_ne_u16_e32 vcc_lo, v38, v39
	s_and_b32 s31, vcc_lo, exec_lo
	s_delay_alu instid0(SALU_CYCLE_1)
	s_or_b32 s30, s30, s31
.LBB357_75:                             ;   in Loop: Header=BB357_76 Depth=1
	v_dual_mov_b32 v39, s3 :: v_dual_mov_b32 v38, s2
	s_and_b32 s31, exec_lo, s30
	s_mov_b64 s[2:3], s[6:7]
	s_or_b32 s26, s31, s26
	s_delay_alu instid0(SALU_CYCLE_1)
	s_and_not1_b32 exec_lo, exec_lo, s26
	s_cbranch_execz .LBB357_78
.LBB357_76:                             ; =>This Inner Loop Header: Depth=1
	s_or_b32 s30, s30, exec_lo
	s_cmp_eq_u64 s[22:23], s[2:3]
	s_cbranch_scc0 .LBB357_74
; %bb.77:                               ;   in Loop: Header=BB357_76 Depth=1
	s_mov_b64 s[2:3], s[22:23]
                                        ; implicit-def: $sgpr6_sgpr7
	s_branch .LBB357_75
.LBB357_78:
	s_set_inst_prefetch_distance 0x2
	s_or_b32 exec_lo, exec_lo, s26
	v_cmp_gt_i64_e32 vcc_lo, s[22:23], v[38:39]
	s_or_not1_b32 s26, vcc_lo, exec_lo
.LBB357_79:
	s_or_b32 exec_lo, exec_lo, s29
.LBB357_80:
	v_mul_lo_u32 v36, v26, s22
	v_mul_lo_u32 v37, v25, s23
	v_mad_u64_u32 v[33:34], null, v25, s22, 0
	s_mov_b32 s29, 0
	s_and_not1_b32 vcc_lo, exec_lo, s19
	s_mov_b32 s30, 0
	s_delay_alu instid0(VALU_DEP_1)
	v_add3_u32 v43, v34, v37, v36
	s_cbranch_vccnz .LBB357_89
; %bb.81:
	s_delay_alu instid0(VALU_DEP_2) | instskip(NEXT) | instid1(VALU_DEP_2)
	v_add_co_u32 v36, vcc_lo, s8, v33
	v_add_co_ci_u32_e32 v37, vcc_lo, s9, v43, vcc_lo
	v_add_co_u32 v34, vcc_lo, s8, v35
	v_add_co_ci_u32_e32 v35, vcc_lo, s9, v41, vcc_lo
	s_mov_b32 s30, -1
	s_clause 0x1
	global_load_u8 v38, v[36:37], off
	global_load_u8 v39, v[34:35], off
	s_mov_b32 s31, exec_lo
	s_waitcnt vmcnt(0)
	v_cmpx_eq_u16_e64 v38, v39
	s_cbranch_execz .LBB357_88
; %bb.82:
	s_mov_b64 s[2:3], 1
	s_mov_b32 s30, 0
                                        ; implicit-def: $sgpr33
	s_set_inst_prefetch_distance 0x1
	s_branch .LBB357_85
	.p2align	6
.LBB357_83:                             ;   in Loop: Header=BB357_85 Depth=1
	v_add_co_u32 v38, vcc_lo, v36, s2
	v_add_co_ci_u32_e32 v39, vcc_lo, s3, v37, vcc_lo
	v_add_co_u32 v41, vcc_lo, v34, s2
	v_add_co_ci_u32_e32 v42, vcc_lo, s3, v35, vcc_lo
	s_add_u32 s6, s2, 1
	s_clause 0x1
	global_load_u8 v38, v[38:39], off
	global_load_u8 v39, v[41:42], off
	s_addc_u32 s7, s3, 0
	s_and_not1_b32 s33, s33, exec_lo
	s_waitcnt vmcnt(0)
	v_cmp_ne_u16_e32 vcc_lo, v38, v39
	s_and_b32 s34, vcc_lo, exec_lo
	s_delay_alu instid0(SALU_CYCLE_1)
	s_or_b32 s33, s33, s34
.LBB357_84:                             ;   in Loop: Header=BB357_85 Depth=1
	v_dual_mov_b32 v39, s3 :: v_dual_mov_b32 v38, s2
	s_and_b32 s34, exec_lo, s33
	s_mov_b64 s[2:3], s[6:7]
	s_or_b32 s30, s34, s30
	s_delay_alu instid0(SALU_CYCLE_1)
	s_and_not1_b32 exec_lo, exec_lo, s30
	s_cbranch_execz .LBB357_87
.LBB357_85:                             ; =>This Inner Loop Header: Depth=1
	s_or_b32 s33, s33, exec_lo
	s_cmp_eq_u64 s[22:23], s[2:3]
	s_cbranch_scc0 .LBB357_83
; %bb.86:                               ;   in Loop: Header=BB357_85 Depth=1
	s_mov_b64 s[2:3], s[22:23]
                                        ; implicit-def: $sgpr6_sgpr7
	s_branch .LBB357_84
.LBB357_87:
	s_set_inst_prefetch_distance 0x2
	s_or_b32 exec_lo, exec_lo, s30
	v_cmp_gt_i64_e32 vcc_lo, s[22:23], v[38:39]
	s_or_not1_b32 s30, vcc_lo, exec_lo
.LBB357_88:
	s_or_b32 exec_lo, exec_lo, s31
.LBB357_89:
	v_mul_lo_u32 v34, v32, s22
	v_mul_lo_u32 v37, v31, s23
	v_mad_u64_u32 v[35:36], null, v31, s22, 0
	s_and_not1_b32 vcc_lo, exec_lo, s19
	s_delay_alu instid0(VALU_DEP_1)
	v_add3_u32 v42, v36, v37, v34
	s_cbranch_vccnz .LBB357_98
; %bb.90:
	s_delay_alu instid0(VALU_DEP_2) | instskip(NEXT) | instid1(VALU_DEP_2)
	v_add_co_u32 v36, vcc_lo, s8, v35
	v_add_co_ci_u32_e32 v37, vcc_lo, s9, v42, vcc_lo
	v_add_co_u32 v33, vcc_lo, s8, v33
	v_add_co_ci_u32_e32 v34, vcc_lo, s9, v43, vcc_lo
	s_mov_b32 s29, -1
	s_clause 0x1
	global_load_u8 v38, v[36:37], off
	global_load_u8 v39, v[33:34], off
	s_mov_b32 s31, exec_lo
	s_waitcnt vmcnt(0)
	v_cmpx_eq_u16_e64 v38, v39
	s_cbranch_execz .LBB357_97
; %bb.91:
	s_mov_b64 s[2:3], 1
	s_mov_b32 s29, 0
                                        ; implicit-def: $sgpr33
	s_set_inst_prefetch_distance 0x1
	s_branch .LBB357_94
	.p2align	6
.LBB357_92:                             ;   in Loop: Header=BB357_94 Depth=1
	v_add_co_u32 v38, vcc_lo, v36, s2
	v_add_co_ci_u32_e32 v39, vcc_lo, s3, v37, vcc_lo
	v_add_co_u32 v43, vcc_lo, v33, s2
	v_add_co_ci_u32_e32 v44, vcc_lo, s3, v34, vcc_lo
	s_add_u32 s6, s2, 1
	s_clause 0x1
	global_load_u8 v38, v[38:39], off
	global_load_u8 v39, v[43:44], off
	s_addc_u32 s7, s3, 0
	s_and_not1_b32 s33, s33, exec_lo
	s_waitcnt vmcnt(0)
	v_cmp_ne_u16_e32 vcc_lo, v38, v39
	s_and_b32 s34, vcc_lo, exec_lo
	s_delay_alu instid0(SALU_CYCLE_1)
	s_or_b32 s33, s33, s34
.LBB357_93:                             ;   in Loop: Header=BB357_94 Depth=1
	v_dual_mov_b32 v39, s3 :: v_dual_mov_b32 v38, s2
	s_and_b32 s34, exec_lo, s33
	s_mov_b64 s[2:3], s[6:7]
	s_or_b32 s29, s34, s29
	s_delay_alu instid0(SALU_CYCLE_1)
	s_and_not1_b32 exec_lo, exec_lo, s29
	s_cbranch_execz .LBB357_96
.LBB357_94:                             ; =>This Inner Loop Header: Depth=1
	s_or_b32 s33, s33, exec_lo
	s_cmp_eq_u64 s[22:23], s[2:3]
	s_cbranch_scc0 .LBB357_92
; %bb.95:                               ;   in Loop: Header=BB357_94 Depth=1
	s_mov_b64 s[2:3], s[22:23]
                                        ; implicit-def: $sgpr6_sgpr7
	s_branch .LBB357_93
.LBB357_96:
	s_set_inst_prefetch_distance 0x2
	s_or_b32 exec_lo, exec_lo, s29
	v_cmp_gt_i64_e32 vcc_lo, s[22:23], v[38:39]
	s_or_not1_b32 s29, vcc_lo, exec_lo
.LBB357_97:
	s_or_b32 exec_lo, exec_lo, s31
.LBB357_98:
	v_mul_lo_u32 v36, v30, s22
	v_mul_lo_u32 v37, v29, s23
	v_mad_u64_u32 v[33:34], null, v29, s22, 0
	s_and_not1_b32 vcc_lo, exec_lo, s19
	s_mov_b32 s2, 0
	s_delay_alu instid0(VALU_DEP_1)
	v_add3_u32 v41, v34, v37, v36
	s_cbranch_vccnz .LBB357_107
; %bb.99:
	s_delay_alu instid0(VALU_DEP_2) | instskip(NEXT) | instid1(VALU_DEP_2)
	v_add_co_u32 v36, vcc_lo, s8, v33
	v_add_co_ci_u32_e32 v37, vcc_lo, s9, v41, vcc_lo
	v_add_co_u32 v34, vcc_lo, s8, v35
	v_add_co_ci_u32_e32 v35, vcc_lo, s9, v42, vcc_lo
	s_mov_b32 s2, -1
	s_clause 0x1
	global_load_u8 v38, v[36:37], off
	global_load_u8 v39, v[34:35], off
	s_mov_b32 s31, exec_lo
	s_waitcnt vmcnt(0)
	v_cmpx_eq_u16_e64 v38, v39
	s_cbranch_execz .LBB357_106
; %bb.100:
	s_mov_b64 s[2:3], 1
	s_mov_b32 s33, 0
                                        ; implicit-def: $sgpr34
	s_set_inst_prefetch_distance 0x1
	s_branch .LBB357_103
	.p2align	6
.LBB357_101:                            ;   in Loop: Header=BB357_103 Depth=1
	v_add_co_u32 v38, vcc_lo, v36, s2
	v_add_co_ci_u32_e32 v39, vcc_lo, s3, v37, vcc_lo
	v_add_co_u32 v42, vcc_lo, v34, s2
	v_add_co_ci_u32_e32 v43, vcc_lo, s3, v35, vcc_lo
	s_add_u32 s6, s2, 1
	s_clause 0x1
	global_load_u8 v38, v[38:39], off
	global_load_u8 v39, v[42:43], off
	s_addc_u32 s7, s3, 0
	s_and_not1_b32 s34, s34, exec_lo
	s_waitcnt vmcnt(0)
	v_cmp_ne_u16_e32 vcc_lo, v38, v39
	s_and_b32 s35, vcc_lo, exec_lo
	s_delay_alu instid0(SALU_CYCLE_1)
	s_or_b32 s34, s34, s35
.LBB357_102:                            ;   in Loop: Header=BB357_103 Depth=1
	v_dual_mov_b32 v39, s3 :: v_dual_mov_b32 v38, s2
	s_and_b32 s35, exec_lo, s34
	s_mov_b64 s[2:3], s[6:7]
	s_or_b32 s33, s35, s33
	s_delay_alu instid0(SALU_CYCLE_1)
	s_and_not1_b32 exec_lo, exec_lo, s33
	s_cbranch_execz .LBB357_105
.LBB357_103:                            ; =>This Inner Loop Header: Depth=1
	s_or_b32 s34, s34, exec_lo
	s_cmp_eq_u64 s[22:23], s[2:3]
	s_cbranch_scc0 .LBB357_101
; %bb.104:                              ;   in Loop: Header=BB357_103 Depth=1
	s_mov_b64 s[2:3], s[22:23]
                                        ; implicit-def: $sgpr6_sgpr7
	s_branch .LBB357_102
.LBB357_105:
	s_set_inst_prefetch_distance 0x2
	s_or_b32 exec_lo, exec_lo, s33
	v_cmp_gt_i64_e32 vcc_lo, s[22:23], v[38:39]
	s_or_not1_b32 s2, vcc_lo, exec_lo
.LBB357_106:
	s_or_b32 exec_lo, exec_lo, s31
.LBB357_107:
	s_waitcnt lgkmcnt(0)
	v_dual_mov_b32 v37, s5 :: v_dual_mov_b32 v36, s4
	s_mov_b32 s3, exec_lo
	s_barrier
	buffer_gl0_inv
	v_cmpx_ne_u32_e32 0, v0
	s_cbranch_execz .LBB357_109
; %bb.108:
	v_add_nc_u32_e32 v34, -8, v55
	ds_load_b64 v[36:37], v34
.LBB357_109:
	s_or_b32 exec_lo, exec_lo, s3
	v_cndmask_b32_e64 v35, 0, 1, s30
	v_cndmask_b32_e64 v39, 0, 1, s27
	;; [unrolled: 1-line block ×7, first 2 shown]
	v_lshlrev_b16 v35, 8, v35
	v_lshlrev_b16 v39, 8, v39
	;; [unrolled: 1-line block ×4, first 2 shown]
	s_mov_b32 s24, 0
	v_or_b32_e32 v34, v34, v35
	v_or_b32_e32 v35, v38, v39
	v_or_b32_e32 v38, v44, v42
	v_and_b32_e32 v42, 0xffff, v43
	s_and_not1_b32 vcc_lo, exec_lo, s19
	v_lshlrev_b32_e32 v43, 16, v34
	v_and_b32_e32 v44, 0xffff, v35
	v_lshlrev_b32_e32 v45, 16, v38
	s_mov_b32 s2, 0
	s_cbranch_vccnz .LBB357_118
; %bb.110:
	s_waitcnt lgkmcnt(0)
	v_mad_u64_u32 v[34:35], null, v36, s22, s[8:9]
	v_mul_lo_u32 v36, v36, s23
	v_mul_lo_u32 v37, v37, s22
	s_mov_b32 s2, -1
	s_mov_b32 s25, exec_lo
	s_delay_alu instid0(VALU_DEP_1)
	v_add3_u32 v35, v37, v35, v36
	v_add_co_u32 v36, vcc_lo, s8, v33
	v_add_co_ci_u32_e32 v37, vcc_lo, s9, v41, vcc_lo
	s_clause 0x1
	global_load_u8 v33, v[34:35], off
	global_load_u8 v38, v[36:37], off
	s_waitcnt vmcnt(0)
	v_cmpx_eq_u16_e64 v33, v38
	s_cbranch_execz .LBB357_117
; %bb.111:
	s_mov_b64 s[2:3], 1
	s_mov_b32 s26, 0
                                        ; implicit-def: $sgpr27
	s_set_inst_prefetch_distance 0x1
	s_branch .LBB357_114
	.p2align	6
.LBB357_112:                            ;   in Loop: Header=BB357_114 Depth=1
	v_add_co_u32 v38, vcc_lo, v34, s2
	v_add_co_ci_u32_e32 v39, vcc_lo, s3, v35, vcc_lo
	v_add_co_u32 v46, vcc_lo, v36, s2
	v_add_co_ci_u32_e32 v47, vcc_lo, s3, v37, vcc_lo
	s_add_u32 s6, s2, 1
	s_clause 0x1
	global_load_u8 v33, v[38:39], off
	global_load_u8 v38, v[46:47], off
	s_addc_u32 s7, s3, 0
	s_and_not1_b32 s27, s27, exec_lo
	s_waitcnt vmcnt(0)
	v_cmp_ne_u16_e32 vcc_lo, v33, v38
	s_and_b32 s29, vcc_lo, exec_lo
	s_delay_alu instid0(SALU_CYCLE_1)
	s_or_b32 s27, s27, s29
.LBB357_113:                            ;   in Loop: Header=BB357_114 Depth=1
	v_dual_mov_b32 v39, s3 :: v_dual_mov_b32 v38, s2
	s_and_b32 s29, exec_lo, s27
	s_mov_b64 s[2:3], s[6:7]
	s_or_b32 s26, s29, s26
	s_delay_alu instid0(SALU_CYCLE_1)
	s_and_not1_b32 exec_lo, exec_lo, s26
	s_cbranch_execz .LBB357_116
.LBB357_114:                            ; =>This Inner Loop Header: Depth=1
	s_or_b32 s27, s27, exec_lo
	s_cmp_eq_u64 s[22:23], s[2:3]
	s_cbranch_scc0 .LBB357_112
; %bb.115:                              ;   in Loop: Header=BB357_114 Depth=1
	s_mov_b64 s[2:3], s[22:23]
                                        ; implicit-def: $sgpr6_sgpr7
	s_branch .LBB357_113
.LBB357_116:
	s_set_inst_prefetch_distance 0x2
	s_or_b32 exec_lo, exec_lo, s26
	v_cmp_gt_i64_e32 vcc_lo, s[22:23], v[38:39]
	s_or_not1_b32 s2, vcc_lo, exec_lo
.LBB357_117:
	s_or_b32 exec_lo, exec_lo, s25
.LBB357_118:
	v_or_b32_e32 v33, v42, v43
	s_delay_alu instid0(VALU_DEP_2)
	v_or_b32_e32 v34, v44, v45
	s_and_b32 vcc_lo, exec_lo, s24
	s_cbranch_vccz .LBB357_210
.LBB357_119:
	v_or_b32_e32 v33, 7, v55
	s_mov_b32 s24, 0
	s_mov_b32 s25, 0
	s_mov_b32 s26, exec_lo
	s_delay_alu instid0(VALU_DEP_1)
	v_cmpx_gt_u32_e64 s28, v33
	s_cbranch_execz .LBB357_130
; %bb.120:
	s_and_not1_b32 vcc_lo, exec_lo, s19
	s_mov_b32 s2, 0
	s_cbranch_vccnz .LBB357_129
; %bb.121:
	v_mad_u64_u32 v[33:34], null, v17, s22, s[8:9]
	s_waitcnt lgkmcnt(0)
	v_mul_lo_u32 v37, v17, s23
	v_mul_lo_u32 v38, v18, s22
	v_mad_u64_u32 v[35:36], null, v19, s22, s[8:9]
	v_mul_lo_u32 v39, v19, s23
	v_mul_lo_u32 v41, v20, s22
	s_mov_b32 s2, -1
	s_mov_b32 s19, exec_lo
	s_delay_alu instid0(VALU_DEP_4) | instskip(NEXT) | instid1(VALU_DEP_2)
	v_add3_u32 v34, v38, v34, v37
	v_add3_u32 v36, v41, v36, v39
	s_clause 0x1
	global_load_u8 v37, v[33:34], off
	global_load_u8 v38, v[35:36], off
	s_waitcnt vmcnt(0)
	v_cmpx_eq_u16_e64 v37, v38
	s_cbranch_execz .LBB357_128
; %bb.122:
	s_mov_b64 s[2:3], 1
                                        ; implicit-def: $sgpr27
	s_set_inst_prefetch_distance 0x1
	s_branch .LBB357_125
	.p2align	6
.LBB357_123:                            ;   in Loop: Header=BB357_125 Depth=1
	v_add_co_u32 v37, vcc_lo, v33, s2
	v_add_co_ci_u32_e32 v38, vcc_lo, s3, v34, vcc_lo
	v_add_co_u32 v41, vcc_lo, v35, s2
	v_add_co_ci_u32_e32 v42, vcc_lo, s3, v36, vcc_lo
	s_add_u32 s6, s2, 1
	s_clause 0x1
	global_load_u8 v37, v[37:38], off
	global_load_u8 v38, v[41:42], off
	s_addc_u32 s7, s3, 0
	s_and_not1_b32 s27, s27, exec_lo
	s_waitcnt vmcnt(0)
	v_cmp_ne_u16_e32 vcc_lo, v37, v38
	s_and_b32 s29, vcc_lo, exec_lo
	s_delay_alu instid0(SALU_CYCLE_1)
	s_or_b32 s27, s27, s29
.LBB357_124:                            ;   in Loop: Header=BB357_125 Depth=1
	v_dual_mov_b32 v38, s3 :: v_dual_mov_b32 v37, s2
	s_and_b32 s29, exec_lo, s27
	s_mov_b64 s[2:3], s[6:7]
	s_or_b32 s25, s29, s25
	s_delay_alu instid0(SALU_CYCLE_1)
	s_and_not1_b32 exec_lo, exec_lo, s25
	s_cbranch_execz .LBB357_127
.LBB357_125:                            ; =>This Inner Loop Header: Depth=1
	s_or_b32 s27, s27, exec_lo
	s_cmp_eq_u64 s[22:23], s[2:3]
	s_cbranch_scc0 .LBB357_123
; %bb.126:                              ;   in Loop: Header=BB357_125 Depth=1
	s_mov_b64 s[2:3], s[22:23]
                                        ; implicit-def: $sgpr6_sgpr7
	s_branch .LBB357_124
.LBB357_127:
	s_set_inst_prefetch_distance 0x2
	s_or_b32 exec_lo, exec_lo, s25
	v_cmp_gt_i64_e32 vcc_lo, s[22:23], v[37:38]
	s_or_not1_b32 s2, vcc_lo, exec_lo
.LBB357_128:
	s_or_b32 exec_lo, exec_lo, s19
.LBB357_129:
	s_delay_alu instid0(SALU_CYCLE_1)
	s_and_b32 s25, s2, exec_lo
.LBB357_130:
	s_or_b32 exec_lo, exec_lo, s26
	v_or_b32_e32 v33, 6, v55
	s_mov_b32 s19, exec_lo
	s_delay_alu instid0(VALU_DEP_1)
	v_cmpx_gt_u32_e64 s28, v33
	s_cbranch_execz .LBB357_141
; %bb.131:
	v_cmp_ne_u32_e32 vcc_lo, 1, v40
	s_mov_b32 s2, 0
	s_cbranch_vccnz .LBB357_140
; %bb.132:
	v_mad_u64_u32 v[33:34], null, v23, s22, s[8:9]
	s_waitcnt lgkmcnt(0)
	v_mul_lo_u32 v37, v23, s23
	v_mul_lo_u32 v38, v24, s22
	v_mad_u64_u32 v[35:36], null, v17, s22, s[8:9]
	v_mul_lo_u32 v39, v17, s23
	v_mul_lo_u32 v41, v18, s22
	s_mov_b32 s2, -1
	s_mov_b32 s24, exec_lo
	s_delay_alu instid0(VALU_DEP_4) | instskip(NEXT) | instid1(VALU_DEP_2)
	v_add3_u32 v34, v38, v34, v37
	v_add3_u32 v36, v41, v36, v39
	s_clause 0x1
	global_load_u8 v37, v[33:34], off
	global_load_u8 v38, v[35:36], off
	s_waitcnt vmcnt(0)
	v_cmpx_eq_u16_e64 v37, v38
	s_cbranch_execz .LBB357_139
; %bb.133:
	s_mov_b64 s[2:3], 1
	s_mov_b32 s26, 0
                                        ; implicit-def: $sgpr27
	s_set_inst_prefetch_distance 0x1
	s_branch .LBB357_136
	.p2align	6
.LBB357_134:                            ;   in Loop: Header=BB357_136 Depth=1
	v_add_co_u32 v37, vcc_lo, v33, s2
	v_add_co_ci_u32_e32 v38, vcc_lo, s3, v34, vcc_lo
	v_add_co_u32 v41, vcc_lo, v35, s2
	v_add_co_ci_u32_e32 v42, vcc_lo, s3, v36, vcc_lo
	s_add_u32 s6, s2, 1
	s_clause 0x1
	global_load_u8 v37, v[37:38], off
	global_load_u8 v38, v[41:42], off
	s_addc_u32 s7, s3, 0
	s_and_not1_b32 s27, s27, exec_lo
	s_waitcnt vmcnt(0)
	v_cmp_ne_u16_e32 vcc_lo, v37, v38
	s_and_b32 s29, vcc_lo, exec_lo
	s_delay_alu instid0(SALU_CYCLE_1)
	s_or_b32 s27, s27, s29
.LBB357_135:                            ;   in Loop: Header=BB357_136 Depth=1
	v_dual_mov_b32 v38, s3 :: v_dual_mov_b32 v37, s2
	s_and_b32 s29, exec_lo, s27
	s_mov_b64 s[2:3], s[6:7]
	s_or_b32 s26, s29, s26
	s_delay_alu instid0(SALU_CYCLE_1)
	s_and_not1_b32 exec_lo, exec_lo, s26
	s_cbranch_execz .LBB357_138
.LBB357_136:                            ; =>This Inner Loop Header: Depth=1
	s_or_b32 s27, s27, exec_lo
	s_cmp_eq_u64 s[22:23], s[2:3]
	s_cbranch_scc0 .LBB357_134
; %bb.137:                              ;   in Loop: Header=BB357_136 Depth=1
	s_mov_b64 s[2:3], s[22:23]
                                        ; implicit-def: $sgpr6_sgpr7
	s_branch .LBB357_135
.LBB357_138:
	s_set_inst_prefetch_distance 0x2
	s_or_b32 exec_lo, exec_lo, s26
	v_cmp_gt_i64_e32 vcc_lo, s[22:23], v[37:38]
	s_or_not1_b32 s2, vcc_lo, exec_lo
.LBB357_139:
	s_or_b32 exec_lo, exec_lo, s24
.LBB357_140:
	s_delay_alu instid0(SALU_CYCLE_1)
	s_and_b32 s24, s2, exec_lo
.LBB357_141:
	s_or_b32 exec_lo, exec_lo, s19
	v_or_b32_e32 v33, 5, v55
	s_mov_b32 s26, 0
	s_mov_b32 s19, 0
	s_mov_b32 s27, exec_lo
	s_delay_alu instid0(VALU_DEP_1)
	v_cmpx_gt_u32_e64 s28, v33
	s_cbranch_execz .LBB357_152
; %bb.142:
	v_cmp_ne_u32_e32 vcc_lo, 1, v40
	s_mov_b32 s2, 0
	s_cbranch_vccnz .LBB357_151
; %bb.143:
	v_mad_u64_u32 v[33:34], null, v21, s22, s[8:9]
	s_waitcnt lgkmcnt(0)
	v_mul_lo_u32 v37, v21, s23
	v_mul_lo_u32 v38, v22, s22
	v_mad_u64_u32 v[35:36], null, v23, s22, s[8:9]
	v_mul_lo_u32 v39, v23, s23
	v_mul_lo_u32 v41, v24, s22
	s_mov_b32 s2, -1
	s_mov_b32 s19, exec_lo
	s_delay_alu instid0(VALU_DEP_4) | instskip(NEXT) | instid1(VALU_DEP_2)
	v_add3_u32 v34, v38, v34, v37
	v_add3_u32 v36, v41, v36, v39
	s_clause 0x1
	global_load_u8 v37, v[33:34], off
	global_load_u8 v38, v[35:36], off
	s_waitcnt vmcnt(0)
	v_cmpx_eq_u16_e64 v37, v38
	s_cbranch_execz .LBB357_150
; %bb.144:
	s_mov_b64 s[2:3], 1
	s_mov_b32 s29, 0
                                        ; implicit-def: $sgpr30
	s_set_inst_prefetch_distance 0x1
	s_branch .LBB357_147
	.p2align	6
.LBB357_145:                            ;   in Loop: Header=BB357_147 Depth=1
	v_add_co_u32 v37, vcc_lo, v33, s2
	v_add_co_ci_u32_e32 v38, vcc_lo, s3, v34, vcc_lo
	v_add_co_u32 v41, vcc_lo, v35, s2
	v_add_co_ci_u32_e32 v42, vcc_lo, s3, v36, vcc_lo
	s_add_u32 s6, s2, 1
	s_clause 0x1
	global_load_u8 v37, v[37:38], off
	global_load_u8 v38, v[41:42], off
	s_addc_u32 s7, s3, 0
	s_and_not1_b32 s30, s30, exec_lo
	s_waitcnt vmcnt(0)
	v_cmp_ne_u16_e32 vcc_lo, v37, v38
	s_and_b32 s31, vcc_lo, exec_lo
	s_delay_alu instid0(SALU_CYCLE_1)
	s_or_b32 s30, s30, s31
.LBB357_146:                            ;   in Loop: Header=BB357_147 Depth=1
	v_dual_mov_b32 v38, s3 :: v_dual_mov_b32 v37, s2
	s_and_b32 s31, exec_lo, s30
	s_mov_b64 s[2:3], s[6:7]
	s_or_b32 s29, s31, s29
	s_delay_alu instid0(SALU_CYCLE_1)
	s_and_not1_b32 exec_lo, exec_lo, s29
	s_cbranch_execz .LBB357_149
.LBB357_147:                            ; =>This Inner Loop Header: Depth=1
	s_or_b32 s30, s30, exec_lo
	s_cmp_eq_u64 s[22:23], s[2:3]
	s_cbranch_scc0 .LBB357_145
; %bb.148:                              ;   in Loop: Header=BB357_147 Depth=1
	s_mov_b64 s[2:3], s[22:23]
                                        ; implicit-def: $sgpr6_sgpr7
	s_branch .LBB357_146
.LBB357_149:
	s_set_inst_prefetch_distance 0x2
	s_or_b32 exec_lo, exec_lo, s29
	v_cmp_gt_i64_e32 vcc_lo, s[22:23], v[37:38]
	s_or_not1_b32 s2, vcc_lo, exec_lo
.LBB357_150:
	s_or_b32 exec_lo, exec_lo, s19
.LBB357_151:
	s_delay_alu instid0(SALU_CYCLE_1)
	s_and_b32 s19, s2, exec_lo
.LBB357_152:
	s_or_b32 exec_lo, exec_lo, s27
	v_or_b32_e32 v33, 4, v55
	s_mov_b32 s27, exec_lo
	s_delay_alu instid0(VALU_DEP_1)
	v_cmpx_gt_u32_e64 s28, v33
	s_cbranch_execz .LBB357_163
; %bb.153:
	v_cmp_ne_u32_e32 vcc_lo, 1, v40
	s_mov_b32 s2, 0
	s_cbranch_vccnz .LBB357_162
; %bb.154:
	v_mad_u64_u32 v[33:34], null, v27, s22, s[8:9]
	s_waitcnt lgkmcnt(0)
	v_mul_lo_u32 v37, v27, s23
	v_mul_lo_u32 v38, v28, s22
	v_mad_u64_u32 v[35:36], null, v21, s22, s[8:9]
	v_mul_lo_u32 v39, v21, s23
	v_mul_lo_u32 v41, v22, s22
	s_mov_b32 s2, -1
	s_mov_b32 s26, exec_lo
	s_delay_alu instid0(VALU_DEP_4) | instskip(NEXT) | instid1(VALU_DEP_2)
	v_add3_u32 v34, v38, v34, v37
	v_add3_u32 v36, v41, v36, v39
	s_clause 0x1
	global_load_u8 v37, v[33:34], off
	global_load_u8 v38, v[35:36], off
	s_waitcnt vmcnt(0)
	v_cmpx_eq_u16_e64 v37, v38
	s_cbranch_execz .LBB357_161
; %bb.155:
	s_mov_b64 s[2:3], 1
	s_mov_b32 s29, 0
                                        ; implicit-def: $sgpr30
	s_set_inst_prefetch_distance 0x1
	s_branch .LBB357_158
	.p2align	6
.LBB357_156:                            ;   in Loop: Header=BB357_158 Depth=1
	v_add_co_u32 v37, vcc_lo, v33, s2
	v_add_co_ci_u32_e32 v38, vcc_lo, s3, v34, vcc_lo
	v_add_co_u32 v41, vcc_lo, v35, s2
	v_add_co_ci_u32_e32 v42, vcc_lo, s3, v36, vcc_lo
	s_add_u32 s6, s2, 1
	s_clause 0x1
	global_load_u8 v37, v[37:38], off
	global_load_u8 v38, v[41:42], off
	s_addc_u32 s7, s3, 0
	s_and_not1_b32 s30, s30, exec_lo
	s_waitcnt vmcnt(0)
	v_cmp_ne_u16_e32 vcc_lo, v37, v38
	s_and_b32 s31, vcc_lo, exec_lo
	s_delay_alu instid0(SALU_CYCLE_1)
	s_or_b32 s30, s30, s31
.LBB357_157:                            ;   in Loop: Header=BB357_158 Depth=1
	v_dual_mov_b32 v38, s3 :: v_dual_mov_b32 v37, s2
	s_and_b32 s31, exec_lo, s30
	s_mov_b64 s[2:3], s[6:7]
	s_or_b32 s29, s31, s29
	s_delay_alu instid0(SALU_CYCLE_1)
	s_and_not1_b32 exec_lo, exec_lo, s29
	s_cbranch_execz .LBB357_160
.LBB357_158:                            ; =>This Inner Loop Header: Depth=1
	s_or_b32 s30, s30, exec_lo
	s_cmp_eq_u64 s[22:23], s[2:3]
	s_cbranch_scc0 .LBB357_156
; %bb.159:                              ;   in Loop: Header=BB357_158 Depth=1
	s_mov_b64 s[2:3], s[22:23]
                                        ; implicit-def: $sgpr6_sgpr7
	s_branch .LBB357_157
.LBB357_160:
	s_set_inst_prefetch_distance 0x2
	s_or_b32 exec_lo, exec_lo, s29
	v_cmp_gt_i64_e32 vcc_lo, s[22:23], v[37:38]
	s_or_not1_b32 s2, vcc_lo, exec_lo
.LBB357_161:
	s_or_b32 exec_lo, exec_lo, s26
.LBB357_162:
	s_delay_alu instid0(SALU_CYCLE_1)
	s_and_b32 s26, s2, exec_lo
.LBB357_163:
	s_or_b32 exec_lo, exec_lo, s27
	v_or_b32_e32 v33, 3, v55
	s_mov_b32 s29, 0
	s_mov_b32 s27, 0
	s_mov_b32 s30, exec_lo
	s_delay_alu instid0(VALU_DEP_1)
	v_cmpx_gt_u32_e64 s28, v33
	s_cbranch_execz .LBB357_174
; %bb.164:
	v_cmp_ne_u32_e32 vcc_lo, 1, v40
	s_mov_b32 s2, 0
	s_cbranch_vccnz .LBB357_173
; %bb.165:
	v_mad_u64_u32 v[33:34], null, v25, s22, s[8:9]
	s_waitcnt lgkmcnt(0)
	v_mul_lo_u32 v37, v25, s23
	v_mul_lo_u32 v38, v26, s22
	v_mad_u64_u32 v[35:36], null, v27, s22, s[8:9]
	v_mul_lo_u32 v39, v27, s23
	v_mul_lo_u32 v41, v28, s22
	s_mov_b32 s2, -1
	s_mov_b32 s27, exec_lo
	s_delay_alu instid0(VALU_DEP_4) | instskip(NEXT) | instid1(VALU_DEP_2)
	v_add3_u32 v34, v38, v34, v37
	v_add3_u32 v36, v41, v36, v39
	s_clause 0x1
	global_load_u8 v37, v[33:34], off
	global_load_u8 v38, v[35:36], off
	s_waitcnt vmcnt(0)
	v_cmpx_eq_u16_e64 v37, v38
	s_cbranch_execz .LBB357_172
; %bb.166:
	s_mov_b64 s[2:3], 1
	s_mov_b32 s31, 0
                                        ; implicit-def: $sgpr33
	s_set_inst_prefetch_distance 0x1
	s_branch .LBB357_169
	.p2align	6
.LBB357_167:                            ;   in Loop: Header=BB357_169 Depth=1
	v_add_co_u32 v37, vcc_lo, v33, s2
	v_add_co_ci_u32_e32 v38, vcc_lo, s3, v34, vcc_lo
	v_add_co_u32 v41, vcc_lo, v35, s2
	v_add_co_ci_u32_e32 v42, vcc_lo, s3, v36, vcc_lo
	s_add_u32 s6, s2, 1
	s_clause 0x1
	global_load_u8 v37, v[37:38], off
	global_load_u8 v38, v[41:42], off
	s_addc_u32 s7, s3, 0
	s_and_not1_b32 s33, s33, exec_lo
	s_waitcnt vmcnt(0)
	v_cmp_ne_u16_e32 vcc_lo, v37, v38
	s_and_b32 s34, vcc_lo, exec_lo
	s_delay_alu instid0(SALU_CYCLE_1)
	s_or_b32 s33, s33, s34
.LBB357_168:                            ;   in Loop: Header=BB357_169 Depth=1
	v_dual_mov_b32 v38, s3 :: v_dual_mov_b32 v37, s2
	s_and_b32 s34, exec_lo, s33
	s_mov_b64 s[2:3], s[6:7]
	s_or_b32 s31, s34, s31
	s_delay_alu instid0(SALU_CYCLE_1)
	s_and_not1_b32 exec_lo, exec_lo, s31
	s_cbranch_execz .LBB357_171
.LBB357_169:                            ; =>This Inner Loop Header: Depth=1
	s_or_b32 s33, s33, exec_lo
	s_cmp_eq_u64 s[22:23], s[2:3]
	s_cbranch_scc0 .LBB357_167
; %bb.170:                              ;   in Loop: Header=BB357_169 Depth=1
	s_mov_b64 s[2:3], s[22:23]
                                        ; implicit-def: $sgpr6_sgpr7
	s_branch .LBB357_168
.LBB357_171:
	s_set_inst_prefetch_distance 0x2
	s_or_b32 exec_lo, exec_lo, s31
	v_cmp_gt_i64_e32 vcc_lo, s[22:23], v[37:38]
	s_or_not1_b32 s2, vcc_lo, exec_lo
.LBB357_172:
	s_or_b32 exec_lo, exec_lo, s27
.LBB357_173:
	s_delay_alu instid0(SALU_CYCLE_1)
	s_and_b32 s27, s2, exec_lo
.LBB357_174:
	s_or_b32 exec_lo, exec_lo, s30
	v_or_b32_e32 v33, 2, v55
	s_mov_b32 s30, exec_lo
	s_delay_alu instid0(VALU_DEP_1)
	v_cmpx_gt_u32_e64 s28, v33
	s_cbranch_execz .LBB357_185
; %bb.175:
	v_cmp_ne_u32_e32 vcc_lo, 1, v40
	s_mov_b32 s2, 0
	s_cbranch_vccnz .LBB357_184
; %bb.176:
	v_mad_u64_u32 v[33:34], null, v31, s22, s[8:9]
	s_waitcnt lgkmcnt(0)
	v_mul_lo_u32 v37, v31, s23
	v_mul_lo_u32 v38, v32, s22
	v_mad_u64_u32 v[35:36], null, v25, s22, s[8:9]
	v_mul_lo_u32 v39, v25, s23
	v_mul_lo_u32 v41, v26, s22
	s_mov_b32 s2, -1
	s_mov_b32 s29, exec_lo
	s_delay_alu instid0(VALU_DEP_4) | instskip(NEXT) | instid1(VALU_DEP_2)
	v_add3_u32 v34, v38, v34, v37
	v_add3_u32 v36, v41, v36, v39
	s_clause 0x1
	global_load_u8 v37, v[33:34], off
	global_load_u8 v38, v[35:36], off
	s_waitcnt vmcnt(0)
	v_cmpx_eq_u16_e64 v37, v38
	s_cbranch_execz .LBB357_183
; %bb.177:
	s_mov_b64 s[2:3], 1
	s_mov_b32 s31, 0
                                        ; implicit-def: $sgpr33
	s_set_inst_prefetch_distance 0x1
	s_branch .LBB357_180
	.p2align	6
.LBB357_178:                            ;   in Loop: Header=BB357_180 Depth=1
	v_add_co_u32 v37, vcc_lo, v33, s2
	v_add_co_ci_u32_e32 v38, vcc_lo, s3, v34, vcc_lo
	v_add_co_u32 v41, vcc_lo, v35, s2
	v_add_co_ci_u32_e32 v42, vcc_lo, s3, v36, vcc_lo
	s_add_u32 s6, s2, 1
	s_clause 0x1
	global_load_u8 v37, v[37:38], off
	global_load_u8 v38, v[41:42], off
	s_addc_u32 s7, s3, 0
	s_and_not1_b32 s33, s33, exec_lo
	s_waitcnt vmcnt(0)
	v_cmp_ne_u16_e32 vcc_lo, v37, v38
	s_and_b32 s34, vcc_lo, exec_lo
	s_delay_alu instid0(SALU_CYCLE_1)
	s_or_b32 s33, s33, s34
.LBB357_179:                            ;   in Loop: Header=BB357_180 Depth=1
	v_dual_mov_b32 v38, s3 :: v_dual_mov_b32 v37, s2
	s_and_b32 s34, exec_lo, s33
	s_mov_b64 s[2:3], s[6:7]
	s_or_b32 s31, s34, s31
	s_delay_alu instid0(SALU_CYCLE_1)
	s_and_not1_b32 exec_lo, exec_lo, s31
	s_cbranch_execz .LBB357_182
.LBB357_180:                            ; =>This Inner Loop Header: Depth=1
	s_or_b32 s33, s33, exec_lo
	s_cmp_eq_u64 s[22:23], s[2:3]
	s_cbranch_scc0 .LBB357_178
; %bb.181:                              ;   in Loop: Header=BB357_180 Depth=1
	s_mov_b64 s[2:3], s[22:23]
                                        ; implicit-def: $sgpr6_sgpr7
	s_branch .LBB357_179
.LBB357_182:
	s_set_inst_prefetch_distance 0x2
	s_or_b32 exec_lo, exec_lo, s31
	v_cmp_gt_i64_e32 vcc_lo, s[22:23], v[37:38]
	s_or_not1_b32 s2, vcc_lo, exec_lo
.LBB357_183:
	s_or_b32 exec_lo, exec_lo, s29
.LBB357_184:
	s_delay_alu instid0(SALU_CYCLE_1)
	s_and_b32 s29, s2, exec_lo
.LBB357_185:
	s_or_b32 exec_lo, exec_lo, s30
	v_or_b32_e32 v33, 1, v55
	s_mov_b32 s2, 0
	s_mov_b32 s30, exec_lo
	s_delay_alu instid0(VALU_DEP_1)
	v_cmpx_gt_u32_e64 s28, v33
	s_cbranch_execz .LBB357_196
; %bb.186:
	v_cmp_ne_u32_e32 vcc_lo, 1, v40
	s_cbranch_vccnz .LBB357_195
; %bb.187:
	v_mad_u64_u32 v[33:34], null, v29, s22, s[8:9]
	s_waitcnt lgkmcnt(0)
	v_mul_lo_u32 v37, v29, s23
	v_mul_lo_u32 v38, v30, s22
	v_mad_u64_u32 v[35:36], null, v31, s22, s[8:9]
	v_mul_lo_u32 v39, v31, s23
	v_mul_lo_u32 v41, v32, s22
	s_mov_b32 s2, -1
	s_mov_b32 s31, exec_lo
	s_delay_alu instid0(VALU_DEP_4) | instskip(NEXT) | instid1(VALU_DEP_2)
	v_add3_u32 v34, v38, v34, v37
	v_add3_u32 v36, v41, v36, v39
	s_clause 0x1
	global_load_u8 v37, v[33:34], off
	global_load_u8 v38, v[35:36], off
	s_waitcnt vmcnt(0)
	v_cmpx_eq_u16_e64 v37, v38
	s_cbranch_execz .LBB357_194
; %bb.188:
	s_mov_b64 s[2:3], 1
	s_mov_b32 s33, 0
                                        ; implicit-def: $sgpr34
	s_set_inst_prefetch_distance 0x1
	s_branch .LBB357_191
	.p2align	6
.LBB357_189:                            ;   in Loop: Header=BB357_191 Depth=1
	v_add_co_u32 v37, vcc_lo, v33, s2
	v_add_co_ci_u32_e32 v38, vcc_lo, s3, v34, vcc_lo
	v_add_co_u32 v41, vcc_lo, v35, s2
	v_add_co_ci_u32_e32 v42, vcc_lo, s3, v36, vcc_lo
	s_add_u32 s6, s2, 1
	s_clause 0x1
	global_load_u8 v37, v[37:38], off
	global_load_u8 v38, v[41:42], off
	s_addc_u32 s7, s3, 0
	s_and_not1_b32 s34, s34, exec_lo
	s_waitcnt vmcnt(0)
	v_cmp_ne_u16_e32 vcc_lo, v37, v38
	s_and_b32 s35, vcc_lo, exec_lo
	s_delay_alu instid0(SALU_CYCLE_1)
	s_or_b32 s34, s34, s35
.LBB357_190:                            ;   in Loop: Header=BB357_191 Depth=1
	v_dual_mov_b32 v38, s3 :: v_dual_mov_b32 v37, s2
	s_and_b32 s35, exec_lo, s34
	s_mov_b64 s[2:3], s[6:7]
	s_or_b32 s33, s35, s33
	s_delay_alu instid0(SALU_CYCLE_1)
	s_and_not1_b32 exec_lo, exec_lo, s33
	s_cbranch_execz .LBB357_193
.LBB357_191:                            ; =>This Inner Loop Header: Depth=1
	s_or_b32 s34, s34, exec_lo
	s_cmp_eq_u64 s[22:23], s[2:3]
	s_cbranch_scc0 .LBB357_189
; %bb.192:                              ;   in Loop: Header=BB357_191 Depth=1
	s_mov_b64 s[2:3], s[22:23]
                                        ; implicit-def: $sgpr6_sgpr7
	s_branch .LBB357_190
.LBB357_193:
	s_set_inst_prefetch_distance 0x2
	s_or_b32 exec_lo, exec_lo, s33
	v_cmp_gt_i64_e32 vcc_lo, s[22:23], v[37:38]
	s_or_not1_b32 s2, vcc_lo, exec_lo
.LBB357_194:
	s_or_b32 exec_lo, exec_lo, s31
.LBB357_195:
	s_delay_alu instid0(SALU_CYCLE_1)
	s_and_b32 s2, s2, exec_lo
.LBB357_196:
	s_or_b32 exec_lo, exec_lo, s30
	s_waitcnt lgkmcnt(0)
	v_dual_mov_b32 v36, s5 :: v_dual_mov_b32 v35, s4
	s_mov_b32 s3, exec_lo
	s_barrier
	buffer_gl0_inv
	v_cmpx_ne_u32_e32 0, v0
	s_cbranch_execz .LBB357_198
; %bb.197:
	v_add_nc_u32_e32 v33, -8, v55
	ds_load_b64 v[35:36], v33
.LBB357_198:
	s_or_b32 exec_lo, exec_lo, s3
	v_cndmask_b32_e64 v34, 0, 1, s27
	v_cndmask_b32_e64 v38, 0, 1, s19
	;; [unrolled: 1-line block ×7, first 2 shown]
	v_lshlrev_b16 v34, 8, v34
	v_lshlrev_b16 v38, 8, v38
	;; [unrolled: 1-line block ×3, first 2 shown]
	s_mov_b32 s2, 0
	v_lshlrev_b16 v42, 8, v42
	v_or_b32_e32 v33, v33, v34
	v_or_b32_e32 v34, v37, v38
	;; [unrolled: 1-line block ×3, first 2 shown]
	s_mov_b32 s6, exec_lo
	v_and_b32_e32 v39, 0xffff, v42
	v_lshlrev_b32_e32 v41, 16, v33
	v_and_b32_e32 v42, 0xffff, v34
	v_lshlrev_b32_e32 v43, 16, v37
	v_cmpx_gt_u32_e64 s28, v55
	s_cbranch_execz .LBB357_209
; %bb.199:
	v_cmp_ne_u32_e32 vcc_lo, 1, v40
	s_cbranch_vccnz .LBB357_208
; %bb.200:
	s_waitcnt lgkmcnt(0)
	v_mad_u64_u32 v[33:34], null, v35, s22, s[8:9]
	v_mul_lo_u32 v37, v35, s23
	v_mul_lo_u32 v38, v36, s22
	v_mad_u64_u32 v[35:36], null, v29, s22, s[8:9]
	v_mul_lo_u32 v40, v29, s23
	v_mul_lo_u32 v44, v30, s22
	s_mov_b32 s2, -1
	s_mov_b32 s7, exec_lo
	s_delay_alu instid0(VALU_DEP_4) | instskip(NEXT) | instid1(VALU_DEP_2)
	v_add3_u32 v34, v38, v34, v37
	v_add3_u32 v36, v44, v36, v40
	s_clause 0x1
	global_load_u8 v37, v[33:34], off
	global_load_u8 v38, v[35:36], off
	s_waitcnt vmcnt(0)
	v_cmpx_eq_u16_e64 v37, v38
	s_cbranch_execz .LBB357_207
; %bb.201:
	s_mov_b64 s[2:3], 1
	s_mov_b32 s19, 0
                                        ; implicit-def: $sgpr24
	s_set_inst_prefetch_distance 0x1
	s_branch .LBB357_204
	.p2align	6
.LBB357_202:                            ;   in Loop: Header=BB357_204 Depth=1
	v_add_co_u32 v37, vcc_lo, v33, s2
	v_add_co_ci_u32_e32 v38, vcc_lo, s3, v34, vcc_lo
	v_add_co_u32 v44, vcc_lo, v35, s2
	v_add_co_ci_u32_e32 v45, vcc_lo, s3, v36, vcc_lo
	s_add_u32 s4, s2, 1
	s_clause 0x1
	global_load_u8 v37, v[37:38], off
	global_load_u8 v38, v[44:45], off
	s_addc_u32 s5, s3, 0
	s_and_not1_b32 s24, s24, exec_lo
	s_waitcnt vmcnt(0)
	v_cmp_ne_u16_e32 vcc_lo, v37, v38
	s_and_b32 s25, vcc_lo, exec_lo
	s_delay_alu instid0(SALU_CYCLE_1)
	s_or_b32 s24, s24, s25
.LBB357_203:                            ;   in Loop: Header=BB357_204 Depth=1
	v_dual_mov_b32 v38, s3 :: v_dual_mov_b32 v37, s2
	s_and_b32 s25, exec_lo, s24
	s_mov_b64 s[2:3], s[4:5]
	s_or_b32 s19, s25, s19
	s_delay_alu instid0(SALU_CYCLE_1)
	s_and_not1_b32 exec_lo, exec_lo, s19
	s_cbranch_execz .LBB357_206
.LBB357_204:                            ; =>This Inner Loop Header: Depth=1
	s_or_b32 s24, s24, exec_lo
	s_cmp_eq_u64 s[22:23], s[2:3]
	s_cbranch_scc0 .LBB357_202
; %bb.205:                              ;   in Loop: Header=BB357_204 Depth=1
	s_mov_b64 s[2:3], s[22:23]
                                        ; implicit-def: $sgpr4_sgpr5
	s_branch .LBB357_203
.LBB357_206:
	s_set_inst_prefetch_distance 0x2
	s_or_b32 exec_lo, exec_lo, s19
	v_cmp_gt_i64_e32 vcc_lo, s[22:23], v[37:38]
	s_or_not1_b32 s2, vcc_lo, exec_lo
.LBB357_207:
	s_or_b32 exec_lo, exec_lo, s7
.LBB357_208:
	s_delay_alu instid0(SALU_CYCLE_1)
	s_and_b32 s2, s2, exec_lo
.LBB357_209:
	s_or_b32 exec_lo, exec_lo, s6
	v_or_b32_e32 v33, v39, v41
	v_or_b32_e32 v34, v42, v43
.LBB357_210:
	s_mov_b32 s6, -1
	s_cbranch_execnz .LBB357_379
.LBB357_211:
	v_cmp_gt_i64_e64 s7, s[22:23], 0
	s_and_b32 vcc_lo, exec_lo, s20
	ds_store_b64 v55, v[19:20]
	s_cbranch_vccz .LBB357_219
; %bb.212:
	s_waitcnt lgkmcnt(0)
	v_mul_lo_u32 v35, v18, s22
	v_mul_lo_u32 v36, v17, s23
	v_mad_u64_u32 v[33:34], null, v17, s22, 0
	s_mov_b32 s19, 0
	s_and_not1_b32 vcc_lo, exec_lo, s7
	s_mov_b32 s24, 0
	s_delay_alu instid0(VALU_DEP_1)
	v_add3_u32 v40, v34, v36, v35
	s_cbranch_vccnz .LBB357_222
; %bb.213:
	v_mad_u64_u32 v[34:35], null, v19, s22, s[8:9]
	v_mul_lo_u32 v38, v19, s23
	v_mul_lo_u32 v39, v20, s22
	v_add_co_u32 v36, vcc_lo, s8, v33
	v_add_co_ci_u32_e32 v37, vcc_lo, s9, v40, vcc_lo
	s_mov_b32 s24, -1
	s_mov_b32 s25, exec_lo
	s_delay_alu instid0(VALU_DEP_3)
	v_add3_u32 v35, v39, v35, v38
	s_clause 0x1
	global_load_u8 v38, v[36:37], off
	global_load_u8 v39, v[34:35], off
	s_waitcnt vmcnt(0)
	v_cmpx_eq_u16_e64 v38, v39
	s_cbranch_execz .LBB357_221
; %bb.214:
	s_mov_b64 s[2:3], 1
	s_mov_b32 s24, 0
                                        ; implicit-def: $sgpr26
	s_set_inst_prefetch_distance 0x1
	s_branch .LBB357_217
	.p2align	6
.LBB357_215:                            ;   in Loop: Header=BB357_217 Depth=1
	v_add_co_u32 v38, vcc_lo, v36, s2
	v_add_co_ci_u32_e32 v39, vcc_lo, s3, v37, vcc_lo
	v_add_co_u32 v41, vcc_lo, v34, s2
	v_add_co_ci_u32_e32 v42, vcc_lo, s3, v35, vcc_lo
	s_add_u32 s4, s2, 1
	s_clause 0x1
	global_load_u8 v38, v[38:39], off
	global_load_u8 v39, v[41:42], off
	s_addc_u32 s5, s3, 0
	s_and_not1_b32 s26, s26, exec_lo
	s_waitcnt vmcnt(0)
	v_cmp_ne_u16_e32 vcc_lo, v38, v39
	s_and_b32 s27, vcc_lo, exec_lo
	s_delay_alu instid0(SALU_CYCLE_1)
	s_or_b32 s26, s26, s27
.LBB357_216:                            ;   in Loop: Header=BB357_217 Depth=1
	v_dual_mov_b32 v39, s3 :: v_dual_mov_b32 v38, s2
	s_and_b32 s27, exec_lo, s26
	s_mov_b64 s[2:3], s[4:5]
	s_or_b32 s24, s27, s24
	s_delay_alu instid0(SALU_CYCLE_1)
	s_and_not1_b32 exec_lo, exec_lo, s24
	s_cbranch_execz .LBB357_220
.LBB357_217:                            ; =>This Inner Loop Header: Depth=1
	s_or_b32 s26, s26, exec_lo
	s_cmp_eq_u64 s[22:23], s[2:3]
	s_cbranch_scc0 .LBB357_215
; %bb.218:                              ;   in Loop: Header=BB357_217 Depth=1
	s_mov_b64 s[2:3], s[22:23]
                                        ; implicit-def: $sgpr4_sgpr5
	s_branch .LBB357_216
.LBB357_219:
                                        ; implicit-def: $sgpr2
                                        ; implicit-def: $vgpr34
	s_cbranch_execnz .LBB357_288
	s_branch .LBB357_379
.LBB357_220:
	s_set_inst_prefetch_distance 0x2
	s_or_b32 exec_lo, exec_lo, s24
	v_cmp_gt_i64_e32 vcc_lo, s[22:23], v[38:39]
	s_or_not1_b32 s24, vcc_lo, exec_lo
.LBB357_221:
	s_or_b32 exec_lo, exec_lo, s25
.LBB357_222:
	v_mul_lo_u32 v36, v24, s22
	v_mul_lo_u32 v37, v23, s23
	v_mad_u64_u32 v[34:35], null, v23, s22, 0
	s_and_not1_b32 vcc_lo, exec_lo, s7
	s_delay_alu instid0(VALU_DEP_1)
	v_add3_u32 v41, v35, v37, v36
	s_cbranch_vccnz .LBB357_231
; %bb.223:
	s_delay_alu instid0(VALU_DEP_2) | instskip(NEXT) | instid1(VALU_DEP_2)
	v_add_co_u32 v35, vcc_lo, s8, v34
	v_add_co_ci_u32_e32 v36, vcc_lo, s9, v41, vcc_lo
	v_add_co_u32 v37, vcc_lo, s8, v33
	v_add_co_ci_u32_e32 v38, vcc_lo, s9, v40, vcc_lo
	s_mov_b32 s19, -1
	s_clause 0x1
	global_load_u8 v33, v[35:36], off
	global_load_u8 v39, v[37:38], off
	s_mov_b32 s25, exec_lo
	s_waitcnt vmcnt(0)
	v_cmpx_eq_u16_e64 v33, v39
	s_cbranch_execz .LBB357_230
; %bb.224:
	s_mov_b64 s[2:3], 1
	s_mov_b32 s19, 0
                                        ; implicit-def: $sgpr26
	s_set_inst_prefetch_distance 0x1
	s_branch .LBB357_227
	.p2align	6
.LBB357_225:                            ;   in Loop: Header=BB357_227 Depth=1
	v_add_co_u32 v39, vcc_lo, v35, s2
	v_add_co_ci_u32_e32 v40, vcc_lo, s3, v36, vcc_lo
	v_add_co_u32 v42, vcc_lo, v37, s2
	v_add_co_ci_u32_e32 v43, vcc_lo, s3, v38, vcc_lo
	s_add_u32 s4, s2, 1
	s_clause 0x1
	global_load_u8 v33, v[39:40], off
	global_load_u8 v39, v[42:43], off
	s_addc_u32 s5, s3, 0
	s_and_not1_b32 s26, s26, exec_lo
	s_waitcnt vmcnt(0)
	v_cmp_ne_u16_e32 vcc_lo, v33, v39
	s_and_b32 s27, vcc_lo, exec_lo
	s_delay_alu instid0(SALU_CYCLE_1)
	s_or_b32 s26, s26, s27
.LBB357_226:                            ;   in Loop: Header=BB357_227 Depth=1
	v_dual_mov_b32 v40, s3 :: v_dual_mov_b32 v39, s2
	s_and_b32 s27, exec_lo, s26
	s_mov_b64 s[2:3], s[4:5]
	s_or_b32 s19, s27, s19
	s_delay_alu instid0(SALU_CYCLE_1)
	s_and_not1_b32 exec_lo, exec_lo, s19
	s_cbranch_execz .LBB357_229
.LBB357_227:                            ; =>This Inner Loop Header: Depth=1
	s_or_b32 s26, s26, exec_lo
	s_cmp_eq_u64 s[22:23], s[2:3]
	s_cbranch_scc0 .LBB357_225
; %bb.228:                              ;   in Loop: Header=BB357_227 Depth=1
	s_mov_b64 s[2:3], s[22:23]
                                        ; implicit-def: $sgpr4_sgpr5
	s_branch .LBB357_226
.LBB357_229:
	s_set_inst_prefetch_distance 0x2
	s_or_b32 exec_lo, exec_lo, s19
	v_cmp_gt_i64_e32 vcc_lo, s[22:23], v[39:40]
	s_or_not1_b32 s19, vcc_lo, exec_lo
.LBB357_230:
	s_or_b32 exec_lo, exec_lo, s25
.LBB357_231:
	v_mul_lo_u32 v33, v22, s22
	v_mul_lo_u32 v37, v21, s23
	v_mad_u64_u32 v[35:36], null, v21, s22, 0
	s_mov_b32 s25, 0
	s_and_not1_b32 vcc_lo, exec_lo, s7
	s_mov_b32 s26, 0
	s_delay_alu instid0(VALU_DEP_1)
	v_add3_u32 v42, v36, v37, v33
	s_cbranch_vccnz .LBB357_240
; %bb.232:
	s_delay_alu instid0(VALU_DEP_2) | instskip(NEXT) | instid1(VALU_DEP_2)
	v_add_co_u32 v36, vcc_lo, s8, v35
	v_add_co_ci_u32_e32 v37, vcc_lo, s9, v42, vcc_lo
	v_add_co_u32 v33, vcc_lo, s8, v34
	v_add_co_ci_u32_e32 v34, vcc_lo, s9, v41, vcc_lo
	s_mov_b32 s26, -1
	s_clause 0x1
	global_load_u8 v38, v[36:37], off
	global_load_u8 v39, v[33:34], off
	s_mov_b32 s27, exec_lo
	s_waitcnt vmcnt(0)
	v_cmpx_eq_u16_e64 v38, v39
	s_cbranch_execz .LBB357_239
; %bb.233:
	s_mov_b64 s[2:3], 1
	s_mov_b32 s26, 0
                                        ; implicit-def: $sgpr29
	s_set_inst_prefetch_distance 0x1
	s_branch .LBB357_236
	.p2align	6
.LBB357_234:                            ;   in Loop: Header=BB357_236 Depth=1
	v_add_co_u32 v38, vcc_lo, v36, s2
	v_add_co_ci_u32_e32 v39, vcc_lo, s3, v37, vcc_lo
	v_add_co_u32 v40, vcc_lo, v33, s2
	v_add_co_ci_u32_e32 v41, vcc_lo, s3, v34, vcc_lo
	s_add_u32 s4, s2, 1
	s_clause 0x1
	global_load_u8 v38, v[38:39], off
	global_load_u8 v39, v[40:41], off
	s_addc_u32 s5, s3, 0
	s_and_not1_b32 s29, s29, exec_lo
	s_waitcnt vmcnt(0)
	v_cmp_ne_u16_e32 vcc_lo, v38, v39
	s_and_b32 s30, vcc_lo, exec_lo
	s_delay_alu instid0(SALU_CYCLE_1)
	s_or_b32 s29, s29, s30
.LBB357_235:                            ;   in Loop: Header=BB357_236 Depth=1
	v_dual_mov_b32 v39, s3 :: v_dual_mov_b32 v38, s2
	s_and_b32 s30, exec_lo, s29
	s_mov_b64 s[2:3], s[4:5]
	s_or_b32 s26, s30, s26
	s_delay_alu instid0(SALU_CYCLE_1)
	s_and_not1_b32 exec_lo, exec_lo, s26
	s_cbranch_execz .LBB357_238
.LBB357_236:                            ; =>This Inner Loop Header: Depth=1
	s_or_b32 s29, s29, exec_lo
	s_cmp_eq_u64 s[22:23], s[2:3]
	s_cbranch_scc0 .LBB357_234
; %bb.237:                              ;   in Loop: Header=BB357_236 Depth=1
	s_mov_b64 s[2:3], s[22:23]
                                        ; implicit-def: $sgpr4_sgpr5
	s_branch .LBB357_235
.LBB357_238:
	s_set_inst_prefetch_distance 0x2
	s_or_b32 exec_lo, exec_lo, s26
	v_cmp_gt_i64_e32 vcc_lo, s[22:23], v[38:39]
	s_or_not1_b32 s26, vcc_lo, exec_lo
.LBB357_239:
	s_or_b32 exec_lo, exec_lo, s27
.LBB357_240:
	v_mul_lo_u32 v36, v28, s22
	v_mul_lo_u32 v37, v27, s23
	v_mad_u64_u32 v[33:34], null, v27, s22, 0
	s_and_not1_b32 vcc_lo, exec_lo, s7
	s_delay_alu instid0(VALU_DEP_1)
	v_add3_u32 v40, v34, v37, v36
	s_cbranch_vccnz .LBB357_249
; %bb.241:
	s_delay_alu instid0(VALU_DEP_2) | instskip(NEXT) | instid1(VALU_DEP_2)
	v_add_co_u32 v36, vcc_lo, s8, v33
	v_add_co_ci_u32_e32 v37, vcc_lo, s9, v40, vcc_lo
	v_add_co_u32 v34, vcc_lo, s8, v35
	v_add_co_ci_u32_e32 v35, vcc_lo, s9, v42, vcc_lo
	s_mov_b32 s25, -1
	s_clause 0x1
	global_load_u8 v38, v[36:37], off
	global_load_u8 v39, v[34:35], off
	s_mov_b32 s27, exec_lo
	s_waitcnt vmcnt(0)
	v_cmpx_eq_u16_e64 v38, v39
	s_cbranch_execz .LBB357_248
; %bb.242:
	s_mov_b64 s[2:3], 1
	s_mov_b32 s25, 0
                                        ; implicit-def: $sgpr29
	s_set_inst_prefetch_distance 0x1
	s_branch .LBB357_245
	.p2align	6
.LBB357_243:                            ;   in Loop: Header=BB357_245 Depth=1
	v_add_co_u32 v38, vcc_lo, v36, s2
	v_add_co_ci_u32_e32 v39, vcc_lo, s3, v37, vcc_lo
	v_add_co_u32 v41, vcc_lo, v34, s2
	v_add_co_ci_u32_e32 v42, vcc_lo, s3, v35, vcc_lo
	s_add_u32 s4, s2, 1
	s_clause 0x1
	global_load_u8 v38, v[38:39], off
	global_load_u8 v39, v[41:42], off
	s_addc_u32 s5, s3, 0
	s_and_not1_b32 s29, s29, exec_lo
	s_waitcnt vmcnt(0)
	v_cmp_ne_u16_e32 vcc_lo, v38, v39
	s_and_b32 s30, vcc_lo, exec_lo
	s_delay_alu instid0(SALU_CYCLE_1)
	s_or_b32 s29, s29, s30
.LBB357_244:                            ;   in Loop: Header=BB357_245 Depth=1
	v_dual_mov_b32 v39, s3 :: v_dual_mov_b32 v38, s2
	s_and_b32 s30, exec_lo, s29
	s_mov_b64 s[2:3], s[4:5]
	s_or_b32 s25, s30, s25
	s_delay_alu instid0(SALU_CYCLE_1)
	s_and_not1_b32 exec_lo, exec_lo, s25
	s_cbranch_execz .LBB357_247
.LBB357_245:                            ; =>This Inner Loop Header: Depth=1
	s_or_b32 s29, s29, exec_lo
	s_cmp_eq_u64 s[22:23], s[2:3]
	s_cbranch_scc0 .LBB357_243
; %bb.246:                              ;   in Loop: Header=BB357_245 Depth=1
	s_mov_b64 s[2:3], s[22:23]
                                        ; implicit-def: $sgpr4_sgpr5
	s_branch .LBB357_244
.LBB357_247:
	s_set_inst_prefetch_distance 0x2
	s_or_b32 exec_lo, exec_lo, s25
	v_cmp_gt_i64_e32 vcc_lo, s[22:23], v[38:39]
	s_or_not1_b32 s25, vcc_lo, exec_lo
.LBB357_248:
	s_or_b32 exec_lo, exec_lo, s27
.LBB357_249:
	v_mul_lo_u32 v34, v26, s22
	v_mul_lo_u32 v37, v25, s23
	v_mad_u64_u32 v[35:36], null, v25, s22, 0
	s_mov_b32 s27, 0
	s_and_not1_b32 vcc_lo, exec_lo, s7
	s_mov_b32 s29, 0
	s_delay_alu instid0(VALU_DEP_1)
	v_add3_u32 v42, v36, v37, v34
	s_cbranch_vccnz .LBB357_258
; %bb.250:
	s_delay_alu instid0(VALU_DEP_2) | instskip(NEXT) | instid1(VALU_DEP_2)
	v_add_co_u32 v36, vcc_lo, s8, v35
	v_add_co_ci_u32_e32 v37, vcc_lo, s9, v42, vcc_lo
	v_add_co_u32 v33, vcc_lo, s8, v33
	v_add_co_ci_u32_e32 v34, vcc_lo, s9, v40, vcc_lo
	s_mov_b32 s29, -1
	s_clause 0x1
	global_load_u8 v38, v[36:37], off
	global_load_u8 v39, v[33:34], off
	s_mov_b32 s30, exec_lo
	s_waitcnt vmcnt(0)
	v_cmpx_eq_u16_e64 v38, v39
	s_cbranch_execz .LBB357_257
; %bb.251:
	s_mov_b64 s[2:3], 1
	s_mov_b32 s29, 0
                                        ; implicit-def: $sgpr31
	s_set_inst_prefetch_distance 0x1
	s_branch .LBB357_254
	.p2align	6
.LBB357_252:                            ;   in Loop: Header=BB357_254 Depth=1
	v_add_co_u32 v38, vcc_lo, v36, s2
	v_add_co_ci_u32_e32 v39, vcc_lo, s3, v37, vcc_lo
	v_add_co_u32 v40, vcc_lo, v33, s2
	v_add_co_ci_u32_e32 v41, vcc_lo, s3, v34, vcc_lo
	s_add_u32 s4, s2, 1
	s_clause 0x1
	global_load_u8 v38, v[38:39], off
	global_load_u8 v39, v[40:41], off
	s_addc_u32 s5, s3, 0
	s_and_not1_b32 s31, s31, exec_lo
	s_waitcnt vmcnt(0)
	v_cmp_ne_u16_e32 vcc_lo, v38, v39
	s_and_b32 s33, vcc_lo, exec_lo
	s_delay_alu instid0(SALU_CYCLE_1)
	s_or_b32 s31, s31, s33
.LBB357_253:                            ;   in Loop: Header=BB357_254 Depth=1
	v_dual_mov_b32 v39, s3 :: v_dual_mov_b32 v38, s2
	s_and_b32 s33, exec_lo, s31
	s_mov_b64 s[2:3], s[4:5]
	s_or_b32 s29, s33, s29
	s_delay_alu instid0(SALU_CYCLE_1)
	s_and_not1_b32 exec_lo, exec_lo, s29
	s_cbranch_execz .LBB357_256
.LBB357_254:                            ; =>This Inner Loop Header: Depth=1
	s_or_b32 s31, s31, exec_lo
	s_cmp_eq_u64 s[22:23], s[2:3]
	s_cbranch_scc0 .LBB357_252
; %bb.255:                              ;   in Loop: Header=BB357_254 Depth=1
	s_mov_b64 s[2:3], s[22:23]
                                        ; implicit-def: $sgpr4_sgpr5
	s_branch .LBB357_253
.LBB357_256:
	s_set_inst_prefetch_distance 0x2
	s_or_b32 exec_lo, exec_lo, s29
	v_cmp_gt_i64_e32 vcc_lo, s[22:23], v[38:39]
	s_or_not1_b32 s29, vcc_lo, exec_lo
.LBB357_257:
	s_or_b32 exec_lo, exec_lo, s30
.LBB357_258:
	v_mul_lo_u32 v36, v32, s22
	v_mul_lo_u32 v37, v31, s23
	v_mad_u64_u32 v[33:34], null, v31, s22, 0
	s_and_not1_b32 vcc_lo, exec_lo, s7
	s_delay_alu instid0(VALU_DEP_1)
	v_add3_u32 v41, v34, v37, v36
	s_cbranch_vccnz .LBB357_267
; %bb.259:
	s_delay_alu instid0(VALU_DEP_2) | instskip(NEXT) | instid1(VALU_DEP_2)
	v_add_co_u32 v36, vcc_lo, s8, v33
	v_add_co_ci_u32_e32 v37, vcc_lo, s9, v41, vcc_lo
	v_add_co_u32 v34, vcc_lo, s8, v35
	v_add_co_ci_u32_e32 v35, vcc_lo, s9, v42, vcc_lo
	s_mov_b32 s27, -1
	s_clause 0x1
	global_load_u8 v38, v[36:37], off
	global_load_u8 v39, v[34:35], off
	s_mov_b32 s30, exec_lo
	s_waitcnt vmcnt(0)
	v_cmpx_eq_u16_e64 v38, v39
	s_cbranch_execz .LBB357_266
; %bb.260:
	s_mov_b64 s[2:3], 1
	s_mov_b32 s27, 0
                                        ; implicit-def: $sgpr31
	s_set_inst_prefetch_distance 0x1
	s_branch .LBB357_263
	.p2align	6
.LBB357_261:                            ;   in Loop: Header=BB357_263 Depth=1
	v_add_co_u32 v38, vcc_lo, v36, s2
	v_add_co_ci_u32_e32 v39, vcc_lo, s3, v37, vcc_lo
	v_add_co_u32 v42, vcc_lo, v34, s2
	v_add_co_ci_u32_e32 v43, vcc_lo, s3, v35, vcc_lo
	s_add_u32 s4, s2, 1
	s_clause 0x1
	global_load_u8 v38, v[38:39], off
	global_load_u8 v39, v[42:43], off
	s_addc_u32 s5, s3, 0
	s_and_not1_b32 s31, s31, exec_lo
	s_waitcnt vmcnt(0)
	v_cmp_ne_u16_e32 vcc_lo, v38, v39
	s_and_b32 s33, vcc_lo, exec_lo
	s_delay_alu instid0(SALU_CYCLE_1)
	s_or_b32 s31, s31, s33
.LBB357_262:                            ;   in Loop: Header=BB357_263 Depth=1
	v_dual_mov_b32 v39, s3 :: v_dual_mov_b32 v38, s2
	s_and_b32 s33, exec_lo, s31
	s_mov_b64 s[2:3], s[4:5]
	s_or_b32 s27, s33, s27
	s_delay_alu instid0(SALU_CYCLE_1)
	s_and_not1_b32 exec_lo, exec_lo, s27
	s_cbranch_execz .LBB357_265
.LBB357_263:                            ; =>This Inner Loop Header: Depth=1
	s_or_b32 s31, s31, exec_lo
	s_cmp_eq_u64 s[22:23], s[2:3]
	s_cbranch_scc0 .LBB357_261
; %bb.264:                              ;   in Loop: Header=BB357_263 Depth=1
	s_mov_b64 s[2:3], s[22:23]
                                        ; implicit-def: $sgpr4_sgpr5
	s_branch .LBB357_262
.LBB357_265:
	s_set_inst_prefetch_distance 0x2
	s_or_b32 exec_lo, exec_lo, s27
	v_cmp_gt_i64_e32 vcc_lo, s[22:23], v[38:39]
	s_or_not1_b32 s27, vcc_lo, exec_lo
.LBB357_266:
	s_or_b32 exec_lo, exec_lo, s30
.LBB357_267:
	v_mul_lo_u32 v34, v30, s22
	v_mul_lo_u32 v37, v29, s23
	v_mad_u64_u32 v[35:36], null, v29, s22, 0
	s_and_not1_b32 vcc_lo, exec_lo, s7
	s_mov_b32 s2, 0
	s_delay_alu instid0(VALU_DEP_1)
	v_add3_u32 v40, v36, v37, v34
	s_cbranch_vccnz .LBB357_276
; %bb.268:
	s_delay_alu instid0(VALU_DEP_2) | instskip(NEXT) | instid1(VALU_DEP_2)
	v_add_co_u32 v36, vcc_lo, s8, v35
	v_add_co_ci_u32_e32 v37, vcc_lo, s9, v40, vcc_lo
	v_add_co_u32 v33, vcc_lo, s8, v33
	v_add_co_ci_u32_e32 v34, vcc_lo, s9, v41, vcc_lo
	s_mov_b32 s2, -1
	s_clause 0x1
	global_load_u8 v38, v[36:37], off
	global_load_u8 v39, v[33:34], off
	s_mov_b32 s30, exec_lo
	s_waitcnt vmcnt(0)
	v_cmpx_eq_u16_e64 v38, v39
	s_cbranch_execz .LBB357_275
; %bb.269:
	s_mov_b64 s[2:3], 1
	s_mov_b32 s31, 0
                                        ; implicit-def: $sgpr33
	s_set_inst_prefetch_distance 0x1
	s_branch .LBB357_272
	.p2align	6
.LBB357_270:                            ;   in Loop: Header=BB357_272 Depth=1
	v_add_co_u32 v38, vcc_lo, v36, s2
	v_add_co_ci_u32_e32 v39, vcc_lo, s3, v37, vcc_lo
	v_add_co_u32 v41, vcc_lo, v33, s2
	v_add_co_ci_u32_e32 v42, vcc_lo, s3, v34, vcc_lo
	s_add_u32 s4, s2, 1
	s_clause 0x1
	global_load_u8 v38, v[38:39], off
	global_load_u8 v39, v[41:42], off
	s_addc_u32 s5, s3, 0
	s_and_not1_b32 s33, s33, exec_lo
	s_waitcnt vmcnt(0)
	v_cmp_ne_u16_e32 vcc_lo, v38, v39
	s_and_b32 s34, vcc_lo, exec_lo
	s_delay_alu instid0(SALU_CYCLE_1)
	s_or_b32 s33, s33, s34
.LBB357_271:                            ;   in Loop: Header=BB357_272 Depth=1
	v_dual_mov_b32 v39, s3 :: v_dual_mov_b32 v38, s2
	s_and_b32 s34, exec_lo, s33
	s_mov_b64 s[2:3], s[4:5]
	s_or_b32 s31, s34, s31
	s_delay_alu instid0(SALU_CYCLE_1)
	s_and_not1_b32 exec_lo, exec_lo, s31
	s_cbranch_execz .LBB357_274
.LBB357_272:                            ; =>This Inner Loop Header: Depth=1
	s_or_b32 s33, s33, exec_lo
	s_cmp_eq_u64 s[22:23], s[2:3]
	s_cbranch_scc0 .LBB357_270
; %bb.273:                              ;   in Loop: Header=BB357_272 Depth=1
	s_mov_b64 s[2:3], s[22:23]
                                        ; implicit-def: $sgpr4_sgpr5
	s_branch .LBB357_271
.LBB357_274:
	s_set_inst_prefetch_distance 0x2
	s_or_b32 exec_lo, exec_lo, s31
	v_cmp_gt_i64_e32 vcc_lo, s[22:23], v[38:39]
	s_or_not1_b32 s2, vcc_lo, exec_lo
.LBB357_275:
	s_or_b32 exec_lo, exec_lo, s30
.LBB357_276:
	v_cndmask_b32_e64 v34, 0, 1, s29
	v_cndmask_b32_e64 v36, 0, 1, s26
	;; [unrolled: 1-line block ×7, first 2 shown]
	v_lshlrev_b16 v36, 8, v36
	v_lshlrev_b16 v37, 8, v37
	;; [unrolled: 1-line block ×4, first 2 shown]
	s_delay_alu instid0(VALU_DEP_4) | instskip(NEXT) | instid1(VALU_DEP_4)
	v_or_b32_e32 v36, v39, v36
	v_or_b32_e32 v37, v41, v37
	s_delay_alu instid0(VALU_DEP_4) | instskip(NEXT) | instid1(VALU_DEP_4)
	v_or_b32_e32 v38, 1, v38
	v_or_b32_e32 v33, v33, v34
	s_barrier
	v_and_b32_e32 v34, 0xffff, v36
	v_lshlrev_b32_e32 v36, 16, v37
	v_and_b32_e32 v37, 0xffff, v38
	v_lshlrev_b32_e32 v33, 16, v33
	buffer_gl0_inv
                                        ; implicit-def: $sgpr2
	s_mov_b32 s3, exec_lo
	v_or_b32_e32 v34, v34, v36
	v_or_b32_e32 v33, v37, v33
	v_cmpx_ne_u32_e32 0, v0
	s_xor_b32 s19, exec_lo, s3
	s_cbranch_execz .LBB357_287
; %bb.277:
	s_and_not1_b32 vcc_lo, exec_lo, s7
	s_mov_b32 s2, 0
	s_cbranch_vccnz .LBB357_286
; %bb.278:
	v_add_nc_u32_e32 v36, -8, v55
	s_mov_b32 s2, -1
	s_mov_b32 s24, exec_lo
	ds_load_b64 v[38:39], v36
	s_waitcnt lgkmcnt(0)
	v_mul_lo_u32 v41, v38, s23
	v_mul_lo_u32 v39, v39, s22
	v_mad_u64_u32 v[36:37], null, v38, s22, s[8:9]
	v_add_co_u32 v38, vcc_lo, s8, v35
	s_delay_alu instid0(VALU_DEP_2)
	v_add3_u32 v37, v39, v37, v41
	v_add_co_ci_u32_e32 v39, vcc_lo, s9, v40, vcc_lo
	s_clause 0x1
	global_load_u8 v35, v[36:37], off
	global_load_u8 v40, v[38:39], off
	s_waitcnt vmcnt(0)
	v_cmpx_eq_u16_e64 v35, v40
	s_cbranch_execz .LBB357_285
; %bb.279:
	s_mov_b64 s[2:3], 1
	s_mov_b32 s25, 0
                                        ; implicit-def: $sgpr26
	s_set_inst_prefetch_distance 0x1
	s_branch .LBB357_282
	.p2align	6
.LBB357_280:                            ;   in Loop: Header=BB357_282 Depth=1
	v_add_co_u32 v40, vcc_lo, v36, s2
	v_add_co_ci_u32_e32 v41, vcc_lo, s3, v37, vcc_lo
	v_add_co_u32 v42, vcc_lo, v38, s2
	v_add_co_ci_u32_e32 v43, vcc_lo, s3, v39, vcc_lo
	s_add_u32 s4, s2, 1
	s_clause 0x1
	global_load_u8 v35, v[40:41], off
	global_load_u8 v40, v[42:43], off
	s_addc_u32 s5, s3, 0
	s_and_not1_b32 s26, s26, exec_lo
	s_waitcnt vmcnt(0)
	v_cmp_ne_u16_e32 vcc_lo, v35, v40
	s_and_b32 s27, vcc_lo, exec_lo
	s_delay_alu instid0(SALU_CYCLE_1)
	s_or_b32 s26, s26, s27
.LBB357_281:                            ;   in Loop: Header=BB357_282 Depth=1
	v_dual_mov_b32 v41, s3 :: v_dual_mov_b32 v40, s2
	s_and_b32 s27, exec_lo, s26
	s_mov_b64 s[2:3], s[4:5]
	s_or_b32 s25, s27, s25
	s_delay_alu instid0(SALU_CYCLE_1)
	s_and_not1_b32 exec_lo, exec_lo, s25
	s_cbranch_execz .LBB357_284
.LBB357_282:                            ; =>This Inner Loop Header: Depth=1
	s_or_b32 s26, s26, exec_lo
	s_cmp_eq_u64 s[22:23], s[2:3]
	s_cbranch_scc0 .LBB357_280
; %bb.283:                              ;   in Loop: Header=BB357_282 Depth=1
	s_mov_b64 s[2:3], s[22:23]
                                        ; implicit-def: $sgpr4_sgpr5
	s_branch .LBB357_281
.LBB357_284:
	s_set_inst_prefetch_distance 0x2
	s_or_b32 exec_lo, exec_lo, s25
	v_cmp_gt_i64_e32 vcc_lo, s[22:23], v[40:41]
	s_or_not1_b32 s2, vcc_lo, exec_lo
.LBB357_285:
	s_or_b32 exec_lo, exec_lo, s24
.LBB357_286:
	s_delay_alu instid0(SALU_CYCLE_1)
	s_and_b32 s2, s2, exec_lo
	s_or_b32 s6, s6, exec_lo
.LBB357_287:
	s_or_b32 exec_lo, exec_lo, s19
	s_branch .LBB357_379
.LBB357_288:
	v_or_b32_e32 v33, 7, v55
	s_mov_b32 s19, 0
	s_mov_b32 s24, 0
	s_mov_b32 s25, exec_lo
	s_delay_alu instid0(VALU_DEP_1)
	v_cmpx_gt_u32_e64 s28, v33
	s_cbranch_execz .LBB357_299
; %bb.289:
	s_and_not1_b32 vcc_lo, exec_lo, s7
	s_mov_b32 s2, 0
	s_cbranch_vccnz .LBB357_298
; %bb.290:
	v_mad_u64_u32 v[33:34], null, v17, s22, s[8:9]
	s_waitcnt lgkmcnt(0)
	v_mul_lo_u32 v37, v17, s23
	v_mul_lo_u32 v38, v18, s22
	v_mad_u64_u32 v[35:36], null, v19, s22, s[8:9]
	v_mul_lo_u32 v39, v19, s23
	v_mul_lo_u32 v40, v20, s22
	s_mov_b32 s2, -1
	s_mov_b32 s24, exec_lo
	s_delay_alu instid0(VALU_DEP_4) | instskip(NEXT) | instid1(VALU_DEP_2)
	v_add3_u32 v34, v38, v34, v37
	v_add3_u32 v36, v40, v36, v39
	s_clause 0x1
	global_load_u8 v37, v[33:34], off
	global_load_u8 v38, v[35:36], off
	s_waitcnt vmcnt(0)
	v_cmpx_eq_u16_e64 v37, v38
	s_cbranch_execz .LBB357_297
; %bb.291:
	s_mov_b64 s[2:3], 1
	s_mov_b32 s26, 0
                                        ; implicit-def: $sgpr27
	s_set_inst_prefetch_distance 0x1
	s_branch .LBB357_294
	.p2align	6
.LBB357_292:                            ;   in Loop: Header=BB357_294 Depth=1
	v_add_co_u32 v37, vcc_lo, v33, s2
	v_add_co_ci_u32_e32 v38, vcc_lo, s3, v34, vcc_lo
	v_add_co_u32 v39, vcc_lo, v35, s2
	v_add_co_ci_u32_e32 v40, vcc_lo, s3, v36, vcc_lo
	s_add_u32 s4, s2, 1
	s_clause 0x1
	global_load_u8 v37, v[37:38], off
	global_load_u8 v38, v[39:40], off
	s_addc_u32 s5, s3, 0
	s_and_not1_b32 s27, s27, exec_lo
	s_waitcnt vmcnt(0)
	v_cmp_ne_u16_e32 vcc_lo, v37, v38
	s_and_b32 s29, vcc_lo, exec_lo
	s_delay_alu instid0(SALU_CYCLE_1)
	s_or_b32 s27, s27, s29
.LBB357_293:                            ;   in Loop: Header=BB357_294 Depth=1
	v_dual_mov_b32 v38, s3 :: v_dual_mov_b32 v37, s2
	s_and_b32 s29, exec_lo, s27
	s_mov_b64 s[2:3], s[4:5]
	s_or_b32 s26, s29, s26
	s_delay_alu instid0(SALU_CYCLE_1)
	s_and_not1_b32 exec_lo, exec_lo, s26
	s_cbranch_execz .LBB357_296
.LBB357_294:                            ; =>This Inner Loop Header: Depth=1
	s_or_b32 s27, s27, exec_lo
	s_cmp_eq_u64 s[22:23], s[2:3]
	s_cbranch_scc0 .LBB357_292
; %bb.295:                              ;   in Loop: Header=BB357_294 Depth=1
	s_mov_b64 s[2:3], s[22:23]
                                        ; implicit-def: $sgpr4_sgpr5
	s_branch .LBB357_293
.LBB357_296:
	s_set_inst_prefetch_distance 0x2
	s_or_b32 exec_lo, exec_lo, s26
	v_cmp_gt_i64_e32 vcc_lo, s[22:23], v[37:38]
	s_or_not1_b32 s2, vcc_lo, exec_lo
.LBB357_297:
	s_or_b32 exec_lo, exec_lo, s24
.LBB357_298:
	s_delay_alu instid0(SALU_CYCLE_1)
	s_and_b32 s24, s2, exec_lo
.LBB357_299:
	s_or_b32 exec_lo, exec_lo, s25
	v_or_b32_e32 v33, 6, v55
	s_mov_b32 s25, exec_lo
	s_delay_alu instid0(VALU_DEP_1)
	v_cmpx_gt_u32_e64 s28, v33
	s_cbranch_execz .LBB357_310
; %bb.300:
	s_and_not1_b32 vcc_lo, exec_lo, s7
	s_mov_b32 s2, 0
	s_cbranch_vccnz .LBB357_309
; %bb.301:
	v_mad_u64_u32 v[33:34], null, v23, s22, s[8:9]
	s_waitcnt lgkmcnt(0)
	v_mul_lo_u32 v37, v23, s23
	v_mul_lo_u32 v38, v24, s22
	v_mad_u64_u32 v[35:36], null, v17, s22, s[8:9]
	v_mul_lo_u32 v39, v17, s23
	v_mul_lo_u32 v40, v18, s22
	s_mov_b32 s2, -1
	s_mov_b32 s19, exec_lo
	s_delay_alu instid0(VALU_DEP_4) | instskip(NEXT) | instid1(VALU_DEP_2)
	v_add3_u32 v34, v38, v34, v37
	v_add3_u32 v36, v40, v36, v39
	s_clause 0x1
	global_load_u8 v37, v[33:34], off
	global_load_u8 v38, v[35:36], off
	s_waitcnt vmcnt(0)
	v_cmpx_eq_u16_e64 v37, v38
	s_cbranch_execz .LBB357_308
; %bb.302:
	s_mov_b64 s[2:3], 1
	s_mov_b32 s26, 0
                                        ; implicit-def: $sgpr27
	s_set_inst_prefetch_distance 0x1
	s_branch .LBB357_305
	.p2align	6
.LBB357_303:                            ;   in Loop: Header=BB357_305 Depth=1
	v_add_co_u32 v37, vcc_lo, v33, s2
	v_add_co_ci_u32_e32 v38, vcc_lo, s3, v34, vcc_lo
	v_add_co_u32 v39, vcc_lo, v35, s2
	v_add_co_ci_u32_e32 v40, vcc_lo, s3, v36, vcc_lo
	s_add_u32 s4, s2, 1
	s_clause 0x1
	global_load_u8 v37, v[37:38], off
	global_load_u8 v38, v[39:40], off
	s_addc_u32 s5, s3, 0
	s_and_not1_b32 s27, s27, exec_lo
	s_waitcnt vmcnt(0)
	v_cmp_ne_u16_e32 vcc_lo, v37, v38
	s_and_b32 s29, vcc_lo, exec_lo
	s_delay_alu instid0(SALU_CYCLE_1)
	s_or_b32 s27, s27, s29
.LBB357_304:                            ;   in Loop: Header=BB357_305 Depth=1
	v_dual_mov_b32 v38, s3 :: v_dual_mov_b32 v37, s2
	s_and_b32 s29, exec_lo, s27
	s_mov_b64 s[2:3], s[4:5]
	s_or_b32 s26, s29, s26
	s_delay_alu instid0(SALU_CYCLE_1)
	s_and_not1_b32 exec_lo, exec_lo, s26
	s_cbranch_execz .LBB357_307
.LBB357_305:                            ; =>This Inner Loop Header: Depth=1
	s_or_b32 s27, s27, exec_lo
	s_cmp_eq_u64 s[22:23], s[2:3]
	s_cbranch_scc0 .LBB357_303
; %bb.306:                              ;   in Loop: Header=BB357_305 Depth=1
	s_mov_b64 s[2:3], s[22:23]
                                        ; implicit-def: $sgpr4_sgpr5
	s_branch .LBB357_304
.LBB357_307:
	s_set_inst_prefetch_distance 0x2
	s_or_b32 exec_lo, exec_lo, s26
	v_cmp_gt_i64_e32 vcc_lo, s[22:23], v[37:38]
	s_or_not1_b32 s2, vcc_lo, exec_lo
.LBB357_308:
	s_or_b32 exec_lo, exec_lo, s19
.LBB357_309:
	s_delay_alu instid0(SALU_CYCLE_1)
	s_and_b32 s19, s2, exec_lo
.LBB357_310:
	s_or_b32 exec_lo, exec_lo, s25
	v_or_b32_e32 v33, 5, v55
	s_mov_b32 s25, 0
	s_mov_b32 s26, 0
	s_mov_b32 s27, exec_lo
	s_delay_alu instid0(VALU_DEP_1)
	v_cmpx_gt_u32_e64 s28, v33
	s_cbranch_execz .LBB357_321
; %bb.311:
	s_and_not1_b32 vcc_lo, exec_lo, s7
	s_mov_b32 s2, 0
	s_cbranch_vccnz .LBB357_320
; %bb.312:
	v_mad_u64_u32 v[33:34], null, v21, s22, s[8:9]
	s_waitcnt lgkmcnt(0)
	v_mul_lo_u32 v37, v21, s23
	v_mul_lo_u32 v38, v22, s22
	v_mad_u64_u32 v[35:36], null, v23, s22, s[8:9]
	v_mul_lo_u32 v39, v23, s23
	v_mul_lo_u32 v40, v24, s22
	s_mov_b32 s2, -1
	s_mov_b32 s26, exec_lo
	s_delay_alu instid0(VALU_DEP_4) | instskip(NEXT) | instid1(VALU_DEP_2)
	v_add3_u32 v34, v38, v34, v37
	v_add3_u32 v36, v40, v36, v39
	s_clause 0x1
	global_load_u8 v37, v[33:34], off
	global_load_u8 v38, v[35:36], off
	s_waitcnt vmcnt(0)
	v_cmpx_eq_u16_e64 v37, v38
	s_cbranch_execz .LBB357_319
; %bb.313:
	s_mov_b64 s[2:3], 1
	s_mov_b32 s29, 0
                                        ; implicit-def: $sgpr30
	s_set_inst_prefetch_distance 0x1
	s_branch .LBB357_316
	.p2align	6
.LBB357_314:                            ;   in Loop: Header=BB357_316 Depth=1
	v_add_co_u32 v37, vcc_lo, v33, s2
	v_add_co_ci_u32_e32 v38, vcc_lo, s3, v34, vcc_lo
	v_add_co_u32 v39, vcc_lo, v35, s2
	v_add_co_ci_u32_e32 v40, vcc_lo, s3, v36, vcc_lo
	s_add_u32 s4, s2, 1
	s_clause 0x1
	global_load_u8 v37, v[37:38], off
	global_load_u8 v38, v[39:40], off
	s_addc_u32 s5, s3, 0
	s_and_not1_b32 s30, s30, exec_lo
	s_waitcnt vmcnt(0)
	v_cmp_ne_u16_e32 vcc_lo, v37, v38
	s_and_b32 s31, vcc_lo, exec_lo
	s_delay_alu instid0(SALU_CYCLE_1)
	s_or_b32 s30, s30, s31
.LBB357_315:                            ;   in Loop: Header=BB357_316 Depth=1
	v_dual_mov_b32 v38, s3 :: v_dual_mov_b32 v37, s2
	s_and_b32 s31, exec_lo, s30
	s_mov_b64 s[2:3], s[4:5]
	s_or_b32 s29, s31, s29
	s_delay_alu instid0(SALU_CYCLE_1)
	s_and_not1_b32 exec_lo, exec_lo, s29
	s_cbranch_execz .LBB357_318
.LBB357_316:                            ; =>This Inner Loop Header: Depth=1
	s_or_b32 s30, s30, exec_lo
	s_cmp_eq_u64 s[22:23], s[2:3]
	s_cbranch_scc0 .LBB357_314
; %bb.317:                              ;   in Loop: Header=BB357_316 Depth=1
	s_mov_b64 s[2:3], s[22:23]
                                        ; implicit-def: $sgpr4_sgpr5
	s_branch .LBB357_315
.LBB357_318:
	s_set_inst_prefetch_distance 0x2
	s_or_b32 exec_lo, exec_lo, s29
	v_cmp_gt_i64_e32 vcc_lo, s[22:23], v[37:38]
	s_or_not1_b32 s2, vcc_lo, exec_lo
.LBB357_319:
	s_or_b32 exec_lo, exec_lo, s26
.LBB357_320:
	s_delay_alu instid0(SALU_CYCLE_1)
	s_and_b32 s26, s2, exec_lo
.LBB357_321:
	s_or_b32 exec_lo, exec_lo, s27
	v_or_b32_e32 v33, 4, v55
	s_mov_b32 s27, exec_lo
	s_delay_alu instid0(VALU_DEP_1)
	v_cmpx_gt_u32_e64 s28, v33
	s_cbranch_execz .LBB357_332
; %bb.322:
	s_and_not1_b32 vcc_lo, exec_lo, s7
	s_mov_b32 s2, 0
	s_cbranch_vccnz .LBB357_331
; %bb.323:
	v_mad_u64_u32 v[33:34], null, v27, s22, s[8:9]
	s_waitcnt lgkmcnt(0)
	v_mul_lo_u32 v37, v27, s23
	v_mul_lo_u32 v38, v28, s22
	v_mad_u64_u32 v[35:36], null, v21, s22, s[8:9]
	v_mul_lo_u32 v39, v21, s23
	v_mul_lo_u32 v40, v22, s22
	s_mov_b32 s2, -1
	s_mov_b32 s25, exec_lo
	s_delay_alu instid0(VALU_DEP_4) | instskip(NEXT) | instid1(VALU_DEP_2)
	v_add3_u32 v34, v38, v34, v37
	v_add3_u32 v36, v40, v36, v39
	s_clause 0x1
	global_load_u8 v37, v[33:34], off
	global_load_u8 v38, v[35:36], off
	s_waitcnt vmcnt(0)
	v_cmpx_eq_u16_e64 v37, v38
	s_cbranch_execz .LBB357_330
; %bb.324:
	s_mov_b64 s[2:3], 1
	s_mov_b32 s29, 0
                                        ; implicit-def: $sgpr30
	s_set_inst_prefetch_distance 0x1
	s_branch .LBB357_327
	.p2align	6
.LBB357_325:                            ;   in Loop: Header=BB357_327 Depth=1
	v_add_co_u32 v37, vcc_lo, v33, s2
	v_add_co_ci_u32_e32 v38, vcc_lo, s3, v34, vcc_lo
	v_add_co_u32 v39, vcc_lo, v35, s2
	v_add_co_ci_u32_e32 v40, vcc_lo, s3, v36, vcc_lo
	s_add_u32 s4, s2, 1
	s_clause 0x1
	global_load_u8 v37, v[37:38], off
	global_load_u8 v38, v[39:40], off
	s_addc_u32 s5, s3, 0
	s_and_not1_b32 s30, s30, exec_lo
	s_waitcnt vmcnt(0)
	v_cmp_ne_u16_e32 vcc_lo, v37, v38
	s_and_b32 s31, vcc_lo, exec_lo
	s_delay_alu instid0(SALU_CYCLE_1)
	s_or_b32 s30, s30, s31
.LBB357_326:                            ;   in Loop: Header=BB357_327 Depth=1
	v_dual_mov_b32 v38, s3 :: v_dual_mov_b32 v37, s2
	s_and_b32 s31, exec_lo, s30
	s_mov_b64 s[2:3], s[4:5]
	s_or_b32 s29, s31, s29
	s_delay_alu instid0(SALU_CYCLE_1)
	s_and_not1_b32 exec_lo, exec_lo, s29
	s_cbranch_execz .LBB357_329
.LBB357_327:                            ; =>This Inner Loop Header: Depth=1
	s_or_b32 s30, s30, exec_lo
	s_cmp_eq_u64 s[22:23], s[2:3]
	s_cbranch_scc0 .LBB357_325
; %bb.328:                              ;   in Loop: Header=BB357_327 Depth=1
	s_mov_b64 s[2:3], s[22:23]
                                        ; implicit-def: $sgpr4_sgpr5
	s_branch .LBB357_326
.LBB357_329:
	s_set_inst_prefetch_distance 0x2
	s_or_b32 exec_lo, exec_lo, s29
	v_cmp_gt_i64_e32 vcc_lo, s[22:23], v[37:38]
	s_or_not1_b32 s2, vcc_lo, exec_lo
.LBB357_330:
	s_or_b32 exec_lo, exec_lo, s25
.LBB357_331:
	s_delay_alu instid0(SALU_CYCLE_1)
	s_and_b32 s25, s2, exec_lo
.LBB357_332:
	s_or_b32 exec_lo, exec_lo, s27
	v_or_b32_e32 v33, 3, v55
	s_mov_b32 s29, 0
	s_mov_b32 s27, 0
	s_mov_b32 s30, exec_lo
	s_delay_alu instid0(VALU_DEP_1)
	v_cmpx_gt_u32_e64 s28, v33
	s_cbranch_execz .LBB357_343
; %bb.333:
	s_and_not1_b32 vcc_lo, exec_lo, s7
	s_mov_b32 s2, 0
	s_cbranch_vccnz .LBB357_342
; %bb.334:
	v_mad_u64_u32 v[33:34], null, v25, s22, s[8:9]
	s_waitcnt lgkmcnt(0)
	v_mul_lo_u32 v37, v25, s23
	v_mul_lo_u32 v38, v26, s22
	v_mad_u64_u32 v[35:36], null, v27, s22, s[8:9]
	v_mul_lo_u32 v39, v27, s23
	v_mul_lo_u32 v40, v28, s22
	s_mov_b32 s2, -1
	s_mov_b32 s27, exec_lo
	s_delay_alu instid0(VALU_DEP_4) | instskip(NEXT) | instid1(VALU_DEP_2)
	v_add3_u32 v34, v38, v34, v37
	v_add3_u32 v36, v40, v36, v39
	s_clause 0x1
	global_load_u8 v37, v[33:34], off
	global_load_u8 v38, v[35:36], off
	s_waitcnt vmcnt(0)
	v_cmpx_eq_u16_e64 v37, v38
	s_cbranch_execz .LBB357_341
; %bb.335:
	s_mov_b64 s[2:3], 1
	s_mov_b32 s31, 0
                                        ; implicit-def: $sgpr33
	s_set_inst_prefetch_distance 0x1
	s_branch .LBB357_338
	.p2align	6
.LBB357_336:                            ;   in Loop: Header=BB357_338 Depth=1
	v_add_co_u32 v37, vcc_lo, v33, s2
	v_add_co_ci_u32_e32 v38, vcc_lo, s3, v34, vcc_lo
	v_add_co_u32 v39, vcc_lo, v35, s2
	v_add_co_ci_u32_e32 v40, vcc_lo, s3, v36, vcc_lo
	s_add_u32 s4, s2, 1
	s_clause 0x1
	global_load_u8 v37, v[37:38], off
	global_load_u8 v38, v[39:40], off
	s_addc_u32 s5, s3, 0
	s_and_not1_b32 s33, s33, exec_lo
	s_waitcnt vmcnt(0)
	v_cmp_ne_u16_e32 vcc_lo, v37, v38
	s_and_b32 s34, vcc_lo, exec_lo
	s_delay_alu instid0(SALU_CYCLE_1)
	s_or_b32 s33, s33, s34
.LBB357_337:                            ;   in Loop: Header=BB357_338 Depth=1
	v_dual_mov_b32 v38, s3 :: v_dual_mov_b32 v37, s2
	s_and_b32 s34, exec_lo, s33
	s_mov_b64 s[2:3], s[4:5]
	s_or_b32 s31, s34, s31
	s_delay_alu instid0(SALU_CYCLE_1)
	s_and_not1_b32 exec_lo, exec_lo, s31
	s_cbranch_execz .LBB357_340
.LBB357_338:                            ; =>This Inner Loop Header: Depth=1
	s_or_b32 s33, s33, exec_lo
	s_cmp_eq_u64 s[22:23], s[2:3]
	s_cbranch_scc0 .LBB357_336
; %bb.339:                              ;   in Loop: Header=BB357_338 Depth=1
	s_mov_b64 s[2:3], s[22:23]
                                        ; implicit-def: $sgpr4_sgpr5
	s_branch .LBB357_337
.LBB357_340:
	s_set_inst_prefetch_distance 0x2
	s_or_b32 exec_lo, exec_lo, s31
	v_cmp_gt_i64_e32 vcc_lo, s[22:23], v[37:38]
	s_or_not1_b32 s2, vcc_lo, exec_lo
.LBB357_341:
	s_or_b32 exec_lo, exec_lo, s27
.LBB357_342:
	s_delay_alu instid0(SALU_CYCLE_1)
	s_and_b32 s27, s2, exec_lo
.LBB357_343:
	s_or_b32 exec_lo, exec_lo, s30
	v_or_b32_e32 v33, 2, v55
	s_mov_b32 s30, exec_lo
	s_delay_alu instid0(VALU_DEP_1)
	v_cmpx_gt_u32_e64 s28, v33
	s_cbranch_execz .LBB357_354
; %bb.344:
	s_and_not1_b32 vcc_lo, exec_lo, s7
	s_mov_b32 s2, 0
	s_cbranch_vccnz .LBB357_353
; %bb.345:
	v_mad_u64_u32 v[33:34], null, v31, s22, s[8:9]
	s_waitcnt lgkmcnt(0)
	v_mul_lo_u32 v37, v31, s23
	v_mul_lo_u32 v38, v32, s22
	v_mad_u64_u32 v[35:36], null, v25, s22, s[8:9]
	v_mul_lo_u32 v39, v25, s23
	v_mul_lo_u32 v40, v26, s22
	s_mov_b32 s2, -1
	s_mov_b32 s29, exec_lo
	s_delay_alu instid0(VALU_DEP_4) | instskip(NEXT) | instid1(VALU_DEP_2)
	v_add3_u32 v34, v38, v34, v37
	v_add3_u32 v36, v40, v36, v39
	s_clause 0x1
	global_load_u8 v37, v[33:34], off
	global_load_u8 v38, v[35:36], off
	s_waitcnt vmcnt(0)
	v_cmpx_eq_u16_e64 v37, v38
	s_cbranch_execz .LBB357_352
; %bb.346:
	s_mov_b64 s[2:3], 1
	s_mov_b32 s31, 0
                                        ; implicit-def: $sgpr33
	s_set_inst_prefetch_distance 0x1
	s_branch .LBB357_349
	.p2align	6
.LBB357_347:                            ;   in Loop: Header=BB357_349 Depth=1
	v_add_co_u32 v37, vcc_lo, v33, s2
	v_add_co_ci_u32_e32 v38, vcc_lo, s3, v34, vcc_lo
	v_add_co_u32 v39, vcc_lo, v35, s2
	v_add_co_ci_u32_e32 v40, vcc_lo, s3, v36, vcc_lo
	s_add_u32 s4, s2, 1
	s_clause 0x1
	global_load_u8 v37, v[37:38], off
	global_load_u8 v38, v[39:40], off
	s_addc_u32 s5, s3, 0
	s_and_not1_b32 s33, s33, exec_lo
	s_waitcnt vmcnt(0)
	v_cmp_ne_u16_e32 vcc_lo, v37, v38
	s_and_b32 s34, vcc_lo, exec_lo
	s_delay_alu instid0(SALU_CYCLE_1)
	s_or_b32 s33, s33, s34
.LBB357_348:                            ;   in Loop: Header=BB357_349 Depth=1
	v_dual_mov_b32 v38, s3 :: v_dual_mov_b32 v37, s2
	s_and_b32 s34, exec_lo, s33
	s_mov_b64 s[2:3], s[4:5]
	s_or_b32 s31, s34, s31
	s_delay_alu instid0(SALU_CYCLE_1)
	s_and_not1_b32 exec_lo, exec_lo, s31
	s_cbranch_execz .LBB357_351
.LBB357_349:                            ; =>This Inner Loop Header: Depth=1
	s_or_b32 s33, s33, exec_lo
	s_cmp_eq_u64 s[22:23], s[2:3]
	s_cbranch_scc0 .LBB357_347
; %bb.350:                              ;   in Loop: Header=BB357_349 Depth=1
	s_mov_b64 s[2:3], s[22:23]
                                        ; implicit-def: $sgpr4_sgpr5
	s_branch .LBB357_348
.LBB357_351:
	s_set_inst_prefetch_distance 0x2
	s_or_b32 exec_lo, exec_lo, s31
	v_cmp_gt_i64_e32 vcc_lo, s[22:23], v[37:38]
	s_or_not1_b32 s2, vcc_lo, exec_lo
.LBB357_352:
	s_or_b32 exec_lo, exec_lo, s29
.LBB357_353:
	s_delay_alu instid0(SALU_CYCLE_1)
	s_and_b32 s29, s2, exec_lo
.LBB357_354:
	s_or_b32 exec_lo, exec_lo, s30
	v_or_b32_e32 v33, 1, v55
	s_mov_b32 s2, 0
	s_mov_b32 s30, exec_lo
	s_delay_alu instid0(VALU_DEP_1)
	v_cmpx_gt_u32_e64 s28, v33
	s_cbranch_execz .LBB357_365
; %bb.355:
	s_and_not1_b32 vcc_lo, exec_lo, s7
	s_cbranch_vccnz .LBB357_364
; %bb.356:
	v_mad_u64_u32 v[33:34], null, v29, s22, s[8:9]
	s_waitcnt lgkmcnt(0)
	v_mul_lo_u32 v37, v29, s23
	v_mul_lo_u32 v38, v30, s22
	v_mad_u64_u32 v[35:36], null, v31, s22, s[8:9]
	v_mul_lo_u32 v39, v31, s23
	v_mul_lo_u32 v40, v32, s22
	s_mov_b32 s2, -1
	s_mov_b32 s31, exec_lo
	s_delay_alu instid0(VALU_DEP_4) | instskip(NEXT) | instid1(VALU_DEP_2)
	v_add3_u32 v34, v38, v34, v37
	v_add3_u32 v36, v40, v36, v39
	s_clause 0x1
	global_load_u8 v37, v[33:34], off
	global_load_u8 v38, v[35:36], off
	s_waitcnt vmcnt(0)
	v_cmpx_eq_u16_e64 v37, v38
	s_cbranch_execz .LBB357_363
; %bb.357:
	s_mov_b64 s[2:3], 1
	s_mov_b32 s33, 0
                                        ; implicit-def: $sgpr34
	s_set_inst_prefetch_distance 0x1
	s_branch .LBB357_360
	.p2align	6
.LBB357_358:                            ;   in Loop: Header=BB357_360 Depth=1
	v_add_co_u32 v37, vcc_lo, v33, s2
	v_add_co_ci_u32_e32 v38, vcc_lo, s3, v34, vcc_lo
	v_add_co_u32 v39, vcc_lo, v35, s2
	v_add_co_ci_u32_e32 v40, vcc_lo, s3, v36, vcc_lo
	s_add_u32 s4, s2, 1
	s_clause 0x1
	global_load_u8 v37, v[37:38], off
	global_load_u8 v38, v[39:40], off
	s_addc_u32 s5, s3, 0
	s_and_not1_b32 s34, s34, exec_lo
	s_waitcnt vmcnt(0)
	v_cmp_ne_u16_e32 vcc_lo, v37, v38
	s_and_b32 s35, vcc_lo, exec_lo
	s_delay_alu instid0(SALU_CYCLE_1)
	s_or_b32 s34, s34, s35
.LBB357_359:                            ;   in Loop: Header=BB357_360 Depth=1
	v_dual_mov_b32 v38, s3 :: v_dual_mov_b32 v37, s2
	s_and_b32 s35, exec_lo, s34
	s_mov_b64 s[2:3], s[4:5]
	s_or_b32 s33, s35, s33
	s_delay_alu instid0(SALU_CYCLE_1)
	s_and_not1_b32 exec_lo, exec_lo, s33
	s_cbranch_execz .LBB357_362
.LBB357_360:                            ; =>This Inner Loop Header: Depth=1
	s_or_b32 s34, s34, exec_lo
	s_cmp_eq_u64 s[22:23], s[2:3]
	s_cbranch_scc0 .LBB357_358
; %bb.361:                              ;   in Loop: Header=BB357_360 Depth=1
	s_mov_b64 s[2:3], s[22:23]
                                        ; implicit-def: $sgpr4_sgpr5
	s_branch .LBB357_359
.LBB357_362:
	s_set_inst_prefetch_distance 0x2
	s_or_b32 exec_lo, exec_lo, s33
	v_cmp_gt_i64_e32 vcc_lo, s[22:23], v[37:38]
	s_or_not1_b32 s2, vcc_lo, exec_lo
.LBB357_363:
	s_or_b32 exec_lo, exec_lo, s31
.LBB357_364:
	s_delay_alu instid0(SALU_CYCLE_1)
	s_and_b32 s2, s2, exec_lo
.LBB357_365:
	s_or_b32 exec_lo, exec_lo, s30
	v_cndmask_b32_e64 v34, 0, 1, s27
	s_waitcnt lgkmcnt(0)
	v_cndmask_b32_e64 v35, 0, 1, s26
	v_cndmask_b32_e64 v36, 0, 1, s24
	;; [unrolled: 1-line block ×6, first 2 shown]
	v_lshlrev_b16 v35, 8, v35
	v_lshlrev_b16 v36, 8, v36
	;; [unrolled: 1-line block ×4, first 2 shown]
	s_mov_b32 s19, exec_lo
	v_or_b32_e32 v35, v38, v35
	v_or_b32_e32 v36, v39, v36
	;; [unrolled: 1-line block ×4, first 2 shown]
	s_delay_alu instid0(VALU_DEP_4) | instskip(NEXT) | instid1(VALU_DEP_4)
	v_and_b32_e32 v34, 0xffff, v35
	v_lshlrev_b32_e32 v35, 16, v36
	s_delay_alu instid0(VALU_DEP_4) | instskip(NEXT) | instid1(VALU_DEP_4)
	v_and_b32_e32 v36, 0xffff, v37
	v_lshlrev_b32_e32 v33, 16, v33
	s_barrier
	buffer_gl0_inv
	v_or_b32_e32 v34, v34, v35
                                        ; implicit-def: $sgpr2
	v_or_b32_e32 v33, v36, v33
	v_cmpx_ne_u32_e32 0, v0
	s_cbranch_execz .LBB357_378
; %bb.366:
	s_mov_b32 s2, 0
	s_mov_b32 s24, exec_lo
	v_cmpx_gt_u32_e64 s28, v55
	s_cbranch_execz .LBB357_377
; %bb.367:
	s_and_not1_b32 vcc_lo, exec_lo, s7
	s_cbranch_vccnz .LBB357_376
; %bb.368:
	v_add_nc_u32_e32 v35, -8, v55
	v_mul_lo_u32 v41, v29, s23
	s_mov_b32 s2, -1
	s_mov_b32 s7, exec_lo
	ds_load_b64 v[39:40], v35
	v_mad_u64_u32 v[35:36], null, v29, s22, s[8:9]
	s_waitcnt lgkmcnt(0)
	v_mul_lo_u32 v42, v39, s23
	v_mul_lo_u32 v40, v40, s22
	v_mad_u64_u32 v[37:38], null, v39, s22, s[8:9]
	v_mul_lo_u32 v39, v30, s22
	s_delay_alu instid0(VALU_DEP_2) | instskip(NEXT) | instid1(VALU_DEP_2)
	v_add3_u32 v38, v40, v38, v42
	v_add3_u32 v36, v39, v36, v41
	s_clause 0x1
	global_load_u8 v39, v[37:38], off
	global_load_u8 v40, v[35:36], off
	s_waitcnt vmcnt(0)
	v_cmpx_eq_u16_e64 v39, v40
	s_cbranch_execz .LBB357_375
; %bb.369:
	s_mov_b64 s[2:3], 1
	s_mov_b32 s8, 0
                                        ; implicit-def: $sgpr9
	s_set_inst_prefetch_distance 0x1
	s_branch .LBB357_372
	.p2align	6
.LBB357_370:                            ;   in Loop: Header=BB357_372 Depth=1
	v_add_co_u32 v39, vcc_lo, v37, s2
	v_add_co_ci_u32_e32 v40, vcc_lo, s3, v38, vcc_lo
	v_add_co_u32 v41, vcc_lo, v35, s2
	v_add_co_ci_u32_e32 v42, vcc_lo, s3, v36, vcc_lo
	s_add_u32 s4, s2, 1
	s_clause 0x1
	global_load_u8 v39, v[39:40], off
	global_load_u8 v40, v[41:42], off
	s_addc_u32 s5, s3, 0
	s_and_not1_b32 s9, s9, exec_lo
	s_waitcnt vmcnt(0)
	v_cmp_ne_u16_e32 vcc_lo, v39, v40
	s_and_b32 s25, vcc_lo, exec_lo
	s_delay_alu instid0(SALU_CYCLE_1)
	s_or_b32 s9, s9, s25
.LBB357_371:                            ;   in Loop: Header=BB357_372 Depth=1
	v_dual_mov_b32 v40, s3 :: v_dual_mov_b32 v39, s2
	s_and_b32 s25, exec_lo, s9
	s_mov_b64 s[2:3], s[4:5]
	s_or_b32 s8, s25, s8
	s_delay_alu instid0(SALU_CYCLE_1)
	s_and_not1_b32 exec_lo, exec_lo, s8
	s_cbranch_execz .LBB357_374
.LBB357_372:                            ; =>This Inner Loop Header: Depth=1
	s_or_b32 s9, s9, exec_lo
	s_cmp_eq_u64 s[22:23], s[2:3]
	s_cbranch_scc0 .LBB357_370
; %bb.373:                              ;   in Loop: Header=BB357_372 Depth=1
	s_mov_b64 s[2:3], s[22:23]
                                        ; implicit-def: $sgpr4_sgpr5
	s_branch .LBB357_371
.LBB357_374:
	s_set_inst_prefetch_distance 0x2
	s_or_b32 exec_lo, exec_lo, s8
	v_cmp_gt_i64_e32 vcc_lo, s[22:23], v[39:40]
	s_or_not1_b32 s2, vcc_lo, exec_lo
.LBB357_375:
	s_or_b32 exec_lo, exec_lo, s7
.LBB357_376:
	s_delay_alu instid0(SALU_CYCLE_1)
	s_and_b32 s2, s2, exec_lo
.LBB357_377:
	s_or_b32 exec_lo, exec_lo, s24
	s_delay_alu instid0(SALU_CYCLE_1)
	s_and_b32 s2, s2, exec_lo
	s_or_b32 s6, s6, exec_lo
.LBB357_378:
	s_or_b32 exec_lo, exec_lo, s19
.LBB357_379:
	s_and_saveexec_b32 s3, s6
	s_cbranch_execz .LBB357_381
; %bb.380:
	s_waitcnt lgkmcnt(0)
	v_and_b32_e32 v35, 0xffffff00, v33
	v_cndmask_b32_e64 v36, 0, 1, s2
	s_delay_alu instid0(VALU_DEP_1) | instskip(NEXT) | instid1(VALU_DEP_1)
	v_or_b32_e32 v35, v36, v35
	v_and_b32_e32 v35, 0xffff, v35
	s_delay_alu instid0(VALU_DEP_1)
	v_and_or_b32 v33, 0xffff0000, v33, v35
.LBB357_381:
	s_or_b32 exec_lo, exec_lo, s3
	s_delay_alu instid0(SALU_CYCLE_1)
	s_and_not1_b32 vcc_lo, exec_lo, s21
	s_cbranch_vccnz .LBB357_383
; %bb.382:
	v_cmp_gt_u32_e32 vcc_lo, s28, v55
	s_waitcnt lgkmcnt(0)
	v_or_b32_e32 v36, 1, v55
	v_and_b32_e32 v37, 0xffffff00, v34
	v_or_b32_e32 v38, 2, v55
	v_cndmask_b32_e32 v35, 0, v33, vcc_lo
	s_delay_alu instid0(VALU_DEP_4) | instskip(SKIP_1) | instid1(VALU_DEP_4)
	v_cmp_gt_u32_e32 vcc_lo, s28, v36
	v_or_b32_e32 v36, 4, v55
	v_cmp_gt_u32_e64 s2, s28, v38
	v_or_b32_e32 v38, 3, v55
	v_and_b32_e32 v35, 0xff, v35
	s_delay_alu instid0(VALU_DEP_2) | instskip(NEXT) | instid1(VALU_DEP_2)
	v_cmp_gt_u32_e64 s3, s28, v38
	v_cndmask_b32_e32 v35, v35, v33, vcc_lo
	v_cmp_gt_u32_e32 vcc_lo, s28, v36
	v_cndmask_b32_e32 v36, v37, v34, vcc_lo
	v_or_b32_e32 v37, 5, v55
	s_delay_alu instid0(VALU_DEP_2) | instskip(SKIP_1) | instid1(VALU_DEP_1)
	v_and_b32_e32 v36, 0xffff00ff, v36
	v_and_b32_e32 v35, 0xffff, v35
	v_cndmask_b32_e64 v35, v35, v33, s2
	s_delay_alu instid0(VALU_DEP_4) | instskip(SKIP_1) | instid1(VALU_DEP_3)
	v_cmp_gt_u32_e64 s2, s28, v37
	v_or_b32_e32 v37, 6, v55
	v_and_b32_e32 v35, 0xffffff, v35
	s_delay_alu instid0(VALU_DEP_3) | instskip(NEXT) | instid1(VALU_DEP_2)
	v_cndmask_b32_e64 v36, v36, v34, s2
	v_cndmask_b32_e64 v35, v35, v33, s3
	s_delay_alu instid0(VALU_DEP_1) | instskip(SKIP_2) | instid1(VALU_DEP_3)
	v_dual_cndmask_b32 v35, v35, v33 :: v_dual_and_b32 v36, 0xff00ffff, v36
	v_cmp_gt_u32_e32 vcc_lo, s28, v37
	v_or_b32_e32 v37, 7, v55
	v_cndmask_b32_e64 v35, v35, v33, s2
	s_delay_alu instid0(VALU_DEP_1) | instskip(NEXT) | instid1(VALU_DEP_1)
	v_dual_cndmask_b32 v36, v36, v34 :: v_dual_cndmask_b32 v35, v35, v33
	v_and_b32_e32 v36, 0xffffff, v36
	s_delay_alu instid0(VALU_DEP_4) | instskip(NEXT) | instid1(VALU_DEP_2)
	v_cmp_gt_u32_e32 vcc_lo, s28, v37
	v_dual_cndmask_b32 v34, v36, v34 :: v_dual_cndmask_b32 v33, v35, v33
.LBB357_383:
	s_delay_alu instid0(VALU_DEP_1) | instskip(SKIP_1) | instid1(VALU_DEP_2)
	v_and_b32_e32 v42, 0xff, v33
	s_waitcnt lgkmcnt(0)
	v_alignbit_b32 v35, v34, v33, 24
	v_bfe_u32 v44, v33, 8, 8
	v_bfe_u32 v46, v33, 16, 8
	v_and_b32_e32 v50, 0xff, v34
	v_bfe_u32 v52, v34, 8, 8
	v_and_b32_e32 v48, 0xff, v35
	v_add_nc_u32_e32 v35, v44, v42
	v_mbcnt_lo_u32_b32 v57, -1, 0
	v_bfe_u32 v54, v34, 16, 8
	v_lshrrev_b32_e32 v56, 24, v34
	v_lshrrev_b32_e32 v58, 5, v0
	v_add3_u32 v35, v35, v46, v48
	v_and_b32_e32 v36, 15, v57
	v_and_b32_e32 v37, 16, v57
	s_and_b32 vcc_lo, exec_lo, s18
	s_mov_b32 s9, -1
	v_add3_u32 v35, v35, v50, v52
	v_cmp_eq_u32_e64 s4, 0, v36
	v_cmp_lt_u32_e64 s2, 1, v36
	v_cmp_lt_u32_e64 s5, 3, v36
	;; [unrolled: 1-line block ×3, first 2 shown]
	v_add3_u32 v59, v35, v54, v56
	v_or_b32_e32 v35, 31, v0
	v_cmp_eq_u32_e64 s7, 0, v37
	s_barrier
	buffer_gl0_inv
	v_cmp_eq_u32_e64 s6, v35, v0
	s_cbranch_vccz .LBB357_409
; %bb.384:
	v_mov_b32_dpp v35, v59 row_shr:1 row_mask:0xf bank_mask:0xf
	s_delay_alu instid0(VALU_DEP_1) | instskip(NEXT) | instid1(VALU_DEP_1)
	v_cndmask_b32_e64 v35, v35, 0, s4
	v_add_nc_u32_e32 v35, v35, v59
	s_delay_alu instid0(VALU_DEP_1) | instskip(NEXT) | instid1(VALU_DEP_1)
	v_mov_b32_dpp v36, v35 row_shr:2 row_mask:0xf bank_mask:0xf
	v_cndmask_b32_e64 v36, 0, v36, s2
	s_delay_alu instid0(VALU_DEP_1) | instskip(NEXT) | instid1(VALU_DEP_1)
	v_add_nc_u32_e32 v35, v35, v36
	v_mov_b32_dpp v36, v35 row_shr:4 row_mask:0xf bank_mask:0xf
	s_delay_alu instid0(VALU_DEP_1) | instskip(NEXT) | instid1(VALU_DEP_1)
	v_cndmask_b32_e64 v36, 0, v36, s5
	v_add_nc_u32_e32 v35, v35, v36
	s_delay_alu instid0(VALU_DEP_1) | instskip(NEXT) | instid1(VALU_DEP_1)
	v_mov_b32_dpp v36, v35 row_shr:8 row_mask:0xf bank_mask:0xf
	v_cndmask_b32_e64 v36, 0, v36, s3
	s_delay_alu instid0(VALU_DEP_1) | instskip(SKIP_3) | instid1(VALU_DEP_1)
	v_add_nc_u32_e32 v35, v35, v36
	ds_swizzle_b32 v36, v35 offset:swizzle(BROADCAST,32,15)
	s_waitcnt lgkmcnt(0)
	v_cndmask_b32_e64 v36, v36, 0, s7
	v_add_nc_u32_e32 v35, v35, v36
	s_and_saveexec_b32 s8, s6
	s_cbranch_execz .LBB357_386
; %bb.385:
	v_lshlrev_b32_e32 v36, 2, v58
	ds_store_b32 v36, v35
.LBB357_386:
	s_or_b32 exec_lo, exec_lo, s8
	s_delay_alu instid0(SALU_CYCLE_1)
	s_mov_b32 s8, exec_lo
	s_waitcnt lgkmcnt(0)
	s_barrier
	buffer_gl0_inv
	v_cmpx_gt_u32_e32 16, v0
	s_cbranch_execz .LBB357_388
; %bb.387:
	v_lshlrev_b32_e32 v36, 2, v0
	ds_load_b32 v37, v36
	s_waitcnt lgkmcnt(0)
	v_mov_b32_dpp v38, v37 row_shr:1 row_mask:0xf bank_mask:0xf
	s_delay_alu instid0(VALU_DEP_1) | instskip(NEXT) | instid1(VALU_DEP_1)
	v_cndmask_b32_e64 v38, v38, 0, s4
	v_add_nc_u32_e32 v37, v38, v37
	s_delay_alu instid0(VALU_DEP_1) | instskip(NEXT) | instid1(VALU_DEP_1)
	v_mov_b32_dpp v38, v37 row_shr:2 row_mask:0xf bank_mask:0xf
	v_cndmask_b32_e64 v38, 0, v38, s2
	s_delay_alu instid0(VALU_DEP_1) | instskip(NEXT) | instid1(VALU_DEP_1)
	v_add_nc_u32_e32 v37, v37, v38
	v_mov_b32_dpp v38, v37 row_shr:4 row_mask:0xf bank_mask:0xf
	s_delay_alu instid0(VALU_DEP_1) | instskip(NEXT) | instid1(VALU_DEP_1)
	v_cndmask_b32_e64 v38, 0, v38, s5
	v_add_nc_u32_e32 v37, v37, v38
	s_delay_alu instid0(VALU_DEP_1) | instskip(NEXT) | instid1(VALU_DEP_1)
	v_mov_b32_dpp v38, v37 row_shr:8 row_mask:0xf bank_mask:0xf
	v_cndmask_b32_e64 v38, 0, v38, s3
	s_delay_alu instid0(VALU_DEP_1)
	v_add_nc_u32_e32 v37, v37, v38
	ds_store_b32 v36, v37
.LBB357_388:
	s_or_b32 exec_lo, exec_lo, s8
	v_cmp_gt_u32_e32 vcc_lo, 32, v0
	s_mov_b32 s9, exec_lo
	s_waitcnt lgkmcnt(0)
	s_barrier
	buffer_gl0_inv
                                        ; implicit-def: $vgpr43
	v_cmpx_lt_u32_e32 31, v0
	s_cbranch_execz .LBB357_390
; %bb.389:
	v_lshl_add_u32 v36, v58, 2, -4
	ds_load_b32 v43, v36
	s_waitcnt lgkmcnt(0)
	v_add_nc_u32_e32 v35, v43, v35
.LBB357_390:
	s_or_b32 exec_lo, exec_lo, s9
	v_add_nc_u32_e32 v36, -1, v57
	s_delay_alu instid0(VALU_DEP_1) | instskip(NEXT) | instid1(VALU_DEP_1)
	v_cmp_gt_i32_e64 s8, 0, v36
	v_cndmask_b32_e64 v36, v36, v57, s8
	v_cmp_eq_u32_e64 s8, 0, v57
	s_delay_alu instid0(VALU_DEP_2)
	v_lshlrev_b32_e32 v36, 2, v36
	ds_bpermute_b32 v45, v36, v35
	s_and_saveexec_b32 s9, vcc_lo
	s_cbranch_execz .LBB357_408
; %bb.391:
	v_mov_b32_e32 v38, 0
	ds_load_b32 v35, v38 offset:60
	s_and_saveexec_b32 s18, s8
	s_cbranch_execz .LBB357_393
; %bb.392:
	s_add_i32 s22, s15, 32
	s_mov_b32 s23, 0
	v_mov_b32_e32 v36, 1
	s_lshl_b64 s[22:23], s[22:23], 3
	s_delay_alu instid0(SALU_CYCLE_1)
	s_add_u32 s22, s10, s22
	s_addc_u32 s23, s11, s23
	s_waitcnt lgkmcnt(0)
	global_store_b64 v38, v[35:36], s[22:23]
.LBB357_393:
	s_or_b32 exec_lo, exec_lo, s18
	v_xad_u32 v36, v57, -1, s15
	s_mov_b32 s19, 0
	s_mov_b32 s18, exec_lo
	s_delay_alu instid0(VALU_DEP_1) | instskip(NEXT) | instid1(VALU_DEP_1)
	v_add_nc_u32_e32 v37, 32, v36
	v_lshlrev_b64 v[37:38], 3, v[37:38]
	s_delay_alu instid0(VALU_DEP_1) | instskip(NEXT) | instid1(VALU_DEP_2)
	v_add_co_u32 v40, vcc_lo, s10, v37
	v_add_co_ci_u32_e32 v41, vcc_lo, s11, v38, vcc_lo
	global_load_b64 v[38:39], v[40:41], off glc
	s_waitcnt vmcnt(0)
	v_and_b32_e32 v37, 0xff, v39
	s_delay_alu instid0(VALU_DEP_1)
	v_cmpx_eq_u16_e32 0, v37
	s_cbranch_execz .LBB357_396
.LBB357_394:                            ; =>This Inner Loop Header: Depth=1
	global_load_b64 v[38:39], v[40:41], off glc
	s_waitcnt vmcnt(0)
	v_and_b32_e32 v37, 0xff, v39
	s_delay_alu instid0(VALU_DEP_1) | instskip(SKIP_1) | instid1(SALU_CYCLE_1)
	v_cmp_ne_u16_e32 vcc_lo, 0, v37
	s_or_b32 s19, vcc_lo, s19
	s_and_not1_b32 exec_lo, exec_lo, s19
	s_cbranch_execnz .LBB357_394
; %bb.395:
	s_or_b32 exec_lo, exec_lo, s19
.LBB357_396:
	s_delay_alu instid0(SALU_CYCLE_1)
	s_or_b32 exec_lo, exec_lo, s18
	v_cmp_ne_u32_e32 vcc_lo, 31, v57
	v_lshlrev_b32_e64 v49, v57, -1
	v_add_nc_u32_e32 v53, 2, v57
	v_add_nc_u32_e32 v62, 4, v57
	;; [unrolled: 1-line block ×3, first 2 shown]
	v_add_co_ci_u32_e32 v37, vcc_lo, 0, v57, vcc_lo
	v_add_nc_u32_e32 v66, 16, v57
	s_delay_alu instid0(VALU_DEP_2)
	v_lshlrev_b32_e32 v47, 2, v37
	v_and_b32_e32 v37, 0xff, v39
	ds_bpermute_b32 v40, v47, v38
	v_cmp_eq_u16_e32 vcc_lo, 2, v37
	v_and_or_b32 v37, vcc_lo, v49, 0x80000000
	v_cmp_gt_u32_e32 vcc_lo, 30, v57
	s_delay_alu instid0(VALU_DEP_2) | instskip(SKIP_1) | instid1(VALU_DEP_2)
	v_ctz_i32_b32_e32 v37, v37
	v_cndmask_b32_e64 v41, 0, 1, vcc_lo
	v_cmp_lt_u32_e32 vcc_lo, v57, v37
	s_waitcnt lgkmcnt(0)
	s_delay_alu instid0(VALU_DEP_2) | instskip(NEXT) | instid1(VALU_DEP_1)
	v_dual_cndmask_b32 v40, 0, v40 :: v_dual_lshlrev_b32 v41, 1, v41
	v_add_lshl_u32 v51, v41, v57, 2
	v_cmp_gt_u32_e32 vcc_lo, 28, v57
	s_delay_alu instid0(VALU_DEP_3) | instskip(SKIP_4) | instid1(VALU_DEP_1)
	v_add_nc_u32_e32 v38, v40, v38
	v_cndmask_b32_e64 v41, 0, 1, vcc_lo
	v_cmp_le_u32_e32 vcc_lo, v53, v37
	ds_bpermute_b32 v40, v51, v38
	v_lshlrev_b32_e32 v41, 2, v41
	v_add_lshl_u32 v60, v41, v57, 2
	s_waitcnt lgkmcnt(0)
	v_cndmask_b32_e32 v40, 0, v40, vcc_lo
	v_cmp_gt_u32_e32 vcc_lo, 24, v57
	s_delay_alu instid0(VALU_DEP_2) | instskip(SKIP_4) | instid1(VALU_DEP_1)
	v_add_nc_u32_e32 v38, v38, v40
	v_cndmask_b32_e64 v41, 0, 1, vcc_lo
	v_cmp_le_u32_e32 vcc_lo, v62, v37
	ds_bpermute_b32 v40, v60, v38
	v_lshlrev_b32_e32 v41, 3, v41
	v_add_lshl_u32 v63, v41, v57, 2
	s_waitcnt lgkmcnt(0)
	v_cndmask_b32_e32 v40, 0, v40, vcc_lo
	v_cmp_gt_u32_e32 vcc_lo, 16, v57
	s_delay_alu instid0(VALU_DEP_2) | instskip(SKIP_4) | instid1(VALU_DEP_1)
	v_add_nc_u32_e32 v38, v38, v40
	v_cndmask_b32_e64 v41, 0, 1, vcc_lo
	v_cmp_le_u32_e32 vcc_lo, v64, v37
	ds_bpermute_b32 v40, v63, v38
	v_lshlrev_b32_e32 v41, 4, v41
	v_add_lshl_u32 v65, v41, v57, 2
	s_waitcnt lgkmcnt(0)
	v_cndmask_b32_e32 v40, 0, v40, vcc_lo
	v_cmp_le_u32_e32 vcc_lo, v66, v37
	s_delay_alu instid0(VALU_DEP_2) | instskip(SKIP_3) | instid1(VALU_DEP_1)
	v_add_nc_u32_e32 v38, v38, v40
	ds_bpermute_b32 v40, v65, v38
	s_waitcnt lgkmcnt(0)
	v_cndmask_b32_e32 v37, 0, v40, vcc_lo
	v_dual_mov_b32 v37, 0 :: v_dual_add_nc_u32 v38, v38, v37
	s_branch .LBB357_398
.LBB357_397:                            ;   in Loop: Header=BB357_398 Depth=1
	s_or_b32 exec_lo, exec_lo, s18
	ds_bpermute_b32 v41, v47, v38
	v_and_b32_e32 v40, 0xff, v39
	v_subrev_nc_u32_e32 v36, 32, v36
	s_delay_alu instid0(VALU_DEP_2) | instskip(SKIP_1) | instid1(VALU_DEP_1)
	v_cmp_eq_u16_e32 vcc_lo, 2, v40
	v_and_or_b32 v40, vcc_lo, v49, 0x80000000
	v_ctz_i32_b32_e32 v40, v40
	s_delay_alu instid0(VALU_DEP_1) | instskip(SKIP_3) | instid1(VALU_DEP_2)
	v_cmp_lt_u32_e32 vcc_lo, v57, v40
	s_waitcnt lgkmcnt(0)
	v_cndmask_b32_e32 v41, 0, v41, vcc_lo
	v_cmp_le_u32_e32 vcc_lo, v53, v40
	v_add_nc_u32_e32 v38, v41, v38
	ds_bpermute_b32 v41, v51, v38
	s_waitcnt lgkmcnt(0)
	v_cndmask_b32_e32 v41, 0, v41, vcc_lo
	v_cmp_le_u32_e32 vcc_lo, v62, v40
	s_delay_alu instid0(VALU_DEP_2) | instskip(SKIP_4) | instid1(VALU_DEP_2)
	v_add_nc_u32_e32 v38, v38, v41
	ds_bpermute_b32 v41, v60, v38
	s_waitcnt lgkmcnt(0)
	v_cndmask_b32_e32 v41, 0, v41, vcc_lo
	v_cmp_le_u32_e32 vcc_lo, v64, v40
	v_add_nc_u32_e32 v38, v38, v41
	ds_bpermute_b32 v41, v63, v38
	s_waitcnt lgkmcnt(0)
	v_cndmask_b32_e32 v41, 0, v41, vcc_lo
	v_cmp_le_u32_e32 vcc_lo, v66, v40
	s_delay_alu instid0(VALU_DEP_2) | instskip(SKIP_3) | instid1(VALU_DEP_1)
	v_add_nc_u32_e32 v38, v38, v41
	ds_bpermute_b32 v41, v65, v38
	s_waitcnt lgkmcnt(0)
	v_cndmask_b32_e32 v40, 0, v41, vcc_lo
	v_add3_u32 v38, v40, v61, v38
.LBB357_398:                            ; =>This Loop Header: Depth=1
                                        ;     Child Loop BB357_401 Depth 2
	v_and_b32_e32 v39, 0xff, v39
	s_delay_alu instid0(VALU_DEP_2) | instskip(NEXT) | instid1(VALU_DEP_2)
	v_mov_b32_e32 v61, v38
	v_cmp_ne_u16_e32 vcc_lo, 2, v39
	v_cndmask_b32_e64 v39, 0, 1, vcc_lo
	;;#ASMSTART
	;;#ASMEND
	s_delay_alu instid0(VALU_DEP_1)
	v_cmp_ne_u32_e32 vcc_lo, 0, v39
	s_cmp_lg_u32 vcc_lo, exec_lo
	s_cbranch_scc1 .LBB357_403
; %bb.399:                              ;   in Loop: Header=BB357_398 Depth=1
	v_lshlrev_b64 v[38:39], 3, v[36:37]
	s_mov_b32 s18, exec_lo
	s_delay_alu instid0(VALU_DEP_1) | instskip(NEXT) | instid1(VALU_DEP_2)
	v_add_co_u32 v40, vcc_lo, s10, v38
	v_add_co_ci_u32_e32 v41, vcc_lo, s11, v39, vcc_lo
	global_load_b64 v[38:39], v[40:41], off glc
	s_waitcnt vmcnt(0)
	v_and_b32_e32 v67, 0xff, v39
	s_delay_alu instid0(VALU_DEP_1)
	v_cmpx_eq_u16_e32 0, v67
	s_cbranch_execz .LBB357_397
; %bb.400:                              ;   in Loop: Header=BB357_398 Depth=1
	s_mov_b32 s19, 0
.LBB357_401:                            ;   Parent Loop BB357_398 Depth=1
                                        ; =>  This Inner Loop Header: Depth=2
	global_load_b64 v[38:39], v[40:41], off glc
	s_waitcnt vmcnt(0)
	v_and_b32_e32 v67, 0xff, v39
	s_delay_alu instid0(VALU_DEP_1) | instskip(SKIP_1) | instid1(SALU_CYCLE_1)
	v_cmp_ne_u16_e32 vcc_lo, 0, v67
	s_or_b32 s19, vcc_lo, s19
	s_and_not1_b32 exec_lo, exec_lo, s19
	s_cbranch_execnz .LBB357_401
; %bb.402:                              ;   in Loop: Header=BB357_398 Depth=1
	s_or_b32 exec_lo, exec_lo, s19
	s_branch .LBB357_397
.LBB357_403:                            ;   in Loop: Header=BB357_398 Depth=1
                                        ; implicit-def: $vgpr38
                                        ; implicit-def: $vgpr39
	s_cbranch_execz .LBB357_398
; %bb.404:
	s_and_saveexec_b32 s18, s8
	s_cbranch_execz .LBB357_406
; %bb.405:
	s_add_i32 s22, s15, 32
	s_mov_b32 s23, 0
	v_dual_mov_b32 v37, 2 :: v_dual_add_nc_u32 v36, v61, v35
	s_lshl_b64 s[22:23], s[22:23], 3
	v_mov_b32_e32 v38, 0
	v_add_nc_u32_e64 v39, 0x8400, 0
	s_add_u32 s22, s10, s22
	s_addc_u32 s23, s11, s23
	global_store_b64 v38, v[36:37], s[22:23]
	ds_store_2addr_b32 v39, v35, v61 offset1:2
.LBB357_406:
	s_or_b32 exec_lo, exec_lo, s18
	v_cmp_eq_u32_e32 vcc_lo, 0, v0
	s_and_b32 exec_lo, exec_lo, vcc_lo
	s_cbranch_execz .LBB357_408
; %bb.407:
	v_mov_b32_e32 v35, 0
	ds_store_b32 v35, v61 offset:60
.LBB357_408:
	s_or_b32 exec_lo, exec_lo, s9
	s_waitcnt lgkmcnt(0)
	v_cndmask_b32_e64 v36, v45, v43, s8
	v_cmp_ne_u32_e32 vcc_lo, 0, v0
	v_mov_b32_e32 v35, 0
	s_waitcnt_vscnt null, 0x0
	s_barrier
	buffer_gl0_inv
	v_cndmask_b32_e32 v36, 0, v36, vcc_lo
	ds_load_b32 v35, v35 offset:60
	s_waitcnt lgkmcnt(0)
	s_barrier
	buffer_gl0_inv
	v_add_nc_u32_e32 v53, v35, v36
	v_add_nc_u32_e64 v35, 0x8400, 0
	s_delay_alu instid0(VALU_DEP_2) | instskip(SKIP_2) | instid1(VALU_DEP_1)
	v_add_nc_u32_e32 v51, v53, v42
	ds_load_2addr_b32 v[35:36], v35 offset1:2
	v_add_nc_u32_e32 v49, v51, v44
	v_add_nc_u32_e32 v47, v49, v46
	s_delay_alu instid0(VALU_DEP_1) | instskip(NEXT) | instid1(VALU_DEP_1)
	v_add_nc_u32_e32 v45, v47, v48
	v_add_nc_u32_e32 v43, v45, v50
	s_waitcnt lgkmcnt(0)
	v_readfirstlane_b32 s8, v36
	s_delay_alu instid0(VALU_DEP_2) | instskip(NEXT) | instid1(VALU_DEP_1)
	v_add_nc_u32_e32 v41, v43, v52
	v_add_nc_u32_e32 v39, v41, v54
	v_lshrrev_b64 v[37:38], 24, v[33:34]
	s_branch .LBB357_419
.LBB357_409:
                                        ; implicit-def: $vgpr39
                                        ; implicit-def: $vgpr41
                                        ; implicit-def: $vgpr43
                                        ; implicit-def: $vgpr45
                                        ; implicit-def: $vgpr47
                                        ; implicit-def: $vgpr49
                                        ; implicit-def: $vgpr51
                                        ; implicit-def: $vgpr53
                                        ; implicit-def: $sgpr8
                                        ; implicit-def: $vgpr35
	v_lshrrev_b64 v[37:38], 24, v[33:34]
	s_and_b32 vcc_lo, exec_lo, s9
	s_cbranch_vccz .LBB357_419
; %bb.410:
	v_mov_b32_dpp v35, v59 row_shr:1 row_mask:0xf bank_mask:0xf
	s_delay_alu instid0(VALU_DEP_1) | instskip(NEXT) | instid1(VALU_DEP_1)
	v_cndmask_b32_e64 v35, v35, 0, s4
	v_add_nc_u32_e32 v35, v35, v59
	s_delay_alu instid0(VALU_DEP_1) | instskip(NEXT) | instid1(VALU_DEP_1)
	v_mov_b32_dpp v36, v35 row_shr:2 row_mask:0xf bank_mask:0xf
	v_cndmask_b32_e64 v36, 0, v36, s2
	s_delay_alu instid0(VALU_DEP_1) | instskip(NEXT) | instid1(VALU_DEP_1)
	v_add_nc_u32_e32 v35, v35, v36
	v_mov_b32_dpp v36, v35 row_shr:4 row_mask:0xf bank_mask:0xf
	s_delay_alu instid0(VALU_DEP_1) | instskip(NEXT) | instid1(VALU_DEP_1)
	v_cndmask_b32_e64 v36, 0, v36, s5
	v_add_nc_u32_e32 v35, v35, v36
	s_delay_alu instid0(VALU_DEP_1) | instskip(NEXT) | instid1(VALU_DEP_1)
	v_mov_b32_dpp v36, v35 row_shr:8 row_mask:0xf bank_mask:0xf
	v_cndmask_b32_e64 v36, 0, v36, s3
	s_delay_alu instid0(VALU_DEP_1) | instskip(SKIP_3) | instid1(VALU_DEP_1)
	v_add_nc_u32_e32 v35, v35, v36
	ds_swizzle_b32 v36, v35 offset:swizzle(BROADCAST,32,15)
	s_waitcnt lgkmcnt(0)
	v_cndmask_b32_e64 v36, v36, 0, s7
	v_add_nc_u32_e32 v35, v35, v36
	s_and_saveexec_b32 s7, s6
	s_cbranch_execz .LBB357_412
; %bb.411:
	v_lshlrev_b32_e32 v36, 2, v58
	ds_store_b32 v36, v35
.LBB357_412:
	s_or_b32 exec_lo, exec_lo, s7
	s_delay_alu instid0(SALU_CYCLE_1)
	s_mov_b32 s6, exec_lo
	s_waitcnt lgkmcnt(0)
	s_barrier
	buffer_gl0_inv
	v_cmpx_gt_u32_e32 16, v0
	s_cbranch_execz .LBB357_414
; %bb.413:
	v_lshlrev_b32_e32 v36, 2, v0
	ds_load_b32 v38, v36
	s_waitcnt lgkmcnt(0)
	v_mov_b32_dpp v39, v38 row_shr:1 row_mask:0xf bank_mask:0xf
	s_delay_alu instid0(VALU_DEP_1) | instskip(NEXT) | instid1(VALU_DEP_1)
	v_cndmask_b32_e64 v39, v39, 0, s4
	v_add_nc_u32_e32 v38, v39, v38
	s_delay_alu instid0(VALU_DEP_1) | instskip(NEXT) | instid1(VALU_DEP_1)
	v_mov_b32_dpp v39, v38 row_shr:2 row_mask:0xf bank_mask:0xf
	v_cndmask_b32_e64 v39, 0, v39, s2
	s_delay_alu instid0(VALU_DEP_1) | instskip(NEXT) | instid1(VALU_DEP_1)
	v_add_nc_u32_e32 v38, v38, v39
	v_mov_b32_dpp v39, v38 row_shr:4 row_mask:0xf bank_mask:0xf
	s_delay_alu instid0(VALU_DEP_1) | instskip(NEXT) | instid1(VALU_DEP_1)
	v_cndmask_b32_e64 v39, 0, v39, s5
	v_add_nc_u32_e32 v38, v38, v39
	s_delay_alu instid0(VALU_DEP_1) | instskip(NEXT) | instid1(VALU_DEP_1)
	v_mov_b32_dpp v39, v38 row_shr:8 row_mask:0xf bank_mask:0xf
	v_cndmask_b32_e64 v39, 0, v39, s3
	s_delay_alu instid0(VALU_DEP_1)
	v_add_nc_u32_e32 v38, v38, v39
	ds_store_b32 v36, v38
.LBB357_414:
	s_or_b32 exec_lo, exec_lo, s6
	v_mov_b32_e32 v36, 0
	v_mov_b32_e32 v38, 0
	s_mov_b32 s2, exec_lo
	s_waitcnt lgkmcnt(0)
	s_barrier
	buffer_gl0_inv
	v_cmpx_lt_u32_e32 31, v0
	s_cbranch_execz .LBB357_416
; %bb.415:
	v_lshl_add_u32 v38, v58, 2, -4
	ds_load_b32 v38, v38
.LBB357_416:
	s_or_b32 exec_lo, exec_lo, s2
	v_add_nc_u32_e32 v39, -1, v57
	s_waitcnt lgkmcnt(0)
	v_add_nc_u32_e32 v35, v38, v35
	s_mov_b32 s8, 0
	s_delay_alu instid0(VALU_DEP_2) | instskip(SKIP_2) | instid1(VALU_DEP_2)
	v_cmp_gt_i32_e32 vcc_lo, 0, v39
	v_cndmask_b32_e32 v39, v39, v57, vcc_lo
	v_cmp_eq_u32_e32 vcc_lo, 0, v0
	v_lshlrev_b32_e32 v39, 2, v39
	ds_bpermute_b32 v39, v39, v35
	ds_load_b32 v35, v36 offset:60
	s_and_saveexec_b32 s2, vcc_lo
	s_cbranch_execz .LBB357_418
; %bb.417:
	v_mov_b32_e32 v40, 0
	v_mov_b32_e32 v36, 2
	s_waitcnt lgkmcnt(0)
	global_store_b64 v40, v[35:36], s[10:11] offset:256
.LBB357_418:
	s_or_b32 exec_lo, exec_lo, s2
	v_cmp_eq_u32_e64 s2, 0, v57
	s_waitcnt lgkmcnt(0)
	s_waitcnt_vscnt null, 0x0
	s_barrier
	buffer_gl0_inv
	v_cndmask_b32_e64 v36, v39, v38, s2
	s_delay_alu instid0(VALU_DEP_1) | instskip(NEXT) | instid1(VALU_DEP_1)
	v_cndmask_b32_e64 v53, v36, 0, vcc_lo
	v_add_nc_u32_e32 v51, v53, v42
	s_delay_alu instid0(VALU_DEP_1) | instskip(NEXT) | instid1(VALU_DEP_1)
	v_add_nc_u32_e32 v49, v51, v44
	v_add_nc_u32_e32 v47, v49, v46
	s_delay_alu instid0(VALU_DEP_1) | instskip(NEXT) | instid1(VALU_DEP_1)
	v_add_nc_u32_e32 v45, v47, v48
	;; [unrolled: 3-line block ×3, first 2 shown]
	v_add_nc_u32_e32 v39, v41, v54
.LBB357_419:
	s_load_b128 s[4:7], s[0:1], 0x28
	v_add_nc_u32_e32 v59, s8, v35
	v_cmp_gt_u32_e64 s0, 0x201, v35
	v_lshrrev_b32_e32 v58, 8, v33
	v_lshrrev_b32_e32 v57, 16, v33
	;; [unrolled: 1-line block ×4, first 2 shown]
	v_cmp_lt_u32_e64 s1, v53, v59
	s_and_b32 vcc_lo, exec_lo, s0
	s_mov_b32 s2, -1
	s_cbranch_vccz .LBB357_445
; %bb.420:
	s_delay_alu instid0(VALU_DEP_1) | instskip(NEXT) | instid1(SALU_CYCLE_1)
	s_or_b32 s2, s20, s1
	s_and_saveexec_b32 s1, s2
	s_cbranch_execz .LBB357_423
; %bb.421:
	v_and_b32_e32 v40, 1, v33
	s_delay_alu instid0(VALU_DEP_1)
	v_cmp_eq_u32_e32 vcc_lo, 1, v40
	s_and_b32 exec_lo, exec_lo, vcc_lo
	s_cbranch_execz .LBB357_423
; %bb.422:
	v_mov_b32_e32 v54, 0
	s_lshl_b64 s[2:3], s[12:13], 3
	s_waitcnt lgkmcnt(0)
	s_add_u32 s2, s4, s2
	s_addc_u32 s3, s5, s3
	v_lshlrev_b64 v[60:61], 3, v[53:54]
	s_delay_alu instid0(VALU_DEP_1) | instskip(NEXT) | instid1(VALU_DEP_2)
	v_add_co_u32 v60, vcc_lo, s2, v60
	v_add_co_ci_u32_e32 v61, vcc_lo, s3, v61, vcc_lo
	global_store_b64 v[60:61], v[29:30], off
.LBB357_423:
	s_or_b32 exec_lo, exec_lo, s1
	v_cmp_lt_u32_e32 vcc_lo, v51, v59
	s_or_b32 s2, s20, vcc_lo
	s_delay_alu instid0(SALU_CYCLE_1)
	s_and_saveexec_b32 s1, s2
	s_cbranch_execz .LBB357_426
; %bb.424:
	v_and_b32_e32 v40, 1, v58
	s_delay_alu instid0(VALU_DEP_1)
	v_cmp_eq_u32_e32 vcc_lo, 1, v40
	s_and_b32 exec_lo, exec_lo, vcc_lo
	s_cbranch_execz .LBB357_426
; %bb.425:
	v_mov_b32_e32 v52, 0
	s_lshl_b64 s[2:3], s[12:13], 3
	s_waitcnt lgkmcnt(0)
	s_add_u32 s2, s4, s2
	s_addc_u32 s3, s5, s3
	v_lshlrev_b64 v[60:61], 3, v[51:52]
	s_delay_alu instid0(VALU_DEP_1) | instskip(NEXT) | instid1(VALU_DEP_2)
	v_add_co_u32 v60, vcc_lo, s2, v60
	v_add_co_ci_u32_e32 v61, vcc_lo, s3, v61, vcc_lo
	global_store_b64 v[60:61], v[31:32], off
.LBB357_426:
	s_or_b32 exec_lo, exec_lo, s1
	v_cmp_lt_u32_e32 vcc_lo, v49, v59
	s_or_b32 s2, s20, vcc_lo
	s_delay_alu instid0(SALU_CYCLE_1)
	;; [unrolled: 24-line block ×7, first 2 shown]
	s_and_saveexec_b32 s1, s2
	s_cbranch_execz .LBB357_444
; %bb.442:
	v_and_b32_e32 v40, 1, v56
	s_delay_alu instid0(VALU_DEP_1)
	v_cmp_eq_u32_e32 vcc_lo, 1, v40
	s_and_b32 exec_lo, exec_lo, vcc_lo
	s_cbranch_execz .LBB357_444
; %bb.443:
	v_mov_b32_e32 v40, 0
	s_lshl_b64 s[2:3], s[12:13], 3
	s_waitcnt lgkmcnt(0)
	s_add_u32 s2, s4, s2
	s_addc_u32 s3, s5, s3
	v_lshlrev_b64 v[60:61], 3, v[39:40]
	s_delay_alu instid0(VALU_DEP_1) | instskip(NEXT) | instid1(VALU_DEP_2)
	v_add_co_u32 v60, vcc_lo, s2, v60
	v_add_co_ci_u32_e32 v61, vcc_lo, s3, v61, vcc_lo
	global_store_b64 v[60:61], v[19:20], off
.LBB357_444:
	s_or_b32 exec_lo, exec_lo, s1
	s_mov_b32 s2, 0
.LBB357_445:
	v_and_b32_e32 v33, 1, v33
	s_and_b32 vcc_lo, exec_lo, s2
	s_delay_alu instid0(VALU_DEP_1)
	v_cmp_eq_u32_e64 s1, 1, v33
	s_cbranch_vccz .LBB357_466
; %bb.446:
	s_delay_alu instid0(VALU_DEP_1)
	s_and_saveexec_b32 s2, s1
	s_cbranch_execz .LBB357_448
; %bb.447:
	v_subrev_nc_u32_e32 v40, s8, v53
	s_delay_alu instid0(VALU_DEP_1)
	v_lshlrev_b32_e32 v40, 3, v40
	ds_store_b64 v40, v[29:30]
.LBB357_448:
	s_or_b32 exec_lo, exec_lo, s2
	v_and_b32_e32 v29, 1, v58
	s_mov_b32 s1, exec_lo
	s_delay_alu instid0(VALU_DEP_1)
	v_cmpx_eq_u32_e32 1, v29
	s_cbranch_execz .LBB357_450
; %bb.449:
	v_subrev_nc_u32_e32 v29, s8, v51
	s_delay_alu instid0(VALU_DEP_1)
	v_lshlrev_b32_e32 v29, 3, v29
	ds_store_b64 v29, v[31:32]
.LBB357_450:
	s_or_b32 exec_lo, exec_lo, s1
	v_and_b32_e32 v29, 1, v57
	s_mov_b32 s1, exec_lo
	s_delay_alu instid0(VALU_DEP_1)
	v_cmpx_eq_u32_e32 1, v29
	;; [unrolled: 12-line block ×7, first 2 shown]
	s_cbranch_execz .LBB357_462
; %bb.461:
	v_subrev_nc_u32_e32 v17, s8, v39
	s_delay_alu instid0(VALU_DEP_1)
	v_lshlrev_b32_e32 v17, 3, v17
	ds_store_b64 v17, v[19:20]
.LBB357_462:
	s_or_b32 exec_lo, exec_lo, s1
	s_delay_alu instid0(SALU_CYCLE_1)
	s_mov_b32 s2, exec_lo
	s_waitcnt lgkmcnt(0)
	s_waitcnt_vscnt null, 0x0
	s_barrier
	buffer_gl0_inv
	v_cmpx_lt_u32_e64 v0, v35
	s_cbranch_execz .LBB357_465
; %bb.463:
	s_mov_b32 s9, 0
	s_lshl_b64 s[10:11], s[12:13], 3
	s_lshl_b64 s[18:19], s[8:9], 3
	v_dual_mov_b32 v19, v55 :: v_dual_mov_b32 v20, v0
	s_add_u32 s1, s10, s18
	s_addc_u32 s3, s11, s19
	s_add_u32 s1, s4, s1
	s_addc_u32 s3, s5, s3
	v_add_co_u32 v17, s1, s1, v55
	s_delay_alu instid0(VALU_DEP_1)
	v_add_co_ci_u32_e64 v18, null, s3, 0, s1
	.p2align	6
.LBB357_464:                            ; =>This Inner Loop Header: Depth=1
	ds_load_b64 v[21:22], v19
	v_add_nc_u32_e32 v20, 0x200, v20
	v_add_nc_u32_e32 v19, 0x1000, v19
	s_delay_alu instid0(VALU_DEP_2) | instskip(SKIP_4) | instid1(VALU_DEP_1)
	v_cmp_ge_u32_e32 vcc_lo, v20, v35
	s_or_b32 s9, vcc_lo, s9
	s_waitcnt lgkmcnt(0)
	global_store_b64 v[17:18], v[21:22], off
	v_add_co_u32 v17, s1, 0x1000, v17
	v_add_co_ci_u32_e64 v18, s1, 0, v18, s1
	s_and_not1_b32 exec_lo, exec_lo, s9
	s_cbranch_execnz .LBB357_464
.LBB357_465:
	s_or_b32 exec_lo, exec_lo, s2
.LBB357_466:
	s_delay_alu instid0(SALU_CYCLE_1)
	s_and_b32 vcc_lo, exec_lo, s0
	s_mov_b32 s0, -1
	s_waitcnt lgkmcnt(0)
	s_waitcnt_vscnt null, 0x0
	s_barrier
	buffer_gl0_inv
	s_cbranch_vccz .LBB357_494
; %bb.467:
	v_cmp_lt_u32_e32 vcc_lo, v53, v59
	s_or_b32 s1, s20, vcc_lo
	s_delay_alu instid0(SALU_CYCLE_1)
	s_and_saveexec_b32 s0, s1
	s_cbranch_execz .LBB357_470
; %bb.468:
	v_cmp_eq_u32_e32 vcc_lo, 1, v33
	s_and_b32 exec_lo, exec_lo, vcc_lo
	s_cbranch_execz .LBB357_470
; %bb.469:
	v_mov_b32_e32 v54, 0
	s_lshl_b64 s[2:3], s[12:13], 3
	s_delay_alu instid0(SALU_CYCLE_1) | instskip(SKIP_1) | instid1(VALU_DEP_1)
	s_add_u32 s1, s6, s2
	s_addc_u32 s2, s7, s3
	v_lshlrev_b64 v[17:18], 3, v[53:54]
	s_delay_alu instid0(VALU_DEP_1) | instskip(NEXT) | instid1(VALU_DEP_2)
	v_add_co_u32 v17, vcc_lo, s1, v17
	v_add_co_ci_u32_e32 v18, vcc_lo, s2, v18, vcc_lo
	global_store_b64 v[17:18], v[13:14], off
.LBB357_470:
	s_or_b32 exec_lo, exec_lo, s0
	v_cmp_lt_u32_e32 vcc_lo, v51, v59
	s_or_b32 s1, s20, vcc_lo
	s_delay_alu instid0(SALU_CYCLE_1)
	s_and_saveexec_b32 s0, s1
	s_cbranch_execz .LBB357_473
; %bb.471:
	v_and_b32_e32 v17, 1, v58
	s_delay_alu instid0(VALU_DEP_1)
	v_cmp_eq_u32_e32 vcc_lo, 1, v17
	s_and_b32 exec_lo, exec_lo, vcc_lo
	s_cbranch_execz .LBB357_473
; %bb.472:
	v_mov_b32_e32 v52, 0
	s_lshl_b64 s[2:3], s[12:13], 3
	s_delay_alu instid0(SALU_CYCLE_1) | instskip(SKIP_1) | instid1(VALU_DEP_1)
	s_add_u32 s1, s6, s2
	s_addc_u32 s2, s7, s3
	v_lshlrev_b64 v[17:18], 3, v[51:52]
	s_delay_alu instid0(VALU_DEP_1) | instskip(NEXT) | instid1(VALU_DEP_2)
	v_add_co_u32 v17, vcc_lo, s1, v17
	v_add_co_ci_u32_e32 v18, vcc_lo, s2, v18, vcc_lo
	global_store_b64 v[17:18], v[15:16], off
.LBB357_473:
	s_or_b32 exec_lo, exec_lo, s0
	v_cmp_lt_u32_e32 vcc_lo, v49, v59
	s_or_b32 s1, s20, vcc_lo
	s_delay_alu instid0(SALU_CYCLE_1)
	s_and_saveexec_b32 s0, s1
	s_cbranch_execz .LBB357_476
; %bb.474:
	v_and_b32_e32 v17, 1, v57
	s_delay_alu instid0(VALU_DEP_1)
	v_cmp_eq_u32_e32 vcc_lo, 1, v17
	s_and_b32 exec_lo, exec_lo, vcc_lo
	s_cbranch_execz .LBB357_476
; %bb.475:
	v_mov_b32_e32 v50, 0
	s_lshl_b64 s[2:3], s[12:13], 3
	s_delay_alu instid0(SALU_CYCLE_1) | instskip(SKIP_1) | instid1(VALU_DEP_1)
	s_add_u32 s1, s6, s2
	s_addc_u32 s2, s7, s3
	v_lshlrev_b64 v[17:18], 3, v[49:50]
	s_delay_alu instid0(VALU_DEP_1) | instskip(NEXT) | instid1(VALU_DEP_2)
	v_add_co_u32 v17, vcc_lo, s1, v17
	v_add_co_ci_u32_e32 v18, vcc_lo, s2, v18, vcc_lo
	global_store_b64 v[17:18], v[9:10], off
.LBB357_476:
	;; [unrolled: 24-line block ×7, first 2 shown]
	s_or_b32 exec_lo, exec_lo, s0
.LBB357_492:
	v_cmp_eq_u32_e32 vcc_lo, 0, v0
	s_and_b32 s0, vcc_lo, s14
	s_delay_alu instid0(SALU_CYCLE_1)
	s_and_saveexec_b32 s1, s0
	s_cbranch_execz .LBB357_515
.LBB357_493:
	v_add_co_u32 v0, s0, s12, v35
	s_delay_alu instid0(VALU_DEP_1) | instskip(SKIP_1) | instid1(VALU_DEP_3)
	v_add_co_ci_u32_e64 v1, null, s13, 0, s0
	v_mov_b32_e32 v2, 0
	v_add_co_u32 v0, vcc_lo, v0, s8
	s_delay_alu instid0(VALU_DEP_3)
	v_add_co_ci_u32_e32 v1, vcc_lo, 0, v1, vcc_lo
	global_store_b64 v2, v[0:1], s[16:17]
	s_nop 0
	s_sendmsg sendmsg(MSG_DEALLOC_VGPRS)
	s_endpgm
.LBB357_494:
	s_and_b32 vcc_lo, exec_lo, s0
	s_cbranch_vccz .LBB357_492
; %bb.495:
	s_mov_b32 s0, exec_lo
	v_cmpx_eq_u32_e32 1, v33
	s_cbranch_execz .LBB357_497
; %bb.496:
	v_subrev_nc_u32_e32 v17, s8, v53
	s_delay_alu instid0(VALU_DEP_1)
	v_lshlrev_b32_e32 v17, 3, v17
	ds_store_b64 v17, v[13:14]
.LBB357_497:
	s_or_b32 exec_lo, exec_lo, s0
	v_and_b32_e32 v13, 1, v58
	s_mov_b32 s0, exec_lo
	s_delay_alu instid0(VALU_DEP_1)
	v_cmpx_eq_u32_e32 1, v13
	s_cbranch_execz .LBB357_499
; %bb.498:
	v_subrev_nc_u32_e32 v13, s8, v51
	s_delay_alu instid0(VALU_DEP_1)
	v_lshlrev_b32_e32 v13, 3, v13
	ds_store_b64 v13, v[15:16]
.LBB357_499:
	s_or_b32 exec_lo, exec_lo, s0
	v_and_b32_e32 v13, 1, v57
	s_mov_b32 s0, exec_lo
	s_delay_alu instid0(VALU_DEP_1)
	;; [unrolled: 12-line block ×7, first 2 shown]
	v_cmpx_eq_u32_e32 1, v1
	s_cbranch_execz .LBB357_511
; %bb.510:
	v_subrev_nc_u32_e32 v1, s8, v39
	s_delay_alu instid0(VALU_DEP_1)
	v_lshlrev_b32_e32 v1, 3, v1
	ds_store_b64 v1, v[3:4]
.LBB357_511:
	s_or_b32 exec_lo, exec_lo, s0
	s_delay_alu instid0(SALU_CYCLE_1)
	s_mov_b32 s1, exec_lo
	s_waitcnt lgkmcnt(0)
	s_waitcnt_vscnt null, 0x0
	s_barrier
	buffer_gl0_inv
	v_cmpx_lt_u32_e64 v0, v35
	s_cbranch_execz .LBB357_514
; %bb.512:
	s_mov_b32 s9, 0
	s_lshl_b64 s[2:3], s[12:13], 3
	s_lshl_b64 s[4:5], s[8:9], 3
	v_mov_b32_e32 v3, v0
	s_add_u32 s0, s2, s4
	s_addc_u32 s2, s3, s5
	s_add_u32 s0, s6, s0
	s_addc_u32 s2, s7, s2
	v_add_co_u32 v1, s0, s0, v55
	s_delay_alu instid0(VALU_DEP_1)
	v_add_co_ci_u32_e64 v2, null, s2, 0, s0
	.p2align	6
.LBB357_513:                            ; =>This Inner Loop Header: Depth=1
	ds_load_b64 v[4:5], v55
	v_add_nc_u32_e32 v3, 0x200, v3
	v_add_nc_u32_e32 v55, 0x1000, v55
	s_delay_alu instid0(VALU_DEP_2) | instskip(SKIP_4) | instid1(VALU_DEP_1)
	v_cmp_ge_u32_e32 vcc_lo, v3, v35
	s_or_b32 s9, vcc_lo, s9
	s_waitcnt lgkmcnt(0)
	global_store_b64 v[1:2], v[4:5], off
	v_add_co_u32 v1, s0, 0x1000, v1
	v_add_co_ci_u32_e64 v2, s0, 0, v2, s0
	s_and_not1_b32 exec_lo, exec_lo, s9
	s_cbranch_execnz .LBB357_513
.LBB357_514:
	s_or_b32 exec_lo, exec_lo, s1
	v_cmp_eq_u32_e32 vcc_lo, 0, v0
	s_and_b32 s0, vcc_lo, s14
	s_delay_alu instid0(SALU_CYCLE_1)
	s_and_saveexec_b32 s1, s0
	s_cbranch_execnz .LBB357_493
.LBB357_515:
	s_nop 0
	s_sendmsg sendmsg(MSG_DEALLOC_VGPRS)
	s_endpgm
	.section	.rodata,"a",@progbits
	.p2align	6, 0x0
	.amdhsa_kernel _ZN7rocprim17ROCPRIM_400000_NS6detail17trampoline_kernelINS0_14default_configENS1_25partition_config_selectorILNS1_17partition_subalgoE9EllbEEZZNS1_14partition_implILS5_9ELb0ES3_jPlS8_PNS0_10empty_typeENS0_5tupleIJS8_S9_EEENSB_IJS8_SA_EEENS0_18inequality_wrapperIZN2at6native12_GLOBAL__N_124unique_dim_cuda_templateIaEESt5tupleIJNSF_6TensorESK_SK_EERKSK_lbbbEUlllE0_EEPmJS9_EEE10hipError_tPvRmT3_T4_T5_T6_T7_T9_mT8_P12ihipStream_tbDpT10_ENKUlT_T0_E_clISt17integral_constantIbLb0EES1A_EEDaS15_S16_EUlS15_E_NS1_11comp_targetILNS1_3genE9ELNS1_11target_archE1100ELNS1_3gpuE3ELNS1_3repE0EEENS1_30default_config_static_selectorELNS0_4arch9wavefront6targetE0EEEvT1_
		.amdhsa_group_segment_fixed_size 33804
		.amdhsa_private_segment_fixed_size 0
		.amdhsa_kernarg_size 120
		.amdhsa_user_sgpr_count 15
		.amdhsa_user_sgpr_dispatch_ptr 0
		.amdhsa_user_sgpr_queue_ptr 0
		.amdhsa_user_sgpr_kernarg_segment_ptr 1
		.amdhsa_user_sgpr_dispatch_id 0
		.amdhsa_user_sgpr_private_segment_size 0
		.amdhsa_wavefront_size32 1
		.amdhsa_uses_dynamic_stack 0
		.amdhsa_enable_private_segment 0
		.amdhsa_system_sgpr_workgroup_id_x 1
		.amdhsa_system_sgpr_workgroup_id_y 0
		.amdhsa_system_sgpr_workgroup_id_z 0
		.amdhsa_system_sgpr_workgroup_info 0
		.amdhsa_system_vgpr_workitem_id 0
		.amdhsa_next_free_vgpr 68
		.amdhsa_next_free_sgpr 36
		.amdhsa_reserve_vcc 1
		.amdhsa_float_round_mode_32 0
		.amdhsa_float_round_mode_16_64 0
		.amdhsa_float_denorm_mode_32 3
		.amdhsa_float_denorm_mode_16_64 3
		.amdhsa_dx10_clamp 1
		.amdhsa_ieee_mode 1
		.amdhsa_fp16_overflow 0
		.amdhsa_workgroup_processor_mode 1
		.amdhsa_memory_ordered 1
		.amdhsa_forward_progress 0
		.amdhsa_shared_vgpr_count 0
		.amdhsa_exception_fp_ieee_invalid_op 0
		.amdhsa_exception_fp_denorm_src 0
		.amdhsa_exception_fp_ieee_div_zero 0
		.amdhsa_exception_fp_ieee_overflow 0
		.amdhsa_exception_fp_ieee_underflow 0
		.amdhsa_exception_fp_ieee_inexact 0
		.amdhsa_exception_int_div_zero 0
	.end_amdhsa_kernel
	.section	.text._ZN7rocprim17ROCPRIM_400000_NS6detail17trampoline_kernelINS0_14default_configENS1_25partition_config_selectorILNS1_17partition_subalgoE9EllbEEZZNS1_14partition_implILS5_9ELb0ES3_jPlS8_PNS0_10empty_typeENS0_5tupleIJS8_S9_EEENSB_IJS8_SA_EEENS0_18inequality_wrapperIZN2at6native12_GLOBAL__N_124unique_dim_cuda_templateIaEESt5tupleIJNSF_6TensorESK_SK_EERKSK_lbbbEUlllE0_EEPmJS9_EEE10hipError_tPvRmT3_T4_T5_T6_T7_T9_mT8_P12ihipStream_tbDpT10_ENKUlT_T0_E_clISt17integral_constantIbLb0EES1A_EEDaS15_S16_EUlS15_E_NS1_11comp_targetILNS1_3genE9ELNS1_11target_archE1100ELNS1_3gpuE3ELNS1_3repE0EEENS1_30default_config_static_selectorELNS0_4arch9wavefront6targetE0EEEvT1_,"axG",@progbits,_ZN7rocprim17ROCPRIM_400000_NS6detail17trampoline_kernelINS0_14default_configENS1_25partition_config_selectorILNS1_17partition_subalgoE9EllbEEZZNS1_14partition_implILS5_9ELb0ES3_jPlS8_PNS0_10empty_typeENS0_5tupleIJS8_S9_EEENSB_IJS8_SA_EEENS0_18inequality_wrapperIZN2at6native12_GLOBAL__N_124unique_dim_cuda_templateIaEESt5tupleIJNSF_6TensorESK_SK_EERKSK_lbbbEUlllE0_EEPmJS9_EEE10hipError_tPvRmT3_T4_T5_T6_T7_T9_mT8_P12ihipStream_tbDpT10_ENKUlT_T0_E_clISt17integral_constantIbLb0EES1A_EEDaS15_S16_EUlS15_E_NS1_11comp_targetILNS1_3genE9ELNS1_11target_archE1100ELNS1_3gpuE3ELNS1_3repE0EEENS1_30default_config_static_selectorELNS0_4arch9wavefront6targetE0EEEvT1_,comdat
.Lfunc_end357:
	.size	_ZN7rocprim17ROCPRIM_400000_NS6detail17trampoline_kernelINS0_14default_configENS1_25partition_config_selectorILNS1_17partition_subalgoE9EllbEEZZNS1_14partition_implILS5_9ELb0ES3_jPlS8_PNS0_10empty_typeENS0_5tupleIJS8_S9_EEENSB_IJS8_SA_EEENS0_18inequality_wrapperIZN2at6native12_GLOBAL__N_124unique_dim_cuda_templateIaEESt5tupleIJNSF_6TensorESK_SK_EERKSK_lbbbEUlllE0_EEPmJS9_EEE10hipError_tPvRmT3_T4_T5_T6_T7_T9_mT8_P12ihipStream_tbDpT10_ENKUlT_T0_E_clISt17integral_constantIbLb0EES1A_EEDaS15_S16_EUlS15_E_NS1_11comp_targetILNS1_3genE9ELNS1_11target_archE1100ELNS1_3gpuE3ELNS1_3repE0EEENS1_30default_config_static_selectorELNS0_4arch9wavefront6targetE0EEEvT1_, .Lfunc_end357-_ZN7rocprim17ROCPRIM_400000_NS6detail17trampoline_kernelINS0_14default_configENS1_25partition_config_selectorILNS1_17partition_subalgoE9EllbEEZZNS1_14partition_implILS5_9ELb0ES3_jPlS8_PNS0_10empty_typeENS0_5tupleIJS8_S9_EEENSB_IJS8_SA_EEENS0_18inequality_wrapperIZN2at6native12_GLOBAL__N_124unique_dim_cuda_templateIaEESt5tupleIJNSF_6TensorESK_SK_EERKSK_lbbbEUlllE0_EEPmJS9_EEE10hipError_tPvRmT3_T4_T5_T6_T7_T9_mT8_P12ihipStream_tbDpT10_ENKUlT_T0_E_clISt17integral_constantIbLb0EES1A_EEDaS15_S16_EUlS15_E_NS1_11comp_targetILNS1_3genE9ELNS1_11target_archE1100ELNS1_3gpuE3ELNS1_3repE0EEENS1_30default_config_static_selectorELNS0_4arch9wavefront6targetE0EEEvT1_
                                        ; -- End function
	.section	.AMDGPU.csdata,"",@progbits
; Kernel info:
; codeLenInByte = 18460
; NumSgprs: 38
; NumVgprs: 68
; ScratchSize: 0
; MemoryBound: 0
; FloatMode: 240
; IeeeMode: 1
; LDSByteSize: 33804 bytes/workgroup (compile time only)
; SGPRBlocks: 4
; VGPRBlocks: 8
; NumSGPRsForWavesPerEU: 38
; NumVGPRsForWavesPerEU: 68
; Occupancy: 12
; WaveLimiterHint : 1
; COMPUTE_PGM_RSRC2:SCRATCH_EN: 0
; COMPUTE_PGM_RSRC2:USER_SGPR: 15
; COMPUTE_PGM_RSRC2:TRAP_HANDLER: 0
; COMPUTE_PGM_RSRC2:TGID_X_EN: 1
; COMPUTE_PGM_RSRC2:TGID_Y_EN: 0
; COMPUTE_PGM_RSRC2:TGID_Z_EN: 0
; COMPUTE_PGM_RSRC2:TIDIG_COMP_CNT: 0
	.section	.text._ZN7rocprim17ROCPRIM_400000_NS6detail17trampoline_kernelINS0_14default_configENS1_25partition_config_selectorILNS1_17partition_subalgoE9EllbEEZZNS1_14partition_implILS5_9ELb0ES3_jPlS8_PNS0_10empty_typeENS0_5tupleIJS8_S9_EEENSB_IJS8_SA_EEENS0_18inequality_wrapperIZN2at6native12_GLOBAL__N_124unique_dim_cuda_templateIaEESt5tupleIJNSF_6TensorESK_SK_EERKSK_lbbbEUlllE0_EEPmJS9_EEE10hipError_tPvRmT3_T4_T5_T6_T7_T9_mT8_P12ihipStream_tbDpT10_ENKUlT_T0_E_clISt17integral_constantIbLb0EES1A_EEDaS15_S16_EUlS15_E_NS1_11comp_targetILNS1_3genE8ELNS1_11target_archE1030ELNS1_3gpuE2ELNS1_3repE0EEENS1_30default_config_static_selectorELNS0_4arch9wavefront6targetE0EEEvT1_,"axG",@progbits,_ZN7rocprim17ROCPRIM_400000_NS6detail17trampoline_kernelINS0_14default_configENS1_25partition_config_selectorILNS1_17partition_subalgoE9EllbEEZZNS1_14partition_implILS5_9ELb0ES3_jPlS8_PNS0_10empty_typeENS0_5tupleIJS8_S9_EEENSB_IJS8_SA_EEENS0_18inequality_wrapperIZN2at6native12_GLOBAL__N_124unique_dim_cuda_templateIaEESt5tupleIJNSF_6TensorESK_SK_EERKSK_lbbbEUlllE0_EEPmJS9_EEE10hipError_tPvRmT3_T4_T5_T6_T7_T9_mT8_P12ihipStream_tbDpT10_ENKUlT_T0_E_clISt17integral_constantIbLb0EES1A_EEDaS15_S16_EUlS15_E_NS1_11comp_targetILNS1_3genE8ELNS1_11target_archE1030ELNS1_3gpuE2ELNS1_3repE0EEENS1_30default_config_static_selectorELNS0_4arch9wavefront6targetE0EEEvT1_,comdat
	.globl	_ZN7rocprim17ROCPRIM_400000_NS6detail17trampoline_kernelINS0_14default_configENS1_25partition_config_selectorILNS1_17partition_subalgoE9EllbEEZZNS1_14partition_implILS5_9ELb0ES3_jPlS8_PNS0_10empty_typeENS0_5tupleIJS8_S9_EEENSB_IJS8_SA_EEENS0_18inequality_wrapperIZN2at6native12_GLOBAL__N_124unique_dim_cuda_templateIaEESt5tupleIJNSF_6TensorESK_SK_EERKSK_lbbbEUlllE0_EEPmJS9_EEE10hipError_tPvRmT3_T4_T5_T6_T7_T9_mT8_P12ihipStream_tbDpT10_ENKUlT_T0_E_clISt17integral_constantIbLb0EES1A_EEDaS15_S16_EUlS15_E_NS1_11comp_targetILNS1_3genE8ELNS1_11target_archE1030ELNS1_3gpuE2ELNS1_3repE0EEENS1_30default_config_static_selectorELNS0_4arch9wavefront6targetE0EEEvT1_ ; -- Begin function _ZN7rocprim17ROCPRIM_400000_NS6detail17trampoline_kernelINS0_14default_configENS1_25partition_config_selectorILNS1_17partition_subalgoE9EllbEEZZNS1_14partition_implILS5_9ELb0ES3_jPlS8_PNS0_10empty_typeENS0_5tupleIJS8_S9_EEENSB_IJS8_SA_EEENS0_18inequality_wrapperIZN2at6native12_GLOBAL__N_124unique_dim_cuda_templateIaEESt5tupleIJNSF_6TensorESK_SK_EERKSK_lbbbEUlllE0_EEPmJS9_EEE10hipError_tPvRmT3_T4_T5_T6_T7_T9_mT8_P12ihipStream_tbDpT10_ENKUlT_T0_E_clISt17integral_constantIbLb0EES1A_EEDaS15_S16_EUlS15_E_NS1_11comp_targetILNS1_3genE8ELNS1_11target_archE1030ELNS1_3gpuE2ELNS1_3repE0EEENS1_30default_config_static_selectorELNS0_4arch9wavefront6targetE0EEEvT1_
	.p2align	8
	.type	_ZN7rocprim17ROCPRIM_400000_NS6detail17trampoline_kernelINS0_14default_configENS1_25partition_config_selectorILNS1_17partition_subalgoE9EllbEEZZNS1_14partition_implILS5_9ELb0ES3_jPlS8_PNS0_10empty_typeENS0_5tupleIJS8_S9_EEENSB_IJS8_SA_EEENS0_18inequality_wrapperIZN2at6native12_GLOBAL__N_124unique_dim_cuda_templateIaEESt5tupleIJNSF_6TensorESK_SK_EERKSK_lbbbEUlllE0_EEPmJS9_EEE10hipError_tPvRmT3_T4_T5_T6_T7_T9_mT8_P12ihipStream_tbDpT10_ENKUlT_T0_E_clISt17integral_constantIbLb0EES1A_EEDaS15_S16_EUlS15_E_NS1_11comp_targetILNS1_3genE8ELNS1_11target_archE1030ELNS1_3gpuE2ELNS1_3repE0EEENS1_30default_config_static_selectorELNS0_4arch9wavefront6targetE0EEEvT1_,@function
_ZN7rocprim17ROCPRIM_400000_NS6detail17trampoline_kernelINS0_14default_configENS1_25partition_config_selectorILNS1_17partition_subalgoE9EllbEEZZNS1_14partition_implILS5_9ELb0ES3_jPlS8_PNS0_10empty_typeENS0_5tupleIJS8_S9_EEENSB_IJS8_SA_EEENS0_18inequality_wrapperIZN2at6native12_GLOBAL__N_124unique_dim_cuda_templateIaEESt5tupleIJNSF_6TensorESK_SK_EERKSK_lbbbEUlllE0_EEPmJS9_EEE10hipError_tPvRmT3_T4_T5_T6_T7_T9_mT8_P12ihipStream_tbDpT10_ENKUlT_T0_E_clISt17integral_constantIbLb0EES1A_EEDaS15_S16_EUlS15_E_NS1_11comp_targetILNS1_3genE8ELNS1_11target_archE1030ELNS1_3gpuE2ELNS1_3repE0EEENS1_30default_config_static_selectorELNS0_4arch9wavefront6targetE0EEEvT1_: ; @_ZN7rocprim17ROCPRIM_400000_NS6detail17trampoline_kernelINS0_14default_configENS1_25partition_config_selectorILNS1_17partition_subalgoE9EllbEEZZNS1_14partition_implILS5_9ELb0ES3_jPlS8_PNS0_10empty_typeENS0_5tupleIJS8_S9_EEENSB_IJS8_SA_EEENS0_18inequality_wrapperIZN2at6native12_GLOBAL__N_124unique_dim_cuda_templateIaEESt5tupleIJNSF_6TensorESK_SK_EERKSK_lbbbEUlllE0_EEPmJS9_EEE10hipError_tPvRmT3_T4_T5_T6_T7_T9_mT8_P12ihipStream_tbDpT10_ENKUlT_T0_E_clISt17integral_constantIbLb0EES1A_EEDaS15_S16_EUlS15_E_NS1_11comp_targetILNS1_3genE8ELNS1_11target_archE1030ELNS1_3gpuE2ELNS1_3repE0EEENS1_30default_config_static_selectorELNS0_4arch9wavefront6targetE0EEEvT1_
; %bb.0:
	.section	.rodata,"a",@progbits
	.p2align	6, 0x0
	.amdhsa_kernel _ZN7rocprim17ROCPRIM_400000_NS6detail17trampoline_kernelINS0_14default_configENS1_25partition_config_selectorILNS1_17partition_subalgoE9EllbEEZZNS1_14partition_implILS5_9ELb0ES3_jPlS8_PNS0_10empty_typeENS0_5tupleIJS8_S9_EEENSB_IJS8_SA_EEENS0_18inequality_wrapperIZN2at6native12_GLOBAL__N_124unique_dim_cuda_templateIaEESt5tupleIJNSF_6TensorESK_SK_EERKSK_lbbbEUlllE0_EEPmJS9_EEE10hipError_tPvRmT3_T4_T5_T6_T7_T9_mT8_P12ihipStream_tbDpT10_ENKUlT_T0_E_clISt17integral_constantIbLb0EES1A_EEDaS15_S16_EUlS15_E_NS1_11comp_targetILNS1_3genE8ELNS1_11target_archE1030ELNS1_3gpuE2ELNS1_3repE0EEENS1_30default_config_static_selectorELNS0_4arch9wavefront6targetE0EEEvT1_
		.amdhsa_group_segment_fixed_size 0
		.amdhsa_private_segment_fixed_size 0
		.amdhsa_kernarg_size 120
		.amdhsa_user_sgpr_count 15
		.amdhsa_user_sgpr_dispatch_ptr 0
		.amdhsa_user_sgpr_queue_ptr 0
		.amdhsa_user_sgpr_kernarg_segment_ptr 1
		.amdhsa_user_sgpr_dispatch_id 0
		.amdhsa_user_sgpr_private_segment_size 0
		.amdhsa_wavefront_size32 1
		.amdhsa_uses_dynamic_stack 0
		.amdhsa_enable_private_segment 0
		.amdhsa_system_sgpr_workgroup_id_x 1
		.amdhsa_system_sgpr_workgroup_id_y 0
		.amdhsa_system_sgpr_workgroup_id_z 0
		.amdhsa_system_sgpr_workgroup_info 0
		.amdhsa_system_vgpr_workitem_id 0
		.amdhsa_next_free_vgpr 1
		.amdhsa_next_free_sgpr 1
		.amdhsa_reserve_vcc 0
		.amdhsa_float_round_mode_32 0
		.amdhsa_float_round_mode_16_64 0
		.amdhsa_float_denorm_mode_32 3
		.amdhsa_float_denorm_mode_16_64 3
		.amdhsa_dx10_clamp 1
		.amdhsa_ieee_mode 1
		.amdhsa_fp16_overflow 0
		.amdhsa_workgroup_processor_mode 1
		.amdhsa_memory_ordered 1
		.amdhsa_forward_progress 0
		.amdhsa_shared_vgpr_count 0
		.amdhsa_exception_fp_ieee_invalid_op 0
		.amdhsa_exception_fp_denorm_src 0
		.amdhsa_exception_fp_ieee_div_zero 0
		.amdhsa_exception_fp_ieee_overflow 0
		.amdhsa_exception_fp_ieee_underflow 0
		.amdhsa_exception_fp_ieee_inexact 0
		.amdhsa_exception_int_div_zero 0
	.end_amdhsa_kernel
	.section	.text._ZN7rocprim17ROCPRIM_400000_NS6detail17trampoline_kernelINS0_14default_configENS1_25partition_config_selectorILNS1_17partition_subalgoE9EllbEEZZNS1_14partition_implILS5_9ELb0ES3_jPlS8_PNS0_10empty_typeENS0_5tupleIJS8_S9_EEENSB_IJS8_SA_EEENS0_18inequality_wrapperIZN2at6native12_GLOBAL__N_124unique_dim_cuda_templateIaEESt5tupleIJNSF_6TensorESK_SK_EERKSK_lbbbEUlllE0_EEPmJS9_EEE10hipError_tPvRmT3_T4_T5_T6_T7_T9_mT8_P12ihipStream_tbDpT10_ENKUlT_T0_E_clISt17integral_constantIbLb0EES1A_EEDaS15_S16_EUlS15_E_NS1_11comp_targetILNS1_3genE8ELNS1_11target_archE1030ELNS1_3gpuE2ELNS1_3repE0EEENS1_30default_config_static_selectorELNS0_4arch9wavefront6targetE0EEEvT1_,"axG",@progbits,_ZN7rocprim17ROCPRIM_400000_NS6detail17trampoline_kernelINS0_14default_configENS1_25partition_config_selectorILNS1_17partition_subalgoE9EllbEEZZNS1_14partition_implILS5_9ELb0ES3_jPlS8_PNS0_10empty_typeENS0_5tupleIJS8_S9_EEENSB_IJS8_SA_EEENS0_18inequality_wrapperIZN2at6native12_GLOBAL__N_124unique_dim_cuda_templateIaEESt5tupleIJNSF_6TensorESK_SK_EERKSK_lbbbEUlllE0_EEPmJS9_EEE10hipError_tPvRmT3_T4_T5_T6_T7_T9_mT8_P12ihipStream_tbDpT10_ENKUlT_T0_E_clISt17integral_constantIbLb0EES1A_EEDaS15_S16_EUlS15_E_NS1_11comp_targetILNS1_3genE8ELNS1_11target_archE1030ELNS1_3gpuE2ELNS1_3repE0EEENS1_30default_config_static_selectorELNS0_4arch9wavefront6targetE0EEEvT1_,comdat
.Lfunc_end358:
	.size	_ZN7rocprim17ROCPRIM_400000_NS6detail17trampoline_kernelINS0_14default_configENS1_25partition_config_selectorILNS1_17partition_subalgoE9EllbEEZZNS1_14partition_implILS5_9ELb0ES3_jPlS8_PNS0_10empty_typeENS0_5tupleIJS8_S9_EEENSB_IJS8_SA_EEENS0_18inequality_wrapperIZN2at6native12_GLOBAL__N_124unique_dim_cuda_templateIaEESt5tupleIJNSF_6TensorESK_SK_EERKSK_lbbbEUlllE0_EEPmJS9_EEE10hipError_tPvRmT3_T4_T5_T6_T7_T9_mT8_P12ihipStream_tbDpT10_ENKUlT_T0_E_clISt17integral_constantIbLb0EES1A_EEDaS15_S16_EUlS15_E_NS1_11comp_targetILNS1_3genE8ELNS1_11target_archE1030ELNS1_3gpuE2ELNS1_3repE0EEENS1_30default_config_static_selectorELNS0_4arch9wavefront6targetE0EEEvT1_, .Lfunc_end358-_ZN7rocprim17ROCPRIM_400000_NS6detail17trampoline_kernelINS0_14default_configENS1_25partition_config_selectorILNS1_17partition_subalgoE9EllbEEZZNS1_14partition_implILS5_9ELb0ES3_jPlS8_PNS0_10empty_typeENS0_5tupleIJS8_S9_EEENSB_IJS8_SA_EEENS0_18inequality_wrapperIZN2at6native12_GLOBAL__N_124unique_dim_cuda_templateIaEESt5tupleIJNSF_6TensorESK_SK_EERKSK_lbbbEUlllE0_EEPmJS9_EEE10hipError_tPvRmT3_T4_T5_T6_T7_T9_mT8_P12ihipStream_tbDpT10_ENKUlT_T0_E_clISt17integral_constantIbLb0EES1A_EEDaS15_S16_EUlS15_E_NS1_11comp_targetILNS1_3genE8ELNS1_11target_archE1030ELNS1_3gpuE2ELNS1_3repE0EEENS1_30default_config_static_selectorELNS0_4arch9wavefront6targetE0EEEvT1_
                                        ; -- End function
	.section	.AMDGPU.csdata,"",@progbits
; Kernel info:
; codeLenInByte = 0
; NumSgprs: 0
; NumVgprs: 0
; ScratchSize: 0
; MemoryBound: 0
; FloatMode: 240
; IeeeMode: 1
; LDSByteSize: 0 bytes/workgroup (compile time only)
; SGPRBlocks: 0
; VGPRBlocks: 0
; NumSGPRsForWavesPerEU: 1
; NumVGPRsForWavesPerEU: 1
; Occupancy: 16
; WaveLimiterHint : 0
; COMPUTE_PGM_RSRC2:SCRATCH_EN: 0
; COMPUTE_PGM_RSRC2:USER_SGPR: 15
; COMPUTE_PGM_RSRC2:TRAP_HANDLER: 0
; COMPUTE_PGM_RSRC2:TGID_X_EN: 1
; COMPUTE_PGM_RSRC2:TGID_Y_EN: 0
; COMPUTE_PGM_RSRC2:TGID_Z_EN: 0
; COMPUTE_PGM_RSRC2:TIDIG_COMP_CNT: 0
	.section	.text._ZN7rocprim17ROCPRIM_400000_NS6detail17trampoline_kernelINS0_14default_configENS1_25partition_config_selectorILNS1_17partition_subalgoE9EllbEEZZNS1_14partition_implILS5_9ELb0ES3_jPlS8_PNS0_10empty_typeENS0_5tupleIJS8_S9_EEENSB_IJS8_SA_EEENS0_18inequality_wrapperIZN2at6native12_GLOBAL__N_124unique_dim_cuda_templateIaEESt5tupleIJNSF_6TensorESK_SK_EERKSK_lbbbEUlllE0_EEPmJS9_EEE10hipError_tPvRmT3_T4_T5_T6_T7_T9_mT8_P12ihipStream_tbDpT10_ENKUlT_T0_E_clISt17integral_constantIbLb1EES1A_EEDaS15_S16_EUlS15_E_NS1_11comp_targetILNS1_3genE0ELNS1_11target_archE4294967295ELNS1_3gpuE0ELNS1_3repE0EEENS1_30default_config_static_selectorELNS0_4arch9wavefront6targetE0EEEvT1_,"axG",@progbits,_ZN7rocprim17ROCPRIM_400000_NS6detail17trampoline_kernelINS0_14default_configENS1_25partition_config_selectorILNS1_17partition_subalgoE9EllbEEZZNS1_14partition_implILS5_9ELb0ES3_jPlS8_PNS0_10empty_typeENS0_5tupleIJS8_S9_EEENSB_IJS8_SA_EEENS0_18inequality_wrapperIZN2at6native12_GLOBAL__N_124unique_dim_cuda_templateIaEESt5tupleIJNSF_6TensorESK_SK_EERKSK_lbbbEUlllE0_EEPmJS9_EEE10hipError_tPvRmT3_T4_T5_T6_T7_T9_mT8_P12ihipStream_tbDpT10_ENKUlT_T0_E_clISt17integral_constantIbLb1EES1A_EEDaS15_S16_EUlS15_E_NS1_11comp_targetILNS1_3genE0ELNS1_11target_archE4294967295ELNS1_3gpuE0ELNS1_3repE0EEENS1_30default_config_static_selectorELNS0_4arch9wavefront6targetE0EEEvT1_,comdat
	.globl	_ZN7rocprim17ROCPRIM_400000_NS6detail17trampoline_kernelINS0_14default_configENS1_25partition_config_selectorILNS1_17partition_subalgoE9EllbEEZZNS1_14partition_implILS5_9ELb0ES3_jPlS8_PNS0_10empty_typeENS0_5tupleIJS8_S9_EEENSB_IJS8_SA_EEENS0_18inequality_wrapperIZN2at6native12_GLOBAL__N_124unique_dim_cuda_templateIaEESt5tupleIJNSF_6TensorESK_SK_EERKSK_lbbbEUlllE0_EEPmJS9_EEE10hipError_tPvRmT3_T4_T5_T6_T7_T9_mT8_P12ihipStream_tbDpT10_ENKUlT_T0_E_clISt17integral_constantIbLb1EES1A_EEDaS15_S16_EUlS15_E_NS1_11comp_targetILNS1_3genE0ELNS1_11target_archE4294967295ELNS1_3gpuE0ELNS1_3repE0EEENS1_30default_config_static_selectorELNS0_4arch9wavefront6targetE0EEEvT1_ ; -- Begin function _ZN7rocprim17ROCPRIM_400000_NS6detail17trampoline_kernelINS0_14default_configENS1_25partition_config_selectorILNS1_17partition_subalgoE9EllbEEZZNS1_14partition_implILS5_9ELb0ES3_jPlS8_PNS0_10empty_typeENS0_5tupleIJS8_S9_EEENSB_IJS8_SA_EEENS0_18inequality_wrapperIZN2at6native12_GLOBAL__N_124unique_dim_cuda_templateIaEESt5tupleIJNSF_6TensorESK_SK_EERKSK_lbbbEUlllE0_EEPmJS9_EEE10hipError_tPvRmT3_T4_T5_T6_T7_T9_mT8_P12ihipStream_tbDpT10_ENKUlT_T0_E_clISt17integral_constantIbLb1EES1A_EEDaS15_S16_EUlS15_E_NS1_11comp_targetILNS1_3genE0ELNS1_11target_archE4294967295ELNS1_3gpuE0ELNS1_3repE0EEENS1_30default_config_static_selectorELNS0_4arch9wavefront6targetE0EEEvT1_
	.p2align	8
	.type	_ZN7rocprim17ROCPRIM_400000_NS6detail17trampoline_kernelINS0_14default_configENS1_25partition_config_selectorILNS1_17partition_subalgoE9EllbEEZZNS1_14partition_implILS5_9ELb0ES3_jPlS8_PNS0_10empty_typeENS0_5tupleIJS8_S9_EEENSB_IJS8_SA_EEENS0_18inequality_wrapperIZN2at6native12_GLOBAL__N_124unique_dim_cuda_templateIaEESt5tupleIJNSF_6TensorESK_SK_EERKSK_lbbbEUlllE0_EEPmJS9_EEE10hipError_tPvRmT3_T4_T5_T6_T7_T9_mT8_P12ihipStream_tbDpT10_ENKUlT_T0_E_clISt17integral_constantIbLb1EES1A_EEDaS15_S16_EUlS15_E_NS1_11comp_targetILNS1_3genE0ELNS1_11target_archE4294967295ELNS1_3gpuE0ELNS1_3repE0EEENS1_30default_config_static_selectorELNS0_4arch9wavefront6targetE0EEEvT1_,@function
_ZN7rocprim17ROCPRIM_400000_NS6detail17trampoline_kernelINS0_14default_configENS1_25partition_config_selectorILNS1_17partition_subalgoE9EllbEEZZNS1_14partition_implILS5_9ELb0ES3_jPlS8_PNS0_10empty_typeENS0_5tupleIJS8_S9_EEENSB_IJS8_SA_EEENS0_18inequality_wrapperIZN2at6native12_GLOBAL__N_124unique_dim_cuda_templateIaEESt5tupleIJNSF_6TensorESK_SK_EERKSK_lbbbEUlllE0_EEPmJS9_EEE10hipError_tPvRmT3_T4_T5_T6_T7_T9_mT8_P12ihipStream_tbDpT10_ENKUlT_T0_E_clISt17integral_constantIbLb1EES1A_EEDaS15_S16_EUlS15_E_NS1_11comp_targetILNS1_3genE0ELNS1_11target_archE4294967295ELNS1_3gpuE0ELNS1_3repE0EEENS1_30default_config_static_selectorELNS0_4arch9wavefront6targetE0EEEvT1_: ; @_ZN7rocprim17ROCPRIM_400000_NS6detail17trampoline_kernelINS0_14default_configENS1_25partition_config_selectorILNS1_17partition_subalgoE9EllbEEZZNS1_14partition_implILS5_9ELb0ES3_jPlS8_PNS0_10empty_typeENS0_5tupleIJS8_S9_EEENSB_IJS8_SA_EEENS0_18inequality_wrapperIZN2at6native12_GLOBAL__N_124unique_dim_cuda_templateIaEESt5tupleIJNSF_6TensorESK_SK_EERKSK_lbbbEUlllE0_EEPmJS9_EEE10hipError_tPvRmT3_T4_T5_T6_T7_T9_mT8_P12ihipStream_tbDpT10_ENKUlT_T0_E_clISt17integral_constantIbLb1EES1A_EEDaS15_S16_EUlS15_E_NS1_11comp_targetILNS1_3genE0ELNS1_11target_archE4294967295ELNS1_3gpuE0ELNS1_3repE0EEENS1_30default_config_static_selectorELNS0_4arch9wavefront6targetE0EEEvT1_
; %bb.0:
	.section	.rodata,"a",@progbits
	.p2align	6, 0x0
	.amdhsa_kernel _ZN7rocprim17ROCPRIM_400000_NS6detail17trampoline_kernelINS0_14default_configENS1_25partition_config_selectorILNS1_17partition_subalgoE9EllbEEZZNS1_14partition_implILS5_9ELb0ES3_jPlS8_PNS0_10empty_typeENS0_5tupleIJS8_S9_EEENSB_IJS8_SA_EEENS0_18inequality_wrapperIZN2at6native12_GLOBAL__N_124unique_dim_cuda_templateIaEESt5tupleIJNSF_6TensorESK_SK_EERKSK_lbbbEUlllE0_EEPmJS9_EEE10hipError_tPvRmT3_T4_T5_T6_T7_T9_mT8_P12ihipStream_tbDpT10_ENKUlT_T0_E_clISt17integral_constantIbLb1EES1A_EEDaS15_S16_EUlS15_E_NS1_11comp_targetILNS1_3genE0ELNS1_11target_archE4294967295ELNS1_3gpuE0ELNS1_3repE0EEENS1_30default_config_static_selectorELNS0_4arch9wavefront6targetE0EEEvT1_
		.amdhsa_group_segment_fixed_size 0
		.amdhsa_private_segment_fixed_size 0
		.amdhsa_kernarg_size 136
		.amdhsa_user_sgpr_count 15
		.amdhsa_user_sgpr_dispatch_ptr 0
		.amdhsa_user_sgpr_queue_ptr 0
		.amdhsa_user_sgpr_kernarg_segment_ptr 1
		.amdhsa_user_sgpr_dispatch_id 0
		.amdhsa_user_sgpr_private_segment_size 0
		.amdhsa_wavefront_size32 1
		.amdhsa_uses_dynamic_stack 0
		.amdhsa_enable_private_segment 0
		.amdhsa_system_sgpr_workgroup_id_x 1
		.amdhsa_system_sgpr_workgroup_id_y 0
		.amdhsa_system_sgpr_workgroup_id_z 0
		.amdhsa_system_sgpr_workgroup_info 0
		.amdhsa_system_vgpr_workitem_id 0
		.amdhsa_next_free_vgpr 1
		.amdhsa_next_free_sgpr 1
		.amdhsa_reserve_vcc 0
		.amdhsa_float_round_mode_32 0
		.amdhsa_float_round_mode_16_64 0
		.amdhsa_float_denorm_mode_32 3
		.amdhsa_float_denorm_mode_16_64 3
		.amdhsa_dx10_clamp 1
		.amdhsa_ieee_mode 1
		.amdhsa_fp16_overflow 0
		.amdhsa_workgroup_processor_mode 1
		.amdhsa_memory_ordered 1
		.amdhsa_forward_progress 0
		.amdhsa_shared_vgpr_count 0
		.amdhsa_exception_fp_ieee_invalid_op 0
		.amdhsa_exception_fp_denorm_src 0
		.amdhsa_exception_fp_ieee_div_zero 0
		.amdhsa_exception_fp_ieee_overflow 0
		.amdhsa_exception_fp_ieee_underflow 0
		.amdhsa_exception_fp_ieee_inexact 0
		.amdhsa_exception_int_div_zero 0
	.end_amdhsa_kernel
	.section	.text._ZN7rocprim17ROCPRIM_400000_NS6detail17trampoline_kernelINS0_14default_configENS1_25partition_config_selectorILNS1_17partition_subalgoE9EllbEEZZNS1_14partition_implILS5_9ELb0ES3_jPlS8_PNS0_10empty_typeENS0_5tupleIJS8_S9_EEENSB_IJS8_SA_EEENS0_18inequality_wrapperIZN2at6native12_GLOBAL__N_124unique_dim_cuda_templateIaEESt5tupleIJNSF_6TensorESK_SK_EERKSK_lbbbEUlllE0_EEPmJS9_EEE10hipError_tPvRmT3_T4_T5_T6_T7_T9_mT8_P12ihipStream_tbDpT10_ENKUlT_T0_E_clISt17integral_constantIbLb1EES1A_EEDaS15_S16_EUlS15_E_NS1_11comp_targetILNS1_3genE0ELNS1_11target_archE4294967295ELNS1_3gpuE0ELNS1_3repE0EEENS1_30default_config_static_selectorELNS0_4arch9wavefront6targetE0EEEvT1_,"axG",@progbits,_ZN7rocprim17ROCPRIM_400000_NS6detail17trampoline_kernelINS0_14default_configENS1_25partition_config_selectorILNS1_17partition_subalgoE9EllbEEZZNS1_14partition_implILS5_9ELb0ES3_jPlS8_PNS0_10empty_typeENS0_5tupleIJS8_S9_EEENSB_IJS8_SA_EEENS0_18inequality_wrapperIZN2at6native12_GLOBAL__N_124unique_dim_cuda_templateIaEESt5tupleIJNSF_6TensorESK_SK_EERKSK_lbbbEUlllE0_EEPmJS9_EEE10hipError_tPvRmT3_T4_T5_T6_T7_T9_mT8_P12ihipStream_tbDpT10_ENKUlT_T0_E_clISt17integral_constantIbLb1EES1A_EEDaS15_S16_EUlS15_E_NS1_11comp_targetILNS1_3genE0ELNS1_11target_archE4294967295ELNS1_3gpuE0ELNS1_3repE0EEENS1_30default_config_static_selectorELNS0_4arch9wavefront6targetE0EEEvT1_,comdat
.Lfunc_end359:
	.size	_ZN7rocprim17ROCPRIM_400000_NS6detail17trampoline_kernelINS0_14default_configENS1_25partition_config_selectorILNS1_17partition_subalgoE9EllbEEZZNS1_14partition_implILS5_9ELb0ES3_jPlS8_PNS0_10empty_typeENS0_5tupleIJS8_S9_EEENSB_IJS8_SA_EEENS0_18inequality_wrapperIZN2at6native12_GLOBAL__N_124unique_dim_cuda_templateIaEESt5tupleIJNSF_6TensorESK_SK_EERKSK_lbbbEUlllE0_EEPmJS9_EEE10hipError_tPvRmT3_T4_T5_T6_T7_T9_mT8_P12ihipStream_tbDpT10_ENKUlT_T0_E_clISt17integral_constantIbLb1EES1A_EEDaS15_S16_EUlS15_E_NS1_11comp_targetILNS1_3genE0ELNS1_11target_archE4294967295ELNS1_3gpuE0ELNS1_3repE0EEENS1_30default_config_static_selectorELNS0_4arch9wavefront6targetE0EEEvT1_, .Lfunc_end359-_ZN7rocprim17ROCPRIM_400000_NS6detail17trampoline_kernelINS0_14default_configENS1_25partition_config_selectorILNS1_17partition_subalgoE9EllbEEZZNS1_14partition_implILS5_9ELb0ES3_jPlS8_PNS0_10empty_typeENS0_5tupleIJS8_S9_EEENSB_IJS8_SA_EEENS0_18inequality_wrapperIZN2at6native12_GLOBAL__N_124unique_dim_cuda_templateIaEESt5tupleIJNSF_6TensorESK_SK_EERKSK_lbbbEUlllE0_EEPmJS9_EEE10hipError_tPvRmT3_T4_T5_T6_T7_T9_mT8_P12ihipStream_tbDpT10_ENKUlT_T0_E_clISt17integral_constantIbLb1EES1A_EEDaS15_S16_EUlS15_E_NS1_11comp_targetILNS1_3genE0ELNS1_11target_archE4294967295ELNS1_3gpuE0ELNS1_3repE0EEENS1_30default_config_static_selectorELNS0_4arch9wavefront6targetE0EEEvT1_
                                        ; -- End function
	.section	.AMDGPU.csdata,"",@progbits
; Kernel info:
; codeLenInByte = 0
; NumSgprs: 0
; NumVgprs: 0
; ScratchSize: 0
; MemoryBound: 0
; FloatMode: 240
; IeeeMode: 1
; LDSByteSize: 0 bytes/workgroup (compile time only)
; SGPRBlocks: 0
; VGPRBlocks: 0
; NumSGPRsForWavesPerEU: 1
; NumVGPRsForWavesPerEU: 1
; Occupancy: 16
; WaveLimiterHint : 0
; COMPUTE_PGM_RSRC2:SCRATCH_EN: 0
; COMPUTE_PGM_RSRC2:USER_SGPR: 15
; COMPUTE_PGM_RSRC2:TRAP_HANDLER: 0
; COMPUTE_PGM_RSRC2:TGID_X_EN: 1
; COMPUTE_PGM_RSRC2:TGID_Y_EN: 0
; COMPUTE_PGM_RSRC2:TGID_Z_EN: 0
; COMPUTE_PGM_RSRC2:TIDIG_COMP_CNT: 0
	.section	.text._ZN7rocprim17ROCPRIM_400000_NS6detail17trampoline_kernelINS0_14default_configENS1_25partition_config_selectorILNS1_17partition_subalgoE9EllbEEZZNS1_14partition_implILS5_9ELb0ES3_jPlS8_PNS0_10empty_typeENS0_5tupleIJS8_S9_EEENSB_IJS8_SA_EEENS0_18inequality_wrapperIZN2at6native12_GLOBAL__N_124unique_dim_cuda_templateIaEESt5tupleIJNSF_6TensorESK_SK_EERKSK_lbbbEUlllE0_EEPmJS9_EEE10hipError_tPvRmT3_T4_T5_T6_T7_T9_mT8_P12ihipStream_tbDpT10_ENKUlT_T0_E_clISt17integral_constantIbLb1EES1A_EEDaS15_S16_EUlS15_E_NS1_11comp_targetILNS1_3genE5ELNS1_11target_archE942ELNS1_3gpuE9ELNS1_3repE0EEENS1_30default_config_static_selectorELNS0_4arch9wavefront6targetE0EEEvT1_,"axG",@progbits,_ZN7rocprim17ROCPRIM_400000_NS6detail17trampoline_kernelINS0_14default_configENS1_25partition_config_selectorILNS1_17partition_subalgoE9EllbEEZZNS1_14partition_implILS5_9ELb0ES3_jPlS8_PNS0_10empty_typeENS0_5tupleIJS8_S9_EEENSB_IJS8_SA_EEENS0_18inequality_wrapperIZN2at6native12_GLOBAL__N_124unique_dim_cuda_templateIaEESt5tupleIJNSF_6TensorESK_SK_EERKSK_lbbbEUlllE0_EEPmJS9_EEE10hipError_tPvRmT3_T4_T5_T6_T7_T9_mT8_P12ihipStream_tbDpT10_ENKUlT_T0_E_clISt17integral_constantIbLb1EES1A_EEDaS15_S16_EUlS15_E_NS1_11comp_targetILNS1_3genE5ELNS1_11target_archE942ELNS1_3gpuE9ELNS1_3repE0EEENS1_30default_config_static_selectorELNS0_4arch9wavefront6targetE0EEEvT1_,comdat
	.globl	_ZN7rocprim17ROCPRIM_400000_NS6detail17trampoline_kernelINS0_14default_configENS1_25partition_config_selectorILNS1_17partition_subalgoE9EllbEEZZNS1_14partition_implILS5_9ELb0ES3_jPlS8_PNS0_10empty_typeENS0_5tupleIJS8_S9_EEENSB_IJS8_SA_EEENS0_18inequality_wrapperIZN2at6native12_GLOBAL__N_124unique_dim_cuda_templateIaEESt5tupleIJNSF_6TensorESK_SK_EERKSK_lbbbEUlllE0_EEPmJS9_EEE10hipError_tPvRmT3_T4_T5_T6_T7_T9_mT8_P12ihipStream_tbDpT10_ENKUlT_T0_E_clISt17integral_constantIbLb1EES1A_EEDaS15_S16_EUlS15_E_NS1_11comp_targetILNS1_3genE5ELNS1_11target_archE942ELNS1_3gpuE9ELNS1_3repE0EEENS1_30default_config_static_selectorELNS0_4arch9wavefront6targetE0EEEvT1_ ; -- Begin function _ZN7rocprim17ROCPRIM_400000_NS6detail17trampoline_kernelINS0_14default_configENS1_25partition_config_selectorILNS1_17partition_subalgoE9EllbEEZZNS1_14partition_implILS5_9ELb0ES3_jPlS8_PNS0_10empty_typeENS0_5tupleIJS8_S9_EEENSB_IJS8_SA_EEENS0_18inequality_wrapperIZN2at6native12_GLOBAL__N_124unique_dim_cuda_templateIaEESt5tupleIJNSF_6TensorESK_SK_EERKSK_lbbbEUlllE0_EEPmJS9_EEE10hipError_tPvRmT3_T4_T5_T6_T7_T9_mT8_P12ihipStream_tbDpT10_ENKUlT_T0_E_clISt17integral_constantIbLb1EES1A_EEDaS15_S16_EUlS15_E_NS1_11comp_targetILNS1_3genE5ELNS1_11target_archE942ELNS1_3gpuE9ELNS1_3repE0EEENS1_30default_config_static_selectorELNS0_4arch9wavefront6targetE0EEEvT1_
	.p2align	8
	.type	_ZN7rocprim17ROCPRIM_400000_NS6detail17trampoline_kernelINS0_14default_configENS1_25partition_config_selectorILNS1_17partition_subalgoE9EllbEEZZNS1_14partition_implILS5_9ELb0ES3_jPlS8_PNS0_10empty_typeENS0_5tupleIJS8_S9_EEENSB_IJS8_SA_EEENS0_18inequality_wrapperIZN2at6native12_GLOBAL__N_124unique_dim_cuda_templateIaEESt5tupleIJNSF_6TensorESK_SK_EERKSK_lbbbEUlllE0_EEPmJS9_EEE10hipError_tPvRmT3_T4_T5_T6_T7_T9_mT8_P12ihipStream_tbDpT10_ENKUlT_T0_E_clISt17integral_constantIbLb1EES1A_EEDaS15_S16_EUlS15_E_NS1_11comp_targetILNS1_3genE5ELNS1_11target_archE942ELNS1_3gpuE9ELNS1_3repE0EEENS1_30default_config_static_selectorELNS0_4arch9wavefront6targetE0EEEvT1_,@function
_ZN7rocprim17ROCPRIM_400000_NS6detail17trampoline_kernelINS0_14default_configENS1_25partition_config_selectorILNS1_17partition_subalgoE9EllbEEZZNS1_14partition_implILS5_9ELb0ES3_jPlS8_PNS0_10empty_typeENS0_5tupleIJS8_S9_EEENSB_IJS8_SA_EEENS0_18inequality_wrapperIZN2at6native12_GLOBAL__N_124unique_dim_cuda_templateIaEESt5tupleIJNSF_6TensorESK_SK_EERKSK_lbbbEUlllE0_EEPmJS9_EEE10hipError_tPvRmT3_T4_T5_T6_T7_T9_mT8_P12ihipStream_tbDpT10_ENKUlT_T0_E_clISt17integral_constantIbLb1EES1A_EEDaS15_S16_EUlS15_E_NS1_11comp_targetILNS1_3genE5ELNS1_11target_archE942ELNS1_3gpuE9ELNS1_3repE0EEENS1_30default_config_static_selectorELNS0_4arch9wavefront6targetE0EEEvT1_: ; @_ZN7rocprim17ROCPRIM_400000_NS6detail17trampoline_kernelINS0_14default_configENS1_25partition_config_selectorILNS1_17partition_subalgoE9EllbEEZZNS1_14partition_implILS5_9ELb0ES3_jPlS8_PNS0_10empty_typeENS0_5tupleIJS8_S9_EEENSB_IJS8_SA_EEENS0_18inequality_wrapperIZN2at6native12_GLOBAL__N_124unique_dim_cuda_templateIaEESt5tupleIJNSF_6TensorESK_SK_EERKSK_lbbbEUlllE0_EEPmJS9_EEE10hipError_tPvRmT3_T4_T5_T6_T7_T9_mT8_P12ihipStream_tbDpT10_ENKUlT_T0_E_clISt17integral_constantIbLb1EES1A_EEDaS15_S16_EUlS15_E_NS1_11comp_targetILNS1_3genE5ELNS1_11target_archE942ELNS1_3gpuE9ELNS1_3repE0EEENS1_30default_config_static_selectorELNS0_4arch9wavefront6targetE0EEEvT1_
; %bb.0:
	.section	.rodata,"a",@progbits
	.p2align	6, 0x0
	.amdhsa_kernel _ZN7rocprim17ROCPRIM_400000_NS6detail17trampoline_kernelINS0_14default_configENS1_25partition_config_selectorILNS1_17partition_subalgoE9EllbEEZZNS1_14partition_implILS5_9ELb0ES3_jPlS8_PNS0_10empty_typeENS0_5tupleIJS8_S9_EEENSB_IJS8_SA_EEENS0_18inequality_wrapperIZN2at6native12_GLOBAL__N_124unique_dim_cuda_templateIaEESt5tupleIJNSF_6TensorESK_SK_EERKSK_lbbbEUlllE0_EEPmJS9_EEE10hipError_tPvRmT3_T4_T5_T6_T7_T9_mT8_P12ihipStream_tbDpT10_ENKUlT_T0_E_clISt17integral_constantIbLb1EES1A_EEDaS15_S16_EUlS15_E_NS1_11comp_targetILNS1_3genE5ELNS1_11target_archE942ELNS1_3gpuE9ELNS1_3repE0EEENS1_30default_config_static_selectorELNS0_4arch9wavefront6targetE0EEEvT1_
		.amdhsa_group_segment_fixed_size 0
		.amdhsa_private_segment_fixed_size 0
		.amdhsa_kernarg_size 136
		.amdhsa_user_sgpr_count 15
		.amdhsa_user_sgpr_dispatch_ptr 0
		.amdhsa_user_sgpr_queue_ptr 0
		.amdhsa_user_sgpr_kernarg_segment_ptr 1
		.amdhsa_user_sgpr_dispatch_id 0
		.amdhsa_user_sgpr_private_segment_size 0
		.amdhsa_wavefront_size32 1
		.amdhsa_uses_dynamic_stack 0
		.amdhsa_enable_private_segment 0
		.amdhsa_system_sgpr_workgroup_id_x 1
		.amdhsa_system_sgpr_workgroup_id_y 0
		.amdhsa_system_sgpr_workgroup_id_z 0
		.amdhsa_system_sgpr_workgroup_info 0
		.amdhsa_system_vgpr_workitem_id 0
		.amdhsa_next_free_vgpr 1
		.amdhsa_next_free_sgpr 1
		.amdhsa_reserve_vcc 0
		.amdhsa_float_round_mode_32 0
		.amdhsa_float_round_mode_16_64 0
		.amdhsa_float_denorm_mode_32 3
		.amdhsa_float_denorm_mode_16_64 3
		.amdhsa_dx10_clamp 1
		.amdhsa_ieee_mode 1
		.amdhsa_fp16_overflow 0
		.amdhsa_workgroup_processor_mode 1
		.amdhsa_memory_ordered 1
		.amdhsa_forward_progress 0
		.amdhsa_shared_vgpr_count 0
		.amdhsa_exception_fp_ieee_invalid_op 0
		.amdhsa_exception_fp_denorm_src 0
		.amdhsa_exception_fp_ieee_div_zero 0
		.amdhsa_exception_fp_ieee_overflow 0
		.amdhsa_exception_fp_ieee_underflow 0
		.amdhsa_exception_fp_ieee_inexact 0
		.amdhsa_exception_int_div_zero 0
	.end_amdhsa_kernel
	.section	.text._ZN7rocprim17ROCPRIM_400000_NS6detail17trampoline_kernelINS0_14default_configENS1_25partition_config_selectorILNS1_17partition_subalgoE9EllbEEZZNS1_14partition_implILS5_9ELb0ES3_jPlS8_PNS0_10empty_typeENS0_5tupleIJS8_S9_EEENSB_IJS8_SA_EEENS0_18inequality_wrapperIZN2at6native12_GLOBAL__N_124unique_dim_cuda_templateIaEESt5tupleIJNSF_6TensorESK_SK_EERKSK_lbbbEUlllE0_EEPmJS9_EEE10hipError_tPvRmT3_T4_T5_T6_T7_T9_mT8_P12ihipStream_tbDpT10_ENKUlT_T0_E_clISt17integral_constantIbLb1EES1A_EEDaS15_S16_EUlS15_E_NS1_11comp_targetILNS1_3genE5ELNS1_11target_archE942ELNS1_3gpuE9ELNS1_3repE0EEENS1_30default_config_static_selectorELNS0_4arch9wavefront6targetE0EEEvT1_,"axG",@progbits,_ZN7rocprim17ROCPRIM_400000_NS6detail17trampoline_kernelINS0_14default_configENS1_25partition_config_selectorILNS1_17partition_subalgoE9EllbEEZZNS1_14partition_implILS5_9ELb0ES3_jPlS8_PNS0_10empty_typeENS0_5tupleIJS8_S9_EEENSB_IJS8_SA_EEENS0_18inequality_wrapperIZN2at6native12_GLOBAL__N_124unique_dim_cuda_templateIaEESt5tupleIJNSF_6TensorESK_SK_EERKSK_lbbbEUlllE0_EEPmJS9_EEE10hipError_tPvRmT3_T4_T5_T6_T7_T9_mT8_P12ihipStream_tbDpT10_ENKUlT_T0_E_clISt17integral_constantIbLb1EES1A_EEDaS15_S16_EUlS15_E_NS1_11comp_targetILNS1_3genE5ELNS1_11target_archE942ELNS1_3gpuE9ELNS1_3repE0EEENS1_30default_config_static_selectorELNS0_4arch9wavefront6targetE0EEEvT1_,comdat
.Lfunc_end360:
	.size	_ZN7rocprim17ROCPRIM_400000_NS6detail17trampoline_kernelINS0_14default_configENS1_25partition_config_selectorILNS1_17partition_subalgoE9EllbEEZZNS1_14partition_implILS5_9ELb0ES3_jPlS8_PNS0_10empty_typeENS0_5tupleIJS8_S9_EEENSB_IJS8_SA_EEENS0_18inequality_wrapperIZN2at6native12_GLOBAL__N_124unique_dim_cuda_templateIaEESt5tupleIJNSF_6TensorESK_SK_EERKSK_lbbbEUlllE0_EEPmJS9_EEE10hipError_tPvRmT3_T4_T5_T6_T7_T9_mT8_P12ihipStream_tbDpT10_ENKUlT_T0_E_clISt17integral_constantIbLb1EES1A_EEDaS15_S16_EUlS15_E_NS1_11comp_targetILNS1_3genE5ELNS1_11target_archE942ELNS1_3gpuE9ELNS1_3repE0EEENS1_30default_config_static_selectorELNS0_4arch9wavefront6targetE0EEEvT1_, .Lfunc_end360-_ZN7rocprim17ROCPRIM_400000_NS6detail17trampoline_kernelINS0_14default_configENS1_25partition_config_selectorILNS1_17partition_subalgoE9EllbEEZZNS1_14partition_implILS5_9ELb0ES3_jPlS8_PNS0_10empty_typeENS0_5tupleIJS8_S9_EEENSB_IJS8_SA_EEENS0_18inequality_wrapperIZN2at6native12_GLOBAL__N_124unique_dim_cuda_templateIaEESt5tupleIJNSF_6TensorESK_SK_EERKSK_lbbbEUlllE0_EEPmJS9_EEE10hipError_tPvRmT3_T4_T5_T6_T7_T9_mT8_P12ihipStream_tbDpT10_ENKUlT_T0_E_clISt17integral_constantIbLb1EES1A_EEDaS15_S16_EUlS15_E_NS1_11comp_targetILNS1_3genE5ELNS1_11target_archE942ELNS1_3gpuE9ELNS1_3repE0EEENS1_30default_config_static_selectorELNS0_4arch9wavefront6targetE0EEEvT1_
                                        ; -- End function
	.section	.AMDGPU.csdata,"",@progbits
; Kernel info:
; codeLenInByte = 0
; NumSgprs: 0
; NumVgprs: 0
; ScratchSize: 0
; MemoryBound: 0
; FloatMode: 240
; IeeeMode: 1
; LDSByteSize: 0 bytes/workgroup (compile time only)
; SGPRBlocks: 0
; VGPRBlocks: 0
; NumSGPRsForWavesPerEU: 1
; NumVGPRsForWavesPerEU: 1
; Occupancy: 16
; WaveLimiterHint : 0
; COMPUTE_PGM_RSRC2:SCRATCH_EN: 0
; COMPUTE_PGM_RSRC2:USER_SGPR: 15
; COMPUTE_PGM_RSRC2:TRAP_HANDLER: 0
; COMPUTE_PGM_RSRC2:TGID_X_EN: 1
; COMPUTE_PGM_RSRC2:TGID_Y_EN: 0
; COMPUTE_PGM_RSRC2:TGID_Z_EN: 0
; COMPUTE_PGM_RSRC2:TIDIG_COMP_CNT: 0
	.section	.text._ZN7rocprim17ROCPRIM_400000_NS6detail17trampoline_kernelINS0_14default_configENS1_25partition_config_selectorILNS1_17partition_subalgoE9EllbEEZZNS1_14partition_implILS5_9ELb0ES3_jPlS8_PNS0_10empty_typeENS0_5tupleIJS8_S9_EEENSB_IJS8_SA_EEENS0_18inequality_wrapperIZN2at6native12_GLOBAL__N_124unique_dim_cuda_templateIaEESt5tupleIJNSF_6TensorESK_SK_EERKSK_lbbbEUlllE0_EEPmJS9_EEE10hipError_tPvRmT3_T4_T5_T6_T7_T9_mT8_P12ihipStream_tbDpT10_ENKUlT_T0_E_clISt17integral_constantIbLb1EES1A_EEDaS15_S16_EUlS15_E_NS1_11comp_targetILNS1_3genE4ELNS1_11target_archE910ELNS1_3gpuE8ELNS1_3repE0EEENS1_30default_config_static_selectorELNS0_4arch9wavefront6targetE0EEEvT1_,"axG",@progbits,_ZN7rocprim17ROCPRIM_400000_NS6detail17trampoline_kernelINS0_14default_configENS1_25partition_config_selectorILNS1_17partition_subalgoE9EllbEEZZNS1_14partition_implILS5_9ELb0ES3_jPlS8_PNS0_10empty_typeENS0_5tupleIJS8_S9_EEENSB_IJS8_SA_EEENS0_18inequality_wrapperIZN2at6native12_GLOBAL__N_124unique_dim_cuda_templateIaEESt5tupleIJNSF_6TensorESK_SK_EERKSK_lbbbEUlllE0_EEPmJS9_EEE10hipError_tPvRmT3_T4_T5_T6_T7_T9_mT8_P12ihipStream_tbDpT10_ENKUlT_T0_E_clISt17integral_constantIbLb1EES1A_EEDaS15_S16_EUlS15_E_NS1_11comp_targetILNS1_3genE4ELNS1_11target_archE910ELNS1_3gpuE8ELNS1_3repE0EEENS1_30default_config_static_selectorELNS0_4arch9wavefront6targetE0EEEvT1_,comdat
	.globl	_ZN7rocprim17ROCPRIM_400000_NS6detail17trampoline_kernelINS0_14default_configENS1_25partition_config_selectorILNS1_17partition_subalgoE9EllbEEZZNS1_14partition_implILS5_9ELb0ES3_jPlS8_PNS0_10empty_typeENS0_5tupleIJS8_S9_EEENSB_IJS8_SA_EEENS0_18inequality_wrapperIZN2at6native12_GLOBAL__N_124unique_dim_cuda_templateIaEESt5tupleIJNSF_6TensorESK_SK_EERKSK_lbbbEUlllE0_EEPmJS9_EEE10hipError_tPvRmT3_T4_T5_T6_T7_T9_mT8_P12ihipStream_tbDpT10_ENKUlT_T0_E_clISt17integral_constantIbLb1EES1A_EEDaS15_S16_EUlS15_E_NS1_11comp_targetILNS1_3genE4ELNS1_11target_archE910ELNS1_3gpuE8ELNS1_3repE0EEENS1_30default_config_static_selectorELNS0_4arch9wavefront6targetE0EEEvT1_ ; -- Begin function _ZN7rocprim17ROCPRIM_400000_NS6detail17trampoline_kernelINS0_14default_configENS1_25partition_config_selectorILNS1_17partition_subalgoE9EllbEEZZNS1_14partition_implILS5_9ELb0ES3_jPlS8_PNS0_10empty_typeENS0_5tupleIJS8_S9_EEENSB_IJS8_SA_EEENS0_18inequality_wrapperIZN2at6native12_GLOBAL__N_124unique_dim_cuda_templateIaEESt5tupleIJNSF_6TensorESK_SK_EERKSK_lbbbEUlllE0_EEPmJS9_EEE10hipError_tPvRmT3_T4_T5_T6_T7_T9_mT8_P12ihipStream_tbDpT10_ENKUlT_T0_E_clISt17integral_constantIbLb1EES1A_EEDaS15_S16_EUlS15_E_NS1_11comp_targetILNS1_3genE4ELNS1_11target_archE910ELNS1_3gpuE8ELNS1_3repE0EEENS1_30default_config_static_selectorELNS0_4arch9wavefront6targetE0EEEvT1_
	.p2align	8
	.type	_ZN7rocprim17ROCPRIM_400000_NS6detail17trampoline_kernelINS0_14default_configENS1_25partition_config_selectorILNS1_17partition_subalgoE9EllbEEZZNS1_14partition_implILS5_9ELb0ES3_jPlS8_PNS0_10empty_typeENS0_5tupleIJS8_S9_EEENSB_IJS8_SA_EEENS0_18inequality_wrapperIZN2at6native12_GLOBAL__N_124unique_dim_cuda_templateIaEESt5tupleIJNSF_6TensorESK_SK_EERKSK_lbbbEUlllE0_EEPmJS9_EEE10hipError_tPvRmT3_T4_T5_T6_T7_T9_mT8_P12ihipStream_tbDpT10_ENKUlT_T0_E_clISt17integral_constantIbLb1EES1A_EEDaS15_S16_EUlS15_E_NS1_11comp_targetILNS1_3genE4ELNS1_11target_archE910ELNS1_3gpuE8ELNS1_3repE0EEENS1_30default_config_static_selectorELNS0_4arch9wavefront6targetE0EEEvT1_,@function
_ZN7rocprim17ROCPRIM_400000_NS6detail17trampoline_kernelINS0_14default_configENS1_25partition_config_selectorILNS1_17partition_subalgoE9EllbEEZZNS1_14partition_implILS5_9ELb0ES3_jPlS8_PNS0_10empty_typeENS0_5tupleIJS8_S9_EEENSB_IJS8_SA_EEENS0_18inequality_wrapperIZN2at6native12_GLOBAL__N_124unique_dim_cuda_templateIaEESt5tupleIJNSF_6TensorESK_SK_EERKSK_lbbbEUlllE0_EEPmJS9_EEE10hipError_tPvRmT3_T4_T5_T6_T7_T9_mT8_P12ihipStream_tbDpT10_ENKUlT_T0_E_clISt17integral_constantIbLb1EES1A_EEDaS15_S16_EUlS15_E_NS1_11comp_targetILNS1_3genE4ELNS1_11target_archE910ELNS1_3gpuE8ELNS1_3repE0EEENS1_30default_config_static_selectorELNS0_4arch9wavefront6targetE0EEEvT1_: ; @_ZN7rocprim17ROCPRIM_400000_NS6detail17trampoline_kernelINS0_14default_configENS1_25partition_config_selectorILNS1_17partition_subalgoE9EllbEEZZNS1_14partition_implILS5_9ELb0ES3_jPlS8_PNS0_10empty_typeENS0_5tupleIJS8_S9_EEENSB_IJS8_SA_EEENS0_18inequality_wrapperIZN2at6native12_GLOBAL__N_124unique_dim_cuda_templateIaEESt5tupleIJNSF_6TensorESK_SK_EERKSK_lbbbEUlllE0_EEPmJS9_EEE10hipError_tPvRmT3_T4_T5_T6_T7_T9_mT8_P12ihipStream_tbDpT10_ENKUlT_T0_E_clISt17integral_constantIbLb1EES1A_EEDaS15_S16_EUlS15_E_NS1_11comp_targetILNS1_3genE4ELNS1_11target_archE910ELNS1_3gpuE8ELNS1_3repE0EEENS1_30default_config_static_selectorELNS0_4arch9wavefront6targetE0EEEvT1_
; %bb.0:
	.section	.rodata,"a",@progbits
	.p2align	6, 0x0
	.amdhsa_kernel _ZN7rocprim17ROCPRIM_400000_NS6detail17trampoline_kernelINS0_14default_configENS1_25partition_config_selectorILNS1_17partition_subalgoE9EllbEEZZNS1_14partition_implILS5_9ELb0ES3_jPlS8_PNS0_10empty_typeENS0_5tupleIJS8_S9_EEENSB_IJS8_SA_EEENS0_18inequality_wrapperIZN2at6native12_GLOBAL__N_124unique_dim_cuda_templateIaEESt5tupleIJNSF_6TensorESK_SK_EERKSK_lbbbEUlllE0_EEPmJS9_EEE10hipError_tPvRmT3_T4_T5_T6_T7_T9_mT8_P12ihipStream_tbDpT10_ENKUlT_T0_E_clISt17integral_constantIbLb1EES1A_EEDaS15_S16_EUlS15_E_NS1_11comp_targetILNS1_3genE4ELNS1_11target_archE910ELNS1_3gpuE8ELNS1_3repE0EEENS1_30default_config_static_selectorELNS0_4arch9wavefront6targetE0EEEvT1_
		.amdhsa_group_segment_fixed_size 0
		.amdhsa_private_segment_fixed_size 0
		.amdhsa_kernarg_size 136
		.amdhsa_user_sgpr_count 15
		.amdhsa_user_sgpr_dispatch_ptr 0
		.amdhsa_user_sgpr_queue_ptr 0
		.amdhsa_user_sgpr_kernarg_segment_ptr 1
		.amdhsa_user_sgpr_dispatch_id 0
		.amdhsa_user_sgpr_private_segment_size 0
		.amdhsa_wavefront_size32 1
		.amdhsa_uses_dynamic_stack 0
		.amdhsa_enable_private_segment 0
		.amdhsa_system_sgpr_workgroup_id_x 1
		.amdhsa_system_sgpr_workgroup_id_y 0
		.amdhsa_system_sgpr_workgroup_id_z 0
		.amdhsa_system_sgpr_workgroup_info 0
		.amdhsa_system_vgpr_workitem_id 0
		.amdhsa_next_free_vgpr 1
		.amdhsa_next_free_sgpr 1
		.amdhsa_reserve_vcc 0
		.amdhsa_float_round_mode_32 0
		.amdhsa_float_round_mode_16_64 0
		.amdhsa_float_denorm_mode_32 3
		.amdhsa_float_denorm_mode_16_64 3
		.amdhsa_dx10_clamp 1
		.amdhsa_ieee_mode 1
		.amdhsa_fp16_overflow 0
		.amdhsa_workgroup_processor_mode 1
		.amdhsa_memory_ordered 1
		.amdhsa_forward_progress 0
		.amdhsa_shared_vgpr_count 0
		.amdhsa_exception_fp_ieee_invalid_op 0
		.amdhsa_exception_fp_denorm_src 0
		.amdhsa_exception_fp_ieee_div_zero 0
		.amdhsa_exception_fp_ieee_overflow 0
		.amdhsa_exception_fp_ieee_underflow 0
		.amdhsa_exception_fp_ieee_inexact 0
		.amdhsa_exception_int_div_zero 0
	.end_amdhsa_kernel
	.section	.text._ZN7rocprim17ROCPRIM_400000_NS6detail17trampoline_kernelINS0_14default_configENS1_25partition_config_selectorILNS1_17partition_subalgoE9EllbEEZZNS1_14partition_implILS5_9ELb0ES3_jPlS8_PNS0_10empty_typeENS0_5tupleIJS8_S9_EEENSB_IJS8_SA_EEENS0_18inequality_wrapperIZN2at6native12_GLOBAL__N_124unique_dim_cuda_templateIaEESt5tupleIJNSF_6TensorESK_SK_EERKSK_lbbbEUlllE0_EEPmJS9_EEE10hipError_tPvRmT3_T4_T5_T6_T7_T9_mT8_P12ihipStream_tbDpT10_ENKUlT_T0_E_clISt17integral_constantIbLb1EES1A_EEDaS15_S16_EUlS15_E_NS1_11comp_targetILNS1_3genE4ELNS1_11target_archE910ELNS1_3gpuE8ELNS1_3repE0EEENS1_30default_config_static_selectorELNS0_4arch9wavefront6targetE0EEEvT1_,"axG",@progbits,_ZN7rocprim17ROCPRIM_400000_NS6detail17trampoline_kernelINS0_14default_configENS1_25partition_config_selectorILNS1_17partition_subalgoE9EllbEEZZNS1_14partition_implILS5_9ELb0ES3_jPlS8_PNS0_10empty_typeENS0_5tupleIJS8_S9_EEENSB_IJS8_SA_EEENS0_18inequality_wrapperIZN2at6native12_GLOBAL__N_124unique_dim_cuda_templateIaEESt5tupleIJNSF_6TensorESK_SK_EERKSK_lbbbEUlllE0_EEPmJS9_EEE10hipError_tPvRmT3_T4_T5_T6_T7_T9_mT8_P12ihipStream_tbDpT10_ENKUlT_T0_E_clISt17integral_constantIbLb1EES1A_EEDaS15_S16_EUlS15_E_NS1_11comp_targetILNS1_3genE4ELNS1_11target_archE910ELNS1_3gpuE8ELNS1_3repE0EEENS1_30default_config_static_selectorELNS0_4arch9wavefront6targetE0EEEvT1_,comdat
.Lfunc_end361:
	.size	_ZN7rocprim17ROCPRIM_400000_NS6detail17trampoline_kernelINS0_14default_configENS1_25partition_config_selectorILNS1_17partition_subalgoE9EllbEEZZNS1_14partition_implILS5_9ELb0ES3_jPlS8_PNS0_10empty_typeENS0_5tupleIJS8_S9_EEENSB_IJS8_SA_EEENS0_18inequality_wrapperIZN2at6native12_GLOBAL__N_124unique_dim_cuda_templateIaEESt5tupleIJNSF_6TensorESK_SK_EERKSK_lbbbEUlllE0_EEPmJS9_EEE10hipError_tPvRmT3_T4_T5_T6_T7_T9_mT8_P12ihipStream_tbDpT10_ENKUlT_T0_E_clISt17integral_constantIbLb1EES1A_EEDaS15_S16_EUlS15_E_NS1_11comp_targetILNS1_3genE4ELNS1_11target_archE910ELNS1_3gpuE8ELNS1_3repE0EEENS1_30default_config_static_selectorELNS0_4arch9wavefront6targetE0EEEvT1_, .Lfunc_end361-_ZN7rocprim17ROCPRIM_400000_NS6detail17trampoline_kernelINS0_14default_configENS1_25partition_config_selectorILNS1_17partition_subalgoE9EllbEEZZNS1_14partition_implILS5_9ELb0ES3_jPlS8_PNS0_10empty_typeENS0_5tupleIJS8_S9_EEENSB_IJS8_SA_EEENS0_18inequality_wrapperIZN2at6native12_GLOBAL__N_124unique_dim_cuda_templateIaEESt5tupleIJNSF_6TensorESK_SK_EERKSK_lbbbEUlllE0_EEPmJS9_EEE10hipError_tPvRmT3_T4_T5_T6_T7_T9_mT8_P12ihipStream_tbDpT10_ENKUlT_T0_E_clISt17integral_constantIbLb1EES1A_EEDaS15_S16_EUlS15_E_NS1_11comp_targetILNS1_3genE4ELNS1_11target_archE910ELNS1_3gpuE8ELNS1_3repE0EEENS1_30default_config_static_selectorELNS0_4arch9wavefront6targetE0EEEvT1_
                                        ; -- End function
	.section	.AMDGPU.csdata,"",@progbits
; Kernel info:
; codeLenInByte = 0
; NumSgprs: 0
; NumVgprs: 0
; ScratchSize: 0
; MemoryBound: 0
; FloatMode: 240
; IeeeMode: 1
; LDSByteSize: 0 bytes/workgroup (compile time only)
; SGPRBlocks: 0
; VGPRBlocks: 0
; NumSGPRsForWavesPerEU: 1
; NumVGPRsForWavesPerEU: 1
; Occupancy: 16
; WaveLimiterHint : 0
; COMPUTE_PGM_RSRC2:SCRATCH_EN: 0
; COMPUTE_PGM_RSRC2:USER_SGPR: 15
; COMPUTE_PGM_RSRC2:TRAP_HANDLER: 0
; COMPUTE_PGM_RSRC2:TGID_X_EN: 1
; COMPUTE_PGM_RSRC2:TGID_Y_EN: 0
; COMPUTE_PGM_RSRC2:TGID_Z_EN: 0
; COMPUTE_PGM_RSRC2:TIDIG_COMP_CNT: 0
	.section	.text._ZN7rocprim17ROCPRIM_400000_NS6detail17trampoline_kernelINS0_14default_configENS1_25partition_config_selectorILNS1_17partition_subalgoE9EllbEEZZNS1_14partition_implILS5_9ELb0ES3_jPlS8_PNS0_10empty_typeENS0_5tupleIJS8_S9_EEENSB_IJS8_SA_EEENS0_18inequality_wrapperIZN2at6native12_GLOBAL__N_124unique_dim_cuda_templateIaEESt5tupleIJNSF_6TensorESK_SK_EERKSK_lbbbEUlllE0_EEPmJS9_EEE10hipError_tPvRmT3_T4_T5_T6_T7_T9_mT8_P12ihipStream_tbDpT10_ENKUlT_T0_E_clISt17integral_constantIbLb1EES1A_EEDaS15_S16_EUlS15_E_NS1_11comp_targetILNS1_3genE3ELNS1_11target_archE908ELNS1_3gpuE7ELNS1_3repE0EEENS1_30default_config_static_selectorELNS0_4arch9wavefront6targetE0EEEvT1_,"axG",@progbits,_ZN7rocprim17ROCPRIM_400000_NS6detail17trampoline_kernelINS0_14default_configENS1_25partition_config_selectorILNS1_17partition_subalgoE9EllbEEZZNS1_14partition_implILS5_9ELb0ES3_jPlS8_PNS0_10empty_typeENS0_5tupleIJS8_S9_EEENSB_IJS8_SA_EEENS0_18inequality_wrapperIZN2at6native12_GLOBAL__N_124unique_dim_cuda_templateIaEESt5tupleIJNSF_6TensorESK_SK_EERKSK_lbbbEUlllE0_EEPmJS9_EEE10hipError_tPvRmT3_T4_T5_T6_T7_T9_mT8_P12ihipStream_tbDpT10_ENKUlT_T0_E_clISt17integral_constantIbLb1EES1A_EEDaS15_S16_EUlS15_E_NS1_11comp_targetILNS1_3genE3ELNS1_11target_archE908ELNS1_3gpuE7ELNS1_3repE0EEENS1_30default_config_static_selectorELNS0_4arch9wavefront6targetE0EEEvT1_,comdat
	.globl	_ZN7rocprim17ROCPRIM_400000_NS6detail17trampoline_kernelINS0_14default_configENS1_25partition_config_selectorILNS1_17partition_subalgoE9EllbEEZZNS1_14partition_implILS5_9ELb0ES3_jPlS8_PNS0_10empty_typeENS0_5tupleIJS8_S9_EEENSB_IJS8_SA_EEENS0_18inequality_wrapperIZN2at6native12_GLOBAL__N_124unique_dim_cuda_templateIaEESt5tupleIJNSF_6TensorESK_SK_EERKSK_lbbbEUlllE0_EEPmJS9_EEE10hipError_tPvRmT3_T4_T5_T6_T7_T9_mT8_P12ihipStream_tbDpT10_ENKUlT_T0_E_clISt17integral_constantIbLb1EES1A_EEDaS15_S16_EUlS15_E_NS1_11comp_targetILNS1_3genE3ELNS1_11target_archE908ELNS1_3gpuE7ELNS1_3repE0EEENS1_30default_config_static_selectorELNS0_4arch9wavefront6targetE0EEEvT1_ ; -- Begin function _ZN7rocprim17ROCPRIM_400000_NS6detail17trampoline_kernelINS0_14default_configENS1_25partition_config_selectorILNS1_17partition_subalgoE9EllbEEZZNS1_14partition_implILS5_9ELb0ES3_jPlS8_PNS0_10empty_typeENS0_5tupleIJS8_S9_EEENSB_IJS8_SA_EEENS0_18inequality_wrapperIZN2at6native12_GLOBAL__N_124unique_dim_cuda_templateIaEESt5tupleIJNSF_6TensorESK_SK_EERKSK_lbbbEUlllE0_EEPmJS9_EEE10hipError_tPvRmT3_T4_T5_T6_T7_T9_mT8_P12ihipStream_tbDpT10_ENKUlT_T0_E_clISt17integral_constantIbLb1EES1A_EEDaS15_S16_EUlS15_E_NS1_11comp_targetILNS1_3genE3ELNS1_11target_archE908ELNS1_3gpuE7ELNS1_3repE0EEENS1_30default_config_static_selectorELNS0_4arch9wavefront6targetE0EEEvT1_
	.p2align	8
	.type	_ZN7rocprim17ROCPRIM_400000_NS6detail17trampoline_kernelINS0_14default_configENS1_25partition_config_selectorILNS1_17partition_subalgoE9EllbEEZZNS1_14partition_implILS5_9ELb0ES3_jPlS8_PNS0_10empty_typeENS0_5tupleIJS8_S9_EEENSB_IJS8_SA_EEENS0_18inequality_wrapperIZN2at6native12_GLOBAL__N_124unique_dim_cuda_templateIaEESt5tupleIJNSF_6TensorESK_SK_EERKSK_lbbbEUlllE0_EEPmJS9_EEE10hipError_tPvRmT3_T4_T5_T6_T7_T9_mT8_P12ihipStream_tbDpT10_ENKUlT_T0_E_clISt17integral_constantIbLb1EES1A_EEDaS15_S16_EUlS15_E_NS1_11comp_targetILNS1_3genE3ELNS1_11target_archE908ELNS1_3gpuE7ELNS1_3repE0EEENS1_30default_config_static_selectorELNS0_4arch9wavefront6targetE0EEEvT1_,@function
_ZN7rocprim17ROCPRIM_400000_NS6detail17trampoline_kernelINS0_14default_configENS1_25partition_config_selectorILNS1_17partition_subalgoE9EllbEEZZNS1_14partition_implILS5_9ELb0ES3_jPlS8_PNS0_10empty_typeENS0_5tupleIJS8_S9_EEENSB_IJS8_SA_EEENS0_18inequality_wrapperIZN2at6native12_GLOBAL__N_124unique_dim_cuda_templateIaEESt5tupleIJNSF_6TensorESK_SK_EERKSK_lbbbEUlllE0_EEPmJS9_EEE10hipError_tPvRmT3_T4_T5_T6_T7_T9_mT8_P12ihipStream_tbDpT10_ENKUlT_T0_E_clISt17integral_constantIbLb1EES1A_EEDaS15_S16_EUlS15_E_NS1_11comp_targetILNS1_3genE3ELNS1_11target_archE908ELNS1_3gpuE7ELNS1_3repE0EEENS1_30default_config_static_selectorELNS0_4arch9wavefront6targetE0EEEvT1_: ; @_ZN7rocprim17ROCPRIM_400000_NS6detail17trampoline_kernelINS0_14default_configENS1_25partition_config_selectorILNS1_17partition_subalgoE9EllbEEZZNS1_14partition_implILS5_9ELb0ES3_jPlS8_PNS0_10empty_typeENS0_5tupleIJS8_S9_EEENSB_IJS8_SA_EEENS0_18inequality_wrapperIZN2at6native12_GLOBAL__N_124unique_dim_cuda_templateIaEESt5tupleIJNSF_6TensorESK_SK_EERKSK_lbbbEUlllE0_EEPmJS9_EEE10hipError_tPvRmT3_T4_T5_T6_T7_T9_mT8_P12ihipStream_tbDpT10_ENKUlT_T0_E_clISt17integral_constantIbLb1EES1A_EEDaS15_S16_EUlS15_E_NS1_11comp_targetILNS1_3genE3ELNS1_11target_archE908ELNS1_3gpuE7ELNS1_3repE0EEENS1_30default_config_static_selectorELNS0_4arch9wavefront6targetE0EEEvT1_
; %bb.0:
	.section	.rodata,"a",@progbits
	.p2align	6, 0x0
	.amdhsa_kernel _ZN7rocprim17ROCPRIM_400000_NS6detail17trampoline_kernelINS0_14default_configENS1_25partition_config_selectorILNS1_17partition_subalgoE9EllbEEZZNS1_14partition_implILS5_9ELb0ES3_jPlS8_PNS0_10empty_typeENS0_5tupleIJS8_S9_EEENSB_IJS8_SA_EEENS0_18inequality_wrapperIZN2at6native12_GLOBAL__N_124unique_dim_cuda_templateIaEESt5tupleIJNSF_6TensorESK_SK_EERKSK_lbbbEUlllE0_EEPmJS9_EEE10hipError_tPvRmT3_T4_T5_T6_T7_T9_mT8_P12ihipStream_tbDpT10_ENKUlT_T0_E_clISt17integral_constantIbLb1EES1A_EEDaS15_S16_EUlS15_E_NS1_11comp_targetILNS1_3genE3ELNS1_11target_archE908ELNS1_3gpuE7ELNS1_3repE0EEENS1_30default_config_static_selectorELNS0_4arch9wavefront6targetE0EEEvT1_
		.amdhsa_group_segment_fixed_size 0
		.amdhsa_private_segment_fixed_size 0
		.amdhsa_kernarg_size 136
		.amdhsa_user_sgpr_count 15
		.amdhsa_user_sgpr_dispatch_ptr 0
		.amdhsa_user_sgpr_queue_ptr 0
		.amdhsa_user_sgpr_kernarg_segment_ptr 1
		.amdhsa_user_sgpr_dispatch_id 0
		.amdhsa_user_sgpr_private_segment_size 0
		.amdhsa_wavefront_size32 1
		.amdhsa_uses_dynamic_stack 0
		.amdhsa_enable_private_segment 0
		.amdhsa_system_sgpr_workgroup_id_x 1
		.amdhsa_system_sgpr_workgroup_id_y 0
		.amdhsa_system_sgpr_workgroup_id_z 0
		.amdhsa_system_sgpr_workgroup_info 0
		.amdhsa_system_vgpr_workitem_id 0
		.amdhsa_next_free_vgpr 1
		.amdhsa_next_free_sgpr 1
		.amdhsa_reserve_vcc 0
		.amdhsa_float_round_mode_32 0
		.amdhsa_float_round_mode_16_64 0
		.amdhsa_float_denorm_mode_32 3
		.amdhsa_float_denorm_mode_16_64 3
		.amdhsa_dx10_clamp 1
		.amdhsa_ieee_mode 1
		.amdhsa_fp16_overflow 0
		.amdhsa_workgroup_processor_mode 1
		.amdhsa_memory_ordered 1
		.amdhsa_forward_progress 0
		.amdhsa_shared_vgpr_count 0
		.amdhsa_exception_fp_ieee_invalid_op 0
		.amdhsa_exception_fp_denorm_src 0
		.amdhsa_exception_fp_ieee_div_zero 0
		.amdhsa_exception_fp_ieee_overflow 0
		.amdhsa_exception_fp_ieee_underflow 0
		.amdhsa_exception_fp_ieee_inexact 0
		.amdhsa_exception_int_div_zero 0
	.end_amdhsa_kernel
	.section	.text._ZN7rocprim17ROCPRIM_400000_NS6detail17trampoline_kernelINS0_14default_configENS1_25partition_config_selectorILNS1_17partition_subalgoE9EllbEEZZNS1_14partition_implILS5_9ELb0ES3_jPlS8_PNS0_10empty_typeENS0_5tupleIJS8_S9_EEENSB_IJS8_SA_EEENS0_18inequality_wrapperIZN2at6native12_GLOBAL__N_124unique_dim_cuda_templateIaEESt5tupleIJNSF_6TensorESK_SK_EERKSK_lbbbEUlllE0_EEPmJS9_EEE10hipError_tPvRmT3_T4_T5_T6_T7_T9_mT8_P12ihipStream_tbDpT10_ENKUlT_T0_E_clISt17integral_constantIbLb1EES1A_EEDaS15_S16_EUlS15_E_NS1_11comp_targetILNS1_3genE3ELNS1_11target_archE908ELNS1_3gpuE7ELNS1_3repE0EEENS1_30default_config_static_selectorELNS0_4arch9wavefront6targetE0EEEvT1_,"axG",@progbits,_ZN7rocprim17ROCPRIM_400000_NS6detail17trampoline_kernelINS0_14default_configENS1_25partition_config_selectorILNS1_17partition_subalgoE9EllbEEZZNS1_14partition_implILS5_9ELb0ES3_jPlS8_PNS0_10empty_typeENS0_5tupleIJS8_S9_EEENSB_IJS8_SA_EEENS0_18inequality_wrapperIZN2at6native12_GLOBAL__N_124unique_dim_cuda_templateIaEESt5tupleIJNSF_6TensorESK_SK_EERKSK_lbbbEUlllE0_EEPmJS9_EEE10hipError_tPvRmT3_T4_T5_T6_T7_T9_mT8_P12ihipStream_tbDpT10_ENKUlT_T0_E_clISt17integral_constantIbLb1EES1A_EEDaS15_S16_EUlS15_E_NS1_11comp_targetILNS1_3genE3ELNS1_11target_archE908ELNS1_3gpuE7ELNS1_3repE0EEENS1_30default_config_static_selectorELNS0_4arch9wavefront6targetE0EEEvT1_,comdat
.Lfunc_end362:
	.size	_ZN7rocprim17ROCPRIM_400000_NS6detail17trampoline_kernelINS0_14default_configENS1_25partition_config_selectorILNS1_17partition_subalgoE9EllbEEZZNS1_14partition_implILS5_9ELb0ES3_jPlS8_PNS0_10empty_typeENS0_5tupleIJS8_S9_EEENSB_IJS8_SA_EEENS0_18inequality_wrapperIZN2at6native12_GLOBAL__N_124unique_dim_cuda_templateIaEESt5tupleIJNSF_6TensorESK_SK_EERKSK_lbbbEUlllE0_EEPmJS9_EEE10hipError_tPvRmT3_T4_T5_T6_T7_T9_mT8_P12ihipStream_tbDpT10_ENKUlT_T0_E_clISt17integral_constantIbLb1EES1A_EEDaS15_S16_EUlS15_E_NS1_11comp_targetILNS1_3genE3ELNS1_11target_archE908ELNS1_3gpuE7ELNS1_3repE0EEENS1_30default_config_static_selectorELNS0_4arch9wavefront6targetE0EEEvT1_, .Lfunc_end362-_ZN7rocprim17ROCPRIM_400000_NS6detail17trampoline_kernelINS0_14default_configENS1_25partition_config_selectorILNS1_17partition_subalgoE9EllbEEZZNS1_14partition_implILS5_9ELb0ES3_jPlS8_PNS0_10empty_typeENS0_5tupleIJS8_S9_EEENSB_IJS8_SA_EEENS0_18inequality_wrapperIZN2at6native12_GLOBAL__N_124unique_dim_cuda_templateIaEESt5tupleIJNSF_6TensorESK_SK_EERKSK_lbbbEUlllE0_EEPmJS9_EEE10hipError_tPvRmT3_T4_T5_T6_T7_T9_mT8_P12ihipStream_tbDpT10_ENKUlT_T0_E_clISt17integral_constantIbLb1EES1A_EEDaS15_S16_EUlS15_E_NS1_11comp_targetILNS1_3genE3ELNS1_11target_archE908ELNS1_3gpuE7ELNS1_3repE0EEENS1_30default_config_static_selectorELNS0_4arch9wavefront6targetE0EEEvT1_
                                        ; -- End function
	.section	.AMDGPU.csdata,"",@progbits
; Kernel info:
; codeLenInByte = 0
; NumSgprs: 0
; NumVgprs: 0
; ScratchSize: 0
; MemoryBound: 0
; FloatMode: 240
; IeeeMode: 1
; LDSByteSize: 0 bytes/workgroup (compile time only)
; SGPRBlocks: 0
; VGPRBlocks: 0
; NumSGPRsForWavesPerEU: 1
; NumVGPRsForWavesPerEU: 1
; Occupancy: 16
; WaveLimiterHint : 0
; COMPUTE_PGM_RSRC2:SCRATCH_EN: 0
; COMPUTE_PGM_RSRC2:USER_SGPR: 15
; COMPUTE_PGM_RSRC2:TRAP_HANDLER: 0
; COMPUTE_PGM_RSRC2:TGID_X_EN: 1
; COMPUTE_PGM_RSRC2:TGID_Y_EN: 0
; COMPUTE_PGM_RSRC2:TGID_Z_EN: 0
; COMPUTE_PGM_RSRC2:TIDIG_COMP_CNT: 0
	.section	.text._ZN7rocprim17ROCPRIM_400000_NS6detail17trampoline_kernelINS0_14default_configENS1_25partition_config_selectorILNS1_17partition_subalgoE9EllbEEZZNS1_14partition_implILS5_9ELb0ES3_jPlS8_PNS0_10empty_typeENS0_5tupleIJS8_S9_EEENSB_IJS8_SA_EEENS0_18inequality_wrapperIZN2at6native12_GLOBAL__N_124unique_dim_cuda_templateIaEESt5tupleIJNSF_6TensorESK_SK_EERKSK_lbbbEUlllE0_EEPmJS9_EEE10hipError_tPvRmT3_T4_T5_T6_T7_T9_mT8_P12ihipStream_tbDpT10_ENKUlT_T0_E_clISt17integral_constantIbLb1EES1A_EEDaS15_S16_EUlS15_E_NS1_11comp_targetILNS1_3genE2ELNS1_11target_archE906ELNS1_3gpuE6ELNS1_3repE0EEENS1_30default_config_static_selectorELNS0_4arch9wavefront6targetE0EEEvT1_,"axG",@progbits,_ZN7rocprim17ROCPRIM_400000_NS6detail17trampoline_kernelINS0_14default_configENS1_25partition_config_selectorILNS1_17partition_subalgoE9EllbEEZZNS1_14partition_implILS5_9ELb0ES3_jPlS8_PNS0_10empty_typeENS0_5tupleIJS8_S9_EEENSB_IJS8_SA_EEENS0_18inequality_wrapperIZN2at6native12_GLOBAL__N_124unique_dim_cuda_templateIaEESt5tupleIJNSF_6TensorESK_SK_EERKSK_lbbbEUlllE0_EEPmJS9_EEE10hipError_tPvRmT3_T4_T5_T6_T7_T9_mT8_P12ihipStream_tbDpT10_ENKUlT_T0_E_clISt17integral_constantIbLb1EES1A_EEDaS15_S16_EUlS15_E_NS1_11comp_targetILNS1_3genE2ELNS1_11target_archE906ELNS1_3gpuE6ELNS1_3repE0EEENS1_30default_config_static_selectorELNS0_4arch9wavefront6targetE0EEEvT1_,comdat
	.globl	_ZN7rocprim17ROCPRIM_400000_NS6detail17trampoline_kernelINS0_14default_configENS1_25partition_config_selectorILNS1_17partition_subalgoE9EllbEEZZNS1_14partition_implILS5_9ELb0ES3_jPlS8_PNS0_10empty_typeENS0_5tupleIJS8_S9_EEENSB_IJS8_SA_EEENS0_18inequality_wrapperIZN2at6native12_GLOBAL__N_124unique_dim_cuda_templateIaEESt5tupleIJNSF_6TensorESK_SK_EERKSK_lbbbEUlllE0_EEPmJS9_EEE10hipError_tPvRmT3_T4_T5_T6_T7_T9_mT8_P12ihipStream_tbDpT10_ENKUlT_T0_E_clISt17integral_constantIbLb1EES1A_EEDaS15_S16_EUlS15_E_NS1_11comp_targetILNS1_3genE2ELNS1_11target_archE906ELNS1_3gpuE6ELNS1_3repE0EEENS1_30default_config_static_selectorELNS0_4arch9wavefront6targetE0EEEvT1_ ; -- Begin function _ZN7rocprim17ROCPRIM_400000_NS6detail17trampoline_kernelINS0_14default_configENS1_25partition_config_selectorILNS1_17partition_subalgoE9EllbEEZZNS1_14partition_implILS5_9ELb0ES3_jPlS8_PNS0_10empty_typeENS0_5tupleIJS8_S9_EEENSB_IJS8_SA_EEENS0_18inequality_wrapperIZN2at6native12_GLOBAL__N_124unique_dim_cuda_templateIaEESt5tupleIJNSF_6TensorESK_SK_EERKSK_lbbbEUlllE0_EEPmJS9_EEE10hipError_tPvRmT3_T4_T5_T6_T7_T9_mT8_P12ihipStream_tbDpT10_ENKUlT_T0_E_clISt17integral_constantIbLb1EES1A_EEDaS15_S16_EUlS15_E_NS1_11comp_targetILNS1_3genE2ELNS1_11target_archE906ELNS1_3gpuE6ELNS1_3repE0EEENS1_30default_config_static_selectorELNS0_4arch9wavefront6targetE0EEEvT1_
	.p2align	8
	.type	_ZN7rocprim17ROCPRIM_400000_NS6detail17trampoline_kernelINS0_14default_configENS1_25partition_config_selectorILNS1_17partition_subalgoE9EllbEEZZNS1_14partition_implILS5_9ELb0ES3_jPlS8_PNS0_10empty_typeENS0_5tupleIJS8_S9_EEENSB_IJS8_SA_EEENS0_18inequality_wrapperIZN2at6native12_GLOBAL__N_124unique_dim_cuda_templateIaEESt5tupleIJNSF_6TensorESK_SK_EERKSK_lbbbEUlllE0_EEPmJS9_EEE10hipError_tPvRmT3_T4_T5_T6_T7_T9_mT8_P12ihipStream_tbDpT10_ENKUlT_T0_E_clISt17integral_constantIbLb1EES1A_EEDaS15_S16_EUlS15_E_NS1_11comp_targetILNS1_3genE2ELNS1_11target_archE906ELNS1_3gpuE6ELNS1_3repE0EEENS1_30default_config_static_selectorELNS0_4arch9wavefront6targetE0EEEvT1_,@function
_ZN7rocprim17ROCPRIM_400000_NS6detail17trampoline_kernelINS0_14default_configENS1_25partition_config_selectorILNS1_17partition_subalgoE9EllbEEZZNS1_14partition_implILS5_9ELb0ES3_jPlS8_PNS0_10empty_typeENS0_5tupleIJS8_S9_EEENSB_IJS8_SA_EEENS0_18inequality_wrapperIZN2at6native12_GLOBAL__N_124unique_dim_cuda_templateIaEESt5tupleIJNSF_6TensorESK_SK_EERKSK_lbbbEUlllE0_EEPmJS9_EEE10hipError_tPvRmT3_T4_T5_T6_T7_T9_mT8_P12ihipStream_tbDpT10_ENKUlT_T0_E_clISt17integral_constantIbLb1EES1A_EEDaS15_S16_EUlS15_E_NS1_11comp_targetILNS1_3genE2ELNS1_11target_archE906ELNS1_3gpuE6ELNS1_3repE0EEENS1_30default_config_static_selectorELNS0_4arch9wavefront6targetE0EEEvT1_: ; @_ZN7rocprim17ROCPRIM_400000_NS6detail17trampoline_kernelINS0_14default_configENS1_25partition_config_selectorILNS1_17partition_subalgoE9EllbEEZZNS1_14partition_implILS5_9ELb0ES3_jPlS8_PNS0_10empty_typeENS0_5tupleIJS8_S9_EEENSB_IJS8_SA_EEENS0_18inequality_wrapperIZN2at6native12_GLOBAL__N_124unique_dim_cuda_templateIaEESt5tupleIJNSF_6TensorESK_SK_EERKSK_lbbbEUlllE0_EEPmJS9_EEE10hipError_tPvRmT3_T4_T5_T6_T7_T9_mT8_P12ihipStream_tbDpT10_ENKUlT_T0_E_clISt17integral_constantIbLb1EES1A_EEDaS15_S16_EUlS15_E_NS1_11comp_targetILNS1_3genE2ELNS1_11target_archE906ELNS1_3gpuE6ELNS1_3repE0EEENS1_30default_config_static_selectorELNS0_4arch9wavefront6targetE0EEEvT1_
; %bb.0:
	.section	.rodata,"a",@progbits
	.p2align	6, 0x0
	.amdhsa_kernel _ZN7rocprim17ROCPRIM_400000_NS6detail17trampoline_kernelINS0_14default_configENS1_25partition_config_selectorILNS1_17partition_subalgoE9EllbEEZZNS1_14partition_implILS5_9ELb0ES3_jPlS8_PNS0_10empty_typeENS0_5tupleIJS8_S9_EEENSB_IJS8_SA_EEENS0_18inequality_wrapperIZN2at6native12_GLOBAL__N_124unique_dim_cuda_templateIaEESt5tupleIJNSF_6TensorESK_SK_EERKSK_lbbbEUlllE0_EEPmJS9_EEE10hipError_tPvRmT3_T4_T5_T6_T7_T9_mT8_P12ihipStream_tbDpT10_ENKUlT_T0_E_clISt17integral_constantIbLb1EES1A_EEDaS15_S16_EUlS15_E_NS1_11comp_targetILNS1_3genE2ELNS1_11target_archE906ELNS1_3gpuE6ELNS1_3repE0EEENS1_30default_config_static_selectorELNS0_4arch9wavefront6targetE0EEEvT1_
		.amdhsa_group_segment_fixed_size 0
		.amdhsa_private_segment_fixed_size 0
		.amdhsa_kernarg_size 136
		.amdhsa_user_sgpr_count 15
		.amdhsa_user_sgpr_dispatch_ptr 0
		.amdhsa_user_sgpr_queue_ptr 0
		.amdhsa_user_sgpr_kernarg_segment_ptr 1
		.amdhsa_user_sgpr_dispatch_id 0
		.amdhsa_user_sgpr_private_segment_size 0
		.amdhsa_wavefront_size32 1
		.amdhsa_uses_dynamic_stack 0
		.amdhsa_enable_private_segment 0
		.amdhsa_system_sgpr_workgroup_id_x 1
		.amdhsa_system_sgpr_workgroup_id_y 0
		.amdhsa_system_sgpr_workgroup_id_z 0
		.amdhsa_system_sgpr_workgroup_info 0
		.amdhsa_system_vgpr_workitem_id 0
		.amdhsa_next_free_vgpr 1
		.amdhsa_next_free_sgpr 1
		.amdhsa_reserve_vcc 0
		.amdhsa_float_round_mode_32 0
		.amdhsa_float_round_mode_16_64 0
		.amdhsa_float_denorm_mode_32 3
		.amdhsa_float_denorm_mode_16_64 3
		.amdhsa_dx10_clamp 1
		.amdhsa_ieee_mode 1
		.amdhsa_fp16_overflow 0
		.amdhsa_workgroup_processor_mode 1
		.amdhsa_memory_ordered 1
		.amdhsa_forward_progress 0
		.amdhsa_shared_vgpr_count 0
		.amdhsa_exception_fp_ieee_invalid_op 0
		.amdhsa_exception_fp_denorm_src 0
		.amdhsa_exception_fp_ieee_div_zero 0
		.amdhsa_exception_fp_ieee_overflow 0
		.amdhsa_exception_fp_ieee_underflow 0
		.amdhsa_exception_fp_ieee_inexact 0
		.amdhsa_exception_int_div_zero 0
	.end_amdhsa_kernel
	.section	.text._ZN7rocprim17ROCPRIM_400000_NS6detail17trampoline_kernelINS0_14default_configENS1_25partition_config_selectorILNS1_17partition_subalgoE9EllbEEZZNS1_14partition_implILS5_9ELb0ES3_jPlS8_PNS0_10empty_typeENS0_5tupleIJS8_S9_EEENSB_IJS8_SA_EEENS0_18inequality_wrapperIZN2at6native12_GLOBAL__N_124unique_dim_cuda_templateIaEESt5tupleIJNSF_6TensorESK_SK_EERKSK_lbbbEUlllE0_EEPmJS9_EEE10hipError_tPvRmT3_T4_T5_T6_T7_T9_mT8_P12ihipStream_tbDpT10_ENKUlT_T0_E_clISt17integral_constantIbLb1EES1A_EEDaS15_S16_EUlS15_E_NS1_11comp_targetILNS1_3genE2ELNS1_11target_archE906ELNS1_3gpuE6ELNS1_3repE0EEENS1_30default_config_static_selectorELNS0_4arch9wavefront6targetE0EEEvT1_,"axG",@progbits,_ZN7rocprim17ROCPRIM_400000_NS6detail17trampoline_kernelINS0_14default_configENS1_25partition_config_selectorILNS1_17partition_subalgoE9EllbEEZZNS1_14partition_implILS5_9ELb0ES3_jPlS8_PNS0_10empty_typeENS0_5tupleIJS8_S9_EEENSB_IJS8_SA_EEENS0_18inequality_wrapperIZN2at6native12_GLOBAL__N_124unique_dim_cuda_templateIaEESt5tupleIJNSF_6TensorESK_SK_EERKSK_lbbbEUlllE0_EEPmJS9_EEE10hipError_tPvRmT3_T4_T5_T6_T7_T9_mT8_P12ihipStream_tbDpT10_ENKUlT_T0_E_clISt17integral_constantIbLb1EES1A_EEDaS15_S16_EUlS15_E_NS1_11comp_targetILNS1_3genE2ELNS1_11target_archE906ELNS1_3gpuE6ELNS1_3repE0EEENS1_30default_config_static_selectorELNS0_4arch9wavefront6targetE0EEEvT1_,comdat
.Lfunc_end363:
	.size	_ZN7rocprim17ROCPRIM_400000_NS6detail17trampoline_kernelINS0_14default_configENS1_25partition_config_selectorILNS1_17partition_subalgoE9EllbEEZZNS1_14partition_implILS5_9ELb0ES3_jPlS8_PNS0_10empty_typeENS0_5tupleIJS8_S9_EEENSB_IJS8_SA_EEENS0_18inequality_wrapperIZN2at6native12_GLOBAL__N_124unique_dim_cuda_templateIaEESt5tupleIJNSF_6TensorESK_SK_EERKSK_lbbbEUlllE0_EEPmJS9_EEE10hipError_tPvRmT3_T4_T5_T6_T7_T9_mT8_P12ihipStream_tbDpT10_ENKUlT_T0_E_clISt17integral_constantIbLb1EES1A_EEDaS15_S16_EUlS15_E_NS1_11comp_targetILNS1_3genE2ELNS1_11target_archE906ELNS1_3gpuE6ELNS1_3repE0EEENS1_30default_config_static_selectorELNS0_4arch9wavefront6targetE0EEEvT1_, .Lfunc_end363-_ZN7rocprim17ROCPRIM_400000_NS6detail17trampoline_kernelINS0_14default_configENS1_25partition_config_selectorILNS1_17partition_subalgoE9EllbEEZZNS1_14partition_implILS5_9ELb0ES3_jPlS8_PNS0_10empty_typeENS0_5tupleIJS8_S9_EEENSB_IJS8_SA_EEENS0_18inequality_wrapperIZN2at6native12_GLOBAL__N_124unique_dim_cuda_templateIaEESt5tupleIJNSF_6TensorESK_SK_EERKSK_lbbbEUlllE0_EEPmJS9_EEE10hipError_tPvRmT3_T4_T5_T6_T7_T9_mT8_P12ihipStream_tbDpT10_ENKUlT_T0_E_clISt17integral_constantIbLb1EES1A_EEDaS15_S16_EUlS15_E_NS1_11comp_targetILNS1_3genE2ELNS1_11target_archE906ELNS1_3gpuE6ELNS1_3repE0EEENS1_30default_config_static_selectorELNS0_4arch9wavefront6targetE0EEEvT1_
                                        ; -- End function
	.section	.AMDGPU.csdata,"",@progbits
; Kernel info:
; codeLenInByte = 0
; NumSgprs: 0
; NumVgprs: 0
; ScratchSize: 0
; MemoryBound: 0
; FloatMode: 240
; IeeeMode: 1
; LDSByteSize: 0 bytes/workgroup (compile time only)
; SGPRBlocks: 0
; VGPRBlocks: 0
; NumSGPRsForWavesPerEU: 1
; NumVGPRsForWavesPerEU: 1
; Occupancy: 15
; WaveLimiterHint : 0
; COMPUTE_PGM_RSRC2:SCRATCH_EN: 0
; COMPUTE_PGM_RSRC2:USER_SGPR: 15
; COMPUTE_PGM_RSRC2:TRAP_HANDLER: 0
; COMPUTE_PGM_RSRC2:TGID_X_EN: 1
; COMPUTE_PGM_RSRC2:TGID_Y_EN: 0
; COMPUTE_PGM_RSRC2:TGID_Z_EN: 0
; COMPUTE_PGM_RSRC2:TIDIG_COMP_CNT: 0
	.section	.text._ZN7rocprim17ROCPRIM_400000_NS6detail17trampoline_kernelINS0_14default_configENS1_25partition_config_selectorILNS1_17partition_subalgoE9EllbEEZZNS1_14partition_implILS5_9ELb0ES3_jPlS8_PNS0_10empty_typeENS0_5tupleIJS8_S9_EEENSB_IJS8_SA_EEENS0_18inequality_wrapperIZN2at6native12_GLOBAL__N_124unique_dim_cuda_templateIaEESt5tupleIJNSF_6TensorESK_SK_EERKSK_lbbbEUlllE0_EEPmJS9_EEE10hipError_tPvRmT3_T4_T5_T6_T7_T9_mT8_P12ihipStream_tbDpT10_ENKUlT_T0_E_clISt17integral_constantIbLb1EES1A_EEDaS15_S16_EUlS15_E_NS1_11comp_targetILNS1_3genE10ELNS1_11target_archE1200ELNS1_3gpuE4ELNS1_3repE0EEENS1_30default_config_static_selectorELNS0_4arch9wavefront6targetE0EEEvT1_,"axG",@progbits,_ZN7rocprim17ROCPRIM_400000_NS6detail17trampoline_kernelINS0_14default_configENS1_25partition_config_selectorILNS1_17partition_subalgoE9EllbEEZZNS1_14partition_implILS5_9ELb0ES3_jPlS8_PNS0_10empty_typeENS0_5tupleIJS8_S9_EEENSB_IJS8_SA_EEENS0_18inequality_wrapperIZN2at6native12_GLOBAL__N_124unique_dim_cuda_templateIaEESt5tupleIJNSF_6TensorESK_SK_EERKSK_lbbbEUlllE0_EEPmJS9_EEE10hipError_tPvRmT3_T4_T5_T6_T7_T9_mT8_P12ihipStream_tbDpT10_ENKUlT_T0_E_clISt17integral_constantIbLb1EES1A_EEDaS15_S16_EUlS15_E_NS1_11comp_targetILNS1_3genE10ELNS1_11target_archE1200ELNS1_3gpuE4ELNS1_3repE0EEENS1_30default_config_static_selectorELNS0_4arch9wavefront6targetE0EEEvT1_,comdat
	.globl	_ZN7rocprim17ROCPRIM_400000_NS6detail17trampoline_kernelINS0_14default_configENS1_25partition_config_selectorILNS1_17partition_subalgoE9EllbEEZZNS1_14partition_implILS5_9ELb0ES3_jPlS8_PNS0_10empty_typeENS0_5tupleIJS8_S9_EEENSB_IJS8_SA_EEENS0_18inequality_wrapperIZN2at6native12_GLOBAL__N_124unique_dim_cuda_templateIaEESt5tupleIJNSF_6TensorESK_SK_EERKSK_lbbbEUlllE0_EEPmJS9_EEE10hipError_tPvRmT3_T4_T5_T6_T7_T9_mT8_P12ihipStream_tbDpT10_ENKUlT_T0_E_clISt17integral_constantIbLb1EES1A_EEDaS15_S16_EUlS15_E_NS1_11comp_targetILNS1_3genE10ELNS1_11target_archE1200ELNS1_3gpuE4ELNS1_3repE0EEENS1_30default_config_static_selectorELNS0_4arch9wavefront6targetE0EEEvT1_ ; -- Begin function _ZN7rocprim17ROCPRIM_400000_NS6detail17trampoline_kernelINS0_14default_configENS1_25partition_config_selectorILNS1_17partition_subalgoE9EllbEEZZNS1_14partition_implILS5_9ELb0ES3_jPlS8_PNS0_10empty_typeENS0_5tupleIJS8_S9_EEENSB_IJS8_SA_EEENS0_18inequality_wrapperIZN2at6native12_GLOBAL__N_124unique_dim_cuda_templateIaEESt5tupleIJNSF_6TensorESK_SK_EERKSK_lbbbEUlllE0_EEPmJS9_EEE10hipError_tPvRmT3_T4_T5_T6_T7_T9_mT8_P12ihipStream_tbDpT10_ENKUlT_T0_E_clISt17integral_constantIbLb1EES1A_EEDaS15_S16_EUlS15_E_NS1_11comp_targetILNS1_3genE10ELNS1_11target_archE1200ELNS1_3gpuE4ELNS1_3repE0EEENS1_30default_config_static_selectorELNS0_4arch9wavefront6targetE0EEEvT1_
	.p2align	8
	.type	_ZN7rocprim17ROCPRIM_400000_NS6detail17trampoline_kernelINS0_14default_configENS1_25partition_config_selectorILNS1_17partition_subalgoE9EllbEEZZNS1_14partition_implILS5_9ELb0ES3_jPlS8_PNS0_10empty_typeENS0_5tupleIJS8_S9_EEENSB_IJS8_SA_EEENS0_18inequality_wrapperIZN2at6native12_GLOBAL__N_124unique_dim_cuda_templateIaEESt5tupleIJNSF_6TensorESK_SK_EERKSK_lbbbEUlllE0_EEPmJS9_EEE10hipError_tPvRmT3_T4_T5_T6_T7_T9_mT8_P12ihipStream_tbDpT10_ENKUlT_T0_E_clISt17integral_constantIbLb1EES1A_EEDaS15_S16_EUlS15_E_NS1_11comp_targetILNS1_3genE10ELNS1_11target_archE1200ELNS1_3gpuE4ELNS1_3repE0EEENS1_30default_config_static_selectorELNS0_4arch9wavefront6targetE0EEEvT1_,@function
_ZN7rocprim17ROCPRIM_400000_NS6detail17trampoline_kernelINS0_14default_configENS1_25partition_config_selectorILNS1_17partition_subalgoE9EllbEEZZNS1_14partition_implILS5_9ELb0ES3_jPlS8_PNS0_10empty_typeENS0_5tupleIJS8_S9_EEENSB_IJS8_SA_EEENS0_18inequality_wrapperIZN2at6native12_GLOBAL__N_124unique_dim_cuda_templateIaEESt5tupleIJNSF_6TensorESK_SK_EERKSK_lbbbEUlllE0_EEPmJS9_EEE10hipError_tPvRmT3_T4_T5_T6_T7_T9_mT8_P12ihipStream_tbDpT10_ENKUlT_T0_E_clISt17integral_constantIbLb1EES1A_EEDaS15_S16_EUlS15_E_NS1_11comp_targetILNS1_3genE10ELNS1_11target_archE1200ELNS1_3gpuE4ELNS1_3repE0EEENS1_30default_config_static_selectorELNS0_4arch9wavefront6targetE0EEEvT1_: ; @_ZN7rocprim17ROCPRIM_400000_NS6detail17trampoline_kernelINS0_14default_configENS1_25partition_config_selectorILNS1_17partition_subalgoE9EllbEEZZNS1_14partition_implILS5_9ELb0ES3_jPlS8_PNS0_10empty_typeENS0_5tupleIJS8_S9_EEENSB_IJS8_SA_EEENS0_18inequality_wrapperIZN2at6native12_GLOBAL__N_124unique_dim_cuda_templateIaEESt5tupleIJNSF_6TensorESK_SK_EERKSK_lbbbEUlllE0_EEPmJS9_EEE10hipError_tPvRmT3_T4_T5_T6_T7_T9_mT8_P12ihipStream_tbDpT10_ENKUlT_T0_E_clISt17integral_constantIbLb1EES1A_EEDaS15_S16_EUlS15_E_NS1_11comp_targetILNS1_3genE10ELNS1_11target_archE1200ELNS1_3gpuE4ELNS1_3repE0EEENS1_30default_config_static_selectorELNS0_4arch9wavefront6targetE0EEEvT1_
; %bb.0:
	.section	.rodata,"a",@progbits
	.p2align	6, 0x0
	.amdhsa_kernel _ZN7rocprim17ROCPRIM_400000_NS6detail17trampoline_kernelINS0_14default_configENS1_25partition_config_selectorILNS1_17partition_subalgoE9EllbEEZZNS1_14partition_implILS5_9ELb0ES3_jPlS8_PNS0_10empty_typeENS0_5tupleIJS8_S9_EEENSB_IJS8_SA_EEENS0_18inequality_wrapperIZN2at6native12_GLOBAL__N_124unique_dim_cuda_templateIaEESt5tupleIJNSF_6TensorESK_SK_EERKSK_lbbbEUlllE0_EEPmJS9_EEE10hipError_tPvRmT3_T4_T5_T6_T7_T9_mT8_P12ihipStream_tbDpT10_ENKUlT_T0_E_clISt17integral_constantIbLb1EES1A_EEDaS15_S16_EUlS15_E_NS1_11comp_targetILNS1_3genE10ELNS1_11target_archE1200ELNS1_3gpuE4ELNS1_3repE0EEENS1_30default_config_static_selectorELNS0_4arch9wavefront6targetE0EEEvT1_
		.amdhsa_group_segment_fixed_size 0
		.amdhsa_private_segment_fixed_size 0
		.amdhsa_kernarg_size 136
		.amdhsa_user_sgpr_count 15
		.amdhsa_user_sgpr_dispatch_ptr 0
		.amdhsa_user_sgpr_queue_ptr 0
		.amdhsa_user_sgpr_kernarg_segment_ptr 1
		.amdhsa_user_sgpr_dispatch_id 0
		.amdhsa_user_sgpr_private_segment_size 0
		.amdhsa_wavefront_size32 1
		.amdhsa_uses_dynamic_stack 0
		.amdhsa_enable_private_segment 0
		.amdhsa_system_sgpr_workgroup_id_x 1
		.amdhsa_system_sgpr_workgroup_id_y 0
		.amdhsa_system_sgpr_workgroup_id_z 0
		.amdhsa_system_sgpr_workgroup_info 0
		.amdhsa_system_vgpr_workitem_id 0
		.amdhsa_next_free_vgpr 1
		.amdhsa_next_free_sgpr 1
		.amdhsa_reserve_vcc 0
		.amdhsa_float_round_mode_32 0
		.amdhsa_float_round_mode_16_64 0
		.amdhsa_float_denorm_mode_32 3
		.amdhsa_float_denorm_mode_16_64 3
		.amdhsa_dx10_clamp 1
		.amdhsa_ieee_mode 1
		.amdhsa_fp16_overflow 0
		.amdhsa_workgroup_processor_mode 1
		.amdhsa_memory_ordered 1
		.amdhsa_forward_progress 0
		.amdhsa_shared_vgpr_count 0
		.amdhsa_exception_fp_ieee_invalid_op 0
		.amdhsa_exception_fp_denorm_src 0
		.amdhsa_exception_fp_ieee_div_zero 0
		.amdhsa_exception_fp_ieee_overflow 0
		.amdhsa_exception_fp_ieee_underflow 0
		.amdhsa_exception_fp_ieee_inexact 0
		.amdhsa_exception_int_div_zero 0
	.end_amdhsa_kernel
	.section	.text._ZN7rocprim17ROCPRIM_400000_NS6detail17trampoline_kernelINS0_14default_configENS1_25partition_config_selectorILNS1_17partition_subalgoE9EllbEEZZNS1_14partition_implILS5_9ELb0ES3_jPlS8_PNS0_10empty_typeENS0_5tupleIJS8_S9_EEENSB_IJS8_SA_EEENS0_18inequality_wrapperIZN2at6native12_GLOBAL__N_124unique_dim_cuda_templateIaEESt5tupleIJNSF_6TensorESK_SK_EERKSK_lbbbEUlllE0_EEPmJS9_EEE10hipError_tPvRmT3_T4_T5_T6_T7_T9_mT8_P12ihipStream_tbDpT10_ENKUlT_T0_E_clISt17integral_constantIbLb1EES1A_EEDaS15_S16_EUlS15_E_NS1_11comp_targetILNS1_3genE10ELNS1_11target_archE1200ELNS1_3gpuE4ELNS1_3repE0EEENS1_30default_config_static_selectorELNS0_4arch9wavefront6targetE0EEEvT1_,"axG",@progbits,_ZN7rocprim17ROCPRIM_400000_NS6detail17trampoline_kernelINS0_14default_configENS1_25partition_config_selectorILNS1_17partition_subalgoE9EllbEEZZNS1_14partition_implILS5_9ELb0ES3_jPlS8_PNS0_10empty_typeENS0_5tupleIJS8_S9_EEENSB_IJS8_SA_EEENS0_18inequality_wrapperIZN2at6native12_GLOBAL__N_124unique_dim_cuda_templateIaEESt5tupleIJNSF_6TensorESK_SK_EERKSK_lbbbEUlllE0_EEPmJS9_EEE10hipError_tPvRmT3_T4_T5_T6_T7_T9_mT8_P12ihipStream_tbDpT10_ENKUlT_T0_E_clISt17integral_constantIbLb1EES1A_EEDaS15_S16_EUlS15_E_NS1_11comp_targetILNS1_3genE10ELNS1_11target_archE1200ELNS1_3gpuE4ELNS1_3repE0EEENS1_30default_config_static_selectorELNS0_4arch9wavefront6targetE0EEEvT1_,comdat
.Lfunc_end364:
	.size	_ZN7rocprim17ROCPRIM_400000_NS6detail17trampoline_kernelINS0_14default_configENS1_25partition_config_selectorILNS1_17partition_subalgoE9EllbEEZZNS1_14partition_implILS5_9ELb0ES3_jPlS8_PNS0_10empty_typeENS0_5tupleIJS8_S9_EEENSB_IJS8_SA_EEENS0_18inequality_wrapperIZN2at6native12_GLOBAL__N_124unique_dim_cuda_templateIaEESt5tupleIJNSF_6TensorESK_SK_EERKSK_lbbbEUlllE0_EEPmJS9_EEE10hipError_tPvRmT3_T4_T5_T6_T7_T9_mT8_P12ihipStream_tbDpT10_ENKUlT_T0_E_clISt17integral_constantIbLb1EES1A_EEDaS15_S16_EUlS15_E_NS1_11comp_targetILNS1_3genE10ELNS1_11target_archE1200ELNS1_3gpuE4ELNS1_3repE0EEENS1_30default_config_static_selectorELNS0_4arch9wavefront6targetE0EEEvT1_, .Lfunc_end364-_ZN7rocprim17ROCPRIM_400000_NS6detail17trampoline_kernelINS0_14default_configENS1_25partition_config_selectorILNS1_17partition_subalgoE9EllbEEZZNS1_14partition_implILS5_9ELb0ES3_jPlS8_PNS0_10empty_typeENS0_5tupleIJS8_S9_EEENSB_IJS8_SA_EEENS0_18inequality_wrapperIZN2at6native12_GLOBAL__N_124unique_dim_cuda_templateIaEESt5tupleIJNSF_6TensorESK_SK_EERKSK_lbbbEUlllE0_EEPmJS9_EEE10hipError_tPvRmT3_T4_T5_T6_T7_T9_mT8_P12ihipStream_tbDpT10_ENKUlT_T0_E_clISt17integral_constantIbLb1EES1A_EEDaS15_S16_EUlS15_E_NS1_11comp_targetILNS1_3genE10ELNS1_11target_archE1200ELNS1_3gpuE4ELNS1_3repE0EEENS1_30default_config_static_selectorELNS0_4arch9wavefront6targetE0EEEvT1_
                                        ; -- End function
	.section	.AMDGPU.csdata,"",@progbits
; Kernel info:
; codeLenInByte = 0
; NumSgprs: 0
; NumVgprs: 0
; ScratchSize: 0
; MemoryBound: 0
; FloatMode: 240
; IeeeMode: 1
; LDSByteSize: 0 bytes/workgroup (compile time only)
; SGPRBlocks: 0
; VGPRBlocks: 0
; NumSGPRsForWavesPerEU: 1
; NumVGPRsForWavesPerEU: 1
; Occupancy: 15
; WaveLimiterHint : 0
; COMPUTE_PGM_RSRC2:SCRATCH_EN: 0
; COMPUTE_PGM_RSRC2:USER_SGPR: 15
; COMPUTE_PGM_RSRC2:TRAP_HANDLER: 0
; COMPUTE_PGM_RSRC2:TGID_X_EN: 1
; COMPUTE_PGM_RSRC2:TGID_Y_EN: 0
; COMPUTE_PGM_RSRC2:TGID_Z_EN: 0
; COMPUTE_PGM_RSRC2:TIDIG_COMP_CNT: 0
	.section	.text._ZN7rocprim17ROCPRIM_400000_NS6detail17trampoline_kernelINS0_14default_configENS1_25partition_config_selectorILNS1_17partition_subalgoE9EllbEEZZNS1_14partition_implILS5_9ELb0ES3_jPlS8_PNS0_10empty_typeENS0_5tupleIJS8_S9_EEENSB_IJS8_SA_EEENS0_18inequality_wrapperIZN2at6native12_GLOBAL__N_124unique_dim_cuda_templateIaEESt5tupleIJNSF_6TensorESK_SK_EERKSK_lbbbEUlllE0_EEPmJS9_EEE10hipError_tPvRmT3_T4_T5_T6_T7_T9_mT8_P12ihipStream_tbDpT10_ENKUlT_T0_E_clISt17integral_constantIbLb1EES1A_EEDaS15_S16_EUlS15_E_NS1_11comp_targetILNS1_3genE9ELNS1_11target_archE1100ELNS1_3gpuE3ELNS1_3repE0EEENS1_30default_config_static_selectorELNS0_4arch9wavefront6targetE0EEEvT1_,"axG",@progbits,_ZN7rocprim17ROCPRIM_400000_NS6detail17trampoline_kernelINS0_14default_configENS1_25partition_config_selectorILNS1_17partition_subalgoE9EllbEEZZNS1_14partition_implILS5_9ELb0ES3_jPlS8_PNS0_10empty_typeENS0_5tupleIJS8_S9_EEENSB_IJS8_SA_EEENS0_18inequality_wrapperIZN2at6native12_GLOBAL__N_124unique_dim_cuda_templateIaEESt5tupleIJNSF_6TensorESK_SK_EERKSK_lbbbEUlllE0_EEPmJS9_EEE10hipError_tPvRmT3_T4_T5_T6_T7_T9_mT8_P12ihipStream_tbDpT10_ENKUlT_T0_E_clISt17integral_constantIbLb1EES1A_EEDaS15_S16_EUlS15_E_NS1_11comp_targetILNS1_3genE9ELNS1_11target_archE1100ELNS1_3gpuE3ELNS1_3repE0EEENS1_30default_config_static_selectorELNS0_4arch9wavefront6targetE0EEEvT1_,comdat
	.globl	_ZN7rocprim17ROCPRIM_400000_NS6detail17trampoline_kernelINS0_14default_configENS1_25partition_config_selectorILNS1_17partition_subalgoE9EllbEEZZNS1_14partition_implILS5_9ELb0ES3_jPlS8_PNS0_10empty_typeENS0_5tupleIJS8_S9_EEENSB_IJS8_SA_EEENS0_18inequality_wrapperIZN2at6native12_GLOBAL__N_124unique_dim_cuda_templateIaEESt5tupleIJNSF_6TensorESK_SK_EERKSK_lbbbEUlllE0_EEPmJS9_EEE10hipError_tPvRmT3_T4_T5_T6_T7_T9_mT8_P12ihipStream_tbDpT10_ENKUlT_T0_E_clISt17integral_constantIbLb1EES1A_EEDaS15_S16_EUlS15_E_NS1_11comp_targetILNS1_3genE9ELNS1_11target_archE1100ELNS1_3gpuE3ELNS1_3repE0EEENS1_30default_config_static_selectorELNS0_4arch9wavefront6targetE0EEEvT1_ ; -- Begin function _ZN7rocprim17ROCPRIM_400000_NS6detail17trampoline_kernelINS0_14default_configENS1_25partition_config_selectorILNS1_17partition_subalgoE9EllbEEZZNS1_14partition_implILS5_9ELb0ES3_jPlS8_PNS0_10empty_typeENS0_5tupleIJS8_S9_EEENSB_IJS8_SA_EEENS0_18inequality_wrapperIZN2at6native12_GLOBAL__N_124unique_dim_cuda_templateIaEESt5tupleIJNSF_6TensorESK_SK_EERKSK_lbbbEUlllE0_EEPmJS9_EEE10hipError_tPvRmT3_T4_T5_T6_T7_T9_mT8_P12ihipStream_tbDpT10_ENKUlT_T0_E_clISt17integral_constantIbLb1EES1A_EEDaS15_S16_EUlS15_E_NS1_11comp_targetILNS1_3genE9ELNS1_11target_archE1100ELNS1_3gpuE3ELNS1_3repE0EEENS1_30default_config_static_selectorELNS0_4arch9wavefront6targetE0EEEvT1_
	.p2align	8
	.type	_ZN7rocprim17ROCPRIM_400000_NS6detail17trampoline_kernelINS0_14default_configENS1_25partition_config_selectorILNS1_17partition_subalgoE9EllbEEZZNS1_14partition_implILS5_9ELb0ES3_jPlS8_PNS0_10empty_typeENS0_5tupleIJS8_S9_EEENSB_IJS8_SA_EEENS0_18inequality_wrapperIZN2at6native12_GLOBAL__N_124unique_dim_cuda_templateIaEESt5tupleIJNSF_6TensorESK_SK_EERKSK_lbbbEUlllE0_EEPmJS9_EEE10hipError_tPvRmT3_T4_T5_T6_T7_T9_mT8_P12ihipStream_tbDpT10_ENKUlT_T0_E_clISt17integral_constantIbLb1EES1A_EEDaS15_S16_EUlS15_E_NS1_11comp_targetILNS1_3genE9ELNS1_11target_archE1100ELNS1_3gpuE3ELNS1_3repE0EEENS1_30default_config_static_selectorELNS0_4arch9wavefront6targetE0EEEvT1_,@function
_ZN7rocprim17ROCPRIM_400000_NS6detail17trampoline_kernelINS0_14default_configENS1_25partition_config_selectorILNS1_17partition_subalgoE9EllbEEZZNS1_14partition_implILS5_9ELb0ES3_jPlS8_PNS0_10empty_typeENS0_5tupleIJS8_S9_EEENSB_IJS8_SA_EEENS0_18inequality_wrapperIZN2at6native12_GLOBAL__N_124unique_dim_cuda_templateIaEESt5tupleIJNSF_6TensorESK_SK_EERKSK_lbbbEUlllE0_EEPmJS9_EEE10hipError_tPvRmT3_T4_T5_T6_T7_T9_mT8_P12ihipStream_tbDpT10_ENKUlT_T0_E_clISt17integral_constantIbLb1EES1A_EEDaS15_S16_EUlS15_E_NS1_11comp_targetILNS1_3genE9ELNS1_11target_archE1100ELNS1_3gpuE3ELNS1_3repE0EEENS1_30default_config_static_selectorELNS0_4arch9wavefront6targetE0EEEvT1_: ; @_ZN7rocprim17ROCPRIM_400000_NS6detail17trampoline_kernelINS0_14default_configENS1_25partition_config_selectorILNS1_17partition_subalgoE9EllbEEZZNS1_14partition_implILS5_9ELb0ES3_jPlS8_PNS0_10empty_typeENS0_5tupleIJS8_S9_EEENSB_IJS8_SA_EEENS0_18inequality_wrapperIZN2at6native12_GLOBAL__N_124unique_dim_cuda_templateIaEESt5tupleIJNSF_6TensorESK_SK_EERKSK_lbbbEUlllE0_EEPmJS9_EEE10hipError_tPvRmT3_T4_T5_T6_T7_T9_mT8_P12ihipStream_tbDpT10_ENKUlT_T0_E_clISt17integral_constantIbLb1EES1A_EEDaS15_S16_EUlS15_E_NS1_11comp_targetILNS1_3genE9ELNS1_11target_archE1100ELNS1_3gpuE3ELNS1_3repE0EEENS1_30default_config_static_selectorELNS0_4arch9wavefront6targetE0EEEvT1_
; %bb.0:
	s_clause 0x3
	s_load_b128 s[4:7], s[0:1], 0x8
	s_load_b64 s[24:25], s[0:1], 0x18
	s_load_b256 s[8:15], s[0:1], 0x40
	s_load_b128 s[20:23], s[0:1], 0x60
	v_cmp_ne_u32_e64 s3, 0, v0
	v_cmp_eq_u32_e64 s2, 0, v0
	s_delay_alu instid0(VALU_DEP_1)
	s_and_saveexec_b32 s16, s2
	s_cbranch_execz .LBB365_4
; %bb.1:
	s_mov_b32 s18, exec_lo
	s_mov_b32 s17, exec_lo
	v_mbcnt_lo_u32_b32 v1, s18, 0
                                        ; implicit-def: $vgpr2
	s_delay_alu instid0(VALU_DEP_1)
	v_cmpx_eq_u32_e32 0, v1
	s_cbranch_execz .LBB365_3
; %bb.2:
	s_load_b64 s[26:27], s[0:1], 0x78
	s_bcnt1_i32_b32 s18, s18
	s_delay_alu instid0(SALU_CYCLE_1)
	v_dual_mov_b32 v2, 0 :: v_dual_mov_b32 v3, s18
	s_waitcnt lgkmcnt(0)
	global_atomic_add_u32 v2, v2, v3, s[26:27] glc
.LBB365_3:
	s_or_b32 exec_lo, exec_lo, s17
	s_waitcnt vmcnt(0)
	v_readfirstlane_b32 s17, v2
	s_delay_alu instid0(VALU_DEP_1)
	v_dual_mov_b32 v2, 0 :: v_dual_add_nc_u32 v1, s17, v1
	ds_store_b32 v2, v1
.LBB365_4:
	s_or_b32 exec_lo, exec_lo, s16
	v_mov_b32_e32 v1, 0
	s_clause 0x1
	s_load_b128 s[16:19], s[0:1], 0x28
	s_load_b32 s0, s[0:1], 0x70
	s_waitcnt lgkmcnt(0)
	s_barrier
	buffer_gl0_inv
	ds_load_b32 v3, v1
	s_waitcnt lgkmcnt(0)
	s_barrier
	buffer_gl0_inv
	global_load_b64 v[1:2], v1, s[10:11]
	s_lshl_b64 s[26:27], s[6:7], 3
	s_mov_b32 s1, 0
	s_add_u32 s10, s4, s26
	s_addc_u32 s11, s5, s27
	v_lshlrev_b32_e32 v55, 3, v0
	v_lshrrev_b32_e32 v34, 2, v0
	v_or_b32_e32 v39, 0x200, v0
	v_or_b32_e32 v38, 0x400, v0
	;; [unrolled: 1-line block ×5, first 2 shown]
	s_add_i32 s28, s0, -1
	s_lshl_b32 s5, s0, 12
	s_lshl_b32 s4, s28, 12
	v_or_b32_e32 v33, 0xc00, v0
	v_readfirstlane_b32 s30, v3
	s_add_i32 s4, s6, s4
	v_or_b32_e32 v36, 0xe00, v0
	s_sub_i32 s31, s12, s4
	s_delay_alu instid0(VALU_DEP_2)
	s_lshl_b32 s0, s30, 12
	s_add_u32 s4, s6, s5
	s_addc_u32 s5, s7, 0
	s_cmp_eq_u32 s30, s28
	v_cmp_ge_u64_e64 s4, s[4:5], s[12:13]
	s_cselect_b32 s28, -1, 0
	s_lshl_b64 s[12:13], s[0:1], 3
	s_mov_b32 s1, -1
	s_delay_alu instid0(VALU_DEP_1) | instskip(NEXT) | instid1(SALU_CYCLE_1)
	s_and_b32 s33, s4, s28
	s_xor_b32 s29, s33, -1
	s_add_u32 s4, s10, s12
	s_addc_u32 s5, s11, s13
	s_and_b32 vcc_lo, exec_lo, s29
	s_waitcnt vmcnt(0)
	v_readfirstlane_b32 s10, v1
	v_readfirstlane_b32 s11, v2
	s_cbranch_vccz .LBB365_6
; %bb.5:
	v_add_co_u32 v9, s0, s4, v55
	s_delay_alu instid0(VALU_DEP_1)
	v_add_co_ci_u32_e64 v10, null, s5, 0, s0
	global_load_b64 v[1:2], v55, s[4:5]
	v_add_co_u32 v3, vcc_lo, v9, 0x2000
	v_add_co_ci_u32_e32 v4, vcc_lo, 0, v10, vcc_lo
	v_add_co_u32 v5, vcc_lo, v9, 0x4000
	v_add_co_ci_u32_e32 v6, vcc_lo, 0, v10, vcc_lo
	;; [unrolled: 2-line block ×4, first 2 shown]
	s_clause 0x6
	global_load_b64 v[11:12], v[3:4], off offset:-4096
	global_load_b64 v[3:4], v[3:4], off
	global_load_b64 v[13:14], v[5:6], off offset:-4096
	global_load_b64 v[5:6], v[5:6], off
	;; [unrolled: 2-line block ×3, first 2 shown]
	global_load_b64 v[9:10], v[9:10], off
	v_lshrrev_b32_e32 v18, 2, v39
	v_lshrrev_b32_e32 v19, 2, v38
	;; [unrolled: 1-line block ×4, first 2 shown]
	v_and_b32_e32 v17, 0x78, v34
	v_lshrrev_b32_e32 v22, 2, v35
	v_lshrrev_b32_e32 v23, 2, v33
	;; [unrolled: 1-line block ×3, first 2 shown]
	v_and_b32_e32 v18, 0xf8, v18
	v_and_b32_e32 v19, 0x178, v19
	;; [unrolled: 1-line block ×4, first 2 shown]
	v_add_nc_u32_e32 v17, v17, v55
	v_and_b32_e32 v22, 0x2f8, v22
	v_and_b32_e32 v23, 0x378, v23
	;; [unrolled: 1-line block ×3, first 2 shown]
	v_add_nc_u32_e32 v18, v18, v55
	v_add_nc_u32_e32 v19, v19, v55
	;; [unrolled: 1-line block ×4, first 2 shown]
	s_mov_b32 s1, 0
	v_add_nc_u32_e32 v22, v22, v55
	v_add_nc_u32_e32 v23, v23, v55
	;; [unrolled: 1-line block ×3, first 2 shown]
	s_waitcnt vmcnt(7)
	ds_store_b64 v17, v[1:2]
	s_waitcnt vmcnt(6)
	ds_store_b64 v18, v[11:12] offset:4096
	s_waitcnt vmcnt(5)
	ds_store_b64 v19, v[3:4] offset:8192
	;; [unrolled: 2-line block ×7, first 2 shown]
	s_waitcnt lgkmcnt(0)
	s_barrier
.LBB365_6:
	v_cmp_gt_u32_e64 s0, s31, v0
	s_and_not1_b32 vcc_lo, exec_lo, s1
	s_cbranch_vccnz .LBB365_24
; %bb.7:
                                        ; implicit-def: $vgpr1_vgpr2_vgpr3_vgpr4_vgpr5_vgpr6_vgpr7_vgpr8_vgpr9_vgpr10_vgpr11_vgpr12_vgpr13_vgpr14_vgpr15_vgpr16
	s_delay_alu instid0(VALU_DEP_1)
	s_and_saveexec_b32 s1, s0
	s_cbranch_execz .LBB365_15
; %bb.8:
	global_load_b64 v[1:2], v55, s[4:5]
	s_or_b32 exec_lo, exec_lo, s1
	s_delay_alu instid0(SALU_CYCLE_1)
	s_mov_b32 s0, exec_lo
	v_cmpx_gt_u32_e64 s31, v39
	s_cbranch_execnz .LBB365_16
.LBB365_9:
	s_or_b32 exec_lo, exec_lo, s0
	s_delay_alu instid0(SALU_CYCLE_1)
	s_mov_b32 s0, exec_lo
	v_cmpx_gt_u32_e64 s31, v38
	s_cbranch_execz .LBB365_17
.LBB365_10:
	v_lshlrev_b32_e32 v5, 3, v38
	global_load_b64 v[5:6], v5, s[4:5]
	s_or_b32 exec_lo, exec_lo, s0
	s_delay_alu instid0(SALU_CYCLE_1)
	s_mov_b32 s0, exec_lo
	v_cmpx_gt_u32_e64 s31, v40
	s_cbranch_execnz .LBB365_18
.LBB365_11:
	s_or_b32 exec_lo, exec_lo, s0
	s_delay_alu instid0(SALU_CYCLE_1)
	s_mov_b32 s0, exec_lo
	v_cmpx_gt_u32_e64 s31, v37
	s_cbranch_execz .LBB365_19
.LBB365_12:
	v_lshlrev_b32_e32 v9, 3, v37
	global_load_b64 v[9:10], v9, s[4:5]
	s_or_b32 exec_lo, exec_lo, s0
	s_delay_alu instid0(SALU_CYCLE_1)
	s_mov_b32 s0, exec_lo
	v_cmpx_gt_u32_e64 s31, v35
	s_cbranch_execnz .LBB365_20
.LBB365_13:
	s_or_b32 exec_lo, exec_lo, s0
	s_delay_alu instid0(SALU_CYCLE_1)
	s_mov_b32 s0, exec_lo
	v_cmpx_gt_u32_e64 s31, v33
	s_cbranch_execz .LBB365_21
.LBB365_14:
	v_lshlrev_b32_e32 v13, 3, v33
	global_load_b64 v[13:14], v13, s[4:5]
	s_or_b32 exec_lo, exec_lo, s0
	s_delay_alu instid0(SALU_CYCLE_1)
	s_mov_b32 s0, exec_lo
	v_cmpx_gt_u32_e64 s31, v36
	s_cbranch_execnz .LBB365_22
	s_branch .LBB365_23
.LBB365_15:
	s_or_b32 exec_lo, exec_lo, s1
	s_delay_alu instid0(SALU_CYCLE_1)
	s_mov_b32 s0, exec_lo
	v_cmpx_gt_u32_e64 s31, v39
	s_cbranch_execz .LBB365_9
.LBB365_16:
	v_lshlrev_b32_e32 v3, 3, v39
	global_load_b64 v[3:4], v3, s[4:5]
	s_or_b32 exec_lo, exec_lo, s0
	s_delay_alu instid0(SALU_CYCLE_1)
	s_mov_b32 s0, exec_lo
	v_cmpx_gt_u32_e64 s31, v38
	s_cbranch_execnz .LBB365_10
.LBB365_17:
	s_or_b32 exec_lo, exec_lo, s0
	s_delay_alu instid0(SALU_CYCLE_1)
	s_mov_b32 s0, exec_lo
	v_cmpx_gt_u32_e64 s31, v40
	s_cbranch_execz .LBB365_11
.LBB365_18:
	v_lshlrev_b32_e32 v7, 3, v40
	global_load_b64 v[7:8], v7, s[4:5]
	s_or_b32 exec_lo, exec_lo, s0
	s_delay_alu instid0(SALU_CYCLE_1)
	s_mov_b32 s0, exec_lo
	v_cmpx_gt_u32_e64 s31, v37
	s_cbranch_execnz .LBB365_12
.LBB365_19:
	s_or_b32 exec_lo, exec_lo, s0
	s_delay_alu instid0(SALU_CYCLE_1)
	s_mov_b32 s0, exec_lo
	v_cmpx_gt_u32_e64 s31, v35
	s_cbranch_execz .LBB365_13
.LBB365_20:
	v_lshlrev_b32_e32 v11, 3, v35
	global_load_b64 v[11:12], v11, s[4:5]
	s_or_b32 exec_lo, exec_lo, s0
	s_delay_alu instid0(SALU_CYCLE_1)
	s_mov_b32 s0, exec_lo
	v_cmpx_gt_u32_e64 s31, v33
	s_cbranch_execnz .LBB365_14
.LBB365_21:
	s_or_b32 exec_lo, exec_lo, s0
	s_delay_alu instid0(SALU_CYCLE_1)
	s_mov_b32 s0, exec_lo
	v_cmpx_gt_u32_e64 s31, v36
	s_cbranch_execz .LBB365_23
.LBB365_22:
	v_lshlrev_b32_e32 v15, 3, v36
	global_load_b64 v[15:16], v15, s[4:5]
.LBB365_23:
	s_or_b32 exec_lo, exec_lo, s0
	v_lshrrev_b32_e32 v17, 2, v39
	v_lshrrev_b32_e32 v18, 2, v38
	;; [unrolled: 1-line block ×4, first 2 shown]
	v_and_b32_e32 v19, 0x78, v34
	v_lshrrev_b32_e32 v22, 2, v35
	v_lshrrev_b32_e32 v23, 2, v33
	;; [unrolled: 1-line block ×3, first 2 shown]
	v_and_b32_e32 v17, 0xf8, v17
	v_and_b32_e32 v18, 0x1f8, v18
	;; [unrolled: 1-line block ×4, first 2 shown]
	v_add_nc_u32_e32 v19, v19, v55
	v_and_b32_e32 v22, 0x3f8, v22
	v_and_b32_e32 v23, 0x3f8, v23
	;; [unrolled: 1-line block ×3, first 2 shown]
	v_add_nc_u32_e32 v17, v17, v55
	v_add_nc_u32_e32 v18, v18, v55
	;; [unrolled: 1-line block ×7, first 2 shown]
	s_waitcnt vmcnt(0)
	ds_store_b64 v19, v[1:2]
	ds_store_b64 v17, v[3:4] offset:4096
	ds_store_b64 v18, v[5:6] offset:8192
	;; [unrolled: 1-line block ×7, first 2 shown]
	s_waitcnt lgkmcnt(0)
	s_barrier
.LBB365_24:
	v_add_lshl_u32 v41, v34, v55, 3
	buffer_gl0_inv
	s_add_u32 s0, s24, s26
	s_addc_u32 s1, s25, s27
	s_add_u32 s0, s0, s12
	ds_load_2addr_b64 v[29:32], v41 offset1:1
	ds_load_2addr_b64 v[25:28], v41 offset0:2 offset1:3
	ds_load_2addr_b64 v[21:24], v41 offset0:4 offset1:5
	ds_load_2addr_b64 v[17:20], v41 offset0:6 offset1:7
	s_addc_u32 s1, s1, s13
	s_and_b32 vcc_lo, exec_lo, s29
	s_mov_b32 s12, -1
	s_waitcnt lgkmcnt(0)
	s_barrier
	buffer_gl0_inv
	s_cbranch_vccz .LBB365_26
; %bb.25:
	v_add_co_u32 v9, s12, s0, v55
	s_delay_alu instid0(VALU_DEP_1)
	v_add_co_ci_u32_e64 v10, null, s1, 0, s12
	global_load_b64 v[1:2], v55, s[0:1]
	v_add_co_u32 v3, vcc_lo, v9, 0x2000
	v_add_co_ci_u32_e32 v4, vcc_lo, 0, v10, vcc_lo
	v_add_co_u32 v5, vcc_lo, v9, 0x4000
	v_add_co_ci_u32_e32 v6, vcc_lo, 0, v10, vcc_lo
	;; [unrolled: 2-line block ×4, first 2 shown]
	s_clause 0x6
	global_load_b64 v[11:12], v[3:4], off offset:-4096
	global_load_b64 v[3:4], v[3:4], off
	global_load_b64 v[13:14], v[5:6], off offset:-4096
	global_load_b64 v[5:6], v[5:6], off
	;; [unrolled: 2-line block ×3, first 2 shown]
	global_load_b64 v[9:10], v[9:10], off
	v_lshrrev_b32_e32 v43, 2, v39
	v_lshrrev_b32_e32 v44, 2, v38
	;; [unrolled: 1-line block ×4, first 2 shown]
	v_and_b32_e32 v42, 0x78, v34
	v_lshrrev_b32_e32 v47, 2, v35
	v_lshrrev_b32_e32 v48, 2, v33
	;; [unrolled: 1-line block ×3, first 2 shown]
	v_and_b32_e32 v43, 0xf8, v43
	v_and_b32_e32 v44, 0x178, v44
	;; [unrolled: 1-line block ×4, first 2 shown]
	v_add_nc_u32_e32 v42, v42, v55
	v_and_b32_e32 v47, 0x2f8, v47
	v_and_b32_e32 v48, 0x378, v48
	;; [unrolled: 1-line block ×3, first 2 shown]
	v_add_nc_u32_e32 v43, v43, v55
	v_add_nc_u32_e32 v44, v44, v55
	;; [unrolled: 1-line block ×4, first 2 shown]
	s_mov_b32 s12, 0
	v_add_nc_u32_e32 v47, v47, v55
	v_add_nc_u32_e32 v48, v48, v55
	;; [unrolled: 1-line block ×3, first 2 shown]
	s_waitcnt vmcnt(7)
	ds_store_b64 v42, v[1:2]
	s_waitcnt vmcnt(6)
	ds_store_b64 v43, v[11:12] offset:4096
	s_waitcnt vmcnt(5)
	ds_store_b64 v44, v[3:4] offset:8192
	;; [unrolled: 2-line block ×7, first 2 shown]
	s_waitcnt lgkmcnt(0)
	s_barrier
.LBB365_26:
	s_and_not1_b32 vcc_lo, exec_lo, s12
	s_cbranch_vccnz .LBB365_44
; %bb.27:
	s_mov_b32 s12, exec_lo
                                        ; implicit-def: $vgpr1_vgpr2
	v_cmpx_gt_u32_e64 s31, v0
	s_cbranch_execz .LBB365_29
; %bb.28:
	global_load_b64 v[1:2], v55, s[0:1]
.LBB365_29:
	s_or_b32 exec_lo, exec_lo, s12
	s_delay_alu instid0(SALU_CYCLE_1)
	s_mov_b32 s12, exec_lo
                                        ; implicit-def: $vgpr3_vgpr4
	v_cmpx_gt_u32_e64 s31, v39
	s_cbranch_execz .LBB365_31
; %bb.30:
	v_lshlrev_b32_e32 v3, 3, v39
	global_load_b64 v[3:4], v3, s[0:1]
.LBB365_31:
	s_or_b32 exec_lo, exec_lo, s12
	s_delay_alu instid0(SALU_CYCLE_1)
	s_mov_b32 s12, exec_lo
                                        ; implicit-def: $vgpr5_vgpr6
	v_cmpx_gt_u32_e64 s31, v38
	s_cbranch_execz .LBB365_33
; %bb.32:
	v_lshlrev_b32_e32 v5, 3, v38
	global_load_b64 v[5:6], v5, s[0:1]
.LBB365_33:
	s_or_b32 exec_lo, exec_lo, s12
	s_delay_alu instid0(SALU_CYCLE_1)
	s_mov_b32 s12, exec_lo
                                        ; implicit-def: $vgpr7_vgpr8
	v_cmpx_gt_u32_e64 s31, v40
	s_cbranch_execz .LBB365_35
; %bb.34:
	v_lshlrev_b32_e32 v7, 3, v40
	global_load_b64 v[7:8], v7, s[0:1]
.LBB365_35:
	s_or_b32 exec_lo, exec_lo, s12
	s_delay_alu instid0(SALU_CYCLE_1)
	s_mov_b32 s12, exec_lo
                                        ; implicit-def: $vgpr9_vgpr10
	v_cmpx_gt_u32_e64 s31, v37
	s_cbranch_execz .LBB365_37
; %bb.36:
	v_lshlrev_b32_e32 v9, 3, v37
	global_load_b64 v[9:10], v9, s[0:1]
.LBB365_37:
	s_or_b32 exec_lo, exec_lo, s12
	s_delay_alu instid0(SALU_CYCLE_1)
	s_mov_b32 s12, exec_lo
                                        ; implicit-def: $vgpr11_vgpr12
	v_cmpx_gt_u32_e64 s31, v35
	s_cbranch_execz .LBB365_39
; %bb.38:
	v_lshlrev_b32_e32 v11, 3, v35
	global_load_b64 v[11:12], v11, s[0:1]
.LBB365_39:
	s_or_b32 exec_lo, exec_lo, s12
	s_delay_alu instid0(SALU_CYCLE_1)
	s_mov_b32 s12, exec_lo
                                        ; implicit-def: $vgpr13_vgpr14
	v_cmpx_gt_u32_e64 s31, v33
	s_cbranch_execz .LBB365_41
; %bb.40:
	v_lshlrev_b32_e32 v13, 3, v33
	global_load_b64 v[13:14], v13, s[0:1]
.LBB365_41:
	s_or_b32 exec_lo, exec_lo, s12
	s_delay_alu instid0(SALU_CYCLE_1)
	s_mov_b32 s12, exec_lo
                                        ; implicit-def: $vgpr15_vgpr16
	v_cmpx_gt_u32_e64 s31, v36
	s_cbranch_execz .LBB365_43
; %bb.42:
	v_lshlrev_b32_e32 v15, 3, v36
	global_load_b64 v[15:16], v15, s[0:1]
.LBB365_43:
	s_or_b32 exec_lo, exec_lo, s12
	v_lshrrev_b32_e32 v39, 2, v39
	v_lshrrev_b32_e32 v38, 2, v38
	;; [unrolled: 1-line block ×4, first 2 shown]
	v_and_b32_e32 v34, 0x78, v34
	v_lshrrev_b32_e32 v35, 2, v35
	v_lshrrev_b32_e32 v33, 2, v33
	;; [unrolled: 1-line block ×3, first 2 shown]
	v_and_b32_e32 v39, 0xf8, v39
	v_and_b32_e32 v38, 0x1f8, v38
	;; [unrolled: 1-line block ×4, first 2 shown]
	v_add_nc_u32_e32 v34, v34, v55
	v_and_b32_e32 v35, 0x3f8, v35
	v_and_b32_e32 v33, 0x3f8, v33
	;; [unrolled: 1-line block ×3, first 2 shown]
	v_add_nc_u32_e32 v39, v39, v55
	v_add_nc_u32_e32 v38, v38, v55
	;; [unrolled: 1-line block ×7, first 2 shown]
	s_waitcnt vmcnt(0)
	ds_store_b64 v34, v[1:2]
	ds_store_b64 v39, v[3:4] offset:4096
	ds_store_b64 v38, v[5:6] offset:8192
	;; [unrolled: 1-line block ×7, first 2 shown]
	s_waitcnt lgkmcnt(0)
	s_barrier
.LBB365_44:
	buffer_gl0_inv
	ds_load_2addr_b64 v[13:16], v41 offset1:1
	ds_load_2addr_b64 v[9:12], v41 offset0:2 offset1:3
	ds_load_2addr_b64 v[5:8], v41 offset0:4 offset1:5
	;; [unrolled: 1-line block ×3, first 2 shown]
	s_cmp_lg_u32 s30, 0
	s_waitcnt lgkmcnt(0)
	s_cselect_b32 s12, -1, 0
	s_cmp_lg_u64 s[6:7], 0
	v_cmp_gt_i64_e64 s7, s[14:15], 0
	s_cselect_b32 s0, -1, 0
	s_mov_b32 s6, 0
	s_or_b32 s0, s0, s12
	s_barrier
	s_and_b32 vcc_lo, exec_lo, s0
	buffer_gl0_inv
	s_cbranch_vccz .LBB365_53
; %bb.45:
	v_mov_b32_e32 v33, 0
	v_cndmask_b32_e64 v44, 0, 1, s7
	s_and_b32 vcc_lo, exec_lo, s29
	ds_store_b64 v55, v[19:20]
	global_load_b64 v[35:36], v33, s[4:5] offset:-8
	v_cmp_ne_u32_e64 s0, 1, v44
	s_cbranch_vccz .LBB365_54
; %bb.46:
	v_mul_lo_u32 v37, v18, s14
	v_mul_lo_u32 v38, v17, s15
	v_mad_u64_u32 v[33:34], null, v17, s14, 0
	s_and_b32 vcc_lo, exec_lo, s0
	s_mov_b32 s13, 0
	s_delay_alu instid0(VALU_DEP_1)
	v_add3_u32 v34, v34, v38, v37
	s_cbranch_vccnz .LBB365_57
; %bb.47:
	v_mad_u64_u32 v[37:38], null, v19, s14, s[20:21]
	v_mul_lo_u32 v41, v19, s15
	v_mul_lo_u32 v42, v20, s14
	v_add_co_u32 v39, vcc_lo, s20, v33
	v_add_co_ci_u32_e32 v40, vcc_lo, s21, v34, vcc_lo
	s_mov_b32 s13, -1
	s_mov_b32 s24, exec_lo
	s_delay_alu instid0(VALU_DEP_3)
	v_add3_u32 v38, v42, v38, v41
	s_clause 0x1
	global_load_u8 v41, v[39:40], off
	global_load_u8 v42, v[37:38], off
	s_waitcnt vmcnt(0)
	v_cmpx_eq_u16_e64 v41, v42
	s_cbranch_execz .LBB365_56
; %bb.48:
	s_mov_b64 s[0:1], 1
	s_mov_b32 s13, 0
                                        ; implicit-def: $sgpr25
	s_set_inst_prefetch_distance 0x1
	s_branch .LBB365_51
	.p2align	6
.LBB365_49:                             ;   in Loop: Header=BB365_51 Depth=1
	v_add_co_u32 v41, vcc_lo, v39, s0
	v_add_co_ci_u32_e32 v42, vcc_lo, s1, v40, vcc_lo
	v_add_co_u32 v45, vcc_lo, v37, s0
	v_add_co_ci_u32_e32 v46, vcc_lo, s1, v38, vcc_lo
	s_add_u32 s4, s0, 1
	s_clause 0x1
	global_load_u8 v41, v[41:42], off
	global_load_u8 v42, v[45:46], off
	s_addc_u32 s5, s1, 0
	s_and_not1_b32 s25, s25, exec_lo
	s_waitcnt vmcnt(0)
	v_cmp_ne_u16_e32 vcc_lo, v41, v42
	s_and_b32 s26, vcc_lo, exec_lo
	s_delay_alu instid0(SALU_CYCLE_1)
	s_or_b32 s25, s25, s26
.LBB365_50:                             ;   in Loop: Header=BB365_51 Depth=1
	v_dual_mov_b32 v42, s1 :: v_dual_mov_b32 v41, s0
	s_and_b32 s26, exec_lo, s25
	s_mov_b64 s[0:1], s[4:5]
	s_or_b32 s13, s26, s13
	s_delay_alu instid0(SALU_CYCLE_1)
	s_and_not1_b32 exec_lo, exec_lo, s13
	s_cbranch_execz .LBB365_55
.LBB365_51:                             ; =>This Inner Loop Header: Depth=1
	s_or_b32 s25, s25, exec_lo
	s_cmp_eq_u64 s[14:15], s[0:1]
	s_cbranch_scc0 .LBB365_49
; %bb.52:                               ;   in Loop: Header=BB365_51 Depth=1
	s_mov_b64 s[0:1], s[14:15]
                                        ; implicit-def: $sgpr4_sgpr5
	s_branch .LBB365_50
.LBB365_53:
                                        ; implicit-def: $sgpr0
                                        ; implicit-def: $vgpr34
	s_branch .LBB365_215
.LBB365_54:
                                        ; implicit-def: $sgpr0
                                        ; implicit-def: $vgpr34
	s_cbranch_execnz .LBB365_123
	s_branch .LBB365_214
.LBB365_55:
	s_set_inst_prefetch_distance 0x2
	s_or_b32 exec_lo, exec_lo, s13
	v_cmp_gt_i64_e32 vcc_lo, s[14:15], v[41:42]
	s_or_not1_b32 s13, vcc_lo, exec_lo
.LBB365_56:
	s_or_b32 exec_lo, exec_lo, s24
.LBB365_57:
	v_mul_lo_u32 v39, v24, s14
	v_mul_lo_u32 v40, v23, s15
	v_mad_u64_u32 v[37:38], null, v23, s14, 0
	s_and_not1_b32 vcc_lo, exec_lo, s7
	s_delay_alu instid0(VALU_DEP_1)
	v_add3_u32 v42, v38, v40, v39
	s_cbranch_vccnz .LBB365_66
; %bb.58:
	s_delay_alu instid0(VALU_DEP_2) | instskip(NEXT) | instid1(VALU_DEP_2)
	v_add_co_u32 v38, vcc_lo, s20, v37
	v_add_co_ci_u32_e32 v39, vcc_lo, s21, v42, vcc_lo
	v_add_co_u32 v33, vcc_lo, s20, v33
	v_add_co_ci_u32_e32 v34, vcc_lo, s21, v34, vcc_lo
	s_mov_b32 s6, -1
	s_clause 0x1
	global_load_u8 v40, v[38:39], off
	global_load_u8 v41, v[33:34], off
	s_mov_b32 s24, exec_lo
	s_waitcnt vmcnt(0)
	v_cmpx_eq_u16_e64 v40, v41
	s_cbranch_execz .LBB365_65
; %bb.59:
	s_mov_b64 s[0:1], 1
	s_mov_b32 s6, 0
                                        ; implicit-def: $sgpr25
	s_set_inst_prefetch_distance 0x1
	s_branch .LBB365_62
	.p2align	6
.LBB365_60:                             ;   in Loop: Header=BB365_62 Depth=1
	v_add_co_u32 v40, vcc_lo, v38, s0
	v_add_co_ci_u32_e32 v41, vcc_lo, s1, v39, vcc_lo
	v_add_co_u32 v45, vcc_lo, v33, s0
	v_add_co_ci_u32_e32 v46, vcc_lo, s1, v34, vcc_lo
	s_add_u32 s4, s0, 1
	s_clause 0x1
	global_load_u8 v40, v[40:41], off
	global_load_u8 v41, v[45:46], off
	s_addc_u32 s5, s1, 0
	s_and_not1_b32 s25, s25, exec_lo
	s_waitcnt vmcnt(0)
	v_cmp_ne_u16_e32 vcc_lo, v40, v41
	s_and_b32 s26, vcc_lo, exec_lo
	s_delay_alu instid0(SALU_CYCLE_1)
	s_or_b32 s25, s25, s26
.LBB365_61:                             ;   in Loop: Header=BB365_62 Depth=1
	v_dual_mov_b32 v41, s1 :: v_dual_mov_b32 v40, s0
	s_and_b32 s26, exec_lo, s25
	s_mov_b64 s[0:1], s[4:5]
	s_or_b32 s6, s26, s6
	s_delay_alu instid0(SALU_CYCLE_1)
	s_and_not1_b32 exec_lo, exec_lo, s6
	s_cbranch_execz .LBB365_64
.LBB365_62:                             ; =>This Inner Loop Header: Depth=1
	s_or_b32 s25, s25, exec_lo
	s_cmp_eq_u64 s[14:15], s[0:1]
	s_cbranch_scc0 .LBB365_60
; %bb.63:                               ;   in Loop: Header=BB365_62 Depth=1
	s_mov_b64 s[0:1], s[14:15]
                                        ; implicit-def: $sgpr4_sgpr5
	s_branch .LBB365_61
.LBB365_64:
	s_set_inst_prefetch_distance 0x2
	s_or_b32 exec_lo, exec_lo, s6
	v_cmp_gt_i64_e32 vcc_lo, s[14:15], v[40:41]
	s_or_not1_b32 s6, vcc_lo, exec_lo
.LBB365_65:
	s_or_b32 exec_lo, exec_lo, s24
.LBB365_66:
	v_mul_lo_u32 v38, v22, s14
	v_mul_lo_u32 v39, v21, s15
	v_mad_u64_u32 v[33:34], null, v21, s14, 0
	s_mov_b32 s24, 0
	s_and_not1_b32 vcc_lo, exec_lo, s7
	s_mov_b32 s25, 0
	s_delay_alu instid0(VALU_DEP_1)
	v_add3_u32 v34, v34, v39, v38
	s_cbranch_vccnz .LBB365_75
; %bb.67:
	s_delay_alu instid0(VALU_DEP_2) | instskip(NEXT) | instid1(VALU_DEP_2)
	v_add_co_u32 v38, vcc_lo, s20, v33
	v_add_co_ci_u32_e32 v39, vcc_lo, s21, v34, vcc_lo
	v_add_co_u32 v40, vcc_lo, s20, v37
	v_add_co_ci_u32_e32 v41, vcc_lo, s21, v42, vcc_lo
	s_mov_b32 s25, -1
	s_clause 0x1
	global_load_u8 v37, v[38:39], off
	global_load_u8 v42, v[40:41], off
	s_mov_b32 s26, exec_lo
	s_waitcnt vmcnt(0)
	v_cmpx_eq_u16_e64 v37, v42
	s_cbranch_execz .LBB365_74
; %bb.68:
	s_mov_b64 s[0:1], 1
	s_mov_b32 s25, 0
                                        ; implicit-def: $sgpr27
	s_set_inst_prefetch_distance 0x1
	s_branch .LBB365_71
	.p2align	6
.LBB365_69:                             ;   in Loop: Header=BB365_71 Depth=1
	v_add_co_u32 v42, vcc_lo, v38, s0
	v_add_co_ci_u32_e32 v43, vcc_lo, s1, v39, vcc_lo
	v_add_co_u32 v45, vcc_lo, v40, s0
	v_add_co_ci_u32_e32 v46, vcc_lo, s1, v41, vcc_lo
	s_add_u32 s4, s0, 1
	s_clause 0x1
	global_load_u8 v37, v[42:43], off
	global_load_u8 v42, v[45:46], off
	s_addc_u32 s5, s1, 0
	s_and_not1_b32 s27, s27, exec_lo
	s_waitcnt vmcnt(0)
	v_cmp_ne_u16_e32 vcc_lo, v37, v42
	s_and_b32 s34, vcc_lo, exec_lo
	s_delay_alu instid0(SALU_CYCLE_1)
	s_or_b32 s27, s27, s34
.LBB365_70:                             ;   in Loop: Header=BB365_71 Depth=1
	v_dual_mov_b32 v43, s1 :: v_dual_mov_b32 v42, s0
	s_and_b32 s34, exec_lo, s27
	s_mov_b64 s[0:1], s[4:5]
	s_or_b32 s25, s34, s25
	s_delay_alu instid0(SALU_CYCLE_1)
	s_and_not1_b32 exec_lo, exec_lo, s25
	s_cbranch_execz .LBB365_73
.LBB365_71:                             ; =>This Inner Loop Header: Depth=1
	s_or_b32 s27, s27, exec_lo
	s_cmp_eq_u64 s[14:15], s[0:1]
	s_cbranch_scc0 .LBB365_69
; %bb.72:                               ;   in Loop: Header=BB365_71 Depth=1
	s_mov_b64 s[0:1], s[14:15]
                                        ; implicit-def: $sgpr4_sgpr5
	s_branch .LBB365_70
.LBB365_73:
	s_set_inst_prefetch_distance 0x2
	s_or_b32 exec_lo, exec_lo, s25
	v_cmp_gt_i64_e32 vcc_lo, s[14:15], v[42:43]
	s_or_not1_b32 s25, vcc_lo, exec_lo
.LBB365_74:
	s_or_b32 exec_lo, exec_lo, s26
.LBB365_75:
	v_mul_lo_u32 v39, v28, s14
	v_mul_lo_u32 v40, v27, s15
	v_mad_u64_u32 v[37:38], null, v27, s14, 0
	s_and_not1_b32 vcc_lo, exec_lo, s7
	s_delay_alu instid0(VALU_DEP_1)
	v_add3_u32 v42, v38, v40, v39
	s_cbranch_vccnz .LBB365_84
; %bb.76:
	s_delay_alu instid0(VALU_DEP_2) | instskip(NEXT) | instid1(VALU_DEP_2)
	v_add_co_u32 v38, vcc_lo, s20, v37
	v_add_co_ci_u32_e32 v39, vcc_lo, s21, v42, vcc_lo
	v_add_co_u32 v33, vcc_lo, s20, v33
	v_add_co_ci_u32_e32 v34, vcc_lo, s21, v34, vcc_lo
	s_mov_b32 s24, -1
	s_clause 0x1
	global_load_u8 v40, v[38:39], off
	global_load_u8 v41, v[33:34], off
	s_mov_b32 s26, exec_lo
	s_waitcnt vmcnt(0)
	v_cmpx_eq_u16_e64 v40, v41
	s_cbranch_execz .LBB365_83
; %bb.77:
	s_mov_b64 s[0:1], 1
	s_mov_b32 s24, 0
                                        ; implicit-def: $sgpr27
	s_set_inst_prefetch_distance 0x1
	s_branch .LBB365_80
	.p2align	6
.LBB365_78:                             ;   in Loop: Header=BB365_80 Depth=1
	v_add_co_u32 v40, vcc_lo, v38, s0
	v_add_co_ci_u32_e32 v41, vcc_lo, s1, v39, vcc_lo
	v_add_co_u32 v45, vcc_lo, v33, s0
	v_add_co_ci_u32_e32 v46, vcc_lo, s1, v34, vcc_lo
	s_add_u32 s4, s0, 1
	s_clause 0x1
	global_load_u8 v40, v[40:41], off
	global_load_u8 v41, v[45:46], off
	s_addc_u32 s5, s1, 0
	s_and_not1_b32 s27, s27, exec_lo
	s_waitcnt vmcnt(0)
	v_cmp_ne_u16_e32 vcc_lo, v40, v41
	s_and_b32 s34, vcc_lo, exec_lo
	s_delay_alu instid0(SALU_CYCLE_1)
	s_or_b32 s27, s27, s34
.LBB365_79:                             ;   in Loop: Header=BB365_80 Depth=1
	v_dual_mov_b32 v41, s1 :: v_dual_mov_b32 v40, s0
	s_and_b32 s34, exec_lo, s27
	s_mov_b64 s[0:1], s[4:5]
	s_or_b32 s24, s34, s24
	s_delay_alu instid0(SALU_CYCLE_1)
	s_and_not1_b32 exec_lo, exec_lo, s24
	s_cbranch_execz .LBB365_82
.LBB365_80:                             ; =>This Inner Loop Header: Depth=1
	s_or_b32 s27, s27, exec_lo
	s_cmp_eq_u64 s[14:15], s[0:1]
	s_cbranch_scc0 .LBB365_78
; %bb.81:                               ;   in Loop: Header=BB365_80 Depth=1
	s_mov_b64 s[0:1], s[14:15]
                                        ; implicit-def: $sgpr4_sgpr5
	s_branch .LBB365_79
.LBB365_82:
	s_set_inst_prefetch_distance 0x2
	s_or_b32 exec_lo, exec_lo, s24
	v_cmp_gt_i64_e32 vcc_lo, s[14:15], v[40:41]
	s_or_not1_b32 s24, vcc_lo, exec_lo
.LBB365_83:
	s_or_b32 exec_lo, exec_lo, s26
.LBB365_84:
	v_mul_lo_u32 v38, v26, s14
	v_mul_lo_u32 v39, v25, s15
	v_mad_u64_u32 v[33:34], null, v25, s14, 0
	s_mov_b32 s26, 0
	s_and_not1_b32 vcc_lo, exec_lo, s7
	s_mov_b32 s27, 0
	s_delay_alu instid0(VALU_DEP_1)
	v_add3_u32 v34, v34, v39, v38
	s_cbranch_vccnz .LBB365_93
; %bb.85:
	s_delay_alu instid0(VALU_DEP_2) | instskip(NEXT) | instid1(VALU_DEP_2)
	v_add_co_u32 v38, vcc_lo, s20, v33
	v_add_co_ci_u32_e32 v39, vcc_lo, s21, v34, vcc_lo
	v_add_co_u32 v40, vcc_lo, s20, v37
	v_add_co_ci_u32_e32 v41, vcc_lo, s21, v42, vcc_lo
	s_mov_b32 s27, -1
	s_clause 0x1
	global_load_u8 v37, v[38:39], off
	global_load_u8 v42, v[40:41], off
	s_mov_b32 s34, exec_lo
	s_waitcnt vmcnt(0)
	v_cmpx_eq_u16_e64 v37, v42
	s_cbranch_execz .LBB365_92
; %bb.86:
	s_mov_b64 s[0:1], 1
	s_mov_b32 s27, 0
                                        ; implicit-def: $sgpr35
	s_set_inst_prefetch_distance 0x1
	s_branch .LBB365_89
	.p2align	6
.LBB365_87:                             ;   in Loop: Header=BB365_89 Depth=1
	v_add_co_u32 v42, vcc_lo, v38, s0
	v_add_co_ci_u32_e32 v43, vcc_lo, s1, v39, vcc_lo
	v_add_co_u32 v45, vcc_lo, v40, s0
	v_add_co_ci_u32_e32 v46, vcc_lo, s1, v41, vcc_lo
	s_add_u32 s4, s0, 1
	s_clause 0x1
	global_load_u8 v37, v[42:43], off
	global_load_u8 v42, v[45:46], off
	s_addc_u32 s5, s1, 0
	s_and_not1_b32 s35, s35, exec_lo
	s_waitcnt vmcnt(0)
	v_cmp_ne_u16_e32 vcc_lo, v37, v42
	s_and_b32 s36, vcc_lo, exec_lo
	s_delay_alu instid0(SALU_CYCLE_1)
	s_or_b32 s35, s35, s36
.LBB365_88:                             ;   in Loop: Header=BB365_89 Depth=1
	v_dual_mov_b32 v43, s1 :: v_dual_mov_b32 v42, s0
	s_and_b32 s36, exec_lo, s35
	s_mov_b64 s[0:1], s[4:5]
	s_or_b32 s27, s36, s27
	s_delay_alu instid0(SALU_CYCLE_1)
	s_and_not1_b32 exec_lo, exec_lo, s27
	s_cbranch_execz .LBB365_91
.LBB365_89:                             ; =>This Inner Loop Header: Depth=1
	s_or_b32 s35, s35, exec_lo
	s_cmp_eq_u64 s[14:15], s[0:1]
	s_cbranch_scc0 .LBB365_87
; %bb.90:                               ;   in Loop: Header=BB365_89 Depth=1
	s_mov_b64 s[0:1], s[14:15]
                                        ; implicit-def: $sgpr4_sgpr5
	s_branch .LBB365_88
.LBB365_91:
	s_set_inst_prefetch_distance 0x2
	s_or_b32 exec_lo, exec_lo, s27
	v_cmp_gt_i64_e32 vcc_lo, s[14:15], v[42:43]
	s_or_not1_b32 s27, vcc_lo, exec_lo
.LBB365_92:
	s_or_b32 exec_lo, exec_lo, s34
.LBB365_93:
	v_mul_lo_u32 v39, v32, s14
	v_mul_lo_u32 v40, v31, s15
	v_mad_u64_u32 v[37:38], null, v31, s14, 0
	s_and_not1_b32 vcc_lo, exec_lo, s7
	s_delay_alu instid0(VALU_DEP_1)
	v_add3_u32 v42, v38, v40, v39
	s_cbranch_vccnz .LBB365_102
; %bb.94:
	s_delay_alu instid0(VALU_DEP_2) | instskip(NEXT) | instid1(VALU_DEP_2)
	v_add_co_u32 v38, vcc_lo, s20, v37
	v_add_co_ci_u32_e32 v39, vcc_lo, s21, v42, vcc_lo
	v_add_co_u32 v33, vcc_lo, s20, v33
	v_add_co_ci_u32_e32 v34, vcc_lo, s21, v34, vcc_lo
	s_mov_b32 s26, -1
	s_clause 0x1
	global_load_u8 v40, v[38:39], off
	global_load_u8 v41, v[33:34], off
	s_mov_b32 s34, exec_lo
	s_waitcnt vmcnt(0)
	v_cmpx_eq_u16_e64 v40, v41
	s_cbranch_execz .LBB365_101
; %bb.95:
	s_mov_b64 s[0:1], 1
	s_mov_b32 s26, 0
                                        ; implicit-def: $sgpr35
	s_set_inst_prefetch_distance 0x1
	s_branch .LBB365_98
	.p2align	6
.LBB365_96:                             ;   in Loop: Header=BB365_98 Depth=1
	v_add_co_u32 v40, vcc_lo, v38, s0
	v_add_co_ci_u32_e32 v41, vcc_lo, s1, v39, vcc_lo
	v_add_co_u32 v45, vcc_lo, v33, s0
	v_add_co_ci_u32_e32 v46, vcc_lo, s1, v34, vcc_lo
	s_add_u32 s4, s0, 1
	s_clause 0x1
	global_load_u8 v40, v[40:41], off
	global_load_u8 v41, v[45:46], off
	s_addc_u32 s5, s1, 0
	s_and_not1_b32 s35, s35, exec_lo
	s_waitcnt vmcnt(0)
	v_cmp_ne_u16_e32 vcc_lo, v40, v41
	s_and_b32 s36, vcc_lo, exec_lo
	s_delay_alu instid0(SALU_CYCLE_1)
	s_or_b32 s35, s35, s36
.LBB365_97:                             ;   in Loop: Header=BB365_98 Depth=1
	v_dual_mov_b32 v41, s1 :: v_dual_mov_b32 v40, s0
	s_and_b32 s36, exec_lo, s35
	s_mov_b64 s[0:1], s[4:5]
	s_or_b32 s26, s36, s26
	s_delay_alu instid0(SALU_CYCLE_1)
	s_and_not1_b32 exec_lo, exec_lo, s26
	s_cbranch_execz .LBB365_100
.LBB365_98:                             ; =>This Inner Loop Header: Depth=1
	s_or_b32 s35, s35, exec_lo
	s_cmp_eq_u64 s[14:15], s[0:1]
	s_cbranch_scc0 .LBB365_96
; %bb.99:                               ;   in Loop: Header=BB365_98 Depth=1
	s_mov_b64 s[0:1], s[14:15]
                                        ; implicit-def: $sgpr4_sgpr5
	s_branch .LBB365_97
.LBB365_100:
	s_set_inst_prefetch_distance 0x2
	s_or_b32 exec_lo, exec_lo, s26
	v_cmp_gt_i64_e32 vcc_lo, s[14:15], v[40:41]
	s_or_not1_b32 s26, vcc_lo, exec_lo
.LBB365_101:
	s_or_b32 exec_lo, exec_lo, s34
.LBB365_102:
	v_mul_lo_u32 v38, v30, s14
	v_mul_lo_u32 v39, v29, s15
	v_mad_u64_u32 v[33:34], null, v29, s14, 0
	s_and_not1_b32 vcc_lo, exec_lo, s7
	s_mov_b32 s0, 0
	s_delay_alu instid0(VALU_DEP_1)
	v_add3_u32 v34, v34, v39, v38
	s_cbranch_vccnz .LBB365_111
; %bb.103:
	s_delay_alu instid0(VALU_DEP_2) | instskip(NEXT) | instid1(VALU_DEP_2)
	v_add_co_u32 v38, vcc_lo, s20, v33
	v_add_co_ci_u32_e32 v39, vcc_lo, s21, v34, vcc_lo
	v_add_co_u32 v40, vcc_lo, s20, v37
	v_add_co_ci_u32_e32 v41, vcc_lo, s21, v42, vcc_lo
	s_mov_b32 s0, -1
	s_clause 0x1
	global_load_u8 v37, v[38:39], off
	global_load_u8 v42, v[40:41], off
	s_mov_b32 s34, exec_lo
	s_waitcnt vmcnt(0)
	v_cmpx_eq_u16_e64 v37, v42
	s_cbranch_execz .LBB365_110
; %bb.104:
	s_mov_b64 s[0:1], 1
	s_mov_b32 s35, 0
                                        ; implicit-def: $sgpr36
	s_set_inst_prefetch_distance 0x1
	s_branch .LBB365_107
	.p2align	6
.LBB365_105:                            ;   in Loop: Header=BB365_107 Depth=1
	v_add_co_u32 v42, vcc_lo, v38, s0
	v_add_co_ci_u32_e32 v43, vcc_lo, s1, v39, vcc_lo
	v_add_co_u32 v45, vcc_lo, v40, s0
	v_add_co_ci_u32_e32 v46, vcc_lo, s1, v41, vcc_lo
	s_add_u32 s4, s0, 1
	s_clause 0x1
	global_load_u8 v37, v[42:43], off
	global_load_u8 v42, v[45:46], off
	s_addc_u32 s5, s1, 0
	s_and_not1_b32 s36, s36, exec_lo
	s_waitcnt vmcnt(0)
	v_cmp_ne_u16_e32 vcc_lo, v37, v42
	s_and_b32 s37, vcc_lo, exec_lo
	s_delay_alu instid0(SALU_CYCLE_1)
	s_or_b32 s36, s36, s37
.LBB365_106:                            ;   in Loop: Header=BB365_107 Depth=1
	v_dual_mov_b32 v43, s1 :: v_dual_mov_b32 v42, s0
	s_and_b32 s37, exec_lo, s36
	s_mov_b64 s[0:1], s[4:5]
	s_or_b32 s35, s37, s35
	s_delay_alu instid0(SALU_CYCLE_1)
	s_and_not1_b32 exec_lo, exec_lo, s35
	s_cbranch_execz .LBB365_109
.LBB365_107:                            ; =>This Inner Loop Header: Depth=1
	s_or_b32 s36, s36, exec_lo
	s_cmp_eq_u64 s[14:15], s[0:1]
	s_cbranch_scc0 .LBB365_105
; %bb.108:                              ;   in Loop: Header=BB365_107 Depth=1
	s_mov_b64 s[0:1], s[14:15]
                                        ; implicit-def: $sgpr4_sgpr5
	s_branch .LBB365_106
.LBB365_109:
	s_set_inst_prefetch_distance 0x2
	s_or_b32 exec_lo, exec_lo, s35
	v_cmp_gt_i64_e32 vcc_lo, s[14:15], v[42:43]
	s_or_not1_b32 s0, vcc_lo, exec_lo
.LBB365_110:
	s_or_b32 exec_lo, exec_lo, s34
.LBB365_111:
	s_waitcnt vmcnt(0)
	v_dual_mov_b32 v40, v36 :: v_dual_mov_b32 v39, v35
	s_waitcnt lgkmcnt(0)
	s_barrier
	buffer_gl0_inv
	s_and_saveexec_b32 s1, s3
	s_cbranch_execz .LBB365_113
; %bb.112:
	v_add_nc_u32_e32 v37, -8, v55
	ds_load_b64 v[39:40], v37
.LBB365_113:
	s_or_b32 exec_lo, exec_lo, s1
	v_cndmask_b32_e64 v38, 0, 1, s27
	v_cndmask_b32_e64 v42, 0, 1, s25
	;; [unrolled: 1-line block ×7, first 2 shown]
	v_lshlrev_b16 v38, 8, v38
	v_lshlrev_b16 v42, 8, v42
	;; [unrolled: 1-line block ×4, first 2 shown]
	s_mov_b32 s6, 0
	v_or_b32_e32 v37, v37, v38
	v_or_b32_e32 v38, v41, v42
	;; [unrolled: 1-line block ×3, first 2 shown]
	v_and_b32_e32 v41, 0xffff, v45
	s_and_not1_b32 vcc_lo, exec_lo, s7
	v_lshlrev_b32_e32 v42, 16, v37
	v_and_b32_e32 v43, 0xffff, v38
	v_lshlrev_b32_e32 v45, 16, v46
	s_mov_b32 s0, 0
	s_cbranch_vccnz .LBB365_122
; %bb.114:
	s_waitcnt lgkmcnt(0)
	v_mad_u64_u32 v[37:38], null, v39, s14, s[20:21]
	v_mul_lo_u32 v39, v39, s15
	v_mul_lo_u32 v40, v40, s14
	v_add_co_u32 v33, vcc_lo, s20, v33
	v_add_co_ci_u32_e32 v34, vcc_lo, s21, v34, vcc_lo
	s_mov_b32 s0, -1
	s_mov_b32 s13, exec_lo
	s_delay_alu instid0(VALU_DEP_3)
	v_add3_u32 v38, v40, v38, v39
	s_clause 0x1
	global_load_u8 v39, v[37:38], off
	global_load_u8 v40, v[33:34], off
	s_waitcnt vmcnt(0)
	v_cmpx_eq_u16_e64 v39, v40
	s_cbranch_execz .LBB365_121
; %bb.115:
	s_mov_b64 s[0:1], 1
	s_mov_b32 s24, 0
                                        ; implicit-def: $sgpr25
	s_set_inst_prefetch_distance 0x1
	s_branch .LBB365_118
	.p2align	6
.LBB365_116:                            ;   in Loop: Header=BB365_118 Depth=1
	v_add_co_u32 v39, vcc_lo, v37, s0
	v_add_co_ci_u32_e32 v40, vcc_lo, s1, v38, vcc_lo
	v_add_co_u32 v46, vcc_lo, v33, s0
	v_add_co_ci_u32_e32 v47, vcc_lo, s1, v34, vcc_lo
	s_add_u32 s4, s0, 1
	s_clause 0x1
	global_load_u8 v39, v[39:40], off
	global_load_u8 v40, v[46:47], off
	s_addc_u32 s5, s1, 0
	s_and_not1_b32 s25, s25, exec_lo
	s_waitcnt vmcnt(0)
	v_cmp_ne_u16_e32 vcc_lo, v39, v40
	s_and_b32 s26, vcc_lo, exec_lo
	s_delay_alu instid0(SALU_CYCLE_1)
	s_or_b32 s25, s25, s26
.LBB365_117:                            ;   in Loop: Header=BB365_118 Depth=1
	v_dual_mov_b32 v40, s1 :: v_dual_mov_b32 v39, s0
	s_and_b32 s26, exec_lo, s25
	s_mov_b64 s[0:1], s[4:5]
	s_or_b32 s24, s26, s24
	s_delay_alu instid0(SALU_CYCLE_1)
	s_and_not1_b32 exec_lo, exec_lo, s24
	s_cbranch_execz .LBB365_120
.LBB365_118:                            ; =>This Inner Loop Header: Depth=1
	s_or_b32 s25, s25, exec_lo
	s_cmp_eq_u64 s[14:15], s[0:1]
	s_cbranch_scc0 .LBB365_116
; %bb.119:                              ;   in Loop: Header=BB365_118 Depth=1
	s_mov_b64 s[0:1], s[14:15]
                                        ; implicit-def: $sgpr4_sgpr5
	s_branch .LBB365_117
.LBB365_120:
	s_set_inst_prefetch_distance 0x2
	s_or_b32 exec_lo, exec_lo, s24
	v_cmp_gt_i64_e32 vcc_lo, s[14:15], v[39:40]
	s_or_not1_b32 s0, vcc_lo, exec_lo
.LBB365_121:
	s_or_b32 exec_lo, exec_lo, s13
.LBB365_122:
	v_or_b32_e32 v33, v41, v42
	s_delay_alu instid0(VALU_DEP_2)
	v_or_b32_e32 v34, v43, v45
	s_and_b32 vcc_lo, exec_lo, s6
	s_cbranch_vccz .LBB365_214
.LBB365_123:
	v_or_b32_e32 v33, 7, v55
	s_mov_b32 s6, 0
	s_mov_b32 s13, 0
	s_mov_b32 s24, exec_lo
	s_delay_alu instid0(VALU_DEP_1)
	v_cmpx_gt_u32_e64 s31, v33
	s_cbranch_execz .LBB365_134
; %bb.124:
	s_and_not1_b32 vcc_lo, exec_lo, s7
	s_mov_b32 s0, 0
	s_cbranch_vccnz .LBB365_133
; %bb.125:
	v_mad_u64_u32 v[33:34], null, v17, s14, s[20:21]
	s_waitcnt lgkmcnt(0)
	v_mul_lo_u32 v39, v17, s15
	v_mul_lo_u32 v40, v18, s14
	v_mad_u64_u32 v[37:38], null, v19, s14, s[20:21]
	v_mul_lo_u32 v41, v19, s15
	v_mul_lo_u32 v42, v20, s14
	s_mov_b32 s0, -1
	s_mov_b32 s7, exec_lo
	s_delay_alu instid0(VALU_DEP_4) | instskip(NEXT) | instid1(VALU_DEP_2)
	v_add3_u32 v34, v40, v34, v39
	v_add3_u32 v38, v42, v38, v41
	s_clause 0x1
	global_load_u8 v39, v[33:34], off
	global_load_u8 v40, v[37:38], off
	s_waitcnt vmcnt(0)
	v_cmpx_eq_u16_e64 v39, v40
	s_cbranch_execz .LBB365_132
; %bb.126:
	s_mov_b64 s[0:1], 1
                                        ; implicit-def: $sgpr25
	s_set_inst_prefetch_distance 0x1
	s_branch .LBB365_129
	.p2align	6
.LBB365_127:                            ;   in Loop: Header=BB365_129 Depth=1
	v_add_co_u32 v39, vcc_lo, v33, s0
	v_add_co_ci_u32_e32 v40, vcc_lo, s1, v34, vcc_lo
	v_add_co_u32 v41, vcc_lo, v37, s0
	v_add_co_ci_u32_e32 v42, vcc_lo, s1, v38, vcc_lo
	s_add_u32 s4, s0, 1
	s_clause 0x1
	global_load_u8 v39, v[39:40], off
	global_load_u8 v40, v[41:42], off
	s_addc_u32 s5, s1, 0
	s_and_not1_b32 s25, s25, exec_lo
	s_waitcnt vmcnt(0)
	v_cmp_ne_u16_e32 vcc_lo, v39, v40
	s_and_b32 s26, vcc_lo, exec_lo
	s_delay_alu instid0(SALU_CYCLE_1)
	s_or_b32 s25, s25, s26
.LBB365_128:                            ;   in Loop: Header=BB365_129 Depth=1
	v_dual_mov_b32 v40, s1 :: v_dual_mov_b32 v39, s0
	s_and_b32 s26, exec_lo, s25
	s_mov_b64 s[0:1], s[4:5]
	s_or_b32 s13, s26, s13
	s_delay_alu instid0(SALU_CYCLE_1)
	s_and_not1_b32 exec_lo, exec_lo, s13
	s_cbranch_execz .LBB365_131
.LBB365_129:                            ; =>This Inner Loop Header: Depth=1
	s_or_b32 s25, s25, exec_lo
	s_cmp_eq_u64 s[14:15], s[0:1]
	s_cbranch_scc0 .LBB365_127
; %bb.130:                              ;   in Loop: Header=BB365_129 Depth=1
	s_mov_b64 s[0:1], s[14:15]
                                        ; implicit-def: $sgpr4_sgpr5
	s_branch .LBB365_128
.LBB365_131:
	s_set_inst_prefetch_distance 0x2
	s_or_b32 exec_lo, exec_lo, s13
	v_cmp_gt_i64_e32 vcc_lo, s[14:15], v[39:40]
	s_or_not1_b32 s0, vcc_lo, exec_lo
.LBB365_132:
	s_or_b32 exec_lo, exec_lo, s7
.LBB365_133:
	s_delay_alu instid0(SALU_CYCLE_1)
	s_and_b32 s13, s0, exec_lo
.LBB365_134:
	s_or_b32 exec_lo, exec_lo, s24
	v_or_b32_e32 v33, 6, v55
	s_mov_b32 s7, exec_lo
	s_delay_alu instid0(VALU_DEP_1)
	v_cmpx_gt_u32_e64 s31, v33
	s_cbranch_execz .LBB365_145
; %bb.135:
	v_cmp_ne_u32_e32 vcc_lo, 1, v44
	s_mov_b32 s0, 0
	s_cbranch_vccnz .LBB365_144
; %bb.136:
	v_mad_u64_u32 v[33:34], null, v23, s14, s[20:21]
	s_waitcnt lgkmcnt(0)
	v_mul_lo_u32 v39, v23, s15
	v_mul_lo_u32 v40, v24, s14
	v_mad_u64_u32 v[37:38], null, v17, s14, s[20:21]
	v_mul_lo_u32 v41, v17, s15
	v_mul_lo_u32 v42, v18, s14
	s_mov_b32 s0, -1
	s_mov_b32 s6, exec_lo
	s_delay_alu instid0(VALU_DEP_4) | instskip(NEXT) | instid1(VALU_DEP_2)
	v_add3_u32 v34, v40, v34, v39
	v_add3_u32 v38, v42, v38, v41
	s_clause 0x1
	global_load_u8 v39, v[33:34], off
	global_load_u8 v40, v[37:38], off
	s_waitcnt vmcnt(0)
	v_cmpx_eq_u16_e64 v39, v40
	s_cbranch_execz .LBB365_143
; %bb.137:
	s_mov_b64 s[0:1], 1
	s_mov_b32 s24, 0
                                        ; implicit-def: $sgpr25
	s_set_inst_prefetch_distance 0x1
	s_branch .LBB365_140
	.p2align	6
.LBB365_138:                            ;   in Loop: Header=BB365_140 Depth=1
	v_add_co_u32 v39, vcc_lo, v33, s0
	v_add_co_ci_u32_e32 v40, vcc_lo, s1, v34, vcc_lo
	v_add_co_u32 v41, vcc_lo, v37, s0
	v_add_co_ci_u32_e32 v42, vcc_lo, s1, v38, vcc_lo
	s_add_u32 s4, s0, 1
	s_clause 0x1
	global_load_u8 v39, v[39:40], off
	global_load_u8 v40, v[41:42], off
	s_addc_u32 s5, s1, 0
	s_and_not1_b32 s25, s25, exec_lo
	s_waitcnt vmcnt(0)
	v_cmp_ne_u16_e32 vcc_lo, v39, v40
	s_and_b32 s26, vcc_lo, exec_lo
	s_delay_alu instid0(SALU_CYCLE_1)
	s_or_b32 s25, s25, s26
.LBB365_139:                            ;   in Loop: Header=BB365_140 Depth=1
	v_dual_mov_b32 v40, s1 :: v_dual_mov_b32 v39, s0
	s_and_b32 s26, exec_lo, s25
	s_mov_b64 s[0:1], s[4:5]
	s_or_b32 s24, s26, s24
	s_delay_alu instid0(SALU_CYCLE_1)
	s_and_not1_b32 exec_lo, exec_lo, s24
	s_cbranch_execz .LBB365_142
.LBB365_140:                            ; =>This Inner Loop Header: Depth=1
	s_or_b32 s25, s25, exec_lo
	s_cmp_eq_u64 s[14:15], s[0:1]
	s_cbranch_scc0 .LBB365_138
; %bb.141:                              ;   in Loop: Header=BB365_140 Depth=1
	s_mov_b64 s[0:1], s[14:15]
                                        ; implicit-def: $sgpr4_sgpr5
	s_branch .LBB365_139
.LBB365_142:
	s_set_inst_prefetch_distance 0x2
	s_or_b32 exec_lo, exec_lo, s24
	v_cmp_gt_i64_e32 vcc_lo, s[14:15], v[39:40]
	s_or_not1_b32 s0, vcc_lo, exec_lo
.LBB365_143:
	s_or_b32 exec_lo, exec_lo, s6
.LBB365_144:
	s_delay_alu instid0(SALU_CYCLE_1)
	s_and_b32 s6, s0, exec_lo
.LBB365_145:
	s_or_b32 exec_lo, exec_lo, s7
	v_or_b32_e32 v33, 5, v55
	s_mov_b32 s24, 0
	s_mov_b32 s7, 0
	s_mov_b32 s25, exec_lo
	s_delay_alu instid0(VALU_DEP_1)
	v_cmpx_gt_u32_e64 s31, v33
	s_cbranch_execz .LBB365_156
; %bb.146:
	v_cmp_ne_u32_e32 vcc_lo, 1, v44
	s_mov_b32 s0, 0
	s_cbranch_vccnz .LBB365_155
; %bb.147:
	v_mad_u64_u32 v[33:34], null, v21, s14, s[20:21]
	s_waitcnt lgkmcnt(0)
	v_mul_lo_u32 v39, v21, s15
	v_mul_lo_u32 v40, v22, s14
	v_mad_u64_u32 v[37:38], null, v23, s14, s[20:21]
	v_mul_lo_u32 v41, v23, s15
	v_mul_lo_u32 v42, v24, s14
	s_mov_b32 s0, -1
	s_mov_b32 s7, exec_lo
	s_delay_alu instid0(VALU_DEP_4) | instskip(NEXT) | instid1(VALU_DEP_2)
	v_add3_u32 v34, v40, v34, v39
	v_add3_u32 v38, v42, v38, v41
	s_clause 0x1
	global_load_u8 v39, v[33:34], off
	global_load_u8 v40, v[37:38], off
	s_waitcnt vmcnt(0)
	v_cmpx_eq_u16_e64 v39, v40
	s_cbranch_execz .LBB365_154
; %bb.148:
	s_mov_b64 s[0:1], 1
	s_mov_b32 s26, 0
                                        ; implicit-def: $sgpr27
	s_set_inst_prefetch_distance 0x1
	s_branch .LBB365_151
	.p2align	6
.LBB365_149:                            ;   in Loop: Header=BB365_151 Depth=1
	v_add_co_u32 v39, vcc_lo, v33, s0
	v_add_co_ci_u32_e32 v40, vcc_lo, s1, v34, vcc_lo
	v_add_co_u32 v41, vcc_lo, v37, s0
	v_add_co_ci_u32_e32 v42, vcc_lo, s1, v38, vcc_lo
	s_add_u32 s4, s0, 1
	s_clause 0x1
	global_load_u8 v39, v[39:40], off
	global_load_u8 v40, v[41:42], off
	s_addc_u32 s5, s1, 0
	s_and_not1_b32 s27, s27, exec_lo
	s_waitcnt vmcnt(0)
	v_cmp_ne_u16_e32 vcc_lo, v39, v40
	s_and_b32 s34, vcc_lo, exec_lo
	s_delay_alu instid0(SALU_CYCLE_1)
	s_or_b32 s27, s27, s34
.LBB365_150:                            ;   in Loop: Header=BB365_151 Depth=1
	v_dual_mov_b32 v40, s1 :: v_dual_mov_b32 v39, s0
	s_and_b32 s34, exec_lo, s27
	s_mov_b64 s[0:1], s[4:5]
	s_or_b32 s26, s34, s26
	s_delay_alu instid0(SALU_CYCLE_1)
	s_and_not1_b32 exec_lo, exec_lo, s26
	s_cbranch_execz .LBB365_153
.LBB365_151:                            ; =>This Inner Loop Header: Depth=1
	s_or_b32 s27, s27, exec_lo
	s_cmp_eq_u64 s[14:15], s[0:1]
	s_cbranch_scc0 .LBB365_149
; %bb.152:                              ;   in Loop: Header=BB365_151 Depth=1
	s_mov_b64 s[0:1], s[14:15]
                                        ; implicit-def: $sgpr4_sgpr5
	s_branch .LBB365_150
.LBB365_153:
	s_set_inst_prefetch_distance 0x2
	s_or_b32 exec_lo, exec_lo, s26
	v_cmp_gt_i64_e32 vcc_lo, s[14:15], v[39:40]
	s_or_not1_b32 s0, vcc_lo, exec_lo
.LBB365_154:
	s_or_b32 exec_lo, exec_lo, s7
.LBB365_155:
	s_delay_alu instid0(SALU_CYCLE_1)
	s_and_b32 s7, s0, exec_lo
.LBB365_156:
	s_or_b32 exec_lo, exec_lo, s25
	v_or_b32_e32 v33, 4, v55
	s_mov_b32 s25, exec_lo
	s_delay_alu instid0(VALU_DEP_1)
	v_cmpx_gt_u32_e64 s31, v33
	s_cbranch_execz .LBB365_167
; %bb.157:
	v_cmp_ne_u32_e32 vcc_lo, 1, v44
	s_mov_b32 s0, 0
	s_cbranch_vccnz .LBB365_166
; %bb.158:
	v_mad_u64_u32 v[33:34], null, v27, s14, s[20:21]
	s_waitcnt lgkmcnt(0)
	v_mul_lo_u32 v39, v27, s15
	v_mul_lo_u32 v40, v28, s14
	v_mad_u64_u32 v[37:38], null, v21, s14, s[20:21]
	v_mul_lo_u32 v41, v21, s15
	v_mul_lo_u32 v42, v22, s14
	s_mov_b32 s0, -1
	s_mov_b32 s24, exec_lo
	s_delay_alu instid0(VALU_DEP_4) | instskip(NEXT) | instid1(VALU_DEP_2)
	v_add3_u32 v34, v40, v34, v39
	v_add3_u32 v38, v42, v38, v41
	s_clause 0x1
	global_load_u8 v39, v[33:34], off
	global_load_u8 v40, v[37:38], off
	s_waitcnt vmcnt(0)
	v_cmpx_eq_u16_e64 v39, v40
	s_cbranch_execz .LBB365_165
; %bb.159:
	s_mov_b64 s[0:1], 1
	s_mov_b32 s26, 0
                                        ; implicit-def: $sgpr27
	s_set_inst_prefetch_distance 0x1
	s_branch .LBB365_162
	.p2align	6
.LBB365_160:                            ;   in Loop: Header=BB365_162 Depth=1
	v_add_co_u32 v39, vcc_lo, v33, s0
	v_add_co_ci_u32_e32 v40, vcc_lo, s1, v34, vcc_lo
	v_add_co_u32 v41, vcc_lo, v37, s0
	v_add_co_ci_u32_e32 v42, vcc_lo, s1, v38, vcc_lo
	s_add_u32 s4, s0, 1
	s_clause 0x1
	global_load_u8 v39, v[39:40], off
	global_load_u8 v40, v[41:42], off
	s_addc_u32 s5, s1, 0
	s_and_not1_b32 s27, s27, exec_lo
	s_waitcnt vmcnt(0)
	v_cmp_ne_u16_e32 vcc_lo, v39, v40
	s_and_b32 s34, vcc_lo, exec_lo
	s_delay_alu instid0(SALU_CYCLE_1)
	s_or_b32 s27, s27, s34
.LBB365_161:                            ;   in Loop: Header=BB365_162 Depth=1
	v_dual_mov_b32 v40, s1 :: v_dual_mov_b32 v39, s0
	s_and_b32 s34, exec_lo, s27
	s_mov_b64 s[0:1], s[4:5]
	s_or_b32 s26, s34, s26
	s_delay_alu instid0(SALU_CYCLE_1)
	s_and_not1_b32 exec_lo, exec_lo, s26
	s_cbranch_execz .LBB365_164
.LBB365_162:                            ; =>This Inner Loop Header: Depth=1
	s_or_b32 s27, s27, exec_lo
	s_cmp_eq_u64 s[14:15], s[0:1]
	s_cbranch_scc0 .LBB365_160
; %bb.163:                              ;   in Loop: Header=BB365_162 Depth=1
	s_mov_b64 s[0:1], s[14:15]
                                        ; implicit-def: $sgpr4_sgpr5
	s_branch .LBB365_161
.LBB365_164:
	s_set_inst_prefetch_distance 0x2
	s_or_b32 exec_lo, exec_lo, s26
	v_cmp_gt_i64_e32 vcc_lo, s[14:15], v[39:40]
	s_or_not1_b32 s0, vcc_lo, exec_lo
.LBB365_165:
	s_or_b32 exec_lo, exec_lo, s24
.LBB365_166:
	s_delay_alu instid0(SALU_CYCLE_1)
	s_and_b32 s24, s0, exec_lo
.LBB365_167:
	s_or_b32 exec_lo, exec_lo, s25
	v_or_b32_e32 v33, 3, v55
	s_mov_b32 s26, 0
	s_mov_b32 s25, 0
	s_mov_b32 s27, exec_lo
	s_delay_alu instid0(VALU_DEP_1)
	v_cmpx_gt_u32_e64 s31, v33
	s_cbranch_execz .LBB365_178
; %bb.168:
	v_cmp_ne_u32_e32 vcc_lo, 1, v44
	s_mov_b32 s0, 0
	s_cbranch_vccnz .LBB365_177
; %bb.169:
	v_mad_u64_u32 v[33:34], null, v25, s14, s[20:21]
	s_waitcnt lgkmcnt(0)
	v_mul_lo_u32 v39, v25, s15
	v_mul_lo_u32 v40, v26, s14
	v_mad_u64_u32 v[37:38], null, v27, s14, s[20:21]
	v_mul_lo_u32 v41, v27, s15
	v_mul_lo_u32 v42, v28, s14
	s_mov_b32 s0, -1
	s_mov_b32 s25, exec_lo
	s_delay_alu instid0(VALU_DEP_4) | instskip(NEXT) | instid1(VALU_DEP_2)
	v_add3_u32 v34, v40, v34, v39
	v_add3_u32 v38, v42, v38, v41
	s_clause 0x1
	global_load_u8 v39, v[33:34], off
	global_load_u8 v40, v[37:38], off
	s_waitcnt vmcnt(0)
	v_cmpx_eq_u16_e64 v39, v40
	s_cbranch_execz .LBB365_176
; %bb.170:
	s_mov_b64 s[0:1], 1
	s_mov_b32 s34, 0
                                        ; implicit-def: $sgpr35
	s_set_inst_prefetch_distance 0x1
	s_branch .LBB365_173
	.p2align	6
.LBB365_171:                            ;   in Loop: Header=BB365_173 Depth=1
	v_add_co_u32 v39, vcc_lo, v33, s0
	v_add_co_ci_u32_e32 v40, vcc_lo, s1, v34, vcc_lo
	v_add_co_u32 v41, vcc_lo, v37, s0
	v_add_co_ci_u32_e32 v42, vcc_lo, s1, v38, vcc_lo
	s_add_u32 s4, s0, 1
	s_clause 0x1
	global_load_u8 v39, v[39:40], off
	global_load_u8 v40, v[41:42], off
	s_addc_u32 s5, s1, 0
	s_and_not1_b32 s35, s35, exec_lo
	s_waitcnt vmcnt(0)
	v_cmp_ne_u16_e32 vcc_lo, v39, v40
	s_and_b32 s36, vcc_lo, exec_lo
	s_delay_alu instid0(SALU_CYCLE_1)
	s_or_b32 s35, s35, s36
.LBB365_172:                            ;   in Loop: Header=BB365_173 Depth=1
	v_dual_mov_b32 v40, s1 :: v_dual_mov_b32 v39, s0
	s_and_b32 s36, exec_lo, s35
	s_mov_b64 s[0:1], s[4:5]
	s_or_b32 s34, s36, s34
	s_delay_alu instid0(SALU_CYCLE_1)
	s_and_not1_b32 exec_lo, exec_lo, s34
	s_cbranch_execz .LBB365_175
.LBB365_173:                            ; =>This Inner Loop Header: Depth=1
	s_or_b32 s35, s35, exec_lo
	s_cmp_eq_u64 s[14:15], s[0:1]
	s_cbranch_scc0 .LBB365_171
; %bb.174:                              ;   in Loop: Header=BB365_173 Depth=1
	s_mov_b64 s[0:1], s[14:15]
                                        ; implicit-def: $sgpr4_sgpr5
	s_branch .LBB365_172
.LBB365_175:
	s_set_inst_prefetch_distance 0x2
	s_or_b32 exec_lo, exec_lo, s34
	v_cmp_gt_i64_e32 vcc_lo, s[14:15], v[39:40]
	s_or_not1_b32 s0, vcc_lo, exec_lo
.LBB365_176:
	s_or_b32 exec_lo, exec_lo, s25
.LBB365_177:
	s_delay_alu instid0(SALU_CYCLE_1)
	s_and_b32 s25, s0, exec_lo
.LBB365_178:
	s_or_b32 exec_lo, exec_lo, s27
	v_or_b32_e32 v33, 2, v55
	s_mov_b32 s27, exec_lo
	s_delay_alu instid0(VALU_DEP_1)
	v_cmpx_gt_u32_e64 s31, v33
	s_cbranch_execz .LBB365_189
; %bb.179:
	v_cmp_ne_u32_e32 vcc_lo, 1, v44
	s_mov_b32 s0, 0
	s_cbranch_vccnz .LBB365_188
; %bb.180:
	v_mad_u64_u32 v[33:34], null, v31, s14, s[20:21]
	s_waitcnt lgkmcnt(0)
	v_mul_lo_u32 v39, v31, s15
	v_mul_lo_u32 v40, v32, s14
	v_mad_u64_u32 v[37:38], null, v25, s14, s[20:21]
	v_mul_lo_u32 v41, v25, s15
	v_mul_lo_u32 v42, v26, s14
	s_mov_b32 s0, -1
	s_mov_b32 s26, exec_lo
	s_delay_alu instid0(VALU_DEP_4) | instskip(NEXT) | instid1(VALU_DEP_2)
	v_add3_u32 v34, v40, v34, v39
	v_add3_u32 v38, v42, v38, v41
	s_clause 0x1
	global_load_u8 v39, v[33:34], off
	global_load_u8 v40, v[37:38], off
	s_waitcnt vmcnt(0)
	v_cmpx_eq_u16_e64 v39, v40
	s_cbranch_execz .LBB365_187
; %bb.181:
	s_mov_b64 s[0:1], 1
	s_mov_b32 s34, 0
                                        ; implicit-def: $sgpr35
	s_set_inst_prefetch_distance 0x1
	s_branch .LBB365_184
	.p2align	6
.LBB365_182:                            ;   in Loop: Header=BB365_184 Depth=1
	v_add_co_u32 v39, vcc_lo, v33, s0
	v_add_co_ci_u32_e32 v40, vcc_lo, s1, v34, vcc_lo
	v_add_co_u32 v41, vcc_lo, v37, s0
	v_add_co_ci_u32_e32 v42, vcc_lo, s1, v38, vcc_lo
	s_add_u32 s4, s0, 1
	s_clause 0x1
	global_load_u8 v39, v[39:40], off
	global_load_u8 v40, v[41:42], off
	s_addc_u32 s5, s1, 0
	s_and_not1_b32 s35, s35, exec_lo
	s_waitcnt vmcnt(0)
	v_cmp_ne_u16_e32 vcc_lo, v39, v40
	s_and_b32 s36, vcc_lo, exec_lo
	s_delay_alu instid0(SALU_CYCLE_1)
	s_or_b32 s35, s35, s36
.LBB365_183:                            ;   in Loop: Header=BB365_184 Depth=1
	v_dual_mov_b32 v40, s1 :: v_dual_mov_b32 v39, s0
	s_and_b32 s36, exec_lo, s35
	s_mov_b64 s[0:1], s[4:5]
	s_or_b32 s34, s36, s34
	s_delay_alu instid0(SALU_CYCLE_1)
	s_and_not1_b32 exec_lo, exec_lo, s34
	s_cbranch_execz .LBB365_186
.LBB365_184:                            ; =>This Inner Loop Header: Depth=1
	s_or_b32 s35, s35, exec_lo
	s_cmp_eq_u64 s[14:15], s[0:1]
	s_cbranch_scc0 .LBB365_182
; %bb.185:                              ;   in Loop: Header=BB365_184 Depth=1
	s_mov_b64 s[0:1], s[14:15]
                                        ; implicit-def: $sgpr4_sgpr5
	s_branch .LBB365_183
.LBB365_186:
	s_set_inst_prefetch_distance 0x2
	s_or_b32 exec_lo, exec_lo, s34
	v_cmp_gt_i64_e32 vcc_lo, s[14:15], v[39:40]
	s_or_not1_b32 s0, vcc_lo, exec_lo
.LBB365_187:
	s_or_b32 exec_lo, exec_lo, s26
.LBB365_188:
	s_delay_alu instid0(SALU_CYCLE_1)
	s_and_b32 s26, s0, exec_lo
.LBB365_189:
	s_or_b32 exec_lo, exec_lo, s27
	v_or_b32_e32 v33, 1, v55
	s_mov_b32 s0, 0
	s_mov_b32 s27, exec_lo
	s_delay_alu instid0(VALU_DEP_1)
	v_cmpx_gt_u32_e64 s31, v33
	s_cbranch_execz .LBB365_200
; %bb.190:
	v_cmp_ne_u32_e32 vcc_lo, 1, v44
	s_cbranch_vccnz .LBB365_199
; %bb.191:
	v_mad_u64_u32 v[33:34], null, v29, s14, s[20:21]
	s_waitcnt lgkmcnt(0)
	v_mul_lo_u32 v39, v29, s15
	v_mul_lo_u32 v40, v30, s14
	v_mad_u64_u32 v[37:38], null, v31, s14, s[20:21]
	v_mul_lo_u32 v41, v31, s15
	v_mul_lo_u32 v42, v32, s14
	s_mov_b32 s0, -1
	s_mov_b32 s34, exec_lo
	s_delay_alu instid0(VALU_DEP_4) | instskip(NEXT) | instid1(VALU_DEP_2)
	v_add3_u32 v34, v40, v34, v39
	v_add3_u32 v38, v42, v38, v41
	s_clause 0x1
	global_load_u8 v39, v[33:34], off
	global_load_u8 v40, v[37:38], off
	s_waitcnt vmcnt(0)
	v_cmpx_eq_u16_e64 v39, v40
	s_cbranch_execz .LBB365_198
; %bb.192:
	s_mov_b64 s[0:1], 1
	s_mov_b32 s35, 0
                                        ; implicit-def: $sgpr36
	s_set_inst_prefetch_distance 0x1
	s_branch .LBB365_195
	.p2align	6
.LBB365_193:                            ;   in Loop: Header=BB365_195 Depth=1
	v_add_co_u32 v39, vcc_lo, v33, s0
	v_add_co_ci_u32_e32 v40, vcc_lo, s1, v34, vcc_lo
	v_add_co_u32 v41, vcc_lo, v37, s0
	v_add_co_ci_u32_e32 v42, vcc_lo, s1, v38, vcc_lo
	s_add_u32 s4, s0, 1
	s_clause 0x1
	global_load_u8 v39, v[39:40], off
	global_load_u8 v40, v[41:42], off
	s_addc_u32 s5, s1, 0
	s_and_not1_b32 s36, s36, exec_lo
	s_waitcnt vmcnt(0)
	v_cmp_ne_u16_e32 vcc_lo, v39, v40
	s_and_b32 s37, vcc_lo, exec_lo
	s_delay_alu instid0(SALU_CYCLE_1)
	s_or_b32 s36, s36, s37
.LBB365_194:                            ;   in Loop: Header=BB365_195 Depth=1
	v_dual_mov_b32 v40, s1 :: v_dual_mov_b32 v39, s0
	s_and_b32 s37, exec_lo, s36
	s_mov_b64 s[0:1], s[4:5]
	s_or_b32 s35, s37, s35
	s_delay_alu instid0(SALU_CYCLE_1)
	s_and_not1_b32 exec_lo, exec_lo, s35
	s_cbranch_execz .LBB365_197
.LBB365_195:                            ; =>This Inner Loop Header: Depth=1
	s_or_b32 s36, s36, exec_lo
	s_cmp_eq_u64 s[14:15], s[0:1]
	s_cbranch_scc0 .LBB365_193
; %bb.196:                              ;   in Loop: Header=BB365_195 Depth=1
	s_mov_b64 s[0:1], s[14:15]
                                        ; implicit-def: $sgpr4_sgpr5
	s_branch .LBB365_194
.LBB365_197:
	s_set_inst_prefetch_distance 0x2
	s_or_b32 exec_lo, exec_lo, s35
	v_cmp_gt_i64_e32 vcc_lo, s[14:15], v[39:40]
	s_or_not1_b32 s0, vcc_lo, exec_lo
.LBB365_198:
	s_or_b32 exec_lo, exec_lo, s34
.LBB365_199:
	s_delay_alu instid0(SALU_CYCLE_1)
	s_and_b32 s0, s0, exec_lo
.LBB365_200:
	s_or_b32 exec_lo, exec_lo, s27
	s_waitcnt vmcnt(0) lgkmcnt(0)
	s_barrier
	buffer_gl0_inv
	s_and_saveexec_b32 s1, s3
	s_cbranch_execz .LBB365_202
; %bb.201:
	v_add_nc_u32_e32 v33, -8, v55
	ds_load_b64 v[35:36], v33
.LBB365_202:
	s_or_b32 exec_lo, exec_lo, s1
	v_cndmask_b32_e64 v34, 0, 1, s25
	v_cndmask_b32_e64 v38, 0, 1, s7
	;; [unrolled: 1-line block ×7, first 2 shown]
	v_lshlrev_b16 v34, 8, v34
	v_lshlrev_b16 v38, 8, v38
	;; [unrolled: 1-line block ×3, first 2 shown]
	s_mov_b32 s0, 0
	v_lshlrev_b16 v41, 8, v41
	v_or_b32_e32 v33, v33, v34
	v_or_b32_e32 v34, v37, v38
	v_or_b32_e32 v37, v40, v39
	s_mov_b32 s6, exec_lo
	v_and_b32_e32 v39, 0xffff, v41
	v_lshlrev_b32_e32 v40, 16, v33
	v_and_b32_e32 v41, 0xffff, v34
	v_lshlrev_b32_e32 v42, 16, v37
	v_cmpx_gt_u32_e64 s31, v55
	s_cbranch_execz .LBB365_213
; %bb.203:
	v_cmp_ne_u32_e32 vcc_lo, 1, v44
	s_cbranch_vccnz .LBB365_212
; %bb.204:
	s_waitcnt lgkmcnt(0)
	v_mad_u64_u32 v[33:34], null, v35, s14, s[20:21]
	v_mul_lo_u32 v37, v35, s15
	v_mul_lo_u32 v38, v36, s14
	v_mad_u64_u32 v[35:36], null, v29, s14, s[20:21]
	v_mul_lo_u32 v43, v29, s15
	v_mul_lo_u32 v44, v30, s14
	s_mov_b32 s0, -1
	s_mov_b32 s7, exec_lo
	s_delay_alu instid0(VALU_DEP_4) | instskip(NEXT) | instid1(VALU_DEP_2)
	v_add3_u32 v34, v38, v34, v37
	v_add3_u32 v36, v44, v36, v43
	s_clause 0x1
	global_load_u8 v37, v[33:34], off
	global_load_u8 v38, v[35:36], off
	s_waitcnt vmcnt(0)
	v_cmpx_eq_u16_e64 v37, v38
	s_cbranch_execz .LBB365_211
; %bb.205:
	s_mov_b64 s[0:1], 1
	s_mov_b32 s13, 0
                                        ; implicit-def: $sgpr24
	s_set_inst_prefetch_distance 0x1
	s_branch .LBB365_208
	.p2align	6
.LBB365_206:                            ;   in Loop: Header=BB365_208 Depth=1
	v_add_co_u32 v37, vcc_lo, v33, s0
	v_add_co_ci_u32_e32 v38, vcc_lo, s1, v34, vcc_lo
	v_add_co_u32 v43, vcc_lo, v35, s0
	v_add_co_ci_u32_e32 v44, vcc_lo, s1, v36, vcc_lo
	s_add_u32 s4, s0, 1
	s_clause 0x1
	global_load_u8 v37, v[37:38], off
	global_load_u8 v38, v[43:44], off
	s_addc_u32 s5, s1, 0
	s_and_not1_b32 s24, s24, exec_lo
	s_waitcnt vmcnt(0)
	v_cmp_ne_u16_e32 vcc_lo, v37, v38
	s_and_b32 s25, vcc_lo, exec_lo
	s_delay_alu instid0(SALU_CYCLE_1)
	s_or_b32 s24, s24, s25
.LBB365_207:                            ;   in Loop: Header=BB365_208 Depth=1
	v_dual_mov_b32 v38, s1 :: v_dual_mov_b32 v37, s0
	s_and_b32 s25, exec_lo, s24
	s_mov_b64 s[0:1], s[4:5]
	s_or_b32 s13, s25, s13
	s_delay_alu instid0(SALU_CYCLE_1)
	s_and_not1_b32 exec_lo, exec_lo, s13
	s_cbranch_execz .LBB365_210
.LBB365_208:                            ; =>This Inner Loop Header: Depth=1
	s_or_b32 s24, s24, exec_lo
	s_cmp_eq_u64 s[14:15], s[0:1]
	s_cbranch_scc0 .LBB365_206
; %bb.209:                              ;   in Loop: Header=BB365_208 Depth=1
	s_mov_b64 s[0:1], s[14:15]
                                        ; implicit-def: $sgpr4_sgpr5
	s_branch .LBB365_207
.LBB365_210:
	s_set_inst_prefetch_distance 0x2
	s_or_b32 exec_lo, exec_lo, s13
	v_cmp_gt_i64_e32 vcc_lo, s[14:15], v[37:38]
	s_or_not1_b32 s0, vcc_lo, exec_lo
.LBB365_211:
	s_or_b32 exec_lo, exec_lo, s7
.LBB365_212:
	s_delay_alu instid0(SALU_CYCLE_1)
	s_and_b32 s0, s0, exec_lo
.LBB365_213:
	s_or_b32 exec_lo, exec_lo, s6
	v_or_b32_e32 v33, v39, v40
	v_or_b32_e32 v34, v41, v42
.LBB365_214:
	s_mov_b32 s6, -1
	s_cbranch_execnz .LBB365_383
.LBB365_215:
	v_cmp_gt_i64_e64 s7, s[14:15], 0
	s_and_b32 vcc_lo, exec_lo, s29
	ds_store_b64 v55, v[19:20]
	s_cbranch_vccz .LBB365_223
; %bb.216:
	s_waitcnt vmcnt(0) lgkmcnt(1)
	v_mul_lo_u32 v35, v18, s14
	v_mul_lo_u32 v36, v17, s15
	v_mad_u64_u32 v[33:34], null, v17, s14, 0
	s_mov_b32 s13, 0
	s_and_not1_b32 vcc_lo, exec_lo, s7
	s_mov_b32 s24, 0
	s_delay_alu instid0(VALU_DEP_1)
	v_add3_u32 v40, v34, v36, v35
	s_cbranch_vccnz .LBB365_226
; %bb.217:
	v_mad_u64_u32 v[34:35], null, v19, s14, s[20:21]
	v_mul_lo_u32 v38, v19, s15
	v_mul_lo_u32 v39, v20, s14
	v_add_co_u32 v36, vcc_lo, s20, v33
	v_add_co_ci_u32_e32 v37, vcc_lo, s21, v40, vcc_lo
	s_mov_b32 s24, -1
	s_mov_b32 s25, exec_lo
	s_delay_alu instid0(VALU_DEP_3)
	v_add3_u32 v35, v39, v35, v38
	s_clause 0x1
	global_load_u8 v38, v[36:37], off
	global_load_u8 v39, v[34:35], off
	s_waitcnt vmcnt(0)
	v_cmpx_eq_u16_e64 v38, v39
	s_cbranch_execz .LBB365_225
; %bb.218:
	s_mov_b64 s[0:1], 1
	s_mov_b32 s24, 0
                                        ; implicit-def: $sgpr26
	s_set_inst_prefetch_distance 0x1
	s_branch .LBB365_221
	.p2align	6
.LBB365_219:                            ;   in Loop: Header=BB365_221 Depth=1
	v_add_co_u32 v38, vcc_lo, v36, s0
	v_add_co_ci_u32_e32 v39, vcc_lo, s1, v37, vcc_lo
	v_add_co_u32 v41, vcc_lo, v34, s0
	v_add_co_ci_u32_e32 v42, vcc_lo, s1, v35, vcc_lo
	s_add_u32 s4, s0, 1
	s_clause 0x1
	global_load_u8 v38, v[38:39], off
	global_load_u8 v39, v[41:42], off
	s_addc_u32 s5, s1, 0
	s_and_not1_b32 s26, s26, exec_lo
	s_waitcnt vmcnt(0)
	v_cmp_ne_u16_e32 vcc_lo, v38, v39
	s_and_b32 s27, vcc_lo, exec_lo
	s_delay_alu instid0(SALU_CYCLE_1)
	s_or_b32 s26, s26, s27
.LBB365_220:                            ;   in Loop: Header=BB365_221 Depth=1
	v_dual_mov_b32 v39, s1 :: v_dual_mov_b32 v38, s0
	s_and_b32 s27, exec_lo, s26
	s_mov_b64 s[0:1], s[4:5]
	s_or_b32 s24, s27, s24
	s_delay_alu instid0(SALU_CYCLE_1)
	s_and_not1_b32 exec_lo, exec_lo, s24
	s_cbranch_execz .LBB365_224
.LBB365_221:                            ; =>This Inner Loop Header: Depth=1
	s_or_b32 s26, s26, exec_lo
	s_cmp_eq_u64 s[14:15], s[0:1]
	s_cbranch_scc0 .LBB365_219
; %bb.222:                              ;   in Loop: Header=BB365_221 Depth=1
	s_mov_b64 s[0:1], s[14:15]
                                        ; implicit-def: $sgpr4_sgpr5
	s_branch .LBB365_220
.LBB365_223:
                                        ; implicit-def: $sgpr0
                                        ; implicit-def: $vgpr34
	s_cbranch_execnz .LBB365_292
	s_branch .LBB365_383
.LBB365_224:
	s_set_inst_prefetch_distance 0x2
	s_or_b32 exec_lo, exec_lo, s24
	v_cmp_gt_i64_e32 vcc_lo, s[14:15], v[38:39]
	s_or_not1_b32 s24, vcc_lo, exec_lo
.LBB365_225:
	s_or_b32 exec_lo, exec_lo, s25
.LBB365_226:
	v_mul_lo_u32 v36, v24, s14
	v_mul_lo_u32 v37, v23, s15
	v_mad_u64_u32 v[34:35], null, v23, s14, 0
	s_and_not1_b32 vcc_lo, exec_lo, s7
	s_delay_alu instid0(VALU_DEP_1)
	v_add3_u32 v41, v35, v37, v36
	s_cbranch_vccnz .LBB365_235
; %bb.227:
	s_delay_alu instid0(VALU_DEP_2) | instskip(NEXT) | instid1(VALU_DEP_2)
	v_add_co_u32 v35, vcc_lo, s20, v34
	v_add_co_ci_u32_e32 v36, vcc_lo, s21, v41, vcc_lo
	v_add_co_u32 v37, vcc_lo, s20, v33
	v_add_co_ci_u32_e32 v38, vcc_lo, s21, v40, vcc_lo
	s_mov_b32 s13, -1
	s_clause 0x1
	global_load_u8 v33, v[35:36], off
	global_load_u8 v39, v[37:38], off
	s_mov_b32 s25, exec_lo
	s_waitcnt vmcnt(0)
	v_cmpx_eq_u16_e64 v33, v39
	s_cbranch_execz .LBB365_234
; %bb.228:
	s_mov_b64 s[0:1], 1
	s_mov_b32 s13, 0
                                        ; implicit-def: $sgpr26
	s_set_inst_prefetch_distance 0x1
	s_branch .LBB365_231
	.p2align	6
.LBB365_229:                            ;   in Loop: Header=BB365_231 Depth=1
	v_add_co_u32 v39, vcc_lo, v35, s0
	v_add_co_ci_u32_e32 v40, vcc_lo, s1, v36, vcc_lo
	v_add_co_u32 v42, vcc_lo, v37, s0
	v_add_co_ci_u32_e32 v43, vcc_lo, s1, v38, vcc_lo
	s_add_u32 s4, s0, 1
	s_clause 0x1
	global_load_u8 v33, v[39:40], off
	global_load_u8 v39, v[42:43], off
	s_addc_u32 s5, s1, 0
	s_and_not1_b32 s26, s26, exec_lo
	s_waitcnt vmcnt(0)
	v_cmp_ne_u16_e32 vcc_lo, v33, v39
	s_and_b32 s27, vcc_lo, exec_lo
	s_delay_alu instid0(SALU_CYCLE_1)
	s_or_b32 s26, s26, s27
.LBB365_230:                            ;   in Loop: Header=BB365_231 Depth=1
	v_dual_mov_b32 v40, s1 :: v_dual_mov_b32 v39, s0
	s_and_b32 s27, exec_lo, s26
	s_mov_b64 s[0:1], s[4:5]
	s_or_b32 s13, s27, s13
	s_delay_alu instid0(SALU_CYCLE_1)
	s_and_not1_b32 exec_lo, exec_lo, s13
	s_cbranch_execz .LBB365_233
.LBB365_231:                            ; =>This Inner Loop Header: Depth=1
	s_or_b32 s26, s26, exec_lo
	s_cmp_eq_u64 s[14:15], s[0:1]
	s_cbranch_scc0 .LBB365_229
; %bb.232:                              ;   in Loop: Header=BB365_231 Depth=1
	s_mov_b64 s[0:1], s[14:15]
                                        ; implicit-def: $sgpr4_sgpr5
	s_branch .LBB365_230
.LBB365_233:
	s_set_inst_prefetch_distance 0x2
	s_or_b32 exec_lo, exec_lo, s13
	v_cmp_gt_i64_e32 vcc_lo, s[14:15], v[39:40]
	s_or_not1_b32 s13, vcc_lo, exec_lo
.LBB365_234:
	s_or_b32 exec_lo, exec_lo, s25
.LBB365_235:
	v_mul_lo_u32 v33, v22, s14
	v_mul_lo_u32 v37, v21, s15
	v_mad_u64_u32 v[35:36], null, v21, s14, 0
	s_mov_b32 s25, 0
	s_and_not1_b32 vcc_lo, exec_lo, s7
	s_mov_b32 s26, 0
	s_delay_alu instid0(VALU_DEP_1)
	v_add3_u32 v42, v36, v37, v33
	s_cbranch_vccnz .LBB365_244
; %bb.236:
	s_delay_alu instid0(VALU_DEP_2) | instskip(NEXT) | instid1(VALU_DEP_2)
	v_add_co_u32 v36, vcc_lo, s20, v35
	v_add_co_ci_u32_e32 v37, vcc_lo, s21, v42, vcc_lo
	v_add_co_u32 v33, vcc_lo, s20, v34
	v_add_co_ci_u32_e32 v34, vcc_lo, s21, v41, vcc_lo
	s_mov_b32 s26, -1
	s_clause 0x1
	global_load_u8 v38, v[36:37], off
	global_load_u8 v39, v[33:34], off
	s_mov_b32 s27, exec_lo
	s_waitcnt vmcnt(0)
	v_cmpx_eq_u16_e64 v38, v39
	s_cbranch_execz .LBB365_243
; %bb.237:
	s_mov_b64 s[0:1], 1
	s_mov_b32 s26, 0
                                        ; implicit-def: $sgpr34
	s_set_inst_prefetch_distance 0x1
	s_branch .LBB365_240
	.p2align	6
.LBB365_238:                            ;   in Loop: Header=BB365_240 Depth=1
	v_add_co_u32 v38, vcc_lo, v36, s0
	v_add_co_ci_u32_e32 v39, vcc_lo, s1, v37, vcc_lo
	v_add_co_u32 v40, vcc_lo, v33, s0
	v_add_co_ci_u32_e32 v41, vcc_lo, s1, v34, vcc_lo
	s_add_u32 s4, s0, 1
	s_clause 0x1
	global_load_u8 v38, v[38:39], off
	global_load_u8 v39, v[40:41], off
	s_addc_u32 s5, s1, 0
	s_and_not1_b32 s34, s34, exec_lo
	s_waitcnt vmcnt(0)
	v_cmp_ne_u16_e32 vcc_lo, v38, v39
	s_and_b32 s35, vcc_lo, exec_lo
	s_delay_alu instid0(SALU_CYCLE_1)
	s_or_b32 s34, s34, s35
.LBB365_239:                            ;   in Loop: Header=BB365_240 Depth=1
	v_dual_mov_b32 v39, s1 :: v_dual_mov_b32 v38, s0
	s_and_b32 s35, exec_lo, s34
	s_mov_b64 s[0:1], s[4:5]
	s_or_b32 s26, s35, s26
	s_delay_alu instid0(SALU_CYCLE_1)
	s_and_not1_b32 exec_lo, exec_lo, s26
	s_cbranch_execz .LBB365_242
.LBB365_240:                            ; =>This Inner Loop Header: Depth=1
	s_or_b32 s34, s34, exec_lo
	s_cmp_eq_u64 s[14:15], s[0:1]
	s_cbranch_scc0 .LBB365_238
; %bb.241:                              ;   in Loop: Header=BB365_240 Depth=1
	s_mov_b64 s[0:1], s[14:15]
                                        ; implicit-def: $sgpr4_sgpr5
	s_branch .LBB365_239
.LBB365_242:
	s_set_inst_prefetch_distance 0x2
	s_or_b32 exec_lo, exec_lo, s26
	v_cmp_gt_i64_e32 vcc_lo, s[14:15], v[38:39]
	s_or_not1_b32 s26, vcc_lo, exec_lo
.LBB365_243:
	s_or_b32 exec_lo, exec_lo, s27
.LBB365_244:
	v_mul_lo_u32 v36, v28, s14
	v_mul_lo_u32 v37, v27, s15
	v_mad_u64_u32 v[33:34], null, v27, s14, 0
	s_and_not1_b32 vcc_lo, exec_lo, s7
	s_delay_alu instid0(VALU_DEP_1)
	v_add3_u32 v40, v34, v37, v36
	s_cbranch_vccnz .LBB365_253
; %bb.245:
	s_delay_alu instid0(VALU_DEP_2) | instskip(NEXT) | instid1(VALU_DEP_2)
	v_add_co_u32 v36, vcc_lo, s20, v33
	v_add_co_ci_u32_e32 v37, vcc_lo, s21, v40, vcc_lo
	v_add_co_u32 v34, vcc_lo, s20, v35
	v_add_co_ci_u32_e32 v35, vcc_lo, s21, v42, vcc_lo
	s_mov_b32 s25, -1
	s_clause 0x1
	global_load_u8 v38, v[36:37], off
	global_load_u8 v39, v[34:35], off
	s_mov_b32 s27, exec_lo
	s_waitcnt vmcnt(0)
	v_cmpx_eq_u16_e64 v38, v39
	s_cbranch_execz .LBB365_252
; %bb.246:
	s_mov_b64 s[0:1], 1
	s_mov_b32 s25, 0
                                        ; implicit-def: $sgpr34
	s_set_inst_prefetch_distance 0x1
	s_branch .LBB365_249
	.p2align	6
.LBB365_247:                            ;   in Loop: Header=BB365_249 Depth=1
	v_add_co_u32 v38, vcc_lo, v36, s0
	v_add_co_ci_u32_e32 v39, vcc_lo, s1, v37, vcc_lo
	v_add_co_u32 v41, vcc_lo, v34, s0
	v_add_co_ci_u32_e32 v42, vcc_lo, s1, v35, vcc_lo
	s_add_u32 s4, s0, 1
	s_clause 0x1
	global_load_u8 v38, v[38:39], off
	global_load_u8 v39, v[41:42], off
	s_addc_u32 s5, s1, 0
	s_and_not1_b32 s34, s34, exec_lo
	s_waitcnt vmcnt(0)
	v_cmp_ne_u16_e32 vcc_lo, v38, v39
	s_and_b32 s35, vcc_lo, exec_lo
	s_delay_alu instid0(SALU_CYCLE_1)
	s_or_b32 s34, s34, s35
.LBB365_248:                            ;   in Loop: Header=BB365_249 Depth=1
	v_dual_mov_b32 v39, s1 :: v_dual_mov_b32 v38, s0
	s_and_b32 s35, exec_lo, s34
	s_mov_b64 s[0:1], s[4:5]
	s_or_b32 s25, s35, s25
	s_delay_alu instid0(SALU_CYCLE_1)
	s_and_not1_b32 exec_lo, exec_lo, s25
	s_cbranch_execz .LBB365_251
.LBB365_249:                            ; =>This Inner Loop Header: Depth=1
	s_or_b32 s34, s34, exec_lo
	s_cmp_eq_u64 s[14:15], s[0:1]
	s_cbranch_scc0 .LBB365_247
; %bb.250:                              ;   in Loop: Header=BB365_249 Depth=1
	s_mov_b64 s[0:1], s[14:15]
                                        ; implicit-def: $sgpr4_sgpr5
	s_branch .LBB365_248
.LBB365_251:
	s_set_inst_prefetch_distance 0x2
	s_or_b32 exec_lo, exec_lo, s25
	v_cmp_gt_i64_e32 vcc_lo, s[14:15], v[38:39]
	s_or_not1_b32 s25, vcc_lo, exec_lo
.LBB365_252:
	s_or_b32 exec_lo, exec_lo, s27
.LBB365_253:
	v_mul_lo_u32 v34, v26, s14
	v_mul_lo_u32 v37, v25, s15
	v_mad_u64_u32 v[35:36], null, v25, s14, 0
	s_mov_b32 s27, 0
	s_and_not1_b32 vcc_lo, exec_lo, s7
	s_mov_b32 s34, 0
	s_delay_alu instid0(VALU_DEP_1)
	v_add3_u32 v42, v36, v37, v34
	s_cbranch_vccnz .LBB365_262
; %bb.254:
	s_delay_alu instid0(VALU_DEP_2) | instskip(NEXT) | instid1(VALU_DEP_2)
	v_add_co_u32 v36, vcc_lo, s20, v35
	v_add_co_ci_u32_e32 v37, vcc_lo, s21, v42, vcc_lo
	v_add_co_u32 v33, vcc_lo, s20, v33
	v_add_co_ci_u32_e32 v34, vcc_lo, s21, v40, vcc_lo
	s_mov_b32 s34, -1
	s_clause 0x1
	global_load_u8 v38, v[36:37], off
	global_load_u8 v39, v[33:34], off
	s_mov_b32 s35, exec_lo
	s_waitcnt vmcnt(0)
	v_cmpx_eq_u16_e64 v38, v39
	s_cbranch_execz .LBB365_261
; %bb.255:
	s_mov_b64 s[0:1], 1
	s_mov_b32 s34, 0
                                        ; implicit-def: $sgpr36
	s_set_inst_prefetch_distance 0x1
	s_branch .LBB365_258
	.p2align	6
.LBB365_256:                            ;   in Loop: Header=BB365_258 Depth=1
	v_add_co_u32 v38, vcc_lo, v36, s0
	v_add_co_ci_u32_e32 v39, vcc_lo, s1, v37, vcc_lo
	v_add_co_u32 v40, vcc_lo, v33, s0
	v_add_co_ci_u32_e32 v41, vcc_lo, s1, v34, vcc_lo
	s_add_u32 s4, s0, 1
	s_clause 0x1
	global_load_u8 v38, v[38:39], off
	global_load_u8 v39, v[40:41], off
	s_addc_u32 s5, s1, 0
	s_and_not1_b32 s36, s36, exec_lo
	s_waitcnt vmcnt(0)
	v_cmp_ne_u16_e32 vcc_lo, v38, v39
	s_and_b32 s37, vcc_lo, exec_lo
	s_delay_alu instid0(SALU_CYCLE_1)
	s_or_b32 s36, s36, s37
.LBB365_257:                            ;   in Loop: Header=BB365_258 Depth=1
	v_dual_mov_b32 v39, s1 :: v_dual_mov_b32 v38, s0
	s_and_b32 s37, exec_lo, s36
	s_mov_b64 s[0:1], s[4:5]
	s_or_b32 s34, s37, s34
	s_delay_alu instid0(SALU_CYCLE_1)
	s_and_not1_b32 exec_lo, exec_lo, s34
	s_cbranch_execz .LBB365_260
.LBB365_258:                            ; =>This Inner Loop Header: Depth=1
	s_or_b32 s36, s36, exec_lo
	s_cmp_eq_u64 s[14:15], s[0:1]
	s_cbranch_scc0 .LBB365_256
; %bb.259:                              ;   in Loop: Header=BB365_258 Depth=1
	s_mov_b64 s[0:1], s[14:15]
                                        ; implicit-def: $sgpr4_sgpr5
	s_branch .LBB365_257
.LBB365_260:
	s_set_inst_prefetch_distance 0x2
	s_or_b32 exec_lo, exec_lo, s34
	v_cmp_gt_i64_e32 vcc_lo, s[14:15], v[38:39]
	s_or_not1_b32 s34, vcc_lo, exec_lo
.LBB365_261:
	s_or_b32 exec_lo, exec_lo, s35
.LBB365_262:
	v_mul_lo_u32 v36, v32, s14
	v_mul_lo_u32 v37, v31, s15
	v_mad_u64_u32 v[33:34], null, v31, s14, 0
	s_and_not1_b32 vcc_lo, exec_lo, s7
	s_delay_alu instid0(VALU_DEP_1)
	v_add3_u32 v41, v34, v37, v36
	s_cbranch_vccnz .LBB365_271
; %bb.263:
	s_delay_alu instid0(VALU_DEP_2) | instskip(NEXT) | instid1(VALU_DEP_2)
	v_add_co_u32 v36, vcc_lo, s20, v33
	v_add_co_ci_u32_e32 v37, vcc_lo, s21, v41, vcc_lo
	v_add_co_u32 v34, vcc_lo, s20, v35
	v_add_co_ci_u32_e32 v35, vcc_lo, s21, v42, vcc_lo
	s_mov_b32 s27, -1
	s_clause 0x1
	global_load_u8 v38, v[36:37], off
	global_load_u8 v39, v[34:35], off
	s_mov_b32 s35, exec_lo
	s_waitcnt vmcnt(0)
	v_cmpx_eq_u16_e64 v38, v39
	s_cbranch_execz .LBB365_270
; %bb.264:
	s_mov_b64 s[0:1], 1
	s_mov_b32 s27, 0
                                        ; implicit-def: $sgpr36
	s_set_inst_prefetch_distance 0x1
	s_branch .LBB365_267
	.p2align	6
.LBB365_265:                            ;   in Loop: Header=BB365_267 Depth=1
	v_add_co_u32 v38, vcc_lo, v36, s0
	v_add_co_ci_u32_e32 v39, vcc_lo, s1, v37, vcc_lo
	v_add_co_u32 v42, vcc_lo, v34, s0
	v_add_co_ci_u32_e32 v43, vcc_lo, s1, v35, vcc_lo
	s_add_u32 s4, s0, 1
	s_clause 0x1
	global_load_u8 v38, v[38:39], off
	global_load_u8 v39, v[42:43], off
	s_addc_u32 s5, s1, 0
	s_and_not1_b32 s36, s36, exec_lo
	s_waitcnt vmcnt(0)
	v_cmp_ne_u16_e32 vcc_lo, v38, v39
	s_and_b32 s37, vcc_lo, exec_lo
	s_delay_alu instid0(SALU_CYCLE_1)
	s_or_b32 s36, s36, s37
.LBB365_266:                            ;   in Loop: Header=BB365_267 Depth=1
	v_dual_mov_b32 v39, s1 :: v_dual_mov_b32 v38, s0
	s_and_b32 s37, exec_lo, s36
	s_mov_b64 s[0:1], s[4:5]
	s_or_b32 s27, s37, s27
	s_delay_alu instid0(SALU_CYCLE_1)
	s_and_not1_b32 exec_lo, exec_lo, s27
	s_cbranch_execz .LBB365_269
.LBB365_267:                            ; =>This Inner Loop Header: Depth=1
	s_or_b32 s36, s36, exec_lo
	s_cmp_eq_u64 s[14:15], s[0:1]
	s_cbranch_scc0 .LBB365_265
; %bb.268:                              ;   in Loop: Header=BB365_267 Depth=1
	s_mov_b64 s[0:1], s[14:15]
                                        ; implicit-def: $sgpr4_sgpr5
	s_branch .LBB365_266
.LBB365_269:
	s_set_inst_prefetch_distance 0x2
	s_or_b32 exec_lo, exec_lo, s27
	v_cmp_gt_i64_e32 vcc_lo, s[14:15], v[38:39]
	s_or_not1_b32 s27, vcc_lo, exec_lo
.LBB365_270:
	s_or_b32 exec_lo, exec_lo, s35
.LBB365_271:
	v_mul_lo_u32 v34, v30, s14
	v_mul_lo_u32 v37, v29, s15
	v_mad_u64_u32 v[35:36], null, v29, s14, 0
	s_and_not1_b32 vcc_lo, exec_lo, s7
	s_mov_b32 s0, 0
	s_delay_alu instid0(VALU_DEP_1)
	v_add3_u32 v40, v36, v37, v34
	s_cbranch_vccnz .LBB365_280
; %bb.272:
	s_delay_alu instid0(VALU_DEP_2) | instskip(NEXT) | instid1(VALU_DEP_2)
	v_add_co_u32 v36, vcc_lo, s20, v35
	v_add_co_ci_u32_e32 v37, vcc_lo, s21, v40, vcc_lo
	v_add_co_u32 v33, vcc_lo, s20, v33
	v_add_co_ci_u32_e32 v34, vcc_lo, s21, v41, vcc_lo
	s_mov_b32 s0, -1
	s_clause 0x1
	global_load_u8 v38, v[36:37], off
	global_load_u8 v39, v[33:34], off
	s_mov_b32 s35, exec_lo
	s_waitcnt vmcnt(0)
	v_cmpx_eq_u16_e64 v38, v39
	s_cbranch_execz .LBB365_279
; %bb.273:
	s_mov_b64 s[0:1], 1
	s_mov_b32 s36, 0
                                        ; implicit-def: $sgpr37
	s_set_inst_prefetch_distance 0x1
	s_branch .LBB365_276
	.p2align	6
.LBB365_274:                            ;   in Loop: Header=BB365_276 Depth=1
	v_add_co_u32 v38, vcc_lo, v36, s0
	v_add_co_ci_u32_e32 v39, vcc_lo, s1, v37, vcc_lo
	v_add_co_u32 v41, vcc_lo, v33, s0
	v_add_co_ci_u32_e32 v42, vcc_lo, s1, v34, vcc_lo
	s_add_u32 s4, s0, 1
	s_clause 0x1
	global_load_u8 v38, v[38:39], off
	global_load_u8 v39, v[41:42], off
	s_addc_u32 s5, s1, 0
	s_and_not1_b32 s37, s37, exec_lo
	s_waitcnt vmcnt(0)
	v_cmp_ne_u16_e32 vcc_lo, v38, v39
	s_and_b32 s38, vcc_lo, exec_lo
	s_delay_alu instid0(SALU_CYCLE_1)
	s_or_b32 s37, s37, s38
.LBB365_275:                            ;   in Loop: Header=BB365_276 Depth=1
	v_dual_mov_b32 v39, s1 :: v_dual_mov_b32 v38, s0
	s_and_b32 s38, exec_lo, s37
	s_mov_b64 s[0:1], s[4:5]
	s_or_b32 s36, s38, s36
	s_delay_alu instid0(SALU_CYCLE_1)
	s_and_not1_b32 exec_lo, exec_lo, s36
	s_cbranch_execz .LBB365_278
.LBB365_276:                            ; =>This Inner Loop Header: Depth=1
	s_or_b32 s37, s37, exec_lo
	s_cmp_eq_u64 s[14:15], s[0:1]
	s_cbranch_scc0 .LBB365_274
; %bb.277:                              ;   in Loop: Header=BB365_276 Depth=1
	s_mov_b64 s[0:1], s[14:15]
                                        ; implicit-def: $sgpr4_sgpr5
	s_branch .LBB365_275
.LBB365_278:
	s_set_inst_prefetch_distance 0x2
	s_or_b32 exec_lo, exec_lo, s36
	v_cmp_gt_i64_e32 vcc_lo, s[14:15], v[38:39]
	s_or_not1_b32 s0, vcc_lo, exec_lo
.LBB365_279:
	s_or_b32 exec_lo, exec_lo, s35
.LBB365_280:
	v_cndmask_b32_e64 v34, 0, 1, s34
	v_cndmask_b32_e64 v36, 0, 1, s26
	;; [unrolled: 1-line block ×7, first 2 shown]
	v_lshlrev_b16 v36, 8, v36
	v_lshlrev_b16 v37, 8, v37
	;; [unrolled: 1-line block ×4, first 2 shown]
	s_waitcnt lgkmcnt(0)
	v_or_b32_e32 v36, v39, v36
	v_or_b32_e32 v37, v41, v37
	;; [unrolled: 1-line block ×4, first 2 shown]
	s_barrier
	v_and_b32_e32 v34, 0xffff, v36
	v_lshlrev_b32_e32 v36, 16, v37
	v_and_b32_e32 v37, 0xffff, v38
	v_lshlrev_b32_e32 v33, 16, v33
	buffer_gl0_inv
                                        ; implicit-def: $sgpr0
	v_or_b32_e32 v34, v34, v36
	v_or_b32_e32 v33, v37, v33
	s_and_saveexec_b32 s1, s3
	s_delay_alu instid0(SALU_CYCLE_1)
	s_xor_b32 s13, exec_lo, s1
	s_cbranch_execz .LBB365_291
; %bb.281:
	s_and_not1_b32 vcc_lo, exec_lo, s7
	s_mov_b32 s0, 0
	s_cbranch_vccnz .LBB365_290
; %bb.282:
	v_add_nc_u32_e32 v36, -8, v55
	s_mov_b32 s0, -1
	s_mov_b32 s24, exec_lo
	ds_load_b64 v[38:39], v36
	s_waitcnt lgkmcnt(0)
	v_mul_lo_u32 v41, v38, s15
	v_mul_lo_u32 v39, v39, s14
	v_mad_u64_u32 v[36:37], null, v38, s14, s[20:21]
	v_add_co_u32 v38, vcc_lo, s20, v35
	s_delay_alu instid0(VALU_DEP_2)
	v_add3_u32 v37, v39, v37, v41
	v_add_co_ci_u32_e32 v39, vcc_lo, s21, v40, vcc_lo
	s_clause 0x1
	global_load_u8 v35, v[36:37], off
	global_load_u8 v40, v[38:39], off
	s_waitcnt vmcnt(0)
	v_cmpx_eq_u16_e64 v35, v40
	s_cbranch_execz .LBB365_289
; %bb.283:
	s_mov_b64 s[0:1], 1
	s_mov_b32 s25, 0
                                        ; implicit-def: $sgpr26
	s_set_inst_prefetch_distance 0x1
	s_branch .LBB365_286
	.p2align	6
.LBB365_284:                            ;   in Loop: Header=BB365_286 Depth=1
	v_add_co_u32 v40, vcc_lo, v36, s0
	v_add_co_ci_u32_e32 v41, vcc_lo, s1, v37, vcc_lo
	v_add_co_u32 v42, vcc_lo, v38, s0
	v_add_co_ci_u32_e32 v43, vcc_lo, s1, v39, vcc_lo
	s_add_u32 s4, s0, 1
	s_clause 0x1
	global_load_u8 v35, v[40:41], off
	global_load_u8 v40, v[42:43], off
	s_addc_u32 s5, s1, 0
	s_and_not1_b32 s26, s26, exec_lo
	s_waitcnt vmcnt(0)
	v_cmp_ne_u16_e32 vcc_lo, v35, v40
	s_and_b32 s27, vcc_lo, exec_lo
	s_delay_alu instid0(SALU_CYCLE_1)
	s_or_b32 s26, s26, s27
.LBB365_285:                            ;   in Loop: Header=BB365_286 Depth=1
	v_dual_mov_b32 v41, s1 :: v_dual_mov_b32 v40, s0
	s_and_b32 s27, exec_lo, s26
	s_mov_b64 s[0:1], s[4:5]
	s_or_b32 s25, s27, s25
	s_delay_alu instid0(SALU_CYCLE_1)
	s_and_not1_b32 exec_lo, exec_lo, s25
	s_cbranch_execz .LBB365_288
.LBB365_286:                            ; =>This Inner Loop Header: Depth=1
	s_or_b32 s26, s26, exec_lo
	s_cmp_eq_u64 s[14:15], s[0:1]
	s_cbranch_scc0 .LBB365_284
; %bb.287:                              ;   in Loop: Header=BB365_286 Depth=1
	s_mov_b64 s[0:1], s[14:15]
                                        ; implicit-def: $sgpr4_sgpr5
	s_branch .LBB365_285
.LBB365_288:
	s_set_inst_prefetch_distance 0x2
	s_or_b32 exec_lo, exec_lo, s25
	v_cmp_gt_i64_e32 vcc_lo, s[14:15], v[40:41]
	s_or_not1_b32 s0, vcc_lo, exec_lo
.LBB365_289:
	s_or_b32 exec_lo, exec_lo, s24
.LBB365_290:
	s_delay_alu instid0(SALU_CYCLE_1)
	s_and_b32 s0, s0, exec_lo
	s_or_b32 s6, s6, exec_lo
.LBB365_291:
	s_or_b32 exec_lo, exec_lo, s13
	s_branch .LBB365_383
.LBB365_292:
	v_or_b32_e32 v33, 7, v55
	s_mov_b32 s13, 0
	s_mov_b32 s24, 0
	s_mov_b32 s25, exec_lo
	s_delay_alu instid0(VALU_DEP_1)
	v_cmpx_gt_u32_e64 s31, v33
	s_cbranch_execz .LBB365_303
; %bb.293:
	s_and_not1_b32 vcc_lo, exec_lo, s7
	s_mov_b32 s0, 0
	s_cbranch_vccnz .LBB365_302
; %bb.294:
	v_mad_u64_u32 v[33:34], null, v17, s14, s[20:21]
	v_mul_lo_u32 v37, v17, s15
	v_mul_lo_u32 v38, v18, s14
	s_waitcnt vmcnt(0) lgkmcnt(1)
	v_mad_u64_u32 v[35:36], null, v19, s14, s[20:21]
	v_mul_lo_u32 v39, v19, s15
	v_mul_lo_u32 v40, v20, s14
	s_mov_b32 s0, -1
	s_mov_b32 s24, exec_lo
	s_delay_alu instid0(VALU_DEP_4) | instskip(NEXT) | instid1(VALU_DEP_2)
	v_add3_u32 v34, v38, v34, v37
	v_add3_u32 v36, v40, v36, v39
	s_clause 0x1
	global_load_u8 v37, v[33:34], off
	global_load_u8 v38, v[35:36], off
	s_waitcnt vmcnt(0)
	v_cmpx_eq_u16_e64 v37, v38
	s_cbranch_execz .LBB365_301
; %bb.295:
	s_mov_b64 s[0:1], 1
	s_mov_b32 s26, 0
                                        ; implicit-def: $sgpr27
	s_set_inst_prefetch_distance 0x1
	s_branch .LBB365_298
	.p2align	6
.LBB365_296:                            ;   in Loop: Header=BB365_298 Depth=1
	v_add_co_u32 v37, vcc_lo, v33, s0
	v_add_co_ci_u32_e32 v38, vcc_lo, s1, v34, vcc_lo
	v_add_co_u32 v39, vcc_lo, v35, s0
	v_add_co_ci_u32_e32 v40, vcc_lo, s1, v36, vcc_lo
	s_add_u32 s4, s0, 1
	s_clause 0x1
	global_load_u8 v37, v[37:38], off
	global_load_u8 v38, v[39:40], off
	s_addc_u32 s5, s1, 0
	s_and_not1_b32 s27, s27, exec_lo
	s_waitcnt vmcnt(0)
	v_cmp_ne_u16_e32 vcc_lo, v37, v38
	s_and_b32 s34, vcc_lo, exec_lo
	s_delay_alu instid0(SALU_CYCLE_1)
	s_or_b32 s27, s27, s34
.LBB365_297:                            ;   in Loop: Header=BB365_298 Depth=1
	v_dual_mov_b32 v38, s1 :: v_dual_mov_b32 v37, s0
	s_and_b32 s34, exec_lo, s27
	s_mov_b64 s[0:1], s[4:5]
	s_or_b32 s26, s34, s26
	s_delay_alu instid0(SALU_CYCLE_1)
	s_and_not1_b32 exec_lo, exec_lo, s26
	s_cbranch_execz .LBB365_300
.LBB365_298:                            ; =>This Inner Loop Header: Depth=1
	s_or_b32 s27, s27, exec_lo
	s_cmp_eq_u64 s[14:15], s[0:1]
	s_cbranch_scc0 .LBB365_296
; %bb.299:                              ;   in Loop: Header=BB365_298 Depth=1
	s_mov_b64 s[0:1], s[14:15]
                                        ; implicit-def: $sgpr4_sgpr5
	s_branch .LBB365_297
.LBB365_300:
	s_set_inst_prefetch_distance 0x2
	s_or_b32 exec_lo, exec_lo, s26
	v_cmp_gt_i64_e32 vcc_lo, s[14:15], v[37:38]
	s_or_not1_b32 s0, vcc_lo, exec_lo
.LBB365_301:
	s_or_b32 exec_lo, exec_lo, s24
.LBB365_302:
	s_delay_alu instid0(SALU_CYCLE_1)
	s_and_b32 s24, s0, exec_lo
.LBB365_303:
	s_or_b32 exec_lo, exec_lo, s25
	v_or_b32_e32 v33, 6, v55
	s_mov_b32 s25, exec_lo
	s_delay_alu instid0(VALU_DEP_1)
	v_cmpx_gt_u32_e64 s31, v33
	s_cbranch_execz .LBB365_314
; %bb.304:
	s_and_not1_b32 vcc_lo, exec_lo, s7
	s_mov_b32 s0, 0
	s_cbranch_vccnz .LBB365_313
; %bb.305:
	v_mad_u64_u32 v[33:34], null, v23, s14, s[20:21]
	v_mul_lo_u32 v37, v23, s15
	v_mul_lo_u32 v38, v24, s14
	s_waitcnt vmcnt(0) lgkmcnt(1)
	v_mad_u64_u32 v[35:36], null, v17, s14, s[20:21]
	v_mul_lo_u32 v39, v17, s15
	v_mul_lo_u32 v40, v18, s14
	s_mov_b32 s0, -1
	s_mov_b32 s13, exec_lo
	s_delay_alu instid0(VALU_DEP_4) | instskip(NEXT) | instid1(VALU_DEP_2)
	v_add3_u32 v34, v38, v34, v37
	v_add3_u32 v36, v40, v36, v39
	s_clause 0x1
	global_load_u8 v37, v[33:34], off
	global_load_u8 v38, v[35:36], off
	s_waitcnt vmcnt(0)
	v_cmpx_eq_u16_e64 v37, v38
	s_cbranch_execz .LBB365_312
; %bb.306:
	s_mov_b64 s[0:1], 1
	s_mov_b32 s26, 0
                                        ; implicit-def: $sgpr27
	s_set_inst_prefetch_distance 0x1
	s_branch .LBB365_309
	.p2align	6
.LBB365_307:                            ;   in Loop: Header=BB365_309 Depth=1
	v_add_co_u32 v37, vcc_lo, v33, s0
	v_add_co_ci_u32_e32 v38, vcc_lo, s1, v34, vcc_lo
	v_add_co_u32 v39, vcc_lo, v35, s0
	v_add_co_ci_u32_e32 v40, vcc_lo, s1, v36, vcc_lo
	s_add_u32 s4, s0, 1
	s_clause 0x1
	global_load_u8 v37, v[37:38], off
	global_load_u8 v38, v[39:40], off
	s_addc_u32 s5, s1, 0
	s_and_not1_b32 s27, s27, exec_lo
	s_waitcnt vmcnt(0)
	v_cmp_ne_u16_e32 vcc_lo, v37, v38
	s_and_b32 s34, vcc_lo, exec_lo
	s_delay_alu instid0(SALU_CYCLE_1)
	s_or_b32 s27, s27, s34
.LBB365_308:                            ;   in Loop: Header=BB365_309 Depth=1
	v_dual_mov_b32 v38, s1 :: v_dual_mov_b32 v37, s0
	s_and_b32 s34, exec_lo, s27
	s_mov_b64 s[0:1], s[4:5]
	s_or_b32 s26, s34, s26
	s_delay_alu instid0(SALU_CYCLE_1)
	s_and_not1_b32 exec_lo, exec_lo, s26
	s_cbranch_execz .LBB365_311
.LBB365_309:                            ; =>This Inner Loop Header: Depth=1
	s_or_b32 s27, s27, exec_lo
	s_cmp_eq_u64 s[14:15], s[0:1]
	s_cbranch_scc0 .LBB365_307
; %bb.310:                              ;   in Loop: Header=BB365_309 Depth=1
	s_mov_b64 s[0:1], s[14:15]
                                        ; implicit-def: $sgpr4_sgpr5
	s_branch .LBB365_308
.LBB365_311:
	s_set_inst_prefetch_distance 0x2
	s_or_b32 exec_lo, exec_lo, s26
	v_cmp_gt_i64_e32 vcc_lo, s[14:15], v[37:38]
	s_or_not1_b32 s0, vcc_lo, exec_lo
.LBB365_312:
	s_or_b32 exec_lo, exec_lo, s13
.LBB365_313:
	s_delay_alu instid0(SALU_CYCLE_1)
	s_and_b32 s13, s0, exec_lo
.LBB365_314:
	s_or_b32 exec_lo, exec_lo, s25
	v_or_b32_e32 v33, 5, v55
	s_mov_b32 s25, 0
	s_mov_b32 s26, 0
	s_mov_b32 s27, exec_lo
	s_delay_alu instid0(VALU_DEP_1)
	v_cmpx_gt_u32_e64 s31, v33
	s_cbranch_execz .LBB365_325
; %bb.315:
	s_and_not1_b32 vcc_lo, exec_lo, s7
	s_mov_b32 s0, 0
	s_cbranch_vccnz .LBB365_324
; %bb.316:
	v_mad_u64_u32 v[33:34], null, v21, s14, s[20:21]
	v_mul_lo_u32 v37, v21, s15
	v_mul_lo_u32 v38, v22, s14
	s_waitcnt vmcnt(0) lgkmcnt(1)
	v_mad_u64_u32 v[35:36], null, v23, s14, s[20:21]
	v_mul_lo_u32 v39, v23, s15
	v_mul_lo_u32 v40, v24, s14
	s_mov_b32 s0, -1
	s_mov_b32 s26, exec_lo
	s_delay_alu instid0(VALU_DEP_4) | instskip(NEXT) | instid1(VALU_DEP_2)
	v_add3_u32 v34, v38, v34, v37
	v_add3_u32 v36, v40, v36, v39
	s_clause 0x1
	global_load_u8 v37, v[33:34], off
	global_load_u8 v38, v[35:36], off
	s_waitcnt vmcnt(0)
	v_cmpx_eq_u16_e64 v37, v38
	s_cbranch_execz .LBB365_323
; %bb.317:
	s_mov_b64 s[0:1], 1
	s_mov_b32 s34, 0
                                        ; implicit-def: $sgpr35
	s_set_inst_prefetch_distance 0x1
	s_branch .LBB365_320
	.p2align	6
.LBB365_318:                            ;   in Loop: Header=BB365_320 Depth=1
	v_add_co_u32 v37, vcc_lo, v33, s0
	v_add_co_ci_u32_e32 v38, vcc_lo, s1, v34, vcc_lo
	v_add_co_u32 v39, vcc_lo, v35, s0
	v_add_co_ci_u32_e32 v40, vcc_lo, s1, v36, vcc_lo
	s_add_u32 s4, s0, 1
	s_clause 0x1
	global_load_u8 v37, v[37:38], off
	global_load_u8 v38, v[39:40], off
	s_addc_u32 s5, s1, 0
	s_and_not1_b32 s35, s35, exec_lo
	s_waitcnt vmcnt(0)
	v_cmp_ne_u16_e32 vcc_lo, v37, v38
	s_and_b32 s36, vcc_lo, exec_lo
	s_delay_alu instid0(SALU_CYCLE_1)
	s_or_b32 s35, s35, s36
.LBB365_319:                            ;   in Loop: Header=BB365_320 Depth=1
	v_dual_mov_b32 v38, s1 :: v_dual_mov_b32 v37, s0
	s_and_b32 s36, exec_lo, s35
	s_mov_b64 s[0:1], s[4:5]
	s_or_b32 s34, s36, s34
	s_delay_alu instid0(SALU_CYCLE_1)
	s_and_not1_b32 exec_lo, exec_lo, s34
	s_cbranch_execz .LBB365_322
.LBB365_320:                            ; =>This Inner Loop Header: Depth=1
	s_or_b32 s35, s35, exec_lo
	s_cmp_eq_u64 s[14:15], s[0:1]
	s_cbranch_scc0 .LBB365_318
; %bb.321:                              ;   in Loop: Header=BB365_320 Depth=1
	s_mov_b64 s[0:1], s[14:15]
                                        ; implicit-def: $sgpr4_sgpr5
	s_branch .LBB365_319
.LBB365_322:
	s_set_inst_prefetch_distance 0x2
	s_or_b32 exec_lo, exec_lo, s34
	v_cmp_gt_i64_e32 vcc_lo, s[14:15], v[37:38]
	s_or_not1_b32 s0, vcc_lo, exec_lo
.LBB365_323:
	s_or_b32 exec_lo, exec_lo, s26
.LBB365_324:
	s_delay_alu instid0(SALU_CYCLE_1)
	s_and_b32 s26, s0, exec_lo
.LBB365_325:
	s_or_b32 exec_lo, exec_lo, s27
	v_or_b32_e32 v33, 4, v55
	s_mov_b32 s27, exec_lo
	s_delay_alu instid0(VALU_DEP_1)
	v_cmpx_gt_u32_e64 s31, v33
	s_cbranch_execz .LBB365_336
; %bb.326:
	s_and_not1_b32 vcc_lo, exec_lo, s7
	s_mov_b32 s0, 0
	s_cbranch_vccnz .LBB365_335
; %bb.327:
	v_mad_u64_u32 v[33:34], null, v27, s14, s[20:21]
	v_mul_lo_u32 v37, v27, s15
	v_mul_lo_u32 v38, v28, s14
	s_waitcnt vmcnt(0) lgkmcnt(1)
	v_mad_u64_u32 v[35:36], null, v21, s14, s[20:21]
	v_mul_lo_u32 v39, v21, s15
	v_mul_lo_u32 v40, v22, s14
	s_mov_b32 s0, -1
	s_mov_b32 s25, exec_lo
	s_delay_alu instid0(VALU_DEP_4) | instskip(NEXT) | instid1(VALU_DEP_2)
	v_add3_u32 v34, v38, v34, v37
	v_add3_u32 v36, v40, v36, v39
	s_clause 0x1
	global_load_u8 v37, v[33:34], off
	global_load_u8 v38, v[35:36], off
	s_waitcnt vmcnt(0)
	v_cmpx_eq_u16_e64 v37, v38
	s_cbranch_execz .LBB365_334
; %bb.328:
	s_mov_b64 s[0:1], 1
	s_mov_b32 s34, 0
                                        ; implicit-def: $sgpr35
	s_set_inst_prefetch_distance 0x1
	s_branch .LBB365_331
	.p2align	6
.LBB365_329:                            ;   in Loop: Header=BB365_331 Depth=1
	v_add_co_u32 v37, vcc_lo, v33, s0
	v_add_co_ci_u32_e32 v38, vcc_lo, s1, v34, vcc_lo
	v_add_co_u32 v39, vcc_lo, v35, s0
	v_add_co_ci_u32_e32 v40, vcc_lo, s1, v36, vcc_lo
	s_add_u32 s4, s0, 1
	s_clause 0x1
	global_load_u8 v37, v[37:38], off
	global_load_u8 v38, v[39:40], off
	s_addc_u32 s5, s1, 0
	s_and_not1_b32 s35, s35, exec_lo
	s_waitcnt vmcnt(0)
	v_cmp_ne_u16_e32 vcc_lo, v37, v38
	s_and_b32 s36, vcc_lo, exec_lo
	s_delay_alu instid0(SALU_CYCLE_1)
	s_or_b32 s35, s35, s36
.LBB365_330:                            ;   in Loop: Header=BB365_331 Depth=1
	v_dual_mov_b32 v38, s1 :: v_dual_mov_b32 v37, s0
	s_and_b32 s36, exec_lo, s35
	s_mov_b64 s[0:1], s[4:5]
	s_or_b32 s34, s36, s34
	s_delay_alu instid0(SALU_CYCLE_1)
	s_and_not1_b32 exec_lo, exec_lo, s34
	s_cbranch_execz .LBB365_333
.LBB365_331:                            ; =>This Inner Loop Header: Depth=1
	s_or_b32 s35, s35, exec_lo
	s_cmp_eq_u64 s[14:15], s[0:1]
	s_cbranch_scc0 .LBB365_329
; %bb.332:                              ;   in Loop: Header=BB365_331 Depth=1
	s_mov_b64 s[0:1], s[14:15]
                                        ; implicit-def: $sgpr4_sgpr5
	s_branch .LBB365_330
.LBB365_333:
	s_set_inst_prefetch_distance 0x2
	s_or_b32 exec_lo, exec_lo, s34
	v_cmp_gt_i64_e32 vcc_lo, s[14:15], v[37:38]
	s_or_not1_b32 s0, vcc_lo, exec_lo
.LBB365_334:
	s_or_b32 exec_lo, exec_lo, s25
.LBB365_335:
	s_delay_alu instid0(SALU_CYCLE_1)
	s_and_b32 s25, s0, exec_lo
.LBB365_336:
	s_or_b32 exec_lo, exec_lo, s27
	v_or_b32_e32 v33, 3, v55
	s_mov_b32 s34, 0
	s_mov_b32 s27, 0
	s_mov_b32 s35, exec_lo
	s_delay_alu instid0(VALU_DEP_1)
	v_cmpx_gt_u32_e64 s31, v33
	s_cbranch_execz .LBB365_347
; %bb.337:
	s_and_not1_b32 vcc_lo, exec_lo, s7
	s_mov_b32 s0, 0
	s_cbranch_vccnz .LBB365_346
; %bb.338:
	v_mad_u64_u32 v[33:34], null, v25, s14, s[20:21]
	v_mul_lo_u32 v37, v25, s15
	v_mul_lo_u32 v38, v26, s14
	s_waitcnt vmcnt(0) lgkmcnt(1)
	v_mad_u64_u32 v[35:36], null, v27, s14, s[20:21]
	v_mul_lo_u32 v39, v27, s15
	v_mul_lo_u32 v40, v28, s14
	s_mov_b32 s0, -1
	s_mov_b32 s27, exec_lo
	s_delay_alu instid0(VALU_DEP_4) | instskip(NEXT) | instid1(VALU_DEP_2)
	v_add3_u32 v34, v38, v34, v37
	v_add3_u32 v36, v40, v36, v39
	s_clause 0x1
	global_load_u8 v37, v[33:34], off
	global_load_u8 v38, v[35:36], off
	s_waitcnt vmcnt(0)
	v_cmpx_eq_u16_e64 v37, v38
	s_cbranch_execz .LBB365_345
; %bb.339:
	s_mov_b64 s[0:1], 1
	s_mov_b32 s36, 0
                                        ; implicit-def: $sgpr37
	s_set_inst_prefetch_distance 0x1
	s_branch .LBB365_342
	.p2align	6
.LBB365_340:                            ;   in Loop: Header=BB365_342 Depth=1
	v_add_co_u32 v37, vcc_lo, v33, s0
	v_add_co_ci_u32_e32 v38, vcc_lo, s1, v34, vcc_lo
	v_add_co_u32 v39, vcc_lo, v35, s0
	v_add_co_ci_u32_e32 v40, vcc_lo, s1, v36, vcc_lo
	s_add_u32 s4, s0, 1
	s_clause 0x1
	global_load_u8 v37, v[37:38], off
	global_load_u8 v38, v[39:40], off
	s_addc_u32 s5, s1, 0
	s_and_not1_b32 s37, s37, exec_lo
	s_waitcnt vmcnt(0)
	v_cmp_ne_u16_e32 vcc_lo, v37, v38
	s_and_b32 s38, vcc_lo, exec_lo
	s_delay_alu instid0(SALU_CYCLE_1)
	s_or_b32 s37, s37, s38
.LBB365_341:                            ;   in Loop: Header=BB365_342 Depth=1
	v_dual_mov_b32 v38, s1 :: v_dual_mov_b32 v37, s0
	s_and_b32 s38, exec_lo, s37
	s_mov_b64 s[0:1], s[4:5]
	s_or_b32 s36, s38, s36
	s_delay_alu instid0(SALU_CYCLE_1)
	s_and_not1_b32 exec_lo, exec_lo, s36
	s_cbranch_execz .LBB365_344
.LBB365_342:                            ; =>This Inner Loop Header: Depth=1
	s_or_b32 s37, s37, exec_lo
	s_cmp_eq_u64 s[14:15], s[0:1]
	s_cbranch_scc0 .LBB365_340
; %bb.343:                              ;   in Loop: Header=BB365_342 Depth=1
	s_mov_b64 s[0:1], s[14:15]
                                        ; implicit-def: $sgpr4_sgpr5
	s_branch .LBB365_341
.LBB365_344:
	s_set_inst_prefetch_distance 0x2
	s_or_b32 exec_lo, exec_lo, s36
	v_cmp_gt_i64_e32 vcc_lo, s[14:15], v[37:38]
	s_or_not1_b32 s0, vcc_lo, exec_lo
.LBB365_345:
	s_or_b32 exec_lo, exec_lo, s27
.LBB365_346:
	s_delay_alu instid0(SALU_CYCLE_1)
	s_and_b32 s27, s0, exec_lo
.LBB365_347:
	s_or_b32 exec_lo, exec_lo, s35
	v_or_b32_e32 v33, 2, v55
	s_mov_b32 s35, exec_lo
	s_delay_alu instid0(VALU_DEP_1)
	v_cmpx_gt_u32_e64 s31, v33
	s_cbranch_execz .LBB365_358
; %bb.348:
	s_and_not1_b32 vcc_lo, exec_lo, s7
	s_mov_b32 s0, 0
	s_cbranch_vccnz .LBB365_357
; %bb.349:
	v_mad_u64_u32 v[33:34], null, v31, s14, s[20:21]
	v_mul_lo_u32 v37, v31, s15
	v_mul_lo_u32 v38, v32, s14
	s_waitcnt vmcnt(0) lgkmcnt(1)
	v_mad_u64_u32 v[35:36], null, v25, s14, s[20:21]
	v_mul_lo_u32 v39, v25, s15
	v_mul_lo_u32 v40, v26, s14
	s_mov_b32 s0, -1
	s_mov_b32 s34, exec_lo
	s_delay_alu instid0(VALU_DEP_4) | instskip(NEXT) | instid1(VALU_DEP_2)
	v_add3_u32 v34, v38, v34, v37
	v_add3_u32 v36, v40, v36, v39
	s_clause 0x1
	global_load_u8 v37, v[33:34], off
	global_load_u8 v38, v[35:36], off
	s_waitcnt vmcnt(0)
	v_cmpx_eq_u16_e64 v37, v38
	s_cbranch_execz .LBB365_356
; %bb.350:
	s_mov_b64 s[0:1], 1
	s_mov_b32 s36, 0
                                        ; implicit-def: $sgpr37
	s_set_inst_prefetch_distance 0x1
	s_branch .LBB365_353
	.p2align	6
.LBB365_351:                            ;   in Loop: Header=BB365_353 Depth=1
	v_add_co_u32 v37, vcc_lo, v33, s0
	v_add_co_ci_u32_e32 v38, vcc_lo, s1, v34, vcc_lo
	v_add_co_u32 v39, vcc_lo, v35, s0
	v_add_co_ci_u32_e32 v40, vcc_lo, s1, v36, vcc_lo
	s_add_u32 s4, s0, 1
	s_clause 0x1
	global_load_u8 v37, v[37:38], off
	global_load_u8 v38, v[39:40], off
	s_addc_u32 s5, s1, 0
	s_and_not1_b32 s37, s37, exec_lo
	s_waitcnt vmcnt(0)
	v_cmp_ne_u16_e32 vcc_lo, v37, v38
	s_and_b32 s38, vcc_lo, exec_lo
	s_delay_alu instid0(SALU_CYCLE_1)
	s_or_b32 s37, s37, s38
.LBB365_352:                            ;   in Loop: Header=BB365_353 Depth=1
	v_dual_mov_b32 v38, s1 :: v_dual_mov_b32 v37, s0
	s_and_b32 s38, exec_lo, s37
	s_mov_b64 s[0:1], s[4:5]
	s_or_b32 s36, s38, s36
	s_delay_alu instid0(SALU_CYCLE_1)
	s_and_not1_b32 exec_lo, exec_lo, s36
	s_cbranch_execz .LBB365_355
.LBB365_353:                            ; =>This Inner Loop Header: Depth=1
	s_or_b32 s37, s37, exec_lo
	s_cmp_eq_u64 s[14:15], s[0:1]
	s_cbranch_scc0 .LBB365_351
; %bb.354:                              ;   in Loop: Header=BB365_353 Depth=1
	s_mov_b64 s[0:1], s[14:15]
                                        ; implicit-def: $sgpr4_sgpr5
	s_branch .LBB365_352
.LBB365_355:
	s_set_inst_prefetch_distance 0x2
	s_or_b32 exec_lo, exec_lo, s36
	v_cmp_gt_i64_e32 vcc_lo, s[14:15], v[37:38]
	s_or_not1_b32 s0, vcc_lo, exec_lo
.LBB365_356:
	s_or_b32 exec_lo, exec_lo, s34
.LBB365_357:
	s_delay_alu instid0(SALU_CYCLE_1)
	s_and_b32 s34, s0, exec_lo
.LBB365_358:
	s_or_b32 exec_lo, exec_lo, s35
	v_or_b32_e32 v33, 1, v55
	s_mov_b32 s0, 0
	s_mov_b32 s35, exec_lo
	s_delay_alu instid0(VALU_DEP_1)
	v_cmpx_gt_u32_e64 s31, v33
	s_cbranch_execz .LBB365_369
; %bb.359:
	s_and_not1_b32 vcc_lo, exec_lo, s7
	s_cbranch_vccnz .LBB365_368
; %bb.360:
	v_mad_u64_u32 v[33:34], null, v29, s14, s[20:21]
	v_mul_lo_u32 v37, v29, s15
	v_mul_lo_u32 v38, v30, s14
	s_waitcnt vmcnt(0) lgkmcnt(1)
	v_mad_u64_u32 v[35:36], null, v31, s14, s[20:21]
	v_mul_lo_u32 v39, v31, s15
	v_mul_lo_u32 v40, v32, s14
	s_mov_b32 s0, -1
	s_mov_b32 s36, exec_lo
	s_delay_alu instid0(VALU_DEP_4) | instskip(NEXT) | instid1(VALU_DEP_2)
	v_add3_u32 v34, v38, v34, v37
	v_add3_u32 v36, v40, v36, v39
	s_clause 0x1
	global_load_u8 v37, v[33:34], off
	global_load_u8 v38, v[35:36], off
	s_waitcnt vmcnt(0)
	v_cmpx_eq_u16_e64 v37, v38
	s_cbranch_execz .LBB365_367
; %bb.361:
	s_mov_b64 s[0:1], 1
	s_mov_b32 s37, 0
                                        ; implicit-def: $sgpr38
	s_set_inst_prefetch_distance 0x1
	s_branch .LBB365_364
	.p2align	6
.LBB365_362:                            ;   in Loop: Header=BB365_364 Depth=1
	v_add_co_u32 v37, vcc_lo, v33, s0
	v_add_co_ci_u32_e32 v38, vcc_lo, s1, v34, vcc_lo
	v_add_co_u32 v39, vcc_lo, v35, s0
	v_add_co_ci_u32_e32 v40, vcc_lo, s1, v36, vcc_lo
	s_add_u32 s4, s0, 1
	s_clause 0x1
	global_load_u8 v37, v[37:38], off
	global_load_u8 v38, v[39:40], off
	s_addc_u32 s5, s1, 0
	s_and_not1_b32 s38, s38, exec_lo
	s_waitcnt vmcnt(0)
	v_cmp_ne_u16_e32 vcc_lo, v37, v38
	s_and_b32 s39, vcc_lo, exec_lo
	s_delay_alu instid0(SALU_CYCLE_1)
	s_or_b32 s38, s38, s39
.LBB365_363:                            ;   in Loop: Header=BB365_364 Depth=1
	v_dual_mov_b32 v38, s1 :: v_dual_mov_b32 v37, s0
	s_and_b32 s39, exec_lo, s38
	s_mov_b64 s[0:1], s[4:5]
	s_or_b32 s37, s39, s37
	s_delay_alu instid0(SALU_CYCLE_1)
	s_and_not1_b32 exec_lo, exec_lo, s37
	s_cbranch_execz .LBB365_366
.LBB365_364:                            ; =>This Inner Loop Header: Depth=1
	s_or_b32 s38, s38, exec_lo
	s_cmp_eq_u64 s[14:15], s[0:1]
	s_cbranch_scc0 .LBB365_362
; %bb.365:                              ;   in Loop: Header=BB365_364 Depth=1
	s_mov_b64 s[0:1], s[14:15]
                                        ; implicit-def: $sgpr4_sgpr5
	s_branch .LBB365_363
.LBB365_366:
	s_set_inst_prefetch_distance 0x2
	s_or_b32 exec_lo, exec_lo, s37
	v_cmp_gt_i64_e32 vcc_lo, s[14:15], v[37:38]
	s_or_not1_b32 s0, vcc_lo, exec_lo
.LBB365_367:
	s_or_b32 exec_lo, exec_lo, s36
.LBB365_368:
	s_delay_alu instid0(SALU_CYCLE_1)
	s_and_b32 s0, s0, exec_lo
.LBB365_369:
	s_or_b32 exec_lo, exec_lo, s35
	v_cndmask_b32_e64 v34, 0, 1, s27
	s_waitcnt vmcnt(0) lgkmcnt(1)
	v_cndmask_b32_e64 v35, 0, 1, s26
	v_cndmask_b32_e64 v36, 0, 1, s24
	;; [unrolled: 1-line block ×6, first 2 shown]
	v_lshlrev_b16 v35, 8, v35
	v_lshlrev_b16 v36, 8, v36
	;; [unrolled: 1-line block ×4, first 2 shown]
	s_waitcnt lgkmcnt(0)
	v_or_b32_e32 v35, v38, v35
	v_or_b32_e32 v36, v39, v36
	v_or_b32_e32 v37, 1, v37
	v_or_b32_e32 v33, v33, v34
	s_barrier
	v_and_b32_e32 v34, 0xffff, v35
	v_lshlrev_b32_e32 v35, 16, v36
	v_and_b32_e32 v36, 0xffff, v37
	v_lshlrev_b32_e32 v33, 16, v33
	buffer_gl0_inv
                                        ; implicit-def: $sgpr0
	v_or_b32_e32 v34, v34, v35
	v_or_b32_e32 v33, v36, v33
	s_and_saveexec_b32 s13, s3
	s_cbranch_execz .LBB365_382
; %bb.370:
	s_mov_b32 s0, 0
	s_mov_b32 s3, exec_lo
	v_cmpx_gt_u32_e64 s31, v55
	s_cbranch_execz .LBB365_381
; %bb.371:
	s_and_not1_b32 vcc_lo, exec_lo, s7
	s_cbranch_vccnz .LBB365_380
; %bb.372:
	v_add_nc_u32_e32 v35, -8, v55
	v_mul_lo_u32 v41, v29, s15
	s_mov_b32 s0, -1
	s_mov_b32 s7, exec_lo
	ds_load_b64 v[39:40], v35
	v_mad_u64_u32 v[35:36], null, v29, s14, s[20:21]
	s_waitcnt lgkmcnt(0)
	v_mul_lo_u32 v42, v39, s15
	v_mul_lo_u32 v40, v40, s14
	v_mad_u64_u32 v[37:38], null, v39, s14, s[20:21]
	v_mul_lo_u32 v39, v30, s14
	s_delay_alu instid0(VALU_DEP_2) | instskip(NEXT) | instid1(VALU_DEP_2)
	v_add3_u32 v38, v40, v38, v42
	v_add3_u32 v36, v39, v36, v41
	s_clause 0x1
	global_load_u8 v39, v[37:38], off
	global_load_u8 v40, v[35:36], off
	s_waitcnt vmcnt(0)
	v_cmpx_eq_u16_e64 v39, v40
	s_cbranch_execz .LBB365_379
; %bb.373:
	s_mov_b64 s[0:1], 1
	s_mov_b32 s20, 0
                                        ; implicit-def: $sgpr21
	s_set_inst_prefetch_distance 0x1
	s_branch .LBB365_376
	.p2align	6
.LBB365_374:                            ;   in Loop: Header=BB365_376 Depth=1
	v_add_co_u32 v39, vcc_lo, v37, s0
	v_add_co_ci_u32_e32 v40, vcc_lo, s1, v38, vcc_lo
	v_add_co_u32 v41, vcc_lo, v35, s0
	v_add_co_ci_u32_e32 v42, vcc_lo, s1, v36, vcc_lo
	s_add_u32 s4, s0, 1
	s_clause 0x1
	global_load_u8 v39, v[39:40], off
	global_load_u8 v40, v[41:42], off
	s_addc_u32 s5, s1, 0
	s_and_not1_b32 s21, s21, exec_lo
	s_waitcnt vmcnt(0)
	v_cmp_ne_u16_e32 vcc_lo, v39, v40
	s_and_b32 s24, vcc_lo, exec_lo
	s_delay_alu instid0(SALU_CYCLE_1)
	s_or_b32 s21, s21, s24
.LBB365_375:                            ;   in Loop: Header=BB365_376 Depth=1
	v_dual_mov_b32 v40, s1 :: v_dual_mov_b32 v39, s0
	s_and_b32 s24, exec_lo, s21
	s_mov_b64 s[0:1], s[4:5]
	s_or_b32 s20, s24, s20
	s_delay_alu instid0(SALU_CYCLE_1)
	s_and_not1_b32 exec_lo, exec_lo, s20
	s_cbranch_execz .LBB365_378
.LBB365_376:                            ; =>This Inner Loop Header: Depth=1
	s_or_b32 s21, s21, exec_lo
	s_cmp_eq_u64 s[14:15], s[0:1]
	s_cbranch_scc0 .LBB365_374
; %bb.377:                              ;   in Loop: Header=BB365_376 Depth=1
	s_mov_b64 s[0:1], s[14:15]
                                        ; implicit-def: $sgpr4_sgpr5
	s_branch .LBB365_375
.LBB365_378:
	s_set_inst_prefetch_distance 0x2
	s_or_b32 exec_lo, exec_lo, s20
	v_cmp_gt_i64_e32 vcc_lo, s[14:15], v[39:40]
	s_or_not1_b32 s0, vcc_lo, exec_lo
.LBB365_379:
	s_or_b32 exec_lo, exec_lo, s7
.LBB365_380:
	s_delay_alu instid0(SALU_CYCLE_1)
	s_and_b32 s0, s0, exec_lo
.LBB365_381:
	s_or_b32 exec_lo, exec_lo, s3
	s_delay_alu instid0(SALU_CYCLE_1)
	s_and_b32 s0, s0, exec_lo
	s_or_b32 s6, s6, exec_lo
.LBB365_382:
	s_or_b32 exec_lo, exec_lo, s13
.LBB365_383:
	s_and_saveexec_b32 s1, s6
	s_cbranch_execz .LBB365_385
; %bb.384:
	s_waitcnt vmcnt(0) lgkmcnt(0)
	v_and_b32_e32 v35, 0xffffff00, v33
	v_cndmask_b32_e64 v36, 0, 1, s0
	s_delay_alu instid0(VALU_DEP_1) | instskip(NEXT) | instid1(VALU_DEP_1)
	v_or_b32_e32 v35, v36, v35
	v_and_b32_e32 v35, 0xffff, v35
	s_delay_alu instid0(VALU_DEP_1)
	v_and_or_b32 v33, 0xffff0000, v33, v35
.LBB365_385:
	s_or_b32 exec_lo, exec_lo, s1
	s_delay_alu instid0(SALU_CYCLE_1)
	s_and_not1_b32 vcc_lo, exec_lo, s33
	s_cbranch_vccnz .LBB365_387
; %bb.386:
	v_cmp_gt_u32_e32 vcc_lo, s31, v55
	s_waitcnt vmcnt(0) lgkmcnt(0)
	v_or_b32_e32 v36, 1, v55
	v_and_b32_e32 v37, 0xffffff00, v34
	v_or_b32_e32 v38, 2, v55
	v_cndmask_b32_e32 v35, 0, v33, vcc_lo
	s_delay_alu instid0(VALU_DEP_4) | instskip(SKIP_1) | instid1(VALU_DEP_4)
	v_cmp_gt_u32_e32 vcc_lo, s31, v36
	v_or_b32_e32 v36, 4, v55
	v_cmp_gt_u32_e64 s0, s31, v38
	v_or_b32_e32 v38, 3, v55
	v_and_b32_e32 v35, 0xff, v35
	s_delay_alu instid0(VALU_DEP_2) | instskip(NEXT) | instid1(VALU_DEP_2)
	v_cmp_gt_u32_e64 s1, s31, v38
	v_cndmask_b32_e32 v35, v35, v33, vcc_lo
	v_cmp_gt_u32_e32 vcc_lo, s31, v36
	v_cndmask_b32_e32 v36, v37, v34, vcc_lo
	v_or_b32_e32 v37, 5, v55
	s_delay_alu instid0(VALU_DEP_2) | instskip(SKIP_1) | instid1(VALU_DEP_1)
	v_and_b32_e32 v36, 0xffff00ff, v36
	v_and_b32_e32 v35, 0xffff, v35
	v_cndmask_b32_e64 v35, v35, v33, s0
	s_delay_alu instid0(VALU_DEP_4) | instskip(SKIP_1) | instid1(VALU_DEP_3)
	v_cmp_gt_u32_e64 s0, s31, v37
	v_or_b32_e32 v37, 6, v55
	v_and_b32_e32 v35, 0xffffff, v35
	s_delay_alu instid0(VALU_DEP_3) | instskip(NEXT) | instid1(VALU_DEP_2)
	v_cndmask_b32_e64 v36, v36, v34, s0
	v_cndmask_b32_e64 v35, v35, v33, s1
	s_delay_alu instid0(VALU_DEP_1) | instskip(SKIP_2) | instid1(VALU_DEP_3)
	v_dual_cndmask_b32 v35, v35, v33 :: v_dual_and_b32 v36, 0xff00ffff, v36
	v_cmp_gt_u32_e32 vcc_lo, s31, v37
	v_or_b32_e32 v37, 7, v55
	v_cndmask_b32_e64 v35, v35, v33, s0
	s_delay_alu instid0(VALU_DEP_1) | instskip(NEXT) | instid1(VALU_DEP_1)
	v_dual_cndmask_b32 v36, v36, v34 :: v_dual_cndmask_b32 v35, v35, v33
	v_and_b32_e32 v36, 0xffffff, v36
	s_delay_alu instid0(VALU_DEP_4) | instskip(NEXT) | instid1(VALU_DEP_2)
	v_cmp_gt_u32_e32 vcc_lo, s31, v37
	v_dual_cndmask_b32 v34, v36, v34 :: v_dual_cndmask_b32 v33, v35, v33
.LBB365_387:
	s_delay_alu instid0(VALU_DEP_1) | instskip(SKIP_1) | instid1(VALU_DEP_2)
	v_and_b32_e32 v42, 0xff, v33
	s_waitcnt vmcnt(0) lgkmcnt(0)
	v_alignbit_b32 v35, v34, v33, 24
	v_bfe_u32 v44, v33, 8, 8
	v_bfe_u32 v46, v33, 16, 8
	v_and_b32_e32 v50, 0xff, v34
	v_bfe_u32 v52, v34, 8, 8
	v_and_b32_e32 v48, 0xff, v35
	v_add_nc_u32_e32 v35, v44, v42
	v_mbcnt_lo_u32_b32 v57, -1, 0
	v_bfe_u32 v54, v34, 16, 8
	v_lshrrev_b32_e32 v56, 24, v34
	v_lshrrev_b32_e32 v58, 5, v0
	v_add3_u32 v35, v35, v46, v48
	v_and_b32_e32 v36, 15, v57
	v_and_b32_e32 v37, 16, v57
	s_and_b32 vcc_lo, exec_lo, s12
	s_mov_b32 s7, -1
	v_add3_u32 v35, v35, v50, v52
	v_cmp_eq_u32_e64 s3, 0, v36
	v_cmp_lt_u32_e64 s0, 1, v36
	v_cmp_lt_u32_e64 s4, 3, v36
	;; [unrolled: 1-line block ×3, first 2 shown]
	v_add3_u32 v59, v35, v54, v56
	v_or_b32_e32 v35, 31, v0
	v_cmp_eq_u32_e64 s6, 0, v37
	s_barrier
	buffer_gl0_inv
	v_cmp_eq_u32_e64 s5, v35, v0
	s_cbranch_vccz .LBB365_418
; %bb.388:
	v_mov_b32_dpp v35, v59 row_shr:1 row_mask:0xf bank_mask:0xf
	s_delay_alu instid0(VALU_DEP_1) | instskip(NEXT) | instid1(VALU_DEP_1)
	v_cndmask_b32_e64 v35, v35, 0, s3
	v_add_nc_u32_e32 v35, v35, v59
	s_delay_alu instid0(VALU_DEP_1) | instskip(NEXT) | instid1(VALU_DEP_1)
	v_mov_b32_dpp v36, v35 row_shr:2 row_mask:0xf bank_mask:0xf
	v_cndmask_b32_e64 v36, 0, v36, s0
	s_delay_alu instid0(VALU_DEP_1) | instskip(NEXT) | instid1(VALU_DEP_1)
	v_add_nc_u32_e32 v35, v35, v36
	v_mov_b32_dpp v36, v35 row_shr:4 row_mask:0xf bank_mask:0xf
	s_delay_alu instid0(VALU_DEP_1) | instskip(NEXT) | instid1(VALU_DEP_1)
	v_cndmask_b32_e64 v36, 0, v36, s4
	v_add_nc_u32_e32 v35, v35, v36
	s_delay_alu instid0(VALU_DEP_1) | instskip(NEXT) | instid1(VALU_DEP_1)
	v_mov_b32_dpp v36, v35 row_shr:8 row_mask:0xf bank_mask:0xf
	v_cndmask_b32_e64 v36, 0, v36, s1
	s_delay_alu instid0(VALU_DEP_1) | instskip(SKIP_3) | instid1(VALU_DEP_1)
	v_add_nc_u32_e32 v35, v35, v36
	ds_swizzle_b32 v36, v35 offset:swizzle(BROADCAST,32,15)
	s_waitcnt lgkmcnt(0)
	v_cndmask_b32_e64 v36, v36, 0, s6
	v_add_nc_u32_e32 v35, v35, v36
	s_and_saveexec_b32 s7, s5
	s_cbranch_execz .LBB365_390
; %bb.389:
	v_lshlrev_b32_e32 v36, 2, v58
	ds_store_b32 v36, v35
.LBB365_390:
	s_or_b32 exec_lo, exec_lo, s7
	s_delay_alu instid0(SALU_CYCLE_1)
	s_mov_b32 s7, exec_lo
	s_waitcnt lgkmcnt(0)
	s_barrier
	buffer_gl0_inv
	v_cmpx_gt_u32_e32 16, v0
	s_cbranch_execz .LBB365_392
; %bb.391:
	v_lshlrev_b32_e32 v36, 2, v0
	ds_load_b32 v37, v36
	s_waitcnt lgkmcnt(0)
	v_mov_b32_dpp v38, v37 row_shr:1 row_mask:0xf bank_mask:0xf
	s_delay_alu instid0(VALU_DEP_1) | instskip(NEXT) | instid1(VALU_DEP_1)
	v_cndmask_b32_e64 v38, v38, 0, s3
	v_add_nc_u32_e32 v37, v38, v37
	s_delay_alu instid0(VALU_DEP_1) | instskip(NEXT) | instid1(VALU_DEP_1)
	v_mov_b32_dpp v38, v37 row_shr:2 row_mask:0xf bank_mask:0xf
	v_cndmask_b32_e64 v38, 0, v38, s0
	s_delay_alu instid0(VALU_DEP_1) | instskip(NEXT) | instid1(VALU_DEP_1)
	v_add_nc_u32_e32 v37, v37, v38
	v_mov_b32_dpp v38, v37 row_shr:4 row_mask:0xf bank_mask:0xf
	s_delay_alu instid0(VALU_DEP_1) | instskip(NEXT) | instid1(VALU_DEP_1)
	v_cndmask_b32_e64 v38, 0, v38, s4
	v_add_nc_u32_e32 v37, v37, v38
	s_delay_alu instid0(VALU_DEP_1) | instskip(NEXT) | instid1(VALU_DEP_1)
	v_mov_b32_dpp v38, v37 row_shr:8 row_mask:0xf bank_mask:0xf
	v_cndmask_b32_e64 v38, 0, v38, s1
	s_delay_alu instid0(VALU_DEP_1)
	v_add_nc_u32_e32 v37, v37, v38
	ds_store_b32 v36, v37
.LBB365_392:
	s_or_b32 exec_lo, exec_lo, s7
	v_cmp_gt_u32_e32 vcc_lo, 32, v0
	s_mov_b32 s12, exec_lo
	s_waitcnt lgkmcnt(0)
	s_barrier
	buffer_gl0_inv
                                        ; implicit-def: $vgpr43
	v_cmpx_lt_u32_e32 31, v0
	s_cbranch_execz .LBB365_394
; %bb.393:
	v_lshl_add_u32 v36, v58, 2, -4
	ds_load_b32 v43, v36
	s_waitcnt lgkmcnt(0)
	v_add_nc_u32_e32 v35, v43, v35
.LBB365_394:
	s_or_b32 exec_lo, exec_lo, s12
	v_add_nc_u32_e32 v36, -1, v57
	s_delay_alu instid0(VALU_DEP_1) | instskip(NEXT) | instid1(VALU_DEP_1)
	v_cmp_gt_i32_e64 s7, 0, v36
	v_cndmask_b32_e64 v36, v36, v57, s7
	v_cmp_eq_u32_e64 s7, 0, v57
	s_delay_alu instid0(VALU_DEP_2)
	v_lshlrev_b32_e32 v36, 2, v36
	ds_bpermute_b32 v45, v36, v35
	s_and_saveexec_b32 s12, vcc_lo
	s_cbranch_execz .LBB365_417
; %bb.395:
	v_mov_b32_e32 v38, 0
	ds_load_b32 v35, v38 offset:60
	s_and_saveexec_b32 s13, s7
	s_cbranch_execz .LBB365_397
; %bb.396:
	s_add_i32 s14, s30, 32
	s_mov_b32 s15, 0
	v_mov_b32_e32 v36, 1
	s_lshl_b64 s[14:15], s[14:15], 3
	s_delay_alu instid0(SALU_CYCLE_1)
	s_add_u32 s14, s22, s14
	s_addc_u32 s15, s23, s15
	s_waitcnt lgkmcnt(0)
	global_store_b64 v38, v[35:36], s[14:15]
.LBB365_397:
	s_or_b32 exec_lo, exec_lo, s13
	v_xad_u32 v36, v57, -1, s30
	s_mov_b32 s14, 0
	s_mov_b32 s13, exec_lo
	s_delay_alu instid0(VALU_DEP_1) | instskip(NEXT) | instid1(VALU_DEP_1)
	v_add_nc_u32_e32 v37, 32, v36
	v_lshlrev_b64 v[37:38], 3, v[37:38]
	s_delay_alu instid0(VALU_DEP_1) | instskip(NEXT) | instid1(VALU_DEP_2)
	v_add_co_u32 v40, vcc_lo, s22, v37
	v_add_co_ci_u32_e32 v41, vcc_lo, s23, v38, vcc_lo
	global_load_b64 v[38:39], v[40:41], off glc
	s_waitcnt vmcnt(0)
	v_and_b32_e32 v37, 0xff, v39
	s_delay_alu instid0(VALU_DEP_1)
	v_cmpx_eq_u16_e32 0, v37
	s_cbranch_execz .LBB365_403
; %bb.398:
	s_mov_b32 s15, 1
	.p2align	6
.LBB365_399:                            ; =>This Loop Header: Depth=1
                                        ;     Child Loop BB365_400 Depth 2
	s_delay_alu instid0(SALU_CYCLE_1)
	s_max_u32 s20, s15, 1
.LBB365_400:                            ;   Parent Loop BB365_399 Depth=1
                                        ; =>  This Inner Loop Header: Depth=2
	s_delay_alu instid0(SALU_CYCLE_1)
	s_add_i32 s20, s20, -1
	s_sleep 1
	s_cmp_eq_u32 s20, 0
	s_cbranch_scc0 .LBB365_400
; %bb.401:                              ;   in Loop: Header=BB365_399 Depth=1
	global_load_b64 v[38:39], v[40:41], off glc
	s_cmp_lt_u32 s15, 32
	s_cselect_b32 s20, -1, 0
	s_delay_alu instid0(SALU_CYCLE_1) | instskip(SKIP_3) | instid1(VALU_DEP_1)
	s_cmp_lg_u32 s20, 0
	s_addc_u32 s15, s15, 0
	s_waitcnt vmcnt(0)
	v_and_b32_e32 v37, 0xff, v39
	v_cmp_ne_u16_e32 vcc_lo, 0, v37
	s_or_b32 s14, vcc_lo, s14
	s_delay_alu instid0(SALU_CYCLE_1)
	s_and_not1_b32 exec_lo, exec_lo, s14
	s_cbranch_execnz .LBB365_399
; %bb.402:
	s_or_b32 exec_lo, exec_lo, s14
.LBB365_403:
	s_delay_alu instid0(SALU_CYCLE_1)
	s_or_b32 exec_lo, exec_lo, s13
	v_cmp_ne_u32_e32 vcc_lo, 31, v57
	v_lshlrev_b32_e64 v49, v57, -1
	v_add_nc_u32_e32 v53, 2, v57
	v_add_nc_u32_e32 v61, 4, v57
	;; [unrolled: 1-line block ×3, first 2 shown]
	v_add_co_ci_u32_e32 v37, vcc_lo, 0, v57, vcc_lo
	v_add_nc_u32_e32 v66, 16, v57
	s_delay_alu instid0(VALU_DEP_2)
	v_lshlrev_b32_e32 v47, 2, v37
	v_and_b32_e32 v37, 0xff, v39
	ds_bpermute_b32 v40, v47, v38
	v_cmp_eq_u16_e32 vcc_lo, 2, v37
	v_and_or_b32 v37, vcc_lo, v49, 0x80000000
	v_cmp_gt_u32_e32 vcc_lo, 30, v57
	s_delay_alu instid0(VALU_DEP_2) | instskip(SKIP_1) | instid1(VALU_DEP_2)
	v_ctz_i32_b32_e32 v37, v37
	v_cndmask_b32_e64 v41, 0, 1, vcc_lo
	v_cmp_lt_u32_e32 vcc_lo, v57, v37
	s_waitcnt lgkmcnt(0)
	s_delay_alu instid0(VALU_DEP_2) | instskip(NEXT) | instid1(VALU_DEP_1)
	v_dual_cndmask_b32 v40, 0, v40 :: v_dual_lshlrev_b32 v41, 1, v41
	v_add_lshl_u32 v51, v41, v57, 2
	v_cmp_gt_u32_e32 vcc_lo, 28, v57
	s_delay_alu instid0(VALU_DEP_3) | instskip(SKIP_4) | instid1(VALU_DEP_1)
	v_add_nc_u32_e32 v38, v40, v38
	v_cndmask_b32_e64 v41, 0, 1, vcc_lo
	v_cmp_le_u32_e32 vcc_lo, v53, v37
	ds_bpermute_b32 v40, v51, v38
	v_lshlrev_b32_e32 v41, 2, v41
	v_add_lshl_u32 v60, v41, v57, 2
	s_waitcnt lgkmcnt(0)
	v_cndmask_b32_e32 v40, 0, v40, vcc_lo
	v_cmp_gt_u32_e32 vcc_lo, 24, v57
	s_delay_alu instid0(VALU_DEP_2) | instskip(SKIP_4) | instid1(VALU_DEP_1)
	v_add_nc_u32_e32 v38, v38, v40
	v_cndmask_b32_e64 v41, 0, 1, vcc_lo
	v_cmp_le_u32_e32 vcc_lo, v61, v37
	ds_bpermute_b32 v40, v60, v38
	v_lshlrev_b32_e32 v41, 3, v41
	v_add_lshl_u32 v63, v41, v57, 2
	s_waitcnt lgkmcnt(0)
	v_cndmask_b32_e32 v40, 0, v40, vcc_lo
	v_cmp_gt_u32_e32 vcc_lo, 16, v57
	s_delay_alu instid0(VALU_DEP_2) | instskip(SKIP_4) | instid1(VALU_DEP_1)
	v_add_nc_u32_e32 v38, v38, v40
	v_cndmask_b32_e64 v41, 0, 1, vcc_lo
	v_cmp_le_u32_e32 vcc_lo, v64, v37
	ds_bpermute_b32 v40, v63, v38
	v_lshlrev_b32_e32 v41, 4, v41
	v_add_lshl_u32 v65, v41, v57, 2
	s_waitcnt lgkmcnt(0)
	v_cndmask_b32_e32 v40, 0, v40, vcc_lo
	v_cmp_le_u32_e32 vcc_lo, v66, v37
	s_delay_alu instid0(VALU_DEP_2) | instskip(SKIP_3) | instid1(VALU_DEP_1)
	v_add_nc_u32_e32 v38, v38, v40
	ds_bpermute_b32 v40, v65, v38
	s_waitcnt lgkmcnt(0)
	v_cndmask_b32_e32 v37, 0, v40, vcc_lo
	v_dual_mov_b32 v37, 0 :: v_dual_add_nc_u32 v38, v38, v37
	s_branch .LBB365_405
.LBB365_404:                            ;   in Loop: Header=BB365_405 Depth=1
	s_or_b32 exec_lo, exec_lo, s13
	ds_bpermute_b32 v41, v47, v38
	v_and_b32_e32 v40, 0xff, v39
	v_subrev_nc_u32_e32 v36, 32, v36
	s_delay_alu instid0(VALU_DEP_2) | instskip(SKIP_1) | instid1(VALU_DEP_1)
	v_cmp_eq_u16_e32 vcc_lo, 2, v40
	v_and_or_b32 v40, vcc_lo, v49, 0x80000000
	v_ctz_i32_b32_e32 v40, v40
	s_delay_alu instid0(VALU_DEP_1) | instskip(SKIP_3) | instid1(VALU_DEP_2)
	v_cmp_lt_u32_e32 vcc_lo, v57, v40
	s_waitcnt lgkmcnt(0)
	v_cndmask_b32_e32 v41, 0, v41, vcc_lo
	v_cmp_le_u32_e32 vcc_lo, v53, v40
	v_add_nc_u32_e32 v38, v41, v38
	ds_bpermute_b32 v41, v51, v38
	s_waitcnt lgkmcnt(0)
	v_cndmask_b32_e32 v41, 0, v41, vcc_lo
	v_cmp_le_u32_e32 vcc_lo, v61, v40
	s_delay_alu instid0(VALU_DEP_2) | instskip(SKIP_4) | instid1(VALU_DEP_2)
	v_add_nc_u32_e32 v38, v38, v41
	ds_bpermute_b32 v41, v60, v38
	s_waitcnt lgkmcnt(0)
	v_cndmask_b32_e32 v41, 0, v41, vcc_lo
	v_cmp_le_u32_e32 vcc_lo, v64, v40
	v_add_nc_u32_e32 v38, v38, v41
	ds_bpermute_b32 v41, v63, v38
	s_waitcnt lgkmcnt(0)
	v_cndmask_b32_e32 v41, 0, v41, vcc_lo
	v_cmp_le_u32_e32 vcc_lo, v66, v40
	s_delay_alu instid0(VALU_DEP_2) | instskip(SKIP_3) | instid1(VALU_DEP_1)
	v_add_nc_u32_e32 v38, v38, v41
	ds_bpermute_b32 v41, v65, v38
	s_waitcnt lgkmcnt(0)
	v_cndmask_b32_e32 v40, 0, v41, vcc_lo
	v_add3_u32 v38, v40, v62, v38
.LBB365_405:                            ; =>This Loop Header: Depth=1
                                        ;     Child Loop BB365_408 Depth 2
                                        ;       Child Loop BB365_409 Depth 3
	s_delay_alu instid0(VALU_DEP_1) | instskip(NEXT) | instid1(VALU_DEP_1)
	v_dual_mov_b32 v62, v38 :: v_dual_and_b32 v39, 0xff, v39
	v_cmp_ne_u16_e32 vcc_lo, 2, v39
	v_cndmask_b32_e64 v39, 0, 1, vcc_lo
	;;#ASMSTART
	;;#ASMEND
	s_delay_alu instid0(VALU_DEP_1)
	v_cmp_ne_u32_e32 vcc_lo, 0, v39
	s_cmp_lg_u32 vcc_lo, exec_lo
	s_cbranch_scc1 .LBB365_412
; %bb.406:                              ;   in Loop: Header=BB365_405 Depth=1
	v_lshlrev_b64 v[38:39], 3, v[36:37]
	s_mov_b32 s13, exec_lo
	s_delay_alu instid0(VALU_DEP_1) | instskip(NEXT) | instid1(VALU_DEP_2)
	v_add_co_u32 v40, vcc_lo, s22, v38
	v_add_co_ci_u32_e32 v41, vcc_lo, s23, v39, vcc_lo
	global_load_b64 v[38:39], v[40:41], off glc
	s_waitcnt vmcnt(0)
	v_and_b32_e32 v67, 0xff, v39
	s_delay_alu instid0(VALU_DEP_1)
	v_cmpx_eq_u16_e32 0, v67
	s_cbranch_execz .LBB365_404
; %bb.407:                              ;   in Loop: Header=BB365_405 Depth=1
	s_mov_b32 s15, 1
	s_mov_b32 s14, 0
	.p2align	6
.LBB365_408:                            ;   Parent Loop BB365_405 Depth=1
                                        ; =>  This Loop Header: Depth=2
                                        ;       Child Loop BB365_409 Depth 3
	s_max_u32 s20, s15, 1
.LBB365_409:                            ;   Parent Loop BB365_405 Depth=1
                                        ;     Parent Loop BB365_408 Depth=2
                                        ; =>    This Inner Loop Header: Depth=3
	s_delay_alu instid0(SALU_CYCLE_1)
	s_add_i32 s20, s20, -1
	s_sleep 1
	s_cmp_eq_u32 s20, 0
	s_cbranch_scc0 .LBB365_409
; %bb.410:                              ;   in Loop: Header=BB365_408 Depth=2
	global_load_b64 v[38:39], v[40:41], off glc
	s_cmp_lt_u32 s15, 32
	s_cselect_b32 s20, -1, 0
	s_delay_alu instid0(SALU_CYCLE_1) | instskip(SKIP_3) | instid1(VALU_DEP_1)
	s_cmp_lg_u32 s20, 0
	s_addc_u32 s15, s15, 0
	s_waitcnt vmcnt(0)
	v_and_b32_e32 v67, 0xff, v39
	v_cmp_ne_u16_e32 vcc_lo, 0, v67
	s_or_b32 s14, vcc_lo, s14
	s_delay_alu instid0(SALU_CYCLE_1)
	s_and_not1_b32 exec_lo, exec_lo, s14
	s_cbranch_execnz .LBB365_408
; %bb.411:                              ;   in Loop: Header=BB365_405 Depth=1
	s_or_b32 exec_lo, exec_lo, s14
	s_branch .LBB365_404
.LBB365_412:                            ;   in Loop: Header=BB365_405 Depth=1
                                        ; implicit-def: $vgpr38
                                        ; implicit-def: $vgpr39
	s_cbranch_execz .LBB365_405
; %bb.413:
	s_and_saveexec_b32 s13, s7
	s_cbranch_execz .LBB365_415
; %bb.414:
	s_add_i32 s14, s30, 32
	s_mov_b32 s15, 0
	v_dual_mov_b32 v37, 2 :: v_dual_add_nc_u32 v36, v62, v35
	s_lshl_b64 s[14:15], s[14:15], 3
	v_mov_b32_e32 v38, 0
	v_add_nc_u32_e64 v39, 0x8400, 0
	s_add_u32 s14, s22, s14
	s_addc_u32 s15, s23, s15
	global_store_b64 v38, v[36:37], s[14:15]
	ds_store_2addr_b32 v39, v35, v62 offset1:2
.LBB365_415:
	s_or_b32 exec_lo, exec_lo, s13
	s_delay_alu instid0(SALU_CYCLE_1)
	s_and_b32 exec_lo, exec_lo, s2
	s_cbranch_execz .LBB365_417
; %bb.416:
	v_mov_b32_e32 v35, 0
	ds_store_b32 v35, v62 offset:60
.LBB365_417:
	s_or_b32 exec_lo, exec_lo, s12
	v_mov_b32_e32 v35, 0
	s_waitcnt lgkmcnt(0)
	s_waitcnt_vscnt null, 0x0
	s_barrier
	buffer_gl0_inv
	v_cndmask_b32_e64 v36, v45, v43, s7
	ds_load_b32 v35, v35 offset:60
	s_waitcnt lgkmcnt(0)
	s_barrier
	buffer_gl0_inv
	v_cndmask_b32_e64 v36, v36, 0, s2
	s_delay_alu instid0(VALU_DEP_1) | instskip(SKIP_1) | instid1(VALU_DEP_2)
	v_add_nc_u32_e32 v53, v35, v36
	v_add_nc_u32_e64 v35, 0x8400, 0
	v_add_nc_u32_e32 v51, v53, v42
	ds_load_2addr_b32 v[35:36], v35 offset1:2
	v_add_nc_u32_e32 v49, v51, v44
	s_delay_alu instid0(VALU_DEP_1) | instskip(NEXT) | instid1(VALU_DEP_1)
	v_add_nc_u32_e32 v47, v49, v46
	v_add_nc_u32_e32 v45, v47, v48
	s_delay_alu instid0(VALU_DEP_1) | instskip(SKIP_2) | instid1(VALU_DEP_2)
	v_add_nc_u32_e32 v43, v45, v50
	s_waitcnt lgkmcnt(0)
	v_readfirstlane_b32 s12, v36
	v_add_nc_u32_e32 v41, v43, v52
	s_delay_alu instid0(VALU_DEP_1)
	v_add_nc_u32_e32 v39, v41, v54
	v_lshrrev_b64 v[37:38], 24, v[33:34]
	s_branch .LBB365_428
.LBB365_418:
                                        ; implicit-def: $vgpr39
                                        ; implicit-def: $vgpr41
                                        ; implicit-def: $vgpr43
                                        ; implicit-def: $vgpr45
                                        ; implicit-def: $vgpr47
                                        ; implicit-def: $vgpr49
                                        ; implicit-def: $vgpr51
                                        ; implicit-def: $vgpr53
                                        ; implicit-def: $sgpr12
                                        ; implicit-def: $vgpr35
	v_lshrrev_b64 v[37:38], 24, v[33:34]
	s_and_b32 vcc_lo, exec_lo, s7
	s_cbranch_vccz .LBB365_428
; %bb.419:
	v_mov_b32_dpp v35, v59 row_shr:1 row_mask:0xf bank_mask:0xf
	s_delay_alu instid0(VALU_DEP_1) | instskip(NEXT) | instid1(VALU_DEP_1)
	v_cndmask_b32_e64 v35, v35, 0, s3
	v_add_nc_u32_e32 v35, v35, v59
	s_delay_alu instid0(VALU_DEP_1) | instskip(NEXT) | instid1(VALU_DEP_1)
	v_mov_b32_dpp v36, v35 row_shr:2 row_mask:0xf bank_mask:0xf
	v_cndmask_b32_e64 v36, 0, v36, s0
	s_delay_alu instid0(VALU_DEP_1) | instskip(NEXT) | instid1(VALU_DEP_1)
	v_add_nc_u32_e32 v35, v35, v36
	v_mov_b32_dpp v36, v35 row_shr:4 row_mask:0xf bank_mask:0xf
	s_delay_alu instid0(VALU_DEP_1) | instskip(NEXT) | instid1(VALU_DEP_1)
	v_cndmask_b32_e64 v36, 0, v36, s4
	v_add_nc_u32_e32 v35, v35, v36
	s_delay_alu instid0(VALU_DEP_1) | instskip(NEXT) | instid1(VALU_DEP_1)
	v_mov_b32_dpp v36, v35 row_shr:8 row_mask:0xf bank_mask:0xf
	v_cndmask_b32_e64 v36, 0, v36, s1
	s_delay_alu instid0(VALU_DEP_1) | instskip(SKIP_3) | instid1(VALU_DEP_1)
	v_add_nc_u32_e32 v35, v35, v36
	ds_swizzle_b32 v36, v35 offset:swizzle(BROADCAST,32,15)
	s_waitcnt lgkmcnt(0)
	v_cndmask_b32_e64 v36, v36, 0, s6
	v_add_nc_u32_e32 v35, v35, v36
	s_and_saveexec_b32 s6, s5
	s_cbranch_execz .LBB365_421
; %bb.420:
	v_lshlrev_b32_e32 v36, 2, v58
	ds_store_b32 v36, v35
.LBB365_421:
	s_or_b32 exec_lo, exec_lo, s6
	s_delay_alu instid0(SALU_CYCLE_1)
	s_mov_b32 s5, exec_lo
	s_waitcnt lgkmcnt(0)
	s_barrier
	buffer_gl0_inv
	v_cmpx_gt_u32_e32 16, v0
	s_cbranch_execz .LBB365_423
; %bb.422:
	v_lshlrev_b32_e32 v36, 2, v0
	ds_load_b32 v38, v36
	s_waitcnt lgkmcnt(0)
	v_mov_b32_dpp v39, v38 row_shr:1 row_mask:0xf bank_mask:0xf
	s_delay_alu instid0(VALU_DEP_1) | instskip(NEXT) | instid1(VALU_DEP_1)
	v_cndmask_b32_e64 v39, v39, 0, s3
	v_add_nc_u32_e32 v38, v39, v38
	s_delay_alu instid0(VALU_DEP_1) | instskip(NEXT) | instid1(VALU_DEP_1)
	v_mov_b32_dpp v39, v38 row_shr:2 row_mask:0xf bank_mask:0xf
	v_cndmask_b32_e64 v39, 0, v39, s0
	s_delay_alu instid0(VALU_DEP_1) | instskip(NEXT) | instid1(VALU_DEP_1)
	v_add_nc_u32_e32 v38, v38, v39
	v_mov_b32_dpp v39, v38 row_shr:4 row_mask:0xf bank_mask:0xf
	s_delay_alu instid0(VALU_DEP_1) | instskip(NEXT) | instid1(VALU_DEP_1)
	v_cndmask_b32_e64 v39, 0, v39, s4
	v_add_nc_u32_e32 v38, v38, v39
	s_delay_alu instid0(VALU_DEP_1) | instskip(NEXT) | instid1(VALU_DEP_1)
	v_mov_b32_dpp v39, v38 row_shr:8 row_mask:0xf bank_mask:0xf
	v_cndmask_b32_e64 v39, 0, v39, s1
	s_delay_alu instid0(VALU_DEP_1)
	v_add_nc_u32_e32 v38, v38, v39
	ds_store_b32 v36, v38
.LBB365_423:
	s_or_b32 exec_lo, exec_lo, s5
	v_mov_b32_e32 v36, 0
	v_mov_b32_e32 v38, 0
	s_mov_b32 s0, exec_lo
	s_waitcnt lgkmcnt(0)
	s_barrier
	buffer_gl0_inv
	v_cmpx_lt_u32_e32 31, v0
	s_cbranch_execz .LBB365_425
; %bb.424:
	v_lshl_add_u32 v38, v58, 2, -4
	ds_load_b32 v38, v38
.LBB365_425:
	s_or_b32 exec_lo, exec_lo, s0
	v_add_nc_u32_e32 v39, -1, v57
	s_waitcnt lgkmcnt(0)
	v_add_nc_u32_e32 v35, v38, v35
	s_mov_b32 s12, 0
	s_delay_alu instid0(VALU_DEP_2) | instskip(SKIP_1) | instid1(VALU_DEP_1)
	v_cmp_gt_i32_e32 vcc_lo, 0, v39
	v_cndmask_b32_e32 v39, v39, v57, vcc_lo
	v_lshlrev_b32_e32 v39, 2, v39
	ds_bpermute_b32 v39, v39, v35
	ds_load_b32 v35, v36 offset:60
	s_and_saveexec_b32 s0, s2
	s_cbranch_execz .LBB365_427
; %bb.426:
	v_mov_b32_e32 v40, 0
	v_mov_b32_e32 v36, 2
	s_waitcnt lgkmcnt(0)
	global_store_b64 v40, v[35:36], s[22:23] offset:256
.LBB365_427:
	s_or_b32 exec_lo, exec_lo, s0
	v_cmp_eq_u32_e32 vcc_lo, 0, v57
	s_waitcnt lgkmcnt(0)
	s_waitcnt_vscnt null, 0x0
	s_barrier
	buffer_gl0_inv
	v_cndmask_b32_e32 v36, v39, v38, vcc_lo
	s_delay_alu instid0(VALU_DEP_1) | instskip(NEXT) | instid1(VALU_DEP_1)
	v_cndmask_b32_e64 v53, v36, 0, s2
	v_add_nc_u32_e32 v51, v53, v42
	s_delay_alu instid0(VALU_DEP_1) | instskip(NEXT) | instid1(VALU_DEP_1)
	v_add_nc_u32_e32 v49, v51, v44
	v_add_nc_u32_e32 v47, v49, v46
	s_delay_alu instid0(VALU_DEP_1) | instskip(NEXT) | instid1(VALU_DEP_1)
	v_add_nc_u32_e32 v45, v47, v48
	;; [unrolled: 3-line block ×3, first 2 shown]
	v_add_nc_u32_e32 v39, v41, v54
.LBB365_428:
	v_add_nc_u32_e32 v59, s12, v35
	v_cmp_gt_u32_e64 s0, 0x201, v35
	v_lshrrev_b32_e32 v58, 8, v33
	v_lshrrev_b32_e32 v57, 16, v33
	v_lshrrev_b32_e32 v38, 8, v34
	v_lshrrev_b32_e32 v36, 16, v34
	v_cmp_lt_u32_e64 s1, v53, v59
	s_and_b32 vcc_lo, exec_lo, s0
	s_mov_b32 s3, -1
	s_cbranch_vccz .LBB365_454
; %bb.429:
	s_delay_alu instid0(VALU_DEP_1) | instskip(NEXT) | instid1(SALU_CYCLE_1)
	s_or_b32 s3, s29, s1
	s_and_saveexec_b32 s1, s3
	s_cbranch_execz .LBB365_432
; %bb.430:
	v_and_b32_e32 v40, 1, v33
	s_delay_alu instid0(VALU_DEP_1)
	v_cmp_eq_u32_e32 vcc_lo, 1, v40
	s_and_b32 exec_lo, exec_lo, vcc_lo
	s_cbranch_execz .LBB365_432
; %bb.431:
	v_mov_b32_e32 v54, 0
	s_lshl_b64 s[4:5], s[10:11], 3
	s_delay_alu instid0(SALU_CYCLE_1) | instskip(SKIP_1) | instid1(VALU_DEP_1)
	s_add_u32 s3, s16, s4
	s_addc_u32 s4, s17, s5
	v_lshlrev_b64 v[60:61], 3, v[53:54]
	s_delay_alu instid0(VALU_DEP_1) | instskip(NEXT) | instid1(VALU_DEP_2)
	v_add_co_u32 v60, vcc_lo, s3, v60
	v_add_co_ci_u32_e32 v61, vcc_lo, s4, v61, vcc_lo
	global_store_b64 v[60:61], v[29:30], off
.LBB365_432:
	s_or_b32 exec_lo, exec_lo, s1
	v_cmp_lt_u32_e32 vcc_lo, v51, v59
	s_or_b32 s3, s29, vcc_lo
	s_delay_alu instid0(SALU_CYCLE_1)
	s_and_saveexec_b32 s1, s3
	s_cbranch_execz .LBB365_435
; %bb.433:
	v_and_b32_e32 v40, 1, v58
	s_delay_alu instid0(VALU_DEP_1)
	v_cmp_eq_u32_e32 vcc_lo, 1, v40
	s_and_b32 exec_lo, exec_lo, vcc_lo
	s_cbranch_execz .LBB365_435
; %bb.434:
	v_mov_b32_e32 v52, 0
	s_lshl_b64 s[4:5], s[10:11], 3
	s_delay_alu instid0(SALU_CYCLE_1) | instskip(SKIP_1) | instid1(VALU_DEP_1)
	s_add_u32 s3, s16, s4
	s_addc_u32 s4, s17, s5
	v_lshlrev_b64 v[60:61], 3, v[51:52]
	s_delay_alu instid0(VALU_DEP_1) | instskip(NEXT) | instid1(VALU_DEP_2)
	v_add_co_u32 v60, vcc_lo, s3, v60
	v_add_co_ci_u32_e32 v61, vcc_lo, s4, v61, vcc_lo
	global_store_b64 v[60:61], v[31:32], off
.LBB365_435:
	s_or_b32 exec_lo, exec_lo, s1
	v_cmp_lt_u32_e32 vcc_lo, v49, v59
	s_or_b32 s3, s29, vcc_lo
	s_delay_alu instid0(SALU_CYCLE_1)
	;; [unrolled: 24-line block ×7, first 2 shown]
	s_and_saveexec_b32 s1, s3
	s_cbranch_execz .LBB365_453
; %bb.451:
	v_and_b32_e32 v40, 1, v56
	s_delay_alu instid0(VALU_DEP_1)
	v_cmp_eq_u32_e32 vcc_lo, 1, v40
	s_and_b32 exec_lo, exec_lo, vcc_lo
	s_cbranch_execz .LBB365_453
; %bb.452:
	v_mov_b32_e32 v40, 0
	s_lshl_b64 s[4:5], s[10:11], 3
	s_delay_alu instid0(SALU_CYCLE_1) | instskip(SKIP_1) | instid1(VALU_DEP_1)
	s_add_u32 s3, s16, s4
	s_addc_u32 s4, s17, s5
	v_lshlrev_b64 v[60:61], 3, v[39:40]
	s_delay_alu instid0(VALU_DEP_1) | instskip(NEXT) | instid1(VALU_DEP_2)
	v_add_co_u32 v60, vcc_lo, s3, v60
	v_add_co_ci_u32_e32 v61, vcc_lo, s4, v61, vcc_lo
	global_store_b64 v[60:61], v[19:20], off
.LBB365_453:
	s_or_b32 exec_lo, exec_lo, s1
	s_mov_b32 s3, 0
.LBB365_454:
	v_and_b32_e32 v33, 1, v33
	s_and_b32 vcc_lo, exec_lo, s3
	s_delay_alu instid0(VALU_DEP_1)
	v_cmp_eq_u32_e64 s1, 1, v33
	s_cbranch_vccz .LBB365_475
; %bb.455:
	s_delay_alu instid0(VALU_DEP_1)
	s_and_saveexec_b32 s3, s1
	s_cbranch_execz .LBB365_457
; %bb.456:
	v_subrev_nc_u32_e32 v40, s12, v53
	s_delay_alu instid0(VALU_DEP_1)
	v_lshlrev_b32_e32 v40, 3, v40
	ds_store_b64 v40, v[29:30]
.LBB365_457:
	s_or_b32 exec_lo, exec_lo, s3
	v_and_b32_e32 v29, 1, v58
	s_mov_b32 s1, exec_lo
	s_delay_alu instid0(VALU_DEP_1)
	v_cmpx_eq_u32_e32 1, v29
	s_cbranch_execz .LBB365_459
; %bb.458:
	v_subrev_nc_u32_e32 v29, s12, v51
	s_delay_alu instid0(VALU_DEP_1)
	v_lshlrev_b32_e32 v29, 3, v29
	ds_store_b64 v29, v[31:32]
.LBB365_459:
	s_or_b32 exec_lo, exec_lo, s1
	v_and_b32_e32 v29, 1, v57
	s_mov_b32 s1, exec_lo
	s_delay_alu instid0(VALU_DEP_1)
	v_cmpx_eq_u32_e32 1, v29
	;; [unrolled: 12-line block ×7, first 2 shown]
	s_cbranch_execz .LBB365_471
; %bb.470:
	v_subrev_nc_u32_e32 v17, s12, v39
	s_delay_alu instid0(VALU_DEP_1)
	v_lshlrev_b32_e32 v17, 3, v17
	ds_store_b64 v17, v[19:20]
.LBB365_471:
	s_or_b32 exec_lo, exec_lo, s1
	s_delay_alu instid0(SALU_CYCLE_1)
	s_mov_b32 s3, exec_lo
	s_waitcnt lgkmcnt(0)
	s_waitcnt_vscnt null, 0x0
	s_barrier
	buffer_gl0_inv
	v_cmpx_lt_u32_e64 v0, v35
	s_cbranch_execz .LBB365_474
; %bb.472:
	s_mov_b32 s13, 0
	s_lshl_b64 s[4:5], s[10:11], 3
	s_lshl_b64 s[6:7], s[12:13], 3
	v_dual_mov_b32 v19, v55 :: v_dual_mov_b32 v20, v0
	s_add_u32 s1, s4, s6
	s_addc_u32 s4, s5, s7
	s_add_u32 s1, s16, s1
	s_addc_u32 s4, s17, s4
	v_add_co_u32 v17, s1, s1, v55
	s_delay_alu instid0(VALU_DEP_1)
	v_add_co_ci_u32_e64 v18, null, s4, 0, s1
	.p2align	6
.LBB365_473:                            ; =>This Inner Loop Header: Depth=1
	ds_load_b64 v[21:22], v19
	v_add_nc_u32_e32 v20, 0x200, v20
	v_add_nc_u32_e32 v19, 0x1000, v19
	s_delay_alu instid0(VALU_DEP_2) | instskip(SKIP_4) | instid1(VALU_DEP_1)
	v_cmp_ge_u32_e32 vcc_lo, v20, v35
	s_or_b32 s13, vcc_lo, s13
	s_waitcnt lgkmcnt(0)
	global_store_b64 v[17:18], v[21:22], off
	v_add_co_u32 v17, s1, 0x1000, v17
	v_add_co_ci_u32_e64 v18, s1, 0, v18, s1
	s_and_not1_b32 exec_lo, exec_lo, s13
	s_cbranch_execnz .LBB365_473
.LBB365_474:
	s_or_b32 exec_lo, exec_lo, s3
.LBB365_475:
	s_delay_alu instid0(SALU_CYCLE_1)
	s_and_b32 vcc_lo, exec_lo, s0
	s_mov_b32 s0, -1
	s_waitcnt_vscnt null, 0x0
	s_barrier
	buffer_gl0_inv
	s_cbranch_vccz .LBB365_503
; %bb.476:
	v_cmp_lt_u32_e32 vcc_lo, v53, v59
	s_or_b32 s1, s29, vcc_lo
	s_delay_alu instid0(SALU_CYCLE_1)
	s_and_saveexec_b32 s0, s1
	s_cbranch_execz .LBB365_479
; %bb.477:
	v_cmp_eq_u32_e32 vcc_lo, 1, v33
	s_and_b32 exec_lo, exec_lo, vcc_lo
	s_cbranch_execz .LBB365_479
; %bb.478:
	v_mov_b32_e32 v54, 0
	s_lshl_b64 s[4:5], s[10:11], 3
	s_delay_alu instid0(SALU_CYCLE_1) | instskip(SKIP_1) | instid1(VALU_DEP_1)
	s_add_u32 s1, s18, s4
	s_addc_u32 s3, s19, s5
	v_lshlrev_b64 v[17:18], 3, v[53:54]
	s_delay_alu instid0(VALU_DEP_1) | instskip(NEXT) | instid1(VALU_DEP_2)
	v_add_co_u32 v17, vcc_lo, s1, v17
	v_add_co_ci_u32_e32 v18, vcc_lo, s3, v18, vcc_lo
	global_store_b64 v[17:18], v[13:14], off
.LBB365_479:
	s_or_b32 exec_lo, exec_lo, s0
	v_cmp_lt_u32_e32 vcc_lo, v51, v59
	s_or_b32 s1, s29, vcc_lo
	s_delay_alu instid0(SALU_CYCLE_1)
	s_and_saveexec_b32 s0, s1
	s_cbranch_execz .LBB365_482
; %bb.480:
	v_and_b32_e32 v17, 1, v58
	s_delay_alu instid0(VALU_DEP_1)
	v_cmp_eq_u32_e32 vcc_lo, 1, v17
	s_and_b32 exec_lo, exec_lo, vcc_lo
	s_cbranch_execz .LBB365_482
; %bb.481:
	v_mov_b32_e32 v52, 0
	s_lshl_b64 s[4:5], s[10:11], 3
	s_delay_alu instid0(SALU_CYCLE_1) | instskip(SKIP_1) | instid1(VALU_DEP_1)
	s_add_u32 s1, s18, s4
	s_addc_u32 s3, s19, s5
	v_lshlrev_b64 v[17:18], 3, v[51:52]
	s_delay_alu instid0(VALU_DEP_1) | instskip(NEXT) | instid1(VALU_DEP_2)
	v_add_co_u32 v17, vcc_lo, s1, v17
	v_add_co_ci_u32_e32 v18, vcc_lo, s3, v18, vcc_lo
	global_store_b64 v[17:18], v[15:16], off
.LBB365_482:
	s_or_b32 exec_lo, exec_lo, s0
	v_cmp_lt_u32_e32 vcc_lo, v49, v59
	s_or_b32 s1, s29, vcc_lo
	s_delay_alu instid0(SALU_CYCLE_1)
	s_and_saveexec_b32 s0, s1
	s_cbranch_execz .LBB365_485
; %bb.483:
	v_and_b32_e32 v17, 1, v57
	s_delay_alu instid0(VALU_DEP_1)
	v_cmp_eq_u32_e32 vcc_lo, 1, v17
	s_and_b32 exec_lo, exec_lo, vcc_lo
	s_cbranch_execz .LBB365_485
; %bb.484:
	v_mov_b32_e32 v50, 0
	s_lshl_b64 s[4:5], s[10:11], 3
	s_delay_alu instid0(SALU_CYCLE_1) | instskip(SKIP_1) | instid1(VALU_DEP_1)
	s_add_u32 s1, s18, s4
	s_addc_u32 s3, s19, s5
	v_lshlrev_b64 v[17:18], 3, v[49:50]
	s_delay_alu instid0(VALU_DEP_1) | instskip(NEXT) | instid1(VALU_DEP_2)
	v_add_co_u32 v17, vcc_lo, s1, v17
	v_add_co_ci_u32_e32 v18, vcc_lo, s3, v18, vcc_lo
	global_store_b64 v[17:18], v[9:10], off
.LBB365_485:
	s_or_b32 exec_lo, exec_lo, s0
	v_cmp_lt_u32_e32 vcc_lo, v47, v59
	s_or_b32 s1, s29, vcc_lo
	s_delay_alu instid0(SALU_CYCLE_1)
	s_and_saveexec_b32 s0, s1
	s_cbranch_execz .LBB365_488
; %bb.486:
	v_and_b32_e32 v17, 1, v37
	s_delay_alu instid0(VALU_DEP_1)
	v_cmp_eq_u32_e32 vcc_lo, 1, v17
	s_and_b32 exec_lo, exec_lo, vcc_lo
	s_cbranch_execz .LBB365_488
; %bb.487:
	v_mov_b32_e32 v48, 0
	s_lshl_b64 s[4:5], s[10:11], 3
	s_delay_alu instid0(SALU_CYCLE_1) | instskip(SKIP_1) | instid1(VALU_DEP_1)
	s_add_u32 s1, s18, s4
	s_addc_u32 s3, s19, s5
	v_lshlrev_b64 v[17:18], 3, v[47:48]
	s_delay_alu instid0(VALU_DEP_1) | instskip(NEXT) | instid1(VALU_DEP_2)
	v_add_co_u32 v17, vcc_lo, s1, v17
	v_add_co_ci_u32_e32 v18, vcc_lo, s3, v18, vcc_lo
	global_store_b64 v[17:18], v[11:12], off
.LBB365_488:
	s_or_b32 exec_lo, exec_lo, s0
	v_cmp_lt_u32_e32 vcc_lo, v45, v59
	s_or_b32 s1, s29, vcc_lo
	s_delay_alu instid0(SALU_CYCLE_1)
	s_and_saveexec_b32 s0, s1
	s_cbranch_execz .LBB365_491
; %bb.489:
	v_and_b32_e32 v17, 1, v34
	s_delay_alu instid0(VALU_DEP_1)
	v_cmp_eq_u32_e32 vcc_lo, 1, v17
	s_and_b32 exec_lo, exec_lo, vcc_lo
	s_cbranch_execz .LBB365_491
; %bb.490:
	v_mov_b32_e32 v46, 0
	s_lshl_b64 s[4:5], s[10:11], 3
	s_delay_alu instid0(SALU_CYCLE_1) | instskip(SKIP_1) | instid1(VALU_DEP_1)
	s_add_u32 s1, s18, s4
	s_addc_u32 s3, s19, s5
	v_lshlrev_b64 v[17:18], 3, v[45:46]
	s_delay_alu instid0(VALU_DEP_1) | instskip(NEXT) | instid1(VALU_DEP_2)
	v_add_co_u32 v17, vcc_lo, s1, v17
	v_add_co_ci_u32_e32 v18, vcc_lo, s3, v18, vcc_lo
	global_store_b64 v[17:18], v[5:6], off
.LBB365_491:
	s_or_b32 exec_lo, exec_lo, s0
	v_cmp_lt_u32_e32 vcc_lo, v43, v59
	s_or_b32 s1, s29, vcc_lo
	s_delay_alu instid0(SALU_CYCLE_1)
	s_and_saveexec_b32 s0, s1
	s_cbranch_execz .LBB365_494
; %bb.492:
	v_and_b32_e32 v17, 1, v38
	s_delay_alu instid0(VALU_DEP_1)
	v_cmp_eq_u32_e32 vcc_lo, 1, v17
	s_and_b32 exec_lo, exec_lo, vcc_lo
	s_cbranch_execz .LBB365_494
; %bb.493:
	v_mov_b32_e32 v44, 0
	s_lshl_b64 s[4:5], s[10:11], 3
	s_delay_alu instid0(SALU_CYCLE_1) | instskip(SKIP_1) | instid1(VALU_DEP_1)
	s_add_u32 s1, s18, s4
	s_addc_u32 s3, s19, s5
	v_lshlrev_b64 v[17:18], 3, v[43:44]
	s_delay_alu instid0(VALU_DEP_1) | instskip(NEXT) | instid1(VALU_DEP_2)
	v_add_co_u32 v17, vcc_lo, s1, v17
	v_add_co_ci_u32_e32 v18, vcc_lo, s3, v18, vcc_lo
	global_store_b64 v[17:18], v[7:8], off
.LBB365_494:
	s_or_b32 exec_lo, exec_lo, s0
	v_cmp_lt_u32_e32 vcc_lo, v41, v59
	s_or_b32 s1, s29, vcc_lo
	s_delay_alu instid0(SALU_CYCLE_1)
	s_and_saveexec_b32 s0, s1
	s_cbranch_execz .LBB365_497
; %bb.495:
	v_and_b32_e32 v17, 1, v36
	s_delay_alu instid0(VALU_DEP_1)
	v_cmp_eq_u32_e32 vcc_lo, 1, v17
	s_and_b32 exec_lo, exec_lo, vcc_lo
	s_cbranch_execz .LBB365_497
; %bb.496:
	v_mov_b32_e32 v42, 0
	s_lshl_b64 s[4:5], s[10:11], 3
	s_delay_alu instid0(SALU_CYCLE_1) | instskip(SKIP_1) | instid1(VALU_DEP_1)
	s_add_u32 s1, s18, s4
	s_addc_u32 s3, s19, s5
	v_lshlrev_b64 v[17:18], 3, v[41:42]
	s_delay_alu instid0(VALU_DEP_1) | instskip(NEXT) | instid1(VALU_DEP_2)
	v_add_co_u32 v17, vcc_lo, s1, v17
	v_add_co_ci_u32_e32 v18, vcc_lo, s3, v18, vcc_lo
	global_store_b64 v[17:18], v[1:2], off
.LBB365_497:
	s_or_b32 exec_lo, exec_lo, s0
	v_cmp_lt_u32_e32 vcc_lo, v39, v59
	s_or_b32 s1, s29, vcc_lo
	s_delay_alu instid0(SALU_CYCLE_1)
	s_and_saveexec_b32 s0, s1
	s_cbranch_execz .LBB365_500
; %bb.498:
	v_and_b32_e32 v17, 1, v56
	s_delay_alu instid0(VALU_DEP_1)
	v_cmp_eq_u32_e32 vcc_lo, 1, v17
	s_and_b32 exec_lo, exec_lo, vcc_lo
	s_cbranch_execz .LBB365_500
; %bb.499:
	v_mov_b32_e32 v40, 0
	s_lshl_b64 s[4:5], s[10:11], 3
	s_delay_alu instid0(SALU_CYCLE_1) | instskip(SKIP_1) | instid1(VALU_DEP_1)
	s_add_u32 s1, s18, s4
	s_addc_u32 s3, s19, s5
	v_lshlrev_b64 v[17:18], 3, v[39:40]
	s_delay_alu instid0(VALU_DEP_1) | instskip(NEXT) | instid1(VALU_DEP_2)
	v_add_co_u32 v17, vcc_lo, s1, v17
	v_add_co_ci_u32_e32 v18, vcc_lo, s3, v18, vcc_lo
	global_store_b64 v[17:18], v[3:4], off
.LBB365_500:
	s_or_b32 exec_lo, exec_lo, s0
.LBB365_501:
	s_and_b32 s0, s2, s28
	s_delay_alu instid0(SALU_CYCLE_1)
	s_and_saveexec_b32 s1, s0
	s_cbranch_execz .LBB365_524
.LBB365_502:
	v_add_co_u32 v0, s0, s10, v35
	s_delay_alu instid0(VALU_DEP_1) | instskip(SKIP_1) | instid1(VALU_DEP_3)
	v_add_co_ci_u32_e64 v1, null, s11, 0, s0
	v_mov_b32_e32 v2, 0
	v_add_co_u32 v0, vcc_lo, v0, s12
	s_delay_alu instid0(VALU_DEP_3)
	v_add_co_ci_u32_e32 v1, vcc_lo, 0, v1, vcc_lo
	global_store_b64 v2, v[0:1], s[8:9]
	s_nop 0
	s_sendmsg sendmsg(MSG_DEALLOC_VGPRS)
	s_endpgm
.LBB365_503:
	s_and_b32 vcc_lo, exec_lo, s0
	s_cbranch_vccz .LBB365_501
; %bb.504:
	s_mov_b32 s0, exec_lo
	v_cmpx_eq_u32_e32 1, v33
	s_cbranch_execz .LBB365_506
; %bb.505:
	v_subrev_nc_u32_e32 v17, s12, v53
	s_delay_alu instid0(VALU_DEP_1)
	v_lshlrev_b32_e32 v17, 3, v17
	ds_store_b64 v17, v[13:14]
.LBB365_506:
	s_or_b32 exec_lo, exec_lo, s0
	v_and_b32_e32 v13, 1, v58
	s_mov_b32 s0, exec_lo
	s_delay_alu instid0(VALU_DEP_1)
	v_cmpx_eq_u32_e32 1, v13
	s_cbranch_execz .LBB365_508
; %bb.507:
	v_subrev_nc_u32_e32 v13, s12, v51
	s_delay_alu instid0(VALU_DEP_1)
	v_lshlrev_b32_e32 v13, 3, v13
	ds_store_b64 v13, v[15:16]
.LBB365_508:
	s_or_b32 exec_lo, exec_lo, s0
	v_and_b32_e32 v13, 1, v57
	s_mov_b32 s0, exec_lo
	s_delay_alu instid0(VALU_DEP_1)
	;; [unrolled: 12-line block ×7, first 2 shown]
	v_cmpx_eq_u32_e32 1, v1
	s_cbranch_execz .LBB365_520
; %bb.519:
	v_subrev_nc_u32_e32 v1, s12, v39
	s_delay_alu instid0(VALU_DEP_1)
	v_lshlrev_b32_e32 v1, 3, v1
	ds_store_b64 v1, v[3:4]
.LBB365_520:
	s_or_b32 exec_lo, exec_lo, s0
	s_delay_alu instid0(SALU_CYCLE_1)
	s_mov_b32 s1, exec_lo
	s_waitcnt lgkmcnt(0)
	s_waitcnt_vscnt null, 0x0
	s_barrier
	buffer_gl0_inv
	v_cmpx_lt_u32_e64 v0, v35
	s_cbranch_execz .LBB365_523
; %bb.521:
	s_mov_b32 s13, 0
	s_lshl_b64 s[4:5], s[10:11], 3
	s_lshl_b64 s[6:7], s[12:13], 3
	s_delay_alu instid0(SALU_CYCLE_1) | instskip(SKIP_4) | instid1(VALU_DEP_1)
	s_add_u32 s0, s4, s6
	s_addc_u32 s3, s5, s7
	s_add_u32 s0, s18, s0
	s_addc_u32 s3, s19, s3
	v_add_co_u32 v1, s0, s0, v55
	v_add_co_ci_u32_e64 v2, null, s3, 0, s0
	.p2align	6
.LBB365_522:                            ; =>This Inner Loop Header: Depth=1
	ds_load_b64 v[3:4], v55
	v_add_nc_u32_e32 v0, 0x200, v0
	v_add_nc_u32_e32 v55, 0x1000, v55
	s_delay_alu instid0(VALU_DEP_2) | instskip(SKIP_4) | instid1(VALU_DEP_1)
	v_cmp_ge_u32_e32 vcc_lo, v0, v35
	s_or_b32 s13, vcc_lo, s13
	s_waitcnt lgkmcnt(0)
	global_store_b64 v[1:2], v[3:4], off
	v_add_co_u32 v1, s0, 0x1000, v1
	v_add_co_ci_u32_e64 v2, s0, 0, v2, s0
	s_and_not1_b32 exec_lo, exec_lo, s13
	s_cbranch_execnz .LBB365_522
.LBB365_523:
	s_or_b32 exec_lo, exec_lo, s1
	s_and_b32 s0, s2, s28
	s_delay_alu instid0(SALU_CYCLE_1)
	s_and_saveexec_b32 s1, s0
	s_cbranch_execnz .LBB365_502
.LBB365_524:
	s_nop 0
	s_sendmsg sendmsg(MSG_DEALLOC_VGPRS)
	s_endpgm
	.section	.rodata,"a",@progbits
	.p2align	6, 0x0
	.amdhsa_kernel _ZN7rocprim17ROCPRIM_400000_NS6detail17trampoline_kernelINS0_14default_configENS1_25partition_config_selectorILNS1_17partition_subalgoE9EllbEEZZNS1_14partition_implILS5_9ELb0ES3_jPlS8_PNS0_10empty_typeENS0_5tupleIJS8_S9_EEENSB_IJS8_SA_EEENS0_18inequality_wrapperIZN2at6native12_GLOBAL__N_124unique_dim_cuda_templateIaEESt5tupleIJNSF_6TensorESK_SK_EERKSK_lbbbEUlllE0_EEPmJS9_EEE10hipError_tPvRmT3_T4_T5_T6_T7_T9_mT8_P12ihipStream_tbDpT10_ENKUlT_T0_E_clISt17integral_constantIbLb1EES1A_EEDaS15_S16_EUlS15_E_NS1_11comp_targetILNS1_3genE9ELNS1_11target_archE1100ELNS1_3gpuE3ELNS1_3repE0EEENS1_30default_config_static_selectorELNS0_4arch9wavefront6targetE0EEEvT1_
		.amdhsa_group_segment_fixed_size 33804
		.amdhsa_private_segment_fixed_size 0
		.amdhsa_kernarg_size 136
		.amdhsa_user_sgpr_count 15
		.amdhsa_user_sgpr_dispatch_ptr 0
		.amdhsa_user_sgpr_queue_ptr 0
		.amdhsa_user_sgpr_kernarg_segment_ptr 1
		.amdhsa_user_sgpr_dispatch_id 0
		.amdhsa_user_sgpr_private_segment_size 0
		.amdhsa_wavefront_size32 1
		.amdhsa_uses_dynamic_stack 0
		.amdhsa_enable_private_segment 0
		.amdhsa_system_sgpr_workgroup_id_x 1
		.amdhsa_system_sgpr_workgroup_id_y 0
		.amdhsa_system_sgpr_workgroup_id_z 0
		.amdhsa_system_sgpr_workgroup_info 0
		.amdhsa_system_vgpr_workitem_id 0
		.amdhsa_next_free_vgpr 68
		.amdhsa_next_free_sgpr 40
		.amdhsa_reserve_vcc 1
		.amdhsa_float_round_mode_32 0
		.amdhsa_float_round_mode_16_64 0
		.amdhsa_float_denorm_mode_32 3
		.amdhsa_float_denorm_mode_16_64 3
		.amdhsa_dx10_clamp 1
		.amdhsa_ieee_mode 1
		.amdhsa_fp16_overflow 0
		.amdhsa_workgroup_processor_mode 1
		.amdhsa_memory_ordered 1
		.amdhsa_forward_progress 0
		.amdhsa_shared_vgpr_count 0
		.amdhsa_exception_fp_ieee_invalid_op 0
		.amdhsa_exception_fp_denorm_src 0
		.amdhsa_exception_fp_ieee_div_zero 0
		.amdhsa_exception_fp_ieee_overflow 0
		.amdhsa_exception_fp_ieee_underflow 0
		.amdhsa_exception_fp_ieee_inexact 0
		.amdhsa_exception_int_div_zero 0
	.end_amdhsa_kernel
	.section	.text._ZN7rocprim17ROCPRIM_400000_NS6detail17trampoline_kernelINS0_14default_configENS1_25partition_config_selectorILNS1_17partition_subalgoE9EllbEEZZNS1_14partition_implILS5_9ELb0ES3_jPlS8_PNS0_10empty_typeENS0_5tupleIJS8_S9_EEENSB_IJS8_SA_EEENS0_18inequality_wrapperIZN2at6native12_GLOBAL__N_124unique_dim_cuda_templateIaEESt5tupleIJNSF_6TensorESK_SK_EERKSK_lbbbEUlllE0_EEPmJS9_EEE10hipError_tPvRmT3_T4_T5_T6_T7_T9_mT8_P12ihipStream_tbDpT10_ENKUlT_T0_E_clISt17integral_constantIbLb1EES1A_EEDaS15_S16_EUlS15_E_NS1_11comp_targetILNS1_3genE9ELNS1_11target_archE1100ELNS1_3gpuE3ELNS1_3repE0EEENS1_30default_config_static_selectorELNS0_4arch9wavefront6targetE0EEEvT1_,"axG",@progbits,_ZN7rocprim17ROCPRIM_400000_NS6detail17trampoline_kernelINS0_14default_configENS1_25partition_config_selectorILNS1_17partition_subalgoE9EllbEEZZNS1_14partition_implILS5_9ELb0ES3_jPlS8_PNS0_10empty_typeENS0_5tupleIJS8_S9_EEENSB_IJS8_SA_EEENS0_18inequality_wrapperIZN2at6native12_GLOBAL__N_124unique_dim_cuda_templateIaEESt5tupleIJNSF_6TensorESK_SK_EERKSK_lbbbEUlllE0_EEPmJS9_EEE10hipError_tPvRmT3_T4_T5_T6_T7_T9_mT8_P12ihipStream_tbDpT10_ENKUlT_T0_E_clISt17integral_constantIbLb1EES1A_EEDaS15_S16_EUlS15_E_NS1_11comp_targetILNS1_3genE9ELNS1_11target_archE1100ELNS1_3gpuE3ELNS1_3repE0EEENS1_30default_config_static_selectorELNS0_4arch9wavefront6targetE0EEEvT1_,comdat
.Lfunc_end365:
	.size	_ZN7rocprim17ROCPRIM_400000_NS6detail17trampoline_kernelINS0_14default_configENS1_25partition_config_selectorILNS1_17partition_subalgoE9EllbEEZZNS1_14partition_implILS5_9ELb0ES3_jPlS8_PNS0_10empty_typeENS0_5tupleIJS8_S9_EEENSB_IJS8_SA_EEENS0_18inequality_wrapperIZN2at6native12_GLOBAL__N_124unique_dim_cuda_templateIaEESt5tupleIJNSF_6TensorESK_SK_EERKSK_lbbbEUlllE0_EEPmJS9_EEE10hipError_tPvRmT3_T4_T5_T6_T7_T9_mT8_P12ihipStream_tbDpT10_ENKUlT_T0_E_clISt17integral_constantIbLb1EES1A_EEDaS15_S16_EUlS15_E_NS1_11comp_targetILNS1_3genE9ELNS1_11target_archE1100ELNS1_3gpuE3ELNS1_3repE0EEENS1_30default_config_static_selectorELNS0_4arch9wavefront6targetE0EEEvT1_, .Lfunc_end365-_ZN7rocprim17ROCPRIM_400000_NS6detail17trampoline_kernelINS0_14default_configENS1_25partition_config_selectorILNS1_17partition_subalgoE9EllbEEZZNS1_14partition_implILS5_9ELb0ES3_jPlS8_PNS0_10empty_typeENS0_5tupleIJS8_S9_EEENSB_IJS8_SA_EEENS0_18inequality_wrapperIZN2at6native12_GLOBAL__N_124unique_dim_cuda_templateIaEESt5tupleIJNSF_6TensorESK_SK_EERKSK_lbbbEUlllE0_EEPmJS9_EEE10hipError_tPvRmT3_T4_T5_T6_T7_T9_mT8_P12ihipStream_tbDpT10_ENKUlT_T0_E_clISt17integral_constantIbLb1EES1A_EEDaS15_S16_EUlS15_E_NS1_11comp_targetILNS1_3genE9ELNS1_11target_archE1100ELNS1_3gpuE3ELNS1_3repE0EEENS1_30default_config_static_selectorELNS0_4arch9wavefront6targetE0EEEvT1_
                                        ; -- End function
	.section	.AMDGPU.csdata,"",@progbits
; Kernel info:
; codeLenInByte = 18688
; NumSgprs: 42
; NumVgprs: 68
; ScratchSize: 0
; MemoryBound: 0
; FloatMode: 240
; IeeeMode: 1
; LDSByteSize: 33804 bytes/workgroup (compile time only)
; SGPRBlocks: 5
; VGPRBlocks: 8
; NumSGPRsForWavesPerEU: 42
; NumVGPRsForWavesPerEU: 68
; Occupancy: 12
; WaveLimiterHint : 1
; COMPUTE_PGM_RSRC2:SCRATCH_EN: 0
; COMPUTE_PGM_RSRC2:USER_SGPR: 15
; COMPUTE_PGM_RSRC2:TRAP_HANDLER: 0
; COMPUTE_PGM_RSRC2:TGID_X_EN: 1
; COMPUTE_PGM_RSRC2:TGID_Y_EN: 0
; COMPUTE_PGM_RSRC2:TGID_Z_EN: 0
; COMPUTE_PGM_RSRC2:TIDIG_COMP_CNT: 0
	.section	.text._ZN7rocprim17ROCPRIM_400000_NS6detail17trampoline_kernelINS0_14default_configENS1_25partition_config_selectorILNS1_17partition_subalgoE9EllbEEZZNS1_14partition_implILS5_9ELb0ES3_jPlS8_PNS0_10empty_typeENS0_5tupleIJS8_S9_EEENSB_IJS8_SA_EEENS0_18inequality_wrapperIZN2at6native12_GLOBAL__N_124unique_dim_cuda_templateIaEESt5tupleIJNSF_6TensorESK_SK_EERKSK_lbbbEUlllE0_EEPmJS9_EEE10hipError_tPvRmT3_T4_T5_T6_T7_T9_mT8_P12ihipStream_tbDpT10_ENKUlT_T0_E_clISt17integral_constantIbLb1EES1A_EEDaS15_S16_EUlS15_E_NS1_11comp_targetILNS1_3genE8ELNS1_11target_archE1030ELNS1_3gpuE2ELNS1_3repE0EEENS1_30default_config_static_selectorELNS0_4arch9wavefront6targetE0EEEvT1_,"axG",@progbits,_ZN7rocprim17ROCPRIM_400000_NS6detail17trampoline_kernelINS0_14default_configENS1_25partition_config_selectorILNS1_17partition_subalgoE9EllbEEZZNS1_14partition_implILS5_9ELb0ES3_jPlS8_PNS0_10empty_typeENS0_5tupleIJS8_S9_EEENSB_IJS8_SA_EEENS0_18inequality_wrapperIZN2at6native12_GLOBAL__N_124unique_dim_cuda_templateIaEESt5tupleIJNSF_6TensorESK_SK_EERKSK_lbbbEUlllE0_EEPmJS9_EEE10hipError_tPvRmT3_T4_T5_T6_T7_T9_mT8_P12ihipStream_tbDpT10_ENKUlT_T0_E_clISt17integral_constantIbLb1EES1A_EEDaS15_S16_EUlS15_E_NS1_11comp_targetILNS1_3genE8ELNS1_11target_archE1030ELNS1_3gpuE2ELNS1_3repE0EEENS1_30default_config_static_selectorELNS0_4arch9wavefront6targetE0EEEvT1_,comdat
	.globl	_ZN7rocprim17ROCPRIM_400000_NS6detail17trampoline_kernelINS0_14default_configENS1_25partition_config_selectorILNS1_17partition_subalgoE9EllbEEZZNS1_14partition_implILS5_9ELb0ES3_jPlS8_PNS0_10empty_typeENS0_5tupleIJS8_S9_EEENSB_IJS8_SA_EEENS0_18inequality_wrapperIZN2at6native12_GLOBAL__N_124unique_dim_cuda_templateIaEESt5tupleIJNSF_6TensorESK_SK_EERKSK_lbbbEUlllE0_EEPmJS9_EEE10hipError_tPvRmT3_T4_T5_T6_T7_T9_mT8_P12ihipStream_tbDpT10_ENKUlT_T0_E_clISt17integral_constantIbLb1EES1A_EEDaS15_S16_EUlS15_E_NS1_11comp_targetILNS1_3genE8ELNS1_11target_archE1030ELNS1_3gpuE2ELNS1_3repE0EEENS1_30default_config_static_selectorELNS0_4arch9wavefront6targetE0EEEvT1_ ; -- Begin function _ZN7rocprim17ROCPRIM_400000_NS6detail17trampoline_kernelINS0_14default_configENS1_25partition_config_selectorILNS1_17partition_subalgoE9EllbEEZZNS1_14partition_implILS5_9ELb0ES3_jPlS8_PNS0_10empty_typeENS0_5tupleIJS8_S9_EEENSB_IJS8_SA_EEENS0_18inequality_wrapperIZN2at6native12_GLOBAL__N_124unique_dim_cuda_templateIaEESt5tupleIJNSF_6TensorESK_SK_EERKSK_lbbbEUlllE0_EEPmJS9_EEE10hipError_tPvRmT3_T4_T5_T6_T7_T9_mT8_P12ihipStream_tbDpT10_ENKUlT_T0_E_clISt17integral_constantIbLb1EES1A_EEDaS15_S16_EUlS15_E_NS1_11comp_targetILNS1_3genE8ELNS1_11target_archE1030ELNS1_3gpuE2ELNS1_3repE0EEENS1_30default_config_static_selectorELNS0_4arch9wavefront6targetE0EEEvT1_
	.p2align	8
	.type	_ZN7rocprim17ROCPRIM_400000_NS6detail17trampoline_kernelINS0_14default_configENS1_25partition_config_selectorILNS1_17partition_subalgoE9EllbEEZZNS1_14partition_implILS5_9ELb0ES3_jPlS8_PNS0_10empty_typeENS0_5tupleIJS8_S9_EEENSB_IJS8_SA_EEENS0_18inequality_wrapperIZN2at6native12_GLOBAL__N_124unique_dim_cuda_templateIaEESt5tupleIJNSF_6TensorESK_SK_EERKSK_lbbbEUlllE0_EEPmJS9_EEE10hipError_tPvRmT3_T4_T5_T6_T7_T9_mT8_P12ihipStream_tbDpT10_ENKUlT_T0_E_clISt17integral_constantIbLb1EES1A_EEDaS15_S16_EUlS15_E_NS1_11comp_targetILNS1_3genE8ELNS1_11target_archE1030ELNS1_3gpuE2ELNS1_3repE0EEENS1_30default_config_static_selectorELNS0_4arch9wavefront6targetE0EEEvT1_,@function
_ZN7rocprim17ROCPRIM_400000_NS6detail17trampoline_kernelINS0_14default_configENS1_25partition_config_selectorILNS1_17partition_subalgoE9EllbEEZZNS1_14partition_implILS5_9ELb0ES3_jPlS8_PNS0_10empty_typeENS0_5tupleIJS8_S9_EEENSB_IJS8_SA_EEENS0_18inequality_wrapperIZN2at6native12_GLOBAL__N_124unique_dim_cuda_templateIaEESt5tupleIJNSF_6TensorESK_SK_EERKSK_lbbbEUlllE0_EEPmJS9_EEE10hipError_tPvRmT3_T4_T5_T6_T7_T9_mT8_P12ihipStream_tbDpT10_ENKUlT_T0_E_clISt17integral_constantIbLb1EES1A_EEDaS15_S16_EUlS15_E_NS1_11comp_targetILNS1_3genE8ELNS1_11target_archE1030ELNS1_3gpuE2ELNS1_3repE0EEENS1_30default_config_static_selectorELNS0_4arch9wavefront6targetE0EEEvT1_: ; @_ZN7rocprim17ROCPRIM_400000_NS6detail17trampoline_kernelINS0_14default_configENS1_25partition_config_selectorILNS1_17partition_subalgoE9EllbEEZZNS1_14partition_implILS5_9ELb0ES3_jPlS8_PNS0_10empty_typeENS0_5tupleIJS8_S9_EEENSB_IJS8_SA_EEENS0_18inequality_wrapperIZN2at6native12_GLOBAL__N_124unique_dim_cuda_templateIaEESt5tupleIJNSF_6TensorESK_SK_EERKSK_lbbbEUlllE0_EEPmJS9_EEE10hipError_tPvRmT3_T4_T5_T6_T7_T9_mT8_P12ihipStream_tbDpT10_ENKUlT_T0_E_clISt17integral_constantIbLb1EES1A_EEDaS15_S16_EUlS15_E_NS1_11comp_targetILNS1_3genE8ELNS1_11target_archE1030ELNS1_3gpuE2ELNS1_3repE0EEENS1_30default_config_static_selectorELNS0_4arch9wavefront6targetE0EEEvT1_
; %bb.0:
	.section	.rodata,"a",@progbits
	.p2align	6, 0x0
	.amdhsa_kernel _ZN7rocprim17ROCPRIM_400000_NS6detail17trampoline_kernelINS0_14default_configENS1_25partition_config_selectorILNS1_17partition_subalgoE9EllbEEZZNS1_14partition_implILS5_9ELb0ES3_jPlS8_PNS0_10empty_typeENS0_5tupleIJS8_S9_EEENSB_IJS8_SA_EEENS0_18inequality_wrapperIZN2at6native12_GLOBAL__N_124unique_dim_cuda_templateIaEESt5tupleIJNSF_6TensorESK_SK_EERKSK_lbbbEUlllE0_EEPmJS9_EEE10hipError_tPvRmT3_T4_T5_T6_T7_T9_mT8_P12ihipStream_tbDpT10_ENKUlT_T0_E_clISt17integral_constantIbLb1EES1A_EEDaS15_S16_EUlS15_E_NS1_11comp_targetILNS1_3genE8ELNS1_11target_archE1030ELNS1_3gpuE2ELNS1_3repE0EEENS1_30default_config_static_selectorELNS0_4arch9wavefront6targetE0EEEvT1_
		.amdhsa_group_segment_fixed_size 0
		.amdhsa_private_segment_fixed_size 0
		.amdhsa_kernarg_size 136
		.amdhsa_user_sgpr_count 15
		.amdhsa_user_sgpr_dispatch_ptr 0
		.amdhsa_user_sgpr_queue_ptr 0
		.amdhsa_user_sgpr_kernarg_segment_ptr 1
		.amdhsa_user_sgpr_dispatch_id 0
		.amdhsa_user_sgpr_private_segment_size 0
		.amdhsa_wavefront_size32 1
		.amdhsa_uses_dynamic_stack 0
		.amdhsa_enable_private_segment 0
		.amdhsa_system_sgpr_workgroup_id_x 1
		.amdhsa_system_sgpr_workgroup_id_y 0
		.amdhsa_system_sgpr_workgroup_id_z 0
		.amdhsa_system_sgpr_workgroup_info 0
		.amdhsa_system_vgpr_workitem_id 0
		.amdhsa_next_free_vgpr 1
		.amdhsa_next_free_sgpr 1
		.amdhsa_reserve_vcc 0
		.amdhsa_float_round_mode_32 0
		.amdhsa_float_round_mode_16_64 0
		.amdhsa_float_denorm_mode_32 3
		.amdhsa_float_denorm_mode_16_64 3
		.amdhsa_dx10_clamp 1
		.amdhsa_ieee_mode 1
		.amdhsa_fp16_overflow 0
		.amdhsa_workgroup_processor_mode 1
		.amdhsa_memory_ordered 1
		.amdhsa_forward_progress 0
		.amdhsa_shared_vgpr_count 0
		.amdhsa_exception_fp_ieee_invalid_op 0
		.amdhsa_exception_fp_denorm_src 0
		.amdhsa_exception_fp_ieee_div_zero 0
		.amdhsa_exception_fp_ieee_overflow 0
		.amdhsa_exception_fp_ieee_underflow 0
		.amdhsa_exception_fp_ieee_inexact 0
		.amdhsa_exception_int_div_zero 0
	.end_amdhsa_kernel
	.section	.text._ZN7rocprim17ROCPRIM_400000_NS6detail17trampoline_kernelINS0_14default_configENS1_25partition_config_selectorILNS1_17partition_subalgoE9EllbEEZZNS1_14partition_implILS5_9ELb0ES3_jPlS8_PNS0_10empty_typeENS0_5tupleIJS8_S9_EEENSB_IJS8_SA_EEENS0_18inequality_wrapperIZN2at6native12_GLOBAL__N_124unique_dim_cuda_templateIaEESt5tupleIJNSF_6TensorESK_SK_EERKSK_lbbbEUlllE0_EEPmJS9_EEE10hipError_tPvRmT3_T4_T5_T6_T7_T9_mT8_P12ihipStream_tbDpT10_ENKUlT_T0_E_clISt17integral_constantIbLb1EES1A_EEDaS15_S16_EUlS15_E_NS1_11comp_targetILNS1_3genE8ELNS1_11target_archE1030ELNS1_3gpuE2ELNS1_3repE0EEENS1_30default_config_static_selectorELNS0_4arch9wavefront6targetE0EEEvT1_,"axG",@progbits,_ZN7rocprim17ROCPRIM_400000_NS6detail17trampoline_kernelINS0_14default_configENS1_25partition_config_selectorILNS1_17partition_subalgoE9EllbEEZZNS1_14partition_implILS5_9ELb0ES3_jPlS8_PNS0_10empty_typeENS0_5tupleIJS8_S9_EEENSB_IJS8_SA_EEENS0_18inequality_wrapperIZN2at6native12_GLOBAL__N_124unique_dim_cuda_templateIaEESt5tupleIJNSF_6TensorESK_SK_EERKSK_lbbbEUlllE0_EEPmJS9_EEE10hipError_tPvRmT3_T4_T5_T6_T7_T9_mT8_P12ihipStream_tbDpT10_ENKUlT_T0_E_clISt17integral_constantIbLb1EES1A_EEDaS15_S16_EUlS15_E_NS1_11comp_targetILNS1_3genE8ELNS1_11target_archE1030ELNS1_3gpuE2ELNS1_3repE0EEENS1_30default_config_static_selectorELNS0_4arch9wavefront6targetE0EEEvT1_,comdat
.Lfunc_end366:
	.size	_ZN7rocprim17ROCPRIM_400000_NS6detail17trampoline_kernelINS0_14default_configENS1_25partition_config_selectorILNS1_17partition_subalgoE9EllbEEZZNS1_14partition_implILS5_9ELb0ES3_jPlS8_PNS0_10empty_typeENS0_5tupleIJS8_S9_EEENSB_IJS8_SA_EEENS0_18inequality_wrapperIZN2at6native12_GLOBAL__N_124unique_dim_cuda_templateIaEESt5tupleIJNSF_6TensorESK_SK_EERKSK_lbbbEUlllE0_EEPmJS9_EEE10hipError_tPvRmT3_T4_T5_T6_T7_T9_mT8_P12ihipStream_tbDpT10_ENKUlT_T0_E_clISt17integral_constantIbLb1EES1A_EEDaS15_S16_EUlS15_E_NS1_11comp_targetILNS1_3genE8ELNS1_11target_archE1030ELNS1_3gpuE2ELNS1_3repE0EEENS1_30default_config_static_selectorELNS0_4arch9wavefront6targetE0EEEvT1_, .Lfunc_end366-_ZN7rocprim17ROCPRIM_400000_NS6detail17trampoline_kernelINS0_14default_configENS1_25partition_config_selectorILNS1_17partition_subalgoE9EllbEEZZNS1_14partition_implILS5_9ELb0ES3_jPlS8_PNS0_10empty_typeENS0_5tupleIJS8_S9_EEENSB_IJS8_SA_EEENS0_18inequality_wrapperIZN2at6native12_GLOBAL__N_124unique_dim_cuda_templateIaEESt5tupleIJNSF_6TensorESK_SK_EERKSK_lbbbEUlllE0_EEPmJS9_EEE10hipError_tPvRmT3_T4_T5_T6_T7_T9_mT8_P12ihipStream_tbDpT10_ENKUlT_T0_E_clISt17integral_constantIbLb1EES1A_EEDaS15_S16_EUlS15_E_NS1_11comp_targetILNS1_3genE8ELNS1_11target_archE1030ELNS1_3gpuE2ELNS1_3repE0EEENS1_30default_config_static_selectorELNS0_4arch9wavefront6targetE0EEEvT1_
                                        ; -- End function
	.section	.AMDGPU.csdata,"",@progbits
; Kernel info:
; codeLenInByte = 0
; NumSgprs: 0
; NumVgprs: 0
; ScratchSize: 0
; MemoryBound: 0
; FloatMode: 240
; IeeeMode: 1
; LDSByteSize: 0 bytes/workgroup (compile time only)
; SGPRBlocks: 0
; VGPRBlocks: 0
; NumSGPRsForWavesPerEU: 1
; NumVGPRsForWavesPerEU: 1
; Occupancy: 16
; WaveLimiterHint : 0
; COMPUTE_PGM_RSRC2:SCRATCH_EN: 0
; COMPUTE_PGM_RSRC2:USER_SGPR: 15
; COMPUTE_PGM_RSRC2:TRAP_HANDLER: 0
; COMPUTE_PGM_RSRC2:TGID_X_EN: 1
; COMPUTE_PGM_RSRC2:TGID_Y_EN: 0
; COMPUTE_PGM_RSRC2:TGID_Z_EN: 0
; COMPUTE_PGM_RSRC2:TIDIG_COMP_CNT: 0
	.section	.text._ZN7rocprim17ROCPRIM_400000_NS6detail17trampoline_kernelINS0_14default_configENS1_25partition_config_selectorILNS1_17partition_subalgoE9EllbEEZZNS1_14partition_implILS5_9ELb0ES3_jPlS8_PNS0_10empty_typeENS0_5tupleIJS8_S9_EEENSB_IJS8_SA_EEENS0_18inequality_wrapperIZN2at6native12_GLOBAL__N_124unique_dim_cuda_templateIaEESt5tupleIJNSF_6TensorESK_SK_EERKSK_lbbbEUlllE0_EEPmJS9_EEE10hipError_tPvRmT3_T4_T5_T6_T7_T9_mT8_P12ihipStream_tbDpT10_ENKUlT_T0_E_clISt17integral_constantIbLb1EES19_IbLb0EEEEDaS15_S16_EUlS15_E_NS1_11comp_targetILNS1_3genE0ELNS1_11target_archE4294967295ELNS1_3gpuE0ELNS1_3repE0EEENS1_30default_config_static_selectorELNS0_4arch9wavefront6targetE0EEEvT1_,"axG",@progbits,_ZN7rocprim17ROCPRIM_400000_NS6detail17trampoline_kernelINS0_14default_configENS1_25partition_config_selectorILNS1_17partition_subalgoE9EllbEEZZNS1_14partition_implILS5_9ELb0ES3_jPlS8_PNS0_10empty_typeENS0_5tupleIJS8_S9_EEENSB_IJS8_SA_EEENS0_18inequality_wrapperIZN2at6native12_GLOBAL__N_124unique_dim_cuda_templateIaEESt5tupleIJNSF_6TensorESK_SK_EERKSK_lbbbEUlllE0_EEPmJS9_EEE10hipError_tPvRmT3_T4_T5_T6_T7_T9_mT8_P12ihipStream_tbDpT10_ENKUlT_T0_E_clISt17integral_constantIbLb1EES19_IbLb0EEEEDaS15_S16_EUlS15_E_NS1_11comp_targetILNS1_3genE0ELNS1_11target_archE4294967295ELNS1_3gpuE0ELNS1_3repE0EEENS1_30default_config_static_selectorELNS0_4arch9wavefront6targetE0EEEvT1_,comdat
	.globl	_ZN7rocprim17ROCPRIM_400000_NS6detail17trampoline_kernelINS0_14default_configENS1_25partition_config_selectorILNS1_17partition_subalgoE9EllbEEZZNS1_14partition_implILS5_9ELb0ES3_jPlS8_PNS0_10empty_typeENS0_5tupleIJS8_S9_EEENSB_IJS8_SA_EEENS0_18inequality_wrapperIZN2at6native12_GLOBAL__N_124unique_dim_cuda_templateIaEESt5tupleIJNSF_6TensorESK_SK_EERKSK_lbbbEUlllE0_EEPmJS9_EEE10hipError_tPvRmT3_T4_T5_T6_T7_T9_mT8_P12ihipStream_tbDpT10_ENKUlT_T0_E_clISt17integral_constantIbLb1EES19_IbLb0EEEEDaS15_S16_EUlS15_E_NS1_11comp_targetILNS1_3genE0ELNS1_11target_archE4294967295ELNS1_3gpuE0ELNS1_3repE0EEENS1_30default_config_static_selectorELNS0_4arch9wavefront6targetE0EEEvT1_ ; -- Begin function _ZN7rocprim17ROCPRIM_400000_NS6detail17trampoline_kernelINS0_14default_configENS1_25partition_config_selectorILNS1_17partition_subalgoE9EllbEEZZNS1_14partition_implILS5_9ELb0ES3_jPlS8_PNS0_10empty_typeENS0_5tupleIJS8_S9_EEENSB_IJS8_SA_EEENS0_18inequality_wrapperIZN2at6native12_GLOBAL__N_124unique_dim_cuda_templateIaEESt5tupleIJNSF_6TensorESK_SK_EERKSK_lbbbEUlllE0_EEPmJS9_EEE10hipError_tPvRmT3_T4_T5_T6_T7_T9_mT8_P12ihipStream_tbDpT10_ENKUlT_T0_E_clISt17integral_constantIbLb1EES19_IbLb0EEEEDaS15_S16_EUlS15_E_NS1_11comp_targetILNS1_3genE0ELNS1_11target_archE4294967295ELNS1_3gpuE0ELNS1_3repE0EEENS1_30default_config_static_selectorELNS0_4arch9wavefront6targetE0EEEvT1_
	.p2align	8
	.type	_ZN7rocprim17ROCPRIM_400000_NS6detail17trampoline_kernelINS0_14default_configENS1_25partition_config_selectorILNS1_17partition_subalgoE9EllbEEZZNS1_14partition_implILS5_9ELb0ES3_jPlS8_PNS0_10empty_typeENS0_5tupleIJS8_S9_EEENSB_IJS8_SA_EEENS0_18inequality_wrapperIZN2at6native12_GLOBAL__N_124unique_dim_cuda_templateIaEESt5tupleIJNSF_6TensorESK_SK_EERKSK_lbbbEUlllE0_EEPmJS9_EEE10hipError_tPvRmT3_T4_T5_T6_T7_T9_mT8_P12ihipStream_tbDpT10_ENKUlT_T0_E_clISt17integral_constantIbLb1EES19_IbLb0EEEEDaS15_S16_EUlS15_E_NS1_11comp_targetILNS1_3genE0ELNS1_11target_archE4294967295ELNS1_3gpuE0ELNS1_3repE0EEENS1_30default_config_static_selectorELNS0_4arch9wavefront6targetE0EEEvT1_,@function
_ZN7rocprim17ROCPRIM_400000_NS6detail17trampoline_kernelINS0_14default_configENS1_25partition_config_selectorILNS1_17partition_subalgoE9EllbEEZZNS1_14partition_implILS5_9ELb0ES3_jPlS8_PNS0_10empty_typeENS0_5tupleIJS8_S9_EEENSB_IJS8_SA_EEENS0_18inequality_wrapperIZN2at6native12_GLOBAL__N_124unique_dim_cuda_templateIaEESt5tupleIJNSF_6TensorESK_SK_EERKSK_lbbbEUlllE0_EEPmJS9_EEE10hipError_tPvRmT3_T4_T5_T6_T7_T9_mT8_P12ihipStream_tbDpT10_ENKUlT_T0_E_clISt17integral_constantIbLb1EES19_IbLb0EEEEDaS15_S16_EUlS15_E_NS1_11comp_targetILNS1_3genE0ELNS1_11target_archE4294967295ELNS1_3gpuE0ELNS1_3repE0EEENS1_30default_config_static_selectorELNS0_4arch9wavefront6targetE0EEEvT1_: ; @_ZN7rocprim17ROCPRIM_400000_NS6detail17trampoline_kernelINS0_14default_configENS1_25partition_config_selectorILNS1_17partition_subalgoE9EllbEEZZNS1_14partition_implILS5_9ELb0ES3_jPlS8_PNS0_10empty_typeENS0_5tupleIJS8_S9_EEENSB_IJS8_SA_EEENS0_18inequality_wrapperIZN2at6native12_GLOBAL__N_124unique_dim_cuda_templateIaEESt5tupleIJNSF_6TensorESK_SK_EERKSK_lbbbEUlllE0_EEPmJS9_EEE10hipError_tPvRmT3_T4_T5_T6_T7_T9_mT8_P12ihipStream_tbDpT10_ENKUlT_T0_E_clISt17integral_constantIbLb1EES19_IbLb0EEEEDaS15_S16_EUlS15_E_NS1_11comp_targetILNS1_3genE0ELNS1_11target_archE4294967295ELNS1_3gpuE0ELNS1_3repE0EEENS1_30default_config_static_selectorELNS0_4arch9wavefront6targetE0EEEvT1_
; %bb.0:
	.section	.rodata,"a",@progbits
	.p2align	6, 0x0
	.amdhsa_kernel _ZN7rocprim17ROCPRIM_400000_NS6detail17trampoline_kernelINS0_14default_configENS1_25partition_config_selectorILNS1_17partition_subalgoE9EllbEEZZNS1_14partition_implILS5_9ELb0ES3_jPlS8_PNS0_10empty_typeENS0_5tupleIJS8_S9_EEENSB_IJS8_SA_EEENS0_18inequality_wrapperIZN2at6native12_GLOBAL__N_124unique_dim_cuda_templateIaEESt5tupleIJNSF_6TensorESK_SK_EERKSK_lbbbEUlllE0_EEPmJS9_EEE10hipError_tPvRmT3_T4_T5_T6_T7_T9_mT8_P12ihipStream_tbDpT10_ENKUlT_T0_E_clISt17integral_constantIbLb1EES19_IbLb0EEEEDaS15_S16_EUlS15_E_NS1_11comp_targetILNS1_3genE0ELNS1_11target_archE4294967295ELNS1_3gpuE0ELNS1_3repE0EEENS1_30default_config_static_selectorELNS0_4arch9wavefront6targetE0EEEvT1_
		.amdhsa_group_segment_fixed_size 0
		.amdhsa_private_segment_fixed_size 0
		.amdhsa_kernarg_size 120
		.amdhsa_user_sgpr_count 15
		.amdhsa_user_sgpr_dispatch_ptr 0
		.amdhsa_user_sgpr_queue_ptr 0
		.amdhsa_user_sgpr_kernarg_segment_ptr 1
		.amdhsa_user_sgpr_dispatch_id 0
		.amdhsa_user_sgpr_private_segment_size 0
		.amdhsa_wavefront_size32 1
		.amdhsa_uses_dynamic_stack 0
		.amdhsa_enable_private_segment 0
		.amdhsa_system_sgpr_workgroup_id_x 1
		.amdhsa_system_sgpr_workgroup_id_y 0
		.amdhsa_system_sgpr_workgroup_id_z 0
		.amdhsa_system_sgpr_workgroup_info 0
		.amdhsa_system_vgpr_workitem_id 0
		.amdhsa_next_free_vgpr 1
		.amdhsa_next_free_sgpr 1
		.amdhsa_reserve_vcc 0
		.amdhsa_float_round_mode_32 0
		.amdhsa_float_round_mode_16_64 0
		.amdhsa_float_denorm_mode_32 3
		.amdhsa_float_denorm_mode_16_64 3
		.amdhsa_dx10_clamp 1
		.amdhsa_ieee_mode 1
		.amdhsa_fp16_overflow 0
		.amdhsa_workgroup_processor_mode 1
		.amdhsa_memory_ordered 1
		.amdhsa_forward_progress 0
		.amdhsa_shared_vgpr_count 0
		.amdhsa_exception_fp_ieee_invalid_op 0
		.amdhsa_exception_fp_denorm_src 0
		.amdhsa_exception_fp_ieee_div_zero 0
		.amdhsa_exception_fp_ieee_overflow 0
		.amdhsa_exception_fp_ieee_underflow 0
		.amdhsa_exception_fp_ieee_inexact 0
		.amdhsa_exception_int_div_zero 0
	.end_amdhsa_kernel
	.section	.text._ZN7rocprim17ROCPRIM_400000_NS6detail17trampoline_kernelINS0_14default_configENS1_25partition_config_selectorILNS1_17partition_subalgoE9EllbEEZZNS1_14partition_implILS5_9ELb0ES3_jPlS8_PNS0_10empty_typeENS0_5tupleIJS8_S9_EEENSB_IJS8_SA_EEENS0_18inequality_wrapperIZN2at6native12_GLOBAL__N_124unique_dim_cuda_templateIaEESt5tupleIJNSF_6TensorESK_SK_EERKSK_lbbbEUlllE0_EEPmJS9_EEE10hipError_tPvRmT3_T4_T5_T6_T7_T9_mT8_P12ihipStream_tbDpT10_ENKUlT_T0_E_clISt17integral_constantIbLb1EES19_IbLb0EEEEDaS15_S16_EUlS15_E_NS1_11comp_targetILNS1_3genE0ELNS1_11target_archE4294967295ELNS1_3gpuE0ELNS1_3repE0EEENS1_30default_config_static_selectorELNS0_4arch9wavefront6targetE0EEEvT1_,"axG",@progbits,_ZN7rocprim17ROCPRIM_400000_NS6detail17trampoline_kernelINS0_14default_configENS1_25partition_config_selectorILNS1_17partition_subalgoE9EllbEEZZNS1_14partition_implILS5_9ELb0ES3_jPlS8_PNS0_10empty_typeENS0_5tupleIJS8_S9_EEENSB_IJS8_SA_EEENS0_18inequality_wrapperIZN2at6native12_GLOBAL__N_124unique_dim_cuda_templateIaEESt5tupleIJNSF_6TensorESK_SK_EERKSK_lbbbEUlllE0_EEPmJS9_EEE10hipError_tPvRmT3_T4_T5_T6_T7_T9_mT8_P12ihipStream_tbDpT10_ENKUlT_T0_E_clISt17integral_constantIbLb1EES19_IbLb0EEEEDaS15_S16_EUlS15_E_NS1_11comp_targetILNS1_3genE0ELNS1_11target_archE4294967295ELNS1_3gpuE0ELNS1_3repE0EEENS1_30default_config_static_selectorELNS0_4arch9wavefront6targetE0EEEvT1_,comdat
.Lfunc_end367:
	.size	_ZN7rocprim17ROCPRIM_400000_NS6detail17trampoline_kernelINS0_14default_configENS1_25partition_config_selectorILNS1_17partition_subalgoE9EllbEEZZNS1_14partition_implILS5_9ELb0ES3_jPlS8_PNS0_10empty_typeENS0_5tupleIJS8_S9_EEENSB_IJS8_SA_EEENS0_18inequality_wrapperIZN2at6native12_GLOBAL__N_124unique_dim_cuda_templateIaEESt5tupleIJNSF_6TensorESK_SK_EERKSK_lbbbEUlllE0_EEPmJS9_EEE10hipError_tPvRmT3_T4_T5_T6_T7_T9_mT8_P12ihipStream_tbDpT10_ENKUlT_T0_E_clISt17integral_constantIbLb1EES19_IbLb0EEEEDaS15_S16_EUlS15_E_NS1_11comp_targetILNS1_3genE0ELNS1_11target_archE4294967295ELNS1_3gpuE0ELNS1_3repE0EEENS1_30default_config_static_selectorELNS0_4arch9wavefront6targetE0EEEvT1_, .Lfunc_end367-_ZN7rocprim17ROCPRIM_400000_NS6detail17trampoline_kernelINS0_14default_configENS1_25partition_config_selectorILNS1_17partition_subalgoE9EllbEEZZNS1_14partition_implILS5_9ELb0ES3_jPlS8_PNS0_10empty_typeENS0_5tupleIJS8_S9_EEENSB_IJS8_SA_EEENS0_18inequality_wrapperIZN2at6native12_GLOBAL__N_124unique_dim_cuda_templateIaEESt5tupleIJNSF_6TensorESK_SK_EERKSK_lbbbEUlllE0_EEPmJS9_EEE10hipError_tPvRmT3_T4_T5_T6_T7_T9_mT8_P12ihipStream_tbDpT10_ENKUlT_T0_E_clISt17integral_constantIbLb1EES19_IbLb0EEEEDaS15_S16_EUlS15_E_NS1_11comp_targetILNS1_3genE0ELNS1_11target_archE4294967295ELNS1_3gpuE0ELNS1_3repE0EEENS1_30default_config_static_selectorELNS0_4arch9wavefront6targetE0EEEvT1_
                                        ; -- End function
	.section	.AMDGPU.csdata,"",@progbits
; Kernel info:
; codeLenInByte = 0
; NumSgprs: 0
; NumVgprs: 0
; ScratchSize: 0
; MemoryBound: 0
; FloatMode: 240
; IeeeMode: 1
; LDSByteSize: 0 bytes/workgroup (compile time only)
; SGPRBlocks: 0
; VGPRBlocks: 0
; NumSGPRsForWavesPerEU: 1
; NumVGPRsForWavesPerEU: 1
; Occupancy: 16
; WaveLimiterHint : 0
; COMPUTE_PGM_RSRC2:SCRATCH_EN: 0
; COMPUTE_PGM_RSRC2:USER_SGPR: 15
; COMPUTE_PGM_RSRC2:TRAP_HANDLER: 0
; COMPUTE_PGM_RSRC2:TGID_X_EN: 1
; COMPUTE_PGM_RSRC2:TGID_Y_EN: 0
; COMPUTE_PGM_RSRC2:TGID_Z_EN: 0
; COMPUTE_PGM_RSRC2:TIDIG_COMP_CNT: 0
	.section	.text._ZN7rocprim17ROCPRIM_400000_NS6detail17trampoline_kernelINS0_14default_configENS1_25partition_config_selectorILNS1_17partition_subalgoE9EllbEEZZNS1_14partition_implILS5_9ELb0ES3_jPlS8_PNS0_10empty_typeENS0_5tupleIJS8_S9_EEENSB_IJS8_SA_EEENS0_18inequality_wrapperIZN2at6native12_GLOBAL__N_124unique_dim_cuda_templateIaEESt5tupleIJNSF_6TensorESK_SK_EERKSK_lbbbEUlllE0_EEPmJS9_EEE10hipError_tPvRmT3_T4_T5_T6_T7_T9_mT8_P12ihipStream_tbDpT10_ENKUlT_T0_E_clISt17integral_constantIbLb1EES19_IbLb0EEEEDaS15_S16_EUlS15_E_NS1_11comp_targetILNS1_3genE5ELNS1_11target_archE942ELNS1_3gpuE9ELNS1_3repE0EEENS1_30default_config_static_selectorELNS0_4arch9wavefront6targetE0EEEvT1_,"axG",@progbits,_ZN7rocprim17ROCPRIM_400000_NS6detail17trampoline_kernelINS0_14default_configENS1_25partition_config_selectorILNS1_17partition_subalgoE9EllbEEZZNS1_14partition_implILS5_9ELb0ES3_jPlS8_PNS0_10empty_typeENS0_5tupleIJS8_S9_EEENSB_IJS8_SA_EEENS0_18inequality_wrapperIZN2at6native12_GLOBAL__N_124unique_dim_cuda_templateIaEESt5tupleIJNSF_6TensorESK_SK_EERKSK_lbbbEUlllE0_EEPmJS9_EEE10hipError_tPvRmT3_T4_T5_T6_T7_T9_mT8_P12ihipStream_tbDpT10_ENKUlT_T0_E_clISt17integral_constantIbLb1EES19_IbLb0EEEEDaS15_S16_EUlS15_E_NS1_11comp_targetILNS1_3genE5ELNS1_11target_archE942ELNS1_3gpuE9ELNS1_3repE0EEENS1_30default_config_static_selectorELNS0_4arch9wavefront6targetE0EEEvT1_,comdat
	.globl	_ZN7rocprim17ROCPRIM_400000_NS6detail17trampoline_kernelINS0_14default_configENS1_25partition_config_selectorILNS1_17partition_subalgoE9EllbEEZZNS1_14partition_implILS5_9ELb0ES3_jPlS8_PNS0_10empty_typeENS0_5tupleIJS8_S9_EEENSB_IJS8_SA_EEENS0_18inequality_wrapperIZN2at6native12_GLOBAL__N_124unique_dim_cuda_templateIaEESt5tupleIJNSF_6TensorESK_SK_EERKSK_lbbbEUlllE0_EEPmJS9_EEE10hipError_tPvRmT3_T4_T5_T6_T7_T9_mT8_P12ihipStream_tbDpT10_ENKUlT_T0_E_clISt17integral_constantIbLb1EES19_IbLb0EEEEDaS15_S16_EUlS15_E_NS1_11comp_targetILNS1_3genE5ELNS1_11target_archE942ELNS1_3gpuE9ELNS1_3repE0EEENS1_30default_config_static_selectorELNS0_4arch9wavefront6targetE0EEEvT1_ ; -- Begin function _ZN7rocprim17ROCPRIM_400000_NS6detail17trampoline_kernelINS0_14default_configENS1_25partition_config_selectorILNS1_17partition_subalgoE9EllbEEZZNS1_14partition_implILS5_9ELb0ES3_jPlS8_PNS0_10empty_typeENS0_5tupleIJS8_S9_EEENSB_IJS8_SA_EEENS0_18inequality_wrapperIZN2at6native12_GLOBAL__N_124unique_dim_cuda_templateIaEESt5tupleIJNSF_6TensorESK_SK_EERKSK_lbbbEUlllE0_EEPmJS9_EEE10hipError_tPvRmT3_T4_T5_T6_T7_T9_mT8_P12ihipStream_tbDpT10_ENKUlT_T0_E_clISt17integral_constantIbLb1EES19_IbLb0EEEEDaS15_S16_EUlS15_E_NS1_11comp_targetILNS1_3genE5ELNS1_11target_archE942ELNS1_3gpuE9ELNS1_3repE0EEENS1_30default_config_static_selectorELNS0_4arch9wavefront6targetE0EEEvT1_
	.p2align	8
	.type	_ZN7rocprim17ROCPRIM_400000_NS6detail17trampoline_kernelINS0_14default_configENS1_25partition_config_selectorILNS1_17partition_subalgoE9EllbEEZZNS1_14partition_implILS5_9ELb0ES3_jPlS8_PNS0_10empty_typeENS0_5tupleIJS8_S9_EEENSB_IJS8_SA_EEENS0_18inequality_wrapperIZN2at6native12_GLOBAL__N_124unique_dim_cuda_templateIaEESt5tupleIJNSF_6TensorESK_SK_EERKSK_lbbbEUlllE0_EEPmJS9_EEE10hipError_tPvRmT3_T4_T5_T6_T7_T9_mT8_P12ihipStream_tbDpT10_ENKUlT_T0_E_clISt17integral_constantIbLb1EES19_IbLb0EEEEDaS15_S16_EUlS15_E_NS1_11comp_targetILNS1_3genE5ELNS1_11target_archE942ELNS1_3gpuE9ELNS1_3repE0EEENS1_30default_config_static_selectorELNS0_4arch9wavefront6targetE0EEEvT1_,@function
_ZN7rocprim17ROCPRIM_400000_NS6detail17trampoline_kernelINS0_14default_configENS1_25partition_config_selectorILNS1_17partition_subalgoE9EllbEEZZNS1_14partition_implILS5_9ELb0ES3_jPlS8_PNS0_10empty_typeENS0_5tupleIJS8_S9_EEENSB_IJS8_SA_EEENS0_18inequality_wrapperIZN2at6native12_GLOBAL__N_124unique_dim_cuda_templateIaEESt5tupleIJNSF_6TensorESK_SK_EERKSK_lbbbEUlllE0_EEPmJS9_EEE10hipError_tPvRmT3_T4_T5_T6_T7_T9_mT8_P12ihipStream_tbDpT10_ENKUlT_T0_E_clISt17integral_constantIbLb1EES19_IbLb0EEEEDaS15_S16_EUlS15_E_NS1_11comp_targetILNS1_3genE5ELNS1_11target_archE942ELNS1_3gpuE9ELNS1_3repE0EEENS1_30default_config_static_selectorELNS0_4arch9wavefront6targetE0EEEvT1_: ; @_ZN7rocprim17ROCPRIM_400000_NS6detail17trampoline_kernelINS0_14default_configENS1_25partition_config_selectorILNS1_17partition_subalgoE9EllbEEZZNS1_14partition_implILS5_9ELb0ES3_jPlS8_PNS0_10empty_typeENS0_5tupleIJS8_S9_EEENSB_IJS8_SA_EEENS0_18inequality_wrapperIZN2at6native12_GLOBAL__N_124unique_dim_cuda_templateIaEESt5tupleIJNSF_6TensorESK_SK_EERKSK_lbbbEUlllE0_EEPmJS9_EEE10hipError_tPvRmT3_T4_T5_T6_T7_T9_mT8_P12ihipStream_tbDpT10_ENKUlT_T0_E_clISt17integral_constantIbLb1EES19_IbLb0EEEEDaS15_S16_EUlS15_E_NS1_11comp_targetILNS1_3genE5ELNS1_11target_archE942ELNS1_3gpuE9ELNS1_3repE0EEENS1_30default_config_static_selectorELNS0_4arch9wavefront6targetE0EEEvT1_
; %bb.0:
	.section	.rodata,"a",@progbits
	.p2align	6, 0x0
	.amdhsa_kernel _ZN7rocprim17ROCPRIM_400000_NS6detail17trampoline_kernelINS0_14default_configENS1_25partition_config_selectorILNS1_17partition_subalgoE9EllbEEZZNS1_14partition_implILS5_9ELb0ES3_jPlS8_PNS0_10empty_typeENS0_5tupleIJS8_S9_EEENSB_IJS8_SA_EEENS0_18inequality_wrapperIZN2at6native12_GLOBAL__N_124unique_dim_cuda_templateIaEESt5tupleIJNSF_6TensorESK_SK_EERKSK_lbbbEUlllE0_EEPmJS9_EEE10hipError_tPvRmT3_T4_T5_T6_T7_T9_mT8_P12ihipStream_tbDpT10_ENKUlT_T0_E_clISt17integral_constantIbLb1EES19_IbLb0EEEEDaS15_S16_EUlS15_E_NS1_11comp_targetILNS1_3genE5ELNS1_11target_archE942ELNS1_3gpuE9ELNS1_3repE0EEENS1_30default_config_static_selectorELNS0_4arch9wavefront6targetE0EEEvT1_
		.amdhsa_group_segment_fixed_size 0
		.amdhsa_private_segment_fixed_size 0
		.amdhsa_kernarg_size 120
		.amdhsa_user_sgpr_count 15
		.amdhsa_user_sgpr_dispatch_ptr 0
		.amdhsa_user_sgpr_queue_ptr 0
		.amdhsa_user_sgpr_kernarg_segment_ptr 1
		.amdhsa_user_sgpr_dispatch_id 0
		.amdhsa_user_sgpr_private_segment_size 0
		.amdhsa_wavefront_size32 1
		.amdhsa_uses_dynamic_stack 0
		.amdhsa_enable_private_segment 0
		.amdhsa_system_sgpr_workgroup_id_x 1
		.amdhsa_system_sgpr_workgroup_id_y 0
		.amdhsa_system_sgpr_workgroup_id_z 0
		.amdhsa_system_sgpr_workgroup_info 0
		.amdhsa_system_vgpr_workitem_id 0
		.amdhsa_next_free_vgpr 1
		.amdhsa_next_free_sgpr 1
		.amdhsa_reserve_vcc 0
		.amdhsa_float_round_mode_32 0
		.amdhsa_float_round_mode_16_64 0
		.amdhsa_float_denorm_mode_32 3
		.amdhsa_float_denorm_mode_16_64 3
		.amdhsa_dx10_clamp 1
		.amdhsa_ieee_mode 1
		.amdhsa_fp16_overflow 0
		.amdhsa_workgroup_processor_mode 1
		.amdhsa_memory_ordered 1
		.amdhsa_forward_progress 0
		.amdhsa_shared_vgpr_count 0
		.amdhsa_exception_fp_ieee_invalid_op 0
		.amdhsa_exception_fp_denorm_src 0
		.amdhsa_exception_fp_ieee_div_zero 0
		.amdhsa_exception_fp_ieee_overflow 0
		.amdhsa_exception_fp_ieee_underflow 0
		.amdhsa_exception_fp_ieee_inexact 0
		.amdhsa_exception_int_div_zero 0
	.end_amdhsa_kernel
	.section	.text._ZN7rocprim17ROCPRIM_400000_NS6detail17trampoline_kernelINS0_14default_configENS1_25partition_config_selectorILNS1_17partition_subalgoE9EllbEEZZNS1_14partition_implILS5_9ELb0ES3_jPlS8_PNS0_10empty_typeENS0_5tupleIJS8_S9_EEENSB_IJS8_SA_EEENS0_18inequality_wrapperIZN2at6native12_GLOBAL__N_124unique_dim_cuda_templateIaEESt5tupleIJNSF_6TensorESK_SK_EERKSK_lbbbEUlllE0_EEPmJS9_EEE10hipError_tPvRmT3_T4_T5_T6_T7_T9_mT8_P12ihipStream_tbDpT10_ENKUlT_T0_E_clISt17integral_constantIbLb1EES19_IbLb0EEEEDaS15_S16_EUlS15_E_NS1_11comp_targetILNS1_3genE5ELNS1_11target_archE942ELNS1_3gpuE9ELNS1_3repE0EEENS1_30default_config_static_selectorELNS0_4arch9wavefront6targetE0EEEvT1_,"axG",@progbits,_ZN7rocprim17ROCPRIM_400000_NS6detail17trampoline_kernelINS0_14default_configENS1_25partition_config_selectorILNS1_17partition_subalgoE9EllbEEZZNS1_14partition_implILS5_9ELb0ES3_jPlS8_PNS0_10empty_typeENS0_5tupleIJS8_S9_EEENSB_IJS8_SA_EEENS0_18inequality_wrapperIZN2at6native12_GLOBAL__N_124unique_dim_cuda_templateIaEESt5tupleIJNSF_6TensorESK_SK_EERKSK_lbbbEUlllE0_EEPmJS9_EEE10hipError_tPvRmT3_T4_T5_T6_T7_T9_mT8_P12ihipStream_tbDpT10_ENKUlT_T0_E_clISt17integral_constantIbLb1EES19_IbLb0EEEEDaS15_S16_EUlS15_E_NS1_11comp_targetILNS1_3genE5ELNS1_11target_archE942ELNS1_3gpuE9ELNS1_3repE0EEENS1_30default_config_static_selectorELNS0_4arch9wavefront6targetE0EEEvT1_,comdat
.Lfunc_end368:
	.size	_ZN7rocprim17ROCPRIM_400000_NS6detail17trampoline_kernelINS0_14default_configENS1_25partition_config_selectorILNS1_17partition_subalgoE9EllbEEZZNS1_14partition_implILS5_9ELb0ES3_jPlS8_PNS0_10empty_typeENS0_5tupleIJS8_S9_EEENSB_IJS8_SA_EEENS0_18inequality_wrapperIZN2at6native12_GLOBAL__N_124unique_dim_cuda_templateIaEESt5tupleIJNSF_6TensorESK_SK_EERKSK_lbbbEUlllE0_EEPmJS9_EEE10hipError_tPvRmT3_T4_T5_T6_T7_T9_mT8_P12ihipStream_tbDpT10_ENKUlT_T0_E_clISt17integral_constantIbLb1EES19_IbLb0EEEEDaS15_S16_EUlS15_E_NS1_11comp_targetILNS1_3genE5ELNS1_11target_archE942ELNS1_3gpuE9ELNS1_3repE0EEENS1_30default_config_static_selectorELNS0_4arch9wavefront6targetE0EEEvT1_, .Lfunc_end368-_ZN7rocprim17ROCPRIM_400000_NS6detail17trampoline_kernelINS0_14default_configENS1_25partition_config_selectorILNS1_17partition_subalgoE9EllbEEZZNS1_14partition_implILS5_9ELb0ES3_jPlS8_PNS0_10empty_typeENS0_5tupleIJS8_S9_EEENSB_IJS8_SA_EEENS0_18inequality_wrapperIZN2at6native12_GLOBAL__N_124unique_dim_cuda_templateIaEESt5tupleIJNSF_6TensorESK_SK_EERKSK_lbbbEUlllE0_EEPmJS9_EEE10hipError_tPvRmT3_T4_T5_T6_T7_T9_mT8_P12ihipStream_tbDpT10_ENKUlT_T0_E_clISt17integral_constantIbLb1EES19_IbLb0EEEEDaS15_S16_EUlS15_E_NS1_11comp_targetILNS1_3genE5ELNS1_11target_archE942ELNS1_3gpuE9ELNS1_3repE0EEENS1_30default_config_static_selectorELNS0_4arch9wavefront6targetE0EEEvT1_
                                        ; -- End function
	.section	.AMDGPU.csdata,"",@progbits
; Kernel info:
; codeLenInByte = 0
; NumSgprs: 0
; NumVgprs: 0
; ScratchSize: 0
; MemoryBound: 0
; FloatMode: 240
; IeeeMode: 1
; LDSByteSize: 0 bytes/workgroup (compile time only)
; SGPRBlocks: 0
; VGPRBlocks: 0
; NumSGPRsForWavesPerEU: 1
; NumVGPRsForWavesPerEU: 1
; Occupancy: 16
; WaveLimiterHint : 0
; COMPUTE_PGM_RSRC2:SCRATCH_EN: 0
; COMPUTE_PGM_RSRC2:USER_SGPR: 15
; COMPUTE_PGM_RSRC2:TRAP_HANDLER: 0
; COMPUTE_PGM_RSRC2:TGID_X_EN: 1
; COMPUTE_PGM_RSRC2:TGID_Y_EN: 0
; COMPUTE_PGM_RSRC2:TGID_Z_EN: 0
; COMPUTE_PGM_RSRC2:TIDIG_COMP_CNT: 0
	.section	.text._ZN7rocprim17ROCPRIM_400000_NS6detail17trampoline_kernelINS0_14default_configENS1_25partition_config_selectorILNS1_17partition_subalgoE9EllbEEZZNS1_14partition_implILS5_9ELb0ES3_jPlS8_PNS0_10empty_typeENS0_5tupleIJS8_S9_EEENSB_IJS8_SA_EEENS0_18inequality_wrapperIZN2at6native12_GLOBAL__N_124unique_dim_cuda_templateIaEESt5tupleIJNSF_6TensorESK_SK_EERKSK_lbbbEUlllE0_EEPmJS9_EEE10hipError_tPvRmT3_T4_T5_T6_T7_T9_mT8_P12ihipStream_tbDpT10_ENKUlT_T0_E_clISt17integral_constantIbLb1EES19_IbLb0EEEEDaS15_S16_EUlS15_E_NS1_11comp_targetILNS1_3genE4ELNS1_11target_archE910ELNS1_3gpuE8ELNS1_3repE0EEENS1_30default_config_static_selectorELNS0_4arch9wavefront6targetE0EEEvT1_,"axG",@progbits,_ZN7rocprim17ROCPRIM_400000_NS6detail17trampoline_kernelINS0_14default_configENS1_25partition_config_selectorILNS1_17partition_subalgoE9EllbEEZZNS1_14partition_implILS5_9ELb0ES3_jPlS8_PNS0_10empty_typeENS0_5tupleIJS8_S9_EEENSB_IJS8_SA_EEENS0_18inequality_wrapperIZN2at6native12_GLOBAL__N_124unique_dim_cuda_templateIaEESt5tupleIJNSF_6TensorESK_SK_EERKSK_lbbbEUlllE0_EEPmJS9_EEE10hipError_tPvRmT3_T4_T5_T6_T7_T9_mT8_P12ihipStream_tbDpT10_ENKUlT_T0_E_clISt17integral_constantIbLb1EES19_IbLb0EEEEDaS15_S16_EUlS15_E_NS1_11comp_targetILNS1_3genE4ELNS1_11target_archE910ELNS1_3gpuE8ELNS1_3repE0EEENS1_30default_config_static_selectorELNS0_4arch9wavefront6targetE0EEEvT1_,comdat
	.globl	_ZN7rocprim17ROCPRIM_400000_NS6detail17trampoline_kernelINS0_14default_configENS1_25partition_config_selectorILNS1_17partition_subalgoE9EllbEEZZNS1_14partition_implILS5_9ELb0ES3_jPlS8_PNS0_10empty_typeENS0_5tupleIJS8_S9_EEENSB_IJS8_SA_EEENS0_18inequality_wrapperIZN2at6native12_GLOBAL__N_124unique_dim_cuda_templateIaEESt5tupleIJNSF_6TensorESK_SK_EERKSK_lbbbEUlllE0_EEPmJS9_EEE10hipError_tPvRmT3_T4_T5_T6_T7_T9_mT8_P12ihipStream_tbDpT10_ENKUlT_T0_E_clISt17integral_constantIbLb1EES19_IbLb0EEEEDaS15_S16_EUlS15_E_NS1_11comp_targetILNS1_3genE4ELNS1_11target_archE910ELNS1_3gpuE8ELNS1_3repE0EEENS1_30default_config_static_selectorELNS0_4arch9wavefront6targetE0EEEvT1_ ; -- Begin function _ZN7rocprim17ROCPRIM_400000_NS6detail17trampoline_kernelINS0_14default_configENS1_25partition_config_selectorILNS1_17partition_subalgoE9EllbEEZZNS1_14partition_implILS5_9ELb0ES3_jPlS8_PNS0_10empty_typeENS0_5tupleIJS8_S9_EEENSB_IJS8_SA_EEENS0_18inequality_wrapperIZN2at6native12_GLOBAL__N_124unique_dim_cuda_templateIaEESt5tupleIJNSF_6TensorESK_SK_EERKSK_lbbbEUlllE0_EEPmJS9_EEE10hipError_tPvRmT3_T4_T5_T6_T7_T9_mT8_P12ihipStream_tbDpT10_ENKUlT_T0_E_clISt17integral_constantIbLb1EES19_IbLb0EEEEDaS15_S16_EUlS15_E_NS1_11comp_targetILNS1_3genE4ELNS1_11target_archE910ELNS1_3gpuE8ELNS1_3repE0EEENS1_30default_config_static_selectorELNS0_4arch9wavefront6targetE0EEEvT1_
	.p2align	8
	.type	_ZN7rocprim17ROCPRIM_400000_NS6detail17trampoline_kernelINS0_14default_configENS1_25partition_config_selectorILNS1_17partition_subalgoE9EllbEEZZNS1_14partition_implILS5_9ELb0ES3_jPlS8_PNS0_10empty_typeENS0_5tupleIJS8_S9_EEENSB_IJS8_SA_EEENS0_18inequality_wrapperIZN2at6native12_GLOBAL__N_124unique_dim_cuda_templateIaEESt5tupleIJNSF_6TensorESK_SK_EERKSK_lbbbEUlllE0_EEPmJS9_EEE10hipError_tPvRmT3_T4_T5_T6_T7_T9_mT8_P12ihipStream_tbDpT10_ENKUlT_T0_E_clISt17integral_constantIbLb1EES19_IbLb0EEEEDaS15_S16_EUlS15_E_NS1_11comp_targetILNS1_3genE4ELNS1_11target_archE910ELNS1_3gpuE8ELNS1_3repE0EEENS1_30default_config_static_selectorELNS0_4arch9wavefront6targetE0EEEvT1_,@function
_ZN7rocprim17ROCPRIM_400000_NS6detail17trampoline_kernelINS0_14default_configENS1_25partition_config_selectorILNS1_17partition_subalgoE9EllbEEZZNS1_14partition_implILS5_9ELb0ES3_jPlS8_PNS0_10empty_typeENS0_5tupleIJS8_S9_EEENSB_IJS8_SA_EEENS0_18inequality_wrapperIZN2at6native12_GLOBAL__N_124unique_dim_cuda_templateIaEESt5tupleIJNSF_6TensorESK_SK_EERKSK_lbbbEUlllE0_EEPmJS9_EEE10hipError_tPvRmT3_T4_T5_T6_T7_T9_mT8_P12ihipStream_tbDpT10_ENKUlT_T0_E_clISt17integral_constantIbLb1EES19_IbLb0EEEEDaS15_S16_EUlS15_E_NS1_11comp_targetILNS1_3genE4ELNS1_11target_archE910ELNS1_3gpuE8ELNS1_3repE0EEENS1_30default_config_static_selectorELNS0_4arch9wavefront6targetE0EEEvT1_: ; @_ZN7rocprim17ROCPRIM_400000_NS6detail17trampoline_kernelINS0_14default_configENS1_25partition_config_selectorILNS1_17partition_subalgoE9EllbEEZZNS1_14partition_implILS5_9ELb0ES3_jPlS8_PNS0_10empty_typeENS0_5tupleIJS8_S9_EEENSB_IJS8_SA_EEENS0_18inequality_wrapperIZN2at6native12_GLOBAL__N_124unique_dim_cuda_templateIaEESt5tupleIJNSF_6TensorESK_SK_EERKSK_lbbbEUlllE0_EEPmJS9_EEE10hipError_tPvRmT3_T4_T5_T6_T7_T9_mT8_P12ihipStream_tbDpT10_ENKUlT_T0_E_clISt17integral_constantIbLb1EES19_IbLb0EEEEDaS15_S16_EUlS15_E_NS1_11comp_targetILNS1_3genE4ELNS1_11target_archE910ELNS1_3gpuE8ELNS1_3repE0EEENS1_30default_config_static_selectorELNS0_4arch9wavefront6targetE0EEEvT1_
; %bb.0:
	.section	.rodata,"a",@progbits
	.p2align	6, 0x0
	.amdhsa_kernel _ZN7rocprim17ROCPRIM_400000_NS6detail17trampoline_kernelINS0_14default_configENS1_25partition_config_selectorILNS1_17partition_subalgoE9EllbEEZZNS1_14partition_implILS5_9ELb0ES3_jPlS8_PNS0_10empty_typeENS0_5tupleIJS8_S9_EEENSB_IJS8_SA_EEENS0_18inequality_wrapperIZN2at6native12_GLOBAL__N_124unique_dim_cuda_templateIaEESt5tupleIJNSF_6TensorESK_SK_EERKSK_lbbbEUlllE0_EEPmJS9_EEE10hipError_tPvRmT3_T4_T5_T6_T7_T9_mT8_P12ihipStream_tbDpT10_ENKUlT_T0_E_clISt17integral_constantIbLb1EES19_IbLb0EEEEDaS15_S16_EUlS15_E_NS1_11comp_targetILNS1_3genE4ELNS1_11target_archE910ELNS1_3gpuE8ELNS1_3repE0EEENS1_30default_config_static_selectorELNS0_4arch9wavefront6targetE0EEEvT1_
		.amdhsa_group_segment_fixed_size 0
		.amdhsa_private_segment_fixed_size 0
		.amdhsa_kernarg_size 120
		.amdhsa_user_sgpr_count 15
		.amdhsa_user_sgpr_dispatch_ptr 0
		.amdhsa_user_sgpr_queue_ptr 0
		.amdhsa_user_sgpr_kernarg_segment_ptr 1
		.amdhsa_user_sgpr_dispatch_id 0
		.amdhsa_user_sgpr_private_segment_size 0
		.amdhsa_wavefront_size32 1
		.amdhsa_uses_dynamic_stack 0
		.amdhsa_enable_private_segment 0
		.amdhsa_system_sgpr_workgroup_id_x 1
		.amdhsa_system_sgpr_workgroup_id_y 0
		.amdhsa_system_sgpr_workgroup_id_z 0
		.amdhsa_system_sgpr_workgroup_info 0
		.amdhsa_system_vgpr_workitem_id 0
		.amdhsa_next_free_vgpr 1
		.amdhsa_next_free_sgpr 1
		.amdhsa_reserve_vcc 0
		.amdhsa_float_round_mode_32 0
		.amdhsa_float_round_mode_16_64 0
		.amdhsa_float_denorm_mode_32 3
		.amdhsa_float_denorm_mode_16_64 3
		.amdhsa_dx10_clamp 1
		.amdhsa_ieee_mode 1
		.amdhsa_fp16_overflow 0
		.amdhsa_workgroup_processor_mode 1
		.amdhsa_memory_ordered 1
		.amdhsa_forward_progress 0
		.amdhsa_shared_vgpr_count 0
		.amdhsa_exception_fp_ieee_invalid_op 0
		.amdhsa_exception_fp_denorm_src 0
		.amdhsa_exception_fp_ieee_div_zero 0
		.amdhsa_exception_fp_ieee_overflow 0
		.amdhsa_exception_fp_ieee_underflow 0
		.amdhsa_exception_fp_ieee_inexact 0
		.amdhsa_exception_int_div_zero 0
	.end_amdhsa_kernel
	.section	.text._ZN7rocprim17ROCPRIM_400000_NS6detail17trampoline_kernelINS0_14default_configENS1_25partition_config_selectorILNS1_17partition_subalgoE9EllbEEZZNS1_14partition_implILS5_9ELb0ES3_jPlS8_PNS0_10empty_typeENS0_5tupleIJS8_S9_EEENSB_IJS8_SA_EEENS0_18inequality_wrapperIZN2at6native12_GLOBAL__N_124unique_dim_cuda_templateIaEESt5tupleIJNSF_6TensorESK_SK_EERKSK_lbbbEUlllE0_EEPmJS9_EEE10hipError_tPvRmT3_T4_T5_T6_T7_T9_mT8_P12ihipStream_tbDpT10_ENKUlT_T0_E_clISt17integral_constantIbLb1EES19_IbLb0EEEEDaS15_S16_EUlS15_E_NS1_11comp_targetILNS1_3genE4ELNS1_11target_archE910ELNS1_3gpuE8ELNS1_3repE0EEENS1_30default_config_static_selectorELNS0_4arch9wavefront6targetE0EEEvT1_,"axG",@progbits,_ZN7rocprim17ROCPRIM_400000_NS6detail17trampoline_kernelINS0_14default_configENS1_25partition_config_selectorILNS1_17partition_subalgoE9EllbEEZZNS1_14partition_implILS5_9ELb0ES3_jPlS8_PNS0_10empty_typeENS0_5tupleIJS8_S9_EEENSB_IJS8_SA_EEENS0_18inequality_wrapperIZN2at6native12_GLOBAL__N_124unique_dim_cuda_templateIaEESt5tupleIJNSF_6TensorESK_SK_EERKSK_lbbbEUlllE0_EEPmJS9_EEE10hipError_tPvRmT3_T4_T5_T6_T7_T9_mT8_P12ihipStream_tbDpT10_ENKUlT_T0_E_clISt17integral_constantIbLb1EES19_IbLb0EEEEDaS15_S16_EUlS15_E_NS1_11comp_targetILNS1_3genE4ELNS1_11target_archE910ELNS1_3gpuE8ELNS1_3repE0EEENS1_30default_config_static_selectorELNS0_4arch9wavefront6targetE0EEEvT1_,comdat
.Lfunc_end369:
	.size	_ZN7rocprim17ROCPRIM_400000_NS6detail17trampoline_kernelINS0_14default_configENS1_25partition_config_selectorILNS1_17partition_subalgoE9EllbEEZZNS1_14partition_implILS5_9ELb0ES3_jPlS8_PNS0_10empty_typeENS0_5tupleIJS8_S9_EEENSB_IJS8_SA_EEENS0_18inequality_wrapperIZN2at6native12_GLOBAL__N_124unique_dim_cuda_templateIaEESt5tupleIJNSF_6TensorESK_SK_EERKSK_lbbbEUlllE0_EEPmJS9_EEE10hipError_tPvRmT3_T4_T5_T6_T7_T9_mT8_P12ihipStream_tbDpT10_ENKUlT_T0_E_clISt17integral_constantIbLb1EES19_IbLb0EEEEDaS15_S16_EUlS15_E_NS1_11comp_targetILNS1_3genE4ELNS1_11target_archE910ELNS1_3gpuE8ELNS1_3repE0EEENS1_30default_config_static_selectorELNS0_4arch9wavefront6targetE0EEEvT1_, .Lfunc_end369-_ZN7rocprim17ROCPRIM_400000_NS6detail17trampoline_kernelINS0_14default_configENS1_25partition_config_selectorILNS1_17partition_subalgoE9EllbEEZZNS1_14partition_implILS5_9ELb0ES3_jPlS8_PNS0_10empty_typeENS0_5tupleIJS8_S9_EEENSB_IJS8_SA_EEENS0_18inequality_wrapperIZN2at6native12_GLOBAL__N_124unique_dim_cuda_templateIaEESt5tupleIJNSF_6TensorESK_SK_EERKSK_lbbbEUlllE0_EEPmJS9_EEE10hipError_tPvRmT3_T4_T5_T6_T7_T9_mT8_P12ihipStream_tbDpT10_ENKUlT_T0_E_clISt17integral_constantIbLb1EES19_IbLb0EEEEDaS15_S16_EUlS15_E_NS1_11comp_targetILNS1_3genE4ELNS1_11target_archE910ELNS1_3gpuE8ELNS1_3repE0EEENS1_30default_config_static_selectorELNS0_4arch9wavefront6targetE0EEEvT1_
                                        ; -- End function
	.section	.AMDGPU.csdata,"",@progbits
; Kernel info:
; codeLenInByte = 0
; NumSgprs: 0
; NumVgprs: 0
; ScratchSize: 0
; MemoryBound: 0
; FloatMode: 240
; IeeeMode: 1
; LDSByteSize: 0 bytes/workgroup (compile time only)
; SGPRBlocks: 0
; VGPRBlocks: 0
; NumSGPRsForWavesPerEU: 1
; NumVGPRsForWavesPerEU: 1
; Occupancy: 16
; WaveLimiterHint : 0
; COMPUTE_PGM_RSRC2:SCRATCH_EN: 0
; COMPUTE_PGM_RSRC2:USER_SGPR: 15
; COMPUTE_PGM_RSRC2:TRAP_HANDLER: 0
; COMPUTE_PGM_RSRC2:TGID_X_EN: 1
; COMPUTE_PGM_RSRC2:TGID_Y_EN: 0
; COMPUTE_PGM_RSRC2:TGID_Z_EN: 0
; COMPUTE_PGM_RSRC2:TIDIG_COMP_CNT: 0
	.section	.text._ZN7rocprim17ROCPRIM_400000_NS6detail17trampoline_kernelINS0_14default_configENS1_25partition_config_selectorILNS1_17partition_subalgoE9EllbEEZZNS1_14partition_implILS5_9ELb0ES3_jPlS8_PNS0_10empty_typeENS0_5tupleIJS8_S9_EEENSB_IJS8_SA_EEENS0_18inequality_wrapperIZN2at6native12_GLOBAL__N_124unique_dim_cuda_templateIaEESt5tupleIJNSF_6TensorESK_SK_EERKSK_lbbbEUlllE0_EEPmJS9_EEE10hipError_tPvRmT3_T4_T5_T6_T7_T9_mT8_P12ihipStream_tbDpT10_ENKUlT_T0_E_clISt17integral_constantIbLb1EES19_IbLb0EEEEDaS15_S16_EUlS15_E_NS1_11comp_targetILNS1_3genE3ELNS1_11target_archE908ELNS1_3gpuE7ELNS1_3repE0EEENS1_30default_config_static_selectorELNS0_4arch9wavefront6targetE0EEEvT1_,"axG",@progbits,_ZN7rocprim17ROCPRIM_400000_NS6detail17trampoline_kernelINS0_14default_configENS1_25partition_config_selectorILNS1_17partition_subalgoE9EllbEEZZNS1_14partition_implILS5_9ELb0ES3_jPlS8_PNS0_10empty_typeENS0_5tupleIJS8_S9_EEENSB_IJS8_SA_EEENS0_18inequality_wrapperIZN2at6native12_GLOBAL__N_124unique_dim_cuda_templateIaEESt5tupleIJNSF_6TensorESK_SK_EERKSK_lbbbEUlllE0_EEPmJS9_EEE10hipError_tPvRmT3_T4_T5_T6_T7_T9_mT8_P12ihipStream_tbDpT10_ENKUlT_T0_E_clISt17integral_constantIbLb1EES19_IbLb0EEEEDaS15_S16_EUlS15_E_NS1_11comp_targetILNS1_3genE3ELNS1_11target_archE908ELNS1_3gpuE7ELNS1_3repE0EEENS1_30default_config_static_selectorELNS0_4arch9wavefront6targetE0EEEvT1_,comdat
	.globl	_ZN7rocprim17ROCPRIM_400000_NS6detail17trampoline_kernelINS0_14default_configENS1_25partition_config_selectorILNS1_17partition_subalgoE9EllbEEZZNS1_14partition_implILS5_9ELb0ES3_jPlS8_PNS0_10empty_typeENS0_5tupleIJS8_S9_EEENSB_IJS8_SA_EEENS0_18inequality_wrapperIZN2at6native12_GLOBAL__N_124unique_dim_cuda_templateIaEESt5tupleIJNSF_6TensorESK_SK_EERKSK_lbbbEUlllE0_EEPmJS9_EEE10hipError_tPvRmT3_T4_T5_T6_T7_T9_mT8_P12ihipStream_tbDpT10_ENKUlT_T0_E_clISt17integral_constantIbLb1EES19_IbLb0EEEEDaS15_S16_EUlS15_E_NS1_11comp_targetILNS1_3genE3ELNS1_11target_archE908ELNS1_3gpuE7ELNS1_3repE0EEENS1_30default_config_static_selectorELNS0_4arch9wavefront6targetE0EEEvT1_ ; -- Begin function _ZN7rocprim17ROCPRIM_400000_NS6detail17trampoline_kernelINS0_14default_configENS1_25partition_config_selectorILNS1_17partition_subalgoE9EllbEEZZNS1_14partition_implILS5_9ELb0ES3_jPlS8_PNS0_10empty_typeENS0_5tupleIJS8_S9_EEENSB_IJS8_SA_EEENS0_18inequality_wrapperIZN2at6native12_GLOBAL__N_124unique_dim_cuda_templateIaEESt5tupleIJNSF_6TensorESK_SK_EERKSK_lbbbEUlllE0_EEPmJS9_EEE10hipError_tPvRmT3_T4_T5_T6_T7_T9_mT8_P12ihipStream_tbDpT10_ENKUlT_T0_E_clISt17integral_constantIbLb1EES19_IbLb0EEEEDaS15_S16_EUlS15_E_NS1_11comp_targetILNS1_3genE3ELNS1_11target_archE908ELNS1_3gpuE7ELNS1_3repE0EEENS1_30default_config_static_selectorELNS0_4arch9wavefront6targetE0EEEvT1_
	.p2align	8
	.type	_ZN7rocprim17ROCPRIM_400000_NS6detail17trampoline_kernelINS0_14default_configENS1_25partition_config_selectorILNS1_17partition_subalgoE9EllbEEZZNS1_14partition_implILS5_9ELb0ES3_jPlS8_PNS0_10empty_typeENS0_5tupleIJS8_S9_EEENSB_IJS8_SA_EEENS0_18inequality_wrapperIZN2at6native12_GLOBAL__N_124unique_dim_cuda_templateIaEESt5tupleIJNSF_6TensorESK_SK_EERKSK_lbbbEUlllE0_EEPmJS9_EEE10hipError_tPvRmT3_T4_T5_T6_T7_T9_mT8_P12ihipStream_tbDpT10_ENKUlT_T0_E_clISt17integral_constantIbLb1EES19_IbLb0EEEEDaS15_S16_EUlS15_E_NS1_11comp_targetILNS1_3genE3ELNS1_11target_archE908ELNS1_3gpuE7ELNS1_3repE0EEENS1_30default_config_static_selectorELNS0_4arch9wavefront6targetE0EEEvT1_,@function
_ZN7rocprim17ROCPRIM_400000_NS6detail17trampoline_kernelINS0_14default_configENS1_25partition_config_selectorILNS1_17partition_subalgoE9EllbEEZZNS1_14partition_implILS5_9ELb0ES3_jPlS8_PNS0_10empty_typeENS0_5tupleIJS8_S9_EEENSB_IJS8_SA_EEENS0_18inequality_wrapperIZN2at6native12_GLOBAL__N_124unique_dim_cuda_templateIaEESt5tupleIJNSF_6TensorESK_SK_EERKSK_lbbbEUlllE0_EEPmJS9_EEE10hipError_tPvRmT3_T4_T5_T6_T7_T9_mT8_P12ihipStream_tbDpT10_ENKUlT_T0_E_clISt17integral_constantIbLb1EES19_IbLb0EEEEDaS15_S16_EUlS15_E_NS1_11comp_targetILNS1_3genE3ELNS1_11target_archE908ELNS1_3gpuE7ELNS1_3repE0EEENS1_30default_config_static_selectorELNS0_4arch9wavefront6targetE0EEEvT1_: ; @_ZN7rocprim17ROCPRIM_400000_NS6detail17trampoline_kernelINS0_14default_configENS1_25partition_config_selectorILNS1_17partition_subalgoE9EllbEEZZNS1_14partition_implILS5_9ELb0ES3_jPlS8_PNS0_10empty_typeENS0_5tupleIJS8_S9_EEENSB_IJS8_SA_EEENS0_18inequality_wrapperIZN2at6native12_GLOBAL__N_124unique_dim_cuda_templateIaEESt5tupleIJNSF_6TensorESK_SK_EERKSK_lbbbEUlllE0_EEPmJS9_EEE10hipError_tPvRmT3_T4_T5_T6_T7_T9_mT8_P12ihipStream_tbDpT10_ENKUlT_T0_E_clISt17integral_constantIbLb1EES19_IbLb0EEEEDaS15_S16_EUlS15_E_NS1_11comp_targetILNS1_3genE3ELNS1_11target_archE908ELNS1_3gpuE7ELNS1_3repE0EEENS1_30default_config_static_selectorELNS0_4arch9wavefront6targetE0EEEvT1_
; %bb.0:
	.section	.rodata,"a",@progbits
	.p2align	6, 0x0
	.amdhsa_kernel _ZN7rocprim17ROCPRIM_400000_NS6detail17trampoline_kernelINS0_14default_configENS1_25partition_config_selectorILNS1_17partition_subalgoE9EllbEEZZNS1_14partition_implILS5_9ELb0ES3_jPlS8_PNS0_10empty_typeENS0_5tupleIJS8_S9_EEENSB_IJS8_SA_EEENS0_18inequality_wrapperIZN2at6native12_GLOBAL__N_124unique_dim_cuda_templateIaEESt5tupleIJNSF_6TensorESK_SK_EERKSK_lbbbEUlllE0_EEPmJS9_EEE10hipError_tPvRmT3_T4_T5_T6_T7_T9_mT8_P12ihipStream_tbDpT10_ENKUlT_T0_E_clISt17integral_constantIbLb1EES19_IbLb0EEEEDaS15_S16_EUlS15_E_NS1_11comp_targetILNS1_3genE3ELNS1_11target_archE908ELNS1_3gpuE7ELNS1_3repE0EEENS1_30default_config_static_selectorELNS0_4arch9wavefront6targetE0EEEvT1_
		.amdhsa_group_segment_fixed_size 0
		.amdhsa_private_segment_fixed_size 0
		.amdhsa_kernarg_size 120
		.amdhsa_user_sgpr_count 15
		.amdhsa_user_sgpr_dispatch_ptr 0
		.amdhsa_user_sgpr_queue_ptr 0
		.amdhsa_user_sgpr_kernarg_segment_ptr 1
		.amdhsa_user_sgpr_dispatch_id 0
		.amdhsa_user_sgpr_private_segment_size 0
		.amdhsa_wavefront_size32 1
		.amdhsa_uses_dynamic_stack 0
		.amdhsa_enable_private_segment 0
		.amdhsa_system_sgpr_workgroup_id_x 1
		.amdhsa_system_sgpr_workgroup_id_y 0
		.amdhsa_system_sgpr_workgroup_id_z 0
		.amdhsa_system_sgpr_workgroup_info 0
		.amdhsa_system_vgpr_workitem_id 0
		.amdhsa_next_free_vgpr 1
		.amdhsa_next_free_sgpr 1
		.amdhsa_reserve_vcc 0
		.amdhsa_float_round_mode_32 0
		.amdhsa_float_round_mode_16_64 0
		.amdhsa_float_denorm_mode_32 3
		.amdhsa_float_denorm_mode_16_64 3
		.amdhsa_dx10_clamp 1
		.amdhsa_ieee_mode 1
		.amdhsa_fp16_overflow 0
		.amdhsa_workgroup_processor_mode 1
		.amdhsa_memory_ordered 1
		.amdhsa_forward_progress 0
		.amdhsa_shared_vgpr_count 0
		.amdhsa_exception_fp_ieee_invalid_op 0
		.amdhsa_exception_fp_denorm_src 0
		.amdhsa_exception_fp_ieee_div_zero 0
		.amdhsa_exception_fp_ieee_overflow 0
		.amdhsa_exception_fp_ieee_underflow 0
		.amdhsa_exception_fp_ieee_inexact 0
		.amdhsa_exception_int_div_zero 0
	.end_amdhsa_kernel
	.section	.text._ZN7rocprim17ROCPRIM_400000_NS6detail17trampoline_kernelINS0_14default_configENS1_25partition_config_selectorILNS1_17partition_subalgoE9EllbEEZZNS1_14partition_implILS5_9ELb0ES3_jPlS8_PNS0_10empty_typeENS0_5tupleIJS8_S9_EEENSB_IJS8_SA_EEENS0_18inequality_wrapperIZN2at6native12_GLOBAL__N_124unique_dim_cuda_templateIaEESt5tupleIJNSF_6TensorESK_SK_EERKSK_lbbbEUlllE0_EEPmJS9_EEE10hipError_tPvRmT3_T4_T5_T6_T7_T9_mT8_P12ihipStream_tbDpT10_ENKUlT_T0_E_clISt17integral_constantIbLb1EES19_IbLb0EEEEDaS15_S16_EUlS15_E_NS1_11comp_targetILNS1_3genE3ELNS1_11target_archE908ELNS1_3gpuE7ELNS1_3repE0EEENS1_30default_config_static_selectorELNS0_4arch9wavefront6targetE0EEEvT1_,"axG",@progbits,_ZN7rocprim17ROCPRIM_400000_NS6detail17trampoline_kernelINS0_14default_configENS1_25partition_config_selectorILNS1_17partition_subalgoE9EllbEEZZNS1_14partition_implILS5_9ELb0ES3_jPlS8_PNS0_10empty_typeENS0_5tupleIJS8_S9_EEENSB_IJS8_SA_EEENS0_18inequality_wrapperIZN2at6native12_GLOBAL__N_124unique_dim_cuda_templateIaEESt5tupleIJNSF_6TensorESK_SK_EERKSK_lbbbEUlllE0_EEPmJS9_EEE10hipError_tPvRmT3_T4_T5_T6_T7_T9_mT8_P12ihipStream_tbDpT10_ENKUlT_T0_E_clISt17integral_constantIbLb1EES19_IbLb0EEEEDaS15_S16_EUlS15_E_NS1_11comp_targetILNS1_3genE3ELNS1_11target_archE908ELNS1_3gpuE7ELNS1_3repE0EEENS1_30default_config_static_selectorELNS0_4arch9wavefront6targetE0EEEvT1_,comdat
.Lfunc_end370:
	.size	_ZN7rocprim17ROCPRIM_400000_NS6detail17trampoline_kernelINS0_14default_configENS1_25partition_config_selectorILNS1_17partition_subalgoE9EllbEEZZNS1_14partition_implILS5_9ELb0ES3_jPlS8_PNS0_10empty_typeENS0_5tupleIJS8_S9_EEENSB_IJS8_SA_EEENS0_18inequality_wrapperIZN2at6native12_GLOBAL__N_124unique_dim_cuda_templateIaEESt5tupleIJNSF_6TensorESK_SK_EERKSK_lbbbEUlllE0_EEPmJS9_EEE10hipError_tPvRmT3_T4_T5_T6_T7_T9_mT8_P12ihipStream_tbDpT10_ENKUlT_T0_E_clISt17integral_constantIbLb1EES19_IbLb0EEEEDaS15_S16_EUlS15_E_NS1_11comp_targetILNS1_3genE3ELNS1_11target_archE908ELNS1_3gpuE7ELNS1_3repE0EEENS1_30default_config_static_selectorELNS0_4arch9wavefront6targetE0EEEvT1_, .Lfunc_end370-_ZN7rocprim17ROCPRIM_400000_NS6detail17trampoline_kernelINS0_14default_configENS1_25partition_config_selectorILNS1_17partition_subalgoE9EllbEEZZNS1_14partition_implILS5_9ELb0ES3_jPlS8_PNS0_10empty_typeENS0_5tupleIJS8_S9_EEENSB_IJS8_SA_EEENS0_18inequality_wrapperIZN2at6native12_GLOBAL__N_124unique_dim_cuda_templateIaEESt5tupleIJNSF_6TensorESK_SK_EERKSK_lbbbEUlllE0_EEPmJS9_EEE10hipError_tPvRmT3_T4_T5_T6_T7_T9_mT8_P12ihipStream_tbDpT10_ENKUlT_T0_E_clISt17integral_constantIbLb1EES19_IbLb0EEEEDaS15_S16_EUlS15_E_NS1_11comp_targetILNS1_3genE3ELNS1_11target_archE908ELNS1_3gpuE7ELNS1_3repE0EEENS1_30default_config_static_selectorELNS0_4arch9wavefront6targetE0EEEvT1_
                                        ; -- End function
	.section	.AMDGPU.csdata,"",@progbits
; Kernel info:
; codeLenInByte = 0
; NumSgprs: 0
; NumVgprs: 0
; ScratchSize: 0
; MemoryBound: 0
; FloatMode: 240
; IeeeMode: 1
; LDSByteSize: 0 bytes/workgroup (compile time only)
; SGPRBlocks: 0
; VGPRBlocks: 0
; NumSGPRsForWavesPerEU: 1
; NumVGPRsForWavesPerEU: 1
; Occupancy: 16
; WaveLimiterHint : 0
; COMPUTE_PGM_RSRC2:SCRATCH_EN: 0
; COMPUTE_PGM_RSRC2:USER_SGPR: 15
; COMPUTE_PGM_RSRC2:TRAP_HANDLER: 0
; COMPUTE_PGM_RSRC2:TGID_X_EN: 1
; COMPUTE_PGM_RSRC2:TGID_Y_EN: 0
; COMPUTE_PGM_RSRC2:TGID_Z_EN: 0
; COMPUTE_PGM_RSRC2:TIDIG_COMP_CNT: 0
	.section	.text._ZN7rocprim17ROCPRIM_400000_NS6detail17trampoline_kernelINS0_14default_configENS1_25partition_config_selectorILNS1_17partition_subalgoE9EllbEEZZNS1_14partition_implILS5_9ELb0ES3_jPlS8_PNS0_10empty_typeENS0_5tupleIJS8_S9_EEENSB_IJS8_SA_EEENS0_18inequality_wrapperIZN2at6native12_GLOBAL__N_124unique_dim_cuda_templateIaEESt5tupleIJNSF_6TensorESK_SK_EERKSK_lbbbEUlllE0_EEPmJS9_EEE10hipError_tPvRmT3_T4_T5_T6_T7_T9_mT8_P12ihipStream_tbDpT10_ENKUlT_T0_E_clISt17integral_constantIbLb1EES19_IbLb0EEEEDaS15_S16_EUlS15_E_NS1_11comp_targetILNS1_3genE2ELNS1_11target_archE906ELNS1_3gpuE6ELNS1_3repE0EEENS1_30default_config_static_selectorELNS0_4arch9wavefront6targetE0EEEvT1_,"axG",@progbits,_ZN7rocprim17ROCPRIM_400000_NS6detail17trampoline_kernelINS0_14default_configENS1_25partition_config_selectorILNS1_17partition_subalgoE9EllbEEZZNS1_14partition_implILS5_9ELb0ES3_jPlS8_PNS0_10empty_typeENS0_5tupleIJS8_S9_EEENSB_IJS8_SA_EEENS0_18inequality_wrapperIZN2at6native12_GLOBAL__N_124unique_dim_cuda_templateIaEESt5tupleIJNSF_6TensorESK_SK_EERKSK_lbbbEUlllE0_EEPmJS9_EEE10hipError_tPvRmT3_T4_T5_T6_T7_T9_mT8_P12ihipStream_tbDpT10_ENKUlT_T0_E_clISt17integral_constantIbLb1EES19_IbLb0EEEEDaS15_S16_EUlS15_E_NS1_11comp_targetILNS1_3genE2ELNS1_11target_archE906ELNS1_3gpuE6ELNS1_3repE0EEENS1_30default_config_static_selectorELNS0_4arch9wavefront6targetE0EEEvT1_,comdat
	.globl	_ZN7rocprim17ROCPRIM_400000_NS6detail17trampoline_kernelINS0_14default_configENS1_25partition_config_selectorILNS1_17partition_subalgoE9EllbEEZZNS1_14partition_implILS5_9ELb0ES3_jPlS8_PNS0_10empty_typeENS0_5tupleIJS8_S9_EEENSB_IJS8_SA_EEENS0_18inequality_wrapperIZN2at6native12_GLOBAL__N_124unique_dim_cuda_templateIaEESt5tupleIJNSF_6TensorESK_SK_EERKSK_lbbbEUlllE0_EEPmJS9_EEE10hipError_tPvRmT3_T4_T5_T6_T7_T9_mT8_P12ihipStream_tbDpT10_ENKUlT_T0_E_clISt17integral_constantIbLb1EES19_IbLb0EEEEDaS15_S16_EUlS15_E_NS1_11comp_targetILNS1_3genE2ELNS1_11target_archE906ELNS1_3gpuE6ELNS1_3repE0EEENS1_30default_config_static_selectorELNS0_4arch9wavefront6targetE0EEEvT1_ ; -- Begin function _ZN7rocprim17ROCPRIM_400000_NS6detail17trampoline_kernelINS0_14default_configENS1_25partition_config_selectorILNS1_17partition_subalgoE9EllbEEZZNS1_14partition_implILS5_9ELb0ES3_jPlS8_PNS0_10empty_typeENS0_5tupleIJS8_S9_EEENSB_IJS8_SA_EEENS0_18inequality_wrapperIZN2at6native12_GLOBAL__N_124unique_dim_cuda_templateIaEESt5tupleIJNSF_6TensorESK_SK_EERKSK_lbbbEUlllE0_EEPmJS9_EEE10hipError_tPvRmT3_T4_T5_T6_T7_T9_mT8_P12ihipStream_tbDpT10_ENKUlT_T0_E_clISt17integral_constantIbLb1EES19_IbLb0EEEEDaS15_S16_EUlS15_E_NS1_11comp_targetILNS1_3genE2ELNS1_11target_archE906ELNS1_3gpuE6ELNS1_3repE0EEENS1_30default_config_static_selectorELNS0_4arch9wavefront6targetE0EEEvT1_
	.p2align	8
	.type	_ZN7rocprim17ROCPRIM_400000_NS6detail17trampoline_kernelINS0_14default_configENS1_25partition_config_selectorILNS1_17partition_subalgoE9EllbEEZZNS1_14partition_implILS5_9ELb0ES3_jPlS8_PNS0_10empty_typeENS0_5tupleIJS8_S9_EEENSB_IJS8_SA_EEENS0_18inequality_wrapperIZN2at6native12_GLOBAL__N_124unique_dim_cuda_templateIaEESt5tupleIJNSF_6TensorESK_SK_EERKSK_lbbbEUlllE0_EEPmJS9_EEE10hipError_tPvRmT3_T4_T5_T6_T7_T9_mT8_P12ihipStream_tbDpT10_ENKUlT_T0_E_clISt17integral_constantIbLb1EES19_IbLb0EEEEDaS15_S16_EUlS15_E_NS1_11comp_targetILNS1_3genE2ELNS1_11target_archE906ELNS1_3gpuE6ELNS1_3repE0EEENS1_30default_config_static_selectorELNS0_4arch9wavefront6targetE0EEEvT1_,@function
_ZN7rocprim17ROCPRIM_400000_NS6detail17trampoline_kernelINS0_14default_configENS1_25partition_config_selectorILNS1_17partition_subalgoE9EllbEEZZNS1_14partition_implILS5_9ELb0ES3_jPlS8_PNS0_10empty_typeENS0_5tupleIJS8_S9_EEENSB_IJS8_SA_EEENS0_18inequality_wrapperIZN2at6native12_GLOBAL__N_124unique_dim_cuda_templateIaEESt5tupleIJNSF_6TensorESK_SK_EERKSK_lbbbEUlllE0_EEPmJS9_EEE10hipError_tPvRmT3_T4_T5_T6_T7_T9_mT8_P12ihipStream_tbDpT10_ENKUlT_T0_E_clISt17integral_constantIbLb1EES19_IbLb0EEEEDaS15_S16_EUlS15_E_NS1_11comp_targetILNS1_3genE2ELNS1_11target_archE906ELNS1_3gpuE6ELNS1_3repE0EEENS1_30default_config_static_selectorELNS0_4arch9wavefront6targetE0EEEvT1_: ; @_ZN7rocprim17ROCPRIM_400000_NS6detail17trampoline_kernelINS0_14default_configENS1_25partition_config_selectorILNS1_17partition_subalgoE9EllbEEZZNS1_14partition_implILS5_9ELb0ES3_jPlS8_PNS0_10empty_typeENS0_5tupleIJS8_S9_EEENSB_IJS8_SA_EEENS0_18inequality_wrapperIZN2at6native12_GLOBAL__N_124unique_dim_cuda_templateIaEESt5tupleIJNSF_6TensorESK_SK_EERKSK_lbbbEUlllE0_EEPmJS9_EEE10hipError_tPvRmT3_T4_T5_T6_T7_T9_mT8_P12ihipStream_tbDpT10_ENKUlT_T0_E_clISt17integral_constantIbLb1EES19_IbLb0EEEEDaS15_S16_EUlS15_E_NS1_11comp_targetILNS1_3genE2ELNS1_11target_archE906ELNS1_3gpuE6ELNS1_3repE0EEENS1_30default_config_static_selectorELNS0_4arch9wavefront6targetE0EEEvT1_
; %bb.0:
	.section	.rodata,"a",@progbits
	.p2align	6, 0x0
	.amdhsa_kernel _ZN7rocprim17ROCPRIM_400000_NS6detail17trampoline_kernelINS0_14default_configENS1_25partition_config_selectorILNS1_17partition_subalgoE9EllbEEZZNS1_14partition_implILS5_9ELb0ES3_jPlS8_PNS0_10empty_typeENS0_5tupleIJS8_S9_EEENSB_IJS8_SA_EEENS0_18inequality_wrapperIZN2at6native12_GLOBAL__N_124unique_dim_cuda_templateIaEESt5tupleIJNSF_6TensorESK_SK_EERKSK_lbbbEUlllE0_EEPmJS9_EEE10hipError_tPvRmT3_T4_T5_T6_T7_T9_mT8_P12ihipStream_tbDpT10_ENKUlT_T0_E_clISt17integral_constantIbLb1EES19_IbLb0EEEEDaS15_S16_EUlS15_E_NS1_11comp_targetILNS1_3genE2ELNS1_11target_archE906ELNS1_3gpuE6ELNS1_3repE0EEENS1_30default_config_static_selectorELNS0_4arch9wavefront6targetE0EEEvT1_
		.amdhsa_group_segment_fixed_size 0
		.amdhsa_private_segment_fixed_size 0
		.amdhsa_kernarg_size 120
		.amdhsa_user_sgpr_count 15
		.amdhsa_user_sgpr_dispatch_ptr 0
		.amdhsa_user_sgpr_queue_ptr 0
		.amdhsa_user_sgpr_kernarg_segment_ptr 1
		.amdhsa_user_sgpr_dispatch_id 0
		.amdhsa_user_sgpr_private_segment_size 0
		.amdhsa_wavefront_size32 1
		.amdhsa_uses_dynamic_stack 0
		.amdhsa_enable_private_segment 0
		.amdhsa_system_sgpr_workgroup_id_x 1
		.amdhsa_system_sgpr_workgroup_id_y 0
		.amdhsa_system_sgpr_workgroup_id_z 0
		.amdhsa_system_sgpr_workgroup_info 0
		.amdhsa_system_vgpr_workitem_id 0
		.amdhsa_next_free_vgpr 1
		.amdhsa_next_free_sgpr 1
		.amdhsa_reserve_vcc 0
		.amdhsa_float_round_mode_32 0
		.amdhsa_float_round_mode_16_64 0
		.amdhsa_float_denorm_mode_32 3
		.amdhsa_float_denorm_mode_16_64 3
		.amdhsa_dx10_clamp 1
		.amdhsa_ieee_mode 1
		.amdhsa_fp16_overflow 0
		.amdhsa_workgroup_processor_mode 1
		.amdhsa_memory_ordered 1
		.amdhsa_forward_progress 0
		.amdhsa_shared_vgpr_count 0
		.amdhsa_exception_fp_ieee_invalid_op 0
		.amdhsa_exception_fp_denorm_src 0
		.amdhsa_exception_fp_ieee_div_zero 0
		.amdhsa_exception_fp_ieee_overflow 0
		.amdhsa_exception_fp_ieee_underflow 0
		.amdhsa_exception_fp_ieee_inexact 0
		.amdhsa_exception_int_div_zero 0
	.end_amdhsa_kernel
	.section	.text._ZN7rocprim17ROCPRIM_400000_NS6detail17trampoline_kernelINS0_14default_configENS1_25partition_config_selectorILNS1_17partition_subalgoE9EllbEEZZNS1_14partition_implILS5_9ELb0ES3_jPlS8_PNS0_10empty_typeENS0_5tupleIJS8_S9_EEENSB_IJS8_SA_EEENS0_18inequality_wrapperIZN2at6native12_GLOBAL__N_124unique_dim_cuda_templateIaEESt5tupleIJNSF_6TensorESK_SK_EERKSK_lbbbEUlllE0_EEPmJS9_EEE10hipError_tPvRmT3_T4_T5_T6_T7_T9_mT8_P12ihipStream_tbDpT10_ENKUlT_T0_E_clISt17integral_constantIbLb1EES19_IbLb0EEEEDaS15_S16_EUlS15_E_NS1_11comp_targetILNS1_3genE2ELNS1_11target_archE906ELNS1_3gpuE6ELNS1_3repE0EEENS1_30default_config_static_selectorELNS0_4arch9wavefront6targetE0EEEvT1_,"axG",@progbits,_ZN7rocprim17ROCPRIM_400000_NS6detail17trampoline_kernelINS0_14default_configENS1_25partition_config_selectorILNS1_17partition_subalgoE9EllbEEZZNS1_14partition_implILS5_9ELb0ES3_jPlS8_PNS0_10empty_typeENS0_5tupleIJS8_S9_EEENSB_IJS8_SA_EEENS0_18inequality_wrapperIZN2at6native12_GLOBAL__N_124unique_dim_cuda_templateIaEESt5tupleIJNSF_6TensorESK_SK_EERKSK_lbbbEUlllE0_EEPmJS9_EEE10hipError_tPvRmT3_T4_T5_T6_T7_T9_mT8_P12ihipStream_tbDpT10_ENKUlT_T0_E_clISt17integral_constantIbLb1EES19_IbLb0EEEEDaS15_S16_EUlS15_E_NS1_11comp_targetILNS1_3genE2ELNS1_11target_archE906ELNS1_3gpuE6ELNS1_3repE0EEENS1_30default_config_static_selectorELNS0_4arch9wavefront6targetE0EEEvT1_,comdat
.Lfunc_end371:
	.size	_ZN7rocprim17ROCPRIM_400000_NS6detail17trampoline_kernelINS0_14default_configENS1_25partition_config_selectorILNS1_17partition_subalgoE9EllbEEZZNS1_14partition_implILS5_9ELb0ES3_jPlS8_PNS0_10empty_typeENS0_5tupleIJS8_S9_EEENSB_IJS8_SA_EEENS0_18inequality_wrapperIZN2at6native12_GLOBAL__N_124unique_dim_cuda_templateIaEESt5tupleIJNSF_6TensorESK_SK_EERKSK_lbbbEUlllE0_EEPmJS9_EEE10hipError_tPvRmT3_T4_T5_T6_T7_T9_mT8_P12ihipStream_tbDpT10_ENKUlT_T0_E_clISt17integral_constantIbLb1EES19_IbLb0EEEEDaS15_S16_EUlS15_E_NS1_11comp_targetILNS1_3genE2ELNS1_11target_archE906ELNS1_3gpuE6ELNS1_3repE0EEENS1_30default_config_static_selectorELNS0_4arch9wavefront6targetE0EEEvT1_, .Lfunc_end371-_ZN7rocprim17ROCPRIM_400000_NS6detail17trampoline_kernelINS0_14default_configENS1_25partition_config_selectorILNS1_17partition_subalgoE9EllbEEZZNS1_14partition_implILS5_9ELb0ES3_jPlS8_PNS0_10empty_typeENS0_5tupleIJS8_S9_EEENSB_IJS8_SA_EEENS0_18inequality_wrapperIZN2at6native12_GLOBAL__N_124unique_dim_cuda_templateIaEESt5tupleIJNSF_6TensorESK_SK_EERKSK_lbbbEUlllE0_EEPmJS9_EEE10hipError_tPvRmT3_T4_T5_T6_T7_T9_mT8_P12ihipStream_tbDpT10_ENKUlT_T0_E_clISt17integral_constantIbLb1EES19_IbLb0EEEEDaS15_S16_EUlS15_E_NS1_11comp_targetILNS1_3genE2ELNS1_11target_archE906ELNS1_3gpuE6ELNS1_3repE0EEENS1_30default_config_static_selectorELNS0_4arch9wavefront6targetE0EEEvT1_
                                        ; -- End function
	.section	.AMDGPU.csdata,"",@progbits
; Kernel info:
; codeLenInByte = 0
; NumSgprs: 0
; NumVgprs: 0
; ScratchSize: 0
; MemoryBound: 0
; FloatMode: 240
; IeeeMode: 1
; LDSByteSize: 0 bytes/workgroup (compile time only)
; SGPRBlocks: 0
; VGPRBlocks: 0
; NumSGPRsForWavesPerEU: 1
; NumVGPRsForWavesPerEU: 1
; Occupancy: 15
; WaveLimiterHint : 0
; COMPUTE_PGM_RSRC2:SCRATCH_EN: 0
; COMPUTE_PGM_RSRC2:USER_SGPR: 15
; COMPUTE_PGM_RSRC2:TRAP_HANDLER: 0
; COMPUTE_PGM_RSRC2:TGID_X_EN: 1
; COMPUTE_PGM_RSRC2:TGID_Y_EN: 0
; COMPUTE_PGM_RSRC2:TGID_Z_EN: 0
; COMPUTE_PGM_RSRC2:TIDIG_COMP_CNT: 0
	.section	.text._ZN7rocprim17ROCPRIM_400000_NS6detail17trampoline_kernelINS0_14default_configENS1_25partition_config_selectorILNS1_17partition_subalgoE9EllbEEZZNS1_14partition_implILS5_9ELb0ES3_jPlS8_PNS0_10empty_typeENS0_5tupleIJS8_S9_EEENSB_IJS8_SA_EEENS0_18inequality_wrapperIZN2at6native12_GLOBAL__N_124unique_dim_cuda_templateIaEESt5tupleIJNSF_6TensorESK_SK_EERKSK_lbbbEUlllE0_EEPmJS9_EEE10hipError_tPvRmT3_T4_T5_T6_T7_T9_mT8_P12ihipStream_tbDpT10_ENKUlT_T0_E_clISt17integral_constantIbLb1EES19_IbLb0EEEEDaS15_S16_EUlS15_E_NS1_11comp_targetILNS1_3genE10ELNS1_11target_archE1200ELNS1_3gpuE4ELNS1_3repE0EEENS1_30default_config_static_selectorELNS0_4arch9wavefront6targetE0EEEvT1_,"axG",@progbits,_ZN7rocprim17ROCPRIM_400000_NS6detail17trampoline_kernelINS0_14default_configENS1_25partition_config_selectorILNS1_17partition_subalgoE9EllbEEZZNS1_14partition_implILS5_9ELb0ES3_jPlS8_PNS0_10empty_typeENS0_5tupleIJS8_S9_EEENSB_IJS8_SA_EEENS0_18inequality_wrapperIZN2at6native12_GLOBAL__N_124unique_dim_cuda_templateIaEESt5tupleIJNSF_6TensorESK_SK_EERKSK_lbbbEUlllE0_EEPmJS9_EEE10hipError_tPvRmT3_T4_T5_T6_T7_T9_mT8_P12ihipStream_tbDpT10_ENKUlT_T0_E_clISt17integral_constantIbLb1EES19_IbLb0EEEEDaS15_S16_EUlS15_E_NS1_11comp_targetILNS1_3genE10ELNS1_11target_archE1200ELNS1_3gpuE4ELNS1_3repE0EEENS1_30default_config_static_selectorELNS0_4arch9wavefront6targetE0EEEvT1_,comdat
	.globl	_ZN7rocprim17ROCPRIM_400000_NS6detail17trampoline_kernelINS0_14default_configENS1_25partition_config_selectorILNS1_17partition_subalgoE9EllbEEZZNS1_14partition_implILS5_9ELb0ES3_jPlS8_PNS0_10empty_typeENS0_5tupleIJS8_S9_EEENSB_IJS8_SA_EEENS0_18inequality_wrapperIZN2at6native12_GLOBAL__N_124unique_dim_cuda_templateIaEESt5tupleIJNSF_6TensorESK_SK_EERKSK_lbbbEUlllE0_EEPmJS9_EEE10hipError_tPvRmT3_T4_T5_T6_T7_T9_mT8_P12ihipStream_tbDpT10_ENKUlT_T0_E_clISt17integral_constantIbLb1EES19_IbLb0EEEEDaS15_S16_EUlS15_E_NS1_11comp_targetILNS1_3genE10ELNS1_11target_archE1200ELNS1_3gpuE4ELNS1_3repE0EEENS1_30default_config_static_selectorELNS0_4arch9wavefront6targetE0EEEvT1_ ; -- Begin function _ZN7rocprim17ROCPRIM_400000_NS6detail17trampoline_kernelINS0_14default_configENS1_25partition_config_selectorILNS1_17partition_subalgoE9EllbEEZZNS1_14partition_implILS5_9ELb0ES3_jPlS8_PNS0_10empty_typeENS0_5tupleIJS8_S9_EEENSB_IJS8_SA_EEENS0_18inequality_wrapperIZN2at6native12_GLOBAL__N_124unique_dim_cuda_templateIaEESt5tupleIJNSF_6TensorESK_SK_EERKSK_lbbbEUlllE0_EEPmJS9_EEE10hipError_tPvRmT3_T4_T5_T6_T7_T9_mT8_P12ihipStream_tbDpT10_ENKUlT_T0_E_clISt17integral_constantIbLb1EES19_IbLb0EEEEDaS15_S16_EUlS15_E_NS1_11comp_targetILNS1_3genE10ELNS1_11target_archE1200ELNS1_3gpuE4ELNS1_3repE0EEENS1_30default_config_static_selectorELNS0_4arch9wavefront6targetE0EEEvT1_
	.p2align	8
	.type	_ZN7rocprim17ROCPRIM_400000_NS6detail17trampoline_kernelINS0_14default_configENS1_25partition_config_selectorILNS1_17partition_subalgoE9EllbEEZZNS1_14partition_implILS5_9ELb0ES3_jPlS8_PNS0_10empty_typeENS0_5tupleIJS8_S9_EEENSB_IJS8_SA_EEENS0_18inequality_wrapperIZN2at6native12_GLOBAL__N_124unique_dim_cuda_templateIaEESt5tupleIJNSF_6TensorESK_SK_EERKSK_lbbbEUlllE0_EEPmJS9_EEE10hipError_tPvRmT3_T4_T5_T6_T7_T9_mT8_P12ihipStream_tbDpT10_ENKUlT_T0_E_clISt17integral_constantIbLb1EES19_IbLb0EEEEDaS15_S16_EUlS15_E_NS1_11comp_targetILNS1_3genE10ELNS1_11target_archE1200ELNS1_3gpuE4ELNS1_3repE0EEENS1_30default_config_static_selectorELNS0_4arch9wavefront6targetE0EEEvT1_,@function
_ZN7rocprim17ROCPRIM_400000_NS6detail17trampoline_kernelINS0_14default_configENS1_25partition_config_selectorILNS1_17partition_subalgoE9EllbEEZZNS1_14partition_implILS5_9ELb0ES3_jPlS8_PNS0_10empty_typeENS0_5tupleIJS8_S9_EEENSB_IJS8_SA_EEENS0_18inequality_wrapperIZN2at6native12_GLOBAL__N_124unique_dim_cuda_templateIaEESt5tupleIJNSF_6TensorESK_SK_EERKSK_lbbbEUlllE0_EEPmJS9_EEE10hipError_tPvRmT3_T4_T5_T6_T7_T9_mT8_P12ihipStream_tbDpT10_ENKUlT_T0_E_clISt17integral_constantIbLb1EES19_IbLb0EEEEDaS15_S16_EUlS15_E_NS1_11comp_targetILNS1_3genE10ELNS1_11target_archE1200ELNS1_3gpuE4ELNS1_3repE0EEENS1_30default_config_static_selectorELNS0_4arch9wavefront6targetE0EEEvT1_: ; @_ZN7rocprim17ROCPRIM_400000_NS6detail17trampoline_kernelINS0_14default_configENS1_25partition_config_selectorILNS1_17partition_subalgoE9EllbEEZZNS1_14partition_implILS5_9ELb0ES3_jPlS8_PNS0_10empty_typeENS0_5tupleIJS8_S9_EEENSB_IJS8_SA_EEENS0_18inequality_wrapperIZN2at6native12_GLOBAL__N_124unique_dim_cuda_templateIaEESt5tupleIJNSF_6TensorESK_SK_EERKSK_lbbbEUlllE0_EEPmJS9_EEE10hipError_tPvRmT3_T4_T5_T6_T7_T9_mT8_P12ihipStream_tbDpT10_ENKUlT_T0_E_clISt17integral_constantIbLb1EES19_IbLb0EEEEDaS15_S16_EUlS15_E_NS1_11comp_targetILNS1_3genE10ELNS1_11target_archE1200ELNS1_3gpuE4ELNS1_3repE0EEENS1_30default_config_static_selectorELNS0_4arch9wavefront6targetE0EEEvT1_
; %bb.0:
	.section	.rodata,"a",@progbits
	.p2align	6, 0x0
	.amdhsa_kernel _ZN7rocprim17ROCPRIM_400000_NS6detail17trampoline_kernelINS0_14default_configENS1_25partition_config_selectorILNS1_17partition_subalgoE9EllbEEZZNS1_14partition_implILS5_9ELb0ES3_jPlS8_PNS0_10empty_typeENS0_5tupleIJS8_S9_EEENSB_IJS8_SA_EEENS0_18inequality_wrapperIZN2at6native12_GLOBAL__N_124unique_dim_cuda_templateIaEESt5tupleIJNSF_6TensorESK_SK_EERKSK_lbbbEUlllE0_EEPmJS9_EEE10hipError_tPvRmT3_T4_T5_T6_T7_T9_mT8_P12ihipStream_tbDpT10_ENKUlT_T0_E_clISt17integral_constantIbLb1EES19_IbLb0EEEEDaS15_S16_EUlS15_E_NS1_11comp_targetILNS1_3genE10ELNS1_11target_archE1200ELNS1_3gpuE4ELNS1_3repE0EEENS1_30default_config_static_selectorELNS0_4arch9wavefront6targetE0EEEvT1_
		.amdhsa_group_segment_fixed_size 0
		.amdhsa_private_segment_fixed_size 0
		.amdhsa_kernarg_size 120
		.amdhsa_user_sgpr_count 15
		.amdhsa_user_sgpr_dispatch_ptr 0
		.amdhsa_user_sgpr_queue_ptr 0
		.amdhsa_user_sgpr_kernarg_segment_ptr 1
		.amdhsa_user_sgpr_dispatch_id 0
		.amdhsa_user_sgpr_private_segment_size 0
		.amdhsa_wavefront_size32 1
		.amdhsa_uses_dynamic_stack 0
		.amdhsa_enable_private_segment 0
		.amdhsa_system_sgpr_workgroup_id_x 1
		.amdhsa_system_sgpr_workgroup_id_y 0
		.amdhsa_system_sgpr_workgroup_id_z 0
		.amdhsa_system_sgpr_workgroup_info 0
		.amdhsa_system_vgpr_workitem_id 0
		.amdhsa_next_free_vgpr 1
		.amdhsa_next_free_sgpr 1
		.amdhsa_reserve_vcc 0
		.amdhsa_float_round_mode_32 0
		.amdhsa_float_round_mode_16_64 0
		.amdhsa_float_denorm_mode_32 3
		.amdhsa_float_denorm_mode_16_64 3
		.amdhsa_dx10_clamp 1
		.amdhsa_ieee_mode 1
		.amdhsa_fp16_overflow 0
		.amdhsa_workgroup_processor_mode 1
		.amdhsa_memory_ordered 1
		.amdhsa_forward_progress 0
		.amdhsa_shared_vgpr_count 0
		.amdhsa_exception_fp_ieee_invalid_op 0
		.amdhsa_exception_fp_denorm_src 0
		.amdhsa_exception_fp_ieee_div_zero 0
		.amdhsa_exception_fp_ieee_overflow 0
		.amdhsa_exception_fp_ieee_underflow 0
		.amdhsa_exception_fp_ieee_inexact 0
		.amdhsa_exception_int_div_zero 0
	.end_amdhsa_kernel
	.section	.text._ZN7rocprim17ROCPRIM_400000_NS6detail17trampoline_kernelINS0_14default_configENS1_25partition_config_selectorILNS1_17partition_subalgoE9EllbEEZZNS1_14partition_implILS5_9ELb0ES3_jPlS8_PNS0_10empty_typeENS0_5tupleIJS8_S9_EEENSB_IJS8_SA_EEENS0_18inequality_wrapperIZN2at6native12_GLOBAL__N_124unique_dim_cuda_templateIaEESt5tupleIJNSF_6TensorESK_SK_EERKSK_lbbbEUlllE0_EEPmJS9_EEE10hipError_tPvRmT3_T4_T5_T6_T7_T9_mT8_P12ihipStream_tbDpT10_ENKUlT_T0_E_clISt17integral_constantIbLb1EES19_IbLb0EEEEDaS15_S16_EUlS15_E_NS1_11comp_targetILNS1_3genE10ELNS1_11target_archE1200ELNS1_3gpuE4ELNS1_3repE0EEENS1_30default_config_static_selectorELNS0_4arch9wavefront6targetE0EEEvT1_,"axG",@progbits,_ZN7rocprim17ROCPRIM_400000_NS6detail17trampoline_kernelINS0_14default_configENS1_25partition_config_selectorILNS1_17partition_subalgoE9EllbEEZZNS1_14partition_implILS5_9ELb0ES3_jPlS8_PNS0_10empty_typeENS0_5tupleIJS8_S9_EEENSB_IJS8_SA_EEENS0_18inequality_wrapperIZN2at6native12_GLOBAL__N_124unique_dim_cuda_templateIaEESt5tupleIJNSF_6TensorESK_SK_EERKSK_lbbbEUlllE0_EEPmJS9_EEE10hipError_tPvRmT3_T4_T5_T6_T7_T9_mT8_P12ihipStream_tbDpT10_ENKUlT_T0_E_clISt17integral_constantIbLb1EES19_IbLb0EEEEDaS15_S16_EUlS15_E_NS1_11comp_targetILNS1_3genE10ELNS1_11target_archE1200ELNS1_3gpuE4ELNS1_3repE0EEENS1_30default_config_static_selectorELNS0_4arch9wavefront6targetE0EEEvT1_,comdat
.Lfunc_end372:
	.size	_ZN7rocprim17ROCPRIM_400000_NS6detail17trampoline_kernelINS0_14default_configENS1_25partition_config_selectorILNS1_17partition_subalgoE9EllbEEZZNS1_14partition_implILS5_9ELb0ES3_jPlS8_PNS0_10empty_typeENS0_5tupleIJS8_S9_EEENSB_IJS8_SA_EEENS0_18inequality_wrapperIZN2at6native12_GLOBAL__N_124unique_dim_cuda_templateIaEESt5tupleIJNSF_6TensorESK_SK_EERKSK_lbbbEUlllE0_EEPmJS9_EEE10hipError_tPvRmT3_T4_T5_T6_T7_T9_mT8_P12ihipStream_tbDpT10_ENKUlT_T0_E_clISt17integral_constantIbLb1EES19_IbLb0EEEEDaS15_S16_EUlS15_E_NS1_11comp_targetILNS1_3genE10ELNS1_11target_archE1200ELNS1_3gpuE4ELNS1_3repE0EEENS1_30default_config_static_selectorELNS0_4arch9wavefront6targetE0EEEvT1_, .Lfunc_end372-_ZN7rocprim17ROCPRIM_400000_NS6detail17trampoline_kernelINS0_14default_configENS1_25partition_config_selectorILNS1_17partition_subalgoE9EllbEEZZNS1_14partition_implILS5_9ELb0ES3_jPlS8_PNS0_10empty_typeENS0_5tupleIJS8_S9_EEENSB_IJS8_SA_EEENS0_18inequality_wrapperIZN2at6native12_GLOBAL__N_124unique_dim_cuda_templateIaEESt5tupleIJNSF_6TensorESK_SK_EERKSK_lbbbEUlllE0_EEPmJS9_EEE10hipError_tPvRmT3_T4_T5_T6_T7_T9_mT8_P12ihipStream_tbDpT10_ENKUlT_T0_E_clISt17integral_constantIbLb1EES19_IbLb0EEEEDaS15_S16_EUlS15_E_NS1_11comp_targetILNS1_3genE10ELNS1_11target_archE1200ELNS1_3gpuE4ELNS1_3repE0EEENS1_30default_config_static_selectorELNS0_4arch9wavefront6targetE0EEEvT1_
                                        ; -- End function
	.section	.AMDGPU.csdata,"",@progbits
; Kernel info:
; codeLenInByte = 0
; NumSgprs: 0
; NumVgprs: 0
; ScratchSize: 0
; MemoryBound: 0
; FloatMode: 240
; IeeeMode: 1
; LDSByteSize: 0 bytes/workgroup (compile time only)
; SGPRBlocks: 0
; VGPRBlocks: 0
; NumSGPRsForWavesPerEU: 1
; NumVGPRsForWavesPerEU: 1
; Occupancy: 15
; WaveLimiterHint : 0
; COMPUTE_PGM_RSRC2:SCRATCH_EN: 0
; COMPUTE_PGM_RSRC2:USER_SGPR: 15
; COMPUTE_PGM_RSRC2:TRAP_HANDLER: 0
; COMPUTE_PGM_RSRC2:TGID_X_EN: 1
; COMPUTE_PGM_RSRC2:TGID_Y_EN: 0
; COMPUTE_PGM_RSRC2:TGID_Z_EN: 0
; COMPUTE_PGM_RSRC2:TIDIG_COMP_CNT: 0
	.section	.text._ZN7rocprim17ROCPRIM_400000_NS6detail17trampoline_kernelINS0_14default_configENS1_25partition_config_selectorILNS1_17partition_subalgoE9EllbEEZZNS1_14partition_implILS5_9ELb0ES3_jPlS8_PNS0_10empty_typeENS0_5tupleIJS8_S9_EEENSB_IJS8_SA_EEENS0_18inequality_wrapperIZN2at6native12_GLOBAL__N_124unique_dim_cuda_templateIaEESt5tupleIJNSF_6TensorESK_SK_EERKSK_lbbbEUlllE0_EEPmJS9_EEE10hipError_tPvRmT3_T4_T5_T6_T7_T9_mT8_P12ihipStream_tbDpT10_ENKUlT_T0_E_clISt17integral_constantIbLb1EES19_IbLb0EEEEDaS15_S16_EUlS15_E_NS1_11comp_targetILNS1_3genE9ELNS1_11target_archE1100ELNS1_3gpuE3ELNS1_3repE0EEENS1_30default_config_static_selectorELNS0_4arch9wavefront6targetE0EEEvT1_,"axG",@progbits,_ZN7rocprim17ROCPRIM_400000_NS6detail17trampoline_kernelINS0_14default_configENS1_25partition_config_selectorILNS1_17partition_subalgoE9EllbEEZZNS1_14partition_implILS5_9ELb0ES3_jPlS8_PNS0_10empty_typeENS0_5tupleIJS8_S9_EEENSB_IJS8_SA_EEENS0_18inequality_wrapperIZN2at6native12_GLOBAL__N_124unique_dim_cuda_templateIaEESt5tupleIJNSF_6TensorESK_SK_EERKSK_lbbbEUlllE0_EEPmJS9_EEE10hipError_tPvRmT3_T4_T5_T6_T7_T9_mT8_P12ihipStream_tbDpT10_ENKUlT_T0_E_clISt17integral_constantIbLb1EES19_IbLb0EEEEDaS15_S16_EUlS15_E_NS1_11comp_targetILNS1_3genE9ELNS1_11target_archE1100ELNS1_3gpuE3ELNS1_3repE0EEENS1_30default_config_static_selectorELNS0_4arch9wavefront6targetE0EEEvT1_,comdat
	.globl	_ZN7rocprim17ROCPRIM_400000_NS6detail17trampoline_kernelINS0_14default_configENS1_25partition_config_selectorILNS1_17partition_subalgoE9EllbEEZZNS1_14partition_implILS5_9ELb0ES3_jPlS8_PNS0_10empty_typeENS0_5tupleIJS8_S9_EEENSB_IJS8_SA_EEENS0_18inequality_wrapperIZN2at6native12_GLOBAL__N_124unique_dim_cuda_templateIaEESt5tupleIJNSF_6TensorESK_SK_EERKSK_lbbbEUlllE0_EEPmJS9_EEE10hipError_tPvRmT3_T4_T5_T6_T7_T9_mT8_P12ihipStream_tbDpT10_ENKUlT_T0_E_clISt17integral_constantIbLb1EES19_IbLb0EEEEDaS15_S16_EUlS15_E_NS1_11comp_targetILNS1_3genE9ELNS1_11target_archE1100ELNS1_3gpuE3ELNS1_3repE0EEENS1_30default_config_static_selectorELNS0_4arch9wavefront6targetE0EEEvT1_ ; -- Begin function _ZN7rocprim17ROCPRIM_400000_NS6detail17trampoline_kernelINS0_14default_configENS1_25partition_config_selectorILNS1_17partition_subalgoE9EllbEEZZNS1_14partition_implILS5_9ELb0ES3_jPlS8_PNS0_10empty_typeENS0_5tupleIJS8_S9_EEENSB_IJS8_SA_EEENS0_18inequality_wrapperIZN2at6native12_GLOBAL__N_124unique_dim_cuda_templateIaEESt5tupleIJNSF_6TensorESK_SK_EERKSK_lbbbEUlllE0_EEPmJS9_EEE10hipError_tPvRmT3_T4_T5_T6_T7_T9_mT8_P12ihipStream_tbDpT10_ENKUlT_T0_E_clISt17integral_constantIbLb1EES19_IbLb0EEEEDaS15_S16_EUlS15_E_NS1_11comp_targetILNS1_3genE9ELNS1_11target_archE1100ELNS1_3gpuE3ELNS1_3repE0EEENS1_30default_config_static_selectorELNS0_4arch9wavefront6targetE0EEEvT1_
	.p2align	8
	.type	_ZN7rocprim17ROCPRIM_400000_NS6detail17trampoline_kernelINS0_14default_configENS1_25partition_config_selectorILNS1_17partition_subalgoE9EllbEEZZNS1_14partition_implILS5_9ELb0ES3_jPlS8_PNS0_10empty_typeENS0_5tupleIJS8_S9_EEENSB_IJS8_SA_EEENS0_18inequality_wrapperIZN2at6native12_GLOBAL__N_124unique_dim_cuda_templateIaEESt5tupleIJNSF_6TensorESK_SK_EERKSK_lbbbEUlllE0_EEPmJS9_EEE10hipError_tPvRmT3_T4_T5_T6_T7_T9_mT8_P12ihipStream_tbDpT10_ENKUlT_T0_E_clISt17integral_constantIbLb1EES19_IbLb0EEEEDaS15_S16_EUlS15_E_NS1_11comp_targetILNS1_3genE9ELNS1_11target_archE1100ELNS1_3gpuE3ELNS1_3repE0EEENS1_30default_config_static_selectorELNS0_4arch9wavefront6targetE0EEEvT1_,@function
_ZN7rocprim17ROCPRIM_400000_NS6detail17trampoline_kernelINS0_14default_configENS1_25partition_config_selectorILNS1_17partition_subalgoE9EllbEEZZNS1_14partition_implILS5_9ELb0ES3_jPlS8_PNS0_10empty_typeENS0_5tupleIJS8_S9_EEENSB_IJS8_SA_EEENS0_18inequality_wrapperIZN2at6native12_GLOBAL__N_124unique_dim_cuda_templateIaEESt5tupleIJNSF_6TensorESK_SK_EERKSK_lbbbEUlllE0_EEPmJS9_EEE10hipError_tPvRmT3_T4_T5_T6_T7_T9_mT8_P12ihipStream_tbDpT10_ENKUlT_T0_E_clISt17integral_constantIbLb1EES19_IbLb0EEEEDaS15_S16_EUlS15_E_NS1_11comp_targetILNS1_3genE9ELNS1_11target_archE1100ELNS1_3gpuE3ELNS1_3repE0EEENS1_30default_config_static_selectorELNS0_4arch9wavefront6targetE0EEEvT1_: ; @_ZN7rocprim17ROCPRIM_400000_NS6detail17trampoline_kernelINS0_14default_configENS1_25partition_config_selectorILNS1_17partition_subalgoE9EllbEEZZNS1_14partition_implILS5_9ELb0ES3_jPlS8_PNS0_10empty_typeENS0_5tupleIJS8_S9_EEENSB_IJS8_SA_EEENS0_18inequality_wrapperIZN2at6native12_GLOBAL__N_124unique_dim_cuda_templateIaEESt5tupleIJNSF_6TensorESK_SK_EERKSK_lbbbEUlllE0_EEPmJS9_EEE10hipError_tPvRmT3_T4_T5_T6_T7_T9_mT8_P12ihipStream_tbDpT10_ENKUlT_T0_E_clISt17integral_constantIbLb1EES19_IbLb0EEEEDaS15_S16_EUlS15_E_NS1_11comp_targetILNS1_3genE9ELNS1_11target_archE1100ELNS1_3gpuE3ELNS1_3repE0EEENS1_30default_config_static_selectorELNS0_4arch9wavefront6targetE0EEEvT1_
; %bb.0:
	s_clause 0x3
	s_load_b128 s[4:7], s[0:1], 0x8
	s_load_b32 s8, s[0:1], 0x70
	s_load_b256 s[16:23], s[0:1], 0x40
	s_load_b64 s[24:25], s[0:1], 0x18
	s_mov_b32 s3, 0
	v_lshlrev_b32_e32 v55, 3, v0
	v_lshrrev_b32_e32 v33, 2, v0
	v_or_b32_e32 v38, 0x200, v0
	v_or_b32_e32 v36, 0x400, v0
	;; [unrolled: 1-line block ×7, first 2 shown]
	s_waitcnt lgkmcnt(0)
	s_lshl_b64 s[26:27], s[6:7], 3
	s_delay_alu instid0(SALU_CYCLE_1)
	s_add_u32 s9, s4, s26
	s_addc_u32 s10, s5, s27
	s_add_i32 s11, s8, -1
	s_load_b64 s[12:13], s[18:19], 0x0
	s_lshl_b32 s4, s11, 12
	s_lshl_b32 s5, s8, 12
	s_add_i32 s4, s6, s4
	s_lshl_b32 s2, s15, 12
	s_sub_i32 s28, s20, s4
	s_add_u32 s4, s6, s5
	s_addc_u32 s5, s7, 0
	s_cmp_eq_u32 s15, s11
	v_cmp_ge_u64_e64 s4, s[4:5], s[20:21]
	s_cselect_b32 s14, -1, 0
	s_lshl_b64 s[18:19], s[2:3], 3
	s_mov_b32 s3, -1
	s_delay_alu instid0(VALU_DEP_1) | instskip(NEXT) | instid1(SALU_CYCLE_1)
	s_and_b32 s21, s14, s4
	s_xor_b32 s20, s21, -1
	s_add_u32 s4, s9, s18
	s_addc_u32 s5, s10, s19
	s_and_b32 vcc_lo, exec_lo, s20
	s_cbranch_vccz .LBB373_2
; %bb.1:
	v_add_co_u32 v9, s2, s4, v55
	s_delay_alu instid0(VALU_DEP_1)
	v_add_co_ci_u32_e64 v10, null, s5, 0, s2
	global_load_b64 v[1:2], v55, s[4:5]
	v_add_co_u32 v3, vcc_lo, v9, 0x2000
	v_add_co_ci_u32_e32 v4, vcc_lo, 0, v10, vcc_lo
	v_add_co_u32 v5, vcc_lo, v9, 0x4000
	v_add_co_ci_u32_e32 v6, vcc_lo, 0, v10, vcc_lo
	;; [unrolled: 2-line block ×4, first 2 shown]
	s_clause 0x6
	global_load_b64 v[11:12], v[3:4], off offset:-4096
	global_load_b64 v[3:4], v[3:4], off
	global_load_b64 v[13:14], v[5:6], off offset:-4096
	global_load_b64 v[5:6], v[5:6], off
	;; [unrolled: 2-line block ×3, first 2 shown]
	global_load_b64 v[9:10], v[9:10], off
	v_lshrrev_b32_e32 v18, 2, v38
	v_lshrrev_b32_e32 v19, 2, v36
	;; [unrolled: 1-line block ×4, first 2 shown]
	v_and_b32_e32 v17, 0x78, v33
	v_lshrrev_b32_e32 v22, 2, v37
	v_lshrrev_b32_e32 v23, 2, v34
	v_lshrrev_b32_e32 v24, 2, v35
	v_and_b32_e32 v18, 0xf8, v18
	v_and_b32_e32 v19, 0x178, v19
	;; [unrolled: 1-line block ×4, first 2 shown]
	v_add_nc_u32_e32 v17, v17, v55
	v_and_b32_e32 v22, 0x2f8, v22
	v_and_b32_e32 v23, 0x378, v23
	;; [unrolled: 1-line block ×3, first 2 shown]
	v_add_nc_u32_e32 v18, v18, v55
	v_add_nc_u32_e32 v19, v19, v55
	;; [unrolled: 1-line block ×4, first 2 shown]
	s_mov_b32 s3, 0
	v_add_nc_u32_e32 v22, v22, v55
	v_add_nc_u32_e32 v23, v23, v55
	;; [unrolled: 1-line block ×3, first 2 shown]
	s_waitcnt vmcnt(7)
	ds_store_b64 v17, v[1:2]
	s_waitcnt vmcnt(6)
	ds_store_b64 v18, v[11:12] offset:4096
	s_waitcnt vmcnt(5)
	ds_store_b64 v19, v[3:4] offset:8192
	;; [unrolled: 2-line block ×7, first 2 shown]
	s_waitcnt lgkmcnt(0)
	s_barrier
.LBB373_2:
	s_load_b128 s[8:11], s[0:1], 0x60
	v_cmp_gt_u32_e64 s2, s28, v0
	s_and_not1_b32 vcc_lo, exec_lo, s3
	s_cbranch_vccnz .LBB373_20
; %bb.3:
                                        ; implicit-def: $vgpr1_vgpr2_vgpr3_vgpr4_vgpr5_vgpr6_vgpr7_vgpr8_vgpr9_vgpr10_vgpr11_vgpr12_vgpr13_vgpr14_vgpr15_vgpr16
	s_delay_alu instid0(VALU_DEP_1)
	s_and_saveexec_b32 s3, s2
	s_cbranch_execz .LBB373_11
; %bb.4:
	global_load_b64 v[1:2], v55, s[4:5]
	s_or_b32 exec_lo, exec_lo, s3
	s_delay_alu instid0(SALU_CYCLE_1)
	s_mov_b32 s2, exec_lo
	v_cmpx_gt_u32_e64 s28, v38
	s_cbranch_execnz .LBB373_12
.LBB373_5:
	s_or_b32 exec_lo, exec_lo, s2
	s_delay_alu instid0(SALU_CYCLE_1)
	s_mov_b32 s2, exec_lo
	v_cmpx_gt_u32_e64 s28, v36
	s_cbranch_execz .LBB373_13
.LBB373_6:
	v_lshlrev_b32_e32 v5, 3, v36
	global_load_b64 v[5:6], v5, s[4:5]
	s_or_b32 exec_lo, exec_lo, s2
	s_delay_alu instid0(SALU_CYCLE_1)
	s_mov_b32 s2, exec_lo
	v_cmpx_gt_u32_e64 s28, v40
	s_cbranch_execnz .LBB373_14
.LBB373_7:
	s_or_b32 exec_lo, exec_lo, s2
	s_delay_alu instid0(SALU_CYCLE_1)
	s_mov_b32 s2, exec_lo
	v_cmpx_gt_u32_e64 s28, v39
	s_cbranch_execz .LBB373_15
.LBB373_8:
	v_lshlrev_b32_e32 v9, 3, v39
	global_load_b64 v[9:10], v9, s[4:5]
	s_or_b32 exec_lo, exec_lo, s2
	s_delay_alu instid0(SALU_CYCLE_1)
	s_mov_b32 s2, exec_lo
	v_cmpx_gt_u32_e64 s28, v37
	s_cbranch_execnz .LBB373_16
.LBB373_9:
	s_or_b32 exec_lo, exec_lo, s2
	s_delay_alu instid0(SALU_CYCLE_1)
	s_mov_b32 s2, exec_lo
	v_cmpx_gt_u32_e64 s28, v34
	s_cbranch_execz .LBB373_17
.LBB373_10:
	v_lshlrev_b32_e32 v13, 3, v34
	global_load_b64 v[13:14], v13, s[4:5]
	s_or_b32 exec_lo, exec_lo, s2
	s_delay_alu instid0(SALU_CYCLE_1)
	s_mov_b32 s2, exec_lo
	v_cmpx_gt_u32_e64 s28, v35
	s_cbranch_execnz .LBB373_18
	s_branch .LBB373_19
.LBB373_11:
	s_or_b32 exec_lo, exec_lo, s3
	s_delay_alu instid0(SALU_CYCLE_1)
	s_mov_b32 s2, exec_lo
	v_cmpx_gt_u32_e64 s28, v38
	s_cbranch_execz .LBB373_5
.LBB373_12:
	v_lshlrev_b32_e32 v3, 3, v38
	global_load_b64 v[3:4], v3, s[4:5]
	s_or_b32 exec_lo, exec_lo, s2
	s_delay_alu instid0(SALU_CYCLE_1)
	s_mov_b32 s2, exec_lo
	v_cmpx_gt_u32_e64 s28, v36
	s_cbranch_execnz .LBB373_6
.LBB373_13:
	s_or_b32 exec_lo, exec_lo, s2
	s_delay_alu instid0(SALU_CYCLE_1)
	s_mov_b32 s2, exec_lo
	v_cmpx_gt_u32_e64 s28, v40
	s_cbranch_execz .LBB373_7
.LBB373_14:
	v_lshlrev_b32_e32 v7, 3, v40
	global_load_b64 v[7:8], v7, s[4:5]
	s_or_b32 exec_lo, exec_lo, s2
	s_delay_alu instid0(SALU_CYCLE_1)
	s_mov_b32 s2, exec_lo
	v_cmpx_gt_u32_e64 s28, v39
	s_cbranch_execnz .LBB373_8
.LBB373_15:
	s_or_b32 exec_lo, exec_lo, s2
	s_delay_alu instid0(SALU_CYCLE_1)
	s_mov_b32 s2, exec_lo
	v_cmpx_gt_u32_e64 s28, v37
	s_cbranch_execz .LBB373_9
.LBB373_16:
	v_lshlrev_b32_e32 v11, 3, v37
	global_load_b64 v[11:12], v11, s[4:5]
	s_or_b32 exec_lo, exec_lo, s2
	s_delay_alu instid0(SALU_CYCLE_1)
	s_mov_b32 s2, exec_lo
	v_cmpx_gt_u32_e64 s28, v34
	s_cbranch_execnz .LBB373_10
.LBB373_17:
	s_or_b32 exec_lo, exec_lo, s2
	s_delay_alu instid0(SALU_CYCLE_1)
	s_mov_b32 s2, exec_lo
	v_cmpx_gt_u32_e64 s28, v35
	s_cbranch_execz .LBB373_19
.LBB373_18:
	v_lshlrev_b32_e32 v15, 3, v35
	global_load_b64 v[15:16], v15, s[4:5]
.LBB373_19:
	s_or_b32 exec_lo, exec_lo, s2
	v_lshrrev_b32_e32 v17, 2, v38
	v_lshrrev_b32_e32 v18, 2, v36
	;; [unrolled: 1-line block ×4, first 2 shown]
	v_and_b32_e32 v19, 0x78, v33
	v_lshrrev_b32_e32 v22, 2, v37
	v_lshrrev_b32_e32 v23, 2, v34
	;; [unrolled: 1-line block ×3, first 2 shown]
	v_and_b32_e32 v17, 0xf8, v17
	v_and_b32_e32 v18, 0x1f8, v18
	;; [unrolled: 1-line block ×4, first 2 shown]
	v_add_nc_u32_e32 v19, v19, v55
	v_and_b32_e32 v22, 0x3f8, v22
	v_and_b32_e32 v23, 0x3f8, v23
	;; [unrolled: 1-line block ×3, first 2 shown]
	v_add_nc_u32_e32 v17, v17, v55
	v_add_nc_u32_e32 v18, v18, v55
	v_add_nc_u32_e32 v20, v20, v55
	v_add_nc_u32_e32 v21, v21, v55
	v_add_nc_u32_e32 v22, v22, v55
	v_add_nc_u32_e32 v23, v23, v55
	v_add_nc_u32_e32 v24, v24, v55
	s_waitcnt vmcnt(0)
	ds_store_b64 v19, v[1:2]
	ds_store_b64 v17, v[3:4] offset:4096
	ds_store_b64 v18, v[5:6] offset:8192
	;; [unrolled: 1-line block ×7, first 2 shown]
	s_waitcnt lgkmcnt(0)
	s_barrier
.LBB373_20:
	v_add_lshl_u32 v41, v33, v55, 3
	s_waitcnt lgkmcnt(0)
	buffer_gl0_inv
	s_add_u32 s2, s24, s26
	s_addc_u32 s3, s25, s27
	s_add_u32 s2, s2, s18
	ds_load_2addr_b64 v[29:32], v41 offset1:1
	ds_load_2addr_b64 v[25:28], v41 offset0:2 offset1:3
	ds_load_2addr_b64 v[21:24], v41 offset0:4 offset1:5
	ds_load_2addr_b64 v[17:20], v41 offset0:6 offset1:7
	s_addc_u32 s3, s3, s19
	s_and_b32 vcc_lo, exec_lo, s20
	s_mov_b32 s18, -1
	s_waitcnt lgkmcnt(0)
	s_barrier
	buffer_gl0_inv
	s_cbranch_vccz .LBB373_22
; %bb.21:
	v_add_co_u32 v9, s18, s2, v55
	s_delay_alu instid0(VALU_DEP_1)
	v_add_co_ci_u32_e64 v10, null, s3, 0, s18
	global_load_b64 v[1:2], v55, s[2:3]
	v_add_co_u32 v3, vcc_lo, v9, 0x2000
	v_add_co_ci_u32_e32 v4, vcc_lo, 0, v10, vcc_lo
	v_add_co_u32 v5, vcc_lo, v9, 0x4000
	v_add_co_ci_u32_e32 v6, vcc_lo, 0, v10, vcc_lo
	v_add_co_u32 v7, vcc_lo, v9, 0x6000
	v_add_co_ci_u32_e32 v8, vcc_lo, 0, v10, vcc_lo
	v_add_co_u32 v9, vcc_lo, 0x7000, v9
	v_add_co_ci_u32_e32 v10, vcc_lo, 0, v10, vcc_lo
	s_clause 0x6
	global_load_b64 v[11:12], v[3:4], off offset:-4096
	global_load_b64 v[3:4], v[3:4], off
	global_load_b64 v[13:14], v[5:6], off offset:-4096
	global_load_b64 v[5:6], v[5:6], off
	;; [unrolled: 2-line block ×3, first 2 shown]
	global_load_b64 v[9:10], v[9:10], off
	v_lshrrev_b32_e32 v43, 2, v38
	v_lshrrev_b32_e32 v44, 2, v36
	;; [unrolled: 1-line block ×4, first 2 shown]
	v_and_b32_e32 v42, 0x78, v33
	v_lshrrev_b32_e32 v47, 2, v37
	v_lshrrev_b32_e32 v48, 2, v34
	v_lshrrev_b32_e32 v49, 2, v35
	v_and_b32_e32 v43, 0xf8, v43
	v_and_b32_e32 v44, 0x178, v44
	;; [unrolled: 1-line block ×4, first 2 shown]
	v_add_nc_u32_e32 v42, v42, v55
	v_and_b32_e32 v47, 0x2f8, v47
	v_and_b32_e32 v48, 0x378, v48
	;; [unrolled: 1-line block ×3, first 2 shown]
	v_add_nc_u32_e32 v43, v43, v55
	v_add_nc_u32_e32 v44, v44, v55
	;; [unrolled: 1-line block ×4, first 2 shown]
	s_mov_b32 s18, 0
	v_add_nc_u32_e32 v47, v47, v55
	v_add_nc_u32_e32 v48, v48, v55
	;; [unrolled: 1-line block ×3, first 2 shown]
	s_waitcnt vmcnt(7)
	ds_store_b64 v42, v[1:2]
	s_waitcnt vmcnt(6)
	ds_store_b64 v43, v[11:12] offset:4096
	s_waitcnt vmcnt(5)
	ds_store_b64 v44, v[3:4] offset:8192
	;; [unrolled: 2-line block ×7, first 2 shown]
	s_waitcnt lgkmcnt(0)
	s_barrier
.LBB373_22:
	s_and_not1_b32 vcc_lo, exec_lo, s18
	s_cbranch_vccnz .LBB373_40
; %bb.23:
	s_mov_b32 s18, exec_lo
                                        ; implicit-def: $vgpr1_vgpr2
	v_cmpx_gt_u32_e64 s28, v0
	s_cbranch_execz .LBB373_25
; %bb.24:
	global_load_b64 v[1:2], v55, s[2:3]
.LBB373_25:
	s_or_b32 exec_lo, exec_lo, s18
	s_delay_alu instid0(SALU_CYCLE_1)
	s_mov_b32 s18, exec_lo
                                        ; implicit-def: $vgpr3_vgpr4
	v_cmpx_gt_u32_e64 s28, v38
	s_cbranch_execz .LBB373_27
; %bb.26:
	v_lshlrev_b32_e32 v3, 3, v38
	global_load_b64 v[3:4], v3, s[2:3]
.LBB373_27:
	s_or_b32 exec_lo, exec_lo, s18
	s_delay_alu instid0(SALU_CYCLE_1)
	s_mov_b32 s18, exec_lo
                                        ; implicit-def: $vgpr5_vgpr6
	v_cmpx_gt_u32_e64 s28, v36
	s_cbranch_execz .LBB373_29
; %bb.28:
	v_lshlrev_b32_e32 v5, 3, v36
	global_load_b64 v[5:6], v5, s[2:3]
.LBB373_29:
	s_or_b32 exec_lo, exec_lo, s18
	s_delay_alu instid0(SALU_CYCLE_1)
	s_mov_b32 s18, exec_lo
                                        ; implicit-def: $vgpr7_vgpr8
	v_cmpx_gt_u32_e64 s28, v40
	s_cbranch_execz .LBB373_31
; %bb.30:
	v_lshlrev_b32_e32 v7, 3, v40
	global_load_b64 v[7:8], v7, s[2:3]
.LBB373_31:
	s_or_b32 exec_lo, exec_lo, s18
	s_delay_alu instid0(SALU_CYCLE_1)
	s_mov_b32 s18, exec_lo
                                        ; implicit-def: $vgpr9_vgpr10
	v_cmpx_gt_u32_e64 s28, v39
	s_cbranch_execz .LBB373_33
; %bb.32:
	v_lshlrev_b32_e32 v9, 3, v39
	global_load_b64 v[9:10], v9, s[2:3]
.LBB373_33:
	s_or_b32 exec_lo, exec_lo, s18
	s_delay_alu instid0(SALU_CYCLE_1)
	s_mov_b32 s18, exec_lo
                                        ; implicit-def: $vgpr11_vgpr12
	v_cmpx_gt_u32_e64 s28, v37
	s_cbranch_execz .LBB373_35
; %bb.34:
	v_lshlrev_b32_e32 v11, 3, v37
	global_load_b64 v[11:12], v11, s[2:3]
.LBB373_35:
	s_or_b32 exec_lo, exec_lo, s18
	s_delay_alu instid0(SALU_CYCLE_1)
	s_mov_b32 s18, exec_lo
                                        ; implicit-def: $vgpr13_vgpr14
	v_cmpx_gt_u32_e64 s28, v34
	s_cbranch_execz .LBB373_37
; %bb.36:
	v_lshlrev_b32_e32 v13, 3, v34
	global_load_b64 v[13:14], v13, s[2:3]
.LBB373_37:
	s_or_b32 exec_lo, exec_lo, s18
	s_delay_alu instid0(SALU_CYCLE_1)
	s_mov_b32 s18, exec_lo
                                        ; implicit-def: $vgpr15_vgpr16
	v_cmpx_gt_u32_e64 s28, v35
	s_cbranch_execz .LBB373_39
; %bb.38:
	v_lshlrev_b32_e32 v15, 3, v35
	global_load_b64 v[15:16], v15, s[2:3]
.LBB373_39:
	s_or_b32 exec_lo, exec_lo, s18
	v_lshrrev_b32_e32 v38, 2, v38
	v_lshrrev_b32_e32 v36, 2, v36
	;; [unrolled: 1-line block ×4, first 2 shown]
	v_and_b32_e32 v33, 0x78, v33
	v_lshrrev_b32_e32 v37, 2, v37
	v_lshrrev_b32_e32 v34, 2, v34
	;; [unrolled: 1-line block ×3, first 2 shown]
	v_and_b32_e32 v38, 0xf8, v38
	v_and_b32_e32 v36, 0x1f8, v36
	;; [unrolled: 1-line block ×4, first 2 shown]
	v_add_nc_u32_e32 v33, v33, v55
	v_and_b32_e32 v37, 0x3f8, v37
	v_and_b32_e32 v34, 0x3f8, v34
	;; [unrolled: 1-line block ×3, first 2 shown]
	v_add_nc_u32_e32 v38, v38, v55
	v_add_nc_u32_e32 v36, v36, v55
	;; [unrolled: 1-line block ×7, first 2 shown]
	s_waitcnt vmcnt(0)
	ds_store_b64 v33, v[1:2]
	ds_store_b64 v38, v[3:4] offset:4096
	ds_store_b64 v36, v[5:6] offset:8192
	ds_store_b64 v40, v[7:8] offset:12288
	ds_store_b64 v39, v[9:10] offset:16384
	ds_store_b64 v37, v[11:12] offset:20480
	ds_store_b64 v34, v[13:14] offset:24576
	ds_store_b64 v35, v[15:16] offset:28672
	s_waitcnt lgkmcnt(0)
	s_barrier
.LBB373_40:
	buffer_gl0_inv
	ds_load_2addr_b64 v[13:16], v41 offset1:1
	ds_load_2addr_b64 v[9:12], v41 offset0:2 offset1:3
	ds_load_2addr_b64 v[5:8], v41 offset0:4 offset1:5
	;; [unrolled: 1-line block ×3, first 2 shown]
	s_cmp_lg_u32 s15, 0
	v_cmp_gt_i64_e64 s19, s[22:23], 0
	s_cselect_b32 s18, -1, 0
	s_cmp_lg_u64 s[6:7], 0
	s_mov_b32 s6, 0
	s_cselect_b32 s2, -1, 0
	s_waitcnt lgkmcnt(0)
	s_or_b32 s2, s18, s2
	s_barrier
	s_and_b32 vcc_lo, exec_lo, s2
	buffer_gl0_inv
	s_cbranch_vccz .LBB373_49
; %bb.41:
	s_add_u32 s2, s4, -8
	s_addc_u32 s3, s5, -1
	v_cndmask_b32_e64 v40, 0, 1, s19
	s_load_b64 s[4:5], s[2:3], 0x0
	s_and_b32 vcc_lo, exec_lo, s20
	ds_store_b64 v55, v[19:20]
	v_cmp_ne_u32_e64 s2, 1, v40
	s_cbranch_vccz .LBB373_50
; %bb.42:
	v_mul_lo_u32 v35, v18, s22
	v_mul_lo_u32 v36, v17, s23
	v_mad_u64_u32 v[33:34], null, v17, s22, 0
	s_mov_b32 s24, 0
	s_and_b32 vcc_lo, exec_lo, s2
	s_mov_b32 s25, 0
	s_delay_alu instid0(VALU_DEP_1)
	v_add3_u32 v41, v34, v36, v35
	s_cbranch_vccnz .LBB373_53
; %bb.43:
	v_mad_u64_u32 v[34:35], null, v19, s22, s[8:9]
	v_mul_lo_u32 v38, v19, s23
	v_mul_lo_u32 v39, v20, s22
	v_add_co_u32 v36, vcc_lo, s8, v33
	v_add_co_ci_u32_e32 v37, vcc_lo, s9, v41, vcc_lo
	s_mov_b32 s25, -1
	s_mov_b32 s26, exec_lo
	s_delay_alu instid0(VALU_DEP_3)
	v_add3_u32 v35, v39, v35, v38
	s_clause 0x1
	global_load_u8 v38, v[36:37], off
	global_load_u8 v39, v[34:35], off
	s_waitcnt vmcnt(0)
	v_cmpx_eq_u16_e64 v38, v39
	s_cbranch_execz .LBB373_52
; %bb.44:
	s_mov_b64 s[2:3], 1
	s_mov_b32 s25, 0
                                        ; implicit-def: $sgpr27
	s_set_inst_prefetch_distance 0x1
	s_branch .LBB373_47
	.p2align	6
.LBB373_45:                             ;   in Loop: Header=BB373_47 Depth=1
	v_add_co_u32 v38, vcc_lo, v36, s2
	v_add_co_ci_u32_e32 v39, vcc_lo, s3, v37, vcc_lo
	v_add_co_u32 v42, vcc_lo, v34, s2
	v_add_co_ci_u32_e32 v43, vcc_lo, s3, v35, vcc_lo
	s_add_u32 s6, s2, 1
	s_clause 0x1
	global_load_u8 v38, v[38:39], off
	global_load_u8 v39, v[42:43], off
	s_addc_u32 s7, s3, 0
	s_and_not1_b32 s27, s27, exec_lo
	s_waitcnt vmcnt(0)
	v_cmp_ne_u16_e32 vcc_lo, v38, v39
	s_and_b32 s29, vcc_lo, exec_lo
	s_delay_alu instid0(SALU_CYCLE_1)
	s_or_b32 s27, s27, s29
.LBB373_46:                             ;   in Loop: Header=BB373_47 Depth=1
	v_dual_mov_b32 v39, s3 :: v_dual_mov_b32 v38, s2
	s_and_b32 s29, exec_lo, s27
	s_mov_b64 s[2:3], s[6:7]
	s_or_b32 s25, s29, s25
	s_delay_alu instid0(SALU_CYCLE_1)
	s_and_not1_b32 exec_lo, exec_lo, s25
	s_cbranch_execz .LBB373_51
.LBB373_47:                             ; =>This Inner Loop Header: Depth=1
	s_or_b32 s27, s27, exec_lo
	s_cmp_eq_u64 s[22:23], s[2:3]
	s_cbranch_scc0 .LBB373_45
; %bb.48:                               ;   in Loop: Header=BB373_47 Depth=1
	s_mov_b64 s[2:3], s[22:23]
                                        ; implicit-def: $sgpr6_sgpr7
	s_branch .LBB373_46
.LBB373_49:
                                        ; implicit-def: $sgpr2
                                        ; implicit-def: $vgpr34
	s_branch .LBB373_211
.LBB373_50:
                                        ; implicit-def: $sgpr2
                                        ; implicit-def: $vgpr34
	s_cbranch_execnz .LBB373_119
	s_branch .LBB373_210
.LBB373_51:
	s_set_inst_prefetch_distance 0x2
	s_or_b32 exec_lo, exec_lo, s25
	v_cmp_gt_i64_e32 vcc_lo, s[22:23], v[38:39]
	s_or_not1_b32 s25, vcc_lo, exec_lo
.LBB373_52:
	s_or_b32 exec_lo, exec_lo, s26
.LBB373_53:
	v_mul_lo_u32 v34, v24, s22
	v_mul_lo_u32 v37, v23, s23
	v_mad_u64_u32 v[35:36], null, v23, s22, 0
	s_and_not1_b32 vcc_lo, exec_lo, s19
	s_delay_alu instid0(VALU_DEP_1)
	v_add3_u32 v42, v36, v37, v34
	s_cbranch_vccnz .LBB373_62
; %bb.54:
	s_delay_alu instid0(VALU_DEP_2) | instskip(NEXT) | instid1(VALU_DEP_2)
	v_add_co_u32 v36, vcc_lo, s8, v35
	v_add_co_ci_u32_e32 v37, vcc_lo, s9, v42, vcc_lo
	v_add_co_u32 v33, vcc_lo, s8, v33
	v_add_co_ci_u32_e32 v34, vcc_lo, s9, v41, vcc_lo
	s_mov_b32 s24, -1
	s_clause 0x1
	global_load_u8 v38, v[36:37], off
	global_load_u8 v39, v[33:34], off
	s_mov_b32 s26, exec_lo
	s_waitcnt vmcnt(0)
	v_cmpx_eq_u16_e64 v38, v39
	s_cbranch_execz .LBB373_61
; %bb.55:
	s_mov_b64 s[2:3], 1
	s_mov_b32 s24, 0
                                        ; implicit-def: $sgpr27
	s_set_inst_prefetch_distance 0x1
	s_branch .LBB373_58
	.p2align	6
.LBB373_56:                             ;   in Loop: Header=BB373_58 Depth=1
	v_add_co_u32 v38, vcc_lo, v36, s2
	v_add_co_ci_u32_e32 v39, vcc_lo, s3, v37, vcc_lo
	v_add_co_u32 v43, vcc_lo, v33, s2
	v_add_co_ci_u32_e32 v44, vcc_lo, s3, v34, vcc_lo
	s_add_u32 s6, s2, 1
	s_clause 0x1
	global_load_u8 v38, v[38:39], off
	global_load_u8 v39, v[43:44], off
	s_addc_u32 s7, s3, 0
	s_and_not1_b32 s27, s27, exec_lo
	s_waitcnt vmcnt(0)
	v_cmp_ne_u16_e32 vcc_lo, v38, v39
	s_and_b32 s29, vcc_lo, exec_lo
	s_delay_alu instid0(SALU_CYCLE_1)
	s_or_b32 s27, s27, s29
.LBB373_57:                             ;   in Loop: Header=BB373_58 Depth=1
	v_dual_mov_b32 v39, s3 :: v_dual_mov_b32 v38, s2
	s_and_b32 s29, exec_lo, s27
	s_mov_b64 s[2:3], s[6:7]
	s_or_b32 s24, s29, s24
	s_delay_alu instid0(SALU_CYCLE_1)
	s_and_not1_b32 exec_lo, exec_lo, s24
	s_cbranch_execz .LBB373_60
.LBB373_58:                             ; =>This Inner Loop Header: Depth=1
	s_or_b32 s27, s27, exec_lo
	s_cmp_eq_u64 s[22:23], s[2:3]
	s_cbranch_scc0 .LBB373_56
; %bb.59:                               ;   in Loop: Header=BB373_58 Depth=1
	s_mov_b64 s[2:3], s[22:23]
                                        ; implicit-def: $sgpr6_sgpr7
	s_branch .LBB373_57
.LBB373_60:
	s_set_inst_prefetch_distance 0x2
	s_or_b32 exec_lo, exec_lo, s24
	v_cmp_gt_i64_e32 vcc_lo, s[22:23], v[38:39]
	s_or_not1_b32 s24, vcc_lo, exec_lo
.LBB373_61:
	s_or_b32 exec_lo, exec_lo, s26
.LBB373_62:
	v_mul_lo_u32 v36, v22, s22
	v_mul_lo_u32 v37, v21, s23
	v_mad_u64_u32 v[33:34], null, v21, s22, 0
	s_mov_b32 s26, 0
	s_and_not1_b32 vcc_lo, exec_lo, s19
	s_mov_b32 s27, 0
	s_delay_alu instid0(VALU_DEP_1)
	v_add3_u32 v43, v34, v37, v36
	s_cbranch_vccnz .LBB373_71
; %bb.63:
	s_delay_alu instid0(VALU_DEP_2) | instskip(NEXT) | instid1(VALU_DEP_2)
	v_add_co_u32 v36, vcc_lo, s8, v33
	v_add_co_ci_u32_e32 v37, vcc_lo, s9, v43, vcc_lo
	v_add_co_u32 v34, vcc_lo, s8, v35
	v_add_co_ci_u32_e32 v35, vcc_lo, s9, v42, vcc_lo
	s_mov_b32 s27, -1
	s_clause 0x1
	global_load_u8 v38, v[36:37], off
	global_load_u8 v39, v[34:35], off
	s_mov_b32 s29, exec_lo
	s_waitcnt vmcnt(0)
	v_cmpx_eq_u16_e64 v38, v39
	s_cbranch_execz .LBB373_70
; %bb.64:
	s_mov_b64 s[2:3], 1
	s_mov_b32 s27, 0
                                        ; implicit-def: $sgpr30
	s_set_inst_prefetch_distance 0x1
	s_branch .LBB373_67
	.p2align	6
.LBB373_65:                             ;   in Loop: Header=BB373_67 Depth=1
	v_add_co_u32 v38, vcc_lo, v36, s2
	v_add_co_ci_u32_e32 v39, vcc_lo, s3, v37, vcc_lo
	v_add_co_u32 v41, vcc_lo, v34, s2
	v_add_co_ci_u32_e32 v42, vcc_lo, s3, v35, vcc_lo
	s_add_u32 s6, s2, 1
	s_clause 0x1
	global_load_u8 v38, v[38:39], off
	global_load_u8 v39, v[41:42], off
	s_addc_u32 s7, s3, 0
	s_and_not1_b32 s30, s30, exec_lo
	s_waitcnt vmcnt(0)
	v_cmp_ne_u16_e32 vcc_lo, v38, v39
	s_and_b32 s31, vcc_lo, exec_lo
	s_delay_alu instid0(SALU_CYCLE_1)
	s_or_b32 s30, s30, s31
.LBB373_66:                             ;   in Loop: Header=BB373_67 Depth=1
	v_dual_mov_b32 v39, s3 :: v_dual_mov_b32 v38, s2
	s_and_b32 s31, exec_lo, s30
	s_mov_b64 s[2:3], s[6:7]
	s_or_b32 s27, s31, s27
	s_delay_alu instid0(SALU_CYCLE_1)
	s_and_not1_b32 exec_lo, exec_lo, s27
	s_cbranch_execz .LBB373_69
.LBB373_67:                             ; =>This Inner Loop Header: Depth=1
	s_or_b32 s30, s30, exec_lo
	s_cmp_eq_u64 s[22:23], s[2:3]
	s_cbranch_scc0 .LBB373_65
; %bb.68:                               ;   in Loop: Header=BB373_67 Depth=1
	s_mov_b64 s[2:3], s[22:23]
                                        ; implicit-def: $sgpr6_sgpr7
	s_branch .LBB373_66
.LBB373_69:
	s_set_inst_prefetch_distance 0x2
	s_or_b32 exec_lo, exec_lo, s27
	v_cmp_gt_i64_e32 vcc_lo, s[22:23], v[38:39]
	s_or_not1_b32 s27, vcc_lo, exec_lo
.LBB373_70:
	s_or_b32 exec_lo, exec_lo, s29
.LBB373_71:
	v_mul_lo_u32 v34, v28, s22
	v_mul_lo_u32 v37, v27, s23
	v_mad_u64_u32 v[35:36], null, v27, s22, 0
	s_and_not1_b32 vcc_lo, exec_lo, s19
	s_delay_alu instid0(VALU_DEP_1)
	v_add3_u32 v41, v36, v37, v34
	s_cbranch_vccnz .LBB373_80
; %bb.72:
	s_delay_alu instid0(VALU_DEP_2) | instskip(NEXT) | instid1(VALU_DEP_2)
	v_add_co_u32 v36, vcc_lo, s8, v35
	v_add_co_ci_u32_e32 v37, vcc_lo, s9, v41, vcc_lo
	v_add_co_u32 v33, vcc_lo, s8, v33
	v_add_co_ci_u32_e32 v34, vcc_lo, s9, v43, vcc_lo
	s_mov_b32 s26, -1
	s_clause 0x1
	global_load_u8 v38, v[36:37], off
	global_load_u8 v39, v[33:34], off
	s_mov_b32 s29, exec_lo
	s_waitcnt vmcnt(0)
	v_cmpx_eq_u16_e64 v38, v39
	s_cbranch_execz .LBB373_79
; %bb.73:
	s_mov_b64 s[2:3], 1
	s_mov_b32 s26, 0
                                        ; implicit-def: $sgpr30
	s_set_inst_prefetch_distance 0x1
	s_branch .LBB373_76
	.p2align	6
.LBB373_74:                             ;   in Loop: Header=BB373_76 Depth=1
	v_add_co_u32 v38, vcc_lo, v36, s2
	v_add_co_ci_u32_e32 v39, vcc_lo, s3, v37, vcc_lo
	v_add_co_u32 v42, vcc_lo, v33, s2
	v_add_co_ci_u32_e32 v43, vcc_lo, s3, v34, vcc_lo
	s_add_u32 s6, s2, 1
	s_clause 0x1
	global_load_u8 v38, v[38:39], off
	global_load_u8 v39, v[42:43], off
	s_addc_u32 s7, s3, 0
	s_and_not1_b32 s30, s30, exec_lo
	s_waitcnt vmcnt(0)
	v_cmp_ne_u16_e32 vcc_lo, v38, v39
	s_and_b32 s31, vcc_lo, exec_lo
	s_delay_alu instid0(SALU_CYCLE_1)
	s_or_b32 s30, s30, s31
.LBB373_75:                             ;   in Loop: Header=BB373_76 Depth=1
	v_dual_mov_b32 v39, s3 :: v_dual_mov_b32 v38, s2
	s_and_b32 s31, exec_lo, s30
	s_mov_b64 s[2:3], s[6:7]
	s_or_b32 s26, s31, s26
	s_delay_alu instid0(SALU_CYCLE_1)
	s_and_not1_b32 exec_lo, exec_lo, s26
	s_cbranch_execz .LBB373_78
.LBB373_76:                             ; =>This Inner Loop Header: Depth=1
	s_or_b32 s30, s30, exec_lo
	s_cmp_eq_u64 s[22:23], s[2:3]
	s_cbranch_scc0 .LBB373_74
; %bb.77:                               ;   in Loop: Header=BB373_76 Depth=1
	s_mov_b64 s[2:3], s[22:23]
                                        ; implicit-def: $sgpr6_sgpr7
	s_branch .LBB373_75
.LBB373_78:
	s_set_inst_prefetch_distance 0x2
	s_or_b32 exec_lo, exec_lo, s26
	v_cmp_gt_i64_e32 vcc_lo, s[22:23], v[38:39]
	s_or_not1_b32 s26, vcc_lo, exec_lo
.LBB373_79:
	s_or_b32 exec_lo, exec_lo, s29
.LBB373_80:
	v_mul_lo_u32 v36, v26, s22
	v_mul_lo_u32 v37, v25, s23
	v_mad_u64_u32 v[33:34], null, v25, s22, 0
	s_mov_b32 s29, 0
	s_and_not1_b32 vcc_lo, exec_lo, s19
	s_mov_b32 s30, 0
	s_delay_alu instid0(VALU_DEP_1)
	v_add3_u32 v43, v34, v37, v36
	s_cbranch_vccnz .LBB373_89
; %bb.81:
	s_delay_alu instid0(VALU_DEP_2) | instskip(NEXT) | instid1(VALU_DEP_2)
	v_add_co_u32 v36, vcc_lo, s8, v33
	v_add_co_ci_u32_e32 v37, vcc_lo, s9, v43, vcc_lo
	v_add_co_u32 v34, vcc_lo, s8, v35
	v_add_co_ci_u32_e32 v35, vcc_lo, s9, v41, vcc_lo
	s_mov_b32 s30, -1
	s_clause 0x1
	global_load_u8 v38, v[36:37], off
	global_load_u8 v39, v[34:35], off
	s_mov_b32 s31, exec_lo
	s_waitcnt vmcnt(0)
	v_cmpx_eq_u16_e64 v38, v39
	s_cbranch_execz .LBB373_88
; %bb.82:
	s_mov_b64 s[2:3], 1
	s_mov_b32 s30, 0
                                        ; implicit-def: $sgpr33
	s_set_inst_prefetch_distance 0x1
	s_branch .LBB373_85
	.p2align	6
.LBB373_83:                             ;   in Loop: Header=BB373_85 Depth=1
	v_add_co_u32 v38, vcc_lo, v36, s2
	v_add_co_ci_u32_e32 v39, vcc_lo, s3, v37, vcc_lo
	v_add_co_u32 v41, vcc_lo, v34, s2
	v_add_co_ci_u32_e32 v42, vcc_lo, s3, v35, vcc_lo
	s_add_u32 s6, s2, 1
	s_clause 0x1
	global_load_u8 v38, v[38:39], off
	global_load_u8 v39, v[41:42], off
	s_addc_u32 s7, s3, 0
	s_and_not1_b32 s33, s33, exec_lo
	s_waitcnt vmcnt(0)
	v_cmp_ne_u16_e32 vcc_lo, v38, v39
	s_and_b32 s34, vcc_lo, exec_lo
	s_delay_alu instid0(SALU_CYCLE_1)
	s_or_b32 s33, s33, s34
.LBB373_84:                             ;   in Loop: Header=BB373_85 Depth=1
	v_dual_mov_b32 v39, s3 :: v_dual_mov_b32 v38, s2
	s_and_b32 s34, exec_lo, s33
	s_mov_b64 s[2:3], s[6:7]
	s_or_b32 s30, s34, s30
	s_delay_alu instid0(SALU_CYCLE_1)
	s_and_not1_b32 exec_lo, exec_lo, s30
	s_cbranch_execz .LBB373_87
.LBB373_85:                             ; =>This Inner Loop Header: Depth=1
	s_or_b32 s33, s33, exec_lo
	s_cmp_eq_u64 s[22:23], s[2:3]
	s_cbranch_scc0 .LBB373_83
; %bb.86:                               ;   in Loop: Header=BB373_85 Depth=1
	s_mov_b64 s[2:3], s[22:23]
                                        ; implicit-def: $sgpr6_sgpr7
	s_branch .LBB373_84
.LBB373_87:
	s_set_inst_prefetch_distance 0x2
	s_or_b32 exec_lo, exec_lo, s30
	v_cmp_gt_i64_e32 vcc_lo, s[22:23], v[38:39]
	s_or_not1_b32 s30, vcc_lo, exec_lo
.LBB373_88:
	s_or_b32 exec_lo, exec_lo, s31
.LBB373_89:
	v_mul_lo_u32 v34, v32, s22
	v_mul_lo_u32 v37, v31, s23
	v_mad_u64_u32 v[35:36], null, v31, s22, 0
	s_and_not1_b32 vcc_lo, exec_lo, s19
	s_delay_alu instid0(VALU_DEP_1)
	v_add3_u32 v42, v36, v37, v34
	s_cbranch_vccnz .LBB373_98
; %bb.90:
	s_delay_alu instid0(VALU_DEP_2) | instskip(NEXT) | instid1(VALU_DEP_2)
	v_add_co_u32 v36, vcc_lo, s8, v35
	v_add_co_ci_u32_e32 v37, vcc_lo, s9, v42, vcc_lo
	v_add_co_u32 v33, vcc_lo, s8, v33
	v_add_co_ci_u32_e32 v34, vcc_lo, s9, v43, vcc_lo
	s_mov_b32 s29, -1
	s_clause 0x1
	global_load_u8 v38, v[36:37], off
	global_load_u8 v39, v[33:34], off
	s_mov_b32 s31, exec_lo
	s_waitcnt vmcnt(0)
	v_cmpx_eq_u16_e64 v38, v39
	s_cbranch_execz .LBB373_97
; %bb.91:
	s_mov_b64 s[2:3], 1
	s_mov_b32 s29, 0
                                        ; implicit-def: $sgpr33
	s_set_inst_prefetch_distance 0x1
	s_branch .LBB373_94
	.p2align	6
.LBB373_92:                             ;   in Loop: Header=BB373_94 Depth=1
	v_add_co_u32 v38, vcc_lo, v36, s2
	v_add_co_ci_u32_e32 v39, vcc_lo, s3, v37, vcc_lo
	v_add_co_u32 v43, vcc_lo, v33, s2
	v_add_co_ci_u32_e32 v44, vcc_lo, s3, v34, vcc_lo
	s_add_u32 s6, s2, 1
	s_clause 0x1
	global_load_u8 v38, v[38:39], off
	global_load_u8 v39, v[43:44], off
	s_addc_u32 s7, s3, 0
	s_and_not1_b32 s33, s33, exec_lo
	s_waitcnt vmcnt(0)
	v_cmp_ne_u16_e32 vcc_lo, v38, v39
	s_and_b32 s34, vcc_lo, exec_lo
	s_delay_alu instid0(SALU_CYCLE_1)
	s_or_b32 s33, s33, s34
.LBB373_93:                             ;   in Loop: Header=BB373_94 Depth=1
	v_dual_mov_b32 v39, s3 :: v_dual_mov_b32 v38, s2
	s_and_b32 s34, exec_lo, s33
	s_mov_b64 s[2:3], s[6:7]
	s_or_b32 s29, s34, s29
	s_delay_alu instid0(SALU_CYCLE_1)
	s_and_not1_b32 exec_lo, exec_lo, s29
	s_cbranch_execz .LBB373_96
.LBB373_94:                             ; =>This Inner Loop Header: Depth=1
	s_or_b32 s33, s33, exec_lo
	s_cmp_eq_u64 s[22:23], s[2:3]
	s_cbranch_scc0 .LBB373_92
; %bb.95:                               ;   in Loop: Header=BB373_94 Depth=1
	s_mov_b64 s[2:3], s[22:23]
                                        ; implicit-def: $sgpr6_sgpr7
	s_branch .LBB373_93
.LBB373_96:
	s_set_inst_prefetch_distance 0x2
	s_or_b32 exec_lo, exec_lo, s29
	v_cmp_gt_i64_e32 vcc_lo, s[22:23], v[38:39]
	s_or_not1_b32 s29, vcc_lo, exec_lo
.LBB373_97:
	s_or_b32 exec_lo, exec_lo, s31
.LBB373_98:
	v_mul_lo_u32 v36, v30, s22
	v_mul_lo_u32 v37, v29, s23
	v_mad_u64_u32 v[33:34], null, v29, s22, 0
	s_and_not1_b32 vcc_lo, exec_lo, s19
	s_mov_b32 s2, 0
	s_delay_alu instid0(VALU_DEP_1)
	v_add3_u32 v41, v34, v37, v36
	s_cbranch_vccnz .LBB373_107
; %bb.99:
	s_delay_alu instid0(VALU_DEP_2) | instskip(NEXT) | instid1(VALU_DEP_2)
	v_add_co_u32 v36, vcc_lo, s8, v33
	v_add_co_ci_u32_e32 v37, vcc_lo, s9, v41, vcc_lo
	v_add_co_u32 v34, vcc_lo, s8, v35
	v_add_co_ci_u32_e32 v35, vcc_lo, s9, v42, vcc_lo
	s_mov_b32 s2, -1
	s_clause 0x1
	global_load_u8 v38, v[36:37], off
	global_load_u8 v39, v[34:35], off
	s_mov_b32 s31, exec_lo
	s_waitcnt vmcnt(0)
	v_cmpx_eq_u16_e64 v38, v39
	s_cbranch_execz .LBB373_106
; %bb.100:
	s_mov_b64 s[2:3], 1
	s_mov_b32 s33, 0
                                        ; implicit-def: $sgpr34
	s_set_inst_prefetch_distance 0x1
	s_branch .LBB373_103
	.p2align	6
.LBB373_101:                            ;   in Loop: Header=BB373_103 Depth=1
	v_add_co_u32 v38, vcc_lo, v36, s2
	v_add_co_ci_u32_e32 v39, vcc_lo, s3, v37, vcc_lo
	v_add_co_u32 v42, vcc_lo, v34, s2
	v_add_co_ci_u32_e32 v43, vcc_lo, s3, v35, vcc_lo
	s_add_u32 s6, s2, 1
	s_clause 0x1
	global_load_u8 v38, v[38:39], off
	global_load_u8 v39, v[42:43], off
	s_addc_u32 s7, s3, 0
	s_and_not1_b32 s34, s34, exec_lo
	s_waitcnt vmcnt(0)
	v_cmp_ne_u16_e32 vcc_lo, v38, v39
	s_and_b32 s35, vcc_lo, exec_lo
	s_delay_alu instid0(SALU_CYCLE_1)
	s_or_b32 s34, s34, s35
.LBB373_102:                            ;   in Loop: Header=BB373_103 Depth=1
	v_dual_mov_b32 v39, s3 :: v_dual_mov_b32 v38, s2
	s_and_b32 s35, exec_lo, s34
	s_mov_b64 s[2:3], s[6:7]
	s_or_b32 s33, s35, s33
	s_delay_alu instid0(SALU_CYCLE_1)
	s_and_not1_b32 exec_lo, exec_lo, s33
	s_cbranch_execz .LBB373_105
.LBB373_103:                            ; =>This Inner Loop Header: Depth=1
	s_or_b32 s34, s34, exec_lo
	s_cmp_eq_u64 s[22:23], s[2:3]
	s_cbranch_scc0 .LBB373_101
; %bb.104:                              ;   in Loop: Header=BB373_103 Depth=1
	s_mov_b64 s[2:3], s[22:23]
                                        ; implicit-def: $sgpr6_sgpr7
	s_branch .LBB373_102
.LBB373_105:
	s_set_inst_prefetch_distance 0x2
	s_or_b32 exec_lo, exec_lo, s33
	v_cmp_gt_i64_e32 vcc_lo, s[22:23], v[38:39]
	s_or_not1_b32 s2, vcc_lo, exec_lo
.LBB373_106:
	s_or_b32 exec_lo, exec_lo, s31
.LBB373_107:
	s_waitcnt lgkmcnt(0)
	v_dual_mov_b32 v37, s5 :: v_dual_mov_b32 v36, s4
	s_mov_b32 s3, exec_lo
	s_barrier
	buffer_gl0_inv
	v_cmpx_ne_u32_e32 0, v0
	s_cbranch_execz .LBB373_109
; %bb.108:
	v_add_nc_u32_e32 v34, -8, v55
	ds_load_b64 v[36:37], v34
.LBB373_109:
	s_or_b32 exec_lo, exec_lo, s3
	v_cndmask_b32_e64 v35, 0, 1, s30
	v_cndmask_b32_e64 v39, 0, 1, s27
	;; [unrolled: 1-line block ×7, first 2 shown]
	v_lshlrev_b16 v35, 8, v35
	v_lshlrev_b16 v39, 8, v39
	;; [unrolled: 1-line block ×4, first 2 shown]
	s_mov_b32 s24, 0
	v_or_b32_e32 v34, v34, v35
	v_or_b32_e32 v35, v38, v39
	;; [unrolled: 1-line block ×3, first 2 shown]
	v_and_b32_e32 v42, 0xffff, v43
	s_and_not1_b32 vcc_lo, exec_lo, s19
	v_lshlrev_b32_e32 v43, 16, v34
	v_and_b32_e32 v44, 0xffff, v35
	v_lshlrev_b32_e32 v45, 16, v38
	s_mov_b32 s2, 0
	s_cbranch_vccnz .LBB373_118
; %bb.110:
	s_waitcnt lgkmcnt(0)
	v_mad_u64_u32 v[34:35], null, v36, s22, s[8:9]
	v_mul_lo_u32 v36, v36, s23
	v_mul_lo_u32 v37, v37, s22
	s_mov_b32 s2, -1
	s_mov_b32 s25, exec_lo
	s_delay_alu instid0(VALU_DEP_1)
	v_add3_u32 v35, v37, v35, v36
	v_add_co_u32 v36, vcc_lo, s8, v33
	v_add_co_ci_u32_e32 v37, vcc_lo, s9, v41, vcc_lo
	s_clause 0x1
	global_load_u8 v33, v[34:35], off
	global_load_u8 v38, v[36:37], off
	s_waitcnt vmcnt(0)
	v_cmpx_eq_u16_e64 v33, v38
	s_cbranch_execz .LBB373_117
; %bb.111:
	s_mov_b64 s[2:3], 1
	s_mov_b32 s26, 0
                                        ; implicit-def: $sgpr27
	s_set_inst_prefetch_distance 0x1
	s_branch .LBB373_114
	.p2align	6
.LBB373_112:                            ;   in Loop: Header=BB373_114 Depth=1
	v_add_co_u32 v38, vcc_lo, v34, s2
	v_add_co_ci_u32_e32 v39, vcc_lo, s3, v35, vcc_lo
	v_add_co_u32 v46, vcc_lo, v36, s2
	v_add_co_ci_u32_e32 v47, vcc_lo, s3, v37, vcc_lo
	s_add_u32 s6, s2, 1
	s_clause 0x1
	global_load_u8 v33, v[38:39], off
	global_load_u8 v38, v[46:47], off
	s_addc_u32 s7, s3, 0
	s_and_not1_b32 s27, s27, exec_lo
	s_waitcnt vmcnt(0)
	v_cmp_ne_u16_e32 vcc_lo, v33, v38
	s_and_b32 s29, vcc_lo, exec_lo
	s_delay_alu instid0(SALU_CYCLE_1)
	s_or_b32 s27, s27, s29
.LBB373_113:                            ;   in Loop: Header=BB373_114 Depth=1
	v_dual_mov_b32 v39, s3 :: v_dual_mov_b32 v38, s2
	s_and_b32 s29, exec_lo, s27
	s_mov_b64 s[2:3], s[6:7]
	s_or_b32 s26, s29, s26
	s_delay_alu instid0(SALU_CYCLE_1)
	s_and_not1_b32 exec_lo, exec_lo, s26
	s_cbranch_execz .LBB373_116
.LBB373_114:                            ; =>This Inner Loop Header: Depth=1
	s_or_b32 s27, s27, exec_lo
	s_cmp_eq_u64 s[22:23], s[2:3]
	s_cbranch_scc0 .LBB373_112
; %bb.115:                              ;   in Loop: Header=BB373_114 Depth=1
	s_mov_b64 s[2:3], s[22:23]
                                        ; implicit-def: $sgpr6_sgpr7
	s_branch .LBB373_113
.LBB373_116:
	s_set_inst_prefetch_distance 0x2
	s_or_b32 exec_lo, exec_lo, s26
	v_cmp_gt_i64_e32 vcc_lo, s[22:23], v[38:39]
	s_or_not1_b32 s2, vcc_lo, exec_lo
.LBB373_117:
	s_or_b32 exec_lo, exec_lo, s25
.LBB373_118:
	v_or_b32_e32 v33, v42, v43
	s_delay_alu instid0(VALU_DEP_2)
	v_or_b32_e32 v34, v44, v45
	s_and_b32 vcc_lo, exec_lo, s24
	s_cbranch_vccz .LBB373_210
.LBB373_119:
	v_or_b32_e32 v33, 7, v55
	s_mov_b32 s24, 0
	s_mov_b32 s25, 0
	s_mov_b32 s26, exec_lo
	s_delay_alu instid0(VALU_DEP_1)
	v_cmpx_gt_u32_e64 s28, v33
	s_cbranch_execz .LBB373_130
; %bb.120:
	s_and_not1_b32 vcc_lo, exec_lo, s19
	s_mov_b32 s2, 0
	s_cbranch_vccnz .LBB373_129
; %bb.121:
	v_mad_u64_u32 v[33:34], null, v17, s22, s[8:9]
	s_waitcnt lgkmcnt(0)
	v_mul_lo_u32 v37, v17, s23
	v_mul_lo_u32 v38, v18, s22
	v_mad_u64_u32 v[35:36], null, v19, s22, s[8:9]
	v_mul_lo_u32 v39, v19, s23
	v_mul_lo_u32 v41, v20, s22
	s_mov_b32 s2, -1
	s_mov_b32 s19, exec_lo
	s_delay_alu instid0(VALU_DEP_4) | instskip(NEXT) | instid1(VALU_DEP_2)
	v_add3_u32 v34, v38, v34, v37
	v_add3_u32 v36, v41, v36, v39
	s_clause 0x1
	global_load_u8 v37, v[33:34], off
	global_load_u8 v38, v[35:36], off
	s_waitcnt vmcnt(0)
	v_cmpx_eq_u16_e64 v37, v38
	s_cbranch_execz .LBB373_128
; %bb.122:
	s_mov_b64 s[2:3], 1
                                        ; implicit-def: $sgpr27
	s_set_inst_prefetch_distance 0x1
	s_branch .LBB373_125
	.p2align	6
.LBB373_123:                            ;   in Loop: Header=BB373_125 Depth=1
	v_add_co_u32 v37, vcc_lo, v33, s2
	v_add_co_ci_u32_e32 v38, vcc_lo, s3, v34, vcc_lo
	v_add_co_u32 v41, vcc_lo, v35, s2
	v_add_co_ci_u32_e32 v42, vcc_lo, s3, v36, vcc_lo
	s_add_u32 s6, s2, 1
	s_clause 0x1
	global_load_u8 v37, v[37:38], off
	global_load_u8 v38, v[41:42], off
	s_addc_u32 s7, s3, 0
	s_and_not1_b32 s27, s27, exec_lo
	s_waitcnt vmcnt(0)
	v_cmp_ne_u16_e32 vcc_lo, v37, v38
	s_and_b32 s29, vcc_lo, exec_lo
	s_delay_alu instid0(SALU_CYCLE_1)
	s_or_b32 s27, s27, s29
.LBB373_124:                            ;   in Loop: Header=BB373_125 Depth=1
	v_dual_mov_b32 v38, s3 :: v_dual_mov_b32 v37, s2
	s_and_b32 s29, exec_lo, s27
	s_mov_b64 s[2:3], s[6:7]
	s_or_b32 s25, s29, s25
	s_delay_alu instid0(SALU_CYCLE_1)
	s_and_not1_b32 exec_lo, exec_lo, s25
	s_cbranch_execz .LBB373_127
.LBB373_125:                            ; =>This Inner Loop Header: Depth=1
	s_or_b32 s27, s27, exec_lo
	s_cmp_eq_u64 s[22:23], s[2:3]
	s_cbranch_scc0 .LBB373_123
; %bb.126:                              ;   in Loop: Header=BB373_125 Depth=1
	s_mov_b64 s[2:3], s[22:23]
                                        ; implicit-def: $sgpr6_sgpr7
	s_branch .LBB373_124
.LBB373_127:
	s_set_inst_prefetch_distance 0x2
	s_or_b32 exec_lo, exec_lo, s25
	v_cmp_gt_i64_e32 vcc_lo, s[22:23], v[37:38]
	s_or_not1_b32 s2, vcc_lo, exec_lo
.LBB373_128:
	s_or_b32 exec_lo, exec_lo, s19
.LBB373_129:
	s_delay_alu instid0(SALU_CYCLE_1)
	s_and_b32 s25, s2, exec_lo
.LBB373_130:
	s_or_b32 exec_lo, exec_lo, s26
	v_or_b32_e32 v33, 6, v55
	s_mov_b32 s19, exec_lo
	s_delay_alu instid0(VALU_DEP_1)
	v_cmpx_gt_u32_e64 s28, v33
	s_cbranch_execz .LBB373_141
; %bb.131:
	v_cmp_ne_u32_e32 vcc_lo, 1, v40
	s_mov_b32 s2, 0
	s_cbranch_vccnz .LBB373_140
; %bb.132:
	v_mad_u64_u32 v[33:34], null, v23, s22, s[8:9]
	s_waitcnt lgkmcnt(0)
	v_mul_lo_u32 v37, v23, s23
	v_mul_lo_u32 v38, v24, s22
	v_mad_u64_u32 v[35:36], null, v17, s22, s[8:9]
	v_mul_lo_u32 v39, v17, s23
	v_mul_lo_u32 v41, v18, s22
	s_mov_b32 s2, -1
	s_mov_b32 s24, exec_lo
	s_delay_alu instid0(VALU_DEP_4) | instskip(NEXT) | instid1(VALU_DEP_2)
	v_add3_u32 v34, v38, v34, v37
	v_add3_u32 v36, v41, v36, v39
	s_clause 0x1
	global_load_u8 v37, v[33:34], off
	global_load_u8 v38, v[35:36], off
	s_waitcnt vmcnt(0)
	v_cmpx_eq_u16_e64 v37, v38
	s_cbranch_execz .LBB373_139
; %bb.133:
	s_mov_b64 s[2:3], 1
	s_mov_b32 s26, 0
                                        ; implicit-def: $sgpr27
	s_set_inst_prefetch_distance 0x1
	s_branch .LBB373_136
	.p2align	6
.LBB373_134:                            ;   in Loop: Header=BB373_136 Depth=1
	v_add_co_u32 v37, vcc_lo, v33, s2
	v_add_co_ci_u32_e32 v38, vcc_lo, s3, v34, vcc_lo
	v_add_co_u32 v41, vcc_lo, v35, s2
	v_add_co_ci_u32_e32 v42, vcc_lo, s3, v36, vcc_lo
	s_add_u32 s6, s2, 1
	s_clause 0x1
	global_load_u8 v37, v[37:38], off
	global_load_u8 v38, v[41:42], off
	s_addc_u32 s7, s3, 0
	s_and_not1_b32 s27, s27, exec_lo
	s_waitcnt vmcnt(0)
	v_cmp_ne_u16_e32 vcc_lo, v37, v38
	s_and_b32 s29, vcc_lo, exec_lo
	s_delay_alu instid0(SALU_CYCLE_1)
	s_or_b32 s27, s27, s29
.LBB373_135:                            ;   in Loop: Header=BB373_136 Depth=1
	v_dual_mov_b32 v38, s3 :: v_dual_mov_b32 v37, s2
	s_and_b32 s29, exec_lo, s27
	s_mov_b64 s[2:3], s[6:7]
	s_or_b32 s26, s29, s26
	s_delay_alu instid0(SALU_CYCLE_1)
	s_and_not1_b32 exec_lo, exec_lo, s26
	s_cbranch_execz .LBB373_138
.LBB373_136:                            ; =>This Inner Loop Header: Depth=1
	s_or_b32 s27, s27, exec_lo
	s_cmp_eq_u64 s[22:23], s[2:3]
	s_cbranch_scc0 .LBB373_134
; %bb.137:                              ;   in Loop: Header=BB373_136 Depth=1
	s_mov_b64 s[2:3], s[22:23]
                                        ; implicit-def: $sgpr6_sgpr7
	s_branch .LBB373_135
.LBB373_138:
	s_set_inst_prefetch_distance 0x2
	s_or_b32 exec_lo, exec_lo, s26
	v_cmp_gt_i64_e32 vcc_lo, s[22:23], v[37:38]
	s_or_not1_b32 s2, vcc_lo, exec_lo
.LBB373_139:
	s_or_b32 exec_lo, exec_lo, s24
.LBB373_140:
	s_delay_alu instid0(SALU_CYCLE_1)
	s_and_b32 s24, s2, exec_lo
.LBB373_141:
	s_or_b32 exec_lo, exec_lo, s19
	v_or_b32_e32 v33, 5, v55
	s_mov_b32 s26, 0
	s_mov_b32 s19, 0
	s_mov_b32 s27, exec_lo
	s_delay_alu instid0(VALU_DEP_1)
	v_cmpx_gt_u32_e64 s28, v33
	s_cbranch_execz .LBB373_152
; %bb.142:
	v_cmp_ne_u32_e32 vcc_lo, 1, v40
	s_mov_b32 s2, 0
	s_cbranch_vccnz .LBB373_151
; %bb.143:
	v_mad_u64_u32 v[33:34], null, v21, s22, s[8:9]
	s_waitcnt lgkmcnt(0)
	v_mul_lo_u32 v37, v21, s23
	v_mul_lo_u32 v38, v22, s22
	v_mad_u64_u32 v[35:36], null, v23, s22, s[8:9]
	v_mul_lo_u32 v39, v23, s23
	v_mul_lo_u32 v41, v24, s22
	s_mov_b32 s2, -1
	s_mov_b32 s19, exec_lo
	s_delay_alu instid0(VALU_DEP_4) | instskip(NEXT) | instid1(VALU_DEP_2)
	v_add3_u32 v34, v38, v34, v37
	v_add3_u32 v36, v41, v36, v39
	s_clause 0x1
	global_load_u8 v37, v[33:34], off
	global_load_u8 v38, v[35:36], off
	s_waitcnt vmcnt(0)
	v_cmpx_eq_u16_e64 v37, v38
	s_cbranch_execz .LBB373_150
; %bb.144:
	s_mov_b64 s[2:3], 1
	s_mov_b32 s29, 0
                                        ; implicit-def: $sgpr30
	s_set_inst_prefetch_distance 0x1
	s_branch .LBB373_147
	.p2align	6
.LBB373_145:                            ;   in Loop: Header=BB373_147 Depth=1
	v_add_co_u32 v37, vcc_lo, v33, s2
	v_add_co_ci_u32_e32 v38, vcc_lo, s3, v34, vcc_lo
	v_add_co_u32 v41, vcc_lo, v35, s2
	v_add_co_ci_u32_e32 v42, vcc_lo, s3, v36, vcc_lo
	s_add_u32 s6, s2, 1
	s_clause 0x1
	global_load_u8 v37, v[37:38], off
	global_load_u8 v38, v[41:42], off
	s_addc_u32 s7, s3, 0
	s_and_not1_b32 s30, s30, exec_lo
	s_waitcnt vmcnt(0)
	v_cmp_ne_u16_e32 vcc_lo, v37, v38
	s_and_b32 s31, vcc_lo, exec_lo
	s_delay_alu instid0(SALU_CYCLE_1)
	s_or_b32 s30, s30, s31
.LBB373_146:                            ;   in Loop: Header=BB373_147 Depth=1
	v_dual_mov_b32 v38, s3 :: v_dual_mov_b32 v37, s2
	s_and_b32 s31, exec_lo, s30
	s_mov_b64 s[2:3], s[6:7]
	s_or_b32 s29, s31, s29
	s_delay_alu instid0(SALU_CYCLE_1)
	s_and_not1_b32 exec_lo, exec_lo, s29
	s_cbranch_execz .LBB373_149
.LBB373_147:                            ; =>This Inner Loop Header: Depth=1
	s_or_b32 s30, s30, exec_lo
	s_cmp_eq_u64 s[22:23], s[2:3]
	s_cbranch_scc0 .LBB373_145
; %bb.148:                              ;   in Loop: Header=BB373_147 Depth=1
	s_mov_b64 s[2:3], s[22:23]
                                        ; implicit-def: $sgpr6_sgpr7
	s_branch .LBB373_146
.LBB373_149:
	s_set_inst_prefetch_distance 0x2
	s_or_b32 exec_lo, exec_lo, s29
	v_cmp_gt_i64_e32 vcc_lo, s[22:23], v[37:38]
	s_or_not1_b32 s2, vcc_lo, exec_lo
.LBB373_150:
	s_or_b32 exec_lo, exec_lo, s19
.LBB373_151:
	s_delay_alu instid0(SALU_CYCLE_1)
	s_and_b32 s19, s2, exec_lo
.LBB373_152:
	s_or_b32 exec_lo, exec_lo, s27
	v_or_b32_e32 v33, 4, v55
	s_mov_b32 s27, exec_lo
	s_delay_alu instid0(VALU_DEP_1)
	v_cmpx_gt_u32_e64 s28, v33
	s_cbranch_execz .LBB373_163
; %bb.153:
	v_cmp_ne_u32_e32 vcc_lo, 1, v40
	s_mov_b32 s2, 0
	s_cbranch_vccnz .LBB373_162
; %bb.154:
	v_mad_u64_u32 v[33:34], null, v27, s22, s[8:9]
	s_waitcnt lgkmcnt(0)
	v_mul_lo_u32 v37, v27, s23
	v_mul_lo_u32 v38, v28, s22
	v_mad_u64_u32 v[35:36], null, v21, s22, s[8:9]
	v_mul_lo_u32 v39, v21, s23
	v_mul_lo_u32 v41, v22, s22
	s_mov_b32 s2, -1
	s_mov_b32 s26, exec_lo
	s_delay_alu instid0(VALU_DEP_4) | instskip(NEXT) | instid1(VALU_DEP_2)
	v_add3_u32 v34, v38, v34, v37
	v_add3_u32 v36, v41, v36, v39
	s_clause 0x1
	global_load_u8 v37, v[33:34], off
	global_load_u8 v38, v[35:36], off
	s_waitcnt vmcnt(0)
	v_cmpx_eq_u16_e64 v37, v38
	s_cbranch_execz .LBB373_161
; %bb.155:
	s_mov_b64 s[2:3], 1
	s_mov_b32 s29, 0
                                        ; implicit-def: $sgpr30
	s_set_inst_prefetch_distance 0x1
	s_branch .LBB373_158
	.p2align	6
.LBB373_156:                            ;   in Loop: Header=BB373_158 Depth=1
	v_add_co_u32 v37, vcc_lo, v33, s2
	v_add_co_ci_u32_e32 v38, vcc_lo, s3, v34, vcc_lo
	v_add_co_u32 v41, vcc_lo, v35, s2
	v_add_co_ci_u32_e32 v42, vcc_lo, s3, v36, vcc_lo
	s_add_u32 s6, s2, 1
	s_clause 0x1
	global_load_u8 v37, v[37:38], off
	global_load_u8 v38, v[41:42], off
	s_addc_u32 s7, s3, 0
	s_and_not1_b32 s30, s30, exec_lo
	s_waitcnt vmcnt(0)
	v_cmp_ne_u16_e32 vcc_lo, v37, v38
	s_and_b32 s31, vcc_lo, exec_lo
	s_delay_alu instid0(SALU_CYCLE_1)
	s_or_b32 s30, s30, s31
.LBB373_157:                            ;   in Loop: Header=BB373_158 Depth=1
	v_dual_mov_b32 v38, s3 :: v_dual_mov_b32 v37, s2
	s_and_b32 s31, exec_lo, s30
	s_mov_b64 s[2:3], s[6:7]
	s_or_b32 s29, s31, s29
	s_delay_alu instid0(SALU_CYCLE_1)
	s_and_not1_b32 exec_lo, exec_lo, s29
	s_cbranch_execz .LBB373_160
.LBB373_158:                            ; =>This Inner Loop Header: Depth=1
	s_or_b32 s30, s30, exec_lo
	s_cmp_eq_u64 s[22:23], s[2:3]
	s_cbranch_scc0 .LBB373_156
; %bb.159:                              ;   in Loop: Header=BB373_158 Depth=1
	s_mov_b64 s[2:3], s[22:23]
                                        ; implicit-def: $sgpr6_sgpr7
	s_branch .LBB373_157
.LBB373_160:
	s_set_inst_prefetch_distance 0x2
	s_or_b32 exec_lo, exec_lo, s29
	v_cmp_gt_i64_e32 vcc_lo, s[22:23], v[37:38]
	s_or_not1_b32 s2, vcc_lo, exec_lo
.LBB373_161:
	s_or_b32 exec_lo, exec_lo, s26
.LBB373_162:
	s_delay_alu instid0(SALU_CYCLE_1)
	s_and_b32 s26, s2, exec_lo
.LBB373_163:
	s_or_b32 exec_lo, exec_lo, s27
	v_or_b32_e32 v33, 3, v55
	s_mov_b32 s29, 0
	s_mov_b32 s27, 0
	s_mov_b32 s30, exec_lo
	s_delay_alu instid0(VALU_DEP_1)
	v_cmpx_gt_u32_e64 s28, v33
	s_cbranch_execz .LBB373_174
; %bb.164:
	v_cmp_ne_u32_e32 vcc_lo, 1, v40
	s_mov_b32 s2, 0
	s_cbranch_vccnz .LBB373_173
; %bb.165:
	v_mad_u64_u32 v[33:34], null, v25, s22, s[8:9]
	s_waitcnt lgkmcnt(0)
	v_mul_lo_u32 v37, v25, s23
	v_mul_lo_u32 v38, v26, s22
	v_mad_u64_u32 v[35:36], null, v27, s22, s[8:9]
	v_mul_lo_u32 v39, v27, s23
	v_mul_lo_u32 v41, v28, s22
	s_mov_b32 s2, -1
	s_mov_b32 s27, exec_lo
	s_delay_alu instid0(VALU_DEP_4) | instskip(NEXT) | instid1(VALU_DEP_2)
	v_add3_u32 v34, v38, v34, v37
	v_add3_u32 v36, v41, v36, v39
	s_clause 0x1
	global_load_u8 v37, v[33:34], off
	global_load_u8 v38, v[35:36], off
	s_waitcnt vmcnt(0)
	v_cmpx_eq_u16_e64 v37, v38
	s_cbranch_execz .LBB373_172
; %bb.166:
	s_mov_b64 s[2:3], 1
	s_mov_b32 s31, 0
                                        ; implicit-def: $sgpr33
	s_set_inst_prefetch_distance 0x1
	s_branch .LBB373_169
	.p2align	6
.LBB373_167:                            ;   in Loop: Header=BB373_169 Depth=1
	v_add_co_u32 v37, vcc_lo, v33, s2
	v_add_co_ci_u32_e32 v38, vcc_lo, s3, v34, vcc_lo
	v_add_co_u32 v41, vcc_lo, v35, s2
	v_add_co_ci_u32_e32 v42, vcc_lo, s3, v36, vcc_lo
	s_add_u32 s6, s2, 1
	s_clause 0x1
	global_load_u8 v37, v[37:38], off
	global_load_u8 v38, v[41:42], off
	s_addc_u32 s7, s3, 0
	s_and_not1_b32 s33, s33, exec_lo
	s_waitcnt vmcnt(0)
	v_cmp_ne_u16_e32 vcc_lo, v37, v38
	s_and_b32 s34, vcc_lo, exec_lo
	s_delay_alu instid0(SALU_CYCLE_1)
	s_or_b32 s33, s33, s34
.LBB373_168:                            ;   in Loop: Header=BB373_169 Depth=1
	v_dual_mov_b32 v38, s3 :: v_dual_mov_b32 v37, s2
	s_and_b32 s34, exec_lo, s33
	s_mov_b64 s[2:3], s[6:7]
	s_or_b32 s31, s34, s31
	s_delay_alu instid0(SALU_CYCLE_1)
	s_and_not1_b32 exec_lo, exec_lo, s31
	s_cbranch_execz .LBB373_171
.LBB373_169:                            ; =>This Inner Loop Header: Depth=1
	s_or_b32 s33, s33, exec_lo
	s_cmp_eq_u64 s[22:23], s[2:3]
	s_cbranch_scc0 .LBB373_167
; %bb.170:                              ;   in Loop: Header=BB373_169 Depth=1
	s_mov_b64 s[2:3], s[22:23]
                                        ; implicit-def: $sgpr6_sgpr7
	s_branch .LBB373_168
.LBB373_171:
	s_set_inst_prefetch_distance 0x2
	s_or_b32 exec_lo, exec_lo, s31
	v_cmp_gt_i64_e32 vcc_lo, s[22:23], v[37:38]
	s_or_not1_b32 s2, vcc_lo, exec_lo
.LBB373_172:
	s_or_b32 exec_lo, exec_lo, s27
.LBB373_173:
	s_delay_alu instid0(SALU_CYCLE_1)
	s_and_b32 s27, s2, exec_lo
.LBB373_174:
	s_or_b32 exec_lo, exec_lo, s30
	v_or_b32_e32 v33, 2, v55
	s_mov_b32 s30, exec_lo
	s_delay_alu instid0(VALU_DEP_1)
	v_cmpx_gt_u32_e64 s28, v33
	s_cbranch_execz .LBB373_185
; %bb.175:
	v_cmp_ne_u32_e32 vcc_lo, 1, v40
	s_mov_b32 s2, 0
	s_cbranch_vccnz .LBB373_184
; %bb.176:
	v_mad_u64_u32 v[33:34], null, v31, s22, s[8:9]
	s_waitcnt lgkmcnt(0)
	v_mul_lo_u32 v37, v31, s23
	v_mul_lo_u32 v38, v32, s22
	v_mad_u64_u32 v[35:36], null, v25, s22, s[8:9]
	v_mul_lo_u32 v39, v25, s23
	v_mul_lo_u32 v41, v26, s22
	s_mov_b32 s2, -1
	s_mov_b32 s29, exec_lo
	s_delay_alu instid0(VALU_DEP_4) | instskip(NEXT) | instid1(VALU_DEP_2)
	v_add3_u32 v34, v38, v34, v37
	v_add3_u32 v36, v41, v36, v39
	s_clause 0x1
	global_load_u8 v37, v[33:34], off
	global_load_u8 v38, v[35:36], off
	s_waitcnt vmcnt(0)
	v_cmpx_eq_u16_e64 v37, v38
	s_cbranch_execz .LBB373_183
; %bb.177:
	s_mov_b64 s[2:3], 1
	s_mov_b32 s31, 0
                                        ; implicit-def: $sgpr33
	s_set_inst_prefetch_distance 0x1
	s_branch .LBB373_180
	.p2align	6
.LBB373_178:                            ;   in Loop: Header=BB373_180 Depth=1
	v_add_co_u32 v37, vcc_lo, v33, s2
	v_add_co_ci_u32_e32 v38, vcc_lo, s3, v34, vcc_lo
	v_add_co_u32 v41, vcc_lo, v35, s2
	v_add_co_ci_u32_e32 v42, vcc_lo, s3, v36, vcc_lo
	s_add_u32 s6, s2, 1
	s_clause 0x1
	global_load_u8 v37, v[37:38], off
	global_load_u8 v38, v[41:42], off
	s_addc_u32 s7, s3, 0
	s_and_not1_b32 s33, s33, exec_lo
	s_waitcnt vmcnt(0)
	v_cmp_ne_u16_e32 vcc_lo, v37, v38
	s_and_b32 s34, vcc_lo, exec_lo
	s_delay_alu instid0(SALU_CYCLE_1)
	s_or_b32 s33, s33, s34
.LBB373_179:                            ;   in Loop: Header=BB373_180 Depth=1
	v_dual_mov_b32 v38, s3 :: v_dual_mov_b32 v37, s2
	s_and_b32 s34, exec_lo, s33
	s_mov_b64 s[2:3], s[6:7]
	s_or_b32 s31, s34, s31
	s_delay_alu instid0(SALU_CYCLE_1)
	s_and_not1_b32 exec_lo, exec_lo, s31
	s_cbranch_execz .LBB373_182
.LBB373_180:                            ; =>This Inner Loop Header: Depth=1
	s_or_b32 s33, s33, exec_lo
	s_cmp_eq_u64 s[22:23], s[2:3]
	s_cbranch_scc0 .LBB373_178
; %bb.181:                              ;   in Loop: Header=BB373_180 Depth=1
	s_mov_b64 s[2:3], s[22:23]
                                        ; implicit-def: $sgpr6_sgpr7
	s_branch .LBB373_179
.LBB373_182:
	s_set_inst_prefetch_distance 0x2
	s_or_b32 exec_lo, exec_lo, s31
	v_cmp_gt_i64_e32 vcc_lo, s[22:23], v[37:38]
	s_or_not1_b32 s2, vcc_lo, exec_lo
.LBB373_183:
	s_or_b32 exec_lo, exec_lo, s29
.LBB373_184:
	s_delay_alu instid0(SALU_CYCLE_1)
	s_and_b32 s29, s2, exec_lo
.LBB373_185:
	s_or_b32 exec_lo, exec_lo, s30
	v_or_b32_e32 v33, 1, v55
	s_mov_b32 s2, 0
	s_mov_b32 s30, exec_lo
	s_delay_alu instid0(VALU_DEP_1)
	v_cmpx_gt_u32_e64 s28, v33
	s_cbranch_execz .LBB373_196
; %bb.186:
	v_cmp_ne_u32_e32 vcc_lo, 1, v40
	s_cbranch_vccnz .LBB373_195
; %bb.187:
	v_mad_u64_u32 v[33:34], null, v29, s22, s[8:9]
	s_waitcnt lgkmcnt(0)
	v_mul_lo_u32 v37, v29, s23
	v_mul_lo_u32 v38, v30, s22
	v_mad_u64_u32 v[35:36], null, v31, s22, s[8:9]
	v_mul_lo_u32 v39, v31, s23
	v_mul_lo_u32 v41, v32, s22
	s_mov_b32 s2, -1
	s_mov_b32 s31, exec_lo
	s_delay_alu instid0(VALU_DEP_4) | instskip(NEXT) | instid1(VALU_DEP_2)
	v_add3_u32 v34, v38, v34, v37
	v_add3_u32 v36, v41, v36, v39
	s_clause 0x1
	global_load_u8 v37, v[33:34], off
	global_load_u8 v38, v[35:36], off
	s_waitcnt vmcnt(0)
	v_cmpx_eq_u16_e64 v37, v38
	s_cbranch_execz .LBB373_194
; %bb.188:
	s_mov_b64 s[2:3], 1
	s_mov_b32 s33, 0
                                        ; implicit-def: $sgpr34
	s_set_inst_prefetch_distance 0x1
	s_branch .LBB373_191
	.p2align	6
.LBB373_189:                            ;   in Loop: Header=BB373_191 Depth=1
	v_add_co_u32 v37, vcc_lo, v33, s2
	v_add_co_ci_u32_e32 v38, vcc_lo, s3, v34, vcc_lo
	v_add_co_u32 v41, vcc_lo, v35, s2
	v_add_co_ci_u32_e32 v42, vcc_lo, s3, v36, vcc_lo
	s_add_u32 s6, s2, 1
	s_clause 0x1
	global_load_u8 v37, v[37:38], off
	global_load_u8 v38, v[41:42], off
	s_addc_u32 s7, s3, 0
	s_and_not1_b32 s34, s34, exec_lo
	s_waitcnt vmcnt(0)
	v_cmp_ne_u16_e32 vcc_lo, v37, v38
	s_and_b32 s35, vcc_lo, exec_lo
	s_delay_alu instid0(SALU_CYCLE_1)
	s_or_b32 s34, s34, s35
.LBB373_190:                            ;   in Loop: Header=BB373_191 Depth=1
	v_dual_mov_b32 v38, s3 :: v_dual_mov_b32 v37, s2
	s_and_b32 s35, exec_lo, s34
	s_mov_b64 s[2:3], s[6:7]
	s_or_b32 s33, s35, s33
	s_delay_alu instid0(SALU_CYCLE_1)
	s_and_not1_b32 exec_lo, exec_lo, s33
	s_cbranch_execz .LBB373_193
.LBB373_191:                            ; =>This Inner Loop Header: Depth=1
	s_or_b32 s34, s34, exec_lo
	s_cmp_eq_u64 s[22:23], s[2:3]
	s_cbranch_scc0 .LBB373_189
; %bb.192:                              ;   in Loop: Header=BB373_191 Depth=1
	s_mov_b64 s[2:3], s[22:23]
                                        ; implicit-def: $sgpr6_sgpr7
	s_branch .LBB373_190
.LBB373_193:
	s_set_inst_prefetch_distance 0x2
	s_or_b32 exec_lo, exec_lo, s33
	v_cmp_gt_i64_e32 vcc_lo, s[22:23], v[37:38]
	s_or_not1_b32 s2, vcc_lo, exec_lo
.LBB373_194:
	s_or_b32 exec_lo, exec_lo, s31
.LBB373_195:
	s_delay_alu instid0(SALU_CYCLE_1)
	s_and_b32 s2, s2, exec_lo
.LBB373_196:
	s_or_b32 exec_lo, exec_lo, s30
	s_waitcnt lgkmcnt(0)
	v_dual_mov_b32 v36, s5 :: v_dual_mov_b32 v35, s4
	s_mov_b32 s3, exec_lo
	s_barrier
	buffer_gl0_inv
	v_cmpx_ne_u32_e32 0, v0
	s_cbranch_execz .LBB373_198
; %bb.197:
	v_add_nc_u32_e32 v33, -8, v55
	ds_load_b64 v[35:36], v33
.LBB373_198:
	s_or_b32 exec_lo, exec_lo, s3
	v_cndmask_b32_e64 v34, 0, 1, s27
	v_cndmask_b32_e64 v38, 0, 1, s19
	;; [unrolled: 1-line block ×7, first 2 shown]
	v_lshlrev_b16 v34, 8, v34
	v_lshlrev_b16 v38, 8, v38
	;; [unrolled: 1-line block ×3, first 2 shown]
	s_mov_b32 s2, 0
	v_lshlrev_b16 v42, 8, v42
	v_or_b32_e32 v33, v33, v34
	v_or_b32_e32 v34, v37, v38
	;; [unrolled: 1-line block ×3, first 2 shown]
	s_mov_b32 s6, exec_lo
	v_and_b32_e32 v39, 0xffff, v42
	v_lshlrev_b32_e32 v41, 16, v33
	v_and_b32_e32 v42, 0xffff, v34
	v_lshlrev_b32_e32 v43, 16, v37
	v_cmpx_gt_u32_e64 s28, v55
	s_cbranch_execz .LBB373_209
; %bb.199:
	v_cmp_ne_u32_e32 vcc_lo, 1, v40
	s_cbranch_vccnz .LBB373_208
; %bb.200:
	s_waitcnt lgkmcnt(0)
	v_mad_u64_u32 v[33:34], null, v35, s22, s[8:9]
	v_mul_lo_u32 v37, v35, s23
	v_mul_lo_u32 v38, v36, s22
	v_mad_u64_u32 v[35:36], null, v29, s22, s[8:9]
	v_mul_lo_u32 v40, v29, s23
	v_mul_lo_u32 v44, v30, s22
	s_mov_b32 s2, -1
	s_mov_b32 s7, exec_lo
	s_delay_alu instid0(VALU_DEP_4) | instskip(NEXT) | instid1(VALU_DEP_2)
	v_add3_u32 v34, v38, v34, v37
	v_add3_u32 v36, v44, v36, v40
	s_clause 0x1
	global_load_u8 v37, v[33:34], off
	global_load_u8 v38, v[35:36], off
	s_waitcnt vmcnt(0)
	v_cmpx_eq_u16_e64 v37, v38
	s_cbranch_execz .LBB373_207
; %bb.201:
	s_mov_b64 s[2:3], 1
	s_mov_b32 s19, 0
                                        ; implicit-def: $sgpr24
	s_set_inst_prefetch_distance 0x1
	s_branch .LBB373_204
	.p2align	6
.LBB373_202:                            ;   in Loop: Header=BB373_204 Depth=1
	v_add_co_u32 v37, vcc_lo, v33, s2
	v_add_co_ci_u32_e32 v38, vcc_lo, s3, v34, vcc_lo
	v_add_co_u32 v44, vcc_lo, v35, s2
	v_add_co_ci_u32_e32 v45, vcc_lo, s3, v36, vcc_lo
	s_add_u32 s4, s2, 1
	s_clause 0x1
	global_load_u8 v37, v[37:38], off
	global_load_u8 v38, v[44:45], off
	s_addc_u32 s5, s3, 0
	s_and_not1_b32 s24, s24, exec_lo
	s_waitcnt vmcnt(0)
	v_cmp_ne_u16_e32 vcc_lo, v37, v38
	s_and_b32 s25, vcc_lo, exec_lo
	s_delay_alu instid0(SALU_CYCLE_1)
	s_or_b32 s24, s24, s25
.LBB373_203:                            ;   in Loop: Header=BB373_204 Depth=1
	v_dual_mov_b32 v38, s3 :: v_dual_mov_b32 v37, s2
	s_and_b32 s25, exec_lo, s24
	s_mov_b64 s[2:3], s[4:5]
	s_or_b32 s19, s25, s19
	s_delay_alu instid0(SALU_CYCLE_1)
	s_and_not1_b32 exec_lo, exec_lo, s19
	s_cbranch_execz .LBB373_206
.LBB373_204:                            ; =>This Inner Loop Header: Depth=1
	s_or_b32 s24, s24, exec_lo
	s_cmp_eq_u64 s[22:23], s[2:3]
	s_cbranch_scc0 .LBB373_202
; %bb.205:                              ;   in Loop: Header=BB373_204 Depth=1
	s_mov_b64 s[2:3], s[22:23]
                                        ; implicit-def: $sgpr4_sgpr5
	s_branch .LBB373_203
.LBB373_206:
	s_set_inst_prefetch_distance 0x2
	s_or_b32 exec_lo, exec_lo, s19
	v_cmp_gt_i64_e32 vcc_lo, s[22:23], v[37:38]
	s_or_not1_b32 s2, vcc_lo, exec_lo
.LBB373_207:
	s_or_b32 exec_lo, exec_lo, s7
.LBB373_208:
	s_delay_alu instid0(SALU_CYCLE_1)
	s_and_b32 s2, s2, exec_lo
.LBB373_209:
	s_or_b32 exec_lo, exec_lo, s6
	v_or_b32_e32 v33, v39, v41
	v_or_b32_e32 v34, v42, v43
.LBB373_210:
	s_mov_b32 s6, -1
	s_cbranch_execnz .LBB373_379
.LBB373_211:
	v_cmp_gt_i64_e64 s7, s[22:23], 0
	s_and_b32 vcc_lo, exec_lo, s20
	ds_store_b64 v55, v[19:20]
	s_cbranch_vccz .LBB373_219
; %bb.212:
	s_waitcnt lgkmcnt(0)
	v_mul_lo_u32 v35, v18, s22
	v_mul_lo_u32 v36, v17, s23
	v_mad_u64_u32 v[33:34], null, v17, s22, 0
	s_mov_b32 s19, 0
	s_and_not1_b32 vcc_lo, exec_lo, s7
	s_mov_b32 s24, 0
	s_delay_alu instid0(VALU_DEP_1)
	v_add3_u32 v40, v34, v36, v35
	s_cbranch_vccnz .LBB373_222
; %bb.213:
	v_mad_u64_u32 v[34:35], null, v19, s22, s[8:9]
	v_mul_lo_u32 v38, v19, s23
	v_mul_lo_u32 v39, v20, s22
	v_add_co_u32 v36, vcc_lo, s8, v33
	v_add_co_ci_u32_e32 v37, vcc_lo, s9, v40, vcc_lo
	s_mov_b32 s24, -1
	s_mov_b32 s25, exec_lo
	s_delay_alu instid0(VALU_DEP_3)
	v_add3_u32 v35, v39, v35, v38
	s_clause 0x1
	global_load_u8 v38, v[36:37], off
	global_load_u8 v39, v[34:35], off
	s_waitcnt vmcnt(0)
	v_cmpx_eq_u16_e64 v38, v39
	s_cbranch_execz .LBB373_221
; %bb.214:
	s_mov_b64 s[2:3], 1
	s_mov_b32 s24, 0
                                        ; implicit-def: $sgpr26
	s_set_inst_prefetch_distance 0x1
	s_branch .LBB373_217
	.p2align	6
.LBB373_215:                            ;   in Loop: Header=BB373_217 Depth=1
	v_add_co_u32 v38, vcc_lo, v36, s2
	v_add_co_ci_u32_e32 v39, vcc_lo, s3, v37, vcc_lo
	v_add_co_u32 v41, vcc_lo, v34, s2
	v_add_co_ci_u32_e32 v42, vcc_lo, s3, v35, vcc_lo
	s_add_u32 s4, s2, 1
	s_clause 0x1
	global_load_u8 v38, v[38:39], off
	global_load_u8 v39, v[41:42], off
	s_addc_u32 s5, s3, 0
	s_and_not1_b32 s26, s26, exec_lo
	s_waitcnt vmcnt(0)
	v_cmp_ne_u16_e32 vcc_lo, v38, v39
	s_and_b32 s27, vcc_lo, exec_lo
	s_delay_alu instid0(SALU_CYCLE_1)
	s_or_b32 s26, s26, s27
.LBB373_216:                            ;   in Loop: Header=BB373_217 Depth=1
	v_dual_mov_b32 v39, s3 :: v_dual_mov_b32 v38, s2
	s_and_b32 s27, exec_lo, s26
	s_mov_b64 s[2:3], s[4:5]
	s_or_b32 s24, s27, s24
	s_delay_alu instid0(SALU_CYCLE_1)
	s_and_not1_b32 exec_lo, exec_lo, s24
	s_cbranch_execz .LBB373_220
.LBB373_217:                            ; =>This Inner Loop Header: Depth=1
	s_or_b32 s26, s26, exec_lo
	s_cmp_eq_u64 s[22:23], s[2:3]
	s_cbranch_scc0 .LBB373_215
; %bb.218:                              ;   in Loop: Header=BB373_217 Depth=1
	s_mov_b64 s[2:3], s[22:23]
                                        ; implicit-def: $sgpr4_sgpr5
	s_branch .LBB373_216
.LBB373_219:
                                        ; implicit-def: $sgpr2
                                        ; implicit-def: $vgpr34
	s_cbranch_execnz .LBB373_288
	s_branch .LBB373_379
.LBB373_220:
	s_set_inst_prefetch_distance 0x2
	s_or_b32 exec_lo, exec_lo, s24
	v_cmp_gt_i64_e32 vcc_lo, s[22:23], v[38:39]
	s_or_not1_b32 s24, vcc_lo, exec_lo
.LBB373_221:
	s_or_b32 exec_lo, exec_lo, s25
.LBB373_222:
	v_mul_lo_u32 v36, v24, s22
	v_mul_lo_u32 v37, v23, s23
	v_mad_u64_u32 v[34:35], null, v23, s22, 0
	s_and_not1_b32 vcc_lo, exec_lo, s7
	s_delay_alu instid0(VALU_DEP_1)
	v_add3_u32 v41, v35, v37, v36
	s_cbranch_vccnz .LBB373_231
; %bb.223:
	s_delay_alu instid0(VALU_DEP_2) | instskip(NEXT) | instid1(VALU_DEP_2)
	v_add_co_u32 v35, vcc_lo, s8, v34
	v_add_co_ci_u32_e32 v36, vcc_lo, s9, v41, vcc_lo
	v_add_co_u32 v37, vcc_lo, s8, v33
	v_add_co_ci_u32_e32 v38, vcc_lo, s9, v40, vcc_lo
	s_mov_b32 s19, -1
	s_clause 0x1
	global_load_u8 v33, v[35:36], off
	global_load_u8 v39, v[37:38], off
	s_mov_b32 s25, exec_lo
	s_waitcnt vmcnt(0)
	v_cmpx_eq_u16_e64 v33, v39
	s_cbranch_execz .LBB373_230
; %bb.224:
	s_mov_b64 s[2:3], 1
	s_mov_b32 s19, 0
                                        ; implicit-def: $sgpr26
	s_set_inst_prefetch_distance 0x1
	s_branch .LBB373_227
	.p2align	6
.LBB373_225:                            ;   in Loop: Header=BB373_227 Depth=1
	v_add_co_u32 v39, vcc_lo, v35, s2
	v_add_co_ci_u32_e32 v40, vcc_lo, s3, v36, vcc_lo
	v_add_co_u32 v42, vcc_lo, v37, s2
	v_add_co_ci_u32_e32 v43, vcc_lo, s3, v38, vcc_lo
	s_add_u32 s4, s2, 1
	s_clause 0x1
	global_load_u8 v33, v[39:40], off
	global_load_u8 v39, v[42:43], off
	s_addc_u32 s5, s3, 0
	s_and_not1_b32 s26, s26, exec_lo
	s_waitcnt vmcnt(0)
	v_cmp_ne_u16_e32 vcc_lo, v33, v39
	s_and_b32 s27, vcc_lo, exec_lo
	s_delay_alu instid0(SALU_CYCLE_1)
	s_or_b32 s26, s26, s27
.LBB373_226:                            ;   in Loop: Header=BB373_227 Depth=1
	v_dual_mov_b32 v40, s3 :: v_dual_mov_b32 v39, s2
	s_and_b32 s27, exec_lo, s26
	s_mov_b64 s[2:3], s[4:5]
	s_or_b32 s19, s27, s19
	s_delay_alu instid0(SALU_CYCLE_1)
	s_and_not1_b32 exec_lo, exec_lo, s19
	s_cbranch_execz .LBB373_229
.LBB373_227:                            ; =>This Inner Loop Header: Depth=1
	s_or_b32 s26, s26, exec_lo
	s_cmp_eq_u64 s[22:23], s[2:3]
	s_cbranch_scc0 .LBB373_225
; %bb.228:                              ;   in Loop: Header=BB373_227 Depth=1
	s_mov_b64 s[2:3], s[22:23]
                                        ; implicit-def: $sgpr4_sgpr5
	s_branch .LBB373_226
.LBB373_229:
	s_set_inst_prefetch_distance 0x2
	s_or_b32 exec_lo, exec_lo, s19
	v_cmp_gt_i64_e32 vcc_lo, s[22:23], v[39:40]
	s_or_not1_b32 s19, vcc_lo, exec_lo
.LBB373_230:
	s_or_b32 exec_lo, exec_lo, s25
.LBB373_231:
	v_mul_lo_u32 v33, v22, s22
	v_mul_lo_u32 v37, v21, s23
	v_mad_u64_u32 v[35:36], null, v21, s22, 0
	s_mov_b32 s25, 0
	s_and_not1_b32 vcc_lo, exec_lo, s7
	s_mov_b32 s26, 0
	s_delay_alu instid0(VALU_DEP_1)
	v_add3_u32 v42, v36, v37, v33
	s_cbranch_vccnz .LBB373_240
; %bb.232:
	s_delay_alu instid0(VALU_DEP_2) | instskip(NEXT) | instid1(VALU_DEP_2)
	v_add_co_u32 v36, vcc_lo, s8, v35
	v_add_co_ci_u32_e32 v37, vcc_lo, s9, v42, vcc_lo
	v_add_co_u32 v33, vcc_lo, s8, v34
	v_add_co_ci_u32_e32 v34, vcc_lo, s9, v41, vcc_lo
	s_mov_b32 s26, -1
	s_clause 0x1
	global_load_u8 v38, v[36:37], off
	global_load_u8 v39, v[33:34], off
	s_mov_b32 s27, exec_lo
	s_waitcnt vmcnt(0)
	v_cmpx_eq_u16_e64 v38, v39
	s_cbranch_execz .LBB373_239
; %bb.233:
	s_mov_b64 s[2:3], 1
	s_mov_b32 s26, 0
                                        ; implicit-def: $sgpr29
	s_set_inst_prefetch_distance 0x1
	s_branch .LBB373_236
	.p2align	6
.LBB373_234:                            ;   in Loop: Header=BB373_236 Depth=1
	v_add_co_u32 v38, vcc_lo, v36, s2
	v_add_co_ci_u32_e32 v39, vcc_lo, s3, v37, vcc_lo
	v_add_co_u32 v40, vcc_lo, v33, s2
	v_add_co_ci_u32_e32 v41, vcc_lo, s3, v34, vcc_lo
	s_add_u32 s4, s2, 1
	s_clause 0x1
	global_load_u8 v38, v[38:39], off
	global_load_u8 v39, v[40:41], off
	s_addc_u32 s5, s3, 0
	s_and_not1_b32 s29, s29, exec_lo
	s_waitcnt vmcnt(0)
	v_cmp_ne_u16_e32 vcc_lo, v38, v39
	s_and_b32 s30, vcc_lo, exec_lo
	s_delay_alu instid0(SALU_CYCLE_1)
	s_or_b32 s29, s29, s30
.LBB373_235:                            ;   in Loop: Header=BB373_236 Depth=1
	v_dual_mov_b32 v39, s3 :: v_dual_mov_b32 v38, s2
	s_and_b32 s30, exec_lo, s29
	s_mov_b64 s[2:3], s[4:5]
	s_or_b32 s26, s30, s26
	s_delay_alu instid0(SALU_CYCLE_1)
	s_and_not1_b32 exec_lo, exec_lo, s26
	s_cbranch_execz .LBB373_238
.LBB373_236:                            ; =>This Inner Loop Header: Depth=1
	s_or_b32 s29, s29, exec_lo
	s_cmp_eq_u64 s[22:23], s[2:3]
	s_cbranch_scc0 .LBB373_234
; %bb.237:                              ;   in Loop: Header=BB373_236 Depth=1
	s_mov_b64 s[2:3], s[22:23]
                                        ; implicit-def: $sgpr4_sgpr5
	s_branch .LBB373_235
.LBB373_238:
	s_set_inst_prefetch_distance 0x2
	s_or_b32 exec_lo, exec_lo, s26
	v_cmp_gt_i64_e32 vcc_lo, s[22:23], v[38:39]
	s_or_not1_b32 s26, vcc_lo, exec_lo
.LBB373_239:
	s_or_b32 exec_lo, exec_lo, s27
.LBB373_240:
	v_mul_lo_u32 v36, v28, s22
	v_mul_lo_u32 v37, v27, s23
	v_mad_u64_u32 v[33:34], null, v27, s22, 0
	s_and_not1_b32 vcc_lo, exec_lo, s7
	s_delay_alu instid0(VALU_DEP_1)
	v_add3_u32 v40, v34, v37, v36
	s_cbranch_vccnz .LBB373_249
; %bb.241:
	s_delay_alu instid0(VALU_DEP_2) | instskip(NEXT) | instid1(VALU_DEP_2)
	v_add_co_u32 v36, vcc_lo, s8, v33
	v_add_co_ci_u32_e32 v37, vcc_lo, s9, v40, vcc_lo
	v_add_co_u32 v34, vcc_lo, s8, v35
	v_add_co_ci_u32_e32 v35, vcc_lo, s9, v42, vcc_lo
	s_mov_b32 s25, -1
	s_clause 0x1
	global_load_u8 v38, v[36:37], off
	global_load_u8 v39, v[34:35], off
	s_mov_b32 s27, exec_lo
	s_waitcnt vmcnt(0)
	v_cmpx_eq_u16_e64 v38, v39
	s_cbranch_execz .LBB373_248
; %bb.242:
	s_mov_b64 s[2:3], 1
	s_mov_b32 s25, 0
                                        ; implicit-def: $sgpr29
	s_set_inst_prefetch_distance 0x1
	s_branch .LBB373_245
	.p2align	6
.LBB373_243:                            ;   in Loop: Header=BB373_245 Depth=1
	v_add_co_u32 v38, vcc_lo, v36, s2
	v_add_co_ci_u32_e32 v39, vcc_lo, s3, v37, vcc_lo
	v_add_co_u32 v41, vcc_lo, v34, s2
	v_add_co_ci_u32_e32 v42, vcc_lo, s3, v35, vcc_lo
	s_add_u32 s4, s2, 1
	s_clause 0x1
	global_load_u8 v38, v[38:39], off
	global_load_u8 v39, v[41:42], off
	s_addc_u32 s5, s3, 0
	s_and_not1_b32 s29, s29, exec_lo
	s_waitcnt vmcnt(0)
	v_cmp_ne_u16_e32 vcc_lo, v38, v39
	s_and_b32 s30, vcc_lo, exec_lo
	s_delay_alu instid0(SALU_CYCLE_1)
	s_or_b32 s29, s29, s30
.LBB373_244:                            ;   in Loop: Header=BB373_245 Depth=1
	v_dual_mov_b32 v39, s3 :: v_dual_mov_b32 v38, s2
	s_and_b32 s30, exec_lo, s29
	s_mov_b64 s[2:3], s[4:5]
	s_or_b32 s25, s30, s25
	s_delay_alu instid0(SALU_CYCLE_1)
	s_and_not1_b32 exec_lo, exec_lo, s25
	s_cbranch_execz .LBB373_247
.LBB373_245:                            ; =>This Inner Loop Header: Depth=1
	s_or_b32 s29, s29, exec_lo
	s_cmp_eq_u64 s[22:23], s[2:3]
	s_cbranch_scc0 .LBB373_243
; %bb.246:                              ;   in Loop: Header=BB373_245 Depth=1
	s_mov_b64 s[2:3], s[22:23]
                                        ; implicit-def: $sgpr4_sgpr5
	s_branch .LBB373_244
.LBB373_247:
	s_set_inst_prefetch_distance 0x2
	s_or_b32 exec_lo, exec_lo, s25
	v_cmp_gt_i64_e32 vcc_lo, s[22:23], v[38:39]
	s_or_not1_b32 s25, vcc_lo, exec_lo
.LBB373_248:
	s_or_b32 exec_lo, exec_lo, s27
.LBB373_249:
	v_mul_lo_u32 v34, v26, s22
	v_mul_lo_u32 v37, v25, s23
	v_mad_u64_u32 v[35:36], null, v25, s22, 0
	s_mov_b32 s27, 0
	s_and_not1_b32 vcc_lo, exec_lo, s7
	s_mov_b32 s29, 0
	s_delay_alu instid0(VALU_DEP_1)
	v_add3_u32 v42, v36, v37, v34
	s_cbranch_vccnz .LBB373_258
; %bb.250:
	s_delay_alu instid0(VALU_DEP_2) | instskip(NEXT) | instid1(VALU_DEP_2)
	v_add_co_u32 v36, vcc_lo, s8, v35
	v_add_co_ci_u32_e32 v37, vcc_lo, s9, v42, vcc_lo
	v_add_co_u32 v33, vcc_lo, s8, v33
	v_add_co_ci_u32_e32 v34, vcc_lo, s9, v40, vcc_lo
	s_mov_b32 s29, -1
	s_clause 0x1
	global_load_u8 v38, v[36:37], off
	global_load_u8 v39, v[33:34], off
	s_mov_b32 s30, exec_lo
	s_waitcnt vmcnt(0)
	v_cmpx_eq_u16_e64 v38, v39
	s_cbranch_execz .LBB373_257
; %bb.251:
	s_mov_b64 s[2:3], 1
	s_mov_b32 s29, 0
                                        ; implicit-def: $sgpr31
	s_set_inst_prefetch_distance 0x1
	s_branch .LBB373_254
	.p2align	6
.LBB373_252:                            ;   in Loop: Header=BB373_254 Depth=1
	v_add_co_u32 v38, vcc_lo, v36, s2
	v_add_co_ci_u32_e32 v39, vcc_lo, s3, v37, vcc_lo
	v_add_co_u32 v40, vcc_lo, v33, s2
	v_add_co_ci_u32_e32 v41, vcc_lo, s3, v34, vcc_lo
	s_add_u32 s4, s2, 1
	s_clause 0x1
	global_load_u8 v38, v[38:39], off
	global_load_u8 v39, v[40:41], off
	s_addc_u32 s5, s3, 0
	s_and_not1_b32 s31, s31, exec_lo
	s_waitcnt vmcnt(0)
	v_cmp_ne_u16_e32 vcc_lo, v38, v39
	s_and_b32 s33, vcc_lo, exec_lo
	s_delay_alu instid0(SALU_CYCLE_1)
	s_or_b32 s31, s31, s33
.LBB373_253:                            ;   in Loop: Header=BB373_254 Depth=1
	v_dual_mov_b32 v39, s3 :: v_dual_mov_b32 v38, s2
	s_and_b32 s33, exec_lo, s31
	s_mov_b64 s[2:3], s[4:5]
	s_or_b32 s29, s33, s29
	s_delay_alu instid0(SALU_CYCLE_1)
	s_and_not1_b32 exec_lo, exec_lo, s29
	s_cbranch_execz .LBB373_256
.LBB373_254:                            ; =>This Inner Loop Header: Depth=1
	s_or_b32 s31, s31, exec_lo
	s_cmp_eq_u64 s[22:23], s[2:3]
	s_cbranch_scc0 .LBB373_252
; %bb.255:                              ;   in Loop: Header=BB373_254 Depth=1
	s_mov_b64 s[2:3], s[22:23]
                                        ; implicit-def: $sgpr4_sgpr5
	s_branch .LBB373_253
.LBB373_256:
	s_set_inst_prefetch_distance 0x2
	s_or_b32 exec_lo, exec_lo, s29
	v_cmp_gt_i64_e32 vcc_lo, s[22:23], v[38:39]
	s_or_not1_b32 s29, vcc_lo, exec_lo
.LBB373_257:
	s_or_b32 exec_lo, exec_lo, s30
.LBB373_258:
	v_mul_lo_u32 v36, v32, s22
	v_mul_lo_u32 v37, v31, s23
	v_mad_u64_u32 v[33:34], null, v31, s22, 0
	s_and_not1_b32 vcc_lo, exec_lo, s7
	s_delay_alu instid0(VALU_DEP_1)
	v_add3_u32 v41, v34, v37, v36
	s_cbranch_vccnz .LBB373_267
; %bb.259:
	s_delay_alu instid0(VALU_DEP_2) | instskip(NEXT) | instid1(VALU_DEP_2)
	v_add_co_u32 v36, vcc_lo, s8, v33
	v_add_co_ci_u32_e32 v37, vcc_lo, s9, v41, vcc_lo
	v_add_co_u32 v34, vcc_lo, s8, v35
	v_add_co_ci_u32_e32 v35, vcc_lo, s9, v42, vcc_lo
	s_mov_b32 s27, -1
	s_clause 0x1
	global_load_u8 v38, v[36:37], off
	global_load_u8 v39, v[34:35], off
	s_mov_b32 s30, exec_lo
	s_waitcnt vmcnt(0)
	v_cmpx_eq_u16_e64 v38, v39
	s_cbranch_execz .LBB373_266
; %bb.260:
	s_mov_b64 s[2:3], 1
	s_mov_b32 s27, 0
                                        ; implicit-def: $sgpr31
	s_set_inst_prefetch_distance 0x1
	s_branch .LBB373_263
	.p2align	6
.LBB373_261:                            ;   in Loop: Header=BB373_263 Depth=1
	v_add_co_u32 v38, vcc_lo, v36, s2
	v_add_co_ci_u32_e32 v39, vcc_lo, s3, v37, vcc_lo
	v_add_co_u32 v42, vcc_lo, v34, s2
	v_add_co_ci_u32_e32 v43, vcc_lo, s3, v35, vcc_lo
	s_add_u32 s4, s2, 1
	s_clause 0x1
	global_load_u8 v38, v[38:39], off
	global_load_u8 v39, v[42:43], off
	s_addc_u32 s5, s3, 0
	s_and_not1_b32 s31, s31, exec_lo
	s_waitcnt vmcnt(0)
	v_cmp_ne_u16_e32 vcc_lo, v38, v39
	s_and_b32 s33, vcc_lo, exec_lo
	s_delay_alu instid0(SALU_CYCLE_1)
	s_or_b32 s31, s31, s33
.LBB373_262:                            ;   in Loop: Header=BB373_263 Depth=1
	v_dual_mov_b32 v39, s3 :: v_dual_mov_b32 v38, s2
	s_and_b32 s33, exec_lo, s31
	s_mov_b64 s[2:3], s[4:5]
	s_or_b32 s27, s33, s27
	s_delay_alu instid0(SALU_CYCLE_1)
	s_and_not1_b32 exec_lo, exec_lo, s27
	s_cbranch_execz .LBB373_265
.LBB373_263:                            ; =>This Inner Loop Header: Depth=1
	s_or_b32 s31, s31, exec_lo
	s_cmp_eq_u64 s[22:23], s[2:3]
	s_cbranch_scc0 .LBB373_261
; %bb.264:                              ;   in Loop: Header=BB373_263 Depth=1
	s_mov_b64 s[2:3], s[22:23]
                                        ; implicit-def: $sgpr4_sgpr5
	s_branch .LBB373_262
.LBB373_265:
	s_set_inst_prefetch_distance 0x2
	s_or_b32 exec_lo, exec_lo, s27
	v_cmp_gt_i64_e32 vcc_lo, s[22:23], v[38:39]
	s_or_not1_b32 s27, vcc_lo, exec_lo
.LBB373_266:
	s_or_b32 exec_lo, exec_lo, s30
.LBB373_267:
	v_mul_lo_u32 v34, v30, s22
	v_mul_lo_u32 v37, v29, s23
	v_mad_u64_u32 v[35:36], null, v29, s22, 0
	s_and_not1_b32 vcc_lo, exec_lo, s7
	s_mov_b32 s2, 0
	s_delay_alu instid0(VALU_DEP_1)
	v_add3_u32 v40, v36, v37, v34
	s_cbranch_vccnz .LBB373_276
; %bb.268:
	s_delay_alu instid0(VALU_DEP_2) | instskip(NEXT) | instid1(VALU_DEP_2)
	v_add_co_u32 v36, vcc_lo, s8, v35
	v_add_co_ci_u32_e32 v37, vcc_lo, s9, v40, vcc_lo
	v_add_co_u32 v33, vcc_lo, s8, v33
	v_add_co_ci_u32_e32 v34, vcc_lo, s9, v41, vcc_lo
	s_mov_b32 s2, -1
	s_clause 0x1
	global_load_u8 v38, v[36:37], off
	global_load_u8 v39, v[33:34], off
	s_mov_b32 s30, exec_lo
	s_waitcnt vmcnt(0)
	v_cmpx_eq_u16_e64 v38, v39
	s_cbranch_execz .LBB373_275
; %bb.269:
	s_mov_b64 s[2:3], 1
	s_mov_b32 s31, 0
                                        ; implicit-def: $sgpr33
	s_set_inst_prefetch_distance 0x1
	s_branch .LBB373_272
	.p2align	6
.LBB373_270:                            ;   in Loop: Header=BB373_272 Depth=1
	v_add_co_u32 v38, vcc_lo, v36, s2
	v_add_co_ci_u32_e32 v39, vcc_lo, s3, v37, vcc_lo
	v_add_co_u32 v41, vcc_lo, v33, s2
	v_add_co_ci_u32_e32 v42, vcc_lo, s3, v34, vcc_lo
	s_add_u32 s4, s2, 1
	s_clause 0x1
	global_load_u8 v38, v[38:39], off
	global_load_u8 v39, v[41:42], off
	s_addc_u32 s5, s3, 0
	s_and_not1_b32 s33, s33, exec_lo
	s_waitcnt vmcnt(0)
	v_cmp_ne_u16_e32 vcc_lo, v38, v39
	s_and_b32 s34, vcc_lo, exec_lo
	s_delay_alu instid0(SALU_CYCLE_1)
	s_or_b32 s33, s33, s34
.LBB373_271:                            ;   in Loop: Header=BB373_272 Depth=1
	v_dual_mov_b32 v39, s3 :: v_dual_mov_b32 v38, s2
	s_and_b32 s34, exec_lo, s33
	s_mov_b64 s[2:3], s[4:5]
	s_or_b32 s31, s34, s31
	s_delay_alu instid0(SALU_CYCLE_1)
	s_and_not1_b32 exec_lo, exec_lo, s31
	s_cbranch_execz .LBB373_274
.LBB373_272:                            ; =>This Inner Loop Header: Depth=1
	s_or_b32 s33, s33, exec_lo
	s_cmp_eq_u64 s[22:23], s[2:3]
	s_cbranch_scc0 .LBB373_270
; %bb.273:                              ;   in Loop: Header=BB373_272 Depth=1
	s_mov_b64 s[2:3], s[22:23]
                                        ; implicit-def: $sgpr4_sgpr5
	s_branch .LBB373_271
.LBB373_274:
	s_set_inst_prefetch_distance 0x2
	s_or_b32 exec_lo, exec_lo, s31
	v_cmp_gt_i64_e32 vcc_lo, s[22:23], v[38:39]
	s_or_not1_b32 s2, vcc_lo, exec_lo
.LBB373_275:
	s_or_b32 exec_lo, exec_lo, s30
.LBB373_276:
	v_cndmask_b32_e64 v34, 0, 1, s29
	v_cndmask_b32_e64 v36, 0, 1, s26
	v_cndmask_b32_e64 v37, 0, 1, s24
	v_cndmask_b32_e64 v38, 0, 1, s2
	v_cndmask_b32_e64 v33, 0, 1, s27
	v_cndmask_b32_e64 v39, 0, 1, s25
	v_cndmask_b32_e64 v41, 0, 1, s19
	v_lshlrev_b16 v36, 8, v36
	v_lshlrev_b16 v37, 8, v37
	;; [unrolled: 1-line block ×4, first 2 shown]
	s_delay_alu instid0(VALU_DEP_4) | instskip(NEXT) | instid1(VALU_DEP_4)
	v_or_b32_e32 v36, v39, v36
	v_or_b32_e32 v37, v41, v37
	s_delay_alu instid0(VALU_DEP_4) | instskip(NEXT) | instid1(VALU_DEP_4)
	v_or_b32_e32 v38, 1, v38
	v_or_b32_e32 v33, v33, v34
	s_barrier
	v_and_b32_e32 v34, 0xffff, v36
	v_lshlrev_b32_e32 v36, 16, v37
	v_and_b32_e32 v37, 0xffff, v38
	v_lshlrev_b32_e32 v33, 16, v33
	buffer_gl0_inv
                                        ; implicit-def: $sgpr2
	s_mov_b32 s3, exec_lo
	v_or_b32_e32 v34, v34, v36
	v_or_b32_e32 v33, v37, v33
	v_cmpx_ne_u32_e32 0, v0
	s_xor_b32 s19, exec_lo, s3
	s_cbranch_execz .LBB373_287
; %bb.277:
	s_and_not1_b32 vcc_lo, exec_lo, s7
	s_mov_b32 s2, 0
	s_cbranch_vccnz .LBB373_286
; %bb.278:
	v_add_nc_u32_e32 v36, -8, v55
	s_mov_b32 s2, -1
	s_mov_b32 s24, exec_lo
	ds_load_b64 v[38:39], v36
	s_waitcnt lgkmcnt(0)
	v_mul_lo_u32 v41, v38, s23
	v_mul_lo_u32 v39, v39, s22
	v_mad_u64_u32 v[36:37], null, v38, s22, s[8:9]
	v_add_co_u32 v38, vcc_lo, s8, v35
	s_delay_alu instid0(VALU_DEP_2)
	v_add3_u32 v37, v39, v37, v41
	v_add_co_ci_u32_e32 v39, vcc_lo, s9, v40, vcc_lo
	s_clause 0x1
	global_load_u8 v35, v[36:37], off
	global_load_u8 v40, v[38:39], off
	s_waitcnt vmcnt(0)
	v_cmpx_eq_u16_e64 v35, v40
	s_cbranch_execz .LBB373_285
; %bb.279:
	s_mov_b64 s[2:3], 1
	s_mov_b32 s25, 0
                                        ; implicit-def: $sgpr26
	s_set_inst_prefetch_distance 0x1
	s_branch .LBB373_282
	.p2align	6
.LBB373_280:                            ;   in Loop: Header=BB373_282 Depth=1
	v_add_co_u32 v40, vcc_lo, v36, s2
	v_add_co_ci_u32_e32 v41, vcc_lo, s3, v37, vcc_lo
	v_add_co_u32 v42, vcc_lo, v38, s2
	v_add_co_ci_u32_e32 v43, vcc_lo, s3, v39, vcc_lo
	s_add_u32 s4, s2, 1
	s_clause 0x1
	global_load_u8 v35, v[40:41], off
	global_load_u8 v40, v[42:43], off
	s_addc_u32 s5, s3, 0
	s_and_not1_b32 s26, s26, exec_lo
	s_waitcnt vmcnt(0)
	v_cmp_ne_u16_e32 vcc_lo, v35, v40
	s_and_b32 s27, vcc_lo, exec_lo
	s_delay_alu instid0(SALU_CYCLE_1)
	s_or_b32 s26, s26, s27
.LBB373_281:                            ;   in Loop: Header=BB373_282 Depth=1
	v_dual_mov_b32 v41, s3 :: v_dual_mov_b32 v40, s2
	s_and_b32 s27, exec_lo, s26
	s_mov_b64 s[2:3], s[4:5]
	s_or_b32 s25, s27, s25
	s_delay_alu instid0(SALU_CYCLE_1)
	s_and_not1_b32 exec_lo, exec_lo, s25
	s_cbranch_execz .LBB373_284
.LBB373_282:                            ; =>This Inner Loop Header: Depth=1
	s_or_b32 s26, s26, exec_lo
	s_cmp_eq_u64 s[22:23], s[2:3]
	s_cbranch_scc0 .LBB373_280
; %bb.283:                              ;   in Loop: Header=BB373_282 Depth=1
	s_mov_b64 s[2:3], s[22:23]
                                        ; implicit-def: $sgpr4_sgpr5
	s_branch .LBB373_281
.LBB373_284:
	s_set_inst_prefetch_distance 0x2
	s_or_b32 exec_lo, exec_lo, s25
	v_cmp_gt_i64_e32 vcc_lo, s[22:23], v[40:41]
	s_or_not1_b32 s2, vcc_lo, exec_lo
.LBB373_285:
	s_or_b32 exec_lo, exec_lo, s24
.LBB373_286:
	s_delay_alu instid0(SALU_CYCLE_1)
	s_and_b32 s2, s2, exec_lo
	s_or_b32 s6, s6, exec_lo
.LBB373_287:
	s_or_b32 exec_lo, exec_lo, s19
	s_branch .LBB373_379
.LBB373_288:
	v_or_b32_e32 v33, 7, v55
	s_mov_b32 s19, 0
	s_mov_b32 s24, 0
	s_mov_b32 s25, exec_lo
	s_delay_alu instid0(VALU_DEP_1)
	v_cmpx_gt_u32_e64 s28, v33
	s_cbranch_execz .LBB373_299
; %bb.289:
	s_and_not1_b32 vcc_lo, exec_lo, s7
	s_mov_b32 s2, 0
	s_cbranch_vccnz .LBB373_298
; %bb.290:
	v_mad_u64_u32 v[33:34], null, v17, s22, s[8:9]
	s_waitcnt lgkmcnt(0)
	v_mul_lo_u32 v37, v17, s23
	v_mul_lo_u32 v38, v18, s22
	v_mad_u64_u32 v[35:36], null, v19, s22, s[8:9]
	v_mul_lo_u32 v39, v19, s23
	v_mul_lo_u32 v40, v20, s22
	s_mov_b32 s2, -1
	s_mov_b32 s24, exec_lo
	s_delay_alu instid0(VALU_DEP_4) | instskip(NEXT) | instid1(VALU_DEP_2)
	v_add3_u32 v34, v38, v34, v37
	v_add3_u32 v36, v40, v36, v39
	s_clause 0x1
	global_load_u8 v37, v[33:34], off
	global_load_u8 v38, v[35:36], off
	s_waitcnt vmcnt(0)
	v_cmpx_eq_u16_e64 v37, v38
	s_cbranch_execz .LBB373_297
; %bb.291:
	s_mov_b64 s[2:3], 1
	s_mov_b32 s26, 0
                                        ; implicit-def: $sgpr27
	s_set_inst_prefetch_distance 0x1
	s_branch .LBB373_294
	.p2align	6
.LBB373_292:                            ;   in Loop: Header=BB373_294 Depth=1
	v_add_co_u32 v37, vcc_lo, v33, s2
	v_add_co_ci_u32_e32 v38, vcc_lo, s3, v34, vcc_lo
	v_add_co_u32 v39, vcc_lo, v35, s2
	v_add_co_ci_u32_e32 v40, vcc_lo, s3, v36, vcc_lo
	s_add_u32 s4, s2, 1
	s_clause 0x1
	global_load_u8 v37, v[37:38], off
	global_load_u8 v38, v[39:40], off
	s_addc_u32 s5, s3, 0
	s_and_not1_b32 s27, s27, exec_lo
	s_waitcnt vmcnt(0)
	v_cmp_ne_u16_e32 vcc_lo, v37, v38
	s_and_b32 s29, vcc_lo, exec_lo
	s_delay_alu instid0(SALU_CYCLE_1)
	s_or_b32 s27, s27, s29
.LBB373_293:                            ;   in Loop: Header=BB373_294 Depth=1
	v_dual_mov_b32 v38, s3 :: v_dual_mov_b32 v37, s2
	s_and_b32 s29, exec_lo, s27
	s_mov_b64 s[2:3], s[4:5]
	s_or_b32 s26, s29, s26
	s_delay_alu instid0(SALU_CYCLE_1)
	s_and_not1_b32 exec_lo, exec_lo, s26
	s_cbranch_execz .LBB373_296
.LBB373_294:                            ; =>This Inner Loop Header: Depth=1
	s_or_b32 s27, s27, exec_lo
	s_cmp_eq_u64 s[22:23], s[2:3]
	s_cbranch_scc0 .LBB373_292
; %bb.295:                              ;   in Loop: Header=BB373_294 Depth=1
	s_mov_b64 s[2:3], s[22:23]
                                        ; implicit-def: $sgpr4_sgpr5
	s_branch .LBB373_293
.LBB373_296:
	s_set_inst_prefetch_distance 0x2
	s_or_b32 exec_lo, exec_lo, s26
	v_cmp_gt_i64_e32 vcc_lo, s[22:23], v[37:38]
	s_or_not1_b32 s2, vcc_lo, exec_lo
.LBB373_297:
	s_or_b32 exec_lo, exec_lo, s24
.LBB373_298:
	s_delay_alu instid0(SALU_CYCLE_1)
	s_and_b32 s24, s2, exec_lo
.LBB373_299:
	s_or_b32 exec_lo, exec_lo, s25
	v_or_b32_e32 v33, 6, v55
	s_mov_b32 s25, exec_lo
	s_delay_alu instid0(VALU_DEP_1)
	v_cmpx_gt_u32_e64 s28, v33
	s_cbranch_execz .LBB373_310
; %bb.300:
	s_and_not1_b32 vcc_lo, exec_lo, s7
	s_mov_b32 s2, 0
	s_cbranch_vccnz .LBB373_309
; %bb.301:
	v_mad_u64_u32 v[33:34], null, v23, s22, s[8:9]
	s_waitcnt lgkmcnt(0)
	v_mul_lo_u32 v37, v23, s23
	v_mul_lo_u32 v38, v24, s22
	v_mad_u64_u32 v[35:36], null, v17, s22, s[8:9]
	v_mul_lo_u32 v39, v17, s23
	v_mul_lo_u32 v40, v18, s22
	s_mov_b32 s2, -1
	s_mov_b32 s19, exec_lo
	s_delay_alu instid0(VALU_DEP_4) | instskip(NEXT) | instid1(VALU_DEP_2)
	v_add3_u32 v34, v38, v34, v37
	v_add3_u32 v36, v40, v36, v39
	s_clause 0x1
	global_load_u8 v37, v[33:34], off
	global_load_u8 v38, v[35:36], off
	s_waitcnt vmcnt(0)
	v_cmpx_eq_u16_e64 v37, v38
	s_cbranch_execz .LBB373_308
; %bb.302:
	s_mov_b64 s[2:3], 1
	s_mov_b32 s26, 0
                                        ; implicit-def: $sgpr27
	s_set_inst_prefetch_distance 0x1
	s_branch .LBB373_305
	.p2align	6
.LBB373_303:                            ;   in Loop: Header=BB373_305 Depth=1
	v_add_co_u32 v37, vcc_lo, v33, s2
	v_add_co_ci_u32_e32 v38, vcc_lo, s3, v34, vcc_lo
	v_add_co_u32 v39, vcc_lo, v35, s2
	v_add_co_ci_u32_e32 v40, vcc_lo, s3, v36, vcc_lo
	s_add_u32 s4, s2, 1
	s_clause 0x1
	global_load_u8 v37, v[37:38], off
	global_load_u8 v38, v[39:40], off
	s_addc_u32 s5, s3, 0
	s_and_not1_b32 s27, s27, exec_lo
	s_waitcnt vmcnt(0)
	v_cmp_ne_u16_e32 vcc_lo, v37, v38
	s_and_b32 s29, vcc_lo, exec_lo
	s_delay_alu instid0(SALU_CYCLE_1)
	s_or_b32 s27, s27, s29
.LBB373_304:                            ;   in Loop: Header=BB373_305 Depth=1
	v_dual_mov_b32 v38, s3 :: v_dual_mov_b32 v37, s2
	s_and_b32 s29, exec_lo, s27
	s_mov_b64 s[2:3], s[4:5]
	s_or_b32 s26, s29, s26
	s_delay_alu instid0(SALU_CYCLE_1)
	s_and_not1_b32 exec_lo, exec_lo, s26
	s_cbranch_execz .LBB373_307
.LBB373_305:                            ; =>This Inner Loop Header: Depth=1
	s_or_b32 s27, s27, exec_lo
	s_cmp_eq_u64 s[22:23], s[2:3]
	s_cbranch_scc0 .LBB373_303
; %bb.306:                              ;   in Loop: Header=BB373_305 Depth=1
	s_mov_b64 s[2:3], s[22:23]
                                        ; implicit-def: $sgpr4_sgpr5
	s_branch .LBB373_304
.LBB373_307:
	s_set_inst_prefetch_distance 0x2
	s_or_b32 exec_lo, exec_lo, s26
	v_cmp_gt_i64_e32 vcc_lo, s[22:23], v[37:38]
	s_or_not1_b32 s2, vcc_lo, exec_lo
.LBB373_308:
	s_or_b32 exec_lo, exec_lo, s19
.LBB373_309:
	s_delay_alu instid0(SALU_CYCLE_1)
	s_and_b32 s19, s2, exec_lo
.LBB373_310:
	s_or_b32 exec_lo, exec_lo, s25
	v_or_b32_e32 v33, 5, v55
	s_mov_b32 s25, 0
	s_mov_b32 s26, 0
	s_mov_b32 s27, exec_lo
	s_delay_alu instid0(VALU_DEP_1)
	v_cmpx_gt_u32_e64 s28, v33
	s_cbranch_execz .LBB373_321
; %bb.311:
	s_and_not1_b32 vcc_lo, exec_lo, s7
	s_mov_b32 s2, 0
	s_cbranch_vccnz .LBB373_320
; %bb.312:
	v_mad_u64_u32 v[33:34], null, v21, s22, s[8:9]
	s_waitcnt lgkmcnt(0)
	v_mul_lo_u32 v37, v21, s23
	v_mul_lo_u32 v38, v22, s22
	v_mad_u64_u32 v[35:36], null, v23, s22, s[8:9]
	v_mul_lo_u32 v39, v23, s23
	v_mul_lo_u32 v40, v24, s22
	s_mov_b32 s2, -1
	s_mov_b32 s26, exec_lo
	s_delay_alu instid0(VALU_DEP_4) | instskip(NEXT) | instid1(VALU_DEP_2)
	v_add3_u32 v34, v38, v34, v37
	v_add3_u32 v36, v40, v36, v39
	s_clause 0x1
	global_load_u8 v37, v[33:34], off
	global_load_u8 v38, v[35:36], off
	s_waitcnt vmcnt(0)
	v_cmpx_eq_u16_e64 v37, v38
	s_cbranch_execz .LBB373_319
; %bb.313:
	s_mov_b64 s[2:3], 1
	s_mov_b32 s29, 0
                                        ; implicit-def: $sgpr30
	s_set_inst_prefetch_distance 0x1
	s_branch .LBB373_316
	.p2align	6
.LBB373_314:                            ;   in Loop: Header=BB373_316 Depth=1
	v_add_co_u32 v37, vcc_lo, v33, s2
	v_add_co_ci_u32_e32 v38, vcc_lo, s3, v34, vcc_lo
	v_add_co_u32 v39, vcc_lo, v35, s2
	v_add_co_ci_u32_e32 v40, vcc_lo, s3, v36, vcc_lo
	s_add_u32 s4, s2, 1
	s_clause 0x1
	global_load_u8 v37, v[37:38], off
	global_load_u8 v38, v[39:40], off
	s_addc_u32 s5, s3, 0
	s_and_not1_b32 s30, s30, exec_lo
	s_waitcnt vmcnt(0)
	v_cmp_ne_u16_e32 vcc_lo, v37, v38
	s_and_b32 s31, vcc_lo, exec_lo
	s_delay_alu instid0(SALU_CYCLE_1)
	s_or_b32 s30, s30, s31
.LBB373_315:                            ;   in Loop: Header=BB373_316 Depth=1
	v_dual_mov_b32 v38, s3 :: v_dual_mov_b32 v37, s2
	s_and_b32 s31, exec_lo, s30
	s_mov_b64 s[2:3], s[4:5]
	s_or_b32 s29, s31, s29
	s_delay_alu instid0(SALU_CYCLE_1)
	s_and_not1_b32 exec_lo, exec_lo, s29
	s_cbranch_execz .LBB373_318
.LBB373_316:                            ; =>This Inner Loop Header: Depth=1
	s_or_b32 s30, s30, exec_lo
	s_cmp_eq_u64 s[22:23], s[2:3]
	s_cbranch_scc0 .LBB373_314
; %bb.317:                              ;   in Loop: Header=BB373_316 Depth=1
	s_mov_b64 s[2:3], s[22:23]
                                        ; implicit-def: $sgpr4_sgpr5
	s_branch .LBB373_315
.LBB373_318:
	s_set_inst_prefetch_distance 0x2
	s_or_b32 exec_lo, exec_lo, s29
	v_cmp_gt_i64_e32 vcc_lo, s[22:23], v[37:38]
	s_or_not1_b32 s2, vcc_lo, exec_lo
.LBB373_319:
	s_or_b32 exec_lo, exec_lo, s26
.LBB373_320:
	s_delay_alu instid0(SALU_CYCLE_1)
	s_and_b32 s26, s2, exec_lo
.LBB373_321:
	s_or_b32 exec_lo, exec_lo, s27
	v_or_b32_e32 v33, 4, v55
	s_mov_b32 s27, exec_lo
	s_delay_alu instid0(VALU_DEP_1)
	v_cmpx_gt_u32_e64 s28, v33
	s_cbranch_execz .LBB373_332
; %bb.322:
	s_and_not1_b32 vcc_lo, exec_lo, s7
	s_mov_b32 s2, 0
	s_cbranch_vccnz .LBB373_331
; %bb.323:
	v_mad_u64_u32 v[33:34], null, v27, s22, s[8:9]
	s_waitcnt lgkmcnt(0)
	v_mul_lo_u32 v37, v27, s23
	v_mul_lo_u32 v38, v28, s22
	v_mad_u64_u32 v[35:36], null, v21, s22, s[8:9]
	v_mul_lo_u32 v39, v21, s23
	v_mul_lo_u32 v40, v22, s22
	s_mov_b32 s2, -1
	s_mov_b32 s25, exec_lo
	s_delay_alu instid0(VALU_DEP_4) | instskip(NEXT) | instid1(VALU_DEP_2)
	v_add3_u32 v34, v38, v34, v37
	v_add3_u32 v36, v40, v36, v39
	s_clause 0x1
	global_load_u8 v37, v[33:34], off
	global_load_u8 v38, v[35:36], off
	s_waitcnt vmcnt(0)
	v_cmpx_eq_u16_e64 v37, v38
	s_cbranch_execz .LBB373_330
; %bb.324:
	s_mov_b64 s[2:3], 1
	s_mov_b32 s29, 0
                                        ; implicit-def: $sgpr30
	s_set_inst_prefetch_distance 0x1
	s_branch .LBB373_327
	.p2align	6
.LBB373_325:                            ;   in Loop: Header=BB373_327 Depth=1
	v_add_co_u32 v37, vcc_lo, v33, s2
	v_add_co_ci_u32_e32 v38, vcc_lo, s3, v34, vcc_lo
	v_add_co_u32 v39, vcc_lo, v35, s2
	v_add_co_ci_u32_e32 v40, vcc_lo, s3, v36, vcc_lo
	s_add_u32 s4, s2, 1
	s_clause 0x1
	global_load_u8 v37, v[37:38], off
	global_load_u8 v38, v[39:40], off
	s_addc_u32 s5, s3, 0
	s_and_not1_b32 s30, s30, exec_lo
	s_waitcnt vmcnt(0)
	v_cmp_ne_u16_e32 vcc_lo, v37, v38
	s_and_b32 s31, vcc_lo, exec_lo
	s_delay_alu instid0(SALU_CYCLE_1)
	s_or_b32 s30, s30, s31
.LBB373_326:                            ;   in Loop: Header=BB373_327 Depth=1
	v_dual_mov_b32 v38, s3 :: v_dual_mov_b32 v37, s2
	s_and_b32 s31, exec_lo, s30
	s_mov_b64 s[2:3], s[4:5]
	s_or_b32 s29, s31, s29
	s_delay_alu instid0(SALU_CYCLE_1)
	s_and_not1_b32 exec_lo, exec_lo, s29
	s_cbranch_execz .LBB373_329
.LBB373_327:                            ; =>This Inner Loop Header: Depth=1
	s_or_b32 s30, s30, exec_lo
	s_cmp_eq_u64 s[22:23], s[2:3]
	s_cbranch_scc0 .LBB373_325
; %bb.328:                              ;   in Loop: Header=BB373_327 Depth=1
	s_mov_b64 s[2:3], s[22:23]
                                        ; implicit-def: $sgpr4_sgpr5
	s_branch .LBB373_326
.LBB373_329:
	s_set_inst_prefetch_distance 0x2
	s_or_b32 exec_lo, exec_lo, s29
	v_cmp_gt_i64_e32 vcc_lo, s[22:23], v[37:38]
	s_or_not1_b32 s2, vcc_lo, exec_lo
.LBB373_330:
	s_or_b32 exec_lo, exec_lo, s25
.LBB373_331:
	s_delay_alu instid0(SALU_CYCLE_1)
	s_and_b32 s25, s2, exec_lo
.LBB373_332:
	s_or_b32 exec_lo, exec_lo, s27
	v_or_b32_e32 v33, 3, v55
	s_mov_b32 s29, 0
	s_mov_b32 s27, 0
	s_mov_b32 s30, exec_lo
	s_delay_alu instid0(VALU_DEP_1)
	v_cmpx_gt_u32_e64 s28, v33
	s_cbranch_execz .LBB373_343
; %bb.333:
	s_and_not1_b32 vcc_lo, exec_lo, s7
	s_mov_b32 s2, 0
	s_cbranch_vccnz .LBB373_342
; %bb.334:
	v_mad_u64_u32 v[33:34], null, v25, s22, s[8:9]
	s_waitcnt lgkmcnt(0)
	v_mul_lo_u32 v37, v25, s23
	v_mul_lo_u32 v38, v26, s22
	v_mad_u64_u32 v[35:36], null, v27, s22, s[8:9]
	v_mul_lo_u32 v39, v27, s23
	v_mul_lo_u32 v40, v28, s22
	s_mov_b32 s2, -1
	s_mov_b32 s27, exec_lo
	s_delay_alu instid0(VALU_DEP_4) | instskip(NEXT) | instid1(VALU_DEP_2)
	v_add3_u32 v34, v38, v34, v37
	v_add3_u32 v36, v40, v36, v39
	s_clause 0x1
	global_load_u8 v37, v[33:34], off
	global_load_u8 v38, v[35:36], off
	s_waitcnt vmcnt(0)
	v_cmpx_eq_u16_e64 v37, v38
	s_cbranch_execz .LBB373_341
; %bb.335:
	s_mov_b64 s[2:3], 1
	s_mov_b32 s31, 0
                                        ; implicit-def: $sgpr33
	s_set_inst_prefetch_distance 0x1
	s_branch .LBB373_338
	.p2align	6
.LBB373_336:                            ;   in Loop: Header=BB373_338 Depth=1
	v_add_co_u32 v37, vcc_lo, v33, s2
	v_add_co_ci_u32_e32 v38, vcc_lo, s3, v34, vcc_lo
	v_add_co_u32 v39, vcc_lo, v35, s2
	v_add_co_ci_u32_e32 v40, vcc_lo, s3, v36, vcc_lo
	s_add_u32 s4, s2, 1
	s_clause 0x1
	global_load_u8 v37, v[37:38], off
	global_load_u8 v38, v[39:40], off
	s_addc_u32 s5, s3, 0
	s_and_not1_b32 s33, s33, exec_lo
	s_waitcnt vmcnt(0)
	v_cmp_ne_u16_e32 vcc_lo, v37, v38
	s_and_b32 s34, vcc_lo, exec_lo
	s_delay_alu instid0(SALU_CYCLE_1)
	s_or_b32 s33, s33, s34
.LBB373_337:                            ;   in Loop: Header=BB373_338 Depth=1
	v_dual_mov_b32 v38, s3 :: v_dual_mov_b32 v37, s2
	s_and_b32 s34, exec_lo, s33
	s_mov_b64 s[2:3], s[4:5]
	s_or_b32 s31, s34, s31
	s_delay_alu instid0(SALU_CYCLE_1)
	s_and_not1_b32 exec_lo, exec_lo, s31
	s_cbranch_execz .LBB373_340
.LBB373_338:                            ; =>This Inner Loop Header: Depth=1
	s_or_b32 s33, s33, exec_lo
	s_cmp_eq_u64 s[22:23], s[2:3]
	s_cbranch_scc0 .LBB373_336
; %bb.339:                              ;   in Loop: Header=BB373_338 Depth=1
	s_mov_b64 s[2:3], s[22:23]
                                        ; implicit-def: $sgpr4_sgpr5
	s_branch .LBB373_337
.LBB373_340:
	s_set_inst_prefetch_distance 0x2
	s_or_b32 exec_lo, exec_lo, s31
	v_cmp_gt_i64_e32 vcc_lo, s[22:23], v[37:38]
	s_or_not1_b32 s2, vcc_lo, exec_lo
.LBB373_341:
	s_or_b32 exec_lo, exec_lo, s27
.LBB373_342:
	s_delay_alu instid0(SALU_CYCLE_1)
	s_and_b32 s27, s2, exec_lo
.LBB373_343:
	s_or_b32 exec_lo, exec_lo, s30
	v_or_b32_e32 v33, 2, v55
	s_mov_b32 s30, exec_lo
	s_delay_alu instid0(VALU_DEP_1)
	v_cmpx_gt_u32_e64 s28, v33
	s_cbranch_execz .LBB373_354
; %bb.344:
	s_and_not1_b32 vcc_lo, exec_lo, s7
	s_mov_b32 s2, 0
	s_cbranch_vccnz .LBB373_353
; %bb.345:
	v_mad_u64_u32 v[33:34], null, v31, s22, s[8:9]
	s_waitcnt lgkmcnt(0)
	v_mul_lo_u32 v37, v31, s23
	v_mul_lo_u32 v38, v32, s22
	v_mad_u64_u32 v[35:36], null, v25, s22, s[8:9]
	v_mul_lo_u32 v39, v25, s23
	v_mul_lo_u32 v40, v26, s22
	s_mov_b32 s2, -1
	s_mov_b32 s29, exec_lo
	s_delay_alu instid0(VALU_DEP_4) | instskip(NEXT) | instid1(VALU_DEP_2)
	v_add3_u32 v34, v38, v34, v37
	v_add3_u32 v36, v40, v36, v39
	s_clause 0x1
	global_load_u8 v37, v[33:34], off
	global_load_u8 v38, v[35:36], off
	s_waitcnt vmcnt(0)
	v_cmpx_eq_u16_e64 v37, v38
	s_cbranch_execz .LBB373_352
; %bb.346:
	s_mov_b64 s[2:3], 1
	s_mov_b32 s31, 0
                                        ; implicit-def: $sgpr33
	s_set_inst_prefetch_distance 0x1
	s_branch .LBB373_349
	.p2align	6
.LBB373_347:                            ;   in Loop: Header=BB373_349 Depth=1
	v_add_co_u32 v37, vcc_lo, v33, s2
	v_add_co_ci_u32_e32 v38, vcc_lo, s3, v34, vcc_lo
	v_add_co_u32 v39, vcc_lo, v35, s2
	v_add_co_ci_u32_e32 v40, vcc_lo, s3, v36, vcc_lo
	s_add_u32 s4, s2, 1
	s_clause 0x1
	global_load_u8 v37, v[37:38], off
	global_load_u8 v38, v[39:40], off
	s_addc_u32 s5, s3, 0
	s_and_not1_b32 s33, s33, exec_lo
	s_waitcnt vmcnt(0)
	v_cmp_ne_u16_e32 vcc_lo, v37, v38
	s_and_b32 s34, vcc_lo, exec_lo
	s_delay_alu instid0(SALU_CYCLE_1)
	s_or_b32 s33, s33, s34
.LBB373_348:                            ;   in Loop: Header=BB373_349 Depth=1
	v_dual_mov_b32 v38, s3 :: v_dual_mov_b32 v37, s2
	s_and_b32 s34, exec_lo, s33
	s_mov_b64 s[2:3], s[4:5]
	s_or_b32 s31, s34, s31
	s_delay_alu instid0(SALU_CYCLE_1)
	s_and_not1_b32 exec_lo, exec_lo, s31
	s_cbranch_execz .LBB373_351
.LBB373_349:                            ; =>This Inner Loop Header: Depth=1
	s_or_b32 s33, s33, exec_lo
	s_cmp_eq_u64 s[22:23], s[2:3]
	s_cbranch_scc0 .LBB373_347
; %bb.350:                              ;   in Loop: Header=BB373_349 Depth=1
	s_mov_b64 s[2:3], s[22:23]
                                        ; implicit-def: $sgpr4_sgpr5
	s_branch .LBB373_348
.LBB373_351:
	s_set_inst_prefetch_distance 0x2
	s_or_b32 exec_lo, exec_lo, s31
	v_cmp_gt_i64_e32 vcc_lo, s[22:23], v[37:38]
	s_or_not1_b32 s2, vcc_lo, exec_lo
.LBB373_352:
	s_or_b32 exec_lo, exec_lo, s29
.LBB373_353:
	s_delay_alu instid0(SALU_CYCLE_1)
	s_and_b32 s29, s2, exec_lo
.LBB373_354:
	s_or_b32 exec_lo, exec_lo, s30
	v_or_b32_e32 v33, 1, v55
	s_mov_b32 s2, 0
	s_mov_b32 s30, exec_lo
	s_delay_alu instid0(VALU_DEP_1)
	v_cmpx_gt_u32_e64 s28, v33
	s_cbranch_execz .LBB373_365
; %bb.355:
	s_and_not1_b32 vcc_lo, exec_lo, s7
	s_cbranch_vccnz .LBB373_364
; %bb.356:
	v_mad_u64_u32 v[33:34], null, v29, s22, s[8:9]
	s_waitcnt lgkmcnt(0)
	v_mul_lo_u32 v37, v29, s23
	v_mul_lo_u32 v38, v30, s22
	v_mad_u64_u32 v[35:36], null, v31, s22, s[8:9]
	v_mul_lo_u32 v39, v31, s23
	v_mul_lo_u32 v40, v32, s22
	s_mov_b32 s2, -1
	s_mov_b32 s31, exec_lo
	s_delay_alu instid0(VALU_DEP_4) | instskip(NEXT) | instid1(VALU_DEP_2)
	v_add3_u32 v34, v38, v34, v37
	v_add3_u32 v36, v40, v36, v39
	s_clause 0x1
	global_load_u8 v37, v[33:34], off
	global_load_u8 v38, v[35:36], off
	s_waitcnt vmcnt(0)
	v_cmpx_eq_u16_e64 v37, v38
	s_cbranch_execz .LBB373_363
; %bb.357:
	s_mov_b64 s[2:3], 1
	s_mov_b32 s33, 0
                                        ; implicit-def: $sgpr34
	s_set_inst_prefetch_distance 0x1
	s_branch .LBB373_360
	.p2align	6
.LBB373_358:                            ;   in Loop: Header=BB373_360 Depth=1
	v_add_co_u32 v37, vcc_lo, v33, s2
	v_add_co_ci_u32_e32 v38, vcc_lo, s3, v34, vcc_lo
	v_add_co_u32 v39, vcc_lo, v35, s2
	v_add_co_ci_u32_e32 v40, vcc_lo, s3, v36, vcc_lo
	s_add_u32 s4, s2, 1
	s_clause 0x1
	global_load_u8 v37, v[37:38], off
	global_load_u8 v38, v[39:40], off
	s_addc_u32 s5, s3, 0
	s_and_not1_b32 s34, s34, exec_lo
	s_waitcnt vmcnt(0)
	v_cmp_ne_u16_e32 vcc_lo, v37, v38
	s_and_b32 s35, vcc_lo, exec_lo
	s_delay_alu instid0(SALU_CYCLE_1)
	s_or_b32 s34, s34, s35
.LBB373_359:                            ;   in Loop: Header=BB373_360 Depth=1
	v_dual_mov_b32 v38, s3 :: v_dual_mov_b32 v37, s2
	s_and_b32 s35, exec_lo, s34
	s_mov_b64 s[2:3], s[4:5]
	s_or_b32 s33, s35, s33
	s_delay_alu instid0(SALU_CYCLE_1)
	s_and_not1_b32 exec_lo, exec_lo, s33
	s_cbranch_execz .LBB373_362
.LBB373_360:                            ; =>This Inner Loop Header: Depth=1
	s_or_b32 s34, s34, exec_lo
	s_cmp_eq_u64 s[22:23], s[2:3]
	s_cbranch_scc0 .LBB373_358
; %bb.361:                              ;   in Loop: Header=BB373_360 Depth=1
	s_mov_b64 s[2:3], s[22:23]
                                        ; implicit-def: $sgpr4_sgpr5
	s_branch .LBB373_359
.LBB373_362:
	s_set_inst_prefetch_distance 0x2
	s_or_b32 exec_lo, exec_lo, s33
	v_cmp_gt_i64_e32 vcc_lo, s[22:23], v[37:38]
	s_or_not1_b32 s2, vcc_lo, exec_lo
.LBB373_363:
	s_or_b32 exec_lo, exec_lo, s31
.LBB373_364:
	s_delay_alu instid0(SALU_CYCLE_1)
	s_and_b32 s2, s2, exec_lo
.LBB373_365:
	s_or_b32 exec_lo, exec_lo, s30
	v_cndmask_b32_e64 v34, 0, 1, s27
	s_waitcnt lgkmcnt(0)
	v_cndmask_b32_e64 v35, 0, 1, s26
	v_cndmask_b32_e64 v36, 0, 1, s24
	;; [unrolled: 1-line block ×6, first 2 shown]
	v_lshlrev_b16 v35, 8, v35
	v_lshlrev_b16 v36, 8, v36
	;; [unrolled: 1-line block ×4, first 2 shown]
	s_mov_b32 s19, exec_lo
	v_or_b32_e32 v35, v38, v35
	v_or_b32_e32 v36, v39, v36
	;; [unrolled: 1-line block ×4, first 2 shown]
	s_delay_alu instid0(VALU_DEP_4) | instskip(NEXT) | instid1(VALU_DEP_4)
	v_and_b32_e32 v34, 0xffff, v35
	v_lshlrev_b32_e32 v35, 16, v36
	s_delay_alu instid0(VALU_DEP_4) | instskip(NEXT) | instid1(VALU_DEP_4)
	v_and_b32_e32 v36, 0xffff, v37
	v_lshlrev_b32_e32 v33, 16, v33
	s_barrier
	buffer_gl0_inv
	v_or_b32_e32 v34, v34, v35
                                        ; implicit-def: $sgpr2
	v_or_b32_e32 v33, v36, v33
	v_cmpx_ne_u32_e32 0, v0
	s_cbranch_execz .LBB373_378
; %bb.366:
	s_mov_b32 s2, 0
	s_mov_b32 s24, exec_lo
	v_cmpx_gt_u32_e64 s28, v55
	s_cbranch_execz .LBB373_377
; %bb.367:
	s_and_not1_b32 vcc_lo, exec_lo, s7
	s_cbranch_vccnz .LBB373_376
; %bb.368:
	v_add_nc_u32_e32 v35, -8, v55
	v_mul_lo_u32 v41, v29, s23
	s_mov_b32 s2, -1
	s_mov_b32 s7, exec_lo
	ds_load_b64 v[39:40], v35
	v_mad_u64_u32 v[35:36], null, v29, s22, s[8:9]
	s_waitcnt lgkmcnt(0)
	v_mul_lo_u32 v42, v39, s23
	v_mul_lo_u32 v40, v40, s22
	v_mad_u64_u32 v[37:38], null, v39, s22, s[8:9]
	v_mul_lo_u32 v39, v30, s22
	s_delay_alu instid0(VALU_DEP_2) | instskip(NEXT) | instid1(VALU_DEP_2)
	v_add3_u32 v38, v40, v38, v42
	v_add3_u32 v36, v39, v36, v41
	s_clause 0x1
	global_load_u8 v39, v[37:38], off
	global_load_u8 v40, v[35:36], off
	s_waitcnt vmcnt(0)
	v_cmpx_eq_u16_e64 v39, v40
	s_cbranch_execz .LBB373_375
; %bb.369:
	s_mov_b64 s[2:3], 1
	s_mov_b32 s8, 0
                                        ; implicit-def: $sgpr9
	s_set_inst_prefetch_distance 0x1
	s_branch .LBB373_372
	.p2align	6
.LBB373_370:                            ;   in Loop: Header=BB373_372 Depth=1
	v_add_co_u32 v39, vcc_lo, v37, s2
	v_add_co_ci_u32_e32 v40, vcc_lo, s3, v38, vcc_lo
	v_add_co_u32 v41, vcc_lo, v35, s2
	v_add_co_ci_u32_e32 v42, vcc_lo, s3, v36, vcc_lo
	s_add_u32 s4, s2, 1
	s_clause 0x1
	global_load_u8 v39, v[39:40], off
	global_load_u8 v40, v[41:42], off
	s_addc_u32 s5, s3, 0
	s_and_not1_b32 s9, s9, exec_lo
	s_waitcnt vmcnt(0)
	v_cmp_ne_u16_e32 vcc_lo, v39, v40
	s_and_b32 s25, vcc_lo, exec_lo
	s_delay_alu instid0(SALU_CYCLE_1)
	s_or_b32 s9, s9, s25
.LBB373_371:                            ;   in Loop: Header=BB373_372 Depth=1
	v_dual_mov_b32 v40, s3 :: v_dual_mov_b32 v39, s2
	s_and_b32 s25, exec_lo, s9
	s_mov_b64 s[2:3], s[4:5]
	s_or_b32 s8, s25, s8
	s_delay_alu instid0(SALU_CYCLE_1)
	s_and_not1_b32 exec_lo, exec_lo, s8
	s_cbranch_execz .LBB373_374
.LBB373_372:                            ; =>This Inner Loop Header: Depth=1
	s_or_b32 s9, s9, exec_lo
	s_cmp_eq_u64 s[22:23], s[2:3]
	s_cbranch_scc0 .LBB373_370
; %bb.373:                              ;   in Loop: Header=BB373_372 Depth=1
	s_mov_b64 s[2:3], s[22:23]
                                        ; implicit-def: $sgpr4_sgpr5
	s_branch .LBB373_371
.LBB373_374:
	s_set_inst_prefetch_distance 0x2
	s_or_b32 exec_lo, exec_lo, s8
	v_cmp_gt_i64_e32 vcc_lo, s[22:23], v[39:40]
	s_or_not1_b32 s2, vcc_lo, exec_lo
.LBB373_375:
	s_or_b32 exec_lo, exec_lo, s7
.LBB373_376:
	s_delay_alu instid0(SALU_CYCLE_1)
	s_and_b32 s2, s2, exec_lo
.LBB373_377:
	s_or_b32 exec_lo, exec_lo, s24
	s_delay_alu instid0(SALU_CYCLE_1)
	s_and_b32 s2, s2, exec_lo
	s_or_b32 s6, s6, exec_lo
.LBB373_378:
	s_or_b32 exec_lo, exec_lo, s19
.LBB373_379:
	s_and_saveexec_b32 s3, s6
	s_cbranch_execz .LBB373_381
; %bb.380:
	s_waitcnt lgkmcnt(0)
	v_and_b32_e32 v35, 0xffffff00, v33
	v_cndmask_b32_e64 v36, 0, 1, s2
	s_delay_alu instid0(VALU_DEP_1) | instskip(NEXT) | instid1(VALU_DEP_1)
	v_or_b32_e32 v35, v36, v35
	v_and_b32_e32 v35, 0xffff, v35
	s_delay_alu instid0(VALU_DEP_1)
	v_and_or_b32 v33, 0xffff0000, v33, v35
.LBB373_381:
	s_or_b32 exec_lo, exec_lo, s3
	s_delay_alu instid0(SALU_CYCLE_1)
	s_and_not1_b32 vcc_lo, exec_lo, s21
	s_cbranch_vccnz .LBB373_383
; %bb.382:
	v_cmp_gt_u32_e32 vcc_lo, s28, v55
	s_waitcnt lgkmcnt(0)
	v_or_b32_e32 v36, 1, v55
	v_and_b32_e32 v37, 0xffffff00, v34
	v_or_b32_e32 v38, 2, v55
	v_cndmask_b32_e32 v35, 0, v33, vcc_lo
	s_delay_alu instid0(VALU_DEP_4) | instskip(SKIP_1) | instid1(VALU_DEP_4)
	v_cmp_gt_u32_e32 vcc_lo, s28, v36
	v_or_b32_e32 v36, 4, v55
	v_cmp_gt_u32_e64 s2, s28, v38
	v_or_b32_e32 v38, 3, v55
	v_and_b32_e32 v35, 0xff, v35
	s_delay_alu instid0(VALU_DEP_2) | instskip(NEXT) | instid1(VALU_DEP_2)
	v_cmp_gt_u32_e64 s3, s28, v38
	v_cndmask_b32_e32 v35, v35, v33, vcc_lo
	v_cmp_gt_u32_e32 vcc_lo, s28, v36
	v_cndmask_b32_e32 v36, v37, v34, vcc_lo
	v_or_b32_e32 v37, 5, v55
	s_delay_alu instid0(VALU_DEP_2) | instskip(SKIP_1) | instid1(VALU_DEP_1)
	v_and_b32_e32 v36, 0xffff00ff, v36
	v_and_b32_e32 v35, 0xffff, v35
	v_cndmask_b32_e64 v35, v35, v33, s2
	s_delay_alu instid0(VALU_DEP_4) | instskip(SKIP_1) | instid1(VALU_DEP_3)
	v_cmp_gt_u32_e64 s2, s28, v37
	v_or_b32_e32 v37, 6, v55
	v_and_b32_e32 v35, 0xffffff, v35
	s_delay_alu instid0(VALU_DEP_3) | instskip(NEXT) | instid1(VALU_DEP_2)
	v_cndmask_b32_e64 v36, v36, v34, s2
	v_cndmask_b32_e64 v35, v35, v33, s3
	s_delay_alu instid0(VALU_DEP_1) | instskip(SKIP_2) | instid1(VALU_DEP_3)
	v_dual_cndmask_b32 v35, v35, v33 :: v_dual_and_b32 v36, 0xff00ffff, v36
	v_cmp_gt_u32_e32 vcc_lo, s28, v37
	v_or_b32_e32 v37, 7, v55
	v_cndmask_b32_e64 v35, v35, v33, s2
	s_delay_alu instid0(VALU_DEP_1) | instskip(NEXT) | instid1(VALU_DEP_1)
	v_dual_cndmask_b32 v36, v36, v34 :: v_dual_cndmask_b32 v35, v35, v33
	v_and_b32_e32 v36, 0xffffff, v36
	s_delay_alu instid0(VALU_DEP_4) | instskip(NEXT) | instid1(VALU_DEP_2)
	v_cmp_gt_u32_e32 vcc_lo, s28, v37
	v_dual_cndmask_b32 v34, v36, v34 :: v_dual_cndmask_b32 v33, v35, v33
.LBB373_383:
	s_delay_alu instid0(VALU_DEP_1) | instskip(SKIP_1) | instid1(VALU_DEP_2)
	v_and_b32_e32 v42, 0xff, v33
	s_waitcnt lgkmcnt(0)
	v_alignbit_b32 v35, v34, v33, 24
	v_bfe_u32 v44, v33, 8, 8
	v_bfe_u32 v46, v33, 16, 8
	v_and_b32_e32 v50, 0xff, v34
	v_bfe_u32 v52, v34, 8, 8
	v_and_b32_e32 v48, 0xff, v35
	v_add_nc_u32_e32 v35, v44, v42
	v_mbcnt_lo_u32_b32 v57, -1, 0
	v_bfe_u32 v54, v34, 16, 8
	v_lshrrev_b32_e32 v56, 24, v34
	v_lshrrev_b32_e32 v58, 5, v0
	v_add3_u32 v35, v35, v46, v48
	v_and_b32_e32 v36, 15, v57
	v_and_b32_e32 v37, 16, v57
	s_and_b32 vcc_lo, exec_lo, s18
	s_mov_b32 s9, -1
	v_add3_u32 v35, v35, v50, v52
	v_cmp_eq_u32_e64 s4, 0, v36
	v_cmp_lt_u32_e64 s2, 1, v36
	v_cmp_lt_u32_e64 s5, 3, v36
	;; [unrolled: 1-line block ×3, first 2 shown]
	v_add3_u32 v59, v35, v54, v56
	v_or_b32_e32 v35, 31, v0
	v_cmp_eq_u32_e64 s7, 0, v37
	s_barrier
	buffer_gl0_inv
	v_cmp_eq_u32_e64 s6, v35, v0
	s_cbranch_vccz .LBB373_414
; %bb.384:
	v_mov_b32_dpp v35, v59 row_shr:1 row_mask:0xf bank_mask:0xf
	s_delay_alu instid0(VALU_DEP_1) | instskip(NEXT) | instid1(VALU_DEP_1)
	v_cndmask_b32_e64 v35, v35, 0, s4
	v_add_nc_u32_e32 v35, v35, v59
	s_delay_alu instid0(VALU_DEP_1) | instskip(NEXT) | instid1(VALU_DEP_1)
	v_mov_b32_dpp v36, v35 row_shr:2 row_mask:0xf bank_mask:0xf
	v_cndmask_b32_e64 v36, 0, v36, s2
	s_delay_alu instid0(VALU_DEP_1) | instskip(NEXT) | instid1(VALU_DEP_1)
	v_add_nc_u32_e32 v35, v35, v36
	v_mov_b32_dpp v36, v35 row_shr:4 row_mask:0xf bank_mask:0xf
	s_delay_alu instid0(VALU_DEP_1) | instskip(NEXT) | instid1(VALU_DEP_1)
	v_cndmask_b32_e64 v36, 0, v36, s5
	v_add_nc_u32_e32 v35, v35, v36
	s_delay_alu instid0(VALU_DEP_1) | instskip(NEXT) | instid1(VALU_DEP_1)
	v_mov_b32_dpp v36, v35 row_shr:8 row_mask:0xf bank_mask:0xf
	v_cndmask_b32_e64 v36, 0, v36, s3
	s_delay_alu instid0(VALU_DEP_1) | instskip(SKIP_3) | instid1(VALU_DEP_1)
	v_add_nc_u32_e32 v35, v35, v36
	ds_swizzle_b32 v36, v35 offset:swizzle(BROADCAST,32,15)
	s_waitcnt lgkmcnt(0)
	v_cndmask_b32_e64 v36, v36, 0, s7
	v_add_nc_u32_e32 v35, v35, v36
	s_and_saveexec_b32 s8, s6
	s_cbranch_execz .LBB373_386
; %bb.385:
	v_lshlrev_b32_e32 v36, 2, v58
	ds_store_b32 v36, v35
.LBB373_386:
	s_or_b32 exec_lo, exec_lo, s8
	s_delay_alu instid0(SALU_CYCLE_1)
	s_mov_b32 s8, exec_lo
	s_waitcnt lgkmcnt(0)
	s_barrier
	buffer_gl0_inv
	v_cmpx_gt_u32_e32 16, v0
	s_cbranch_execz .LBB373_388
; %bb.387:
	v_lshlrev_b32_e32 v36, 2, v0
	ds_load_b32 v37, v36
	s_waitcnt lgkmcnt(0)
	v_mov_b32_dpp v38, v37 row_shr:1 row_mask:0xf bank_mask:0xf
	s_delay_alu instid0(VALU_DEP_1) | instskip(NEXT) | instid1(VALU_DEP_1)
	v_cndmask_b32_e64 v38, v38, 0, s4
	v_add_nc_u32_e32 v37, v38, v37
	s_delay_alu instid0(VALU_DEP_1) | instskip(NEXT) | instid1(VALU_DEP_1)
	v_mov_b32_dpp v38, v37 row_shr:2 row_mask:0xf bank_mask:0xf
	v_cndmask_b32_e64 v38, 0, v38, s2
	s_delay_alu instid0(VALU_DEP_1) | instskip(NEXT) | instid1(VALU_DEP_1)
	v_add_nc_u32_e32 v37, v37, v38
	v_mov_b32_dpp v38, v37 row_shr:4 row_mask:0xf bank_mask:0xf
	s_delay_alu instid0(VALU_DEP_1) | instskip(NEXT) | instid1(VALU_DEP_1)
	v_cndmask_b32_e64 v38, 0, v38, s5
	v_add_nc_u32_e32 v37, v37, v38
	s_delay_alu instid0(VALU_DEP_1) | instskip(NEXT) | instid1(VALU_DEP_1)
	v_mov_b32_dpp v38, v37 row_shr:8 row_mask:0xf bank_mask:0xf
	v_cndmask_b32_e64 v38, 0, v38, s3
	s_delay_alu instid0(VALU_DEP_1)
	v_add_nc_u32_e32 v37, v37, v38
	ds_store_b32 v36, v37
.LBB373_388:
	s_or_b32 exec_lo, exec_lo, s8
	v_cmp_gt_u32_e32 vcc_lo, 32, v0
	s_mov_b32 s9, exec_lo
	s_waitcnt lgkmcnt(0)
	s_barrier
	buffer_gl0_inv
                                        ; implicit-def: $vgpr43
	v_cmpx_lt_u32_e32 31, v0
	s_cbranch_execz .LBB373_390
; %bb.389:
	v_lshl_add_u32 v36, v58, 2, -4
	ds_load_b32 v43, v36
	s_waitcnt lgkmcnt(0)
	v_add_nc_u32_e32 v35, v43, v35
.LBB373_390:
	s_or_b32 exec_lo, exec_lo, s9
	v_add_nc_u32_e32 v36, -1, v57
	s_delay_alu instid0(VALU_DEP_1) | instskip(NEXT) | instid1(VALU_DEP_1)
	v_cmp_gt_i32_e64 s8, 0, v36
	v_cndmask_b32_e64 v36, v36, v57, s8
	v_cmp_eq_u32_e64 s8, 0, v57
	s_delay_alu instid0(VALU_DEP_2)
	v_lshlrev_b32_e32 v36, 2, v36
	ds_bpermute_b32 v45, v36, v35
	s_and_saveexec_b32 s9, vcc_lo
	s_cbranch_execz .LBB373_413
; %bb.391:
	v_mov_b32_e32 v38, 0
	ds_load_b32 v35, v38 offset:60
	s_and_saveexec_b32 s18, s8
	s_cbranch_execz .LBB373_393
; %bb.392:
	s_add_i32 s22, s15, 32
	s_mov_b32 s23, 0
	v_mov_b32_e32 v36, 1
	s_lshl_b64 s[22:23], s[22:23], 3
	s_delay_alu instid0(SALU_CYCLE_1)
	s_add_u32 s22, s10, s22
	s_addc_u32 s23, s11, s23
	s_waitcnt lgkmcnt(0)
	global_store_b64 v38, v[35:36], s[22:23]
.LBB373_393:
	s_or_b32 exec_lo, exec_lo, s18
	v_xad_u32 v36, v57, -1, s15
	s_mov_b32 s19, 0
	s_mov_b32 s18, exec_lo
	s_delay_alu instid0(VALU_DEP_1) | instskip(NEXT) | instid1(VALU_DEP_1)
	v_add_nc_u32_e32 v37, 32, v36
	v_lshlrev_b64 v[37:38], 3, v[37:38]
	s_delay_alu instid0(VALU_DEP_1) | instskip(NEXT) | instid1(VALU_DEP_2)
	v_add_co_u32 v40, vcc_lo, s10, v37
	v_add_co_ci_u32_e32 v41, vcc_lo, s11, v38, vcc_lo
	global_load_b64 v[38:39], v[40:41], off glc
	s_waitcnt vmcnt(0)
	v_and_b32_e32 v37, 0xff, v39
	s_delay_alu instid0(VALU_DEP_1)
	v_cmpx_eq_u16_e32 0, v37
	s_cbranch_execz .LBB373_399
; %bb.394:
	s_mov_b32 s21, 1
	.p2align	6
.LBB373_395:                            ; =>This Loop Header: Depth=1
                                        ;     Child Loop BB373_396 Depth 2
	s_delay_alu instid0(SALU_CYCLE_1)
	s_max_u32 s22, s21, 1
.LBB373_396:                            ;   Parent Loop BB373_395 Depth=1
                                        ; =>  This Inner Loop Header: Depth=2
	s_delay_alu instid0(SALU_CYCLE_1)
	s_add_i32 s22, s22, -1
	s_sleep 1
	s_cmp_eq_u32 s22, 0
	s_cbranch_scc0 .LBB373_396
; %bb.397:                              ;   in Loop: Header=BB373_395 Depth=1
	global_load_b64 v[38:39], v[40:41], off glc
	s_cmp_lt_u32 s21, 32
	s_cselect_b32 s22, -1, 0
	s_delay_alu instid0(SALU_CYCLE_1) | instskip(SKIP_3) | instid1(VALU_DEP_1)
	s_cmp_lg_u32 s22, 0
	s_addc_u32 s21, s21, 0
	s_waitcnt vmcnt(0)
	v_and_b32_e32 v37, 0xff, v39
	v_cmp_ne_u16_e32 vcc_lo, 0, v37
	s_or_b32 s19, vcc_lo, s19
	s_delay_alu instid0(SALU_CYCLE_1)
	s_and_not1_b32 exec_lo, exec_lo, s19
	s_cbranch_execnz .LBB373_395
; %bb.398:
	s_or_b32 exec_lo, exec_lo, s19
.LBB373_399:
	s_delay_alu instid0(SALU_CYCLE_1)
	s_or_b32 exec_lo, exec_lo, s18
	v_cmp_ne_u32_e32 vcc_lo, 31, v57
	v_lshlrev_b32_e64 v49, v57, -1
	v_add_nc_u32_e32 v53, 2, v57
	v_add_nc_u32_e32 v62, 4, v57
	;; [unrolled: 1-line block ×3, first 2 shown]
	v_add_co_ci_u32_e32 v37, vcc_lo, 0, v57, vcc_lo
	v_add_nc_u32_e32 v66, 16, v57
	s_delay_alu instid0(VALU_DEP_2)
	v_lshlrev_b32_e32 v47, 2, v37
	v_and_b32_e32 v37, 0xff, v39
	ds_bpermute_b32 v40, v47, v38
	v_cmp_eq_u16_e32 vcc_lo, 2, v37
	v_and_or_b32 v37, vcc_lo, v49, 0x80000000
	v_cmp_gt_u32_e32 vcc_lo, 30, v57
	s_delay_alu instid0(VALU_DEP_2) | instskip(SKIP_1) | instid1(VALU_DEP_2)
	v_ctz_i32_b32_e32 v37, v37
	v_cndmask_b32_e64 v41, 0, 1, vcc_lo
	v_cmp_lt_u32_e32 vcc_lo, v57, v37
	s_waitcnt lgkmcnt(0)
	s_delay_alu instid0(VALU_DEP_2) | instskip(NEXT) | instid1(VALU_DEP_1)
	v_dual_cndmask_b32 v40, 0, v40 :: v_dual_lshlrev_b32 v41, 1, v41
	v_add_lshl_u32 v51, v41, v57, 2
	v_cmp_gt_u32_e32 vcc_lo, 28, v57
	s_delay_alu instid0(VALU_DEP_3) | instskip(SKIP_4) | instid1(VALU_DEP_1)
	v_add_nc_u32_e32 v38, v40, v38
	v_cndmask_b32_e64 v41, 0, 1, vcc_lo
	v_cmp_le_u32_e32 vcc_lo, v53, v37
	ds_bpermute_b32 v40, v51, v38
	v_lshlrev_b32_e32 v41, 2, v41
	v_add_lshl_u32 v60, v41, v57, 2
	s_waitcnt lgkmcnt(0)
	v_cndmask_b32_e32 v40, 0, v40, vcc_lo
	v_cmp_gt_u32_e32 vcc_lo, 24, v57
	s_delay_alu instid0(VALU_DEP_2) | instskip(SKIP_4) | instid1(VALU_DEP_1)
	v_add_nc_u32_e32 v38, v38, v40
	v_cndmask_b32_e64 v41, 0, 1, vcc_lo
	v_cmp_le_u32_e32 vcc_lo, v62, v37
	ds_bpermute_b32 v40, v60, v38
	v_lshlrev_b32_e32 v41, 3, v41
	v_add_lshl_u32 v63, v41, v57, 2
	s_waitcnt lgkmcnt(0)
	v_cndmask_b32_e32 v40, 0, v40, vcc_lo
	v_cmp_gt_u32_e32 vcc_lo, 16, v57
	s_delay_alu instid0(VALU_DEP_2) | instskip(SKIP_4) | instid1(VALU_DEP_1)
	v_add_nc_u32_e32 v38, v38, v40
	v_cndmask_b32_e64 v41, 0, 1, vcc_lo
	v_cmp_le_u32_e32 vcc_lo, v64, v37
	ds_bpermute_b32 v40, v63, v38
	v_lshlrev_b32_e32 v41, 4, v41
	v_add_lshl_u32 v65, v41, v57, 2
	s_waitcnt lgkmcnt(0)
	v_cndmask_b32_e32 v40, 0, v40, vcc_lo
	v_cmp_le_u32_e32 vcc_lo, v66, v37
	s_delay_alu instid0(VALU_DEP_2) | instskip(SKIP_3) | instid1(VALU_DEP_1)
	v_add_nc_u32_e32 v38, v38, v40
	ds_bpermute_b32 v40, v65, v38
	s_waitcnt lgkmcnt(0)
	v_cndmask_b32_e32 v37, 0, v40, vcc_lo
	v_dual_mov_b32 v37, 0 :: v_dual_add_nc_u32 v38, v38, v37
	s_branch .LBB373_401
.LBB373_400:                            ;   in Loop: Header=BB373_401 Depth=1
	s_or_b32 exec_lo, exec_lo, s18
	ds_bpermute_b32 v41, v47, v38
	v_and_b32_e32 v40, 0xff, v39
	v_subrev_nc_u32_e32 v36, 32, v36
	s_delay_alu instid0(VALU_DEP_2) | instskip(SKIP_1) | instid1(VALU_DEP_1)
	v_cmp_eq_u16_e32 vcc_lo, 2, v40
	v_and_or_b32 v40, vcc_lo, v49, 0x80000000
	v_ctz_i32_b32_e32 v40, v40
	s_delay_alu instid0(VALU_DEP_1) | instskip(SKIP_3) | instid1(VALU_DEP_2)
	v_cmp_lt_u32_e32 vcc_lo, v57, v40
	s_waitcnt lgkmcnt(0)
	v_cndmask_b32_e32 v41, 0, v41, vcc_lo
	v_cmp_le_u32_e32 vcc_lo, v53, v40
	v_add_nc_u32_e32 v38, v41, v38
	ds_bpermute_b32 v41, v51, v38
	s_waitcnt lgkmcnt(0)
	v_cndmask_b32_e32 v41, 0, v41, vcc_lo
	v_cmp_le_u32_e32 vcc_lo, v62, v40
	s_delay_alu instid0(VALU_DEP_2) | instskip(SKIP_4) | instid1(VALU_DEP_2)
	v_add_nc_u32_e32 v38, v38, v41
	ds_bpermute_b32 v41, v60, v38
	s_waitcnt lgkmcnt(0)
	v_cndmask_b32_e32 v41, 0, v41, vcc_lo
	v_cmp_le_u32_e32 vcc_lo, v64, v40
	v_add_nc_u32_e32 v38, v38, v41
	ds_bpermute_b32 v41, v63, v38
	s_waitcnt lgkmcnt(0)
	v_cndmask_b32_e32 v41, 0, v41, vcc_lo
	v_cmp_le_u32_e32 vcc_lo, v66, v40
	s_delay_alu instid0(VALU_DEP_2) | instskip(SKIP_3) | instid1(VALU_DEP_1)
	v_add_nc_u32_e32 v38, v38, v41
	ds_bpermute_b32 v41, v65, v38
	s_waitcnt lgkmcnt(0)
	v_cndmask_b32_e32 v40, 0, v41, vcc_lo
	v_add3_u32 v38, v40, v61, v38
.LBB373_401:                            ; =>This Loop Header: Depth=1
                                        ;     Child Loop BB373_404 Depth 2
                                        ;       Child Loop BB373_405 Depth 3
	v_and_b32_e32 v39, 0xff, v39
	s_delay_alu instid0(VALU_DEP_2) | instskip(NEXT) | instid1(VALU_DEP_2)
	v_mov_b32_e32 v61, v38
	v_cmp_ne_u16_e32 vcc_lo, 2, v39
	v_cndmask_b32_e64 v39, 0, 1, vcc_lo
	;;#ASMSTART
	;;#ASMEND
	s_delay_alu instid0(VALU_DEP_1)
	v_cmp_ne_u32_e32 vcc_lo, 0, v39
	s_cmp_lg_u32 vcc_lo, exec_lo
	s_cbranch_scc1 .LBB373_408
; %bb.402:                              ;   in Loop: Header=BB373_401 Depth=1
	v_lshlrev_b64 v[38:39], 3, v[36:37]
	s_mov_b32 s18, exec_lo
	s_delay_alu instid0(VALU_DEP_1) | instskip(NEXT) | instid1(VALU_DEP_2)
	v_add_co_u32 v40, vcc_lo, s10, v38
	v_add_co_ci_u32_e32 v41, vcc_lo, s11, v39, vcc_lo
	global_load_b64 v[38:39], v[40:41], off glc
	s_waitcnt vmcnt(0)
	v_and_b32_e32 v67, 0xff, v39
	s_delay_alu instid0(VALU_DEP_1)
	v_cmpx_eq_u16_e32 0, v67
	s_cbranch_execz .LBB373_400
; %bb.403:                              ;   in Loop: Header=BB373_401 Depth=1
	s_mov_b32 s21, 1
	s_mov_b32 s19, 0
	.p2align	6
.LBB373_404:                            ;   Parent Loop BB373_401 Depth=1
                                        ; =>  This Loop Header: Depth=2
                                        ;       Child Loop BB373_405 Depth 3
	s_max_u32 s22, s21, 1
.LBB373_405:                            ;   Parent Loop BB373_401 Depth=1
                                        ;     Parent Loop BB373_404 Depth=2
                                        ; =>    This Inner Loop Header: Depth=3
	s_delay_alu instid0(SALU_CYCLE_1)
	s_add_i32 s22, s22, -1
	s_sleep 1
	s_cmp_eq_u32 s22, 0
	s_cbranch_scc0 .LBB373_405
; %bb.406:                              ;   in Loop: Header=BB373_404 Depth=2
	global_load_b64 v[38:39], v[40:41], off glc
	s_cmp_lt_u32 s21, 32
	s_cselect_b32 s22, -1, 0
	s_delay_alu instid0(SALU_CYCLE_1) | instskip(SKIP_3) | instid1(VALU_DEP_1)
	s_cmp_lg_u32 s22, 0
	s_addc_u32 s21, s21, 0
	s_waitcnt vmcnt(0)
	v_and_b32_e32 v67, 0xff, v39
	v_cmp_ne_u16_e32 vcc_lo, 0, v67
	s_or_b32 s19, vcc_lo, s19
	s_delay_alu instid0(SALU_CYCLE_1)
	s_and_not1_b32 exec_lo, exec_lo, s19
	s_cbranch_execnz .LBB373_404
; %bb.407:                              ;   in Loop: Header=BB373_401 Depth=1
	s_or_b32 exec_lo, exec_lo, s19
	s_branch .LBB373_400
.LBB373_408:                            ;   in Loop: Header=BB373_401 Depth=1
                                        ; implicit-def: $vgpr38
                                        ; implicit-def: $vgpr39
	s_cbranch_execz .LBB373_401
; %bb.409:
	s_and_saveexec_b32 s18, s8
	s_cbranch_execz .LBB373_411
; %bb.410:
	s_add_i32 s22, s15, 32
	s_mov_b32 s23, 0
	v_dual_mov_b32 v37, 2 :: v_dual_add_nc_u32 v36, v61, v35
	s_lshl_b64 s[22:23], s[22:23], 3
	v_mov_b32_e32 v38, 0
	v_add_nc_u32_e64 v39, 0x8400, 0
	s_add_u32 s22, s10, s22
	s_addc_u32 s23, s11, s23
	global_store_b64 v38, v[36:37], s[22:23]
	ds_store_2addr_b32 v39, v35, v61 offset1:2
.LBB373_411:
	s_or_b32 exec_lo, exec_lo, s18
	v_cmp_eq_u32_e32 vcc_lo, 0, v0
	s_and_b32 exec_lo, exec_lo, vcc_lo
	s_cbranch_execz .LBB373_413
; %bb.412:
	v_mov_b32_e32 v35, 0
	ds_store_b32 v35, v61 offset:60
.LBB373_413:
	s_or_b32 exec_lo, exec_lo, s9
	s_waitcnt lgkmcnt(0)
	v_cndmask_b32_e64 v36, v45, v43, s8
	v_cmp_ne_u32_e32 vcc_lo, 0, v0
	v_mov_b32_e32 v35, 0
	s_waitcnt_vscnt null, 0x0
	s_barrier
	buffer_gl0_inv
	v_cndmask_b32_e32 v36, 0, v36, vcc_lo
	ds_load_b32 v35, v35 offset:60
	s_waitcnt lgkmcnt(0)
	s_barrier
	buffer_gl0_inv
	v_add_nc_u32_e32 v53, v35, v36
	v_add_nc_u32_e64 v35, 0x8400, 0
	s_delay_alu instid0(VALU_DEP_2) | instskip(SKIP_2) | instid1(VALU_DEP_1)
	v_add_nc_u32_e32 v51, v53, v42
	ds_load_2addr_b32 v[35:36], v35 offset1:2
	v_add_nc_u32_e32 v49, v51, v44
	v_add_nc_u32_e32 v47, v49, v46
	s_delay_alu instid0(VALU_DEP_1) | instskip(NEXT) | instid1(VALU_DEP_1)
	v_add_nc_u32_e32 v45, v47, v48
	v_add_nc_u32_e32 v43, v45, v50
	s_waitcnt lgkmcnt(0)
	v_readfirstlane_b32 s8, v36
	s_delay_alu instid0(VALU_DEP_2) | instskip(NEXT) | instid1(VALU_DEP_1)
	v_add_nc_u32_e32 v41, v43, v52
	v_add_nc_u32_e32 v39, v41, v54
	v_lshrrev_b64 v[37:38], 24, v[33:34]
	s_branch .LBB373_424
.LBB373_414:
                                        ; implicit-def: $vgpr39
                                        ; implicit-def: $vgpr41
                                        ; implicit-def: $vgpr43
                                        ; implicit-def: $vgpr45
                                        ; implicit-def: $vgpr47
                                        ; implicit-def: $vgpr49
                                        ; implicit-def: $vgpr51
                                        ; implicit-def: $vgpr53
                                        ; implicit-def: $sgpr8
                                        ; implicit-def: $vgpr35
	v_lshrrev_b64 v[37:38], 24, v[33:34]
	s_and_b32 vcc_lo, exec_lo, s9
	s_cbranch_vccz .LBB373_424
; %bb.415:
	v_mov_b32_dpp v35, v59 row_shr:1 row_mask:0xf bank_mask:0xf
	s_delay_alu instid0(VALU_DEP_1) | instskip(NEXT) | instid1(VALU_DEP_1)
	v_cndmask_b32_e64 v35, v35, 0, s4
	v_add_nc_u32_e32 v35, v35, v59
	s_delay_alu instid0(VALU_DEP_1) | instskip(NEXT) | instid1(VALU_DEP_1)
	v_mov_b32_dpp v36, v35 row_shr:2 row_mask:0xf bank_mask:0xf
	v_cndmask_b32_e64 v36, 0, v36, s2
	s_delay_alu instid0(VALU_DEP_1) | instskip(NEXT) | instid1(VALU_DEP_1)
	v_add_nc_u32_e32 v35, v35, v36
	v_mov_b32_dpp v36, v35 row_shr:4 row_mask:0xf bank_mask:0xf
	s_delay_alu instid0(VALU_DEP_1) | instskip(NEXT) | instid1(VALU_DEP_1)
	v_cndmask_b32_e64 v36, 0, v36, s5
	v_add_nc_u32_e32 v35, v35, v36
	s_delay_alu instid0(VALU_DEP_1) | instskip(NEXT) | instid1(VALU_DEP_1)
	v_mov_b32_dpp v36, v35 row_shr:8 row_mask:0xf bank_mask:0xf
	v_cndmask_b32_e64 v36, 0, v36, s3
	s_delay_alu instid0(VALU_DEP_1) | instskip(SKIP_3) | instid1(VALU_DEP_1)
	v_add_nc_u32_e32 v35, v35, v36
	ds_swizzle_b32 v36, v35 offset:swizzle(BROADCAST,32,15)
	s_waitcnt lgkmcnt(0)
	v_cndmask_b32_e64 v36, v36, 0, s7
	v_add_nc_u32_e32 v35, v35, v36
	s_and_saveexec_b32 s7, s6
	s_cbranch_execz .LBB373_417
; %bb.416:
	v_lshlrev_b32_e32 v36, 2, v58
	ds_store_b32 v36, v35
.LBB373_417:
	s_or_b32 exec_lo, exec_lo, s7
	s_delay_alu instid0(SALU_CYCLE_1)
	s_mov_b32 s6, exec_lo
	s_waitcnt lgkmcnt(0)
	s_barrier
	buffer_gl0_inv
	v_cmpx_gt_u32_e32 16, v0
	s_cbranch_execz .LBB373_419
; %bb.418:
	v_lshlrev_b32_e32 v36, 2, v0
	ds_load_b32 v38, v36
	s_waitcnt lgkmcnt(0)
	v_mov_b32_dpp v39, v38 row_shr:1 row_mask:0xf bank_mask:0xf
	s_delay_alu instid0(VALU_DEP_1) | instskip(NEXT) | instid1(VALU_DEP_1)
	v_cndmask_b32_e64 v39, v39, 0, s4
	v_add_nc_u32_e32 v38, v39, v38
	s_delay_alu instid0(VALU_DEP_1) | instskip(NEXT) | instid1(VALU_DEP_1)
	v_mov_b32_dpp v39, v38 row_shr:2 row_mask:0xf bank_mask:0xf
	v_cndmask_b32_e64 v39, 0, v39, s2
	s_delay_alu instid0(VALU_DEP_1) | instskip(NEXT) | instid1(VALU_DEP_1)
	v_add_nc_u32_e32 v38, v38, v39
	v_mov_b32_dpp v39, v38 row_shr:4 row_mask:0xf bank_mask:0xf
	s_delay_alu instid0(VALU_DEP_1) | instskip(NEXT) | instid1(VALU_DEP_1)
	v_cndmask_b32_e64 v39, 0, v39, s5
	v_add_nc_u32_e32 v38, v38, v39
	s_delay_alu instid0(VALU_DEP_1) | instskip(NEXT) | instid1(VALU_DEP_1)
	v_mov_b32_dpp v39, v38 row_shr:8 row_mask:0xf bank_mask:0xf
	v_cndmask_b32_e64 v39, 0, v39, s3
	s_delay_alu instid0(VALU_DEP_1)
	v_add_nc_u32_e32 v38, v38, v39
	ds_store_b32 v36, v38
.LBB373_419:
	s_or_b32 exec_lo, exec_lo, s6
	v_mov_b32_e32 v36, 0
	v_mov_b32_e32 v38, 0
	s_mov_b32 s2, exec_lo
	s_waitcnt lgkmcnt(0)
	s_barrier
	buffer_gl0_inv
	v_cmpx_lt_u32_e32 31, v0
	s_cbranch_execz .LBB373_421
; %bb.420:
	v_lshl_add_u32 v38, v58, 2, -4
	ds_load_b32 v38, v38
.LBB373_421:
	s_or_b32 exec_lo, exec_lo, s2
	v_add_nc_u32_e32 v39, -1, v57
	s_waitcnt lgkmcnt(0)
	v_add_nc_u32_e32 v35, v38, v35
	s_mov_b32 s8, 0
	s_delay_alu instid0(VALU_DEP_2) | instskip(SKIP_2) | instid1(VALU_DEP_2)
	v_cmp_gt_i32_e32 vcc_lo, 0, v39
	v_cndmask_b32_e32 v39, v39, v57, vcc_lo
	v_cmp_eq_u32_e32 vcc_lo, 0, v0
	v_lshlrev_b32_e32 v39, 2, v39
	ds_bpermute_b32 v39, v39, v35
	ds_load_b32 v35, v36 offset:60
	s_and_saveexec_b32 s2, vcc_lo
	s_cbranch_execz .LBB373_423
; %bb.422:
	v_mov_b32_e32 v40, 0
	v_mov_b32_e32 v36, 2
	s_waitcnt lgkmcnt(0)
	global_store_b64 v40, v[35:36], s[10:11] offset:256
.LBB373_423:
	s_or_b32 exec_lo, exec_lo, s2
	v_cmp_eq_u32_e64 s2, 0, v57
	s_waitcnt lgkmcnt(0)
	s_waitcnt_vscnt null, 0x0
	s_barrier
	buffer_gl0_inv
	v_cndmask_b32_e64 v36, v39, v38, s2
	s_delay_alu instid0(VALU_DEP_1) | instskip(NEXT) | instid1(VALU_DEP_1)
	v_cndmask_b32_e64 v53, v36, 0, vcc_lo
	v_add_nc_u32_e32 v51, v53, v42
	s_delay_alu instid0(VALU_DEP_1) | instskip(NEXT) | instid1(VALU_DEP_1)
	v_add_nc_u32_e32 v49, v51, v44
	v_add_nc_u32_e32 v47, v49, v46
	s_delay_alu instid0(VALU_DEP_1) | instskip(NEXT) | instid1(VALU_DEP_1)
	v_add_nc_u32_e32 v45, v47, v48
	;; [unrolled: 3-line block ×3, first 2 shown]
	v_add_nc_u32_e32 v39, v41, v54
.LBB373_424:
	s_load_b128 s[4:7], s[0:1], 0x28
	v_add_nc_u32_e32 v59, s8, v35
	v_cmp_gt_u32_e64 s0, 0x201, v35
	v_lshrrev_b32_e32 v58, 8, v33
	v_lshrrev_b32_e32 v57, 16, v33
	v_lshrrev_b32_e32 v38, 8, v34
	v_lshrrev_b32_e32 v36, 16, v34
	v_cmp_lt_u32_e64 s1, v53, v59
	s_and_b32 vcc_lo, exec_lo, s0
	s_mov_b32 s2, -1
	s_cbranch_vccz .LBB373_450
; %bb.425:
	s_delay_alu instid0(VALU_DEP_1) | instskip(NEXT) | instid1(SALU_CYCLE_1)
	s_or_b32 s2, s20, s1
	s_and_saveexec_b32 s1, s2
	s_cbranch_execz .LBB373_428
; %bb.426:
	v_and_b32_e32 v40, 1, v33
	s_delay_alu instid0(VALU_DEP_1)
	v_cmp_eq_u32_e32 vcc_lo, 1, v40
	s_and_b32 exec_lo, exec_lo, vcc_lo
	s_cbranch_execz .LBB373_428
; %bb.427:
	v_mov_b32_e32 v54, 0
	s_lshl_b64 s[2:3], s[12:13], 3
	s_waitcnt lgkmcnt(0)
	s_add_u32 s2, s4, s2
	s_addc_u32 s3, s5, s3
	v_lshlrev_b64 v[60:61], 3, v[53:54]
	s_delay_alu instid0(VALU_DEP_1) | instskip(NEXT) | instid1(VALU_DEP_2)
	v_add_co_u32 v60, vcc_lo, s2, v60
	v_add_co_ci_u32_e32 v61, vcc_lo, s3, v61, vcc_lo
	global_store_b64 v[60:61], v[29:30], off
.LBB373_428:
	s_or_b32 exec_lo, exec_lo, s1
	v_cmp_lt_u32_e32 vcc_lo, v51, v59
	s_or_b32 s2, s20, vcc_lo
	s_delay_alu instid0(SALU_CYCLE_1)
	s_and_saveexec_b32 s1, s2
	s_cbranch_execz .LBB373_431
; %bb.429:
	v_and_b32_e32 v40, 1, v58
	s_delay_alu instid0(VALU_DEP_1)
	v_cmp_eq_u32_e32 vcc_lo, 1, v40
	s_and_b32 exec_lo, exec_lo, vcc_lo
	s_cbranch_execz .LBB373_431
; %bb.430:
	v_mov_b32_e32 v52, 0
	s_lshl_b64 s[2:3], s[12:13], 3
	s_waitcnt lgkmcnt(0)
	s_add_u32 s2, s4, s2
	s_addc_u32 s3, s5, s3
	v_lshlrev_b64 v[60:61], 3, v[51:52]
	s_delay_alu instid0(VALU_DEP_1) | instskip(NEXT) | instid1(VALU_DEP_2)
	v_add_co_u32 v60, vcc_lo, s2, v60
	v_add_co_ci_u32_e32 v61, vcc_lo, s3, v61, vcc_lo
	global_store_b64 v[60:61], v[31:32], off
.LBB373_431:
	s_or_b32 exec_lo, exec_lo, s1
	v_cmp_lt_u32_e32 vcc_lo, v49, v59
	s_or_b32 s2, s20, vcc_lo
	s_delay_alu instid0(SALU_CYCLE_1)
	;; [unrolled: 24-line block ×7, first 2 shown]
	s_and_saveexec_b32 s1, s2
	s_cbranch_execz .LBB373_449
; %bb.447:
	v_and_b32_e32 v40, 1, v56
	s_delay_alu instid0(VALU_DEP_1)
	v_cmp_eq_u32_e32 vcc_lo, 1, v40
	s_and_b32 exec_lo, exec_lo, vcc_lo
	s_cbranch_execz .LBB373_449
; %bb.448:
	v_mov_b32_e32 v40, 0
	s_lshl_b64 s[2:3], s[12:13], 3
	s_waitcnt lgkmcnt(0)
	s_add_u32 s2, s4, s2
	s_addc_u32 s3, s5, s3
	v_lshlrev_b64 v[60:61], 3, v[39:40]
	s_delay_alu instid0(VALU_DEP_1) | instskip(NEXT) | instid1(VALU_DEP_2)
	v_add_co_u32 v60, vcc_lo, s2, v60
	v_add_co_ci_u32_e32 v61, vcc_lo, s3, v61, vcc_lo
	global_store_b64 v[60:61], v[19:20], off
.LBB373_449:
	s_or_b32 exec_lo, exec_lo, s1
	s_mov_b32 s2, 0
.LBB373_450:
	v_and_b32_e32 v33, 1, v33
	s_and_b32 vcc_lo, exec_lo, s2
	s_delay_alu instid0(VALU_DEP_1)
	v_cmp_eq_u32_e64 s1, 1, v33
	s_cbranch_vccz .LBB373_471
; %bb.451:
	s_delay_alu instid0(VALU_DEP_1)
	s_and_saveexec_b32 s2, s1
	s_cbranch_execz .LBB373_453
; %bb.452:
	v_subrev_nc_u32_e32 v40, s8, v53
	s_delay_alu instid0(VALU_DEP_1)
	v_lshlrev_b32_e32 v40, 3, v40
	ds_store_b64 v40, v[29:30]
.LBB373_453:
	s_or_b32 exec_lo, exec_lo, s2
	v_and_b32_e32 v29, 1, v58
	s_mov_b32 s1, exec_lo
	s_delay_alu instid0(VALU_DEP_1)
	v_cmpx_eq_u32_e32 1, v29
	s_cbranch_execz .LBB373_455
; %bb.454:
	v_subrev_nc_u32_e32 v29, s8, v51
	s_delay_alu instid0(VALU_DEP_1)
	v_lshlrev_b32_e32 v29, 3, v29
	ds_store_b64 v29, v[31:32]
.LBB373_455:
	s_or_b32 exec_lo, exec_lo, s1
	v_and_b32_e32 v29, 1, v57
	s_mov_b32 s1, exec_lo
	s_delay_alu instid0(VALU_DEP_1)
	v_cmpx_eq_u32_e32 1, v29
	;; [unrolled: 12-line block ×7, first 2 shown]
	s_cbranch_execz .LBB373_467
; %bb.466:
	v_subrev_nc_u32_e32 v17, s8, v39
	s_delay_alu instid0(VALU_DEP_1)
	v_lshlrev_b32_e32 v17, 3, v17
	ds_store_b64 v17, v[19:20]
.LBB373_467:
	s_or_b32 exec_lo, exec_lo, s1
	s_delay_alu instid0(SALU_CYCLE_1)
	s_mov_b32 s2, exec_lo
	s_waitcnt lgkmcnt(0)
	s_waitcnt_vscnt null, 0x0
	s_barrier
	buffer_gl0_inv
	v_cmpx_lt_u32_e64 v0, v35
	s_cbranch_execz .LBB373_470
; %bb.468:
	s_mov_b32 s9, 0
	s_lshl_b64 s[10:11], s[12:13], 3
	s_lshl_b64 s[18:19], s[8:9], 3
	v_dual_mov_b32 v19, v55 :: v_dual_mov_b32 v20, v0
	s_add_u32 s1, s10, s18
	s_addc_u32 s3, s11, s19
	s_add_u32 s1, s4, s1
	s_addc_u32 s3, s5, s3
	v_add_co_u32 v17, s1, s1, v55
	s_delay_alu instid0(VALU_DEP_1)
	v_add_co_ci_u32_e64 v18, null, s3, 0, s1
	.p2align	6
.LBB373_469:                            ; =>This Inner Loop Header: Depth=1
	ds_load_b64 v[21:22], v19
	v_add_nc_u32_e32 v20, 0x200, v20
	v_add_nc_u32_e32 v19, 0x1000, v19
	s_delay_alu instid0(VALU_DEP_2) | instskip(SKIP_4) | instid1(VALU_DEP_1)
	v_cmp_ge_u32_e32 vcc_lo, v20, v35
	s_or_b32 s9, vcc_lo, s9
	s_waitcnt lgkmcnt(0)
	global_store_b64 v[17:18], v[21:22], off
	v_add_co_u32 v17, s1, 0x1000, v17
	v_add_co_ci_u32_e64 v18, s1, 0, v18, s1
	s_and_not1_b32 exec_lo, exec_lo, s9
	s_cbranch_execnz .LBB373_469
.LBB373_470:
	s_or_b32 exec_lo, exec_lo, s2
.LBB373_471:
	s_delay_alu instid0(SALU_CYCLE_1)
	s_and_b32 vcc_lo, exec_lo, s0
	s_mov_b32 s0, -1
	s_waitcnt lgkmcnt(0)
	s_waitcnt_vscnt null, 0x0
	s_barrier
	buffer_gl0_inv
	s_cbranch_vccz .LBB373_499
; %bb.472:
	v_cmp_lt_u32_e32 vcc_lo, v53, v59
	s_or_b32 s1, s20, vcc_lo
	s_delay_alu instid0(SALU_CYCLE_1)
	s_and_saveexec_b32 s0, s1
	s_cbranch_execz .LBB373_475
; %bb.473:
	v_cmp_eq_u32_e32 vcc_lo, 1, v33
	s_and_b32 exec_lo, exec_lo, vcc_lo
	s_cbranch_execz .LBB373_475
; %bb.474:
	v_mov_b32_e32 v54, 0
	s_lshl_b64 s[2:3], s[12:13], 3
	s_delay_alu instid0(SALU_CYCLE_1) | instskip(SKIP_1) | instid1(VALU_DEP_1)
	s_add_u32 s1, s6, s2
	s_addc_u32 s2, s7, s3
	v_lshlrev_b64 v[17:18], 3, v[53:54]
	s_delay_alu instid0(VALU_DEP_1) | instskip(NEXT) | instid1(VALU_DEP_2)
	v_add_co_u32 v17, vcc_lo, s1, v17
	v_add_co_ci_u32_e32 v18, vcc_lo, s2, v18, vcc_lo
	global_store_b64 v[17:18], v[13:14], off
.LBB373_475:
	s_or_b32 exec_lo, exec_lo, s0
	v_cmp_lt_u32_e32 vcc_lo, v51, v59
	s_or_b32 s1, s20, vcc_lo
	s_delay_alu instid0(SALU_CYCLE_1)
	s_and_saveexec_b32 s0, s1
	s_cbranch_execz .LBB373_478
; %bb.476:
	v_and_b32_e32 v17, 1, v58
	s_delay_alu instid0(VALU_DEP_1)
	v_cmp_eq_u32_e32 vcc_lo, 1, v17
	s_and_b32 exec_lo, exec_lo, vcc_lo
	s_cbranch_execz .LBB373_478
; %bb.477:
	v_mov_b32_e32 v52, 0
	s_lshl_b64 s[2:3], s[12:13], 3
	s_delay_alu instid0(SALU_CYCLE_1) | instskip(SKIP_1) | instid1(VALU_DEP_1)
	s_add_u32 s1, s6, s2
	s_addc_u32 s2, s7, s3
	v_lshlrev_b64 v[17:18], 3, v[51:52]
	s_delay_alu instid0(VALU_DEP_1) | instskip(NEXT) | instid1(VALU_DEP_2)
	v_add_co_u32 v17, vcc_lo, s1, v17
	v_add_co_ci_u32_e32 v18, vcc_lo, s2, v18, vcc_lo
	global_store_b64 v[17:18], v[15:16], off
.LBB373_478:
	s_or_b32 exec_lo, exec_lo, s0
	v_cmp_lt_u32_e32 vcc_lo, v49, v59
	s_or_b32 s1, s20, vcc_lo
	s_delay_alu instid0(SALU_CYCLE_1)
	s_and_saveexec_b32 s0, s1
	s_cbranch_execz .LBB373_481
; %bb.479:
	v_and_b32_e32 v17, 1, v57
	s_delay_alu instid0(VALU_DEP_1)
	v_cmp_eq_u32_e32 vcc_lo, 1, v17
	s_and_b32 exec_lo, exec_lo, vcc_lo
	s_cbranch_execz .LBB373_481
; %bb.480:
	v_mov_b32_e32 v50, 0
	s_lshl_b64 s[2:3], s[12:13], 3
	s_delay_alu instid0(SALU_CYCLE_1) | instskip(SKIP_1) | instid1(VALU_DEP_1)
	s_add_u32 s1, s6, s2
	s_addc_u32 s2, s7, s3
	v_lshlrev_b64 v[17:18], 3, v[49:50]
	s_delay_alu instid0(VALU_DEP_1) | instskip(NEXT) | instid1(VALU_DEP_2)
	v_add_co_u32 v17, vcc_lo, s1, v17
	v_add_co_ci_u32_e32 v18, vcc_lo, s2, v18, vcc_lo
	global_store_b64 v[17:18], v[9:10], off
.LBB373_481:
	;; [unrolled: 24-line block ×7, first 2 shown]
	s_or_b32 exec_lo, exec_lo, s0
.LBB373_497:
	v_cmp_eq_u32_e32 vcc_lo, 0, v0
	s_and_b32 s0, vcc_lo, s14
	s_delay_alu instid0(SALU_CYCLE_1)
	s_and_saveexec_b32 s1, s0
	s_cbranch_execz .LBB373_520
.LBB373_498:
	v_add_co_u32 v0, s0, s12, v35
	s_delay_alu instid0(VALU_DEP_1) | instskip(SKIP_1) | instid1(VALU_DEP_3)
	v_add_co_ci_u32_e64 v1, null, s13, 0, s0
	v_mov_b32_e32 v2, 0
	v_add_co_u32 v0, vcc_lo, v0, s8
	s_delay_alu instid0(VALU_DEP_3)
	v_add_co_ci_u32_e32 v1, vcc_lo, 0, v1, vcc_lo
	global_store_b64 v2, v[0:1], s[16:17]
	s_nop 0
	s_sendmsg sendmsg(MSG_DEALLOC_VGPRS)
	s_endpgm
.LBB373_499:
	s_and_b32 vcc_lo, exec_lo, s0
	s_cbranch_vccz .LBB373_497
; %bb.500:
	s_mov_b32 s0, exec_lo
	v_cmpx_eq_u32_e32 1, v33
	s_cbranch_execz .LBB373_502
; %bb.501:
	v_subrev_nc_u32_e32 v17, s8, v53
	s_delay_alu instid0(VALU_DEP_1)
	v_lshlrev_b32_e32 v17, 3, v17
	ds_store_b64 v17, v[13:14]
.LBB373_502:
	s_or_b32 exec_lo, exec_lo, s0
	v_and_b32_e32 v13, 1, v58
	s_mov_b32 s0, exec_lo
	s_delay_alu instid0(VALU_DEP_1)
	v_cmpx_eq_u32_e32 1, v13
	s_cbranch_execz .LBB373_504
; %bb.503:
	v_subrev_nc_u32_e32 v13, s8, v51
	s_delay_alu instid0(VALU_DEP_1)
	v_lshlrev_b32_e32 v13, 3, v13
	ds_store_b64 v13, v[15:16]
.LBB373_504:
	s_or_b32 exec_lo, exec_lo, s0
	v_and_b32_e32 v13, 1, v57
	s_mov_b32 s0, exec_lo
	s_delay_alu instid0(VALU_DEP_1)
	;; [unrolled: 12-line block ×7, first 2 shown]
	v_cmpx_eq_u32_e32 1, v1
	s_cbranch_execz .LBB373_516
; %bb.515:
	v_subrev_nc_u32_e32 v1, s8, v39
	s_delay_alu instid0(VALU_DEP_1)
	v_lshlrev_b32_e32 v1, 3, v1
	ds_store_b64 v1, v[3:4]
.LBB373_516:
	s_or_b32 exec_lo, exec_lo, s0
	s_delay_alu instid0(SALU_CYCLE_1)
	s_mov_b32 s1, exec_lo
	s_waitcnt lgkmcnt(0)
	s_waitcnt_vscnt null, 0x0
	s_barrier
	buffer_gl0_inv
	v_cmpx_lt_u32_e64 v0, v35
	s_cbranch_execz .LBB373_519
; %bb.517:
	s_mov_b32 s9, 0
	s_lshl_b64 s[2:3], s[12:13], 3
	s_lshl_b64 s[4:5], s[8:9], 3
	v_mov_b32_e32 v3, v0
	s_add_u32 s0, s2, s4
	s_addc_u32 s2, s3, s5
	s_add_u32 s0, s6, s0
	s_addc_u32 s2, s7, s2
	v_add_co_u32 v1, s0, s0, v55
	s_delay_alu instid0(VALU_DEP_1)
	v_add_co_ci_u32_e64 v2, null, s2, 0, s0
	.p2align	6
.LBB373_518:                            ; =>This Inner Loop Header: Depth=1
	ds_load_b64 v[4:5], v55
	v_add_nc_u32_e32 v3, 0x200, v3
	v_add_nc_u32_e32 v55, 0x1000, v55
	s_delay_alu instid0(VALU_DEP_2) | instskip(SKIP_4) | instid1(VALU_DEP_1)
	v_cmp_ge_u32_e32 vcc_lo, v3, v35
	s_or_b32 s9, vcc_lo, s9
	s_waitcnt lgkmcnt(0)
	global_store_b64 v[1:2], v[4:5], off
	v_add_co_u32 v1, s0, 0x1000, v1
	v_add_co_ci_u32_e64 v2, s0, 0, v2, s0
	s_and_not1_b32 exec_lo, exec_lo, s9
	s_cbranch_execnz .LBB373_518
.LBB373_519:
	s_or_b32 exec_lo, exec_lo, s1
	v_cmp_eq_u32_e32 vcc_lo, 0, v0
	s_and_b32 s0, vcc_lo, s14
	s_delay_alu instid0(SALU_CYCLE_1)
	s_and_saveexec_b32 s1, s0
	s_cbranch_execnz .LBB373_498
.LBB373_520:
	s_nop 0
	s_sendmsg sendmsg(MSG_DEALLOC_VGPRS)
	s_endpgm
	.section	.rodata,"a",@progbits
	.p2align	6, 0x0
	.amdhsa_kernel _ZN7rocprim17ROCPRIM_400000_NS6detail17trampoline_kernelINS0_14default_configENS1_25partition_config_selectorILNS1_17partition_subalgoE9EllbEEZZNS1_14partition_implILS5_9ELb0ES3_jPlS8_PNS0_10empty_typeENS0_5tupleIJS8_S9_EEENSB_IJS8_SA_EEENS0_18inequality_wrapperIZN2at6native12_GLOBAL__N_124unique_dim_cuda_templateIaEESt5tupleIJNSF_6TensorESK_SK_EERKSK_lbbbEUlllE0_EEPmJS9_EEE10hipError_tPvRmT3_T4_T5_T6_T7_T9_mT8_P12ihipStream_tbDpT10_ENKUlT_T0_E_clISt17integral_constantIbLb1EES19_IbLb0EEEEDaS15_S16_EUlS15_E_NS1_11comp_targetILNS1_3genE9ELNS1_11target_archE1100ELNS1_3gpuE3ELNS1_3repE0EEENS1_30default_config_static_selectorELNS0_4arch9wavefront6targetE0EEEvT1_
		.amdhsa_group_segment_fixed_size 33804
		.amdhsa_private_segment_fixed_size 0
		.amdhsa_kernarg_size 120
		.amdhsa_user_sgpr_count 15
		.amdhsa_user_sgpr_dispatch_ptr 0
		.amdhsa_user_sgpr_queue_ptr 0
		.amdhsa_user_sgpr_kernarg_segment_ptr 1
		.amdhsa_user_sgpr_dispatch_id 0
		.amdhsa_user_sgpr_private_segment_size 0
		.amdhsa_wavefront_size32 1
		.amdhsa_uses_dynamic_stack 0
		.amdhsa_enable_private_segment 0
		.amdhsa_system_sgpr_workgroup_id_x 1
		.amdhsa_system_sgpr_workgroup_id_y 0
		.amdhsa_system_sgpr_workgroup_id_z 0
		.amdhsa_system_sgpr_workgroup_info 0
		.amdhsa_system_vgpr_workitem_id 0
		.amdhsa_next_free_vgpr 68
		.amdhsa_next_free_sgpr 36
		.amdhsa_reserve_vcc 1
		.amdhsa_float_round_mode_32 0
		.amdhsa_float_round_mode_16_64 0
		.amdhsa_float_denorm_mode_32 3
		.amdhsa_float_denorm_mode_16_64 3
		.amdhsa_dx10_clamp 1
		.amdhsa_ieee_mode 1
		.amdhsa_fp16_overflow 0
		.amdhsa_workgroup_processor_mode 1
		.amdhsa_memory_ordered 1
		.amdhsa_forward_progress 0
		.amdhsa_shared_vgpr_count 0
		.amdhsa_exception_fp_ieee_invalid_op 0
		.amdhsa_exception_fp_denorm_src 0
		.amdhsa_exception_fp_ieee_div_zero 0
		.amdhsa_exception_fp_ieee_overflow 0
		.amdhsa_exception_fp_ieee_underflow 0
		.amdhsa_exception_fp_ieee_inexact 0
		.amdhsa_exception_int_div_zero 0
	.end_amdhsa_kernel
	.section	.text._ZN7rocprim17ROCPRIM_400000_NS6detail17trampoline_kernelINS0_14default_configENS1_25partition_config_selectorILNS1_17partition_subalgoE9EllbEEZZNS1_14partition_implILS5_9ELb0ES3_jPlS8_PNS0_10empty_typeENS0_5tupleIJS8_S9_EEENSB_IJS8_SA_EEENS0_18inequality_wrapperIZN2at6native12_GLOBAL__N_124unique_dim_cuda_templateIaEESt5tupleIJNSF_6TensorESK_SK_EERKSK_lbbbEUlllE0_EEPmJS9_EEE10hipError_tPvRmT3_T4_T5_T6_T7_T9_mT8_P12ihipStream_tbDpT10_ENKUlT_T0_E_clISt17integral_constantIbLb1EES19_IbLb0EEEEDaS15_S16_EUlS15_E_NS1_11comp_targetILNS1_3genE9ELNS1_11target_archE1100ELNS1_3gpuE3ELNS1_3repE0EEENS1_30default_config_static_selectorELNS0_4arch9wavefront6targetE0EEEvT1_,"axG",@progbits,_ZN7rocprim17ROCPRIM_400000_NS6detail17trampoline_kernelINS0_14default_configENS1_25partition_config_selectorILNS1_17partition_subalgoE9EllbEEZZNS1_14partition_implILS5_9ELb0ES3_jPlS8_PNS0_10empty_typeENS0_5tupleIJS8_S9_EEENSB_IJS8_SA_EEENS0_18inequality_wrapperIZN2at6native12_GLOBAL__N_124unique_dim_cuda_templateIaEESt5tupleIJNSF_6TensorESK_SK_EERKSK_lbbbEUlllE0_EEPmJS9_EEE10hipError_tPvRmT3_T4_T5_T6_T7_T9_mT8_P12ihipStream_tbDpT10_ENKUlT_T0_E_clISt17integral_constantIbLb1EES19_IbLb0EEEEDaS15_S16_EUlS15_E_NS1_11comp_targetILNS1_3genE9ELNS1_11target_archE1100ELNS1_3gpuE3ELNS1_3repE0EEENS1_30default_config_static_selectorELNS0_4arch9wavefront6targetE0EEEvT1_,comdat
.Lfunc_end373:
	.size	_ZN7rocprim17ROCPRIM_400000_NS6detail17trampoline_kernelINS0_14default_configENS1_25partition_config_selectorILNS1_17partition_subalgoE9EllbEEZZNS1_14partition_implILS5_9ELb0ES3_jPlS8_PNS0_10empty_typeENS0_5tupleIJS8_S9_EEENSB_IJS8_SA_EEENS0_18inequality_wrapperIZN2at6native12_GLOBAL__N_124unique_dim_cuda_templateIaEESt5tupleIJNSF_6TensorESK_SK_EERKSK_lbbbEUlllE0_EEPmJS9_EEE10hipError_tPvRmT3_T4_T5_T6_T7_T9_mT8_P12ihipStream_tbDpT10_ENKUlT_T0_E_clISt17integral_constantIbLb1EES19_IbLb0EEEEDaS15_S16_EUlS15_E_NS1_11comp_targetILNS1_3genE9ELNS1_11target_archE1100ELNS1_3gpuE3ELNS1_3repE0EEENS1_30default_config_static_selectorELNS0_4arch9wavefront6targetE0EEEvT1_, .Lfunc_end373-_ZN7rocprim17ROCPRIM_400000_NS6detail17trampoline_kernelINS0_14default_configENS1_25partition_config_selectorILNS1_17partition_subalgoE9EllbEEZZNS1_14partition_implILS5_9ELb0ES3_jPlS8_PNS0_10empty_typeENS0_5tupleIJS8_S9_EEENSB_IJS8_SA_EEENS0_18inequality_wrapperIZN2at6native12_GLOBAL__N_124unique_dim_cuda_templateIaEESt5tupleIJNSF_6TensorESK_SK_EERKSK_lbbbEUlllE0_EEPmJS9_EEE10hipError_tPvRmT3_T4_T5_T6_T7_T9_mT8_P12ihipStream_tbDpT10_ENKUlT_T0_E_clISt17integral_constantIbLb1EES19_IbLb0EEEEDaS15_S16_EUlS15_E_NS1_11comp_targetILNS1_3genE9ELNS1_11target_archE1100ELNS1_3gpuE3ELNS1_3repE0EEENS1_30default_config_static_selectorELNS0_4arch9wavefront6targetE0EEEvT1_
                                        ; -- End function
	.section	.AMDGPU.csdata,"",@progbits
; Kernel info:
; codeLenInByte = 18560
; NumSgprs: 38
; NumVgprs: 68
; ScratchSize: 0
; MemoryBound: 0
; FloatMode: 240
; IeeeMode: 1
; LDSByteSize: 33804 bytes/workgroup (compile time only)
; SGPRBlocks: 4
; VGPRBlocks: 8
; NumSGPRsForWavesPerEU: 38
; NumVGPRsForWavesPerEU: 68
; Occupancy: 12
; WaveLimiterHint : 1
; COMPUTE_PGM_RSRC2:SCRATCH_EN: 0
; COMPUTE_PGM_RSRC2:USER_SGPR: 15
; COMPUTE_PGM_RSRC2:TRAP_HANDLER: 0
; COMPUTE_PGM_RSRC2:TGID_X_EN: 1
; COMPUTE_PGM_RSRC2:TGID_Y_EN: 0
; COMPUTE_PGM_RSRC2:TGID_Z_EN: 0
; COMPUTE_PGM_RSRC2:TIDIG_COMP_CNT: 0
	.section	.text._ZN7rocprim17ROCPRIM_400000_NS6detail17trampoline_kernelINS0_14default_configENS1_25partition_config_selectorILNS1_17partition_subalgoE9EllbEEZZNS1_14partition_implILS5_9ELb0ES3_jPlS8_PNS0_10empty_typeENS0_5tupleIJS8_S9_EEENSB_IJS8_SA_EEENS0_18inequality_wrapperIZN2at6native12_GLOBAL__N_124unique_dim_cuda_templateIaEESt5tupleIJNSF_6TensorESK_SK_EERKSK_lbbbEUlllE0_EEPmJS9_EEE10hipError_tPvRmT3_T4_T5_T6_T7_T9_mT8_P12ihipStream_tbDpT10_ENKUlT_T0_E_clISt17integral_constantIbLb1EES19_IbLb0EEEEDaS15_S16_EUlS15_E_NS1_11comp_targetILNS1_3genE8ELNS1_11target_archE1030ELNS1_3gpuE2ELNS1_3repE0EEENS1_30default_config_static_selectorELNS0_4arch9wavefront6targetE0EEEvT1_,"axG",@progbits,_ZN7rocprim17ROCPRIM_400000_NS6detail17trampoline_kernelINS0_14default_configENS1_25partition_config_selectorILNS1_17partition_subalgoE9EllbEEZZNS1_14partition_implILS5_9ELb0ES3_jPlS8_PNS0_10empty_typeENS0_5tupleIJS8_S9_EEENSB_IJS8_SA_EEENS0_18inequality_wrapperIZN2at6native12_GLOBAL__N_124unique_dim_cuda_templateIaEESt5tupleIJNSF_6TensorESK_SK_EERKSK_lbbbEUlllE0_EEPmJS9_EEE10hipError_tPvRmT3_T4_T5_T6_T7_T9_mT8_P12ihipStream_tbDpT10_ENKUlT_T0_E_clISt17integral_constantIbLb1EES19_IbLb0EEEEDaS15_S16_EUlS15_E_NS1_11comp_targetILNS1_3genE8ELNS1_11target_archE1030ELNS1_3gpuE2ELNS1_3repE0EEENS1_30default_config_static_selectorELNS0_4arch9wavefront6targetE0EEEvT1_,comdat
	.globl	_ZN7rocprim17ROCPRIM_400000_NS6detail17trampoline_kernelINS0_14default_configENS1_25partition_config_selectorILNS1_17partition_subalgoE9EllbEEZZNS1_14partition_implILS5_9ELb0ES3_jPlS8_PNS0_10empty_typeENS0_5tupleIJS8_S9_EEENSB_IJS8_SA_EEENS0_18inequality_wrapperIZN2at6native12_GLOBAL__N_124unique_dim_cuda_templateIaEESt5tupleIJNSF_6TensorESK_SK_EERKSK_lbbbEUlllE0_EEPmJS9_EEE10hipError_tPvRmT3_T4_T5_T6_T7_T9_mT8_P12ihipStream_tbDpT10_ENKUlT_T0_E_clISt17integral_constantIbLb1EES19_IbLb0EEEEDaS15_S16_EUlS15_E_NS1_11comp_targetILNS1_3genE8ELNS1_11target_archE1030ELNS1_3gpuE2ELNS1_3repE0EEENS1_30default_config_static_selectorELNS0_4arch9wavefront6targetE0EEEvT1_ ; -- Begin function _ZN7rocprim17ROCPRIM_400000_NS6detail17trampoline_kernelINS0_14default_configENS1_25partition_config_selectorILNS1_17partition_subalgoE9EllbEEZZNS1_14partition_implILS5_9ELb0ES3_jPlS8_PNS0_10empty_typeENS0_5tupleIJS8_S9_EEENSB_IJS8_SA_EEENS0_18inequality_wrapperIZN2at6native12_GLOBAL__N_124unique_dim_cuda_templateIaEESt5tupleIJNSF_6TensorESK_SK_EERKSK_lbbbEUlllE0_EEPmJS9_EEE10hipError_tPvRmT3_T4_T5_T6_T7_T9_mT8_P12ihipStream_tbDpT10_ENKUlT_T0_E_clISt17integral_constantIbLb1EES19_IbLb0EEEEDaS15_S16_EUlS15_E_NS1_11comp_targetILNS1_3genE8ELNS1_11target_archE1030ELNS1_3gpuE2ELNS1_3repE0EEENS1_30default_config_static_selectorELNS0_4arch9wavefront6targetE0EEEvT1_
	.p2align	8
	.type	_ZN7rocprim17ROCPRIM_400000_NS6detail17trampoline_kernelINS0_14default_configENS1_25partition_config_selectorILNS1_17partition_subalgoE9EllbEEZZNS1_14partition_implILS5_9ELb0ES3_jPlS8_PNS0_10empty_typeENS0_5tupleIJS8_S9_EEENSB_IJS8_SA_EEENS0_18inequality_wrapperIZN2at6native12_GLOBAL__N_124unique_dim_cuda_templateIaEESt5tupleIJNSF_6TensorESK_SK_EERKSK_lbbbEUlllE0_EEPmJS9_EEE10hipError_tPvRmT3_T4_T5_T6_T7_T9_mT8_P12ihipStream_tbDpT10_ENKUlT_T0_E_clISt17integral_constantIbLb1EES19_IbLb0EEEEDaS15_S16_EUlS15_E_NS1_11comp_targetILNS1_3genE8ELNS1_11target_archE1030ELNS1_3gpuE2ELNS1_3repE0EEENS1_30default_config_static_selectorELNS0_4arch9wavefront6targetE0EEEvT1_,@function
_ZN7rocprim17ROCPRIM_400000_NS6detail17trampoline_kernelINS0_14default_configENS1_25partition_config_selectorILNS1_17partition_subalgoE9EllbEEZZNS1_14partition_implILS5_9ELb0ES3_jPlS8_PNS0_10empty_typeENS0_5tupleIJS8_S9_EEENSB_IJS8_SA_EEENS0_18inequality_wrapperIZN2at6native12_GLOBAL__N_124unique_dim_cuda_templateIaEESt5tupleIJNSF_6TensorESK_SK_EERKSK_lbbbEUlllE0_EEPmJS9_EEE10hipError_tPvRmT3_T4_T5_T6_T7_T9_mT8_P12ihipStream_tbDpT10_ENKUlT_T0_E_clISt17integral_constantIbLb1EES19_IbLb0EEEEDaS15_S16_EUlS15_E_NS1_11comp_targetILNS1_3genE8ELNS1_11target_archE1030ELNS1_3gpuE2ELNS1_3repE0EEENS1_30default_config_static_selectorELNS0_4arch9wavefront6targetE0EEEvT1_: ; @_ZN7rocprim17ROCPRIM_400000_NS6detail17trampoline_kernelINS0_14default_configENS1_25partition_config_selectorILNS1_17partition_subalgoE9EllbEEZZNS1_14partition_implILS5_9ELb0ES3_jPlS8_PNS0_10empty_typeENS0_5tupleIJS8_S9_EEENSB_IJS8_SA_EEENS0_18inequality_wrapperIZN2at6native12_GLOBAL__N_124unique_dim_cuda_templateIaEESt5tupleIJNSF_6TensorESK_SK_EERKSK_lbbbEUlllE0_EEPmJS9_EEE10hipError_tPvRmT3_T4_T5_T6_T7_T9_mT8_P12ihipStream_tbDpT10_ENKUlT_T0_E_clISt17integral_constantIbLb1EES19_IbLb0EEEEDaS15_S16_EUlS15_E_NS1_11comp_targetILNS1_3genE8ELNS1_11target_archE1030ELNS1_3gpuE2ELNS1_3repE0EEENS1_30default_config_static_selectorELNS0_4arch9wavefront6targetE0EEEvT1_
; %bb.0:
	.section	.rodata,"a",@progbits
	.p2align	6, 0x0
	.amdhsa_kernel _ZN7rocprim17ROCPRIM_400000_NS6detail17trampoline_kernelINS0_14default_configENS1_25partition_config_selectorILNS1_17partition_subalgoE9EllbEEZZNS1_14partition_implILS5_9ELb0ES3_jPlS8_PNS0_10empty_typeENS0_5tupleIJS8_S9_EEENSB_IJS8_SA_EEENS0_18inequality_wrapperIZN2at6native12_GLOBAL__N_124unique_dim_cuda_templateIaEESt5tupleIJNSF_6TensorESK_SK_EERKSK_lbbbEUlllE0_EEPmJS9_EEE10hipError_tPvRmT3_T4_T5_T6_T7_T9_mT8_P12ihipStream_tbDpT10_ENKUlT_T0_E_clISt17integral_constantIbLb1EES19_IbLb0EEEEDaS15_S16_EUlS15_E_NS1_11comp_targetILNS1_3genE8ELNS1_11target_archE1030ELNS1_3gpuE2ELNS1_3repE0EEENS1_30default_config_static_selectorELNS0_4arch9wavefront6targetE0EEEvT1_
		.amdhsa_group_segment_fixed_size 0
		.amdhsa_private_segment_fixed_size 0
		.amdhsa_kernarg_size 120
		.amdhsa_user_sgpr_count 15
		.amdhsa_user_sgpr_dispatch_ptr 0
		.amdhsa_user_sgpr_queue_ptr 0
		.amdhsa_user_sgpr_kernarg_segment_ptr 1
		.amdhsa_user_sgpr_dispatch_id 0
		.amdhsa_user_sgpr_private_segment_size 0
		.amdhsa_wavefront_size32 1
		.amdhsa_uses_dynamic_stack 0
		.amdhsa_enable_private_segment 0
		.amdhsa_system_sgpr_workgroup_id_x 1
		.amdhsa_system_sgpr_workgroup_id_y 0
		.amdhsa_system_sgpr_workgroup_id_z 0
		.amdhsa_system_sgpr_workgroup_info 0
		.amdhsa_system_vgpr_workitem_id 0
		.amdhsa_next_free_vgpr 1
		.amdhsa_next_free_sgpr 1
		.amdhsa_reserve_vcc 0
		.amdhsa_float_round_mode_32 0
		.amdhsa_float_round_mode_16_64 0
		.amdhsa_float_denorm_mode_32 3
		.amdhsa_float_denorm_mode_16_64 3
		.amdhsa_dx10_clamp 1
		.amdhsa_ieee_mode 1
		.amdhsa_fp16_overflow 0
		.amdhsa_workgroup_processor_mode 1
		.amdhsa_memory_ordered 1
		.amdhsa_forward_progress 0
		.amdhsa_shared_vgpr_count 0
		.amdhsa_exception_fp_ieee_invalid_op 0
		.amdhsa_exception_fp_denorm_src 0
		.amdhsa_exception_fp_ieee_div_zero 0
		.amdhsa_exception_fp_ieee_overflow 0
		.amdhsa_exception_fp_ieee_underflow 0
		.amdhsa_exception_fp_ieee_inexact 0
		.amdhsa_exception_int_div_zero 0
	.end_amdhsa_kernel
	.section	.text._ZN7rocprim17ROCPRIM_400000_NS6detail17trampoline_kernelINS0_14default_configENS1_25partition_config_selectorILNS1_17partition_subalgoE9EllbEEZZNS1_14partition_implILS5_9ELb0ES3_jPlS8_PNS0_10empty_typeENS0_5tupleIJS8_S9_EEENSB_IJS8_SA_EEENS0_18inequality_wrapperIZN2at6native12_GLOBAL__N_124unique_dim_cuda_templateIaEESt5tupleIJNSF_6TensorESK_SK_EERKSK_lbbbEUlllE0_EEPmJS9_EEE10hipError_tPvRmT3_T4_T5_T6_T7_T9_mT8_P12ihipStream_tbDpT10_ENKUlT_T0_E_clISt17integral_constantIbLb1EES19_IbLb0EEEEDaS15_S16_EUlS15_E_NS1_11comp_targetILNS1_3genE8ELNS1_11target_archE1030ELNS1_3gpuE2ELNS1_3repE0EEENS1_30default_config_static_selectorELNS0_4arch9wavefront6targetE0EEEvT1_,"axG",@progbits,_ZN7rocprim17ROCPRIM_400000_NS6detail17trampoline_kernelINS0_14default_configENS1_25partition_config_selectorILNS1_17partition_subalgoE9EllbEEZZNS1_14partition_implILS5_9ELb0ES3_jPlS8_PNS0_10empty_typeENS0_5tupleIJS8_S9_EEENSB_IJS8_SA_EEENS0_18inequality_wrapperIZN2at6native12_GLOBAL__N_124unique_dim_cuda_templateIaEESt5tupleIJNSF_6TensorESK_SK_EERKSK_lbbbEUlllE0_EEPmJS9_EEE10hipError_tPvRmT3_T4_T5_T6_T7_T9_mT8_P12ihipStream_tbDpT10_ENKUlT_T0_E_clISt17integral_constantIbLb1EES19_IbLb0EEEEDaS15_S16_EUlS15_E_NS1_11comp_targetILNS1_3genE8ELNS1_11target_archE1030ELNS1_3gpuE2ELNS1_3repE0EEENS1_30default_config_static_selectorELNS0_4arch9wavefront6targetE0EEEvT1_,comdat
.Lfunc_end374:
	.size	_ZN7rocprim17ROCPRIM_400000_NS6detail17trampoline_kernelINS0_14default_configENS1_25partition_config_selectorILNS1_17partition_subalgoE9EllbEEZZNS1_14partition_implILS5_9ELb0ES3_jPlS8_PNS0_10empty_typeENS0_5tupleIJS8_S9_EEENSB_IJS8_SA_EEENS0_18inequality_wrapperIZN2at6native12_GLOBAL__N_124unique_dim_cuda_templateIaEESt5tupleIJNSF_6TensorESK_SK_EERKSK_lbbbEUlllE0_EEPmJS9_EEE10hipError_tPvRmT3_T4_T5_T6_T7_T9_mT8_P12ihipStream_tbDpT10_ENKUlT_T0_E_clISt17integral_constantIbLb1EES19_IbLb0EEEEDaS15_S16_EUlS15_E_NS1_11comp_targetILNS1_3genE8ELNS1_11target_archE1030ELNS1_3gpuE2ELNS1_3repE0EEENS1_30default_config_static_selectorELNS0_4arch9wavefront6targetE0EEEvT1_, .Lfunc_end374-_ZN7rocprim17ROCPRIM_400000_NS6detail17trampoline_kernelINS0_14default_configENS1_25partition_config_selectorILNS1_17partition_subalgoE9EllbEEZZNS1_14partition_implILS5_9ELb0ES3_jPlS8_PNS0_10empty_typeENS0_5tupleIJS8_S9_EEENSB_IJS8_SA_EEENS0_18inequality_wrapperIZN2at6native12_GLOBAL__N_124unique_dim_cuda_templateIaEESt5tupleIJNSF_6TensorESK_SK_EERKSK_lbbbEUlllE0_EEPmJS9_EEE10hipError_tPvRmT3_T4_T5_T6_T7_T9_mT8_P12ihipStream_tbDpT10_ENKUlT_T0_E_clISt17integral_constantIbLb1EES19_IbLb0EEEEDaS15_S16_EUlS15_E_NS1_11comp_targetILNS1_3genE8ELNS1_11target_archE1030ELNS1_3gpuE2ELNS1_3repE0EEENS1_30default_config_static_selectorELNS0_4arch9wavefront6targetE0EEEvT1_
                                        ; -- End function
	.section	.AMDGPU.csdata,"",@progbits
; Kernel info:
; codeLenInByte = 0
; NumSgprs: 0
; NumVgprs: 0
; ScratchSize: 0
; MemoryBound: 0
; FloatMode: 240
; IeeeMode: 1
; LDSByteSize: 0 bytes/workgroup (compile time only)
; SGPRBlocks: 0
; VGPRBlocks: 0
; NumSGPRsForWavesPerEU: 1
; NumVGPRsForWavesPerEU: 1
; Occupancy: 16
; WaveLimiterHint : 0
; COMPUTE_PGM_RSRC2:SCRATCH_EN: 0
; COMPUTE_PGM_RSRC2:USER_SGPR: 15
; COMPUTE_PGM_RSRC2:TRAP_HANDLER: 0
; COMPUTE_PGM_RSRC2:TGID_X_EN: 1
; COMPUTE_PGM_RSRC2:TGID_Y_EN: 0
; COMPUTE_PGM_RSRC2:TGID_Z_EN: 0
; COMPUTE_PGM_RSRC2:TIDIG_COMP_CNT: 0
	.section	.text._ZN7rocprim17ROCPRIM_400000_NS6detail17trampoline_kernelINS0_14default_configENS1_25partition_config_selectorILNS1_17partition_subalgoE9EllbEEZZNS1_14partition_implILS5_9ELb0ES3_jPlS8_PNS0_10empty_typeENS0_5tupleIJS8_S9_EEENSB_IJS8_SA_EEENS0_18inequality_wrapperIZN2at6native12_GLOBAL__N_124unique_dim_cuda_templateIaEESt5tupleIJNSF_6TensorESK_SK_EERKSK_lbbbEUlllE0_EEPmJS9_EEE10hipError_tPvRmT3_T4_T5_T6_T7_T9_mT8_P12ihipStream_tbDpT10_ENKUlT_T0_E_clISt17integral_constantIbLb0EES19_IbLb1EEEEDaS15_S16_EUlS15_E_NS1_11comp_targetILNS1_3genE0ELNS1_11target_archE4294967295ELNS1_3gpuE0ELNS1_3repE0EEENS1_30default_config_static_selectorELNS0_4arch9wavefront6targetE0EEEvT1_,"axG",@progbits,_ZN7rocprim17ROCPRIM_400000_NS6detail17trampoline_kernelINS0_14default_configENS1_25partition_config_selectorILNS1_17partition_subalgoE9EllbEEZZNS1_14partition_implILS5_9ELb0ES3_jPlS8_PNS0_10empty_typeENS0_5tupleIJS8_S9_EEENSB_IJS8_SA_EEENS0_18inequality_wrapperIZN2at6native12_GLOBAL__N_124unique_dim_cuda_templateIaEESt5tupleIJNSF_6TensorESK_SK_EERKSK_lbbbEUlllE0_EEPmJS9_EEE10hipError_tPvRmT3_T4_T5_T6_T7_T9_mT8_P12ihipStream_tbDpT10_ENKUlT_T0_E_clISt17integral_constantIbLb0EES19_IbLb1EEEEDaS15_S16_EUlS15_E_NS1_11comp_targetILNS1_3genE0ELNS1_11target_archE4294967295ELNS1_3gpuE0ELNS1_3repE0EEENS1_30default_config_static_selectorELNS0_4arch9wavefront6targetE0EEEvT1_,comdat
	.globl	_ZN7rocprim17ROCPRIM_400000_NS6detail17trampoline_kernelINS0_14default_configENS1_25partition_config_selectorILNS1_17partition_subalgoE9EllbEEZZNS1_14partition_implILS5_9ELb0ES3_jPlS8_PNS0_10empty_typeENS0_5tupleIJS8_S9_EEENSB_IJS8_SA_EEENS0_18inequality_wrapperIZN2at6native12_GLOBAL__N_124unique_dim_cuda_templateIaEESt5tupleIJNSF_6TensorESK_SK_EERKSK_lbbbEUlllE0_EEPmJS9_EEE10hipError_tPvRmT3_T4_T5_T6_T7_T9_mT8_P12ihipStream_tbDpT10_ENKUlT_T0_E_clISt17integral_constantIbLb0EES19_IbLb1EEEEDaS15_S16_EUlS15_E_NS1_11comp_targetILNS1_3genE0ELNS1_11target_archE4294967295ELNS1_3gpuE0ELNS1_3repE0EEENS1_30default_config_static_selectorELNS0_4arch9wavefront6targetE0EEEvT1_ ; -- Begin function _ZN7rocprim17ROCPRIM_400000_NS6detail17trampoline_kernelINS0_14default_configENS1_25partition_config_selectorILNS1_17partition_subalgoE9EllbEEZZNS1_14partition_implILS5_9ELb0ES3_jPlS8_PNS0_10empty_typeENS0_5tupleIJS8_S9_EEENSB_IJS8_SA_EEENS0_18inequality_wrapperIZN2at6native12_GLOBAL__N_124unique_dim_cuda_templateIaEESt5tupleIJNSF_6TensorESK_SK_EERKSK_lbbbEUlllE0_EEPmJS9_EEE10hipError_tPvRmT3_T4_T5_T6_T7_T9_mT8_P12ihipStream_tbDpT10_ENKUlT_T0_E_clISt17integral_constantIbLb0EES19_IbLb1EEEEDaS15_S16_EUlS15_E_NS1_11comp_targetILNS1_3genE0ELNS1_11target_archE4294967295ELNS1_3gpuE0ELNS1_3repE0EEENS1_30default_config_static_selectorELNS0_4arch9wavefront6targetE0EEEvT1_
	.p2align	8
	.type	_ZN7rocprim17ROCPRIM_400000_NS6detail17trampoline_kernelINS0_14default_configENS1_25partition_config_selectorILNS1_17partition_subalgoE9EllbEEZZNS1_14partition_implILS5_9ELb0ES3_jPlS8_PNS0_10empty_typeENS0_5tupleIJS8_S9_EEENSB_IJS8_SA_EEENS0_18inequality_wrapperIZN2at6native12_GLOBAL__N_124unique_dim_cuda_templateIaEESt5tupleIJNSF_6TensorESK_SK_EERKSK_lbbbEUlllE0_EEPmJS9_EEE10hipError_tPvRmT3_T4_T5_T6_T7_T9_mT8_P12ihipStream_tbDpT10_ENKUlT_T0_E_clISt17integral_constantIbLb0EES19_IbLb1EEEEDaS15_S16_EUlS15_E_NS1_11comp_targetILNS1_3genE0ELNS1_11target_archE4294967295ELNS1_3gpuE0ELNS1_3repE0EEENS1_30default_config_static_selectorELNS0_4arch9wavefront6targetE0EEEvT1_,@function
_ZN7rocprim17ROCPRIM_400000_NS6detail17trampoline_kernelINS0_14default_configENS1_25partition_config_selectorILNS1_17partition_subalgoE9EllbEEZZNS1_14partition_implILS5_9ELb0ES3_jPlS8_PNS0_10empty_typeENS0_5tupleIJS8_S9_EEENSB_IJS8_SA_EEENS0_18inequality_wrapperIZN2at6native12_GLOBAL__N_124unique_dim_cuda_templateIaEESt5tupleIJNSF_6TensorESK_SK_EERKSK_lbbbEUlllE0_EEPmJS9_EEE10hipError_tPvRmT3_T4_T5_T6_T7_T9_mT8_P12ihipStream_tbDpT10_ENKUlT_T0_E_clISt17integral_constantIbLb0EES19_IbLb1EEEEDaS15_S16_EUlS15_E_NS1_11comp_targetILNS1_3genE0ELNS1_11target_archE4294967295ELNS1_3gpuE0ELNS1_3repE0EEENS1_30default_config_static_selectorELNS0_4arch9wavefront6targetE0EEEvT1_: ; @_ZN7rocprim17ROCPRIM_400000_NS6detail17trampoline_kernelINS0_14default_configENS1_25partition_config_selectorILNS1_17partition_subalgoE9EllbEEZZNS1_14partition_implILS5_9ELb0ES3_jPlS8_PNS0_10empty_typeENS0_5tupleIJS8_S9_EEENSB_IJS8_SA_EEENS0_18inequality_wrapperIZN2at6native12_GLOBAL__N_124unique_dim_cuda_templateIaEESt5tupleIJNSF_6TensorESK_SK_EERKSK_lbbbEUlllE0_EEPmJS9_EEE10hipError_tPvRmT3_T4_T5_T6_T7_T9_mT8_P12ihipStream_tbDpT10_ENKUlT_T0_E_clISt17integral_constantIbLb0EES19_IbLb1EEEEDaS15_S16_EUlS15_E_NS1_11comp_targetILNS1_3genE0ELNS1_11target_archE4294967295ELNS1_3gpuE0ELNS1_3repE0EEENS1_30default_config_static_selectorELNS0_4arch9wavefront6targetE0EEEvT1_
; %bb.0:
	.section	.rodata,"a",@progbits
	.p2align	6, 0x0
	.amdhsa_kernel _ZN7rocprim17ROCPRIM_400000_NS6detail17trampoline_kernelINS0_14default_configENS1_25partition_config_selectorILNS1_17partition_subalgoE9EllbEEZZNS1_14partition_implILS5_9ELb0ES3_jPlS8_PNS0_10empty_typeENS0_5tupleIJS8_S9_EEENSB_IJS8_SA_EEENS0_18inequality_wrapperIZN2at6native12_GLOBAL__N_124unique_dim_cuda_templateIaEESt5tupleIJNSF_6TensorESK_SK_EERKSK_lbbbEUlllE0_EEPmJS9_EEE10hipError_tPvRmT3_T4_T5_T6_T7_T9_mT8_P12ihipStream_tbDpT10_ENKUlT_T0_E_clISt17integral_constantIbLb0EES19_IbLb1EEEEDaS15_S16_EUlS15_E_NS1_11comp_targetILNS1_3genE0ELNS1_11target_archE4294967295ELNS1_3gpuE0ELNS1_3repE0EEENS1_30default_config_static_selectorELNS0_4arch9wavefront6targetE0EEEvT1_
		.amdhsa_group_segment_fixed_size 0
		.amdhsa_private_segment_fixed_size 0
		.amdhsa_kernarg_size 136
		.amdhsa_user_sgpr_count 15
		.amdhsa_user_sgpr_dispatch_ptr 0
		.amdhsa_user_sgpr_queue_ptr 0
		.amdhsa_user_sgpr_kernarg_segment_ptr 1
		.amdhsa_user_sgpr_dispatch_id 0
		.amdhsa_user_sgpr_private_segment_size 0
		.amdhsa_wavefront_size32 1
		.amdhsa_uses_dynamic_stack 0
		.amdhsa_enable_private_segment 0
		.amdhsa_system_sgpr_workgroup_id_x 1
		.amdhsa_system_sgpr_workgroup_id_y 0
		.amdhsa_system_sgpr_workgroup_id_z 0
		.amdhsa_system_sgpr_workgroup_info 0
		.amdhsa_system_vgpr_workitem_id 0
		.amdhsa_next_free_vgpr 1
		.amdhsa_next_free_sgpr 1
		.amdhsa_reserve_vcc 0
		.amdhsa_float_round_mode_32 0
		.amdhsa_float_round_mode_16_64 0
		.amdhsa_float_denorm_mode_32 3
		.amdhsa_float_denorm_mode_16_64 3
		.amdhsa_dx10_clamp 1
		.amdhsa_ieee_mode 1
		.amdhsa_fp16_overflow 0
		.amdhsa_workgroup_processor_mode 1
		.amdhsa_memory_ordered 1
		.amdhsa_forward_progress 0
		.amdhsa_shared_vgpr_count 0
		.amdhsa_exception_fp_ieee_invalid_op 0
		.amdhsa_exception_fp_denorm_src 0
		.amdhsa_exception_fp_ieee_div_zero 0
		.amdhsa_exception_fp_ieee_overflow 0
		.amdhsa_exception_fp_ieee_underflow 0
		.amdhsa_exception_fp_ieee_inexact 0
		.amdhsa_exception_int_div_zero 0
	.end_amdhsa_kernel
	.section	.text._ZN7rocprim17ROCPRIM_400000_NS6detail17trampoline_kernelINS0_14default_configENS1_25partition_config_selectorILNS1_17partition_subalgoE9EllbEEZZNS1_14partition_implILS5_9ELb0ES3_jPlS8_PNS0_10empty_typeENS0_5tupleIJS8_S9_EEENSB_IJS8_SA_EEENS0_18inequality_wrapperIZN2at6native12_GLOBAL__N_124unique_dim_cuda_templateIaEESt5tupleIJNSF_6TensorESK_SK_EERKSK_lbbbEUlllE0_EEPmJS9_EEE10hipError_tPvRmT3_T4_T5_T6_T7_T9_mT8_P12ihipStream_tbDpT10_ENKUlT_T0_E_clISt17integral_constantIbLb0EES19_IbLb1EEEEDaS15_S16_EUlS15_E_NS1_11comp_targetILNS1_3genE0ELNS1_11target_archE4294967295ELNS1_3gpuE0ELNS1_3repE0EEENS1_30default_config_static_selectorELNS0_4arch9wavefront6targetE0EEEvT1_,"axG",@progbits,_ZN7rocprim17ROCPRIM_400000_NS6detail17trampoline_kernelINS0_14default_configENS1_25partition_config_selectorILNS1_17partition_subalgoE9EllbEEZZNS1_14partition_implILS5_9ELb0ES3_jPlS8_PNS0_10empty_typeENS0_5tupleIJS8_S9_EEENSB_IJS8_SA_EEENS0_18inequality_wrapperIZN2at6native12_GLOBAL__N_124unique_dim_cuda_templateIaEESt5tupleIJNSF_6TensorESK_SK_EERKSK_lbbbEUlllE0_EEPmJS9_EEE10hipError_tPvRmT3_T4_T5_T6_T7_T9_mT8_P12ihipStream_tbDpT10_ENKUlT_T0_E_clISt17integral_constantIbLb0EES19_IbLb1EEEEDaS15_S16_EUlS15_E_NS1_11comp_targetILNS1_3genE0ELNS1_11target_archE4294967295ELNS1_3gpuE0ELNS1_3repE0EEENS1_30default_config_static_selectorELNS0_4arch9wavefront6targetE0EEEvT1_,comdat
.Lfunc_end375:
	.size	_ZN7rocprim17ROCPRIM_400000_NS6detail17trampoline_kernelINS0_14default_configENS1_25partition_config_selectorILNS1_17partition_subalgoE9EllbEEZZNS1_14partition_implILS5_9ELb0ES3_jPlS8_PNS0_10empty_typeENS0_5tupleIJS8_S9_EEENSB_IJS8_SA_EEENS0_18inequality_wrapperIZN2at6native12_GLOBAL__N_124unique_dim_cuda_templateIaEESt5tupleIJNSF_6TensorESK_SK_EERKSK_lbbbEUlllE0_EEPmJS9_EEE10hipError_tPvRmT3_T4_T5_T6_T7_T9_mT8_P12ihipStream_tbDpT10_ENKUlT_T0_E_clISt17integral_constantIbLb0EES19_IbLb1EEEEDaS15_S16_EUlS15_E_NS1_11comp_targetILNS1_3genE0ELNS1_11target_archE4294967295ELNS1_3gpuE0ELNS1_3repE0EEENS1_30default_config_static_selectorELNS0_4arch9wavefront6targetE0EEEvT1_, .Lfunc_end375-_ZN7rocprim17ROCPRIM_400000_NS6detail17trampoline_kernelINS0_14default_configENS1_25partition_config_selectorILNS1_17partition_subalgoE9EllbEEZZNS1_14partition_implILS5_9ELb0ES3_jPlS8_PNS0_10empty_typeENS0_5tupleIJS8_S9_EEENSB_IJS8_SA_EEENS0_18inequality_wrapperIZN2at6native12_GLOBAL__N_124unique_dim_cuda_templateIaEESt5tupleIJNSF_6TensorESK_SK_EERKSK_lbbbEUlllE0_EEPmJS9_EEE10hipError_tPvRmT3_T4_T5_T6_T7_T9_mT8_P12ihipStream_tbDpT10_ENKUlT_T0_E_clISt17integral_constantIbLb0EES19_IbLb1EEEEDaS15_S16_EUlS15_E_NS1_11comp_targetILNS1_3genE0ELNS1_11target_archE4294967295ELNS1_3gpuE0ELNS1_3repE0EEENS1_30default_config_static_selectorELNS0_4arch9wavefront6targetE0EEEvT1_
                                        ; -- End function
	.section	.AMDGPU.csdata,"",@progbits
; Kernel info:
; codeLenInByte = 0
; NumSgprs: 0
; NumVgprs: 0
; ScratchSize: 0
; MemoryBound: 0
; FloatMode: 240
; IeeeMode: 1
; LDSByteSize: 0 bytes/workgroup (compile time only)
; SGPRBlocks: 0
; VGPRBlocks: 0
; NumSGPRsForWavesPerEU: 1
; NumVGPRsForWavesPerEU: 1
; Occupancy: 16
; WaveLimiterHint : 0
; COMPUTE_PGM_RSRC2:SCRATCH_EN: 0
; COMPUTE_PGM_RSRC2:USER_SGPR: 15
; COMPUTE_PGM_RSRC2:TRAP_HANDLER: 0
; COMPUTE_PGM_RSRC2:TGID_X_EN: 1
; COMPUTE_PGM_RSRC2:TGID_Y_EN: 0
; COMPUTE_PGM_RSRC2:TGID_Z_EN: 0
; COMPUTE_PGM_RSRC2:TIDIG_COMP_CNT: 0
	.section	.text._ZN7rocprim17ROCPRIM_400000_NS6detail17trampoline_kernelINS0_14default_configENS1_25partition_config_selectorILNS1_17partition_subalgoE9EllbEEZZNS1_14partition_implILS5_9ELb0ES3_jPlS8_PNS0_10empty_typeENS0_5tupleIJS8_S9_EEENSB_IJS8_SA_EEENS0_18inequality_wrapperIZN2at6native12_GLOBAL__N_124unique_dim_cuda_templateIaEESt5tupleIJNSF_6TensorESK_SK_EERKSK_lbbbEUlllE0_EEPmJS9_EEE10hipError_tPvRmT3_T4_T5_T6_T7_T9_mT8_P12ihipStream_tbDpT10_ENKUlT_T0_E_clISt17integral_constantIbLb0EES19_IbLb1EEEEDaS15_S16_EUlS15_E_NS1_11comp_targetILNS1_3genE5ELNS1_11target_archE942ELNS1_3gpuE9ELNS1_3repE0EEENS1_30default_config_static_selectorELNS0_4arch9wavefront6targetE0EEEvT1_,"axG",@progbits,_ZN7rocprim17ROCPRIM_400000_NS6detail17trampoline_kernelINS0_14default_configENS1_25partition_config_selectorILNS1_17partition_subalgoE9EllbEEZZNS1_14partition_implILS5_9ELb0ES3_jPlS8_PNS0_10empty_typeENS0_5tupleIJS8_S9_EEENSB_IJS8_SA_EEENS0_18inequality_wrapperIZN2at6native12_GLOBAL__N_124unique_dim_cuda_templateIaEESt5tupleIJNSF_6TensorESK_SK_EERKSK_lbbbEUlllE0_EEPmJS9_EEE10hipError_tPvRmT3_T4_T5_T6_T7_T9_mT8_P12ihipStream_tbDpT10_ENKUlT_T0_E_clISt17integral_constantIbLb0EES19_IbLb1EEEEDaS15_S16_EUlS15_E_NS1_11comp_targetILNS1_3genE5ELNS1_11target_archE942ELNS1_3gpuE9ELNS1_3repE0EEENS1_30default_config_static_selectorELNS0_4arch9wavefront6targetE0EEEvT1_,comdat
	.globl	_ZN7rocprim17ROCPRIM_400000_NS6detail17trampoline_kernelINS0_14default_configENS1_25partition_config_selectorILNS1_17partition_subalgoE9EllbEEZZNS1_14partition_implILS5_9ELb0ES3_jPlS8_PNS0_10empty_typeENS0_5tupleIJS8_S9_EEENSB_IJS8_SA_EEENS0_18inequality_wrapperIZN2at6native12_GLOBAL__N_124unique_dim_cuda_templateIaEESt5tupleIJNSF_6TensorESK_SK_EERKSK_lbbbEUlllE0_EEPmJS9_EEE10hipError_tPvRmT3_T4_T5_T6_T7_T9_mT8_P12ihipStream_tbDpT10_ENKUlT_T0_E_clISt17integral_constantIbLb0EES19_IbLb1EEEEDaS15_S16_EUlS15_E_NS1_11comp_targetILNS1_3genE5ELNS1_11target_archE942ELNS1_3gpuE9ELNS1_3repE0EEENS1_30default_config_static_selectorELNS0_4arch9wavefront6targetE0EEEvT1_ ; -- Begin function _ZN7rocprim17ROCPRIM_400000_NS6detail17trampoline_kernelINS0_14default_configENS1_25partition_config_selectorILNS1_17partition_subalgoE9EllbEEZZNS1_14partition_implILS5_9ELb0ES3_jPlS8_PNS0_10empty_typeENS0_5tupleIJS8_S9_EEENSB_IJS8_SA_EEENS0_18inequality_wrapperIZN2at6native12_GLOBAL__N_124unique_dim_cuda_templateIaEESt5tupleIJNSF_6TensorESK_SK_EERKSK_lbbbEUlllE0_EEPmJS9_EEE10hipError_tPvRmT3_T4_T5_T6_T7_T9_mT8_P12ihipStream_tbDpT10_ENKUlT_T0_E_clISt17integral_constantIbLb0EES19_IbLb1EEEEDaS15_S16_EUlS15_E_NS1_11comp_targetILNS1_3genE5ELNS1_11target_archE942ELNS1_3gpuE9ELNS1_3repE0EEENS1_30default_config_static_selectorELNS0_4arch9wavefront6targetE0EEEvT1_
	.p2align	8
	.type	_ZN7rocprim17ROCPRIM_400000_NS6detail17trampoline_kernelINS0_14default_configENS1_25partition_config_selectorILNS1_17partition_subalgoE9EllbEEZZNS1_14partition_implILS5_9ELb0ES3_jPlS8_PNS0_10empty_typeENS0_5tupleIJS8_S9_EEENSB_IJS8_SA_EEENS0_18inequality_wrapperIZN2at6native12_GLOBAL__N_124unique_dim_cuda_templateIaEESt5tupleIJNSF_6TensorESK_SK_EERKSK_lbbbEUlllE0_EEPmJS9_EEE10hipError_tPvRmT3_T4_T5_T6_T7_T9_mT8_P12ihipStream_tbDpT10_ENKUlT_T0_E_clISt17integral_constantIbLb0EES19_IbLb1EEEEDaS15_S16_EUlS15_E_NS1_11comp_targetILNS1_3genE5ELNS1_11target_archE942ELNS1_3gpuE9ELNS1_3repE0EEENS1_30default_config_static_selectorELNS0_4arch9wavefront6targetE0EEEvT1_,@function
_ZN7rocprim17ROCPRIM_400000_NS6detail17trampoline_kernelINS0_14default_configENS1_25partition_config_selectorILNS1_17partition_subalgoE9EllbEEZZNS1_14partition_implILS5_9ELb0ES3_jPlS8_PNS0_10empty_typeENS0_5tupleIJS8_S9_EEENSB_IJS8_SA_EEENS0_18inequality_wrapperIZN2at6native12_GLOBAL__N_124unique_dim_cuda_templateIaEESt5tupleIJNSF_6TensorESK_SK_EERKSK_lbbbEUlllE0_EEPmJS9_EEE10hipError_tPvRmT3_T4_T5_T6_T7_T9_mT8_P12ihipStream_tbDpT10_ENKUlT_T0_E_clISt17integral_constantIbLb0EES19_IbLb1EEEEDaS15_S16_EUlS15_E_NS1_11comp_targetILNS1_3genE5ELNS1_11target_archE942ELNS1_3gpuE9ELNS1_3repE0EEENS1_30default_config_static_selectorELNS0_4arch9wavefront6targetE0EEEvT1_: ; @_ZN7rocprim17ROCPRIM_400000_NS6detail17trampoline_kernelINS0_14default_configENS1_25partition_config_selectorILNS1_17partition_subalgoE9EllbEEZZNS1_14partition_implILS5_9ELb0ES3_jPlS8_PNS0_10empty_typeENS0_5tupleIJS8_S9_EEENSB_IJS8_SA_EEENS0_18inequality_wrapperIZN2at6native12_GLOBAL__N_124unique_dim_cuda_templateIaEESt5tupleIJNSF_6TensorESK_SK_EERKSK_lbbbEUlllE0_EEPmJS9_EEE10hipError_tPvRmT3_T4_T5_T6_T7_T9_mT8_P12ihipStream_tbDpT10_ENKUlT_T0_E_clISt17integral_constantIbLb0EES19_IbLb1EEEEDaS15_S16_EUlS15_E_NS1_11comp_targetILNS1_3genE5ELNS1_11target_archE942ELNS1_3gpuE9ELNS1_3repE0EEENS1_30default_config_static_selectorELNS0_4arch9wavefront6targetE0EEEvT1_
; %bb.0:
	.section	.rodata,"a",@progbits
	.p2align	6, 0x0
	.amdhsa_kernel _ZN7rocprim17ROCPRIM_400000_NS6detail17trampoline_kernelINS0_14default_configENS1_25partition_config_selectorILNS1_17partition_subalgoE9EllbEEZZNS1_14partition_implILS5_9ELb0ES3_jPlS8_PNS0_10empty_typeENS0_5tupleIJS8_S9_EEENSB_IJS8_SA_EEENS0_18inequality_wrapperIZN2at6native12_GLOBAL__N_124unique_dim_cuda_templateIaEESt5tupleIJNSF_6TensorESK_SK_EERKSK_lbbbEUlllE0_EEPmJS9_EEE10hipError_tPvRmT3_T4_T5_T6_T7_T9_mT8_P12ihipStream_tbDpT10_ENKUlT_T0_E_clISt17integral_constantIbLb0EES19_IbLb1EEEEDaS15_S16_EUlS15_E_NS1_11comp_targetILNS1_3genE5ELNS1_11target_archE942ELNS1_3gpuE9ELNS1_3repE0EEENS1_30default_config_static_selectorELNS0_4arch9wavefront6targetE0EEEvT1_
		.amdhsa_group_segment_fixed_size 0
		.amdhsa_private_segment_fixed_size 0
		.amdhsa_kernarg_size 136
		.amdhsa_user_sgpr_count 15
		.amdhsa_user_sgpr_dispatch_ptr 0
		.amdhsa_user_sgpr_queue_ptr 0
		.amdhsa_user_sgpr_kernarg_segment_ptr 1
		.amdhsa_user_sgpr_dispatch_id 0
		.amdhsa_user_sgpr_private_segment_size 0
		.amdhsa_wavefront_size32 1
		.amdhsa_uses_dynamic_stack 0
		.amdhsa_enable_private_segment 0
		.amdhsa_system_sgpr_workgroup_id_x 1
		.amdhsa_system_sgpr_workgroup_id_y 0
		.amdhsa_system_sgpr_workgroup_id_z 0
		.amdhsa_system_sgpr_workgroup_info 0
		.amdhsa_system_vgpr_workitem_id 0
		.amdhsa_next_free_vgpr 1
		.amdhsa_next_free_sgpr 1
		.amdhsa_reserve_vcc 0
		.amdhsa_float_round_mode_32 0
		.amdhsa_float_round_mode_16_64 0
		.amdhsa_float_denorm_mode_32 3
		.amdhsa_float_denorm_mode_16_64 3
		.amdhsa_dx10_clamp 1
		.amdhsa_ieee_mode 1
		.amdhsa_fp16_overflow 0
		.amdhsa_workgroup_processor_mode 1
		.amdhsa_memory_ordered 1
		.amdhsa_forward_progress 0
		.amdhsa_shared_vgpr_count 0
		.amdhsa_exception_fp_ieee_invalid_op 0
		.amdhsa_exception_fp_denorm_src 0
		.amdhsa_exception_fp_ieee_div_zero 0
		.amdhsa_exception_fp_ieee_overflow 0
		.amdhsa_exception_fp_ieee_underflow 0
		.amdhsa_exception_fp_ieee_inexact 0
		.amdhsa_exception_int_div_zero 0
	.end_amdhsa_kernel
	.section	.text._ZN7rocprim17ROCPRIM_400000_NS6detail17trampoline_kernelINS0_14default_configENS1_25partition_config_selectorILNS1_17partition_subalgoE9EllbEEZZNS1_14partition_implILS5_9ELb0ES3_jPlS8_PNS0_10empty_typeENS0_5tupleIJS8_S9_EEENSB_IJS8_SA_EEENS0_18inequality_wrapperIZN2at6native12_GLOBAL__N_124unique_dim_cuda_templateIaEESt5tupleIJNSF_6TensorESK_SK_EERKSK_lbbbEUlllE0_EEPmJS9_EEE10hipError_tPvRmT3_T4_T5_T6_T7_T9_mT8_P12ihipStream_tbDpT10_ENKUlT_T0_E_clISt17integral_constantIbLb0EES19_IbLb1EEEEDaS15_S16_EUlS15_E_NS1_11comp_targetILNS1_3genE5ELNS1_11target_archE942ELNS1_3gpuE9ELNS1_3repE0EEENS1_30default_config_static_selectorELNS0_4arch9wavefront6targetE0EEEvT1_,"axG",@progbits,_ZN7rocprim17ROCPRIM_400000_NS6detail17trampoline_kernelINS0_14default_configENS1_25partition_config_selectorILNS1_17partition_subalgoE9EllbEEZZNS1_14partition_implILS5_9ELb0ES3_jPlS8_PNS0_10empty_typeENS0_5tupleIJS8_S9_EEENSB_IJS8_SA_EEENS0_18inequality_wrapperIZN2at6native12_GLOBAL__N_124unique_dim_cuda_templateIaEESt5tupleIJNSF_6TensorESK_SK_EERKSK_lbbbEUlllE0_EEPmJS9_EEE10hipError_tPvRmT3_T4_T5_T6_T7_T9_mT8_P12ihipStream_tbDpT10_ENKUlT_T0_E_clISt17integral_constantIbLb0EES19_IbLb1EEEEDaS15_S16_EUlS15_E_NS1_11comp_targetILNS1_3genE5ELNS1_11target_archE942ELNS1_3gpuE9ELNS1_3repE0EEENS1_30default_config_static_selectorELNS0_4arch9wavefront6targetE0EEEvT1_,comdat
.Lfunc_end376:
	.size	_ZN7rocprim17ROCPRIM_400000_NS6detail17trampoline_kernelINS0_14default_configENS1_25partition_config_selectorILNS1_17partition_subalgoE9EllbEEZZNS1_14partition_implILS5_9ELb0ES3_jPlS8_PNS0_10empty_typeENS0_5tupleIJS8_S9_EEENSB_IJS8_SA_EEENS0_18inequality_wrapperIZN2at6native12_GLOBAL__N_124unique_dim_cuda_templateIaEESt5tupleIJNSF_6TensorESK_SK_EERKSK_lbbbEUlllE0_EEPmJS9_EEE10hipError_tPvRmT3_T4_T5_T6_T7_T9_mT8_P12ihipStream_tbDpT10_ENKUlT_T0_E_clISt17integral_constantIbLb0EES19_IbLb1EEEEDaS15_S16_EUlS15_E_NS1_11comp_targetILNS1_3genE5ELNS1_11target_archE942ELNS1_3gpuE9ELNS1_3repE0EEENS1_30default_config_static_selectorELNS0_4arch9wavefront6targetE0EEEvT1_, .Lfunc_end376-_ZN7rocprim17ROCPRIM_400000_NS6detail17trampoline_kernelINS0_14default_configENS1_25partition_config_selectorILNS1_17partition_subalgoE9EllbEEZZNS1_14partition_implILS5_9ELb0ES3_jPlS8_PNS0_10empty_typeENS0_5tupleIJS8_S9_EEENSB_IJS8_SA_EEENS0_18inequality_wrapperIZN2at6native12_GLOBAL__N_124unique_dim_cuda_templateIaEESt5tupleIJNSF_6TensorESK_SK_EERKSK_lbbbEUlllE0_EEPmJS9_EEE10hipError_tPvRmT3_T4_T5_T6_T7_T9_mT8_P12ihipStream_tbDpT10_ENKUlT_T0_E_clISt17integral_constantIbLb0EES19_IbLb1EEEEDaS15_S16_EUlS15_E_NS1_11comp_targetILNS1_3genE5ELNS1_11target_archE942ELNS1_3gpuE9ELNS1_3repE0EEENS1_30default_config_static_selectorELNS0_4arch9wavefront6targetE0EEEvT1_
                                        ; -- End function
	.section	.AMDGPU.csdata,"",@progbits
; Kernel info:
; codeLenInByte = 0
; NumSgprs: 0
; NumVgprs: 0
; ScratchSize: 0
; MemoryBound: 0
; FloatMode: 240
; IeeeMode: 1
; LDSByteSize: 0 bytes/workgroup (compile time only)
; SGPRBlocks: 0
; VGPRBlocks: 0
; NumSGPRsForWavesPerEU: 1
; NumVGPRsForWavesPerEU: 1
; Occupancy: 16
; WaveLimiterHint : 0
; COMPUTE_PGM_RSRC2:SCRATCH_EN: 0
; COMPUTE_PGM_RSRC2:USER_SGPR: 15
; COMPUTE_PGM_RSRC2:TRAP_HANDLER: 0
; COMPUTE_PGM_RSRC2:TGID_X_EN: 1
; COMPUTE_PGM_RSRC2:TGID_Y_EN: 0
; COMPUTE_PGM_RSRC2:TGID_Z_EN: 0
; COMPUTE_PGM_RSRC2:TIDIG_COMP_CNT: 0
	.section	.text._ZN7rocprim17ROCPRIM_400000_NS6detail17trampoline_kernelINS0_14default_configENS1_25partition_config_selectorILNS1_17partition_subalgoE9EllbEEZZNS1_14partition_implILS5_9ELb0ES3_jPlS8_PNS0_10empty_typeENS0_5tupleIJS8_S9_EEENSB_IJS8_SA_EEENS0_18inequality_wrapperIZN2at6native12_GLOBAL__N_124unique_dim_cuda_templateIaEESt5tupleIJNSF_6TensorESK_SK_EERKSK_lbbbEUlllE0_EEPmJS9_EEE10hipError_tPvRmT3_T4_T5_T6_T7_T9_mT8_P12ihipStream_tbDpT10_ENKUlT_T0_E_clISt17integral_constantIbLb0EES19_IbLb1EEEEDaS15_S16_EUlS15_E_NS1_11comp_targetILNS1_3genE4ELNS1_11target_archE910ELNS1_3gpuE8ELNS1_3repE0EEENS1_30default_config_static_selectorELNS0_4arch9wavefront6targetE0EEEvT1_,"axG",@progbits,_ZN7rocprim17ROCPRIM_400000_NS6detail17trampoline_kernelINS0_14default_configENS1_25partition_config_selectorILNS1_17partition_subalgoE9EllbEEZZNS1_14partition_implILS5_9ELb0ES3_jPlS8_PNS0_10empty_typeENS0_5tupleIJS8_S9_EEENSB_IJS8_SA_EEENS0_18inequality_wrapperIZN2at6native12_GLOBAL__N_124unique_dim_cuda_templateIaEESt5tupleIJNSF_6TensorESK_SK_EERKSK_lbbbEUlllE0_EEPmJS9_EEE10hipError_tPvRmT3_T4_T5_T6_T7_T9_mT8_P12ihipStream_tbDpT10_ENKUlT_T0_E_clISt17integral_constantIbLb0EES19_IbLb1EEEEDaS15_S16_EUlS15_E_NS1_11comp_targetILNS1_3genE4ELNS1_11target_archE910ELNS1_3gpuE8ELNS1_3repE0EEENS1_30default_config_static_selectorELNS0_4arch9wavefront6targetE0EEEvT1_,comdat
	.globl	_ZN7rocprim17ROCPRIM_400000_NS6detail17trampoline_kernelINS0_14default_configENS1_25partition_config_selectorILNS1_17partition_subalgoE9EllbEEZZNS1_14partition_implILS5_9ELb0ES3_jPlS8_PNS0_10empty_typeENS0_5tupleIJS8_S9_EEENSB_IJS8_SA_EEENS0_18inequality_wrapperIZN2at6native12_GLOBAL__N_124unique_dim_cuda_templateIaEESt5tupleIJNSF_6TensorESK_SK_EERKSK_lbbbEUlllE0_EEPmJS9_EEE10hipError_tPvRmT3_T4_T5_T6_T7_T9_mT8_P12ihipStream_tbDpT10_ENKUlT_T0_E_clISt17integral_constantIbLb0EES19_IbLb1EEEEDaS15_S16_EUlS15_E_NS1_11comp_targetILNS1_3genE4ELNS1_11target_archE910ELNS1_3gpuE8ELNS1_3repE0EEENS1_30default_config_static_selectorELNS0_4arch9wavefront6targetE0EEEvT1_ ; -- Begin function _ZN7rocprim17ROCPRIM_400000_NS6detail17trampoline_kernelINS0_14default_configENS1_25partition_config_selectorILNS1_17partition_subalgoE9EllbEEZZNS1_14partition_implILS5_9ELb0ES3_jPlS8_PNS0_10empty_typeENS0_5tupleIJS8_S9_EEENSB_IJS8_SA_EEENS0_18inequality_wrapperIZN2at6native12_GLOBAL__N_124unique_dim_cuda_templateIaEESt5tupleIJNSF_6TensorESK_SK_EERKSK_lbbbEUlllE0_EEPmJS9_EEE10hipError_tPvRmT3_T4_T5_T6_T7_T9_mT8_P12ihipStream_tbDpT10_ENKUlT_T0_E_clISt17integral_constantIbLb0EES19_IbLb1EEEEDaS15_S16_EUlS15_E_NS1_11comp_targetILNS1_3genE4ELNS1_11target_archE910ELNS1_3gpuE8ELNS1_3repE0EEENS1_30default_config_static_selectorELNS0_4arch9wavefront6targetE0EEEvT1_
	.p2align	8
	.type	_ZN7rocprim17ROCPRIM_400000_NS6detail17trampoline_kernelINS0_14default_configENS1_25partition_config_selectorILNS1_17partition_subalgoE9EllbEEZZNS1_14partition_implILS5_9ELb0ES3_jPlS8_PNS0_10empty_typeENS0_5tupleIJS8_S9_EEENSB_IJS8_SA_EEENS0_18inequality_wrapperIZN2at6native12_GLOBAL__N_124unique_dim_cuda_templateIaEESt5tupleIJNSF_6TensorESK_SK_EERKSK_lbbbEUlllE0_EEPmJS9_EEE10hipError_tPvRmT3_T4_T5_T6_T7_T9_mT8_P12ihipStream_tbDpT10_ENKUlT_T0_E_clISt17integral_constantIbLb0EES19_IbLb1EEEEDaS15_S16_EUlS15_E_NS1_11comp_targetILNS1_3genE4ELNS1_11target_archE910ELNS1_3gpuE8ELNS1_3repE0EEENS1_30default_config_static_selectorELNS0_4arch9wavefront6targetE0EEEvT1_,@function
_ZN7rocprim17ROCPRIM_400000_NS6detail17trampoline_kernelINS0_14default_configENS1_25partition_config_selectorILNS1_17partition_subalgoE9EllbEEZZNS1_14partition_implILS5_9ELb0ES3_jPlS8_PNS0_10empty_typeENS0_5tupleIJS8_S9_EEENSB_IJS8_SA_EEENS0_18inequality_wrapperIZN2at6native12_GLOBAL__N_124unique_dim_cuda_templateIaEESt5tupleIJNSF_6TensorESK_SK_EERKSK_lbbbEUlllE0_EEPmJS9_EEE10hipError_tPvRmT3_T4_T5_T6_T7_T9_mT8_P12ihipStream_tbDpT10_ENKUlT_T0_E_clISt17integral_constantIbLb0EES19_IbLb1EEEEDaS15_S16_EUlS15_E_NS1_11comp_targetILNS1_3genE4ELNS1_11target_archE910ELNS1_3gpuE8ELNS1_3repE0EEENS1_30default_config_static_selectorELNS0_4arch9wavefront6targetE0EEEvT1_: ; @_ZN7rocprim17ROCPRIM_400000_NS6detail17trampoline_kernelINS0_14default_configENS1_25partition_config_selectorILNS1_17partition_subalgoE9EllbEEZZNS1_14partition_implILS5_9ELb0ES3_jPlS8_PNS0_10empty_typeENS0_5tupleIJS8_S9_EEENSB_IJS8_SA_EEENS0_18inequality_wrapperIZN2at6native12_GLOBAL__N_124unique_dim_cuda_templateIaEESt5tupleIJNSF_6TensorESK_SK_EERKSK_lbbbEUlllE0_EEPmJS9_EEE10hipError_tPvRmT3_T4_T5_T6_T7_T9_mT8_P12ihipStream_tbDpT10_ENKUlT_T0_E_clISt17integral_constantIbLb0EES19_IbLb1EEEEDaS15_S16_EUlS15_E_NS1_11comp_targetILNS1_3genE4ELNS1_11target_archE910ELNS1_3gpuE8ELNS1_3repE0EEENS1_30default_config_static_selectorELNS0_4arch9wavefront6targetE0EEEvT1_
; %bb.0:
	.section	.rodata,"a",@progbits
	.p2align	6, 0x0
	.amdhsa_kernel _ZN7rocprim17ROCPRIM_400000_NS6detail17trampoline_kernelINS0_14default_configENS1_25partition_config_selectorILNS1_17partition_subalgoE9EllbEEZZNS1_14partition_implILS5_9ELb0ES3_jPlS8_PNS0_10empty_typeENS0_5tupleIJS8_S9_EEENSB_IJS8_SA_EEENS0_18inequality_wrapperIZN2at6native12_GLOBAL__N_124unique_dim_cuda_templateIaEESt5tupleIJNSF_6TensorESK_SK_EERKSK_lbbbEUlllE0_EEPmJS9_EEE10hipError_tPvRmT3_T4_T5_T6_T7_T9_mT8_P12ihipStream_tbDpT10_ENKUlT_T0_E_clISt17integral_constantIbLb0EES19_IbLb1EEEEDaS15_S16_EUlS15_E_NS1_11comp_targetILNS1_3genE4ELNS1_11target_archE910ELNS1_3gpuE8ELNS1_3repE0EEENS1_30default_config_static_selectorELNS0_4arch9wavefront6targetE0EEEvT1_
		.amdhsa_group_segment_fixed_size 0
		.amdhsa_private_segment_fixed_size 0
		.amdhsa_kernarg_size 136
		.amdhsa_user_sgpr_count 15
		.amdhsa_user_sgpr_dispatch_ptr 0
		.amdhsa_user_sgpr_queue_ptr 0
		.amdhsa_user_sgpr_kernarg_segment_ptr 1
		.amdhsa_user_sgpr_dispatch_id 0
		.amdhsa_user_sgpr_private_segment_size 0
		.amdhsa_wavefront_size32 1
		.amdhsa_uses_dynamic_stack 0
		.amdhsa_enable_private_segment 0
		.amdhsa_system_sgpr_workgroup_id_x 1
		.amdhsa_system_sgpr_workgroup_id_y 0
		.amdhsa_system_sgpr_workgroup_id_z 0
		.amdhsa_system_sgpr_workgroup_info 0
		.amdhsa_system_vgpr_workitem_id 0
		.amdhsa_next_free_vgpr 1
		.amdhsa_next_free_sgpr 1
		.amdhsa_reserve_vcc 0
		.amdhsa_float_round_mode_32 0
		.amdhsa_float_round_mode_16_64 0
		.amdhsa_float_denorm_mode_32 3
		.amdhsa_float_denorm_mode_16_64 3
		.amdhsa_dx10_clamp 1
		.amdhsa_ieee_mode 1
		.amdhsa_fp16_overflow 0
		.amdhsa_workgroup_processor_mode 1
		.amdhsa_memory_ordered 1
		.amdhsa_forward_progress 0
		.amdhsa_shared_vgpr_count 0
		.amdhsa_exception_fp_ieee_invalid_op 0
		.amdhsa_exception_fp_denorm_src 0
		.amdhsa_exception_fp_ieee_div_zero 0
		.amdhsa_exception_fp_ieee_overflow 0
		.amdhsa_exception_fp_ieee_underflow 0
		.amdhsa_exception_fp_ieee_inexact 0
		.amdhsa_exception_int_div_zero 0
	.end_amdhsa_kernel
	.section	.text._ZN7rocprim17ROCPRIM_400000_NS6detail17trampoline_kernelINS0_14default_configENS1_25partition_config_selectorILNS1_17partition_subalgoE9EllbEEZZNS1_14partition_implILS5_9ELb0ES3_jPlS8_PNS0_10empty_typeENS0_5tupleIJS8_S9_EEENSB_IJS8_SA_EEENS0_18inequality_wrapperIZN2at6native12_GLOBAL__N_124unique_dim_cuda_templateIaEESt5tupleIJNSF_6TensorESK_SK_EERKSK_lbbbEUlllE0_EEPmJS9_EEE10hipError_tPvRmT3_T4_T5_T6_T7_T9_mT8_P12ihipStream_tbDpT10_ENKUlT_T0_E_clISt17integral_constantIbLb0EES19_IbLb1EEEEDaS15_S16_EUlS15_E_NS1_11comp_targetILNS1_3genE4ELNS1_11target_archE910ELNS1_3gpuE8ELNS1_3repE0EEENS1_30default_config_static_selectorELNS0_4arch9wavefront6targetE0EEEvT1_,"axG",@progbits,_ZN7rocprim17ROCPRIM_400000_NS6detail17trampoline_kernelINS0_14default_configENS1_25partition_config_selectorILNS1_17partition_subalgoE9EllbEEZZNS1_14partition_implILS5_9ELb0ES3_jPlS8_PNS0_10empty_typeENS0_5tupleIJS8_S9_EEENSB_IJS8_SA_EEENS0_18inequality_wrapperIZN2at6native12_GLOBAL__N_124unique_dim_cuda_templateIaEESt5tupleIJNSF_6TensorESK_SK_EERKSK_lbbbEUlllE0_EEPmJS9_EEE10hipError_tPvRmT3_T4_T5_T6_T7_T9_mT8_P12ihipStream_tbDpT10_ENKUlT_T0_E_clISt17integral_constantIbLb0EES19_IbLb1EEEEDaS15_S16_EUlS15_E_NS1_11comp_targetILNS1_3genE4ELNS1_11target_archE910ELNS1_3gpuE8ELNS1_3repE0EEENS1_30default_config_static_selectorELNS0_4arch9wavefront6targetE0EEEvT1_,comdat
.Lfunc_end377:
	.size	_ZN7rocprim17ROCPRIM_400000_NS6detail17trampoline_kernelINS0_14default_configENS1_25partition_config_selectorILNS1_17partition_subalgoE9EllbEEZZNS1_14partition_implILS5_9ELb0ES3_jPlS8_PNS0_10empty_typeENS0_5tupleIJS8_S9_EEENSB_IJS8_SA_EEENS0_18inequality_wrapperIZN2at6native12_GLOBAL__N_124unique_dim_cuda_templateIaEESt5tupleIJNSF_6TensorESK_SK_EERKSK_lbbbEUlllE0_EEPmJS9_EEE10hipError_tPvRmT3_T4_T5_T6_T7_T9_mT8_P12ihipStream_tbDpT10_ENKUlT_T0_E_clISt17integral_constantIbLb0EES19_IbLb1EEEEDaS15_S16_EUlS15_E_NS1_11comp_targetILNS1_3genE4ELNS1_11target_archE910ELNS1_3gpuE8ELNS1_3repE0EEENS1_30default_config_static_selectorELNS0_4arch9wavefront6targetE0EEEvT1_, .Lfunc_end377-_ZN7rocprim17ROCPRIM_400000_NS6detail17trampoline_kernelINS0_14default_configENS1_25partition_config_selectorILNS1_17partition_subalgoE9EllbEEZZNS1_14partition_implILS5_9ELb0ES3_jPlS8_PNS0_10empty_typeENS0_5tupleIJS8_S9_EEENSB_IJS8_SA_EEENS0_18inequality_wrapperIZN2at6native12_GLOBAL__N_124unique_dim_cuda_templateIaEESt5tupleIJNSF_6TensorESK_SK_EERKSK_lbbbEUlllE0_EEPmJS9_EEE10hipError_tPvRmT3_T4_T5_T6_T7_T9_mT8_P12ihipStream_tbDpT10_ENKUlT_T0_E_clISt17integral_constantIbLb0EES19_IbLb1EEEEDaS15_S16_EUlS15_E_NS1_11comp_targetILNS1_3genE4ELNS1_11target_archE910ELNS1_3gpuE8ELNS1_3repE0EEENS1_30default_config_static_selectorELNS0_4arch9wavefront6targetE0EEEvT1_
                                        ; -- End function
	.section	.AMDGPU.csdata,"",@progbits
; Kernel info:
; codeLenInByte = 0
; NumSgprs: 0
; NumVgprs: 0
; ScratchSize: 0
; MemoryBound: 0
; FloatMode: 240
; IeeeMode: 1
; LDSByteSize: 0 bytes/workgroup (compile time only)
; SGPRBlocks: 0
; VGPRBlocks: 0
; NumSGPRsForWavesPerEU: 1
; NumVGPRsForWavesPerEU: 1
; Occupancy: 16
; WaveLimiterHint : 0
; COMPUTE_PGM_RSRC2:SCRATCH_EN: 0
; COMPUTE_PGM_RSRC2:USER_SGPR: 15
; COMPUTE_PGM_RSRC2:TRAP_HANDLER: 0
; COMPUTE_PGM_RSRC2:TGID_X_EN: 1
; COMPUTE_PGM_RSRC2:TGID_Y_EN: 0
; COMPUTE_PGM_RSRC2:TGID_Z_EN: 0
; COMPUTE_PGM_RSRC2:TIDIG_COMP_CNT: 0
	.section	.text._ZN7rocprim17ROCPRIM_400000_NS6detail17trampoline_kernelINS0_14default_configENS1_25partition_config_selectorILNS1_17partition_subalgoE9EllbEEZZNS1_14partition_implILS5_9ELb0ES3_jPlS8_PNS0_10empty_typeENS0_5tupleIJS8_S9_EEENSB_IJS8_SA_EEENS0_18inequality_wrapperIZN2at6native12_GLOBAL__N_124unique_dim_cuda_templateIaEESt5tupleIJNSF_6TensorESK_SK_EERKSK_lbbbEUlllE0_EEPmJS9_EEE10hipError_tPvRmT3_T4_T5_T6_T7_T9_mT8_P12ihipStream_tbDpT10_ENKUlT_T0_E_clISt17integral_constantIbLb0EES19_IbLb1EEEEDaS15_S16_EUlS15_E_NS1_11comp_targetILNS1_3genE3ELNS1_11target_archE908ELNS1_3gpuE7ELNS1_3repE0EEENS1_30default_config_static_selectorELNS0_4arch9wavefront6targetE0EEEvT1_,"axG",@progbits,_ZN7rocprim17ROCPRIM_400000_NS6detail17trampoline_kernelINS0_14default_configENS1_25partition_config_selectorILNS1_17partition_subalgoE9EllbEEZZNS1_14partition_implILS5_9ELb0ES3_jPlS8_PNS0_10empty_typeENS0_5tupleIJS8_S9_EEENSB_IJS8_SA_EEENS0_18inequality_wrapperIZN2at6native12_GLOBAL__N_124unique_dim_cuda_templateIaEESt5tupleIJNSF_6TensorESK_SK_EERKSK_lbbbEUlllE0_EEPmJS9_EEE10hipError_tPvRmT3_T4_T5_T6_T7_T9_mT8_P12ihipStream_tbDpT10_ENKUlT_T0_E_clISt17integral_constantIbLb0EES19_IbLb1EEEEDaS15_S16_EUlS15_E_NS1_11comp_targetILNS1_3genE3ELNS1_11target_archE908ELNS1_3gpuE7ELNS1_3repE0EEENS1_30default_config_static_selectorELNS0_4arch9wavefront6targetE0EEEvT1_,comdat
	.globl	_ZN7rocprim17ROCPRIM_400000_NS6detail17trampoline_kernelINS0_14default_configENS1_25partition_config_selectorILNS1_17partition_subalgoE9EllbEEZZNS1_14partition_implILS5_9ELb0ES3_jPlS8_PNS0_10empty_typeENS0_5tupleIJS8_S9_EEENSB_IJS8_SA_EEENS0_18inequality_wrapperIZN2at6native12_GLOBAL__N_124unique_dim_cuda_templateIaEESt5tupleIJNSF_6TensorESK_SK_EERKSK_lbbbEUlllE0_EEPmJS9_EEE10hipError_tPvRmT3_T4_T5_T6_T7_T9_mT8_P12ihipStream_tbDpT10_ENKUlT_T0_E_clISt17integral_constantIbLb0EES19_IbLb1EEEEDaS15_S16_EUlS15_E_NS1_11comp_targetILNS1_3genE3ELNS1_11target_archE908ELNS1_3gpuE7ELNS1_3repE0EEENS1_30default_config_static_selectorELNS0_4arch9wavefront6targetE0EEEvT1_ ; -- Begin function _ZN7rocprim17ROCPRIM_400000_NS6detail17trampoline_kernelINS0_14default_configENS1_25partition_config_selectorILNS1_17partition_subalgoE9EllbEEZZNS1_14partition_implILS5_9ELb0ES3_jPlS8_PNS0_10empty_typeENS0_5tupleIJS8_S9_EEENSB_IJS8_SA_EEENS0_18inequality_wrapperIZN2at6native12_GLOBAL__N_124unique_dim_cuda_templateIaEESt5tupleIJNSF_6TensorESK_SK_EERKSK_lbbbEUlllE0_EEPmJS9_EEE10hipError_tPvRmT3_T4_T5_T6_T7_T9_mT8_P12ihipStream_tbDpT10_ENKUlT_T0_E_clISt17integral_constantIbLb0EES19_IbLb1EEEEDaS15_S16_EUlS15_E_NS1_11comp_targetILNS1_3genE3ELNS1_11target_archE908ELNS1_3gpuE7ELNS1_3repE0EEENS1_30default_config_static_selectorELNS0_4arch9wavefront6targetE0EEEvT1_
	.p2align	8
	.type	_ZN7rocprim17ROCPRIM_400000_NS6detail17trampoline_kernelINS0_14default_configENS1_25partition_config_selectorILNS1_17partition_subalgoE9EllbEEZZNS1_14partition_implILS5_9ELb0ES3_jPlS8_PNS0_10empty_typeENS0_5tupleIJS8_S9_EEENSB_IJS8_SA_EEENS0_18inequality_wrapperIZN2at6native12_GLOBAL__N_124unique_dim_cuda_templateIaEESt5tupleIJNSF_6TensorESK_SK_EERKSK_lbbbEUlllE0_EEPmJS9_EEE10hipError_tPvRmT3_T4_T5_T6_T7_T9_mT8_P12ihipStream_tbDpT10_ENKUlT_T0_E_clISt17integral_constantIbLb0EES19_IbLb1EEEEDaS15_S16_EUlS15_E_NS1_11comp_targetILNS1_3genE3ELNS1_11target_archE908ELNS1_3gpuE7ELNS1_3repE0EEENS1_30default_config_static_selectorELNS0_4arch9wavefront6targetE0EEEvT1_,@function
_ZN7rocprim17ROCPRIM_400000_NS6detail17trampoline_kernelINS0_14default_configENS1_25partition_config_selectorILNS1_17partition_subalgoE9EllbEEZZNS1_14partition_implILS5_9ELb0ES3_jPlS8_PNS0_10empty_typeENS0_5tupleIJS8_S9_EEENSB_IJS8_SA_EEENS0_18inequality_wrapperIZN2at6native12_GLOBAL__N_124unique_dim_cuda_templateIaEESt5tupleIJNSF_6TensorESK_SK_EERKSK_lbbbEUlllE0_EEPmJS9_EEE10hipError_tPvRmT3_T4_T5_T6_T7_T9_mT8_P12ihipStream_tbDpT10_ENKUlT_T0_E_clISt17integral_constantIbLb0EES19_IbLb1EEEEDaS15_S16_EUlS15_E_NS1_11comp_targetILNS1_3genE3ELNS1_11target_archE908ELNS1_3gpuE7ELNS1_3repE0EEENS1_30default_config_static_selectorELNS0_4arch9wavefront6targetE0EEEvT1_: ; @_ZN7rocprim17ROCPRIM_400000_NS6detail17trampoline_kernelINS0_14default_configENS1_25partition_config_selectorILNS1_17partition_subalgoE9EllbEEZZNS1_14partition_implILS5_9ELb0ES3_jPlS8_PNS0_10empty_typeENS0_5tupleIJS8_S9_EEENSB_IJS8_SA_EEENS0_18inequality_wrapperIZN2at6native12_GLOBAL__N_124unique_dim_cuda_templateIaEESt5tupleIJNSF_6TensorESK_SK_EERKSK_lbbbEUlllE0_EEPmJS9_EEE10hipError_tPvRmT3_T4_T5_T6_T7_T9_mT8_P12ihipStream_tbDpT10_ENKUlT_T0_E_clISt17integral_constantIbLb0EES19_IbLb1EEEEDaS15_S16_EUlS15_E_NS1_11comp_targetILNS1_3genE3ELNS1_11target_archE908ELNS1_3gpuE7ELNS1_3repE0EEENS1_30default_config_static_selectorELNS0_4arch9wavefront6targetE0EEEvT1_
; %bb.0:
	.section	.rodata,"a",@progbits
	.p2align	6, 0x0
	.amdhsa_kernel _ZN7rocprim17ROCPRIM_400000_NS6detail17trampoline_kernelINS0_14default_configENS1_25partition_config_selectorILNS1_17partition_subalgoE9EllbEEZZNS1_14partition_implILS5_9ELb0ES3_jPlS8_PNS0_10empty_typeENS0_5tupleIJS8_S9_EEENSB_IJS8_SA_EEENS0_18inequality_wrapperIZN2at6native12_GLOBAL__N_124unique_dim_cuda_templateIaEESt5tupleIJNSF_6TensorESK_SK_EERKSK_lbbbEUlllE0_EEPmJS9_EEE10hipError_tPvRmT3_T4_T5_T6_T7_T9_mT8_P12ihipStream_tbDpT10_ENKUlT_T0_E_clISt17integral_constantIbLb0EES19_IbLb1EEEEDaS15_S16_EUlS15_E_NS1_11comp_targetILNS1_3genE3ELNS1_11target_archE908ELNS1_3gpuE7ELNS1_3repE0EEENS1_30default_config_static_selectorELNS0_4arch9wavefront6targetE0EEEvT1_
		.amdhsa_group_segment_fixed_size 0
		.amdhsa_private_segment_fixed_size 0
		.amdhsa_kernarg_size 136
		.amdhsa_user_sgpr_count 15
		.amdhsa_user_sgpr_dispatch_ptr 0
		.amdhsa_user_sgpr_queue_ptr 0
		.amdhsa_user_sgpr_kernarg_segment_ptr 1
		.amdhsa_user_sgpr_dispatch_id 0
		.amdhsa_user_sgpr_private_segment_size 0
		.amdhsa_wavefront_size32 1
		.amdhsa_uses_dynamic_stack 0
		.amdhsa_enable_private_segment 0
		.amdhsa_system_sgpr_workgroup_id_x 1
		.amdhsa_system_sgpr_workgroup_id_y 0
		.amdhsa_system_sgpr_workgroup_id_z 0
		.amdhsa_system_sgpr_workgroup_info 0
		.amdhsa_system_vgpr_workitem_id 0
		.amdhsa_next_free_vgpr 1
		.amdhsa_next_free_sgpr 1
		.amdhsa_reserve_vcc 0
		.amdhsa_float_round_mode_32 0
		.amdhsa_float_round_mode_16_64 0
		.amdhsa_float_denorm_mode_32 3
		.amdhsa_float_denorm_mode_16_64 3
		.amdhsa_dx10_clamp 1
		.amdhsa_ieee_mode 1
		.amdhsa_fp16_overflow 0
		.amdhsa_workgroup_processor_mode 1
		.amdhsa_memory_ordered 1
		.amdhsa_forward_progress 0
		.amdhsa_shared_vgpr_count 0
		.amdhsa_exception_fp_ieee_invalid_op 0
		.amdhsa_exception_fp_denorm_src 0
		.amdhsa_exception_fp_ieee_div_zero 0
		.amdhsa_exception_fp_ieee_overflow 0
		.amdhsa_exception_fp_ieee_underflow 0
		.amdhsa_exception_fp_ieee_inexact 0
		.amdhsa_exception_int_div_zero 0
	.end_amdhsa_kernel
	.section	.text._ZN7rocprim17ROCPRIM_400000_NS6detail17trampoline_kernelINS0_14default_configENS1_25partition_config_selectorILNS1_17partition_subalgoE9EllbEEZZNS1_14partition_implILS5_9ELb0ES3_jPlS8_PNS0_10empty_typeENS0_5tupleIJS8_S9_EEENSB_IJS8_SA_EEENS0_18inequality_wrapperIZN2at6native12_GLOBAL__N_124unique_dim_cuda_templateIaEESt5tupleIJNSF_6TensorESK_SK_EERKSK_lbbbEUlllE0_EEPmJS9_EEE10hipError_tPvRmT3_T4_T5_T6_T7_T9_mT8_P12ihipStream_tbDpT10_ENKUlT_T0_E_clISt17integral_constantIbLb0EES19_IbLb1EEEEDaS15_S16_EUlS15_E_NS1_11comp_targetILNS1_3genE3ELNS1_11target_archE908ELNS1_3gpuE7ELNS1_3repE0EEENS1_30default_config_static_selectorELNS0_4arch9wavefront6targetE0EEEvT1_,"axG",@progbits,_ZN7rocprim17ROCPRIM_400000_NS6detail17trampoline_kernelINS0_14default_configENS1_25partition_config_selectorILNS1_17partition_subalgoE9EllbEEZZNS1_14partition_implILS5_9ELb0ES3_jPlS8_PNS0_10empty_typeENS0_5tupleIJS8_S9_EEENSB_IJS8_SA_EEENS0_18inequality_wrapperIZN2at6native12_GLOBAL__N_124unique_dim_cuda_templateIaEESt5tupleIJNSF_6TensorESK_SK_EERKSK_lbbbEUlllE0_EEPmJS9_EEE10hipError_tPvRmT3_T4_T5_T6_T7_T9_mT8_P12ihipStream_tbDpT10_ENKUlT_T0_E_clISt17integral_constantIbLb0EES19_IbLb1EEEEDaS15_S16_EUlS15_E_NS1_11comp_targetILNS1_3genE3ELNS1_11target_archE908ELNS1_3gpuE7ELNS1_3repE0EEENS1_30default_config_static_selectorELNS0_4arch9wavefront6targetE0EEEvT1_,comdat
.Lfunc_end378:
	.size	_ZN7rocprim17ROCPRIM_400000_NS6detail17trampoline_kernelINS0_14default_configENS1_25partition_config_selectorILNS1_17partition_subalgoE9EllbEEZZNS1_14partition_implILS5_9ELb0ES3_jPlS8_PNS0_10empty_typeENS0_5tupleIJS8_S9_EEENSB_IJS8_SA_EEENS0_18inequality_wrapperIZN2at6native12_GLOBAL__N_124unique_dim_cuda_templateIaEESt5tupleIJNSF_6TensorESK_SK_EERKSK_lbbbEUlllE0_EEPmJS9_EEE10hipError_tPvRmT3_T4_T5_T6_T7_T9_mT8_P12ihipStream_tbDpT10_ENKUlT_T0_E_clISt17integral_constantIbLb0EES19_IbLb1EEEEDaS15_S16_EUlS15_E_NS1_11comp_targetILNS1_3genE3ELNS1_11target_archE908ELNS1_3gpuE7ELNS1_3repE0EEENS1_30default_config_static_selectorELNS0_4arch9wavefront6targetE0EEEvT1_, .Lfunc_end378-_ZN7rocprim17ROCPRIM_400000_NS6detail17trampoline_kernelINS0_14default_configENS1_25partition_config_selectorILNS1_17partition_subalgoE9EllbEEZZNS1_14partition_implILS5_9ELb0ES3_jPlS8_PNS0_10empty_typeENS0_5tupleIJS8_S9_EEENSB_IJS8_SA_EEENS0_18inequality_wrapperIZN2at6native12_GLOBAL__N_124unique_dim_cuda_templateIaEESt5tupleIJNSF_6TensorESK_SK_EERKSK_lbbbEUlllE0_EEPmJS9_EEE10hipError_tPvRmT3_T4_T5_T6_T7_T9_mT8_P12ihipStream_tbDpT10_ENKUlT_T0_E_clISt17integral_constantIbLb0EES19_IbLb1EEEEDaS15_S16_EUlS15_E_NS1_11comp_targetILNS1_3genE3ELNS1_11target_archE908ELNS1_3gpuE7ELNS1_3repE0EEENS1_30default_config_static_selectorELNS0_4arch9wavefront6targetE0EEEvT1_
                                        ; -- End function
	.section	.AMDGPU.csdata,"",@progbits
; Kernel info:
; codeLenInByte = 0
; NumSgprs: 0
; NumVgprs: 0
; ScratchSize: 0
; MemoryBound: 0
; FloatMode: 240
; IeeeMode: 1
; LDSByteSize: 0 bytes/workgroup (compile time only)
; SGPRBlocks: 0
; VGPRBlocks: 0
; NumSGPRsForWavesPerEU: 1
; NumVGPRsForWavesPerEU: 1
; Occupancy: 16
; WaveLimiterHint : 0
; COMPUTE_PGM_RSRC2:SCRATCH_EN: 0
; COMPUTE_PGM_RSRC2:USER_SGPR: 15
; COMPUTE_PGM_RSRC2:TRAP_HANDLER: 0
; COMPUTE_PGM_RSRC2:TGID_X_EN: 1
; COMPUTE_PGM_RSRC2:TGID_Y_EN: 0
; COMPUTE_PGM_RSRC2:TGID_Z_EN: 0
; COMPUTE_PGM_RSRC2:TIDIG_COMP_CNT: 0
	.section	.text._ZN7rocprim17ROCPRIM_400000_NS6detail17trampoline_kernelINS0_14default_configENS1_25partition_config_selectorILNS1_17partition_subalgoE9EllbEEZZNS1_14partition_implILS5_9ELb0ES3_jPlS8_PNS0_10empty_typeENS0_5tupleIJS8_S9_EEENSB_IJS8_SA_EEENS0_18inequality_wrapperIZN2at6native12_GLOBAL__N_124unique_dim_cuda_templateIaEESt5tupleIJNSF_6TensorESK_SK_EERKSK_lbbbEUlllE0_EEPmJS9_EEE10hipError_tPvRmT3_T4_T5_T6_T7_T9_mT8_P12ihipStream_tbDpT10_ENKUlT_T0_E_clISt17integral_constantIbLb0EES19_IbLb1EEEEDaS15_S16_EUlS15_E_NS1_11comp_targetILNS1_3genE2ELNS1_11target_archE906ELNS1_3gpuE6ELNS1_3repE0EEENS1_30default_config_static_selectorELNS0_4arch9wavefront6targetE0EEEvT1_,"axG",@progbits,_ZN7rocprim17ROCPRIM_400000_NS6detail17trampoline_kernelINS0_14default_configENS1_25partition_config_selectorILNS1_17partition_subalgoE9EllbEEZZNS1_14partition_implILS5_9ELb0ES3_jPlS8_PNS0_10empty_typeENS0_5tupleIJS8_S9_EEENSB_IJS8_SA_EEENS0_18inequality_wrapperIZN2at6native12_GLOBAL__N_124unique_dim_cuda_templateIaEESt5tupleIJNSF_6TensorESK_SK_EERKSK_lbbbEUlllE0_EEPmJS9_EEE10hipError_tPvRmT3_T4_T5_T6_T7_T9_mT8_P12ihipStream_tbDpT10_ENKUlT_T0_E_clISt17integral_constantIbLb0EES19_IbLb1EEEEDaS15_S16_EUlS15_E_NS1_11comp_targetILNS1_3genE2ELNS1_11target_archE906ELNS1_3gpuE6ELNS1_3repE0EEENS1_30default_config_static_selectorELNS0_4arch9wavefront6targetE0EEEvT1_,comdat
	.globl	_ZN7rocprim17ROCPRIM_400000_NS6detail17trampoline_kernelINS0_14default_configENS1_25partition_config_selectorILNS1_17partition_subalgoE9EllbEEZZNS1_14partition_implILS5_9ELb0ES3_jPlS8_PNS0_10empty_typeENS0_5tupleIJS8_S9_EEENSB_IJS8_SA_EEENS0_18inequality_wrapperIZN2at6native12_GLOBAL__N_124unique_dim_cuda_templateIaEESt5tupleIJNSF_6TensorESK_SK_EERKSK_lbbbEUlllE0_EEPmJS9_EEE10hipError_tPvRmT3_T4_T5_T6_T7_T9_mT8_P12ihipStream_tbDpT10_ENKUlT_T0_E_clISt17integral_constantIbLb0EES19_IbLb1EEEEDaS15_S16_EUlS15_E_NS1_11comp_targetILNS1_3genE2ELNS1_11target_archE906ELNS1_3gpuE6ELNS1_3repE0EEENS1_30default_config_static_selectorELNS0_4arch9wavefront6targetE0EEEvT1_ ; -- Begin function _ZN7rocprim17ROCPRIM_400000_NS6detail17trampoline_kernelINS0_14default_configENS1_25partition_config_selectorILNS1_17partition_subalgoE9EllbEEZZNS1_14partition_implILS5_9ELb0ES3_jPlS8_PNS0_10empty_typeENS0_5tupleIJS8_S9_EEENSB_IJS8_SA_EEENS0_18inequality_wrapperIZN2at6native12_GLOBAL__N_124unique_dim_cuda_templateIaEESt5tupleIJNSF_6TensorESK_SK_EERKSK_lbbbEUlllE0_EEPmJS9_EEE10hipError_tPvRmT3_T4_T5_T6_T7_T9_mT8_P12ihipStream_tbDpT10_ENKUlT_T0_E_clISt17integral_constantIbLb0EES19_IbLb1EEEEDaS15_S16_EUlS15_E_NS1_11comp_targetILNS1_3genE2ELNS1_11target_archE906ELNS1_3gpuE6ELNS1_3repE0EEENS1_30default_config_static_selectorELNS0_4arch9wavefront6targetE0EEEvT1_
	.p2align	8
	.type	_ZN7rocprim17ROCPRIM_400000_NS6detail17trampoline_kernelINS0_14default_configENS1_25partition_config_selectorILNS1_17partition_subalgoE9EllbEEZZNS1_14partition_implILS5_9ELb0ES3_jPlS8_PNS0_10empty_typeENS0_5tupleIJS8_S9_EEENSB_IJS8_SA_EEENS0_18inequality_wrapperIZN2at6native12_GLOBAL__N_124unique_dim_cuda_templateIaEESt5tupleIJNSF_6TensorESK_SK_EERKSK_lbbbEUlllE0_EEPmJS9_EEE10hipError_tPvRmT3_T4_T5_T6_T7_T9_mT8_P12ihipStream_tbDpT10_ENKUlT_T0_E_clISt17integral_constantIbLb0EES19_IbLb1EEEEDaS15_S16_EUlS15_E_NS1_11comp_targetILNS1_3genE2ELNS1_11target_archE906ELNS1_3gpuE6ELNS1_3repE0EEENS1_30default_config_static_selectorELNS0_4arch9wavefront6targetE0EEEvT1_,@function
_ZN7rocprim17ROCPRIM_400000_NS6detail17trampoline_kernelINS0_14default_configENS1_25partition_config_selectorILNS1_17partition_subalgoE9EllbEEZZNS1_14partition_implILS5_9ELb0ES3_jPlS8_PNS0_10empty_typeENS0_5tupleIJS8_S9_EEENSB_IJS8_SA_EEENS0_18inequality_wrapperIZN2at6native12_GLOBAL__N_124unique_dim_cuda_templateIaEESt5tupleIJNSF_6TensorESK_SK_EERKSK_lbbbEUlllE0_EEPmJS9_EEE10hipError_tPvRmT3_T4_T5_T6_T7_T9_mT8_P12ihipStream_tbDpT10_ENKUlT_T0_E_clISt17integral_constantIbLb0EES19_IbLb1EEEEDaS15_S16_EUlS15_E_NS1_11comp_targetILNS1_3genE2ELNS1_11target_archE906ELNS1_3gpuE6ELNS1_3repE0EEENS1_30default_config_static_selectorELNS0_4arch9wavefront6targetE0EEEvT1_: ; @_ZN7rocprim17ROCPRIM_400000_NS6detail17trampoline_kernelINS0_14default_configENS1_25partition_config_selectorILNS1_17partition_subalgoE9EllbEEZZNS1_14partition_implILS5_9ELb0ES3_jPlS8_PNS0_10empty_typeENS0_5tupleIJS8_S9_EEENSB_IJS8_SA_EEENS0_18inequality_wrapperIZN2at6native12_GLOBAL__N_124unique_dim_cuda_templateIaEESt5tupleIJNSF_6TensorESK_SK_EERKSK_lbbbEUlllE0_EEPmJS9_EEE10hipError_tPvRmT3_T4_T5_T6_T7_T9_mT8_P12ihipStream_tbDpT10_ENKUlT_T0_E_clISt17integral_constantIbLb0EES19_IbLb1EEEEDaS15_S16_EUlS15_E_NS1_11comp_targetILNS1_3genE2ELNS1_11target_archE906ELNS1_3gpuE6ELNS1_3repE0EEENS1_30default_config_static_selectorELNS0_4arch9wavefront6targetE0EEEvT1_
; %bb.0:
	.section	.rodata,"a",@progbits
	.p2align	6, 0x0
	.amdhsa_kernel _ZN7rocprim17ROCPRIM_400000_NS6detail17trampoline_kernelINS0_14default_configENS1_25partition_config_selectorILNS1_17partition_subalgoE9EllbEEZZNS1_14partition_implILS5_9ELb0ES3_jPlS8_PNS0_10empty_typeENS0_5tupleIJS8_S9_EEENSB_IJS8_SA_EEENS0_18inequality_wrapperIZN2at6native12_GLOBAL__N_124unique_dim_cuda_templateIaEESt5tupleIJNSF_6TensorESK_SK_EERKSK_lbbbEUlllE0_EEPmJS9_EEE10hipError_tPvRmT3_T4_T5_T6_T7_T9_mT8_P12ihipStream_tbDpT10_ENKUlT_T0_E_clISt17integral_constantIbLb0EES19_IbLb1EEEEDaS15_S16_EUlS15_E_NS1_11comp_targetILNS1_3genE2ELNS1_11target_archE906ELNS1_3gpuE6ELNS1_3repE0EEENS1_30default_config_static_selectorELNS0_4arch9wavefront6targetE0EEEvT1_
		.amdhsa_group_segment_fixed_size 0
		.amdhsa_private_segment_fixed_size 0
		.amdhsa_kernarg_size 136
		.amdhsa_user_sgpr_count 15
		.amdhsa_user_sgpr_dispatch_ptr 0
		.amdhsa_user_sgpr_queue_ptr 0
		.amdhsa_user_sgpr_kernarg_segment_ptr 1
		.amdhsa_user_sgpr_dispatch_id 0
		.amdhsa_user_sgpr_private_segment_size 0
		.amdhsa_wavefront_size32 1
		.amdhsa_uses_dynamic_stack 0
		.amdhsa_enable_private_segment 0
		.amdhsa_system_sgpr_workgroup_id_x 1
		.amdhsa_system_sgpr_workgroup_id_y 0
		.amdhsa_system_sgpr_workgroup_id_z 0
		.amdhsa_system_sgpr_workgroup_info 0
		.amdhsa_system_vgpr_workitem_id 0
		.amdhsa_next_free_vgpr 1
		.amdhsa_next_free_sgpr 1
		.amdhsa_reserve_vcc 0
		.amdhsa_float_round_mode_32 0
		.amdhsa_float_round_mode_16_64 0
		.amdhsa_float_denorm_mode_32 3
		.amdhsa_float_denorm_mode_16_64 3
		.amdhsa_dx10_clamp 1
		.amdhsa_ieee_mode 1
		.amdhsa_fp16_overflow 0
		.amdhsa_workgroup_processor_mode 1
		.amdhsa_memory_ordered 1
		.amdhsa_forward_progress 0
		.amdhsa_shared_vgpr_count 0
		.amdhsa_exception_fp_ieee_invalid_op 0
		.amdhsa_exception_fp_denorm_src 0
		.amdhsa_exception_fp_ieee_div_zero 0
		.amdhsa_exception_fp_ieee_overflow 0
		.amdhsa_exception_fp_ieee_underflow 0
		.amdhsa_exception_fp_ieee_inexact 0
		.amdhsa_exception_int_div_zero 0
	.end_amdhsa_kernel
	.section	.text._ZN7rocprim17ROCPRIM_400000_NS6detail17trampoline_kernelINS0_14default_configENS1_25partition_config_selectorILNS1_17partition_subalgoE9EllbEEZZNS1_14partition_implILS5_9ELb0ES3_jPlS8_PNS0_10empty_typeENS0_5tupleIJS8_S9_EEENSB_IJS8_SA_EEENS0_18inequality_wrapperIZN2at6native12_GLOBAL__N_124unique_dim_cuda_templateIaEESt5tupleIJNSF_6TensorESK_SK_EERKSK_lbbbEUlllE0_EEPmJS9_EEE10hipError_tPvRmT3_T4_T5_T6_T7_T9_mT8_P12ihipStream_tbDpT10_ENKUlT_T0_E_clISt17integral_constantIbLb0EES19_IbLb1EEEEDaS15_S16_EUlS15_E_NS1_11comp_targetILNS1_3genE2ELNS1_11target_archE906ELNS1_3gpuE6ELNS1_3repE0EEENS1_30default_config_static_selectorELNS0_4arch9wavefront6targetE0EEEvT1_,"axG",@progbits,_ZN7rocprim17ROCPRIM_400000_NS6detail17trampoline_kernelINS0_14default_configENS1_25partition_config_selectorILNS1_17partition_subalgoE9EllbEEZZNS1_14partition_implILS5_9ELb0ES3_jPlS8_PNS0_10empty_typeENS0_5tupleIJS8_S9_EEENSB_IJS8_SA_EEENS0_18inequality_wrapperIZN2at6native12_GLOBAL__N_124unique_dim_cuda_templateIaEESt5tupleIJNSF_6TensorESK_SK_EERKSK_lbbbEUlllE0_EEPmJS9_EEE10hipError_tPvRmT3_T4_T5_T6_T7_T9_mT8_P12ihipStream_tbDpT10_ENKUlT_T0_E_clISt17integral_constantIbLb0EES19_IbLb1EEEEDaS15_S16_EUlS15_E_NS1_11comp_targetILNS1_3genE2ELNS1_11target_archE906ELNS1_3gpuE6ELNS1_3repE0EEENS1_30default_config_static_selectorELNS0_4arch9wavefront6targetE0EEEvT1_,comdat
.Lfunc_end379:
	.size	_ZN7rocprim17ROCPRIM_400000_NS6detail17trampoline_kernelINS0_14default_configENS1_25partition_config_selectorILNS1_17partition_subalgoE9EllbEEZZNS1_14partition_implILS5_9ELb0ES3_jPlS8_PNS0_10empty_typeENS0_5tupleIJS8_S9_EEENSB_IJS8_SA_EEENS0_18inequality_wrapperIZN2at6native12_GLOBAL__N_124unique_dim_cuda_templateIaEESt5tupleIJNSF_6TensorESK_SK_EERKSK_lbbbEUlllE0_EEPmJS9_EEE10hipError_tPvRmT3_T4_T5_T6_T7_T9_mT8_P12ihipStream_tbDpT10_ENKUlT_T0_E_clISt17integral_constantIbLb0EES19_IbLb1EEEEDaS15_S16_EUlS15_E_NS1_11comp_targetILNS1_3genE2ELNS1_11target_archE906ELNS1_3gpuE6ELNS1_3repE0EEENS1_30default_config_static_selectorELNS0_4arch9wavefront6targetE0EEEvT1_, .Lfunc_end379-_ZN7rocprim17ROCPRIM_400000_NS6detail17trampoline_kernelINS0_14default_configENS1_25partition_config_selectorILNS1_17partition_subalgoE9EllbEEZZNS1_14partition_implILS5_9ELb0ES3_jPlS8_PNS0_10empty_typeENS0_5tupleIJS8_S9_EEENSB_IJS8_SA_EEENS0_18inequality_wrapperIZN2at6native12_GLOBAL__N_124unique_dim_cuda_templateIaEESt5tupleIJNSF_6TensorESK_SK_EERKSK_lbbbEUlllE0_EEPmJS9_EEE10hipError_tPvRmT3_T4_T5_T6_T7_T9_mT8_P12ihipStream_tbDpT10_ENKUlT_T0_E_clISt17integral_constantIbLb0EES19_IbLb1EEEEDaS15_S16_EUlS15_E_NS1_11comp_targetILNS1_3genE2ELNS1_11target_archE906ELNS1_3gpuE6ELNS1_3repE0EEENS1_30default_config_static_selectorELNS0_4arch9wavefront6targetE0EEEvT1_
                                        ; -- End function
	.section	.AMDGPU.csdata,"",@progbits
; Kernel info:
; codeLenInByte = 0
; NumSgprs: 0
; NumVgprs: 0
; ScratchSize: 0
; MemoryBound: 0
; FloatMode: 240
; IeeeMode: 1
; LDSByteSize: 0 bytes/workgroup (compile time only)
; SGPRBlocks: 0
; VGPRBlocks: 0
; NumSGPRsForWavesPerEU: 1
; NumVGPRsForWavesPerEU: 1
; Occupancy: 15
; WaveLimiterHint : 0
; COMPUTE_PGM_RSRC2:SCRATCH_EN: 0
; COMPUTE_PGM_RSRC2:USER_SGPR: 15
; COMPUTE_PGM_RSRC2:TRAP_HANDLER: 0
; COMPUTE_PGM_RSRC2:TGID_X_EN: 1
; COMPUTE_PGM_RSRC2:TGID_Y_EN: 0
; COMPUTE_PGM_RSRC2:TGID_Z_EN: 0
; COMPUTE_PGM_RSRC2:TIDIG_COMP_CNT: 0
	.section	.text._ZN7rocprim17ROCPRIM_400000_NS6detail17trampoline_kernelINS0_14default_configENS1_25partition_config_selectorILNS1_17partition_subalgoE9EllbEEZZNS1_14partition_implILS5_9ELb0ES3_jPlS8_PNS0_10empty_typeENS0_5tupleIJS8_S9_EEENSB_IJS8_SA_EEENS0_18inequality_wrapperIZN2at6native12_GLOBAL__N_124unique_dim_cuda_templateIaEESt5tupleIJNSF_6TensorESK_SK_EERKSK_lbbbEUlllE0_EEPmJS9_EEE10hipError_tPvRmT3_T4_T5_T6_T7_T9_mT8_P12ihipStream_tbDpT10_ENKUlT_T0_E_clISt17integral_constantIbLb0EES19_IbLb1EEEEDaS15_S16_EUlS15_E_NS1_11comp_targetILNS1_3genE10ELNS1_11target_archE1200ELNS1_3gpuE4ELNS1_3repE0EEENS1_30default_config_static_selectorELNS0_4arch9wavefront6targetE0EEEvT1_,"axG",@progbits,_ZN7rocprim17ROCPRIM_400000_NS6detail17trampoline_kernelINS0_14default_configENS1_25partition_config_selectorILNS1_17partition_subalgoE9EllbEEZZNS1_14partition_implILS5_9ELb0ES3_jPlS8_PNS0_10empty_typeENS0_5tupleIJS8_S9_EEENSB_IJS8_SA_EEENS0_18inequality_wrapperIZN2at6native12_GLOBAL__N_124unique_dim_cuda_templateIaEESt5tupleIJNSF_6TensorESK_SK_EERKSK_lbbbEUlllE0_EEPmJS9_EEE10hipError_tPvRmT3_T4_T5_T6_T7_T9_mT8_P12ihipStream_tbDpT10_ENKUlT_T0_E_clISt17integral_constantIbLb0EES19_IbLb1EEEEDaS15_S16_EUlS15_E_NS1_11comp_targetILNS1_3genE10ELNS1_11target_archE1200ELNS1_3gpuE4ELNS1_3repE0EEENS1_30default_config_static_selectorELNS0_4arch9wavefront6targetE0EEEvT1_,comdat
	.globl	_ZN7rocprim17ROCPRIM_400000_NS6detail17trampoline_kernelINS0_14default_configENS1_25partition_config_selectorILNS1_17partition_subalgoE9EllbEEZZNS1_14partition_implILS5_9ELb0ES3_jPlS8_PNS0_10empty_typeENS0_5tupleIJS8_S9_EEENSB_IJS8_SA_EEENS0_18inequality_wrapperIZN2at6native12_GLOBAL__N_124unique_dim_cuda_templateIaEESt5tupleIJNSF_6TensorESK_SK_EERKSK_lbbbEUlllE0_EEPmJS9_EEE10hipError_tPvRmT3_T4_T5_T6_T7_T9_mT8_P12ihipStream_tbDpT10_ENKUlT_T0_E_clISt17integral_constantIbLb0EES19_IbLb1EEEEDaS15_S16_EUlS15_E_NS1_11comp_targetILNS1_3genE10ELNS1_11target_archE1200ELNS1_3gpuE4ELNS1_3repE0EEENS1_30default_config_static_selectorELNS0_4arch9wavefront6targetE0EEEvT1_ ; -- Begin function _ZN7rocprim17ROCPRIM_400000_NS6detail17trampoline_kernelINS0_14default_configENS1_25partition_config_selectorILNS1_17partition_subalgoE9EllbEEZZNS1_14partition_implILS5_9ELb0ES3_jPlS8_PNS0_10empty_typeENS0_5tupleIJS8_S9_EEENSB_IJS8_SA_EEENS0_18inequality_wrapperIZN2at6native12_GLOBAL__N_124unique_dim_cuda_templateIaEESt5tupleIJNSF_6TensorESK_SK_EERKSK_lbbbEUlllE0_EEPmJS9_EEE10hipError_tPvRmT3_T4_T5_T6_T7_T9_mT8_P12ihipStream_tbDpT10_ENKUlT_T0_E_clISt17integral_constantIbLb0EES19_IbLb1EEEEDaS15_S16_EUlS15_E_NS1_11comp_targetILNS1_3genE10ELNS1_11target_archE1200ELNS1_3gpuE4ELNS1_3repE0EEENS1_30default_config_static_selectorELNS0_4arch9wavefront6targetE0EEEvT1_
	.p2align	8
	.type	_ZN7rocprim17ROCPRIM_400000_NS6detail17trampoline_kernelINS0_14default_configENS1_25partition_config_selectorILNS1_17partition_subalgoE9EllbEEZZNS1_14partition_implILS5_9ELb0ES3_jPlS8_PNS0_10empty_typeENS0_5tupleIJS8_S9_EEENSB_IJS8_SA_EEENS0_18inequality_wrapperIZN2at6native12_GLOBAL__N_124unique_dim_cuda_templateIaEESt5tupleIJNSF_6TensorESK_SK_EERKSK_lbbbEUlllE0_EEPmJS9_EEE10hipError_tPvRmT3_T4_T5_T6_T7_T9_mT8_P12ihipStream_tbDpT10_ENKUlT_T0_E_clISt17integral_constantIbLb0EES19_IbLb1EEEEDaS15_S16_EUlS15_E_NS1_11comp_targetILNS1_3genE10ELNS1_11target_archE1200ELNS1_3gpuE4ELNS1_3repE0EEENS1_30default_config_static_selectorELNS0_4arch9wavefront6targetE0EEEvT1_,@function
_ZN7rocprim17ROCPRIM_400000_NS6detail17trampoline_kernelINS0_14default_configENS1_25partition_config_selectorILNS1_17partition_subalgoE9EllbEEZZNS1_14partition_implILS5_9ELb0ES3_jPlS8_PNS0_10empty_typeENS0_5tupleIJS8_S9_EEENSB_IJS8_SA_EEENS0_18inequality_wrapperIZN2at6native12_GLOBAL__N_124unique_dim_cuda_templateIaEESt5tupleIJNSF_6TensorESK_SK_EERKSK_lbbbEUlllE0_EEPmJS9_EEE10hipError_tPvRmT3_T4_T5_T6_T7_T9_mT8_P12ihipStream_tbDpT10_ENKUlT_T0_E_clISt17integral_constantIbLb0EES19_IbLb1EEEEDaS15_S16_EUlS15_E_NS1_11comp_targetILNS1_3genE10ELNS1_11target_archE1200ELNS1_3gpuE4ELNS1_3repE0EEENS1_30default_config_static_selectorELNS0_4arch9wavefront6targetE0EEEvT1_: ; @_ZN7rocprim17ROCPRIM_400000_NS6detail17trampoline_kernelINS0_14default_configENS1_25partition_config_selectorILNS1_17partition_subalgoE9EllbEEZZNS1_14partition_implILS5_9ELb0ES3_jPlS8_PNS0_10empty_typeENS0_5tupleIJS8_S9_EEENSB_IJS8_SA_EEENS0_18inequality_wrapperIZN2at6native12_GLOBAL__N_124unique_dim_cuda_templateIaEESt5tupleIJNSF_6TensorESK_SK_EERKSK_lbbbEUlllE0_EEPmJS9_EEE10hipError_tPvRmT3_T4_T5_T6_T7_T9_mT8_P12ihipStream_tbDpT10_ENKUlT_T0_E_clISt17integral_constantIbLb0EES19_IbLb1EEEEDaS15_S16_EUlS15_E_NS1_11comp_targetILNS1_3genE10ELNS1_11target_archE1200ELNS1_3gpuE4ELNS1_3repE0EEENS1_30default_config_static_selectorELNS0_4arch9wavefront6targetE0EEEvT1_
; %bb.0:
	.section	.rodata,"a",@progbits
	.p2align	6, 0x0
	.amdhsa_kernel _ZN7rocprim17ROCPRIM_400000_NS6detail17trampoline_kernelINS0_14default_configENS1_25partition_config_selectorILNS1_17partition_subalgoE9EllbEEZZNS1_14partition_implILS5_9ELb0ES3_jPlS8_PNS0_10empty_typeENS0_5tupleIJS8_S9_EEENSB_IJS8_SA_EEENS0_18inequality_wrapperIZN2at6native12_GLOBAL__N_124unique_dim_cuda_templateIaEESt5tupleIJNSF_6TensorESK_SK_EERKSK_lbbbEUlllE0_EEPmJS9_EEE10hipError_tPvRmT3_T4_T5_T6_T7_T9_mT8_P12ihipStream_tbDpT10_ENKUlT_T0_E_clISt17integral_constantIbLb0EES19_IbLb1EEEEDaS15_S16_EUlS15_E_NS1_11comp_targetILNS1_3genE10ELNS1_11target_archE1200ELNS1_3gpuE4ELNS1_3repE0EEENS1_30default_config_static_selectorELNS0_4arch9wavefront6targetE0EEEvT1_
		.amdhsa_group_segment_fixed_size 0
		.amdhsa_private_segment_fixed_size 0
		.amdhsa_kernarg_size 136
		.amdhsa_user_sgpr_count 15
		.amdhsa_user_sgpr_dispatch_ptr 0
		.amdhsa_user_sgpr_queue_ptr 0
		.amdhsa_user_sgpr_kernarg_segment_ptr 1
		.amdhsa_user_sgpr_dispatch_id 0
		.amdhsa_user_sgpr_private_segment_size 0
		.amdhsa_wavefront_size32 1
		.amdhsa_uses_dynamic_stack 0
		.amdhsa_enable_private_segment 0
		.amdhsa_system_sgpr_workgroup_id_x 1
		.amdhsa_system_sgpr_workgroup_id_y 0
		.amdhsa_system_sgpr_workgroup_id_z 0
		.amdhsa_system_sgpr_workgroup_info 0
		.amdhsa_system_vgpr_workitem_id 0
		.amdhsa_next_free_vgpr 1
		.amdhsa_next_free_sgpr 1
		.amdhsa_reserve_vcc 0
		.amdhsa_float_round_mode_32 0
		.amdhsa_float_round_mode_16_64 0
		.amdhsa_float_denorm_mode_32 3
		.amdhsa_float_denorm_mode_16_64 3
		.amdhsa_dx10_clamp 1
		.amdhsa_ieee_mode 1
		.amdhsa_fp16_overflow 0
		.amdhsa_workgroup_processor_mode 1
		.amdhsa_memory_ordered 1
		.amdhsa_forward_progress 0
		.amdhsa_shared_vgpr_count 0
		.amdhsa_exception_fp_ieee_invalid_op 0
		.amdhsa_exception_fp_denorm_src 0
		.amdhsa_exception_fp_ieee_div_zero 0
		.amdhsa_exception_fp_ieee_overflow 0
		.amdhsa_exception_fp_ieee_underflow 0
		.amdhsa_exception_fp_ieee_inexact 0
		.amdhsa_exception_int_div_zero 0
	.end_amdhsa_kernel
	.section	.text._ZN7rocprim17ROCPRIM_400000_NS6detail17trampoline_kernelINS0_14default_configENS1_25partition_config_selectorILNS1_17partition_subalgoE9EllbEEZZNS1_14partition_implILS5_9ELb0ES3_jPlS8_PNS0_10empty_typeENS0_5tupleIJS8_S9_EEENSB_IJS8_SA_EEENS0_18inequality_wrapperIZN2at6native12_GLOBAL__N_124unique_dim_cuda_templateIaEESt5tupleIJNSF_6TensorESK_SK_EERKSK_lbbbEUlllE0_EEPmJS9_EEE10hipError_tPvRmT3_T4_T5_T6_T7_T9_mT8_P12ihipStream_tbDpT10_ENKUlT_T0_E_clISt17integral_constantIbLb0EES19_IbLb1EEEEDaS15_S16_EUlS15_E_NS1_11comp_targetILNS1_3genE10ELNS1_11target_archE1200ELNS1_3gpuE4ELNS1_3repE0EEENS1_30default_config_static_selectorELNS0_4arch9wavefront6targetE0EEEvT1_,"axG",@progbits,_ZN7rocprim17ROCPRIM_400000_NS6detail17trampoline_kernelINS0_14default_configENS1_25partition_config_selectorILNS1_17partition_subalgoE9EllbEEZZNS1_14partition_implILS5_9ELb0ES3_jPlS8_PNS0_10empty_typeENS0_5tupleIJS8_S9_EEENSB_IJS8_SA_EEENS0_18inequality_wrapperIZN2at6native12_GLOBAL__N_124unique_dim_cuda_templateIaEESt5tupleIJNSF_6TensorESK_SK_EERKSK_lbbbEUlllE0_EEPmJS9_EEE10hipError_tPvRmT3_T4_T5_T6_T7_T9_mT8_P12ihipStream_tbDpT10_ENKUlT_T0_E_clISt17integral_constantIbLb0EES19_IbLb1EEEEDaS15_S16_EUlS15_E_NS1_11comp_targetILNS1_3genE10ELNS1_11target_archE1200ELNS1_3gpuE4ELNS1_3repE0EEENS1_30default_config_static_selectorELNS0_4arch9wavefront6targetE0EEEvT1_,comdat
.Lfunc_end380:
	.size	_ZN7rocprim17ROCPRIM_400000_NS6detail17trampoline_kernelINS0_14default_configENS1_25partition_config_selectorILNS1_17partition_subalgoE9EllbEEZZNS1_14partition_implILS5_9ELb0ES3_jPlS8_PNS0_10empty_typeENS0_5tupleIJS8_S9_EEENSB_IJS8_SA_EEENS0_18inequality_wrapperIZN2at6native12_GLOBAL__N_124unique_dim_cuda_templateIaEESt5tupleIJNSF_6TensorESK_SK_EERKSK_lbbbEUlllE0_EEPmJS9_EEE10hipError_tPvRmT3_T4_T5_T6_T7_T9_mT8_P12ihipStream_tbDpT10_ENKUlT_T0_E_clISt17integral_constantIbLb0EES19_IbLb1EEEEDaS15_S16_EUlS15_E_NS1_11comp_targetILNS1_3genE10ELNS1_11target_archE1200ELNS1_3gpuE4ELNS1_3repE0EEENS1_30default_config_static_selectorELNS0_4arch9wavefront6targetE0EEEvT1_, .Lfunc_end380-_ZN7rocprim17ROCPRIM_400000_NS6detail17trampoline_kernelINS0_14default_configENS1_25partition_config_selectorILNS1_17partition_subalgoE9EllbEEZZNS1_14partition_implILS5_9ELb0ES3_jPlS8_PNS0_10empty_typeENS0_5tupleIJS8_S9_EEENSB_IJS8_SA_EEENS0_18inequality_wrapperIZN2at6native12_GLOBAL__N_124unique_dim_cuda_templateIaEESt5tupleIJNSF_6TensorESK_SK_EERKSK_lbbbEUlllE0_EEPmJS9_EEE10hipError_tPvRmT3_T4_T5_T6_T7_T9_mT8_P12ihipStream_tbDpT10_ENKUlT_T0_E_clISt17integral_constantIbLb0EES19_IbLb1EEEEDaS15_S16_EUlS15_E_NS1_11comp_targetILNS1_3genE10ELNS1_11target_archE1200ELNS1_3gpuE4ELNS1_3repE0EEENS1_30default_config_static_selectorELNS0_4arch9wavefront6targetE0EEEvT1_
                                        ; -- End function
	.section	.AMDGPU.csdata,"",@progbits
; Kernel info:
; codeLenInByte = 0
; NumSgprs: 0
; NumVgprs: 0
; ScratchSize: 0
; MemoryBound: 0
; FloatMode: 240
; IeeeMode: 1
; LDSByteSize: 0 bytes/workgroup (compile time only)
; SGPRBlocks: 0
; VGPRBlocks: 0
; NumSGPRsForWavesPerEU: 1
; NumVGPRsForWavesPerEU: 1
; Occupancy: 15
; WaveLimiterHint : 0
; COMPUTE_PGM_RSRC2:SCRATCH_EN: 0
; COMPUTE_PGM_RSRC2:USER_SGPR: 15
; COMPUTE_PGM_RSRC2:TRAP_HANDLER: 0
; COMPUTE_PGM_RSRC2:TGID_X_EN: 1
; COMPUTE_PGM_RSRC2:TGID_Y_EN: 0
; COMPUTE_PGM_RSRC2:TGID_Z_EN: 0
; COMPUTE_PGM_RSRC2:TIDIG_COMP_CNT: 0
	.section	.text._ZN7rocprim17ROCPRIM_400000_NS6detail17trampoline_kernelINS0_14default_configENS1_25partition_config_selectorILNS1_17partition_subalgoE9EllbEEZZNS1_14partition_implILS5_9ELb0ES3_jPlS8_PNS0_10empty_typeENS0_5tupleIJS8_S9_EEENSB_IJS8_SA_EEENS0_18inequality_wrapperIZN2at6native12_GLOBAL__N_124unique_dim_cuda_templateIaEESt5tupleIJNSF_6TensorESK_SK_EERKSK_lbbbEUlllE0_EEPmJS9_EEE10hipError_tPvRmT3_T4_T5_T6_T7_T9_mT8_P12ihipStream_tbDpT10_ENKUlT_T0_E_clISt17integral_constantIbLb0EES19_IbLb1EEEEDaS15_S16_EUlS15_E_NS1_11comp_targetILNS1_3genE9ELNS1_11target_archE1100ELNS1_3gpuE3ELNS1_3repE0EEENS1_30default_config_static_selectorELNS0_4arch9wavefront6targetE0EEEvT1_,"axG",@progbits,_ZN7rocprim17ROCPRIM_400000_NS6detail17trampoline_kernelINS0_14default_configENS1_25partition_config_selectorILNS1_17partition_subalgoE9EllbEEZZNS1_14partition_implILS5_9ELb0ES3_jPlS8_PNS0_10empty_typeENS0_5tupleIJS8_S9_EEENSB_IJS8_SA_EEENS0_18inequality_wrapperIZN2at6native12_GLOBAL__N_124unique_dim_cuda_templateIaEESt5tupleIJNSF_6TensorESK_SK_EERKSK_lbbbEUlllE0_EEPmJS9_EEE10hipError_tPvRmT3_T4_T5_T6_T7_T9_mT8_P12ihipStream_tbDpT10_ENKUlT_T0_E_clISt17integral_constantIbLb0EES19_IbLb1EEEEDaS15_S16_EUlS15_E_NS1_11comp_targetILNS1_3genE9ELNS1_11target_archE1100ELNS1_3gpuE3ELNS1_3repE0EEENS1_30default_config_static_selectorELNS0_4arch9wavefront6targetE0EEEvT1_,comdat
	.globl	_ZN7rocprim17ROCPRIM_400000_NS6detail17trampoline_kernelINS0_14default_configENS1_25partition_config_selectorILNS1_17partition_subalgoE9EllbEEZZNS1_14partition_implILS5_9ELb0ES3_jPlS8_PNS0_10empty_typeENS0_5tupleIJS8_S9_EEENSB_IJS8_SA_EEENS0_18inequality_wrapperIZN2at6native12_GLOBAL__N_124unique_dim_cuda_templateIaEESt5tupleIJNSF_6TensorESK_SK_EERKSK_lbbbEUlllE0_EEPmJS9_EEE10hipError_tPvRmT3_T4_T5_T6_T7_T9_mT8_P12ihipStream_tbDpT10_ENKUlT_T0_E_clISt17integral_constantIbLb0EES19_IbLb1EEEEDaS15_S16_EUlS15_E_NS1_11comp_targetILNS1_3genE9ELNS1_11target_archE1100ELNS1_3gpuE3ELNS1_3repE0EEENS1_30default_config_static_selectorELNS0_4arch9wavefront6targetE0EEEvT1_ ; -- Begin function _ZN7rocprim17ROCPRIM_400000_NS6detail17trampoline_kernelINS0_14default_configENS1_25partition_config_selectorILNS1_17partition_subalgoE9EllbEEZZNS1_14partition_implILS5_9ELb0ES3_jPlS8_PNS0_10empty_typeENS0_5tupleIJS8_S9_EEENSB_IJS8_SA_EEENS0_18inequality_wrapperIZN2at6native12_GLOBAL__N_124unique_dim_cuda_templateIaEESt5tupleIJNSF_6TensorESK_SK_EERKSK_lbbbEUlllE0_EEPmJS9_EEE10hipError_tPvRmT3_T4_T5_T6_T7_T9_mT8_P12ihipStream_tbDpT10_ENKUlT_T0_E_clISt17integral_constantIbLb0EES19_IbLb1EEEEDaS15_S16_EUlS15_E_NS1_11comp_targetILNS1_3genE9ELNS1_11target_archE1100ELNS1_3gpuE3ELNS1_3repE0EEENS1_30default_config_static_selectorELNS0_4arch9wavefront6targetE0EEEvT1_
	.p2align	8
	.type	_ZN7rocprim17ROCPRIM_400000_NS6detail17trampoline_kernelINS0_14default_configENS1_25partition_config_selectorILNS1_17partition_subalgoE9EllbEEZZNS1_14partition_implILS5_9ELb0ES3_jPlS8_PNS0_10empty_typeENS0_5tupleIJS8_S9_EEENSB_IJS8_SA_EEENS0_18inequality_wrapperIZN2at6native12_GLOBAL__N_124unique_dim_cuda_templateIaEESt5tupleIJNSF_6TensorESK_SK_EERKSK_lbbbEUlllE0_EEPmJS9_EEE10hipError_tPvRmT3_T4_T5_T6_T7_T9_mT8_P12ihipStream_tbDpT10_ENKUlT_T0_E_clISt17integral_constantIbLb0EES19_IbLb1EEEEDaS15_S16_EUlS15_E_NS1_11comp_targetILNS1_3genE9ELNS1_11target_archE1100ELNS1_3gpuE3ELNS1_3repE0EEENS1_30default_config_static_selectorELNS0_4arch9wavefront6targetE0EEEvT1_,@function
_ZN7rocprim17ROCPRIM_400000_NS6detail17trampoline_kernelINS0_14default_configENS1_25partition_config_selectorILNS1_17partition_subalgoE9EllbEEZZNS1_14partition_implILS5_9ELb0ES3_jPlS8_PNS0_10empty_typeENS0_5tupleIJS8_S9_EEENSB_IJS8_SA_EEENS0_18inequality_wrapperIZN2at6native12_GLOBAL__N_124unique_dim_cuda_templateIaEESt5tupleIJNSF_6TensorESK_SK_EERKSK_lbbbEUlllE0_EEPmJS9_EEE10hipError_tPvRmT3_T4_T5_T6_T7_T9_mT8_P12ihipStream_tbDpT10_ENKUlT_T0_E_clISt17integral_constantIbLb0EES19_IbLb1EEEEDaS15_S16_EUlS15_E_NS1_11comp_targetILNS1_3genE9ELNS1_11target_archE1100ELNS1_3gpuE3ELNS1_3repE0EEENS1_30default_config_static_selectorELNS0_4arch9wavefront6targetE0EEEvT1_: ; @_ZN7rocprim17ROCPRIM_400000_NS6detail17trampoline_kernelINS0_14default_configENS1_25partition_config_selectorILNS1_17partition_subalgoE9EllbEEZZNS1_14partition_implILS5_9ELb0ES3_jPlS8_PNS0_10empty_typeENS0_5tupleIJS8_S9_EEENSB_IJS8_SA_EEENS0_18inequality_wrapperIZN2at6native12_GLOBAL__N_124unique_dim_cuda_templateIaEESt5tupleIJNSF_6TensorESK_SK_EERKSK_lbbbEUlllE0_EEPmJS9_EEE10hipError_tPvRmT3_T4_T5_T6_T7_T9_mT8_P12ihipStream_tbDpT10_ENKUlT_T0_E_clISt17integral_constantIbLb0EES19_IbLb1EEEEDaS15_S16_EUlS15_E_NS1_11comp_targetILNS1_3genE9ELNS1_11target_archE1100ELNS1_3gpuE3ELNS1_3repE0EEENS1_30default_config_static_selectorELNS0_4arch9wavefront6targetE0EEEvT1_
; %bb.0:
	s_clause 0x3
	s_load_b128 s[4:7], s[0:1], 0x8
	s_load_b64 s[24:25], s[0:1], 0x18
	s_load_b256 s[8:15], s[0:1], 0x40
	s_load_b128 s[20:23], s[0:1], 0x60
	v_cmp_ne_u32_e64 s3, 0, v0
	v_cmp_eq_u32_e64 s2, 0, v0
	s_delay_alu instid0(VALU_DEP_1)
	s_and_saveexec_b32 s16, s2
	s_cbranch_execz .LBB381_4
; %bb.1:
	s_mov_b32 s18, exec_lo
	s_mov_b32 s17, exec_lo
	v_mbcnt_lo_u32_b32 v1, s18, 0
                                        ; implicit-def: $vgpr2
	s_delay_alu instid0(VALU_DEP_1)
	v_cmpx_eq_u32_e32 0, v1
	s_cbranch_execz .LBB381_3
; %bb.2:
	s_load_b64 s[26:27], s[0:1], 0x78
	s_bcnt1_i32_b32 s18, s18
	s_delay_alu instid0(SALU_CYCLE_1)
	v_dual_mov_b32 v2, 0 :: v_dual_mov_b32 v3, s18
	s_waitcnt lgkmcnt(0)
	global_atomic_add_u32 v2, v2, v3, s[26:27] glc
.LBB381_3:
	s_or_b32 exec_lo, exec_lo, s17
	s_waitcnt vmcnt(0)
	v_readfirstlane_b32 s17, v2
	s_delay_alu instid0(VALU_DEP_1)
	v_dual_mov_b32 v2, 0 :: v_dual_add_nc_u32 v1, s17, v1
	ds_store_b32 v2, v1
.LBB381_4:
	s_or_b32 exec_lo, exec_lo, s16
	v_mov_b32_e32 v1, 0
	s_clause 0x1
	s_load_b128 s[16:19], s[0:1], 0x28
	s_load_b32 s0, s[0:1], 0x70
	s_waitcnt lgkmcnt(0)
	s_barrier
	buffer_gl0_inv
	ds_load_b32 v3, v1
	s_waitcnt lgkmcnt(0)
	s_barrier
	buffer_gl0_inv
	global_load_b64 v[1:2], v1, s[10:11]
	s_lshl_b64 s[26:27], s[6:7], 3
	s_mov_b32 s1, 0
	s_add_u32 s10, s4, s26
	s_addc_u32 s11, s5, s27
	v_lshlrev_b32_e32 v55, 3, v0
	v_lshrrev_b32_e32 v34, 2, v0
	v_or_b32_e32 v39, 0x200, v0
	v_or_b32_e32 v38, 0x400, v0
	v_or_b32_e32 v40, 0x600, v0
	v_or_b32_e32 v37, 0x800, v0
	v_or_b32_e32 v35, 0xa00, v0
	s_add_i32 s28, s0, -1
	s_lshl_b32 s5, s0, 12
	s_lshl_b32 s4, s28, 12
	v_or_b32_e32 v33, 0xc00, v0
	v_readfirstlane_b32 s30, v3
	s_add_i32 s4, s6, s4
	v_or_b32_e32 v36, 0xe00, v0
	s_sub_i32 s31, s12, s4
	s_delay_alu instid0(VALU_DEP_2)
	s_lshl_b32 s0, s30, 12
	s_add_u32 s4, s6, s5
	s_addc_u32 s5, s7, 0
	s_cmp_eq_u32 s30, s28
	v_cmp_ge_u64_e64 s4, s[4:5], s[12:13]
	s_cselect_b32 s28, -1, 0
	s_lshl_b64 s[12:13], s[0:1], 3
	s_mov_b32 s1, -1
	s_delay_alu instid0(VALU_DEP_1) | instskip(NEXT) | instid1(SALU_CYCLE_1)
	s_and_b32 s33, s4, s28
	s_xor_b32 s29, s33, -1
	s_add_u32 s4, s10, s12
	s_addc_u32 s5, s11, s13
	s_and_b32 vcc_lo, exec_lo, s29
	s_waitcnt vmcnt(0)
	v_readfirstlane_b32 s10, v1
	v_readfirstlane_b32 s11, v2
	s_cbranch_vccz .LBB381_6
; %bb.5:
	v_add_co_u32 v9, s0, s4, v55
	s_delay_alu instid0(VALU_DEP_1)
	v_add_co_ci_u32_e64 v10, null, s5, 0, s0
	global_load_b64 v[1:2], v55, s[4:5]
	v_add_co_u32 v3, vcc_lo, v9, 0x2000
	v_add_co_ci_u32_e32 v4, vcc_lo, 0, v10, vcc_lo
	v_add_co_u32 v5, vcc_lo, v9, 0x4000
	v_add_co_ci_u32_e32 v6, vcc_lo, 0, v10, vcc_lo
	;; [unrolled: 2-line block ×4, first 2 shown]
	s_clause 0x6
	global_load_b64 v[11:12], v[3:4], off offset:-4096
	global_load_b64 v[3:4], v[3:4], off
	global_load_b64 v[13:14], v[5:6], off offset:-4096
	global_load_b64 v[5:6], v[5:6], off
	;; [unrolled: 2-line block ×3, first 2 shown]
	global_load_b64 v[9:10], v[9:10], off
	v_lshrrev_b32_e32 v18, 2, v39
	v_lshrrev_b32_e32 v19, 2, v38
	;; [unrolled: 1-line block ×4, first 2 shown]
	v_and_b32_e32 v17, 0x78, v34
	v_lshrrev_b32_e32 v22, 2, v35
	v_lshrrev_b32_e32 v23, 2, v33
	;; [unrolled: 1-line block ×3, first 2 shown]
	v_and_b32_e32 v18, 0xf8, v18
	v_and_b32_e32 v19, 0x178, v19
	;; [unrolled: 1-line block ×4, first 2 shown]
	v_add_nc_u32_e32 v17, v17, v55
	v_and_b32_e32 v22, 0x2f8, v22
	v_and_b32_e32 v23, 0x378, v23
	;; [unrolled: 1-line block ×3, first 2 shown]
	v_add_nc_u32_e32 v18, v18, v55
	v_add_nc_u32_e32 v19, v19, v55
	;; [unrolled: 1-line block ×4, first 2 shown]
	s_mov_b32 s1, 0
	v_add_nc_u32_e32 v22, v22, v55
	v_add_nc_u32_e32 v23, v23, v55
	;; [unrolled: 1-line block ×3, first 2 shown]
	s_waitcnt vmcnt(7)
	ds_store_b64 v17, v[1:2]
	s_waitcnt vmcnt(6)
	ds_store_b64 v18, v[11:12] offset:4096
	s_waitcnt vmcnt(5)
	ds_store_b64 v19, v[3:4] offset:8192
	s_waitcnt vmcnt(4)
	ds_store_b64 v20, v[13:14] offset:12288
	s_waitcnt vmcnt(3)
	ds_store_b64 v21, v[5:6] offset:16384
	s_waitcnt vmcnt(2)
	ds_store_b64 v22, v[15:16] offset:20480
	s_waitcnt vmcnt(1)
	ds_store_b64 v23, v[7:8] offset:24576
	s_waitcnt vmcnt(0)
	ds_store_b64 v24, v[9:10] offset:28672
	s_waitcnt lgkmcnt(0)
	s_barrier
.LBB381_6:
	v_cmp_gt_u32_e64 s0, s31, v0
	s_and_not1_b32 vcc_lo, exec_lo, s1
	s_cbranch_vccnz .LBB381_24
; %bb.7:
                                        ; implicit-def: $vgpr1_vgpr2_vgpr3_vgpr4_vgpr5_vgpr6_vgpr7_vgpr8_vgpr9_vgpr10_vgpr11_vgpr12_vgpr13_vgpr14_vgpr15_vgpr16
	s_delay_alu instid0(VALU_DEP_1)
	s_and_saveexec_b32 s1, s0
	s_cbranch_execz .LBB381_15
; %bb.8:
	global_load_b64 v[1:2], v55, s[4:5]
	s_or_b32 exec_lo, exec_lo, s1
	s_delay_alu instid0(SALU_CYCLE_1)
	s_mov_b32 s0, exec_lo
	v_cmpx_gt_u32_e64 s31, v39
	s_cbranch_execnz .LBB381_16
.LBB381_9:
	s_or_b32 exec_lo, exec_lo, s0
	s_delay_alu instid0(SALU_CYCLE_1)
	s_mov_b32 s0, exec_lo
	v_cmpx_gt_u32_e64 s31, v38
	s_cbranch_execz .LBB381_17
.LBB381_10:
	v_lshlrev_b32_e32 v5, 3, v38
	global_load_b64 v[5:6], v5, s[4:5]
	s_or_b32 exec_lo, exec_lo, s0
	s_delay_alu instid0(SALU_CYCLE_1)
	s_mov_b32 s0, exec_lo
	v_cmpx_gt_u32_e64 s31, v40
	s_cbranch_execnz .LBB381_18
.LBB381_11:
	s_or_b32 exec_lo, exec_lo, s0
	s_delay_alu instid0(SALU_CYCLE_1)
	s_mov_b32 s0, exec_lo
	v_cmpx_gt_u32_e64 s31, v37
	s_cbranch_execz .LBB381_19
.LBB381_12:
	v_lshlrev_b32_e32 v9, 3, v37
	global_load_b64 v[9:10], v9, s[4:5]
	s_or_b32 exec_lo, exec_lo, s0
	s_delay_alu instid0(SALU_CYCLE_1)
	s_mov_b32 s0, exec_lo
	v_cmpx_gt_u32_e64 s31, v35
	s_cbranch_execnz .LBB381_20
.LBB381_13:
	s_or_b32 exec_lo, exec_lo, s0
	s_delay_alu instid0(SALU_CYCLE_1)
	s_mov_b32 s0, exec_lo
	v_cmpx_gt_u32_e64 s31, v33
	s_cbranch_execz .LBB381_21
.LBB381_14:
	v_lshlrev_b32_e32 v13, 3, v33
	global_load_b64 v[13:14], v13, s[4:5]
	s_or_b32 exec_lo, exec_lo, s0
	s_delay_alu instid0(SALU_CYCLE_1)
	s_mov_b32 s0, exec_lo
	v_cmpx_gt_u32_e64 s31, v36
	s_cbranch_execnz .LBB381_22
	s_branch .LBB381_23
.LBB381_15:
	s_or_b32 exec_lo, exec_lo, s1
	s_delay_alu instid0(SALU_CYCLE_1)
	s_mov_b32 s0, exec_lo
	v_cmpx_gt_u32_e64 s31, v39
	s_cbranch_execz .LBB381_9
.LBB381_16:
	v_lshlrev_b32_e32 v3, 3, v39
	global_load_b64 v[3:4], v3, s[4:5]
	s_or_b32 exec_lo, exec_lo, s0
	s_delay_alu instid0(SALU_CYCLE_1)
	s_mov_b32 s0, exec_lo
	v_cmpx_gt_u32_e64 s31, v38
	s_cbranch_execnz .LBB381_10
.LBB381_17:
	s_or_b32 exec_lo, exec_lo, s0
	s_delay_alu instid0(SALU_CYCLE_1)
	s_mov_b32 s0, exec_lo
	v_cmpx_gt_u32_e64 s31, v40
	s_cbranch_execz .LBB381_11
.LBB381_18:
	v_lshlrev_b32_e32 v7, 3, v40
	global_load_b64 v[7:8], v7, s[4:5]
	s_or_b32 exec_lo, exec_lo, s0
	s_delay_alu instid0(SALU_CYCLE_1)
	s_mov_b32 s0, exec_lo
	v_cmpx_gt_u32_e64 s31, v37
	s_cbranch_execnz .LBB381_12
.LBB381_19:
	s_or_b32 exec_lo, exec_lo, s0
	s_delay_alu instid0(SALU_CYCLE_1)
	s_mov_b32 s0, exec_lo
	v_cmpx_gt_u32_e64 s31, v35
	s_cbranch_execz .LBB381_13
.LBB381_20:
	v_lshlrev_b32_e32 v11, 3, v35
	global_load_b64 v[11:12], v11, s[4:5]
	s_or_b32 exec_lo, exec_lo, s0
	s_delay_alu instid0(SALU_CYCLE_1)
	s_mov_b32 s0, exec_lo
	v_cmpx_gt_u32_e64 s31, v33
	s_cbranch_execnz .LBB381_14
.LBB381_21:
	s_or_b32 exec_lo, exec_lo, s0
	s_delay_alu instid0(SALU_CYCLE_1)
	s_mov_b32 s0, exec_lo
	v_cmpx_gt_u32_e64 s31, v36
	s_cbranch_execz .LBB381_23
.LBB381_22:
	v_lshlrev_b32_e32 v15, 3, v36
	global_load_b64 v[15:16], v15, s[4:5]
.LBB381_23:
	s_or_b32 exec_lo, exec_lo, s0
	v_lshrrev_b32_e32 v17, 2, v39
	v_lshrrev_b32_e32 v18, 2, v38
	;; [unrolled: 1-line block ×4, first 2 shown]
	v_and_b32_e32 v19, 0x78, v34
	v_lshrrev_b32_e32 v22, 2, v35
	v_lshrrev_b32_e32 v23, 2, v33
	;; [unrolled: 1-line block ×3, first 2 shown]
	v_and_b32_e32 v17, 0xf8, v17
	v_and_b32_e32 v18, 0x1f8, v18
	;; [unrolled: 1-line block ×4, first 2 shown]
	v_add_nc_u32_e32 v19, v19, v55
	v_and_b32_e32 v22, 0x3f8, v22
	v_and_b32_e32 v23, 0x3f8, v23
	;; [unrolled: 1-line block ×3, first 2 shown]
	v_add_nc_u32_e32 v17, v17, v55
	v_add_nc_u32_e32 v18, v18, v55
	v_add_nc_u32_e32 v20, v20, v55
	v_add_nc_u32_e32 v21, v21, v55
	v_add_nc_u32_e32 v22, v22, v55
	v_add_nc_u32_e32 v23, v23, v55
	v_add_nc_u32_e32 v24, v24, v55
	s_waitcnt vmcnt(0)
	ds_store_b64 v19, v[1:2]
	ds_store_b64 v17, v[3:4] offset:4096
	ds_store_b64 v18, v[5:6] offset:8192
	;; [unrolled: 1-line block ×7, first 2 shown]
	s_waitcnt lgkmcnt(0)
	s_barrier
.LBB381_24:
	v_add_lshl_u32 v41, v34, v55, 3
	buffer_gl0_inv
	s_add_u32 s0, s24, s26
	s_addc_u32 s1, s25, s27
	s_add_u32 s0, s0, s12
	ds_load_2addr_b64 v[29:32], v41 offset1:1
	ds_load_2addr_b64 v[25:28], v41 offset0:2 offset1:3
	ds_load_2addr_b64 v[21:24], v41 offset0:4 offset1:5
	;; [unrolled: 1-line block ×3, first 2 shown]
	s_addc_u32 s1, s1, s13
	s_and_b32 vcc_lo, exec_lo, s29
	s_mov_b32 s12, -1
	s_waitcnt lgkmcnt(0)
	s_barrier
	buffer_gl0_inv
	s_cbranch_vccz .LBB381_26
; %bb.25:
	v_add_co_u32 v9, s12, s0, v55
	s_delay_alu instid0(VALU_DEP_1)
	v_add_co_ci_u32_e64 v10, null, s1, 0, s12
	global_load_b64 v[1:2], v55, s[0:1]
	v_add_co_u32 v3, vcc_lo, v9, 0x2000
	v_add_co_ci_u32_e32 v4, vcc_lo, 0, v10, vcc_lo
	v_add_co_u32 v5, vcc_lo, v9, 0x4000
	v_add_co_ci_u32_e32 v6, vcc_lo, 0, v10, vcc_lo
	;; [unrolled: 2-line block ×4, first 2 shown]
	s_clause 0x6
	global_load_b64 v[11:12], v[3:4], off offset:-4096
	global_load_b64 v[3:4], v[3:4], off
	global_load_b64 v[13:14], v[5:6], off offset:-4096
	global_load_b64 v[5:6], v[5:6], off
	;; [unrolled: 2-line block ×3, first 2 shown]
	global_load_b64 v[9:10], v[9:10], off
	v_lshrrev_b32_e32 v43, 2, v39
	v_lshrrev_b32_e32 v44, 2, v38
	v_lshrrev_b32_e32 v45, 2, v40
	v_lshrrev_b32_e32 v46, 2, v37
	v_and_b32_e32 v42, 0x78, v34
	v_lshrrev_b32_e32 v47, 2, v35
	v_lshrrev_b32_e32 v48, 2, v33
	;; [unrolled: 1-line block ×3, first 2 shown]
	v_and_b32_e32 v43, 0xf8, v43
	v_and_b32_e32 v44, 0x178, v44
	;; [unrolled: 1-line block ×4, first 2 shown]
	v_add_nc_u32_e32 v42, v42, v55
	v_and_b32_e32 v47, 0x2f8, v47
	v_and_b32_e32 v48, 0x378, v48
	;; [unrolled: 1-line block ×3, first 2 shown]
	v_add_nc_u32_e32 v43, v43, v55
	v_add_nc_u32_e32 v44, v44, v55
	;; [unrolled: 1-line block ×4, first 2 shown]
	s_mov_b32 s12, 0
	v_add_nc_u32_e32 v47, v47, v55
	v_add_nc_u32_e32 v48, v48, v55
	;; [unrolled: 1-line block ×3, first 2 shown]
	s_waitcnt vmcnt(7)
	ds_store_b64 v42, v[1:2]
	s_waitcnt vmcnt(6)
	ds_store_b64 v43, v[11:12] offset:4096
	s_waitcnt vmcnt(5)
	ds_store_b64 v44, v[3:4] offset:8192
	;; [unrolled: 2-line block ×7, first 2 shown]
	s_waitcnt lgkmcnt(0)
	s_barrier
.LBB381_26:
	s_and_not1_b32 vcc_lo, exec_lo, s12
	s_cbranch_vccnz .LBB381_44
; %bb.27:
	s_mov_b32 s12, exec_lo
                                        ; implicit-def: $vgpr1_vgpr2
	v_cmpx_gt_u32_e64 s31, v0
	s_cbranch_execz .LBB381_29
; %bb.28:
	global_load_b64 v[1:2], v55, s[0:1]
.LBB381_29:
	s_or_b32 exec_lo, exec_lo, s12
	s_delay_alu instid0(SALU_CYCLE_1)
	s_mov_b32 s12, exec_lo
                                        ; implicit-def: $vgpr3_vgpr4
	v_cmpx_gt_u32_e64 s31, v39
	s_cbranch_execz .LBB381_31
; %bb.30:
	v_lshlrev_b32_e32 v3, 3, v39
	global_load_b64 v[3:4], v3, s[0:1]
.LBB381_31:
	s_or_b32 exec_lo, exec_lo, s12
	s_delay_alu instid0(SALU_CYCLE_1)
	s_mov_b32 s12, exec_lo
                                        ; implicit-def: $vgpr5_vgpr6
	v_cmpx_gt_u32_e64 s31, v38
	s_cbranch_execz .LBB381_33
; %bb.32:
	v_lshlrev_b32_e32 v5, 3, v38
	global_load_b64 v[5:6], v5, s[0:1]
.LBB381_33:
	s_or_b32 exec_lo, exec_lo, s12
	s_delay_alu instid0(SALU_CYCLE_1)
	s_mov_b32 s12, exec_lo
                                        ; implicit-def: $vgpr7_vgpr8
	v_cmpx_gt_u32_e64 s31, v40
	s_cbranch_execz .LBB381_35
; %bb.34:
	v_lshlrev_b32_e32 v7, 3, v40
	global_load_b64 v[7:8], v7, s[0:1]
.LBB381_35:
	s_or_b32 exec_lo, exec_lo, s12
	s_delay_alu instid0(SALU_CYCLE_1)
	s_mov_b32 s12, exec_lo
                                        ; implicit-def: $vgpr9_vgpr10
	v_cmpx_gt_u32_e64 s31, v37
	s_cbranch_execz .LBB381_37
; %bb.36:
	v_lshlrev_b32_e32 v9, 3, v37
	global_load_b64 v[9:10], v9, s[0:1]
.LBB381_37:
	s_or_b32 exec_lo, exec_lo, s12
	s_delay_alu instid0(SALU_CYCLE_1)
	s_mov_b32 s12, exec_lo
                                        ; implicit-def: $vgpr11_vgpr12
	v_cmpx_gt_u32_e64 s31, v35
	s_cbranch_execz .LBB381_39
; %bb.38:
	v_lshlrev_b32_e32 v11, 3, v35
	global_load_b64 v[11:12], v11, s[0:1]
.LBB381_39:
	s_or_b32 exec_lo, exec_lo, s12
	s_delay_alu instid0(SALU_CYCLE_1)
	s_mov_b32 s12, exec_lo
                                        ; implicit-def: $vgpr13_vgpr14
	v_cmpx_gt_u32_e64 s31, v33
	s_cbranch_execz .LBB381_41
; %bb.40:
	v_lshlrev_b32_e32 v13, 3, v33
	global_load_b64 v[13:14], v13, s[0:1]
.LBB381_41:
	s_or_b32 exec_lo, exec_lo, s12
	s_delay_alu instid0(SALU_CYCLE_1)
	s_mov_b32 s12, exec_lo
                                        ; implicit-def: $vgpr15_vgpr16
	v_cmpx_gt_u32_e64 s31, v36
	s_cbranch_execz .LBB381_43
; %bb.42:
	v_lshlrev_b32_e32 v15, 3, v36
	global_load_b64 v[15:16], v15, s[0:1]
.LBB381_43:
	s_or_b32 exec_lo, exec_lo, s12
	v_lshrrev_b32_e32 v39, 2, v39
	v_lshrrev_b32_e32 v38, 2, v38
	;; [unrolled: 1-line block ×4, first 2 shown]
	v_and_b32_e32 v34, 0x78, v34
	v_lshrrev_b32_e32 v35, 2, v35
	v_lshrrev_b32_e32 v33, 2, v33
	;; [unrolled: 1-line block ×3, first 2 shown]
	v_and_b32_e32 v39, 0xf8, v39
	v_and_b32_e32 v38, 0x1f8, v38
	;; [unrolled: 1-line block ×4, first 2 shown]
	v_add_nc_u32_e32 v34, v34, v55
	v_and_b32_e32 v35, 0x3f8, v35
	v_and_b32_e32 v33, 0x3f8, v33
	;; [unrolled: 1-line block ×3, first 2 shown]
	v_add_nc_u32_e32 v39, v39, v55
	v_add_nc_u32_e32 v38, v38, v55
	;; [unrolled: 1-line block ×7, first 2 shown]
	s_waitcnt vmcnt(0)
	ds_store_b64 v34, v[1:2]
	ds_store_b64 v39, v[3:4] offset:4096
	ds_store_b64 v38, v[5:6] offset:8192
	;; [unrolled: 1-line block ×7, first 2 shown]
	s_waitcnt lgkmcnt(0)
	s_barrier
.LBB381_44:
	buffer_gl0_inv
	ds_load_2addr_b64 v[13:16], v41 offset1:1
	ds_load_2addr_b64 v[9:12], v41 offset0:2 offset1:3
	ds_load_2addr_b64 v[5:8], v41 offset0:4 offset1:5
	;; [unrolled: 1-line block ×3, first 2 shown]
	s_cmp_lg_u32 s30, 0
	s_waitcnt lgkmcnt(0)
	s_cselect_b32 s12, -1, 0
	s_cmp_lg_u64 s[6:7], 0
	v_cmp_gt_i64_e64 s7, s[14:15], 0
	s_cselect_b32 s0, -1, 0
	s_mov_b32 s6, 0
	s_or_b32 s0, s0, s12
	s_barrier
	s_and_b32 vcc_lo, exec_lo, s0
	buffer_gl0_inv
	s_cbranch_vccz .LBB381_53
; %bb.45:
	v_mov_b32_e32 v33, 0
	v_cndmask_b32_e64 v44, 0, 1, s7
	s_and_b32 vcc_lo, exec_lo, s29
	ds_store_b64 v55, v[19:20]
	global_load_b64 v[35:36], v33, s[4:5] offset:-8
	v_cmp_ne_u32_e64 s0, 1, v44
	s_cbranch_vccz .LBB381_54
; %bb.46:
	v_mul_lo_u32 v37, v18, s14
	v_mul_lo_u32 v38, v17, s15
	v_mad_u64_u32 v[33:34], null, v17, s14, 0
	s_and_b32 vcc_lo, exec_lo, s0
	s_mov_b32 s13, 0
	s_delay_alu instid0(VALU_DEP_1)
	v_add3_u32 v34, v34, v38, v37
	s_cbranch_vccnz .LBB381_57
; %bb.47:
	v_mad_u64_u32 v[37:38], null, v19, s14, s[20:21]
	v_mul_lo_u32 v41, v19, s15
	v_mul_lo_u32 v42, v20, s14
	v_add_co_u32 v39, vcc_lo, s20, v33
	v_add_co_ci_u32_e32 v40, vcc_lo, s21, v34, vcc_lo
	s_mov_b32 s13, -1
	s_mov_b32 s24, exec_lo
	s_delay_alu instid0(VALU_DEP_3)
	v_add3_u32 v38, v42, v38, v41
	s_clause 0x1
	global_load_u8 v41, v[39:40], off
	global_load_u8 v42, v[37:38], off
	s_waitcnt vmcnt(0)
	v_cmpx_eq_u16_e64 v41, v42
	s_cbranch_execz .LBB381_56
; %bb.48:
	s_mov_b64 s[0:1], 1
	s_mov_b32 s13, 0
                                        ; implicit-def: $sgpr25
	s_set_inst_prefetch_distance 0x1
	s_branch .LBB381_51
	.p2align	6
.LBB381_49:                             ;   in Loop: Header=BB381_51 Depth=1
	v_add_co_u32 v41, vcc_lo, v39, s0
	v_add_co_ci_u32_e32 v42, vcc_lo, s1, v40, vcc_lo
	v_add_co_u32 v45, vcc_lo, v37, s0
	v_add_co_ci_u32_e32 v46, vcc_lo, s1, v38, vcc_lo
	s_add_u32 s4, s0, 1
	s_clause 0x1
	global_load_u8 v41, v[41:42], off
	global_load_u8 v42, v[45:46], off
	s_addc_u32 s5, s1, 0
	s_and_not1_b32 s25, s25, exec_lo
	s_waitcnt vmcnt(0)
	v_cmp_ne_u16_e32 vcc_lo, v41, v42
	s_and_b32 s26, vcc_lo, exec_lo
	s_delay_alu instid0(SALU_CYCLE_1)
	s_or_b32 s25, s25, s26
.LBB381_50:                             ;   in Loop: Header=BB381_51 Depth=1
	v_dual_mov_b32 v42, s1 :: v_dual_mov_b32 v41, s0
	s_and_b32 s26, exec_lo, s25
	s_mov_b64 s[0:1], s[4:5]
	s_or_b32 s13, s26, s13
	s_delay_alu instid0(SALU_CYCLE_1)
	s_and_not1_b32 exec_lo, exec_lo, s13
	s_cbranch_execz .LBB381_55
.LBB381_51:                             ; =>This Inner Loop Header: Depth=1
	s_or_b32 s25, s25, exec_lo
	s_cmp_eq_u64 s[14:15], s[0:1]
	s_cbranch_scc0 .LBB381_49
; %bb.52:                               ;   in Loop: Header=BB381_51 Depth=1
	s_mov_b64 s[0:1], s[14:15]
                                        ; implicit-def: $sgpr4_sgpr5
	s_branch .LBB381_50
.LBB381_53:
                                        ; implicit-def: $sgpr0
                                        ; implicit-def: $vgpr34
	s_branch .LBB381_215
.LBB381_54:
                                        ; implicit-def: $sgpr0
                                        ; implicit-def: $vgpr34
	s_cbranch_execnz .LBB381_123
	s_branch .LBB381_214
.LBB381_55:
	s_set_inst_prefetch_distance 0x2
	s_or_b32 exec_lo, exec_lo, s13
	v_cmp_gt_i64_e32 vcc_lo, s[14:15], v[41:42]
	s_or_not1_b32 s13, vcc_lo, exec_lo
.LBB381_56:
	s_or_b32 exec_lo, exec_lo, s24
.LBB381_57:
	v_mul_lo_u32 v39, v24, s14
	v_mul_lo_u32 v40, v23, s15
	v_mad_u64_u32 v[37:38], null, v23, s14, 0
	s_and_not1_b32 vcc_lo, exec_lo, s7
	s_delay_alu instid0(VALU_DEP_1)
	v_add3_u32 v42, v38, v40, v39
	s_cbranch_vccnz .LBB381_66
; %bb.58:
	s_delay_alu instid0(VALU_DEP_2) | instskip(NEXT) | instid1(VALU_DEP_2)
	v_add_co_u32 v38, vcc_lo, s20, v37
	v_add_co_ci_u32_e32 v39, vcc_lo, s21, v42, vcc_lo
	v_add_co_u32 v33, vcc_lo, s20, v33
	v_add_co_ci_u32_e32 v34, vcc_lo, s21, v34, vcc_lo
	s_mov_b32 s6, -1
	s_clause 0x1
	global_load_u8 v40, v[38:39], off
	global_load_u8 v41, v[33:34], off
	s_mov_b32 s24, exec_lo
	s_waitcnt vmcnt(0)
	v_cmpx_eq_u16_e64 v40, v41
	s_cbranch_execz .LBB381_65
; %bb.59:
	s_mov_b64 s[0:1], 1
	s_mov_b32 s6, 0
                                        ; implicit-def: $sgpr25
	s_set_inst_prefetch_distance 0x1
	s_branch .LBB381_62
	.p2align	6
.LBB381_60:                             ;   in Loop: Header=BB381_62 Depth=1
	v_add_co_u32 v40, vcc_lo, v38, s0
	v_add_co_ci_u32_e32 v41, vcc_lo, s1, v39, vcc_lo
	v_add_co_u32 v45, vcc_lo, v33, s0
	v_add_co_ci_u32_e32 v46, vcc_lo, s1, v34, vcc_lo
	s_add_u32 s4, s0, 1
	s_clause 0x1
	global_load_u8 v40, v[40:41], off
	global_load_u8 v41, v[45:46], off
	s_addc_u32 s5, s1, 0
	s_and_not1_b32 s25, s25, exec_lo
	s_waitcnt vmcnt(0)
	v_cmp_ne_u16_e32 vcc_lo, v40, v41
	s_and_b32 s26, vcc_lo, exec_lo
	s_delay_alu instid0(SALU_CYCLE_1)
	s_or_b32 s25, s25, s26
.LBB381_61:                             ;   in Loop: Header=BB381_62 Depth=1
	v_dual_mov_b32 v41, s1 :: v_dual_mov_b32 v40, s0
	s_and_b32 s26, exec_lo, s25
	s_mov_b64 s[0:1], s[4:5]
	s_or_b32 s6, s26, s6
	s_delay_alu instid0(SALU_CYCLE_1)
	s_and_not1_b32 exec_lo, exec_lo, s6
	s_cbranch_execz .LBB381_64
.LBB381_62:                             ; =>This Inner Loop Header: Depth=1
	s_or_b32 s25, s25, exec_lo
	s_cmp_eq_u64 s[14:15], s[0:1]
	s_cbranch_scc0 .LBB381_60
; %bb.63:                               ;   in Loop: Header=BB381_62 Depth=1
	s_mov_b64 s[0:1], s[14:15]
                                        ; implicit-def: $sgpr4_sgpr5
	s_branch .LBB381_61
.LBB381_64:
	s_set_inst_prefetch_distance 0x2
	s_or_b32 exec_lo, exec_lo, s6
	v_cmp_gt_i64_e32 vcc_lo, s[14:15], v[40:41]
	s_or_not1_b32 s6, vcc_lo, exec_lo
.LBB381_65:
	s_or_b32 exec_lo, exec_lo, s24
.LBB381_66:
	v_mul_lo_u32 v38, v22, s14
	v_mul_lo_u32 v39, v21, s15
	v_mad_u64_u32 v[33:34], null, v21, s14, 0
	s_mov_b32 s24, 0
	s_and_not1_b32 vcc_lo, exec_lo, s7
	s_mov_b32 s25, 0
	s_delay_alu instid0(VALU_DEP_1)
	v_add3_u32 v34, v34, v39, v38
	s_cbranch_vccnz .LBB381_75
; %bb.67:
	s_delay_alu instid0(VALU_DEP_2) | instskip(NEXT) | instid1(VALU_DEP_2)
	v_add_co_u32 v38, vcc_lo, s20, v33
	v_add_co_ci_u32_e32 v39, vcc_lo, s21, v34, vcc_lo
	v_add_co_u32 v40, vcc_lo, s20, v37
	v_add_co_ci_u32_e32 v41, vcc_lo, s21, v42, vcc_lo
	s_mov_b32 s25, -1
	s_clause 0x1
	global_load_u8 v37, v[38:39], off
	global_load_u8 v42, v[40:41], off
	s_mov_b32 s26, exec_lo
	s_waitcnt vmcnt(0)
	v_cmpx_eq_u16_e64 v37, v42
	s_cbranch_execz .LBB381_74
; %bb.68:
	s_mov_b64 s[0:1], 1
	s_mov_b32 s25, 0
                                        ; implicit-def: $sgpr27
	s_set_inst_prefetch_distance 0x1
	s_branch .LBB381_71
	.p2align	6
.LBB381_69:                             ;   in Loop: Header=BB381_71 Depth=1
	v_add_co_u32 v42, vcc_lo, v38, s0
	v_add_co_ci_u32_e32 v43, vcc_lo, s1, v39, vcc_lo
	v_add_co_u32 v45, vcc_lo, v40, s0
	v_add_co_ci_u32_e32 v46, vcc_lo, s1, v41, vcc_lo
	s_add_u32 s4, s0, 1
	s_clause 0x1
	global_load_u8 v37, v[42:43], off
	global_load_u8 v42, v[45:46], off
	s_addc_u32 s5, s1, 0
	s_and_not1_b32 s27, s27, exec_lo
	s_waitcnt vmcnt(0)
	v_cmp_ne_u16_e32 vcc_lo, v37, v42
	s_and_b32 s34, vcc_lo, exec_lo
	s_delay_alu instid0(SALU_CYCLE_1)
	s_or_b32 s27, s27, s34
.LBB381_70:                             ;   in Loop: Header=BB381_71 Depth=1
	v_dual_mov_b32 v43, s1 :: v_dual_mov_b32 v42, s0
	s_and_b32 s34, exec_lo, s27
	s_mov_b64 s[0:1], s[4:5]
	s_or_b32 s25, s34, s25
	s_delay_alu instid0(SALU_CYCLE_1)
	s_and_not1_b32 exec_lo, exec_lo, s25
	s_cbranch_execz .LBB381_73
.LBB381_71:                             ; =>This Inner Loop Header: Depth=1
	s_or_b32 s27, s27, exec_lo
	s_cmp_eq_u64 s[14:15], s[0:1]
	s_cbranch_scc0 .LBB381_69
; %bb.72:                               ;   in Loop: Header=BB381_71 Depth=1
	s_mov_b64 s[0:1], s[14:15]
                                        ; implicit-def: $sgpr4_sgpr5
	s_branch .LBB381_70
.LBB381_73:
	s_set_inst_prefetch_distance 0x2
	s_or_b32 exec_lo, exec_lo, s25
	v_cmp_gt_i64_e32 vcc_lo, s[14:15], v[42:43]
	s_or_not1_b32 s25, vcc_lo, exec_lo
.LBB381_74:
	s_or_b32 exec_lo, exec_lo, s26
.LBB381_75:
	v_mul_lo_u32 v39, v28, s14
	v_mul_lo_u32 v40, v27, s15
	v_mad_u64_u32 v[37:38], null, v27, s14, 0
	s_and_not1_b32 vcc_lo, exec_lo, s7
	s_delay_alu instid0(VALU_DEP_1)
	v_add3_u32 v42, v38, v40, v39
	s_cbranch_vccnz .LBB381_84
; %bb.76:
	s_delay_alu instid0(VALU_DEP_2) | instskip(NEXT) | instid1(VALU_DEP_2)
	v_add_co_u32 v38, vcc_lo, s20, v37
	v_add_co_ci_u32_e32 v39, vcc_lo, s21, v42, vcc_lo
	v_add_co_u32 v33, vcc_lo, s20, v33
	v_add_co_ci_u32_e32 v34, vcc_lo, s21, v34, vcc_lo
	s_mov_b32 s24, -1
	s_clause 0x1
	global_load_u8 v40, v[38:39], off
	global_load_u8 v41, v[33:34], off
	s_mov_b32 s26, exec_lo
	s_waitcnt vmcnt(0)
	v_cmpx_eq_u16_e64 v40, v41
	s_cbranch_execz .LBB381_83
; %bb.77:
	s_mov_b64 s[0:1], 1
	s_mov_b32 s24, 0
                                        ; implicit-def: $sgpr27
	s_set_inst_prefetch_distance 0x1
	s_branch .LBB381_80
	.p2align	6
.LBB381_78:                             ;   in Loop: Header=BB381_80 Depth=1
	v_add_co_u32 v40, vcc_lo, v38, s0
	v_add_co_ci_u32_e32 v41, vcc_lo, s1, v39, vcc_lo
	v_add_co_u32 v45, vcc_lo, v33, s0
	v_add_co_ci_u32_e32 v46, vcc_lo, s1, v34, vcc_lo
	s_add_u32 s4, s0, 1
	s_clause 0x1
	global_load_u8 v40, v[40:41], off
	global_load_u8 v41, v[45:46], off
	s_addc_u32 s5, s1, 0
	s_and_not1_b32 s27, s27, exec_lo
	s_waitcnt vmcnt(0)
	v_cmp_ne_u16_e32 vcc_lo, v40, v41
	s_and_b32 s34, vcc_lo, exec_lo
	s_delay_alu instid0(SALU_CYCLE_1)
	s_or_b32 s27, s27, s34
.LBB381_79:                             ;   in Loop: Header=BB381_80 Depth=1
	v_dual_mov_b32 v41, s1 :: v_dual_mov_b32 v40, s0
	s_and_b32 s34, exec_lo, s27
	s_mov_b64 s[0:1], s[4:5]
	s_or_b32 s24, s34, s24
	s_delay_alu instid0(SALU_CYCLE_1)
	s_and_not1_b32 exec_lo, exec_lo, s24
	s_cbranch_execz .LBB381_82
.LBB381_80:                             ; =>This Inner Loop Header: Depth=1
	s_or_b32 s27, s27, exec_lo
	s_cmp_eq_u64 s[14:15], s[0:1]
	s_cbranch_scc0 .LBB381_78
; %bb.81:                               ;   in Loop: Header=BB381_80 Depth=1
	s_mov_b64 s[0:1], s[14:15]
                                        ; implicit-def: $sgpr4_sgpr5
	s_branch .LBB381_79
.LBB381_82:
	s_set_inst_prefetch_distance 0x2
	s_or_b32 exec_lo, exec_lo, s24
	v_cmp_gt_i64_e32 vcc_lo, s[14:15], v[40:41]
	s_or_not1_b32 s24, vcc_lo, exec_lo
.LBB381_83:
	s_or_b32 exec_lo, exec_lo, s26
.LBB381_84:
	v_mul_lo_u32 v38, v26, s14
	v_mul_lo_u32 v39, v25, s15
	v_mad_u64_u32 v[33:34], null, v25, s14, 0
	s_mov_b32 s26, 0
	s_and_not1_b32 vcc_lo, exec_lo, s7
	s_mov_b32 s27, 0
	s_delay_alu instid0(VALU_DEP_1)
	v_add3_u32 v34, v34, v39, v38
	s_cbranch_vccnz .LBB381_93
; %bb.85:
	s_delay_alu instid0(VALU_DEP_2) | instskip(NEXT) | instid1(VALU_DEP_2)
	v_add_co_u32 v38, vcc_lo, s20, v33
	v_add_co_ci_u32_e32 v39, vcc_lo, s21, v34, vcc_lo
	v_add_co_u32 v40, vcc_lo, s20, v37
	v_add_co_ci_u32_e32 v41, vcc_lo, s21, v42, vcc_lo
	s_mov_b32 s27, -1
	s_clause 0x1
	global_load_u8 v37, v[38:39], off
	global_load_u8 v42, v[40:41], off
	s_mov_b32 s34, exec_lo
	s_waitcnt vmcnt(0)
	v_cmpx_eq_u16_e64 v37, v42
	s_cbranch_execz .LBB381_92
; %bb.86:
	s_mov_b64 s[0:1], 1
	s_mov_b32 s27, 0
                                        ; implicit-def: $sgpr35
	s_set_inst_prefetch_distance 0x1
	s_branch .LBB381_89
	.p2align	6
.LBB381_87:                             ;   in Loop: Header=BB381_89 Depth=1
	v_add_co_u32 v42, vcc_lo, v38, s0
	v_add_co_ci_u32_e32 v43, vcc_lo, s1, v39, vcc_lo
	v_add_co_u32 v45, vcc_lo, v40, s0
	v_add_co_ci_u32_e32 v46, vcc_lo, s1, v41, vcc_lo
	s_add_u32 s4, s0, 1
	s_clause 0x1
	global_load_u8 v37, v[42:43], off
	global_load_u8 v42, v[45:46], off
	s_addc_u32 s5, s1, 0
	s_and_not1_b32 s35, s35, exec_lo
	s_waitcnt vmcnt(0)
	v_cmp_ne_u16_e32 vcc_lo, v37, v42
	s_and_b32 s36, vcc_lo, exec_lo
	s_delay_alu instid0(SALU_CYCLE_1)
	s_or_b32 s35, s35, s36
.LBB381_88:                             ;   in Loop: Header=BB381_89 Depth=1
	v_dual_mov_b32 v43, s1 :: v_dual_mov_b32 v42, s0
	s_and_b32 s36, exec_lo, s35
	s_mov_b64 s[0:1], s[4:5]
	s_or_b32 s27, s36, s27
	s_delay_alu instid0(SALU_CYCLE_1)
	s_and_not1_b32 exec_lo, exec_lo, s27
	s_cbranch_execz .LBB381_91
.LBB381_89:                             ; =>This Inner Loop Header: Depth=1
	s_or_b32 s35, s35, exec_lo
	s_cmp_eq_u64 s[14:15], s[0:1]
	s_cbranch_scc0 .LBB381_87
; %bb.90:                               ;   in Loop: Header=BB381_89 Depth=1
	s_mov_b64 s[0:1], s[14:15]
                                        ; implicit-def: $sgpr4_sgpr5
	s_branch .LBB381_88
.LBB381_91:
	s_set_inst_prefetch_distance 0x2
	s_or_b32 exec_lo, exec_lo, s27
	v_cmp_gt_i64_e32 vcc_lo, s[14:15], v[42:43]
	s_or_not1_b32 s27, vcc_lo, exec_lo
.LBB381_92:
	s_or_b32 exec_lo, exec_lo, s34
.LBB381_93:
	v_mul_lo_u32 v39, v32, s14
	v_mul_lo_u32 v40, v31, s15
	v_mad_u64_u32 v[37:38], null, v31, s14, 0
	s_and_not1_b32 vcc_lo, exec_lo, s7
	s_delay_alu instid0(VALU_DEP_1)
	v_add3_u32 v42, v38, v40, v39
	s_cbranch_vccnz .LBB381_102
; %bb.94:
	s_delay_alu instid0(VALU_DEP_2) | instskip(NEXT) | instid1(VALU_DEP_2)
	v_add_co_u32 v38, vcc_lo, s20, v37
	v_add_co_ci_u32_e32 v39, vcc_lo, s21, v42, vcc_lo
	v_add_co_u32 v33, vcc_lo, s20, v33
	v_add_co_ci_u32_e32 v34, vcc_lo, s21, v34, vcc_lo
	s_mov_b32 s26, -1
	s_clause 0x1
	global_load_u8 v40, v[38:39], off
	global_load_u8 v41, v[33:34], off
	s_mov_b32 s34, exec_lo
	s_waitcnt vmcnt(0)
	v_cmpx_eq_u16_e64 v40, v41
	s_cbranch_execz .LBB381_101
; %bb.95:
	s_mov_b64 s[0:1], 1
	s_mov_b32 s26, 0
                                        ; implicit-def: $sgpr35
	s_set_inst_prefetch_distance 0x1
	s_branch .LBB381_98
	.p2align	6
.LBB381_96:                             ;   in Loop: Header=BB381_98 Depth=1
	v_add_co_u32 v40, vcc_lo, v38, s0
	v_add_co_ci_u32_e32 v41, vcc_lo, s1, v39, vcc_lo
	v_add_co_u32 v45, vcc_lo, v33, s0
	v_add_co_ci_u32_e32 v46, vcc_lo, s1, v34, vcc_lo
	s_add_u32 s4, s0, 1
	s_clause 0x1
	global_load_u8 v40, v[40:41], off
	global_load_u8 v41, v[45:46], off
	s_addc_u32 s5, s1, 0
	s_and_not1_b32 s35, s35, exec_lo
	s_waitcnt vmcnt(0)
	v_cmp_ne_u16_e32 vcc_lo, v40, v41
	s_and_b32 s36, vcc_lo, exec_lo
	s_delay_alu instid0(SALU_CYCLE_1)
	s_or_b32 s35, s35, s36
.LBB381_97:                             ;   in Loop: Header=BB381_98 Depth=1
	v_dual_mov_b32 v41, s1 :: v_dual_mov_b32 v40, s0
	s_and_b32 s36, exec_lo, s35
	s_mov_b64 s[0:1], s[4:5]
	s_or_b32 s26, s36, s26
	s_delay_alu instid0(SALU_CYCLE_1)
	s_and_not1_b32 exec_lo, exec_lo, s26
	s_cbranch_execz .LBB381_100
.LBB381_98:                             ; =>This Inner Loop Header: Depth=1
	s_or_b32 s35, s35, exec_lo
	s_cmp_eq_u64 s[14:15], s[0:1]
	s_cbranch_scc0 .LBB381_96
; %bb.99:                               ;   in Loop: Header=BB381_98 Depth=1
	s_mov_b64 s[0:1], s[14:15]
                                        ; implicit-def: $sgpr4_sgpr5
	s_branch .LBB381_97
.LBB381_100:
	s_set_inst_prefetch_distance 0x2
	s_or_b32 exec_lo, exec_lo, s26
	v_cmp_gt_i64_e32 vcc_lo, s[14:15], v[40:41]
	s_or_not1_b32 s26, vcc_lo, exec_lo
.LBB381_101:
	s_or_b32 exec_lo, exec_lo, s34
.LBB381_102:
	v_mul_lo_u32 v38, v30, s14
	v_mul_lo_u32 v39, v29, s15
	v_mad_u64_u32 v[33:34], null, v29, s14, 0
	s_and_not1_b32 vcc_lo, exec_lo, s7
	s_mov_b32 s0, 0
	s_delay_alu instid0(VALU_DEP_1)
	v_add3_u32 v34, v34, v39, v38
	s_cbranch_vccnz .LBB381_111
; %bb.103:
	s_delay_alu instid0(VALU_DEP_2) | instskip(NEXT) | instid1(VALU_DEP_2)
	v_add_co_u32 v38, vcc_lo, s20, v33
	v_add_co_ci_u32_e32 v39, vcc_lo, s21, v34, vcc_lo
	v_add_co_u32 v40, vcc_lo, s20, v37
	v_add_co_ci_u32_e32 v41, vcc_lo, s21, v42, vcc_lo
	s_mov_b32 s0, -1
	s_clause 0x1
	global_load_u8 v37, v[38:39], off
	global_load_u8 v42, v[40:41], off
	s_mov_b32 s34, exec_lo
	s_waitcnt vmcnt(0)
	v_cmpx_eq_u16_e64 v37, v42
	s_cbranch_execz .LBB381_110
; %bb.104:
	s_mov_b64 s[0:1], 1
	s_mov_b32 s35, 0
                                        ; implicit-def: $sgpr36
	s_set_inst_prefetch_distance 0x1
	s_branch .LBB381_107
	.p2align	6
.LBB381_105:                            ;   in Loop: Header=BB381_107 Depth=1
	v_add_co_u32 v42, vcc_lo, v38, s0
	v_add_co_ci_u32_e32 v43, vcc_lo, s1, v39, vcc_lo
	v_add_co_u32 v45, vcc_lo, v40, s0
	v_add_co_ci_u32_e32 v46, vcc_lo, s1, v41, vcc_lo
	s_add_u32 s4, s0, 1
	s_clause 0x1
	global_load_u8 v37, v[42:43], off
	global_load_u8 v42, v[45:46], off
	s_addc_u32 s5, s1, 0
	s_and_not1_b32 s36, s36, exec_lo
	s_waitcnt vmcnt(0)
	v_cmp_ne_u16_e32 vcc_lo, v37, v42
	s_and_b32 s37, vcc_lo, exec_lo
	s_delay_alu instid0(SALU_CYCLE_1)
	s_or_b32 s36, s36, s37
.LBB381_106:                            ;   in Loop: Header=BB381_107 Depth=1
	v_dual_mov_b32 v43, s1 :: v_dual_mov_b32 v42, s0
	s_and_b32 s37, exec_lo, s36
	s_mov_b64 s[0:1], s[4:5]
	s_or_b32 s35, s37, s35
	s_delay_alu instid0(SALU_CYCLE_1)
	s_and_not1_b32 exec_lo, exec_lo, s35
	s_cbranch_execz .LBB381_109
.LBB381_107:                            ; =>This Inner Loop Header: Depth=1
	s_or_b32 s36, s36, exec_lo
	s_cmp_eq_u64 s[14:15], s[0:1]
	s_cbranch_scc0 .LBB381_105
; %bb.108:                              ;   in Loop: Header=BB381_107 Depth=1
	s_mov_b64 s[0:1], s[14:15]
                                        ; implicit-def: $sgpr4_sgpr5
	s_branch .LBB381_106
.LBB381_109:
	s_set_inst_prefetch_distance 0x2
	s_or_b32 exec_lo, exec_lo, s35
	v_cmp_gt_i64_e32 vcc_lo, s[14:15], v[42:43]
	s_or_not1_b32 s0, vcc_lo, exec_lo
.LBB381_110:
	s_or_b32 exec_lo, exec_lo, s34
.LBB381_111:
	s_waitcnt vmcnt(0)
	v_dual_mov_b32 v40, v36 :: v_dual_mov_b32 v39, v35
	s_waitcnt lgkmcnt(0)
	s_barrier
	buffer_gl0_inv
	s_and_saveexec_b32 s1, s3
	s_cbranch_execz .LBB381_113
; %bb.112:
	v_add_nc_u32_e32 v37, -8, v55
	ds_load_b64 v[39:40], v37
.LBB381_113:
	s_or_b32 exec_lo, exec_lo, s1
	v_cndmask_b32_e64 v38, 0, 1, s27
	v_cndmask_b32_e64 v42, 0, 1, s25
	;; [unrolled: 1-line block ×7, first 2 shown]
	v_lshlrev_b16 v38, 8, v38
	v_lshlrev_b16 v42, 8, v42
	;; [unrolled: 1-line block ×4, first 2 shown]
	s_mov_b32 s6, 0
	v_or_b32_e32 v37, v37, v38
	v_or_b32_e32 v38, v41, v42
	;; [unrolled: 1-line block ×3, first 2 shown]
	v_and_b32_e32 v41, 0xffff, v45
	s_and_not1_b32 vcc_lo, exec_lo, s7
	v_lshlrev_b32_e32 v42, 16, v37
	v_and_b32_e32 v43, 0xffff, v38
	v_lshlrev_b32_e32 v45, 16, v46
	s_mov_b32 s0, 0
	s_cbranch_vccnz .LBB381_122
; %bb.114:
	s_waitcnt lgkmcnt(0)
	v_mad_u64_u32 v[37:38], null, v39, s14, s[20:21]
	v_mul_lo_u32 v39, v39, s15
	v_mul_lo_u32 v40, v40, s14
	v_add_co_u32 v33, vcc_lo, s20, v33
	v_add_co_ci_u32_e32 v34, vcc_lo, s21, v34, vcc_lo
	s_mov_b32 s0, -1
	s_mov_b32 s13, exec_lo
	s_delay_alu instid0(VALU_DEP_3)
	v_add3_u32 v38, v40, v38, v39
	s_clause 0x1
	global_load_u8 v39, v[37:38], off
	global_load_u8 v40, v[33:34], off
	s_waitcnt vmcnt(0)
	v_cmpx_eq_u16_e64 v39, v40
	s_cbranch_execz .LBB381_121
; %bb.115:
	s_mov_b64 s[0:1], 1
	s_mov_b32 s24, 0
                                        ; implicit-def: $sgpr25
	s_set_inst_prefetch_distance 0x1
	s_branch .LBB381_118
	.p2align	6
.LBB381_116:                            ;   in Loop: Header=BB381_118 Depth=1
	v_add_co_u32 v39, vcc_lo, v37, s0
	v_add_co_ci_u32_e32 v40, vcc_lo, s1, v38, vcc_lo
	v_add_co_u32 v46, vcc_lo, v33, s0
	v_add_co_ci_u32_e32 v47, vcc_lo, s1, v34, vcc_lo
	s_add_u32 s4, s0, 1
	s_clause 0x1
	global_load_u8 v39, v[39:40], off
	global_load_u8 v40, v[46:47], off
	s_addc_u32 s5, s1, 0
	s_and_not1_b32 s25, s25, exec_lo
	s_waitcnt vmcnt(0)
	v_cmp_ne_u16_e32 vcc_lo, v39, v40
	s_and_b32 s26, vcc_lo, exec_lo
	s_delay_alu instid0(SALU_CYCLE_1)
	s_or_b32 s25, s25, s26
.LBB381_117:                            ;   in Loop: Header=BB381_118 Depth=1
	v_dual_mov_b32 v40, s1 :: v_dual_mov_b32 v39, s0
	s_and_b32 s26, exec_lo, s25
	s_mov_b64 s[0:1], s[4:5]
	s_or_b32 s24, s26, s24
	s_delay_alu instid0(SALU_CYCLE_1)
	s_and_not1_b32 exec_lo, exec_lo, s24
	s_cbranch_execz .LBB381_120
.LBB381_118:                            ; =>This Inner Loop Header: Depth=1
	s_or_b32 s25, s25, exec_lo
	s_cmp_eq_u64 s[14:15], s[0:1]
	s_cbranch_scc0 .LBB381_116
; %bb.119:                              ;   in Loop: Header=BB381_118 Depth=1
	s_mov_b64 s[0:1], s[14:15]
                                        ; implicit-def: $sgpr4_sgpr5
	s_branch .LBB381_117
.LBB381_120:
	s_set_inst_prefetch_distance 0x2
	s_or_b32 exec_lo, exec_lo, s24
	v_cmp_gt_i64_e32 vcc_lo, s[14:15], v[39:40]
	s_or_not1_b32 s0, vcc_lo, exec_lo
.LBB381_121:
	s_or_b32 exec_lo, exec_lo, s13
.LBB381_122:
	v_or_b32_e32 v33, v41, v42
	s_delay_alu instid0(VALU_DEP_2)
	v_or_b32_e32 v34, v43, v45
	s_and_b32 vcc_lo, exec_lo, s6
	s_cbranch_vccz .LBB381_214
.LBB381_123:
	v_or_b32_e32 v33, 7, v55
	s_mov_b32 s6, 0
	s_mov_b32 s13, 0
	s_mov_b32 s24, exec_lo
	s_delay_alu instid0(VALU_DEP_1)
	v_cmpx_gt_u32_e64 s31, v33
	s_cbranch_execz .LBB381_134
; %bb.124:
	s_and_not1_b32 vcc_lo, exec_lo, s7
	s_mov_b32 s0, 0
	s_cbranch_vccnz .LBB381_133
; %bb.125:
	v_mad_u64_u32 v[33:34], null, v17, s14, s[20:21]
	s_waitcnt lgkmcnt(0)
	v_mul_lo_u32 v39, v17, s15
	v_mul_lo_u32 v40, v18, s14
	v_mad_u64_u32 v[37:38], null, v19, s14, s[20:21]
	v_mul_lo_u32 v41, v19, s15
	v_mul_lo_u32 v42, v20, s14
	s_mov_b32 s0, -1
	s_mov_b32 s7, exec_lo
	s_delay_alu instid0(VALU_DEP_4) | instskip(NEXT) | instid1(VALU_DEP_2)
	v_add3_u32 v34, v40, v34, v39
	v_add3_u32 v38, v42, v38, v41
	s_clause 0x1
	global_load_u8 v39, v[33:34], off
	global_load_u8 v40, v[37:38], off
	s_waitcnt vmcnt(0)
	v_cmpx_eq_u16_e64 v39, v40
	s_cbranch_execz .LBB381_132
; %bb.126:
	s_mov_b64 s[0:1], 1
                                        ; implicit-def: $sgpr25
	s_set_inst_prefetch_distance 0x1
	s_branch .LBB381_129
	.p2align	6
.LBB381_127:                            ;   in Loop: Header=BB381_129 Depth=1
	v_add_co_u32 v39, vcc_lo, v33, s0
	v_add_co_ci_u32_e32 v40, vcc_lo, s1, v34, vcc_lo
	v_add_co_u32 v41, vcc_lo, v37, s0
	v_add_co_ci_u32_e32 v42, vcc_lo, s1, v38, vcc_lo
	s_add_u32 s4, s0, 1
	s_clause 0x1
	global_load_u8 v39, v[39:40], off
	global_load_u8 v40, v[41:42], off
	s_addc_u32 s5, s1, 0
	s_and_not1_b32 s25, s25, exec_lo
	s_waitcnt vmcnt(0)
	v_cmp_ne_u16_e32 vcc_lo, v39, v40
	s_and_b32 s26, vcc_lo, exec_lo
	s_delay_alu instid0(SALU_CYCLE_1)
	s_or_b32 s25, s25, s26
.LBB381_128:                            ;   in Loop: Header=BB381_129 Depth=1
	v_dual_mov_b32 v40, s1 :: v_dual_mov_b32 v39, s0
	s_and_b32 s26, exec_lo, s25
	s_mov_b64 s[0:1], s[4:5]
	s_or_b32 s13, s26, s13
	s_delay_alu instid0(SALU_CYCLE_1)
	s_and_not1_b32 exec_lo, exec_lo, s13
	s_cbranch_execz .LBB381_131
.LBB381_129:                            ; =>This Inner Loop Header: Depth=1
	s_or_b32 s25, s25, exec_lo
	s_cmp_eq_u64 s[14:15], s[0:1]
	s_cbranch_scc0 .LBB381_127
; %bb.130:                              ;   in Loop: Header=BB381_129 Depth=1
	s_mov_b64 s[0:1], s[14:15]
                                        ; implicit-def: $sgpr4_sgpr5
	s_branch .LBB381_128
.LBB381_131:
	s_set_inst_prefetch_distance 0x2
	s_or_b32 exec_lo, exec_lo, s13
	v_cmp_gt_i64_e32 vcc_lo, s[14:15], v[39:40]
	s_or_not1_b32 s0, vcc_lo, exec_lo
.LBB381_132:
	s_or_b32 exec_lo, exec_lo, s7
.LBB381_133:
	s_delay_alu instid0(SALU_CYCLE_1)
	s_and_b32 s13, s0, exec_lo
.LBB381_134:
	s_or_b32 exec_lo, exec_lo, s24
	v_or_b32_e32 v33, 6, v55
	s_mov_b32 s7, exec_lo
	s_delay_alu instid0(VALU_DEP_1)
	v_cmpx_gt_u32_e64 s31, v33
	s_cbranch_execz .LBB381_145
; %bb.135:
	v_cmp_ne_u32_e32 vcc_lo, 1, v44
	s_mov_b32 s0, 0
	s_cbranch_vccnz .LBB381_144
; %bb.136:
	v_mad_u64_u32 v[33:34], null, v23, s14, s[20:21]
	s_waitcnt lgkmcnt(0)
	v_mul_lo_u32 v39, v23, s15
	v_mul_lo_u32 v40, v24, s14
	v_mad_u64_u32 v[37:38], null, v17, s14, s[20:21]
	v_mul_lo_u32 v41, v17, s15
	v_mul_lo_u32 v42, v18, s14
	s_mov_b32 s0, -1
	s_mov_b32 s6, exec_lo
	s_delay_alu instid0(VALU_DEP_4) | instskip(NEXT) | instid1(VALU_DEP_2)
	v_add3_u32 v34, v40, v34, v39
	v_add3_u32 v38, v42, v38, v41
	s_clause 0x1
	global_load_u8 v39, v[33:34], off
	global_load_u8 v40, v[37:38], off
	s_waitcnt vmcnt(0)
	v_cmpx_eq_u16_e64 v39, v40
	s_cbranch_execz .LBB381_143
; %bb.137:
	s_mov_b64 s[0:1], 1
	s_mov_b32 s24, 0
                                        ; implicit-def: $sgpr25
	s_set_inst_prefetch_distance 0x1
	s_branch .LBB381_140
	.p2align	6
.LBB381_138:                            ;   in Loop: Header=BB381_140 Depth=1
	v_add_co_u32 v39, vcc_lo, v33, s0
	v_add_co_ci_u32_e32 v40, vcc_lo, s1, v34, vcc_lo
	v_add_co_u32 v41, vcc_lo, v37, s0
	v_add_co_ci_u32_e32 v42, vcc_lo, s1, v38, vcc_lo
	s_add_u32 s4, s0, 1
	s_clause 0x1
	global_load_u8 v39, v[39:40], off
	global_load_u8 v40, v[41:42], off
	s_addc_u32 s5, s1, 0
	s_and_not1_b32 s25, s25, exec_lo
	s_waitcnt vmcnt(0)
	v_cmp_ne_u16_e32 vcc_lo, v39, v40
	s_and_b32 s26, vcc_lo, exec_lo
	s_delay_alu instid0(SALU_CYCLE_1)
	s_or_b32 s25, s25, s26
.LBB381_139:                            ;   in Loop: Header=BB381_140 Depth=1
	v_dual_mov_b32 v40, s1 :: v_dual_mov_b32 v39, s0
	s_and_b32 s26, exec_lo, s25
	s_mov_b64 s[0:1], s[4:5]
	s_or_b32 s24, s26, s24
	s_delay_alu instid0(SALU_CYCLE_1)
	s_and_not1_b32 exec_lo, exec_lo, s24
	s_cbranch_execz .LBB381_142
.LBB381_140:                            ; =>This Inner Loop Header: Depth=1
	s_or_b32 s25, s25, exec_lo
	s_cmp_eq_u64 s[14:15], s[0:1]
	s_cbranch_scc0 .LBB381_138
; %bb.141:                              ;   in Loop: Header=BB381_140 Depth=1
	s_mov_b64 s[0:1], s[14:15]
                                        ; implicit-def: $sgpr4_sgpr5
	s_branch .LBB381_139
.LBB381_142:
	s_set_inst_prefetch_distance 0x2
	s_or_b32 exec_lo, exec_lo, s24
	v_cmp_gt_i64_e32 vcc_lo, s[14:15], v[39:40]
	s_or_not1_b32 s0, vcc_lo, exec_lo
.LBB381_143:
	s_or_b32 exec_lo, exec_lo, s6
.LBB381_144:
	s_delay_alu instid0(SALU_CYCLE_1)
	s_and_b32 s6, s0, exec_lo
.LBB381_145:
	s_or_b32 exec_lo, exec_lo, s7
	v_or_b32_e32 v33, 5, v55
	s_mov_b32 s24, 0
	s_mov_b32 s7, 0
	s_mov_b32 s25, exec_lo
	s_delay_alu instid0(VALU_DEP_1)
	v_cmpx_gt_u32_e64 s31, v33
	s_cbranch_execz .LBB381_156
; %bb.146:
	v_cmp_ne_u32_e32 vcc_lo, 1, v44
	s_mov_b32 s0, 0
	s_cbranch_vccnz .LBB381_155
; %bb.147:
	v_mad_u64_u32 v[33:34], null, v21, s14, s[20:21]
	s_waitcnt lgkmcnt(0)
	v_mul_lo_u32 v39, v21, s15
	v_mul_lo_u32 v40, v22, s14
	v_mad_u64_u32 v[37:38], null, v23, s14, s[20:21]
	v_mul_lo_u32 v41, v23, s15
	v_mul_lo_u32 v42, v24, s14
	s_mov_b32 s0, -1
	s_mov_b32 s7, exec_lo
	s_delay_alu instid0(VALU_DEP_4) | instskip(NEXT) | instid1(VALU_DEP_2)
	v_add3_u32 v34, v40, v34, v39
	v_add3_u32 v38, v42, v38, v41
	s_clause 0x1
	global_load_u8 v39, v[33:34], off
	global_load_u8 v40, v[37:38], off
	s_waitcnt vmcnt(0)
	v_cmpx_eq_u16_e64 v39, v40
	s_cbranch_execz .LBB381_154
; %bb.148:
	s_mov_b64 s[0:1], 1
	s_mov_b32 s26, 0
                                        ; implicit-def: $sgpr27
	s_set_inst_prefetch_distance 0x1
	s_branch .LBB381_151
	.p2align	6
.LBB381_149:                            ;   in Loop: Header=BB381_151 Depth=1
	v_add_co_u32 v39, vcc_lo, v33, s0
	v_add_co_ci_u32_e32 v40, vcc_lo, s1, v34, vcc_lo
	v_add_co_u32 v41, vcc_lo, v37, s0
	v_add_co_ci_u32_e32 v42, vcc_lo, s1, v38, vcc_lo
	s_add_u32 s4, s0, 1
	s_clause 0x1
	global_load_u8 v39, v[39:40], off
	global_load_u8 v40, v[41:42], off
	s_addc_u32 s5, s1, 0
	s_and_not1_b32 s27, s27, exec_lo
	s_waitcnt vmcnt(0)
	v_cmp_ne_u16_e32 vcc_lo, v39, v40
	s_and_b32 s34, vcc_lo, exec_lo
	s_delay_alu instid0(SALU_CYCLE_1)
	s_or_b32 s27, s27, s34
.LBB381_150:                            ;   in Loop: Header=BB381_151 Depth=1
	v_dual_mov_b32 v40, s1 :: v_dual_mov_b32 v39, s0
	s_and_b32 s34, exec_lo, s27
	s_mov_b64 s[0:1], s[4:5]
	s_or_b32 s26, s34, s26
	s_delay_alu instid0(SALU_CYCLE_1)
	s_and_not1_b32 exec_lo, exec_lo, s26
	s_cbranch_execz .LBB381_153
.LBB381_151:                            ; =>This Inner Loop Header: Depth=1
	s_or_b32 s27, s27, exec_lo
	s_cmp_eq_u64 s[14:15], s[0:1]
	s_cbranch_scc0 .LBB381_149
; %bb.152:                              ;   in Loop: Header=BB381_151 Depth=1
	s_mov_b64 s[0:1], s[14:15]
                                        ; implicit-def: $sgpr4_sgpr5
	s_branch .LBB381_150
.LBB381_153:
	s_set_inst_prefetch_distance 0x2
	s_or_b32 exec_lo, exec_lo, s26
	v_cmp_gt_i64_e32 vcc_lo, s[14:15], v[39:40]
	s_or_not1_b32 s0, vcc_lo, exec_lo
.LBB381_154:
	s_or_b32 exec_lo, exec_lo, s7
.LBB381_155:
	s_delay_alu instid0(SALU_CYCLE_1)
	s_and_b32 s7, s0, exec_lo
.LBB381_156:
	s_or_b32 exec_lo, exec_lo, s25
	v_or_b32_e32 v33, 4, v55
	s_mov_b32 s25, exec_lo
	s_delay_alu instid0(VALU_DEP_1)
	v_cmpx_gt_u32_e64 s31, v33
	s_cbranch_execz .LBB381_167
; %bb.157:
	v_cmp_ne_u32_e32 vcc_lo, 1, v44
	s_mov_b32 s0, 0
	s_cbranch_vccnz .LBB381_166
; %bb.158:
	v_mad_u64_u32 v[33:34], null, v27, s14, s[20:21]
	s_waitcnt lgkmcnt(0)
	v_mul_lo_u32 v39, v27, s15
	v_mul_lo_u32 v40, v28, s14
	v_mad_u64_u32 v[37:38], null, v21, s14, s[20:21]
	v_mul_lo_u32 v41, v21, s15
	v_mul_lo_u32 v42, v22, s14
	s_mov_b32 s0, -1
	s_mov_b32 s24, exec_lo
	s_delay_alu instid0(VALU_DEP_4) | instskip(NEXT) | instid1(VALU_DEP_2)
	v_add3_u32 v34, v40, v34, v39
	v_add3_u32 v38, v42, v38, v41
	s_clause 0x1
	global_load_u8 v39, v[33:34], off
	global_load_u8 v40, v[37:38], off
	s_waitcnt vmcnt(0)
	v_cmpx_eq_u16_e64 v39, v40
	s_cbranch_execz .LBB381_165
; %bb.159:
	s_mov_b64 s[0:1], 1
	s_mov_b32 s26, 0
                                        ; implicit-def: $sgpr27
	s_set_inst_prefetch_distance 0x1
	s_branch .LBB381_162
	.p2align	6
.LBB381_160:                            ;   in Loop: Header=BB381_162 Depth=1
	v_add_co_u32 v39, vcc_lo, v33, s0
	v_add_co_ci_u32_e32 v40, vcc_lo, s1, v34, vcc_lo
	v_add_co_u32 v41, vcc_lo, v37, s0
	v_add_co_ci_u32_e32 v42, vcc_lo, s1, v38, vcc_lo
	s_add_u32 s4, s0, 1
	s_clause 0x1
	global_load_u8 v39, v[39:40], off
	global_load_u8 v40, v[41:42], off
	s_addc_u32 s5, s1, 0
	s_and_not1_b32 s27, s27, exec_lo
	s_waitcnt vmcnt(0)
	v_cmp_ne_u16_e32 vcc_lo, v39, v40
	s_and_b32 s34, vcc_lo, exec_lo
	s_delay_alu instid0(SALU_CYCLE_1)
	s_or_b32 s27, s27, s34
.LBB381_161:                            ;   in Loop: Header=BB381_162 Depth=1
	v_dual_mov_b32 v40, s1 :: v_dual_mov_b32 v39, s0
	s_and_b32 s34, exec_lo, s27
	s_mov_b64 s[0:1], s[4:5]
	s_or_b32 s26, s34, s26
	s_delay_alu instid0(SALU_CYCLE_1)
	s_and_not1_b32 exec_lo, exec_lo, s26
	s_cbranch_execz .LBB381_164
.LBB381_162:                            ; =>This Inner Loop Header: Depth=1
	s_or_b32 s27, s27, exec_lo
	s_cmp_eq_u64 s[14:15], s[0:1]
	s_cbranch_scc0 .LBB381_160
; %bb.163:                              ;   in Loop: Header=BB381_162 Depth=1
	s_mov_b64 s[0:1], s[14:15]
                                        ; implicit-def: $sgpr4_sgpr5
	s_branch .LBB381_161
.LBB381_164:
	s_set_inst_prefetch_distance 0x2
	s_or_b32 exec_lo, exec_lo, s26
	v_cmp_gt_i64_e32 vcc_lo, s[14:15], v[39:40]
	s_or_not1_b32 s0, vcc_lo, exec_lo
.LBB381_165:
	s_or_b32 exec_lo, exec_lo, s24
.LBB381_166:
	s_delay_alu instid0(SALU_CYCLE_1)
	s_and_b32 s24, s0, exec_lo
.LBB381_167:
	s_or_b32 exec_lo, exec_lo, s25
	v_or_b32_e32 v33, 3, v55
	s_mov_b32 s26, 0
	s_mov_b32 s25, 0
	s_mov_b32 s27, exec_lo
	s_delay_alu instid0(VALU_DEP_1)
	v_cmpx_gt_u32_e64 s31, v33
	s_cbranch_execz .LBB381_178
; %bb.168:
	v_cmp_ne_u32_e32 vcc_lo, 1, v44
	s_mov_b32 s0, 0
	s_cbranch_vccnz .LBB381_177
; %bb.169:
	v_mad_u64_u32 v[33:34], null, v25, s14, s[20:21]
	s_waitcnt lgkmcnt(0)
	v_mul_lo_u32 v39, v25, s15
	v_mul_lo_u32 v40, v26, s14
	v_mad_u64_u32 v[37:38], null, v27, s14, s[20:21]
	v_mul_lo_u32 v41, v27, s15
	v_mul_lo_u32 v42, v28, s14
	s_mov_b32 s0, -1
	s_mov_b32 s25, exec_lo
	s_delay_alu instid0(VALU_DEP_4) | instskip(NEXT) | instid1(VALU_DEP_2)
	v_add3_u32 v34, v40, v34, v39
	v_add3_u32 v38, v42, v38, v41
	s_clause 0x1
	global_load_u8 v39, v[33:34], off
	global_load_u8 v40, v[37:38], off
	s_waitcnt vmcnt(0)
	v_cmpx_eq_u16_e64 v39, v40
	s_cbranch_execz .LBB381_176
; %bb.170:
	s_mov_b64 s[0:1], 1
	s_mov_b32 s34, 0
                                        ; implicit-def: $sgpr35
	s_set_inst_prefetch_distance 0x1
	s_branch .LBB381_173
	.p2align	6
.LBB381_171:                            ;   in Loop: Header=BB381_173 Depth=1
	v_add_co_u32 v39, vcc_lo, v33, s0
	v_add_co_ci_u32_e32 v40, vcc_lo, s1, v34, vcc_lo
	v_add_co_u32 v41, vcc_lo, v37, s0
	v_add_co_ci_u32_e32 v42, vcc_lo, s1, v38, vcc_lo
	s_add_u32 s4, s0, 1
	s_clause 0x1
	global_load_u8 v39, v[39:40], off
	global_load_u8 v40, v[41:42], off
	s_addc_u32 s5, s1, 0
	s_and_not1_b32 s35, s35, exec_lo
	s_waitcnt vmcnt(0)
	v_cmp_ne_u16_e32 vcc_lo, v39, v40
	s_and_b32 s36, vcc_lo, exec_lo
	s_delay_alu instid0(SALU_CYCLE_1)
	s_or_b32 s35, s35, s36
.LBB381_172:                            ;   in Loop: Header=BB381_173 Depth=1
	v_dual_mov_b32 v40, s1 :: v_dual_mov_b32 v39, s0
	s_and_b32 s36, exec_lo, s35
	s_mov_b64 s[0:1], s[4:5]
	s_or_b32 s34, s36, s34
	s_delay_alu instid0(SALU_CYCLE_1)
	s_and_not1_b32 exec_lo, exec_lo, s34
	s_cbranch_execz .LBB381_175
.LBB381_173:                            ; =>This Inner Loop Header: Depth=1
	s_or_b32 s35, s35, exec_lo
	s_cmp_eq_u64 s[14:15], s[0:1]
	s_cbranch_scc0 .LBB381_171
; %bb.174:                              ;   in Loop: Header=BB381_173 Depth=1
	s_mov_b64 s[0:1], s[14:15]
                                        ; implicit-def: $sgpr4_sgpr5
	s_branch .LBB381_172
.LBB381_175:
	s_set_inst_prefetch_distance 0x2
	s_or_b32 exec_lo, exec_lo, s34
	v_cmp_gt_i64_e32 vcc_lo, s[14:15], v[39:40]
	s_or_not1_b32 s0, vcc_lo, exec_lo
.LBB381_176:
	s_or_b32 exec_lo, exec_lo, s25
.LBB381_177:
	s_delay_alu instid0(SALU_CYCLE_1)
	s_and_b32 s25, s0, exec_lo
.LBB381_178:
	s_or_b32 exec_lo, exec_lo, s27
	v_or_b32_e32 v33, 2, v55
	s_mov_b32 s27, exec_lo
	s_delay_alu instid0(VALU_DEP_1)
	v_cmpx_gt_u32_e64 s31, v33
	s_cbranch_execz .LBB381_189
; %bb.179:
	v_cmp_ne_u32_e32 vcc_lo, 1, v44
	s_mov_b32 s0, 0
	s_cbranch_vccnz .LBB381_188
; %bb.180:
	v_mad_u64_u32 v[33:34], null, v31, s14, s[20:21]
	s_waitcnt lgkmcnt(0)
	v_mul_lo_u32 v39, v31, s15
	v_mul_lo_u32 v40, v32, s14
	v_mad_u64_u32 v[37:38], null, v25, s14, s[20:21]
	v_mul_lo_u32 v41, v25, s15
	v_mul_lo_u32 v42, v26, s14
	s_mov_b32 s0, -1
	s_mov_b32 s26, exec_lo
	s_delay_alu instid0(VALU_DEP_4) | instskip(NEXT) | instid1(VALU_DEP_2)
	v_add3_u32 v34, v40, v34, v39
	v_add3_u32 v38, v42, v38, v41
	s_clause 0x1
	global_load_u8 v39, v[33:34], off
	global_load_u8 v40, v[37:38], off
	s_waitcnt vmcnt(0)
	v_cmpx_eq_u16_e64 v39, v40
	s_cbranch_execz .LBB381_187
; %bb.181:
	s_mov_b64 s[0:1], 1
	s_mov_b32 s34, 0
                                        ; implicit-def: $sgpr35
	s_set_inst_prefetch_distance 0x1
	s_branch .LBB381_184
	.p2align	6
.LBB381_182:                            ;   in Loop: Header=BB381_184 Depth=1
	v_add_co_u32 v39, vcc_lo, v33, s0
	v_add_co_ci_u32_e32 v40, vcc_lo, s1, v34, vcc_lo
	v_add_co_u32 v41, vcc_lo, v37, s0
	v_add_co_ci_u32_e32 v42, vcc_lo, s1, v38, vcc_lo
	s_add_u32 s4, s0, 1
	s_clause 0x1
	global_load_u8 v39, v[39:40], off
	global_load_u8 v40, v[41:42], off
	s_addc_u32 s5, s1, 0
	s_and_not1_b32 s35, s35, exec_lo
	s_waitcnt vmcnt(0)
	v_cmp_ne_u16_e32 vcc_lo, v39, v40
	s_and_b32 s36, vcc_lo, exec_lo
	s_delay_alu instid0(SALU_CYCLE_1)
	s_or_b32 s35, s35, s36
.LBB381_183:                            ;   in Loop: Header=BB381_184 Depth=1
	v_dual_mov_b32 v40, s1 :: v_dual_mov_b32 v39, s0
	s_and_b32 s36, exec_lo, s35
	s_mov_b64 s[0:1], s[4:5]
	s_or_b32 s34, s36, s34
	s_delay_alu instid0(SALU_CYCLE_1)
	s_and_not1_b32 exec_lo, exec_lo, s34
	s_cbranch_execz .LBB381_186
.LBB381_184:                            ; =>This Inner Loop Header: Depth=1
	s_or_b32 s35, s35, exec_lo
	s_cmp_eq_u64 s[14:15], s[0:1]
	s_cbranch_scc0 .LBB381_182
; %bb.185:                              ;   in Loop: Header=BB381_184 Depth=1
	s_mov_b64 s[0:1], s[14:15]
                                        ; implicit-def: $sgpr4_sgpr5
	s_branch .LBB381_183
.LBB381_186:
	s_set_inst_prefetch_distance 0x2
	s_or_b32 exec_lo, exec_lo, s34
	v_cmp_gt_i64_e32 vcc_lo, s[14:15], v[39:40]
	s_or_not1_b32 s0, vcc_lo, exec_lo
.LBB381_187:
	s_or_b32 exec_lo, exec_lo, s26
.LBB381_188:
	s_delay_alu instid0(SALU_CYCLE_1)
	s_and_b32 s26, s0, exec_lo
.LBB381_189:
	s_or_b32 exec_lo, exec_lo, s27
	v_or_b32_e32 v33, 1, v55
	s_mov_b32 s0, 0
	s_mov_b32 s27, exec_lo
	s_delay_alu instid0(VALU_DEP_1)
	v_cmpx_gt_u32_e64 s31, v33
	s_cbranch_execz .LBB381_200
; %bb.190:
	v_cmp_ne_u32_e32 vcc_lo, 1, v44
	s_cbranch_vccnz .LBB381_199
; %bb.191:
	v_mad_u64_u32 v[33:34], null, v29, s14, s[20:21]
	s_waitcnt lgkmcnt(0)
	v_mul_lo_u32 v39, v29, s15
	v_mul_lo_u32 v40, v30, s14
	v_mad_u64_u32 v[37:38], null, v31, s14, s[20:21]
	v_mul_lo_u32 v41, v31, s15
	v_mul_lo_u32 v42, v32, s14
	s_mov_b32 s0, -1
	s_mov_b32 s34, exec_lo
	s_delay_alu instid0(VALU_DEP_4) | instskip(NEXT) | instid1(VALU_DEP_2)
	v_add3_u32 v34, v40, v34, v39
	v_add3_u32 v38, v42, v38, v41
	s_clause 0x1
	global_load_u8 v39, v[33:34], off
	global_load_u8 v40, v[37:38], off
	s_waitcnt vmcnt(0)
	v_cmpx_eq_u16_e64 v39, v40
	s_cbranch_execz .LBB381_198
; %bb.192:
	s_mov_b64 s[0:1], 1
	s_mov_b32 s35, 0
                                        ; implicit-def: $sgpr36
	s_set_inst_prefetch_distance 0x1
	s_branch .LBB381_195
	.p2align	6
.LBB381_193:                            ;   in Loop: Header=BB381_195 Depth=1
	v_add_co_u32 v39, vcc_lo, v33, s0
	v_add_co_ci_u32_e32 v40, vcc_lo, s1, v34, vcc_lo
	v_add_co_u32 v41, vcc_lo, v37, s0
	v_add_co_ci_u32_e32 v42, vcc_lo, s1, v38, vcc_lo
	s_add_u32 s4, s0, 1
	s_clause 0x1
	global_load_u8 v39, v[39:40], off
	global_load_u8 v40, v[41:42], off
	s_addc_u32 s5, s1, 0
	s_and_not1_b32 s36, s36, exec_lo
	s_waitcnt vmcnt(0)
	v_cmp_ne_u16_e32 vcc_lo, v39, v40
	s_and_b32 s37, vcc_lo, exec_lo
	s_delay_alu instid0(SALU_CYCLE_1)
	s_or_b32 s36, s36, s37
.LBB381_194:                            ;   in Loop: Header=BB381_195 Depth=1
	v_dual_mov_b32 v40, s1 :: v_dual_mov_b32 v39, s0
	s_and_b32 s37, exec_lo, s36
	s_mov_b64 s[0:1], s[4:5]
	s_or_b32 s35, s37, s35
	s_delay_alu instid0(SALU_CYCLE_1)
	s_and_not1_b32 exec_lo, exec_lo, s35
	s_cbranch_execz .LBB381_197
.LBB381_195:                            ; =>This Inner Loop Header: Depth=1
	s_or_b32 s36, s36, exec_lo
	s_cmp_eq_u64 s[14:15], s[0:1]
	s_cbranch_scc0 .LBB381_193
; %bb.196:                              ;   in Loop: Header=BB381_195 Depth=1
	s_mov_b64 s[0:1], s[14:15]
                                        ; implicit-def: $sgpr4_sgpr5
	s_branch .LBB381_194
.LBB381_197:
	s_set_inst_prefetch_distance 0x2
	s_or_b32 exec_lo, exec_lo, s35
	v_cmp_gt_i64_e32 vcc_lo, s[14:15], v[39:40]
	s_or_not1_b32 s0, vcc_lo, exec_lo
.LBB381_198:
	s_or_b32 exec_lo, exec_lo, s34
.LBB381_199:
	s_delay_alu instid0(SALU_CYCLE_1)
	s_and_b32 s0, s0, exec_lo
.LBB381_200:
	s_or_b32 exec_lo, exec_lo, s27
	s_waitcnt vmcnt(0) lgkmcnt(0)
	s_barrier
	buffer_gl0_inv
	s_and_saveexec_b32 s1, s3
	s_cbranch_execz .LBB381_202
; %bb.201:
	v_add_nc_u32_e32 v33, -8, v55
	ds_load_b64 v[35:36], v33
.LBB381_202:
	s_or_b32 exec_lo, exec_lo, s1
	v_cndmask_b32_e64 v34, 0, 1, s25
	v_cndmask_b32_e64 v38, 0, 1, s7
	;; [unrolled: 1-line block ×7, first 2 shown]
	v_lshlrev_b16 v34, 8, v34
	v_lshlrev_b16 v38, 8, v38
	;; [unrolled: 1-line block ×3, first 2 shown]
	s_mov_b32 s0, 0
	v_lshlrev_b16 v41, 8, v41
	v_or_b32_e32 v33, v33, v34
	v_or_b32_e32 v34, v37, v38
	;; [unrolled: 1-line block ×3, first 2 shown]
	s_mov_b32 s6, exec_lo
	v_and_b32_e32 v39, 0xffff, v41
	v_lshlrev_b32_e32 v40, 16, v33
	v_and_b32_e32 v41, 0xffff, v34
	v_lshlrev_b32_e32 v42, 16, v37
	v_cmpx_gt_u32_e64 s31, v55
	s_cbranch_execz .LBB381_213
; %bb.203:
	v_cmp_ne_u32_e32 vcc_lo, 1, v44
	s_cbranch_vccnz .LBB381_212
; %bb.204:
	s_waitcnt lgkmcnt(0)
	v_mad_u64_u32 v[33:34], null, v35, s14, s[20:21]
	v_mul_lo_u32 v37, v35, s15
	v_mul_lo_u32 v38, v36, s14
	v_mad_u64_u32 v[35:36], null, v29, s14, s[20:21]
	v_mul_lo_u32 v43, v29, s15
	v_mul_lo_u32 v44, v30, s14
	s_mov_b32 s0, -1
	s_mov_b32 s7, exec_lo
	s_delay_alu instid0(VALU_DEP_4) | instskip(NEXT) | instid1(VALU_DEP_2)
	v_add3_u32 v34, v38, v34, v37
	v_add3_u32 v36, v44, v36, v43
	s_clause 0x1
	global_load_u8 v37, v[33:34], off
	global_load_u8 v38, v[35:36], off
	s_waitcnt vmcnt(0)
	v_cmpx_eq_u16_e64 v37, v38
	s_cbranch_execz .LBB381_211
; %bb.205:
	s_mov_b64 s[0:1], 1
	s_mov_b32 s13, 0
                                        ; implicit-def: $sgpr24
	s_set_inst_prefetch_distance 0x1
	s_branch .LBB381_208
	.p2align	6
.LBB381_206:                            ;   in Loop: Header=BB381_208 Depth=1
	v_add_co_u32 v37, vcc_lo, v33, s0
	v_add_co_ci_u32_e32 v38, vcc_lo, s1, v34, vcc_lo
	v_add_co_u32 v43, vcc_lo, v35, s0
	v_add_co_ci_u32_e32 v44, vcc_lo, s1, v36, vcc_lo
	s_add_u32 s4, s0, 1
	s_clause 0x1
	global_load_u8 v37, v[37:38], off
	global_load_u8 v38, v[43:44], off
	s_addc_u32 s5, s1, 0
	s_and_not1_b32 s24, s24, exec_lo
	s_waitcnt vmcnt(0)
	v_cmp_ne_u16_e32 vcc_lo, v37, v38
	s_and_b32 s25, vcc_lo, exec_lo
	s_delay_alu instid0(SALU_CYCLE_1)
	s_or_b32 s24, s24, s25
.LBB381_207:                            ;   in Loop: Header=BB381_208 Depth=1
	v_dual_mov_b32 v38, s1 :: v_dual_mov_b32 v37, s0
	s_and_b32 s25, exec_lo, s24
	s_mov_b64 s[0:1], s[4:5]
	s_or_b32 s13, s25, s13
	s_delay_alu instid0(SALU_CYCLE_1)
	s_and_not1_b32 exec_lo, exec_lo, s13
	s_cbranch_execz .LBB381_210
.LBB381_208:                            ; =>This Inner Loop Header: Depth=1
	s_or_b32 s24, s24, exec_lo
	s_cmp_eq_u64 s[14:15], s[0:1]
	s_cbranch_scc0 .LBB381_206
; %bb.209:                              ;   in Loop: Header=BB381_208 Depth=1
	s_mov_b64 s[0:1], s[14:15]
                                        ; implicit-def: $sgpr4_sgpr5
	s_branch .LBB381_207
.LBB381_210:
	s_set_inst_prefetch_distance 0x2
	s_or_b32 exec_lo, exec_lo, s13
	v_cmp_gt_i64_e32 vcc_lo, s[14:15], v[37:38]
	s_or_not1_b32 s0, vcc_lo, exec_lo
.LBB381_211:
	s_or_b32 exec_lo, exec_lo, s7
.LBB381_212:
	s_delay_alu instid0(SALU_CYCLE_1)
	s_and_b32 s0, s0, exec_lo
.LBB381_213:
	s_or_b32 exec_lo, exec_lo, s6
	v_or_b32_e32 v33, v39, v40
	v_or_b32_e32 v34, v41, v42
.LBB381_214:
	s_mov_b32 s6, -1
	s_cbranch_execnz .LBB381_383
.LBB381_215:
	v_cmp_gt_i64_e64 s7, s[14:15], 0
	s_and_b32 vcc_lo, exec_lo, s29
	ds_store_b64 v55, v[19:20]
	s_cbranch_vccz .LBB381_223
; %bb.216:
	s_waitcnt vmcnt(0) lgkmcnt(1)
	v_mul_lo_u32 v35, v18, s14
	v_mul_lo_u32 v36, v17, s15
	v_mad_u64_u32 v[33:34], null, v17, s14, 0
	s_mov_b32 s13, 0
	s_and_not1_b32 vcc_lo, exec_lo, s7
	s_mov_b32 s24, 0
	s_delay_alu instid0(VALU_DEP_1)
	v_add3_u32 v40, v34, v36, v35
	s_cbranch_vccnz .LBB381_226
; %bb.217:
	v_mad_u64_u32 v[34:35], null, v19, s14, s[20:21]
	v_mul_lo_u32 v38, v19, s15
	v_mul_lo_u32 v39, v20, s14
	v_add_co_u32 v36, vcc_lo, s20, v33
	v_add_co_ci_u32_e32 v37, vcc_lo, s21, v40, vcc_lo
	s_mov_b32 s24, -1
	s_mov_b32 s25, exec_lo
	s_delay_alu instid0(VALU_DEP_3)
	v_add3_u32 v35, v39, v35, v38
	s_clause 0x1
	global_load_u8 v38, v[36:37], off
	global_load_u8 v39, v[34:35], off
	s_waitcnt vmcnt(0)
	v_cmpx_eq_u16_e64 v38, v39
	s_cbranch_execz .LBB381_225
; %bb.218:
	s_mov_b64 s[0:1], 1
	s_mov_b32 s24, 0
                                        ; implicit-def: $sgpr26
	s_set_inst_prefetch_distance 0x1
	s_branch .LBB381_221
	.p2align	6
.LBB381_219:                            ;   in Loop: Header=BB381_221 Depth=1
	v_add_co_u32 v38, vcc_lo, v36, s0
	v_add_co_ci_u32_e32 v39, vcc_lo, s1, v37, vcc_lo
	v_add_co_u32 v41, vcc_lo, v34, s0
	v_add_co_ci_u32_e32 v42, vcc_lo, s1, v35, vcc_lo
	s_add_u32 s4, s0, 1
	s_clause 0x1
	global_load_u8 v38, v[38:39], off
	global_load_u8 v39, v[41:42], off
	s_addc_u32 s5, s1, 0
	s_and_not1_b32 s26, s26, exec_lo
	s_waitcnt vmcnt(0)
	v_cmp_ne_u16_e32 vcc_lo, v38, v39
	s_and_b32 s27, vcc_lo, exec_lo
	s_delay_alu instid0(SALU_CYCLE_1)
	s_or_b32 s26, s26, s27
.LBB381_220:                            ;   in Loop: Header=BB381_221 Depth=1
	v_dual_mov_b32 v39, s1 :: v_dual_mov_b32 v38, s0
	s_and_b32 s27, exec_lo, s26
	s_mov_b64 s[0:1], s[4:5]
	s_or_b32 s24, s27, s24
	s_delay_alu instid0(SALU_CYCLE_1)
	s_and_not1_b32 exec_lo, exec_lo, s24
	s_cbranch_execz .LBB381_224
.LBB381_221:                            ; =>This Inner Loop Header: Depth=1
	s_or_b32 s26, s26, exec_lo
	s_cmp_eq_u64 s[14:15], s[0:1]
	s_cbranch_scc0 .LBB381_219
; %bb.222:                              ;   in Loop: Header=BB381_221 Depth=1
	s_mov_b64 s[0:1], s[14:15]
                                        ; implicit-def: $sgpr4_sgpr5
	s_branch .LBB381_220
.LBB381_223:
                                        ; implicit-def: $sgpr0
                                        ; implicit-def: $vgpr34
	s_cbranch_execnz .LBB381_292
	s_branch .LBB381_383
.LBB381_224:
	s_set_inst_prefetch_distance 0x2
	s_or_b32 exec_lo, exec_lo, s24
	v_cmp_gt_i64_e32 vcc_lo, s[14:15], v[38:39]
	s_or_not1_b32 s24, vcc_lo, exec_lo
.LBB381_225:
	s_or_b32 exec_lo, exec_lo, s25
.LBB381_226:
	v_mul_lo_u32 v36, v24, s14
	v_mul_lo_u32 v37, v23, s15
	v_mad_u64_u32 v[34:35], null, v23, s14, 0
	s_and_not1_b32 vcc_lo, exec_lo, s7
	s_delay_alu instid0(VALU_DEP_1)
	v_add3_u32 v41, v35, v37, v36
	s_cbranch_vccnz .LBB381_235
; %bb.227:
	s_delay_alu instid0(VALU_DEP_2) | instskip(NEXT) | instid1(VALU_DEP_2)
	v_add_co_u32 v35, vcc_lo, s20, v34
	v_add_co_ci_u32_e32 v36, vcc_lo, s21, v41, vcc_lo
	v_add_co_u32 v37, vcc_lo, s20, v33
	v_add_co_ci_u32_e32 v38, vcc_lo, s21, v40, vcc_lo
	s_mov_b32 s13, -1
	s_clause 0x1
	global_load_u8 v33, v[35:36], off
	global_load_u8 v39, v[37:38], off
	s_mov_b32 s25, exec_lo
	s_waitcnt vmcnt(0)
	v_cmpx_eq_u16_e64 v33, v39
	s_cbranch_execz .LBB381_234
; %bb.228:
	s_mov_b64 s[0:1], 1
	s_mov_b32 s13, 0
                                        ; implicit-def: $sgpr26
	s_set_inst_prefetch_distance 0x1
	s_branch .LBB381_231
	.p2align	6
.LBB381_229:                            ;   in Loop: Header=BB381_231 Depth=1
	v_add_co_u32 v39, vcc_lo, v35, s0
	v_add_co_ci_u32_e32 v40, vcc_lo, s1, v36, vcc_lo
	v_add_co_u32 v42, vcc_lo, v37, s0
	v_add_co_ci_u32_e32 v43, vcc_lo, s1, v38, vcc_lo
	s_add_u32 s4, s0, 1
	s_clause 0x1
	global_load_u8 v33, v[39:40], off
	global_load_u8 v39, v[42:43], off
	s_addc_u32 s5, s1, 0
	s_and_not1_b32 s26, s26, exec_lo
	s_waitcnt vmcnt(0)
	v_cmp_ne_u16_e32 vcc_lo, v33, v39
	s_and_b32 s27, vcc_lo, exec_lo
	s_delay_alu instid0(SALU_CYCLE_1)
	s_or_b32 s26, s26, s27
.LBB381_230:                            ;   in Loop: Header=BB381_231 Depth=1
	v_dual_mov_b32 v40, s1 :: v_dual_mov_b32 v39, s0
	s_and_b32 s27, exec_lo, s26
	s_mov_b64 s[0:1], s[4:5]
	s_or_b32 s13, s27, s13
	s_delay_alu instid0(SALU_CYCLE_1)
	s_and_not1_b32 exec_lo, exec_lo, s13
	s_cbranch_execz .LBB381_233
.LBB381_231:                            ; =>This Inner Loop Header: Depth=1
	s_or_b32 s26, s26, exec_lo
	s_cmp_eq_u64 s[14:15], s[0:1]
	s_cbranch_scc0 .LBB381_229
; %bb.232:                              ;   in Loop: Header=BB381_231 Depth=1
	s_mov_b64 s[0:1], s[14:15]
                                        ; implicit-def: $sgpr4_sgpr5
	s_branch .LBB381_230
.LBB381_233:
	s_set_inst_prefetch_distance 0x2
	s_or_b32 exec_lo, exec_lo, s13
	v_cmp_gt_i64_e32 vcc_lo, s[14:15], v[39:40]
	s_or_not1_b32 s13, vcc_lo, exec_lo
.LBB381_234:
	s_or_b32 exec_lo, exec_lo, s25
.LBB381_235:
	v_mul_lo_u32 v33, v22, s14
	v_mul_lo_u32 v37, v21, s15
	v_mad_u64_u32 v[35:36], null, v21, s14, 0
	s_mov_b32 s25, 0
	s_and_not1_b32 vcc_lo, exec_lo, s7
	s_mov_b32 s26, 0
	s_delay_alu instid0(VALU_DEP_1)
	v_add3_u32 v42, v36, v37, v33
	s_cbranch_vccnz .LBB381_244
; %bb.236:
	s_delay_alu instid0(VALU_DEP_2) | instskip(NEXT) | instid1(VALU_DEP_2)
	v_add_co_u32 v36, vcc_lo, s20, v35
	v_add_co_ci_u32_e32 v37, vcc_lo, s21, v42, vcc_lo
	v_add_co_u32 v33, vcc_lo, s20, v34
	v_add_co_ci_u32_e32 v34, vcc_lo, s21, v41, vcc_lo
	s_mov_b32 s26, -1
	s_clause 0x1
	global_load_u8 v38, v[36:37], off
	global_load_u8 v39, v[33:34], off
	s_mov_b32 s27, exec_lo
	s_waitcnt vmcnt(0)
	v_cmpx_eq_u16_e64 v38, v39
	s_cbranch_execz .LBB381_243
; %bb.237:
	s_mov_b64 s[0:1], 1
	s_mov_b32 s26, 0
                                        ; implicit-def: $sgpr34
	s_set_inst_prefetch_distance 0x1
	s_branch .LBB381_240
	.p2align	6
.LBB381_238:                            ;   in Loop: Header=BB381_240 Depth=1
	v_add_co_u32 v38, vcc_lo, v36, s0
	v_add_co_ci_u32_e32 v39, vcc_lo, s1, v37, vcc_lo
	v_add_co_u32 v40, vcc_lo, v33, s0
	v_add_co_ci_u32_e32 v41, vcc_lo, s1, v34, vcc_lo
	s_add_u32 s4, s0, 1
	s_clause 0x1
	global_load_u8 v38, v[38:39], off
	global_load_u8 v39, v[40:41], off
	s_addc_u32 s5, s1, 0
	s_and_not1_b32 s34, s34, exec_lo
	s_waitcnt vmcnt(0)
	v_cmp_ne_u16_e32 vcc_lo, v38, v39
	s_and_b32 s35, vcc_lo, exec_lo
	s_delay_alu instid0(SALU_CYCLE_1)
	s_or_b32 s34, s34, s35
.LBB381_239:                            ;   in Loop: Header=BB381_240 Depth=1
	v_dual_mov_b32 v39, s1 :: v_dual_mov_b32 v38, s0
	s_and_b32 s35, exec_lo, s34
	s_mov_b64 s[0:1], s[4:5]
	s_or_b32 s26, s35, s26
	s_delay_alu instid0(SALU_CYCLE_1)
	s_and_not1_b32 exec_lo, exec_lo, s26
	s_cbranch_execz .LBB381_242
.LBB381_240:                            ; =>This Inner Loop Header: Depth=1
	s_or_b32 s34, s34, exec_lo
	s_cmp_eq_u64 s[14:15], s[0:1]
	s_cbranch_scc0 .LBB381_238
; %bb.241:                              ;   in Loop: Header=BB381_240 Depth=1
	s_mov_b64 s[0:1], s[14:15]
                                        ; implicit-def: $sgpr4_sgpr5
	s_branch .LBB381_239
.LBB381_242:
	s_set_inst_prefetch_distance 0x2
	s_or_b32 exec_lo, exec_lo, s26
	v_cmp_gt_i64_e32 vcc_lo, s[14:15], v[38:39]
	s_or_not1_b32 s26, vcc_lo, exec_lo
.LBB381_243:
	s_or_b32 exec_lo, exec_lo, s27
.LBB381_244:
	v_mul_lo_u32 v36, v28, s14
	v_mul_lo_u32 v37, v27, s15
	v_mad_u64_u32 v[33:34], null, v27, s14, 0
	s_and_not1_b32 vcc_lo, exec_lo, s7
	s_delay_alu instid0(VALU_DEP_1)
	v_add3_u32 v40, v34, v37, v36
	s_cbranch_vccnz .LBB381_253
; %bb.245:
	s_delay_alu instid0(VALU_DEP_2) | instskip(NEXT) | instid1(VALU_DEP_2)
	v_add_co_u32 v36, vcc_lo, s20, v33
	v_add_co_ci_u32_e32 v37, vcc_lo, s21, v40, vcc_lo
	v_add_co_u32 v34, vcc_lo, s20, v35
	v_add_co_ci_u32_e32 v35, vcc_lo, s21, v42, vcc_lo
	s_mov_b32 s25, -1
	s_clause 0x1
	global_load_u8 v38, v[36:37], off
	global_load_u8 v39, v[34:35], off
	s_mov_b32 s27, exec_lo
	s_waitcnt vmcnt(0)
	v_cmpx_eq_u16_e64 v38, v39
	s_cbranch_execz .LBB381_252
; %bb.246:
	s_mov_b64 s[0:1], 1
	s_mov_b32 s25, 0
                                        ; implicit-def: $sgpr34
	s_set_inst_prefetch_distance 0x1
	s_branch .LBB381_249
	.p2align	6
.LBB381_247:                            ;   in Loop: Header=BB381_249 Depth=1
	v_add_co_u32 v38, vcc_lo, v36, s0
	v_add_co_ci_u32_e32 v39, vcc_lo, s1, v37, vcc_lo
	v_add_co_u32 v41, vcc_lo, v34, s0
	v_add_co_ci_u32_e32 v42, vcc_lo, s1, v35, vcc_lo
	s_add_u32 s4, s0, 1
	s_clause 0x1
	global_load_u8 v38, v[38:39], off
	global_load_u8 v39, v[41:42], off
	s_addc_u32 s5, s1, 0
	s_and_not1_b32 s34, s34, exec_lo
	s_waitcnt vmcnt(0)
	v_cmp_ne_u16_e32 vcc_lo, v38, v39
	s_and_b32 s35, vcc_lo, exec_lo
	s_delay_alu instid0(SALU_CYCLE_1)
	s_or_b32 s34, s34, s35
.LBB381_248:                            ;   in Loop: Header=BB381_249 Depth=1
	v_dual_mov_b32 v39, s1 :: v_dual_mov_b32 v38, s0
	s_and_b32 s35, exec_lo, s34
	s_mov_b64 s[0:1], s[4:5]
	s_or_b32 s25, s35, s25
	s_delay_alu instid0(SALU_CYCLE_1)
	s_and_not1_b32 exec_lo, exec_lo, s25
	s_cbranch_execz .LBB381_251
.LBB381_249:                            ; =>This Inner Loop Header: Depth=1
	s_or_b32 s34, s34, exec_lo
	s_cmp_eq_u64 s[14:15], s[0:1]
	s_cbranch_scc0 .LBB381_247
; %bb.250:                              ;   in Loop: Header=BB381_249 Depth=1
	s_mov_b64 s[0:1], s[14:15]
                                        ; implicit-def: $sgpr4_sgpr5
	s_branch .LBB381_248
.LBB381_251:
	s_set_inst_prefetch_distance 0x2
	s_or_b32 exec_lo, exec_lo, s25
	v_cmp_gt_i64_e32 vcc_lo, s[14:15], v[38:39]
	s_or_not1_b32 s25, vcc_lo, exec_lo
.LBB381_252:
	s_or_b32 exec_lo, exec_lo, s27
.LBB381_253:
	v_mul_lo_u32 v34, v26, s14
	v_mul_lo_u32 v37, v25, s15
	v_mad_u64_u32 v[35:36], null, v25, s14, 0
	s_mov_b32 s27, 0
	s_and_not1_b32 vcc_lo, exec_lo, s7
	s_mov_b32 s34, 0
	s_delay_alu instid0(VALU_DEP_1)
	v_add3_u32 v42, v36, v37, v34
	s_cbranch_vccnz .LBB381_262
; %bb.254:
	s_delay_alu instid0(VALU_DEP_2) | instskip(NEXT) | instid1(VALU_DEP_2)
	v_add_co_u32 v36, vcc_lo, s20, v35
	v_add_co_ci_u32_e32 v37, vcc_lo, s21, v42, vcc_lo
	v_add_co_u32 v33, vcc_lo, s20, v33
	v_add_co_ci_u32_e32 v34, vcc_lo, s21, v40, vcc_lo
	s_mov_b32 s34, -1
	s_clause 0x1
	global_load_u8 v38, v[36:37], off
	global_load_u8 v39, v[33:34], off
	s_mov_b32 s35, exec_lo
	s_waitcnt vmcnt(0)
	v_cmpx_eq_u16_e64 v38, v39
	s_cbranch_execz .LBB381_261
; %bb.255:
	s_mov_b64 s[0:1], 1
	s_mov_b32 s34, 0
                                        ; implicit-def: $sgpr36
	s_set_inst_prefetch_distance 0x1
	s_branch .LBB381_258
	.p2align	6
.LBB381_256:                            ;   in Loop: Header=BB381_258 Depth=1
	v_add_co_u32 v38, vcc_lo, v36, s0
	v_add_co_ci_u32_e32 v39, vcc_lo, s1, v37, vcc_lo
	v_add_co_u32 v40, vcc_lo, v33, s0
	v_add_co_ci_u32_e32 v41, vcc_lo, s1, v34, vcc_lo
	s_add_u32 s4, s0, 1
	s_clause 0x1
	global_load_u8 v38, v[38:39], off
	global_load_u8 v39, v[40:41], off
	s_addc_u32 s5, s1, 0
	s_and_not1_b32 s36, s36, exec_lo
	s_waitcnt vmcnt(0)
	v_cmp_ne_u16_e32 vcc_lo, v38, v39
	s_and_b32 s37, vcc_lo, exec_lo
	s_delay_alu instid0(SALU_CYCLE_1)
	s_or_b32 s36, s36, s37
.LBB381_257:                            ;   in Loop: Header=BB381_258 Depth=1
	v_dual_mov_b32 v39, s1 :: v_dual_mov_b32 v38, s0
	s_and_b32 s37, exec_lo, s36
	s_mov_b64 s[0:1], s[4:5]
	s_or_b32 s34, s37, s34
	s_delay_alu instid0(SALU_CYCLE_1)
	s_and_not1_b32 exec_lo, exec_lo, s34
	s_cbranch_execz .LBB381_260
.LBB381_258:                            ; =>This Inner Loop Header: Depth=1
	s_or_b32 s36, s36, exec_lo
	s_cmp_eq_u64 s[14:15], s[0:1]
	s_cbranch_scc0 .LBB381_256
; %bb.259:                              ;   in Loop: Header=BB381_258 Depth=1
	s_mov_b64 s[0:1], s[14:15]
                                        ; implicit-def: $sgpr4_sgpr5
	s_branch .LBB381_257
.LBB381_260:
	s_set_inst_prefetch_distance 0x2
	s_or_b32 exec_lo, exec_lo, s34
	v_cmp_gt_i64_e32 vcc_lo, s[14:15], v[38:39]
	s_or_not1_b32 s34, vcc_lo, exec_lo
.LBB381_261:
	s_or_b32 exec_lo, exec_lo, s35
.LBB381_262:
	v_mul_lo_u32 v36, v32, s14
	v_mul_lo_u32 v37, v31, s15
	v_mad_u64_u32 v[33:34], null, v31, s14, 0
	s_and_not1_b32 vcc_lo, exec_lo, s7
	s_delay_alu instid0(VALU_DEP_1)
	v_add3_u32 v41, v34, v37, v36
	s_cbranch_vccnz .LBB381_271
; %bb.263:
	s_delay_alu instid0(VALU_DEP_2) | instskip(NEXT) | instid1(VALU_DEP_2)
	v_add_co_u32 v36, vcc_lo, s20, v33
	v_add_co_ci_u32_e32 v37, vcc_lo, s21, v41, vcc_lo
	v_add_co_u32 v34, vcc_lo, s20, v35
	v_add_co_ci_u32_e32 v35, vcc_lo, s21, v42, vcc_lo
	s_mov_b32 s27, -1
	s_clause 0x1
	global_load_u8 v38, v[36:37], off
	global_load_u8 v39, v[34:35], off
	s_mov_b32 s35, exec_lo
	s_waitcnt vmcnt(0)
	v_cmpx_eq_u16_e64 v38, v39
	s_cbranch_execz .LBB381_270
; %bb.264:
	s_mov_b64 s[0:1], 1
	s_mov_b32 s27, 0
                                        ; implicit-def: $sgpr36
	s_set_inst_prefetch_distance 0x1
	s_branch .LBB381_267
	.p2align	6
.LBB381_265:                            ;   in Loop: Header=BB381_267 Depth=1
	v_add_co_u32 v38, vcc_lo, v36, s0
	v_add_co_ci_u32_e32 v39, vcc_lo, s1, v37, vcc_lo
	v_add_co_u32 v42, vcc_lo, v34, s0
	v_add_co_ci_u32_e32 v43, vcc_lo, s1, v35, vcc_lo
	s_add_u32 s4, s0, 1
	s_clause 0x1
	global_load_u8 v38, v[38:39], off
	global_load_u8 v39, v[42:43], off
	s_addc_u32 s5, s1, 0
	s_and_not1_b32 s36, s36, exec_lo
	s_waitcnt vmcnt(0)
	v_cmp_ne_u16_e32 vcc_lo, v38, v39
	s_and_b32 s37, vcc_lo, exec_lo
	s_delay_alu instid0(SALU_CYCLE_1)
	s_or_b32 s36, s36, s37
.LBB381_266:                            ;   in Loop: Header=BB381_267 Depth=1
	v_dual_mov_b32 v39, s1 :: v_dual_mov_b32 v38, s0
	s_and_b32 s37, exec_lo, s36
	s_mov_b64 s[0:1], s[4:5]
	s_or_b32 s27, s37, s27
	s_delay_alu instid0(SALU_CYCLE_1)
	s_and_not1_b32 exec_lo, exec_lo, s27
	s_cbranch_execz .LBB381_269
.LBB381_267:                            ; =>This Inner Loop Header: Depth=1
	s_or_b32 s36, s36, exec_lo
	s_cmp_eq_u64 s[14:15], s[0:1]
	s_cbranch_scc0 .LBB381_265
; %bb.268:                              ;   in Loop: Header=BB381_267 Depth=1
	s_mov_b64 s[0:1], s[14:15]
                                        ; implicit-def: $sgpr4_sgpr5
	s_branch .LBB381_266
.LBB381_269:
	s_set_inst_prefetch_distance 0x2
	s_or_b32 exec_lo, exec_lo, s27
	v_cmp_gt_i64_e32 vcc_lo, s[14:15], v[38:39]
	s_or_not1_b32 s27, vcc_lo, exec_lo
.LBB381_270:
	s_or_b32 exec_lo, exec_lo, s35
.LBB381_271:
	v_mul_lo_u32 v34, v30, s14
	v_mul_lo_u32 v37, v29, s15
	v_mad_u64_u32 v[35:36], null, v29, s14, 0
	s_and_not1_b32 vcc_lo, exec_lo, s7
	s_mov_b32 s0, 0
	s_delay_alu instid0(VALU_DEP_1)
	v_add3_u32 v40, v36, v37, v34
	s_cbranch_vccnz .LBB381_280
; %bb.272:
	s_delay_alu instid0(VALU_DEP_2) | instskip(NEXT) | instid1(VALU_DEP_2)
	v_add_co_u32 v36, vcc_lo, s20, v35
	v_add_co_ci_u32_e32 v37, vcc_lo, s21, v40, vcc_lo
	v_add_co_u32 v33, vcc_lo, s20, v33
	v_add_co_ci_u32_e32 v34, vcc_lo, s21, v41, vcc_lo
	s_mov_b32 s0, -1
	s_clause 0x1
	global_load_u8 v38, v[36:37], off
	global_load_u8 v39, v[33:34], off
	s_mov_b32 s35, exec_lo
	s_waitcnt vmcnt(0)
	v_cmpx_eq_u16_e64 v38, v39
	s_cbranch_execz .LBB381_279
; %bb.273:
	s_mov_b64 s[0:1], 1
	s_mov_b32 s36, 0
                                        ; implicit-def: $sgpr37
	s_set_inst_prefetch_distance 0x1
	s_branch .LBB381_276
	.p2align	6
.LBB381_274:                            ;   in Loop: Header=BB381_276 Depth=1
	v_add_co_u32 v38, vcc_lo, v36, s0
	v_add_co_ci_u32_e32 v39, vcc_lo, s1, v37, vcc_lo
	v_add_co_u32 v41, vcc_lo, v33, s0
	v_add_co_ci_u32_e32 v42, vcc_lo, s1, v34, vcc_lo
	s_add_u32 s4, s0, 1
	s_clause 0x1
	global_load_u8 v38, v[38:39], off
	global_load_u8 v39, v[41:42], off
	s_addc_u32 s5, s1, 0
	s_and_not1_b32 s37, s37, exec_lo
	s_waitcnt vmcnt(0)
	v_cmp_ne_u16_e32 vcc_lo, v38, v39
	s_and_b32 s38, vcc_lo, exec_lo
	s_delay_alu instid0(SALU_CYCLE_1)
	s_or_b32 s37, s37, s38
.LBB381_275:                            ;   in Loop: Header=BB381_276 Depth=1
	v_dual_mov_b32 v39, s1 :: v_dual_mov_b32 v38, s0
	s_and_b32 s38, exec_lo, s37
	s_mov_b64 s[0:1], s[4:5]
	s_or_b32 s36, s38, s36
	s_delay_alu instid0(SALU_CYCLE_1)
	s_and_not1_b32 exec_lo, exec_lo, s36
	s_cbranch_execz .LBB381_278
.LBB381_276:                            ; =>This Inner Loop Header: Depth=1
	s_or_b32 s37, s37, exec_lo
	s_cmp_eq_u64 s[14:15], s[0:1]
	s_cbranch_scc0 .LBB381_274
; %bb.277:                              ;   in Loop: Header=BB381_276 Depth=1
	s_mov_b64 s[0:1], s[14:15]
                                        ; implicit-def: $sgpr4_sgpr5
	s_branch .LBB381_275
.LBB381_278:
	s_set_inst_prefetch_distance 0x2
	s_or_b32 exec_lo, exec_lo, s36
	v_cmp_gt_i64_e32 vcc_lo, s[14:15], v[38:39]
	s_or_not1_b32 s0, vcc_lo, exec_lo
.LBB381_279:
	s_or_b32 exec_lo, exec_lo, s35
.LBB381_280:
	v_cndmask_b32_e64 v34, 0, 1, s34
	v_cndmask_b32_e64 v36, 0, 1, s26
	;; [unrolled: 1-line block ×7, first 2 shown]
	v_lshlrev_b16 v36, 8, v36
	v_lshlrev_b16 v37, 8, v37
	;; [unrolled: 1-line block ×4, first 2 shown]
	s_waitcnt lgkmcnt(0)
	v_or_b32_e32 v36, v39, v36
	v_or_b32_e32 v37, v41, v37
	;; [unrolled: 1-line block ×4, first 2 shown]
	s_barrier
	v_and_b32_e32 v34, 0xffff, v36
	v_lshlrev_b32_e32 v36, 16, v37
	v_and_b32_e32 v37, 0xffff, v38
	v_lshlrev_b32_e32 v33, 16, v33
	buffer_gl0_inv
                                        ; implicit-def: $sgpr0
	v_or_b32_e32 v34, v34, v36
	v_or_b32_e32 v33, v37, v33
	s_and_saveexec_b32 s1, s3
	s_delay_alu instid0(SALU_CYCLE_1)
	s_xor_b32 s13, exec_lo, s1
	s_cbranch_execz .LBB381_291
; %bb.281:
	s_and_not1_b32 vcc_lo, exec_lo, s7
	s_mov_b32 s0, 0
	s_cbranch_vccnz .LBB381_290
; %bb.282:
	v_add_nc_u32_e32 v36, -8, v55
	s_mov_b32 s0, -1
	s_mov_b32 s24, exec_lo
	ds_load_b64 v[38:39], v36
	s_waitcnt lgkmcnt(0)
	v_mul_lo_u32 v41, v38, s15
	v_mul_lo_u32 v39, v39, s14
	v_mad_u64_u32 v[36:37], null, v38, s14, s[20:21]
	v_add_co_u32 v38, vcc_lo, s20, v35
	s_delay_alu instid0(VALU_DEP_2)
	v_add3_u32 v37, v39, v37, v41
	v_add_co_ci_u32_e32 v39, vcc_lo, s21, v40, vcc_lo
	s_clause 0x1
	global_load_u8 v35, v[36:37], off
	global_load_u8 v40, v[38:39], off
	s_waitcnt vmcnt(0)
	v_cmpx_eq_u16_e64 v35, v40
	s_cbranch_execz .LBB381_289
; %bb.283:
	s_mov_b64 s[0:1], 1
	s_mov_b32 s25, 0
                                        ; implicit-def: $sgpr26
	s_set_inst_prefetch_distance 0x1
	s_branch .LBB381_286
	.p2align	6
.LBB381_284:                            ;   in Loop: Header=BB381_286 Depth=1
	v_add_co_u32 v40, vcc_lo, v36, s0
	v_add_co_ci_u32_e32 v41, vcc_lo, s1, v37, vcc_lo
	v_add_co_u32 v42, vcc_lo, v38, s0
	v_add_co_ci_u32_e32 v43, vcc_lo, s1, v39, vcc_lo
	s_add_u32 s4, s0, 1
	s_clause 0x1
	global_load_u8 v35, v[40:41], off
	global_load_u8 v40, v[42:43], off
	s_addc_u32 s5, s1, 0
	s_and_not1_b32 s26, s26, exec_lo
	s_waitcnt vmcnt(0)
	v_cmp_ne_u16_e32 vcc_lo, v35, v40
	s_and_b32 s27, vcc_lo, exec_lo
	s_delay_alu instid0(SALU_CYCLE_1)
	s_or_b32 s26, s26, s27
.LBB381_285:                            ;   in Loop: Header=BB381_286 Depth=1
	v_dual_mov_b32 v41, s1 :: v_dual_mov_b32 v40, s0
	s_and_b32 s27, exec_lo, s26
	s_mov_b64 s[0:1], s[4:5]
	s_or_b32 s25, s27, s25
	s_delay_alu instid0(SALU_CYCLE_1)
	s_and_not1_b32 exec_lo, exec_lo, s25
	s_cbranch_execz .LBB381_288
.LBB381_286:                            ; =>This Inner Loop Header: Depth=1
	s_or_b32 s26, s26, exec_lo
	s_cmp_eq_u64 s[14:15], s[0:1]
	s_cbranch_scc0 .LBB381_284
; %bb.287:                              ;   in Loop: Header=BB381_286 Depth=1
	s_mov_b64 s[0:1], s[14:15]
                                        ; implicit-def: $sgpr4_sgpr5
	s_branch .LBB381_285
.LBB381_288:
	s_set_inst_prefetch_distance 0x2
	s_or_b32 exec_lo, exec_lo, s25
	v_cmp_gt_i64_e32 vcc_lo, s[14:15], v[40:41]
	s_or_not1_b32 s0, vcc_lo, exec_lo
.LBB381_289:
	s_or_b32 exec_lo, exec_lo, s24
.LBB381_290:
	s_delay_alu instid0(SALU_CYCLE_1)
	s_and_b32 s0, s0, exec_lo
	s_or_b32 s6, s6, exec_lo
.LBB381_291:
	s_or_b32 exec_lo, exec_lo, s13
	s_branch .LBB381_383
.LBB381_292:
	v_or_b32_e32 v33, 7, v55
	s_mov_b32 s13, 0
	s_mov_b32 s24, 0
	s_mov_b32 s25, exec_lo
	s_delay_alu instid0(VALU_DEP_1)
	v_cmpx_gt_u32_e64 s31, v33
	s_cbranch_execz .LBB381_303
; %bb.293:
	s_and_not1_b32 vcc_lo, exec_lo, s7
	s_mov_b32 s0, 0
	s_cbranch_vccnz .LBB381_302
; %bb.294:
	v_mad_u64_u32 v[33:34], null, v17, s14, s[20:21]
	v_mul_lo_u32 v37, v17, s15
	v_mul_lo_u32 v38, v18, s14
	s_waitcnt vmcnt(0) lgkmcnt(1)
	v_mad_u64_u32 v[35:36], null, v19, s14, s[20:21]
	v_mul_lo_u32 v39, v19, s15
	v_mul_lo_u32 v40, v20, s14
	s_mov_b32 s0, -1
	s_mov_b32 s24, exec_lo
	s_delay_alu instid0(VALU_DEP_4) | instskip(NEXT) | instid1(VALU_DEP_2)
	v_add3_u32 v34, v38, v34, v37
	v_add3_u32 v36, v40, v36, v39
	s_clause 0x1
	global_load_u8 v37, v[33:34], off
	global_load_u8 v38, v[35:36], off
	s_waitcnt vmcnt(0)
	v_cmpx_eq_u16_e64 v37, v38
	s_cbranch_execz .LBB381_301
; %bb.295:
	s_mov_b64 s[0:1], 1
	s_mov_b32 s26, 0
                                        ; implicit-def: $sgpr27
	s_set_inst_prefetch_distance 0x1
	s_branch .LBB381_298
	.p2align	6
.LBB381_296:                            ;   in Loop: Header=BB381_298 Depth=1
	v_add_co_u32 v37, vcc_lo, v33, s0
	v_add_co_ci_u32_e32 v38, vcc_lo, s1, v34, vcc_lo
	v_add_co_u32 v39, vcc_lo, v35, s0
	v_add_co_ci_u32_e32 v40, vcc_lo, s1, v36, vcc_lo
	s_add_u32 s4, s0, 1
	s_clause 0x1
	global_load_u8 v37, v[37:38], off
	global_load_u8 v38, v[39:40], off
	s_addc_u32 s5, s1, 0
	s_and_not1_b32 s27, s27, exec_lo
	s_waitcnt vmcnt(0)
	v_cmp_ne_u16_e32 vcc_lo, v37, v38
	s_and_b32 s34, vcc_lo, exec_lo
	s_delay_alu instid0(SALU_CYCLE_1)
	s_or_b32 s27, s27, s34
.LBB381_297:                            ;   in Loop: Header=BB381_298 Depth=1
	v_dual_mov_b32 v38, s1 :: v_dual_mov_b32 v37, s0
	s_and_b32 s34, exec_lo, s27
	s_mov_b64 s[0:1], s[4:5]
	s_or_b32 s26, s34, s26
	s_delay_alu instid0(SALU_CYCLE_1)
	s_and_not1_b32 exec_lo, exec_lo, s26
	s_cbranch_execz .LBB381_300
.LBB381_298:                            ; =>This Inner Loop Header: Depth=1
	s_or_b32 s27, s27, exec_lo
	s_cmp_eq_u64 s[14:15], s[0:1]
	s_cbranch_scc0 .LBB381_296
; %bb.299:                              ;   in Loop: Header=BB381_298 Depth=1
	s_mov_b64 s[0:1], s[14:15]
                                        ; implicit-def: $sgpr4_sgpr5
	s_branch .LBB381_297
.LBB381_300:
	s_set_inst_prefetch_distance 0x2
	s_or_b32 exec_lo, exec_lo, s26
	v_cmp_gt_i64_e32 vcc_lo, s[14:15], v[37:38]
	s_or_not1_b32 s0, vcc_lo, exec_lo
.LBB381_301:
	s_or_b32 exec_lo, exec_lo, s24
.LBB381_302:
	s_delay_alu instid0(SALU_CYCLE_1)
	s_and_b32 s24, s0, exec_lo
.LBB381_303:
	s_or_b32 exec_lo, exec_lo, s25
	v_or_b32_e32 v33, 6, v55
	s_mov_b32 s25, exec_lo
	s_delay_alu instid0(VALU_DEP_1)
	v_cmpx_gt_u32_e64 s31, v33
	s_cbranch_execz .LBB381_314
; %bb.304:
	s_and_not1_b32 vcc_lo, exec_lo, s7
	s_mov_b32 s0, 0
	s_cbranch_vccnz .LBB381_313
; %bb.305:
	v_mad_u64_u32 v[33:34], null, v23, s14, s[20:21]
	v_mul_lo_u32 v37, v23, s15
	v_mul_lo_u32 v38, v24, s14
	s_waitcnt vmcnt(0) lgkmcnt(1)
	v_mad_u64_u32 v[35:36], null, v17, s14, s[20:21]
	v_mul_lo_u32 v39, v17, s15
	v_mul_lo_u32 v40, v18, s14
	s_mov_b32 s0, -1
	s_mov_b32 s13, exec_lo
	s_delay_alu instid0(VALU_DEP_4) | instskip(NEXT) | instid1(VALU_DEP_2)
	v_add3_u32 v34, v38, v34, v37
	v_add3_u32 v36, v40, v36, v39
	s_clause 0x1
	global_load_u8 v37, v[33:34], off
	global_load_u8 v38, v[35:36], off
	s_waitcnt vmcnt(0)
	v_cmpx_eq_u16_e64 v37, v38
	s_cbranch_execz .LBB381_312
; %bb.306:
	s_mov_b64 s[0:1], 1
	s_mov_b32 s26, 0
                                        ; implicit-def: $sgpr27
	s_set_inst_prefetch_distance 0x1
	s_branch .LBB381_309
	.p2align	6
.LBB381_307:                            ;   in Loop: Header=BB381_309 Depth=1
	v_add_co_u32 v37, vcc_lo, v33, s0
	v_add_co_ci_u32_e32 v38, vcc_lo, s1, v34, vcc_lo
	v_add_co_u32 v39, vcc_lo, v35, s0
	v_add_co_ci_u32_e32 v40, vcc_lo, s1, v36, vcc_lo
	s_add_u32 s4, s0, 1
	s_clause 0x1
	global_load_u8 v37, v[37:38], off
	global_load_u8 v38, v[39:40], off
	s_addc_u32 s5, s1, 0
	s_and_not1_b32 s27, s27, exec_lo
	s_waitcnt vmcnt(0)
	v_cmp_ne_u16_e32 vcc_lo, v37, v38
	s_and_b32 s34, vcc_lo, exec_lo
	s_delay_alu instid0(SALU_CYCLE_1)
	s_or_b32 s27, s27, s34
.LBB381_308:                            ;   in Loop: Header=BB381_309 Depth=1
	v_dual_mov_b32 v38, s1 :: v_dual_mov_b32 v37, s0
	s_and_b32 s34, exec_lo, s27
	s_mov_b64 s[0:1], s[4:5]
	s_or_b32 s26, s34, s26
	s_delay_alu instid0(SALU_CYCLE_1)
	s_and_not1_b32 exec_lo, exec_lo, s26
	s_cbranch_execz .LBB381_311
.LBB381_309:                            ; =>This Inner Loop Header: Depth=1
	s_or_b32 s27, s27, exec_lo
	s_cmp_eq_u64 s[14:15], s[0:1]
	s_cbranch_scc0 .LBB381_307
; %bb.310:                              ;   in Loop: Header=BB381_309 Depth=1
	s_mov_b64 s[0:1], s[14:15]
                                        ; implicit-def: $sgpr4_sgpr5
	s_branch .LBB381_308
.LBB381_311:
	s_set_inst_prefetch_distance 0x2
	s_or_b32 exec_lo, exec_lo, s26
	v_cmp_gt_i64_e32 vcc_lo, s[14:15], v[37:38]
	s_or_not1_b32 s0, vcc_lo, exec_lo
.LBB381_312:
	s_or_b32 exec_lo, exec_lo, s13
.LBB381_313:
	s_delay_alu instid0(SALU_CYCLE_1)
	s_and_b32 s13, s0, exec_lo
.LBB381_314:
	s_or_b32 exec_lo, exec_lo, s25
	v_or_b32_e32 v33, 5, v55
	s_mov_b32 s25, 0
	s_mov_b32 s26, 0
	s_mov_b32 s27, exec_lo
	s_delay_alu instid0(VALU_DEP_1)
	v_cmpx_gt_u32_e64 s31, v33
	s_cbranch_execz .LBB381_325
; %bb.315:
	s_and_not1_b32 vcc_lo, exec_lo, s7
	s_mov_b32 s0, 0
	s_cbranch_vccnz .LBB381_324
; %bb.316:
	v_mad_u64_u32 v[33:34], null, v21, s14, s[20:21]
	v_mul_lo_u32 v37, v21, s15
	v_mul_lo_u32 v38, v22, s14
	s_waitcnt vmcnt(0) lgkmcnt(1)
	v_mad_u64_u32 v[35:36], null, v23, s14, s[20:21]
	v_mul_lo_u32 v39, v23, s15
	v_mul_lo_u32 v40, v24, s14
	s_mov_b32 s0, -1
	s_mov_b32 s26, exec_lo
	s_delay_alu instid0(VALU_DEP_4) | instskip(NEXT) | instid1(VALU_DEP_2)
	v_add3_u32 v34, v38, v34, v37
	v_add3_u32 v36, v40, v36, v39
	s_clause 0x1
	global_load_u8 v37, v[33:34], off
	global_load_u8 v38, v[35:36], off
	s_waitcnt vmcnt(0)
	v_cmpx_eq_u16_e64 v37, v38
	s_cbranch_execz .LBB381_323
; %bb.317:
	s_mov_b64 s[0:1], 1
	s_mov_b32 s34, 0
                                        ; implicit-def: $sgpr35
	s_set_inst_prefetch_distance 0x1
	s_branch .LBB381_320
	.p2align	6
.LBB381_318:                            ;   in Loop: Header=BB381_320 Depth=1
	v_add_co_u32 v37, vcc_lo, v33, s0
	v_add_co_ci_u32_e32 v38, vcc_lo, s1, v34, vcc_lo
	v_add_co_u32 v39, vcc_lo, v35, s0
	v_add_co_ci_u32_e32 v40, vcc_lo, s1, v36, vcc_lo
	s_add_u32 s4, s0, 1
	s_clause 0x1
	global_load_u8 v37, v[37:38], off
	global_load_u8 v38, v[39:40], off
	s_addc_u32 s5, s1, 0
	s_and_not1_b32 s35, s35, exec_lo
	s_waitcnt vmcnt(0)
	v_cmp_ne_u16_e32 vcc_lo, v37, v38
	s_and_b32 s36, vcc_lo, exec_lo
	s_delay_alu instid0(SALU_CYCLE_1)
	s_or_b32 s35, s35, s36
.LBB381_319:                            ;   in Loop: Header=BB381_320 Depth=1
	v_dual_mov_b32 v38, s1 :: v_dual_mov_b32 v37, s0
	s_and_b32 s36, exec_lo, s35
	s_mov_b64 s[0:1], s[4:5]
	s_or_b32 s34, s36, s34
	s_delay_alu instid0(SALU_CYCLE_1)
	s_and_not1_b32 exec_lo, exec_lo, s34
	s_cbranch_execz .LBB381_322
.LBB381_320:                            ; =>This Inner Loop Header: Depth=1
	s_or_b32 s35, s35, exec_lo
	s_cmp_eq_u64 s[14:15], s[0:1]
	s_cbranch_scc0 .LBB381_318
; %bb.321:                              ;   in Loop: Header=BB381_320 Depth=1
	s_mov_b64 s[0:1], s[14:15]
                                        ; implicit-def: $sgpr4_sgpr5
	s_branch .LBB381_319
.LBB381_322:
	s_set_inst_prefetch_distance 0x2
	s_or_b32 exec_lo, exec_lo, s34
	v_cmp_gt_i64_e32 vcc_lo, s[14:15], v[37:38]
	s_or_not1_b32 s0, vcc_lo, exec_lo
.LBB381_323:
	s_or_b32 exec_lo, exec_lo, s26
.LBB381_324:
	s_delay_alu instid0(SALU_CYCLE_1)
	s_and_b32 s26, s0, exec_lo
.LBB381_325:
	s_or_b32 exec_lo, exec_lo, s27
	v_or_b32_e32 v33, 4, v55
	s_mov_b32 s27, exec_lo
	s_delay_alu instid0(VALU_DEP_1)
	v_cmpx_gt_u32_e64 s31, v33
	s_cbranch_execz .LBB381_336
; %bb.326:
	s_and_not1_b32 vcc_lo, exec_lo, s7
	s_mov_b32 s0, 0
	s_cbranch_vccnz .LBB381_335
; %bb.327:
	v_mad_u64_u32 v[33:34], null, v27, s14, s[20:21]
	v_mul_lo_u32 v37, v27, s15
	v_mul_lo_u32 v38, v28, s14
	s_waitcnt vmcnt(0) lgkmcnt(1)
	v_mad_u64_u32 v[35:36], null, v21, s14, s[20:21]
	v_mul_lo_u32 v39, v21, s15
	v_mul_lo_u32 v40, v22, s14
	s_mov_b32 s0, -1
	s_mov_b32 s25, exec_lo
	s_delay_alu instid0(VALU_DEP_4) | instskip(NEXT) | instid1(VALU_DEP_2)
	v_add3_u32 v34, v38, v34, v37
	v_add3_u32 v36, v40, v36, v39
	s_clause 0x1
	global_load_u8 v37, v[33:34], off
	global_load_u8 v38, v[35:36], off
	s_waitcnt vmcnt(0)
	v_cmpx_eq_u16_e64 v37, v38
	s_cbranch_execz .LBB381_334
; %bb.328:
	s_mov_b64 s[0:1], 1
	s_mov_b32 s34, 0
                                        ; implicit-def: $sgpr35
	s_set_inst_prefetch_distance 0x1
	s_branch .LBB381_331
	.p2align	6
.LBB381_329:                            ;   in Loop: Header=BB381_331 Depth=1
	v_add_co_u32 v37, vcc_lo, v33, s0
	v_add_co_ci_u32_e32 v38, vcc_lo, s1, v34, vcc_lo
	v_add_co_u32 v39, vcc_lo, v35, s0
	v_add_co_ci_u32_e32 v40, vcc_lo, s1, v36, vcc_lo
	s_add_u32 s4, s0, 1
	s_clause 0x1
	global_load_u8 v37, v[37:38], off
	global_load_u8 v38, v[39:40], off
	s_addc_u32 s5, s1, 0
	s_and_not1_b32 s35, s35, exec_lo
	s_waitcnt vmcnt(0)
	v_cmp_ne_u16_e32 vcc_lo, v37, v38
	s_and_b32 s36, vcc_lo, exec_lo
	s_delay_alu instid0(SALU_CYCLE_1)
	s_or_b32 s35, s35, s36
.LBB381_330:                            ;   in Loop: Header=BB381_331 Depth=1
	v_dual_mov_b32 v38, s1 :: v_dual_mov_b32 v37, s0
	s_and_b32 s36, exec_lo, s35
	s_mov_b64 s[0:1], s[4:5]
	s_or_b32 s34, s36, s34
	s_delay_alu instid0(SALU_CYCLE_1)
	s_and_not1_b32 exec_lo, exec_lo, s34
	s_cbranch_execz .LBB381_333
.LBB381_331:                            ; =>This Inner Loop Header: Depth=1
	s_or_b32 s35, s35, exec_lo
	s_cmp_eq_u64 s[14:15], s[0:1]
	s_cbranch_scc0 .LBB381_329
; %bb.332:                              ;   in Loop: Header=BB381_331 Depth=1
	s_mov_b64 s[0:1], s[14:15]
                                        ; implicit-def: $sgpr4_sgpr5
	s_branch .LBB381_330
.LBB381_333:
	s_set_inst_prefetch_distance 0x2
	s_or_b32 exec_lo, exec_lo, s34
	v_cmp_gt_i64_e32 vcc_lo, s[14:15], v[37:38]
	s_or_not1_b32 s0, vcc_lo, exec_lo
.LBB381_334:
	s_or_b32 exec_lo, exec_lo, s25
.LBB381_335:
	s_delay_alu instid0(SALU_CYCLE_1)
	s_and_b32 s25, s0, exec_lo
.LBB381_336:
	s_or_b32 exec_lo, exec_lo, s27
	v_or_b32_e32 v33, 3, v55
	s_mov_b32 s34, 0
	s_mov_b32 s27, 0
	s_mov_b32 s35, exec_lo
	s_delay_alu instid0(VALU_DEP_1)
	v_cmpx_gt_u32_e64 s31, v33
	s_cbranch_execz .LBB381_347
; %bb.337:
	s_and_not1_b32 vcc_lo, exec_lo, s7
	s_mov_b32 s0, 0
	s_cbranch_vccnz .LBB381_346
; %bb.338:
	v_mad_u64_u32 v[33:34], null, v25, s14, s[20:21]
	v_mul_lo_u32 v37, v25, s15
	v_mul_lo_u32 v38, v26, s14
	s_waitcnt vmcnt(0) lgkmcnt(1)
	v_mad_u64_u32 v[35:36], null, v27, s14, s[20:21]
	v_mul_lo_u32 v39, v27, s15
	v_mul_lo_u32 v40, v28, s14
	s_mov_b32 s0, -1
	s_mov_b32 s27, exec_lo
	s_delay_alu instid0(VALU_DEP_4) | instskip(NEXT) | instid1(VALU_DEP_2)
	v_add3_u32 v34, v38, v34, v37
	v_add3_u32 v36, v40, v36, v39
	s_clause 0x1
	global_load_u8 v37, v[33:34], off
	global_load_u8 v38, v[35:36], off
	s_waitcnt vmcnt(0)
	v_cmpx_eq_u16_e64 v37, v38
	s_cbranch_execz .LBB381_345
; %bb.339:
	s_mov_b64 s[0:1], 1
	s_mov_b32 s36, 0
                                        ; implicit-def: $sgpr37
	s_set_inst_prefetch_distance 0x1
	s_branch .LBB381_342
	.p2align	6
.LBB381_340:                            ;   in Loop: Header=BB381_342 Depth=1
	v_add_co_u32 v37, vcc_lo, v33, s0
	v_add_co_ci_u32_e32 v38, vcc_lo, s1, v34, vcc_lo
	v_add_co_u32 v39, vcc_lo, v35, s0
	v_add_co_ci_u32_e32 v40, vcc_lo, s1, v36, vcc_lo
	s_add_u32 s4, s0, 1
	s_clause 0x1
	global_load_u8 v37, v[37:38], off
	global_load_u8 v38, v[39:40], off
	s_addc_u32 s5, s1, 0
	s_and_not1_b32 s37, s37, exec_lo
	s_waitcnt vmcnt(0)
	v_cmp_ne_u16_e32 vcc_lo, v37, v38
	s_and_b32 s38, vcc_lo, exec_lo
	s_delay_alu instid0(SALU_CYCLE_1)
	s_or_b32 s37, s37, s38
.LBB381_341:                            ;   in Loop: Header=BB381_342 Depth=1
	v_dual_mov_b32 v38, s1 :: v_dual_mov_b32 v37, s0
	s_and_b32 s38, exec_lo, s37
	s_mov_b64 s[0:1], s[4:5]
	s_or_b32 s36, s38, s36
	s_delay_alu instid0(SALU_CYCLE_1)
	s_and_not1_b32 exec_lo, exec_lo, s36
	s_cbranch_execz .LBB381_344
.LBB381_342:                            ; =>This Inner Loop Header: Depth=1
	s_or_b32 s37, s37, exec_lo
	s_cmp_eq_u64 s[14:15], s[0:1]
	s_cbranch_scc0 .LBB381_340
; %bb.343:                              ;   in Loop: Header=BB381_342 Depth=1
	s_mov_b64 s[0:1], s[14:15]
                                        ; implicit-def: $sgpr4_sgpr5
	s_branch .LBB381_341
.LBB381_344:
	s_set_inst_prefetch_distance 0x2
	s_or_b32 exec_lo, exec_lo, s36
	v_cmp_gt_i64_e32 vcc_lo, s[14:15], v[37:38]
	s_or_not1_b32 s0, vcc_lo, exec_lo
.LBB381_345:
	s_or_b32 exec_lo, exec_lo, s27
.LBB381_346:
	s_delay_alu instid0(SALU_CYCLE_1)
	s_and_b32 s27, s0, exec_lo
.LBB381_347:
	s_or_b32 exec_lo, exec_lo, s35
	v_or_b32_e32 v33, 2, v55
	s_mov_b32 s35, exec_lo
	s_delay_alu instid0(VALU_DEP_1)
	v_cmpx_gt_u32_e64 s31, v33
	s_cbranch_execz .LBB381_358
; %bb.348:
	s_and_not1_b32 vcc_lo, exec_lo, s7
	s_mov_b32 s0, 0
	s_cbranch_vccnz .LBB381_357
; %bb.349:
	v_mad_u64_u32 v[33:34], null, v31, s14, s[20:21]
	v_mul_lo_u32 v37, v31, s15
	v_mul_lo_u32 v38, v32, s14
	s_waitcnt vmcnt(0) lgkmcnt(1)
	v_mad_u64_u32 v[35:36], null, v25, s14, s[20:21]
	v_mul_lo_u32 v39, v25, s15
	v_mul_lo_u32 v40, v26, s14
	s_mov_b32 s0, -1
	s_mov_b32 s34, exec_lo
	s_delay_alu instid0(VALU_DEP_4) | instskip(NEXT) | instid1(VALU_DEP_2)
	v_add3_u32 v34, v38, v34, v37
	v_add3_u32 v36, v40, v36, v39
	s_clause 0x1
	global_load_u8 v37, v[33:34], off
	global_load_u8 v38, v[35:36], off
	s_waitcnt vmcnt(0)
	v_cmpx_eq_u16_e64 v37, v38
	s_cbranch_execz .LBB381_356
; %bb.350:
	s_mov_b64 s[0:1], 1
	s_mov_b32 s36, 0
                                        ; implicit-def: $sgpr37
	s_set_inst_prefetch_distance 0x1
	s_branch .LBB381_353
	.p2align	6
.LBB381_351:                            ;   in Loop: Header=BB381_353 Depth=1
	v_add_co_u32 v37, vcc_lo, v33, s0
	v_add_co_ci_u32_e32 v38, vcc_lo, s1, v34, vcc_lo
	v_add_co_u32 v39, vcc_lo, v35, s0
	v_add_co_ci_u32_e32 v40, vcc_lo, s1, v36, vcc_lo
	s_add_u32 s4, s0, 1
	s_clause 0x1
	global_load_u8 v37, v[37:38], off
	global_load_u8 v38, v[39:40], off
	s_addc_u32 s5, s1, 0
	s_and_not1_b32 s37, s37, exec_lo
	s_waitcnt vmcnt(0)
	v_cmp_ne_u16_e32 vcc_lo, v37, v38
	s_and_b32 s38, vcc_lo, exec_lo
	s_delay_alu instid0(SALU_CYCLE_1)
	s_or_b32 s37, s37, s38
.LBB381_352:                            ;   in Loop: Header=BB381_353 Depth=1
	v_dual_mov_b32 v38, s1 :: v_dual_mov_b32 v37, s0
	s_and_b32 s38, exec_lo, s37
	s_mov_b64 s[0:1], s[4:5]
	s_or_b32 s36, s38, s36
	s_delay_alu instid0(SALU_CYCLE_1)
	s_and_not1_b32 exec_lo, exec_lo, s36
	s_cbranch_execz .LBB381_355
.LBB381_353:                            ; =>This Inner Loop Header: Depth=1
	s_or_b32 s37, s37, exec_lo
	s_cmp_eq_u64 s[14:15], s[0:1]
	s_cbranch_scc0 .LBB381_351
; %bb.354:                              ;   in Loop: Header=BB381_353 Depth=1
	s_mov_b64 s[0:1], s[14:15]
                                        ; implicit-def: $sgpr4_sgpr5
	s_branch .LBB381_352
.LBB381_355:
	s_set_inst_prefetch_distance 0x2
	s_or_b32 exec_lo, exec_lo, s36
	v_cmp_gt_i64_e32 vcc_lo, s[14:15], v[37:38]
	s_or_not1_b32 s0, vcc_lo, exec_lo
.LBB381_356:
	s_or_b32 exec_lo, exec_lo, s34
.LBB381_357:
	s_delay_alu instid0(SALU_CYCLE_1)
	s_and_b32 s34, s0, exec_lo
.LBB381_358:
	s_or_b32 exec_lo, exec_lo, s35
	v_or_b32_e32 v33, 1, v55
	s_mov_b32 s0, 0
	s_mov_b32 s35, exec_lo
	s_delay_alu instid0(VALU_DEP_1)
	v_cmpx_gt_u32_e64 s31, v33
	s_cbranch_execz .LBB381_369
; %bb.359:
	s_and_not1_b32 vcc_lo, exec_lo, s7
	s_cbranch_vccnz .LBB381_368
; %bb.360:
	v_mad_u64_u32 v[33:34], null, v29, s14, s[20:21]
	v_mul_lo_u32 v37, v29, s15
	v_mul_lo_u32 v38, v30, s14
	s_waitcnt vmcnt(0) lgkmcnt(1)
	v_mad_u64_u32 v[35:36], null, v31, s14, s[20:21]
	v_mul_lo_u32 v39, v31, s15
	v_mul_lo_u32 v40, v32, s14
	s_mov_b32 s0, -1
	s_mov_b32 s36, exec_lo
	s_delay_alu instid0(VALU_DEP_4) | instskip(NEXT) | instid1(VALU_DEP_2)
	v_add3_u32 v34, v38, v34, v37
	v_add3_u32 v36, v40, v36, v39
	s_clause 0x1
	global_load_u8 v37, v[33:34], off
	global_load_u8 v38, v[35:36], off
	s_waitcnt vmcnt(0)
	v_cmpx_eq_u16_e64 v37, v38
	s_cbranch_execz .LBB381_367
; %bb.361:
	s_mov_b64 s[0:1], 1
	s_mov_b32 s37, 0
                                        ; implicit-def: $sgpr38
	s_set_inst_prefetch_distance 0x1
	s_branch .LBB381_364
	.p2align	6
.LBB381_362:                            ;   in Loop: Header=BB381_364 Depth=1
	v_add_co_u32 v37, vcc_lo, v33, s0
	v_add_co_ci_u32_e32 v38, vcc_lo, s1, v34, vcc_lo
	v_add_co_u32 v39, vcc_lo, v35, s0
	v_add_co_ci_u32_e32 v40, vcc_lo, s1, v36, vcc_lo
	s_add_u32 s4, s0, 1
	s_clause 0x1
	global_load_u8 v37, v[37:38], off
	global_load_u8 v38, v[39:40], off
	s_addc_u32 s5, s1, 0
	s_and_not1_b32 s38, s38, exec_lo
	s_waitcnt vmcnt(0)
	v_cmp_ne_u16_e32 vcc_lo, v37, v38
	s_and_b32 s39, vcc_lo, exec_lo
	s_delay_alu instid0(SALU_CYCLE_1)
	s_or_b32 s38, s38, s39
.LBB381_363:                            ;   in Loop: Header=BB381_364 Depth=1
	v_dual_mov_b32 v38, s1 :: v_dual_mov_b32 v37, s0
	s_and_b32 s39, exec_lo, s38
	s_mov_b64 s[0:1], s[4:5]
	s_or_b32 s37, s39, s37
	s_delay_alu instid0(SALU_CYCLE_1)
	s_and_not1_b32 exec_lo, exec_lo, s37
	s_cbranch_execz .LBB381_366
.LBB381_364:                            ; =>This Inner Loop Header: Depth=1
	s_or_b32 s38, s38, exec_lo
	s_cmp_eq_u64 s[14:15], s[0:1]
	s_cbranch_scc0 .LBB381_362
; %bb.365:                              ;   in Loop: Header=BB381_364 Depth=1
	s_mov_b64 s[0:1], s[14:15]
                                        ; implicit-def: $sgpr4_sgpr5
	s_branch .LBB381_363
.LBB381_366:
	s_set_inst_prefetch_distance 0x2
	s_or_b32 exec_lo, exec_lo, s37
	v_cmp_gt_i64_e32 vcc_lo, s[14:15], v[37:38]
	s_or_not1_b32 s0, vcc_lo, exec_lo
.LBB381_367:
	s_or_b32 exec_lo, exec_lo, s36
.LBB381_368:
	s_delay_alu instid0(SALU_CYCLE_1)
	s_and_b32 s0, s0, exec_lo
.LBB381_369:
	s_or_b32 exec_lo, exec_lo, s35
	v_cndmask_b32_e64 v34, 0, 1, s27
	s_waitcnt vmcnt(0) lgkmcnt(1)
	v_cndmask_b32_e64 v35, 0, 1, s26
	v_cndmask_b32_e64 v36, 0, 1, s24
	;; [unrolled: 1-line block ×6, first 2 shown]
	v_lshlrev_b16 v35, 8, v35
	v_lshlrev_b16 v36, 8, v36
	;; [unrolled: 1-line block ×4, first 2 shown]
	s_waitcnt lgkmcnt(0)
	v_or_b32_e32 v35, v38, v35
	v_or_b32_e32 v36, v39, v36
	;; [unrolled: 1-line block ×4, first 2 shown]
	s_barrier
	v_and_b32_e32 v34, 0xffff, v35
	v_lshlrev_b32_e32 v35, 16, v36
	v_and_b32_e32 v36, 0xffff, v37
	v_lshlrev_b32_e32 v33, 16, v33
	buffer_gl0_inv
                                        ; implicit-def: $sgpr0
	v_or_b32_e32 v34, v34, v35
	v_or_b32_e32 v33, v36, v33
	s_and_saveexec_b32 s13, s3
	s_cbranch_execz .LBB381_382
; %bb.370:
	s_mov_b32 s0, 0
	s_mov_b32 s3, exec_lo
	v_cmpx_gt_u32_e64 s31, v55
	s_cbranch_execz .LBB381_381
; %bb.371:
	s_and_not1_b32 vcc_lo, exec_lo, s7
	s_cbranch_vccnz .LBB381_380
; %bb.372:
	v_add_nc_u32_e32 v35, -8, v55
	v_mul_lo_u32 v41, v29, s15
	s_mov_b32 s0, -1
	s_mov_b32 s7, exec_lo
	ds_load_b64 v[39:40], v35
	v_mad_u64_u32 v[35:36], null, v29, s14, s[20:21]
	s_waitcnt lgkmcnt(0)
	v_mul_lo_u32 v42, v39, s15
	v_mul_lo_u32 v40, v40, s14
	v_mad_u64_u32 v[37:38], null, v39, s14, s[20:21]
	v_mul_lo_u32 v39, v30, s14
	s_delay_alu instid0(VALU_DEP_2) | instskip(NEXT) | instid1(VALU_DEP_2)
	v_add3_u32 v38, v40, v38, v42
	v_add3_u32 v36, v39, v36, v41
	s_clause 0x1
	global_load_u8 v39, v[37:38], off
	global_load_u8 v40, v[35:36], off
	s_waitcnt vmcnt(0)
	v_cmpx_eq_u16_e64 v39, v40
	s_cbranch_execz .LBB381_379
; %bb.373:
	s_mov_b64 s[0:1], 1
	s_mov_b32 s20, 0
                                        ; implicit-def: $sgpr21
	s_set_inst_prefetch_distance 0x1
	s_branch .LBB381_376
	.p2align	6
.LBB381_374:                            ;   in Loop: Header=BB381_376 Depth=1
	v_add_co_u32 v39, vcc_lo, v37, s0
	v_add_co_ci_u32_e32 v40, vcc_lo, s1, v38, vcc_lo
	v_add_co_u32 v41, vcc_lo, v35, s0
	v_add_co_ci_u32_e32 v42, vcc_lo, s1, v36, vcc_lo
	s_add_u32 s4, s0, 1
	s_clause 0x1
	global_load_u8 v39, v[39:40], off
	global_load_u8 v40, v[41:42], off
	s_addc_u32 s5, s1, 0
	s_and_not1_b32 s21, s21, exec_lo
	s_waitcnt vmcnt(0)
	v_cmp_ne_u16_e32 vcc_lo, v39, v40
	s_and_b32 s24, vcc_lo, exec_lo
	s_delay_alu instid0(SALU_CYCLE_1)
	s_or_b32 s21, s21, s24
.LBB381_375:                            ;   in Loop: Header=BB381_376 Depth=1
	v_dual_mov_b32 v40, s1 :: v_dual_mov_b32 v39, s0
	s_and_b32 s24, exec_lo, s21
	s_mov_b64 s[0:1], s[4:5]
	s_or_b32 s20, s24, s20
	s_delay_alu instid0(SALU_CYCLE_1)
	s_and_not1_b32 exec_lo, exec_lo, s20
	s_cbranch_execz .LBB381_378
.LBB381_376:                            ; =>This Inner Loop Header: Depth=1
	s_or_b32 s21, s21, exec_lo
	s_cmp_eq_u64 s[14:15], s[0:1]
	s_cbranch_scc0 .LBB381_374
; %bb.377:                              ;   in Loop: Header=BB381_376 Depth=1
	s_mov_b64 s[0:1], s[14:15]
                                        ; implicit-def: $sgpr4_sgpr5
	s_branch .LBB381_375
.LBB381_378:
	s_set_inst_prefetch_distance 0x2
	s_or_b32 exec_lo, exec_lo, s20
	v_cmp_gt_i64_e32 vcc_lo, s[14:15], v[39:40]
	s_or_not1_b32 s0, vcc_lo, exec_lo
.LBB381_379:
	s_or_b32 exec_lo, exec_lo, s7
.LBB381_380:
	s_delay_alu instid0(SALU_CYCLE_1)
	s_and_b32 s0, s0, exec_lo
.LBB381_381:
	s_or_b32 exec_lo, exec_lo, s3
	s_delay_alu instid0(SALU_CYCLE_1)
	s_and_b32 s0, s0, exec_lo
	s_or_b32 s6, s6, exec_lo
.LBB381_382:
	s_or_b32 exec_lo, exec_lo, s13
.LBB381_383:
	s_and_saveexec_b32 s1, s6
	s_cbranch_execz .LBB381_385
; %bb.384:
	s_waitcnt vmcnt(0) lgkmcnt(0)
	v_and_b32_e32 v35, 0xffffff00, v33
	v_cndmask_b32_e64 v36, 0, 1, s0
	s_delay_alu instid0(VALU_DEP_1) | instskip(NEXT) | instid1(VALU_DEP_1)
	v_or_b32_e32 v35, v36, v35
	v_and_b32_e32 v35, 0xffff, v35
	s_delay_alu instid0(VALU_DEP_1)
	v_and_or_b32 v33, 0xffff0000, v33, v35
.LBB381_385:
	s_or_b32 exec_lo, exec_lo, s1
	s_delay_alu instid0(SALU_CYCLE_1)
	s_and_not1_b32 vcc_lo, exec_lo, s33
	s_cbranch_vccnz .LBB381_387
; %bb.386:
	v_cmp_gt_u32_e32 vcc_lo, s31, v55
	s_waitcnt vmcnt(0) lgkmcnt(0)
	v_or_b32_e32 v36, 1, v55
	v_and_b32_e32 v37, 0xffffff00, v34
	v_or_b32_e32 v38, 2, v55
	v_cndmask_b32_e32 v35, 0, v33, vcc_lo
	s_delay_alu instid0(VALU_DEP_4) | instskip(SKIP_1) | instid1(VALU_DEP_4)
	v_cmp_gt_u32_e32 vcc_lo, s31, v36
	v_or_b32_e32 v36, 4, v55
	v_cmp_gt_u32_e64 s0, s31, v38
	v_or_b32_e32 v38, 3, v55
	v_and_b32_e32 v35, 0xff, v35
	s_delay_alu instid0(VALU_DEP_2) | instskip(NEXT) | instid1(VALU_DEP_2)
	v_cmp_gt_u32_e64 s1, s31, v38
	v_cndmask_b32_e32 v35, v35, v33, vcc_lo
	v_cmp_gt_u32_e32 vcc_lo, s31, v36
	v_cndmask_b32_e32 v36, v37, v34, vcc_lo
	v_or_b32_e32 v37, 5, v55
	s_delay_alu instid0(VALU_DEP_2) | instskip(SKIP_1) | instid1(VALU_DEP_1)
	v_and_b32_e32 v36, 0xffff00ff, v36
	v_and_b32_e32 v35, 0xffff, v35
	v_cndmask_b32_e64 v35, v35, v33, s0
	s_delay_alu instid0(VALU_DEP_4) | instskip(SKIP_1) | instid1(VALU_DEP_3)
	v_cmp_gt_u32_e64 s0, s31, v37
	v_or_b32_e32 v37, 6, v55
	v_and_b32_e32 v35, 0xffffff, v35
	s_delay_alu instid0(VALU_DEP_3) | instskip(NEXT) | instid1(VALU_DEP_2)
	v_cndmask_b32_e64 v36, v36, v34, s0
	v_cndmask_b32_e64 v35, v35, v33, s1
	s_delay_alu instid0(VALU_DEP_1) | instskip(SKIP_2) | instid1(VALU_DEP_3)
	v_dual_cndmask_b32 v35, v35, v33 :: v_dual_and_b32 v36, 0xff00ffff, v36
	v_cmp_gt_u32_e32 vcc_lo, s31, v37
	v_or_b32_e32 v37, 7, v55
	v_cndmask_b32_e64 v35, v35, v33, s0
	s_delay_alu instid0(VALU_DEP_1) | instskip(NEXT) | instid1(VALU_DEP_1)
	v_dual_cndmask_b32 v36, v36, v34 :: v_dual_cndmask_b32 v35, v35, v33
	v_and_b32_e32 v36, 0xffffff, v36
	s_delay_alu instid0(VALU_DEP_4) | instskip(NEXT) | instid1(VALU_DEP_2)
	v_cmp_gt_u32_e32 vcc_lo, s31, v37
	v_dual_cndmask_b32 v34, v36, v34 :: v_dual_cndmask_b32 v33, v35, v33
.LBB381_387:
	s_delay_alu instid0(VALU_DEP_1) | instskip(SKIP_1) | instid1(VALU_DEP_2)
	v_and_b32_e32 v42, 0xff, v33
	s_waitcnt vmcnt(0) lgkmcnt(0)
	v_alignbit_b32 v35, v34, v33, 24
	v_bfe_u32 v44, v33, 8, 8
	v_bfe_u32 v46, v33, 16, 8
	v_and_b32_e32 v50, 0xff, v34
	v_bfe_u32 v52, v34, 8, 8
	v_and_b32_e32 v48, 0xff, v35
	v_add_nc_u32_e32 v35, v44, v42
	v_mbcnt_lo_u32_b32 v57, -1, 0
	v_bfe_u32 v54, v34, 16, 8
	v_lshrrev_b32_e32 v56, 24, v34
	v_lshrrev_b32_e32 v58, 5, v0
	v_add3_u32 v35, v35, v46, v48
	v_and_b32_e32 v36, 15, v57
	v_and_b32_e32 v37, 16, v57
	s_and_b32 vcc_lo, exec_lo, s12
	s_mov_b32 s7, -1
	v_add3_u32 v35, v35, v50, v52
	v_cmp_eq_u32_e64 s3, 0, v36
	v_cmp_lt_u32_e64 s0, 1, v36
	v_cmp_lt_u32_e64 s4, 3, v36
	;; [unrolled: 1-line block ×3, first 2 shown]
	v_add3_u32 v59, v35, v54, v56
	v_or_b32_e32 v35, 31, v0
	v_cmp_eq_u32_e64 s6, 0, v37
	s_barrier
	buffer_gl0_inv
	v_cmp_eq_u32_e64 s5, v35, v0
	s_cbranch_vccz .LBB381_413
; %bb.388:
	v_mov_b32_dpp v35, v59 row_shr:1 row_mask:0xf bank_mask:0xf
	s_delay_alu instid0(VALU_DEP_1) | instskip(NEXT) | instid1(VALU_DEP_1)
	v_cndmask_b32_e64 v35, v35, 0, s3
	v_add_nc_u32_e32 v35, v35, v59
	s_delay_alu instid0(VALU_DEP_1) | instskip(NEXT) | instid1(VALU_DEP_1)
	v_mov_b32_dpp v36, v35 row_shr:2 row_mask:0xf bank_mask:0xf
	v_cndmask_b32_e64 v36, 0, v36, s0
	s_delay_alu instid0(VALU_DEP_1) | instskip(NEXT) | instid1(VALU_DEP_1)
	v_add_nc_u32_e32 v35, v35, v36
	v_mov_b32_dpp v36, v35 row_shr:4 row_mask:0xf bank_mask:0xf
	s_delay_alu instid0(VALU_DEP_1) | instskip(NEXT) | instid1(VALU_DEP_1)
	v_cndmask_b32_e64 v36, 0, v36, s4
	v_add_nc_u32_e32 v35, v35, v36
	s_delay_alu instid0(VALU_DEP_1) | instskip(NEXT) | instid1(VALU_DEP_1)
	v_mov_b32_dpp v36, v35 row_shr:8 row_mask:0xf bank_mask:0xf
	v_cndmask_b32_e64 v36, 0, v36, s1
	s_delay_alu instid0(VALU_DEP_1) | instskip(SKIP_3) | instid1(VALU_DEP_1)
	v_add_nc_u32_e32 v35, v35, v36
	ds_swizzle_b32 v36, v35 offset:swizzle(BROADCAST,32,15)
	s_waitcnt lgkmcnt(0)
	v_cndmask_b32_e64 v36, v36, 0, s6
	v_add_nc_u32_e32 v35, v35, v36
	s_and_saveexec_b32 s7, s5
	s_cbranch_execz .LBB381_390
; %bb.389:
	v_lshlrev_b32_e32 v36, 2, v58
	ds_store_b32 v36, v35
.LBB381_390:
	s_or_b32 exec_lo, exec_lo, s7
	s_delay_alu instid0(SALU_CYCLE_1)
	s_mov_b32 s7, exec_lo
	s_waitcnt lgkmcnt(0)
	s_barrier
	buffer_gl0_inv
	v_cmpx_gt_u32_e32 16, v0
	s_cbranch_execz .LBB381_392
; %bb.391:
	v_lshlrev_b32_e32 v36, 2, v0
	ds_load_b32 v37, v36
	s_waitcnt lgkmcnt(0)
	v_mov_b32_dpp v38, v37 row_shr:1 row_mask:0xf bank_mask:0xf
	s_delay_alu instid0(VALU_DEP_1) | instskip(NEXT) | instid1(VALU_DEP_1)
	v_cndmask_b32_e64 v38, v38, 0, s3
	v_add_nc_u32_e32 v37, v38, v37
	s_delay_alu instid0(VALU_DEP_1) | instskip(NEXT) | instid1(VALU_DEP_1)
	v_mov_b32_dpp v38, v37 row_shr:2 row_mask:0xf bank_mask:0xf
	v_cndmask_b32_e64 v38, 0, v38, s0
	s_delay_alu instid0(VALU_DEP_1) | instskip(NEXT) | instid1(VALU_DEP_1)
	v_add_nc_u32_e32 v37, v37, v38
	v_mov_b32_dpp v38, v37 row_shr:4 row_mask:0xf bank_mask:0xf
	s_delay_alu instid0(VALU_DEP_1) | instskip(NEXT) | instid1(VALU_DEP_1)
	v_cndmask_b32_e64 v38, 0, v38, s4
	v_add_nc_u32_e32 v37, v37, v38
	s_delay_alu instid0(VALU_DEP_1) | instskip(NEXT) | instid1(VALU_DEP_1)
	v_mov_b32_dpp v38, v37 row_shr:8 row_mask:0xf bank_mask:0xf
	v_cndmask_b32_e64 v38, 0, v38, s1
	s_delay_alu instid0(VALU_DEP_1)
	v_add_nc_u32_e32 v37, v37, v38
	ds_store_b32 v36, v37
.LBB381_392:
	s_or_b32 exec_lo, exec_lo, s7
	v_cmp_gt_u32_e32 vcc_lo, 32, v0
	s_mov_b32 s12, exec_lo
	s_waitcnt lgkmcnt(0)
	s_barrier
	buffer_gl0_inv
                                        ; implicit-def: $vgpr43
	v_cmpx_lt_u32_e32 31, v0
	s_cbranch_execz .LBB381_394
; %bb.393:
	v_lshl_add_u32 v36, v58, 2, -4
	ds_load_b32 v43, v36
	s_waitcnt lgkmcnt(0)
	v_add_nc_u32_e32 v35, v43, v35
.LBB381_394:
	s_or_b32 exec_lo, exec_lo, s12
	v_add_nc_u32_e32 v36, -1, v57
	s_delay_alu instid0(VALU_DEP_1) | instskip(NEXT) | instid1(VALU_DEP_1)
	v_cmp_gt_i32_e64 s7, 0, v36
	v_cndmask_b32_e64 v36, v36, v57, s7
	v_cmp_eq_u32_e64 s7, 0, v57
	s_delay_alu instid0(VALU_DEP_2)
	v_lshlrev_b32_e32 v36, 2, v36
	ds_bpermute_b32 v45, v36, v35
	s_and_saveexec_b32 s12, vcc_lo
	s_cbranch_execz .LBB381_412
; %bb.395:
	v_mov_b32_e32 v38, 0
	ds_load_b32 v35, v38 offset:60
	s_and_saveexec_b32 s13, s7
	s_cbranch_execz .LBB381_397
; %bb.396:
	s_add_i32 s14, s30, 32
	s_mov_b32 s15, 0
	v_mov_b32_e32 v36, 1
	s_lshl_b64 s[14:15], s[14:15], 3
	s_delay_alu instid0(SALU_CYCLE_1)
	s_add_u32 s14, s22, s14
	s_addc_u32 s15, s23, s15
	s_waitcnt lgkmcnt(0)
	global_store_b64 v38, v[35:36], s[14:15]
.LBB381_397:
	s_or_b32 exec_lo, exec_lo, s13
	v_xad_u32 v36, v57, -1, s30
	s_mov_b32 s14, 0
	s_mov_b32 s13, exec_lo
	s_delay_alu instid0(VALU_DEP_1) | instskip(NEXT) | instid1(VALU_DEP_1)
	v_add_nc_u32_e32 v37, 32, v36
	v_lshlrev_b64 v[37:38], 3, v[37:38]
	s_delay_alu instid0(VALU_DEP_1) | instskip(NEXT) | instid1(VALU_DEP_2)
	v_add_co_u32 v40, vcc_lo, s22, v37
	v_add_co_ci_u32_e32 v41, vcc_lo, s23, v38, vcc_lo
	global_load_b64 v[38:39], v[40:41], off glc
	s_waitcnt vmcnt(0)
	v_and_b32_e32 v37, 0xff, v39
	s_delay_alu instid0(VALU_DEP_1)
	v_cmpx_eq_u16_e32 0, v37
	s_cbranch_execz .LBB381_400
.LBB381_398:                            ; =>This Inner Loop Header: Depth=1
	global_load_b64 v[38:39], v[40:41], off glc
	s_waitcnt vmcnt(0)
	v_and_b32_e32 v37, 0xff, v39
	s_delay_alu instid0(VALU_DEP_1) | instskip(SKIP_1) | instid1(SALU_CYCLE_1)
	v_cmp_ne_u16_e32 vcc_lo, 0, v37
	s_or_b32 s14, vcc_lo, s14
	s_and_not1_b32 exec_lo, exec_lo, s14
	s_cbranch_execnz .LBB381_398
; %bb.399:
	s_or_b32 exec_lo, exec_lo, s14
.LBB381_400:
	s_delay_alu instid0(SALU_CYCLE_1)
	s_or_b32 exec_lo, exec_lo, s13
	v_cmp_ne_u32_e32 vcc_lo, 31, v57
	v_lshlrev_b32_e64 v49, v57, -1
	v_add_nc_u32_e32 v53, 2, v57
	v_add_nc_u32_e32 v61, 4, v57
	;; [unrolled: 1-line block ×3, first 2 shown]
	v_add_co_ci_u32_e32 v37, vcc_lo, 0, v57, vcc_lo
	v_add_nc_u32_e32 v66, 16, v57
	s_delay_alu instid0(VALU_DEP_2)
	v_lshlrev_b32_e32 v47, 2, v37
	v_and_b32_e32 v37, 0xff, v39
	ds_bpermute_b32 v40, v47, v38
	v_cmp_eq_u16_e32 vcc_lo, 2, v37
	v_and_or_b32 v37, vcc_lo, v49, 0x80000000
	v_cmp_gt_u32_e32 vcc_lo, 30, v57
	s_delay_alu instid0(VALU_DEP_2) | instskip(SKIP_1) | instid1(VALU_DEP_2)
	v_ctz_i32_b32_e32 v37, v37
	v_cndmask_b32_e64 v41, 0, 1, vcc_lo
	v_cmp_lt_u32_e32 vcc_lo, v57, v37
	s_waitcnt lgkmcnt(0)
	s_delay_alu instid0(VALU_DEP_2) | instskip(NEXT) | instid1(VALU_DEP_1)
	v_dual_cndmask_b32 v40, 0, v40 :: v_dual_lshlrev_b32 v41, 1, v41
	v_add_lshl_u32 v51, v41, v57, 2
	v_cmp_gt_u32_e32 vcc_lo, 28, v57
	s_delay_alu instid0(VALU_DEP_3) | instskip(SKIP_4) | instid1(VALU_DEP_1)
	v_add_nc_u32_e32 v38, v40, v38
	v_cndmask_b32_e64 v41, 0, 1, vcc_lo
	v_cmp_le_u32_e32 vcc_lo, v53, v37
	ds_bpermute_b32 v40, v51, v38
	v_lshlrev_b32_e32 v41, 2, v41
	v_add_lshl_u32 v60, v41, v57, 2
	s_waitcnt lgkmcnt(0)
	v_cndmask_b32_e32 v40, 0, v40, vcc_lo
	v_cmp_gt_u32_e32 vcc_lo, 24, v57
	s_delay_alu instid0(VALU_DEP_2) | instskip(SKIP_4) | instid1(VALU_DEP_1)
	v_add_nc_u32_e32 v38, v38, v40
	v_cndmask_b32_e64 v41, 0, 1, vcc_lo
	v_cmp_le_u32_e32 vcc_lo, v61, v37
	ds_bpermute_b32 v40, v60, v38
	v_lshlrev_b32_e32 v41, 3, v41
	v_add_lshl_u32 v63, v41, v57, 2
	s_waitcnt lgkmcnt(0)
	v_cndmask_b32_e32 v40, 0, v40, vcc_lo
	v_cmp_gt_u32_e32 vcc_lo, 16, v57
	s_delay_alu instid0(VALU_DEP_2) | instskip(SKIP_4) | instid1(VALU_DEP_1)
	v_add_nc_u32_e32 v38, v38, v40
	v_cndmask_b32_e64 v41, 0, 1, vcc_lo
	v_cmp_le_u32_e32 vcc_lo, v64, v37
	ds_bpermute_b32 v40, v63, v38
	v_lshlrev_b32_e32 v41, 4, v41
	v_add_lshl_u32 v65, v41, v57, 2
	s_waitcnt lgkmcnt(0)
	v_cndmask_b32_e32 v40, 0, v40, vcc_lo
	v_cmp_le_u32_e32 vcc_lo, v66, v37
	s_delay_alu instid0(VALU_DEP_2) | instskip(SKIP_3) | instid1(VALU_DEP_1)
	v_add_nc_u32_e32 v38, v38, v40
	ds_bpermute_b32 v40, v65, v38
	s_waitcnt lgkmcnt(0)
	v_cndmask_b32_e32 v37, 0, v40, vcc_lo
	v_dual_mov_b32 v37, 0 :: v_dual_add_nc_u32 v38, v38, v37
	s_branch .LBB381_402
.LBB381_401:                            ;   in Loop: Header=BB381_402 Depth=1
	s_or_b32 exec_lo, exec_lo, s13
	ds_bpermute_b32 v41, v47, v38
	v_and_b32_e32 v40, 0xff, v39
	v_subrev_nc_u32_e32 v36, 32, v36
	s_delay_alu instid0(VALU_DEP_2) | instskip(SKIP_1) | instid1(VALU_DEP_1)
	v_cmp_eq_u16_e32 vcc_lo, 2, v40
	v_and_or_b32 v40, vcc_lo, v49, 0x80000000
	v_ctz_i32_b32_e32 v40, v40
	s_delay_alu instid0(VALU_DEP_1) | instskip(SKIP_3) | instid1(VALU_DEP_2)
	v_cmp_lt_u32_e32 vcc_lo, v57, v40
	s_waitcnt lgkmcnt(0)
	v_cndmask_b32_e32 v41, 0, v41, vcc_lo
	v_cmp_le_u32_e32 vcc_lo, v53, v40
	v_add_nc_u32_e32 v38, v41, v38
	ds_bpermute_b32 v41, v51, v38
	s_waitcnt lgkmcnt(0)
	v_cndmask_b32_e32 v41, 0, v41, vcc_lo
	v_cmp_le_u32_e32 vcc_lo, v61, v40
	s_delay_alu instid0(VALU_DEP_2) | instskip(SKIP_4) | instid1(VALU_DEP_2)
	v_add_nc_u32_e32 v38, v38, v41
	ds_bpermute_b32 v41, v60, v38
	s_waitcnt lgkmcnt(0)
	v_cndmask_b32_e32 v41, 0, v41, vcc_lo
	v_cmp_le_u32_e32 vcc_lo, v64, v40
	v_add_nc_u32_e32 v38, v38, v41
	ds_bpermute_b32 v41, v63, v38
	s_waitcnt lgkmcnt(0)
	v_cndmask_b32_e32 v41, 0, v41, vcc_lo
	v_cmp_le_u32_e32 vcc_lo, v66, v40
	s_delay_alu instid0(VALU_DEP_2) | instskip(SKIP_3) | instid1(VALU_DEP_1)
	v_add_nc_u32_e32 v38, v38, v41
	ds_bpermute_b32 v41, v65, v38
	s_waitcnt lgkmcnt(0)
	v_cndmask_b32_e32 v40, 0, v41, vcc_lo
	v_add3_u32 v38, v40, v62, v38
.LBB381_402:                            ; =>This Loop Header: Depth=1
                                        ;     Child Loop BB381_405 Depth 2
	s_delay_alu instid0(VALU_DEP_1) | instskip(NEXT) | instid1(VALU_DEP_1)
	v_dual_mov_b32 v62, v38 :: v_dual_and_b32 v39, 0xff, v39
	v_cmp_ne_u16_e32 vcc_lo, 2, v39
	v_cndmask_b32_e64 v39, 0, 1, vcc_lo
	;;#ASMSTART
	;;#ASMEND
	s_delay_alu instid0(VALU_DEP_1)
	v_cmp_ne_u32_e32 vcc_lo, 0, v39
	s_cmp_lg_u32 vcc_lo, exec_lo
	s_cbranch_scc1 .LBB381_407
; %bb.403:                              ;   in Loop: Header=BB381_402 Depth=1
	v_lshlrev_b64 v[38:39], 3, v[36:37]
	s_mov_b32 s13, exec_lo
	s_delay_alu instid0(VALU_DEP_1) | instskip(NEXT) | instid1(VALU_DEP_2)
	v_add_co_u32 v40, vcc_lo, s22, v38
	v_add_co_ci_u32_e32 v41, vcc_lo, s23, v39, vcc_lo
	global_load_b64 v[38:39], v[40:41], off glc
	s_waitcnt vmcnt(0)
	v_and_b32_e32 v67, 0xff, v39
	s_delay_alu instid0(VALU_DEP_1)
	v_cmpx_eq_u16_e32 0, v67
	s_cbranch_execz .LBB381_401
; %bb.404:                              ;   in Loop: Header=BB381_402 Depth=1
	s_mov_b32 s14, 0
.LBB381_405:                            ;   Parent Loop BB381_402 Depth=1
                                        ; =>  This Inner Loop Header: Depth=2
	global_load_b64 v[38:39], v[40:41], off glc
	s_waitcnt vmcnt(0)
	v_and_b32_e32 v67, 0xff, v39
	s_delay_alu instid0(VALU_DEP_1) | instskip(SKIP_1) | instid1(SALU_CYCLE_1)
	v_cmp_ne_u16_e32 vcc_lo, 0, v67
	s_or_b32 s14, vcc_lo, s14
	s_and_not1_b32 exec_lo, exec_lo, s14
	s_cbranch_execnz .LBB381_405
; %bb.406:                              ;   in Loop: Header=BB381_402 Depth=1
	s_or_b32 exec_lo, exec_lo, s14
	s_branch .LBB381_401
.LBB381_407:                            ;   in Loop: Header=BB381_402 Depth=1
                                        ; implicit-def: $vgpr38
                                        ; implicit-def: $vgpr39
	s_cbranch_execz .LBB381_402
; %bb.408:
	s_and_saveexec_b32 s13, s7
	s_cbranch_execz .LBB381_410
; %bb.409:
	s_add_i32 s14, s30, 32
	s_mov_b32 s15, 0
	v_dual_mov_b32 v37, 2 :: v_dual_add_nc_u32 v36, v62, v35
	s_lshl_b64 s[14:15], s[14:15], 3
	v_mov_b32_e32 v38, 0
	v_add_nc_u32_e64 v39, 0x8400, 0
	s_add_u32 s14, s22, s14
	s_addc_u32 s15, s23, s15
	global_store_b64 v38, v[36:37], s[14:15]
	ds_store_2addr_b32 v39, v35, v62 offset1:2
.LBB381_410:
	s_or_b32 exec_lo, exec_lo, s13
	s_delay_alu instid0(SALU_CYCLE_1)
	s_and_b32 exec_lo, exec_lo, s2
	s_cbranch_execz .LBB381_412
; %bb.411:
	v_mov_b32_e32 v35, 0
	ds_store_b32 v35, v62 offset:60
.LBB381_412:
	s_or_b32 exec_lo, exec_lo, s12
	v_mov_b32_e32 v35, 0
	s_waitcnt lgkmcnt(0)
	s_waitcnt_vscnt null, 0x0
	s_barrier
	buffer_gl0_inv
	v_cndmask_b32_e64 v36, v45, v43, s7
	ds_load_b32 v35, v35 offset:60
	s_waitcnt lgkmcnt(0)
	s_barrier
	buffer_gl0_inv
	v_cndmask_b32_e64 v36, v36, 0, s2
	s_delay_alu instid0(VALU_DEP_1) | instskip(SKIP_1) | instid1(VALU_DEP_2)
	v_add_nc_u32_e32 v53, v35, v36
	v_add_nc_u32_e64 v35, 0x8400, 0
	v_add_nc_u32_e32 v51, v53, v42
	ds_load_2addr_b32 v[35:36], v35 offset1:2
	v_add_nc_u32_e32 v49, v51, v44
	s_delay_alu instid0(VALU_DEP_1) | instskip(NEXT) | instid1(VALU_DEP_1)
	v_add_nc_u32_e32 v47, v49, v46
	v_add_nc_u32_e32 v45, v47, v48
	s_delay_alu instid0(VALU_DEP_1) | instskip(SKIP_2) | instid1(VALU_DEP_2)
	v_add_nc_u32_e32 v43, v45, v50
	s_waitcnt lgkmcnt(0)
	v_readfirstlane_b32 s12, v36
	v_add_nc_u32_e32 v41, v43, v52
	s_delay_alu instid0(VALU_DEP_1)
	v_add_nc_u32_e32 v39, v41, v54
	v_lshrrev_b64 v[37:38], 24, v[33:34]
	s_branch .LBB381_423
.LBB381_413:
                                        ; implicit-def: $vgpr39
                                        ; implicit-def: $vgpr41
                                        ; implicit-def: $vgpr43
                                        ; implicit-def: $vgpr45
                                        ; implicit-def: $vgpr47
                                        ; implicit-def: $vgpr49
                                        ; implicit-def: $vgpr51
                                        ; implicit-def: $vgpr53
                                        ; implicit-def: $sgpr12
                                        ; implicit-def: $vgpr35
	v_lshrrev_b64 v[37:38], 24, v[33:34]
	s_and_b32 vcc_lo, exec_lo, s7
	s_cbranch_vccz .LBB381_423
; %bb.414:
	v_mov_b32_dpp v35, v59 row_shr:1 row_mask:0xf bank_mask:0xf
	s_delay_alu instid0(VALU_DEP_1) | instskip(NEXT) | instid1(VALU_DEP_1)
	v_cndmask_b32_e64 v35, v35, 0, s3
	v_add_nc_u32_e32 v35, v35, v59
	s_delay_alu instid0(VALU_DEP_1) | instskip(NEXT) | instid1(VALU_DEP_1)
	v_mov_b32_dpp v36, v35 row_shr:2 row_mask:0xf bank_mask:0xf
	v_cndmask_b32_e64 v36, 0, v36, s0
	s_delay_alu instid0(VALU_DEP_1) | instskip(NEXT) | instid1(VALU_DEP_1)
	v_add_nc_u32_e32 v35, v35, v36
	v_mov_b32_dpp v36, v35 row_shr:4 row_mask:0xf bank_mask:0xf
	s_delay_alu instid0(VALU_DEP_1) | instskip(NEXT) | instid1(VALU_DEP_1)
	v_cndmask_b32_e64 v36, 0, v36, s4
	v_add_nc_u32_e32 v35, v35, v36
	s_delay_alu instid0(VALU_DEP_1) | instskip(NEXT) | instid1(VALU_DEP_1)
	v_mov_b32_dpp v36, v35 row_shr:8 row_mask:0xf bank_mask:0xf
	v_cndmask_b32_e64 v36, 0, v36, s1
	s_delay_alu instid0(VALU_DEP_1) | instskip(SKIP_3) | instid1(VALU_DEP_1)
	v_add_nc_u32_e32 v35, v35, v36
	ds_swizzle_b32 v36, v35 offset:swizzle(BROADCAST,32,15)
	s_waitcnt lgkmcnt(0)
	v_cndmask_b32_e64 v36, v36, 0, s6
	v_add_nc_u32_e32 v35, v35, v36
	s_and_saveexec_b32 s6, s5
	s_cbranch_execz .LBB381_416
; %bb.415:
	v_lshlrev_b32_e32 v36, 2, v58
	ds_store_b32 v36, v35
.LBB381_416:
	s_or_b32 exec_lo, exec_lo, s6
	s_delay_alu instid0(SALU_CYCLE_1)
	s_mov_b32 s5, exec_lo
	s_waitcnt lgkmcnt(0)
	s_barrier
	buffer_gl0_inv
	v_cmpx_gt_u32_e32 16, v0
	s_cbranch_execz .LBB381_418
; %bb.417:
	v_lshlrev_b32_e32 v36, 2, v0
	ds_load_b32 v38, v36
	s_waitcnt lgkmcnt(0)
	v_mov_b32_dpp v39, v38 row_shr:1 row_mask:0xf bank_mask:0xf
	s_delay_alu instid0(VALU_DEP_1) | instskip(NEXT) | instid1(VALU_DEP_1)
	v_cndmask_b32_e64 v39, v39, 0, s3
	v_add_nc_u32_e32 v38, v39, v38
	s_delay_alu instid0(VALU_DEP_1) | instskip(NEXT) | instid1(VALU_DEP_1)
	v_mov_b32_dpp v39, v38 row_shr:2 row_mask:0xf bank_mask:0xf
	v_cndmask_b32_e64 v39, 0, v39, s0
	s_delay_alu instid0(VALU_DEP_1) | instskip(NEXT) | instid1(VALU_DEP_1)
	v_add_nc_u32_e32 v38, v38, v39
	v_mov_b32_dpp v39, v38 row_shr:4 row_mask:0xf bank_mask:0xf
	s_delay_alu instid0(VALU_DEP_1) | instskip(NEXT) | instid1(VALU_DEP_1)
	v_cndmask_b32_e64 v39, 0, v39, s4
	v_add_nc_u32_e32 v38, v38, v39
	s_delay_alu instid0(VALU_DEP_1) | instskip(NEXT) | instid1(VALU_DEP_1)
	v_mov_b32_dpp v39, v38 row_shr:8 row_mask:0xf bank_mask:0xf
	v_cndmask_b32_e64 v39, 0, v39, s1
	s_delay_alu instid0(VALU_DEP_1)
	v_add_nc_u32_e32 v38, v38, v39
	ds_store_b32 v36, v38
.LBB381_418:
	s_or_b32 exec_lo, exec_lo, s5
	v_mov_b32_e32 v36, 0
	v_mov_b32_e32 v38, 0
	s_mov_b32 s0, exec_lo
	s_waitcnt lgkmcnt(0)
	s_barrier
	buffer_gl0_inv
	v_cmpx_lt_u32_e32 31, v0
	s_cbranch_execz .LBB381_420
; %bb.419:
	v_lshl_add_u32 v38, v58, 2, -4
	ds_load_b32 v38, v38
.LBB381_420:
	s_or_b32 exec_lo, exec_lo, s0
	v_add_nc_u32_e32 v39, -1, v57
	s_waitcnt lgkmcnt(0)
	v_add_nc_u32_e32 v35, v38, v35
	s_mov_b32 s12, 0
	s_delay_alu instid0(VALU_DEP_2) | instskip(SKIP_1) | instid1(VALU_DEP_1)
	v_cmp_gt_i32_e32 vcc_lo, 0, v39
	v_cndmask_b32_e32 v39, v39, v57, vcc_lo
	v_lshlrev_b32_e32 v39, 2, v39
	ds_bpermute_b32 v39, v39, v35
	ds_load_b32 v35, v36 offset:60
	s_and_saveexec_b32 s0, s2
	s_cbranch_execz .LBB381_422
; %bb.421:
	v_mov_b32_e32 v40, 0
	v_mov_b32_e32 v36, 2
	s_waitcnt lgkmcnt(0)
	global_store_b64 v40, v[35:36], s[22:23] offset:256
.LBB381_422:
	s_or_b32 exec_lo, exec_lo, s0
	v_cmp_eq_u32_e32 vcc_lo, 0, v57
	s_waitcnt lgkmcnt(0)
	s_waitcnt_vscnt null, 0x0
	s_barrier
	buffer_gl0_inv
	v_cndmask_b32_e32 v36, v39, v38, vcc_lo
	s_delay_alu instid0(VALU_DEP_1) | instskip(NEXT) | instid1(VALU_DEP_1)
	v_cndmask_b32_e64 v53, v36, 0, s2
	v_add_nc_u32_e32 v51, v53, v42
	s_delay_alu instid0(VALU_DEP_1) | instskip(NEXT) | instid1(VALU_DEP_1)
	v_add_nc_u32_e32 v49, v51, v44
	v_add_nc_u32_e32 v47, v49, v46
	s_delay_alu instid0(VALU_DEP_1) | instskip(NEXT) | instid1(VALU_DEP_1)
	v_add_nc_u32_e32 v45, v47, v48
	;; [unrolled: 3-line block ×3, first 2 shown]
	v_add_nc_u32_e32 v39, v41, v54
.LBB381_423:
	v_add_nc_u32_e32 v59, s12, v35
	v_cmp_gt_u32_e64 s0, 0x201, v35
	v_lshrrev_b32_e32 v58, 8, v33
	v_lshrrev_b32_e32 v57, 16, v33
	v_lshrrev_b32_e32 v38, 8, v34
	v_lshrrev_b32_e32 v36, 16, v34
	v_cmp_lt_u32_e64 s1, v53, v59
	s_and_b32 vcc_lo, exec_lo, s0
	s_mov_b32 s3, -1
	s_cbranch_vccz .LBB381_449
; %bb.424:
	s_delay_alu instid0(VALU_DEP_1) | instskip(NEXT) | instid1(SALU_CYCLE_1)
	s_or_b32 s3, s29, s1
	s_and_saveexec_b32 s1, s3
	s_cbranch_execz .LBB381_427
; %bb.425:
	v_and_b32_e32 v40, 1, v33
	s_delay_alu instid0(VALU_DEP_1)
	v_cmp_eq_u32_e32 vcc_lo, 1, v40
	s_and_b32 exec_lo, exec_lo, vcc_lo
	s_cbranch_execz .LBB381_427
; %bb.426:
	v_mov_b32_e32 v54, 0
	s_lshl_b64 s[4:5], s[10:11], 3
	s_delay_alu instid0(SALU_CYCLE_1) | instskip(SKIP_1) | instid1(VALU_DEP_1)
	s_add_u32 s3, s16, s4
	s_addc_u32 s4, s17, s5
	v_lshlrev_b64 v[60:61], 3, v[53:54]
	s_delay_alu instid0(VALU_DEP_1) | instskip(NEXT) | instid1(VALU_DEP_2)
	v_add_co_u32 v60, vcc_lo, s3, v60
	v_add_co_ci_u32_e32 v61, vcc_lo, s4, v61, vcc_lo
	global_store_b64 v[60:61], v[29:30], off
.LBB381_427:
	s_or_b32 exec_lo, exec_lo, s1
	v_cmp_lt_u32_e32 vcc_lo, v51, v59
	s_or_b32 s3, s29, vcc_lo
	s_delay_alu instid0(SALU_CYCLE_1)
	s_and_saveexec_b32 s1, s3
	s_cbranch_execz .LBB381_430
; %bb.428:
	v_and_b32_e32 v40, 1, v58
	s_delay_alu instid0(VALU_DEP_1)
	v_cmp_eq_u32_e32 vcc_lo, 1, v40
	s_and_b32 exec_lo, exec_lo, vcc_lo
	s_cbranch_execz .LBB381_430
; %bb.429:
	v_mov_b32_e32 v52, 0
	s_lshl_b64 s[4:5], s[10:11], 3
	s_delay_alu instid0(SALU_CYCLE_1) | instskip(SKIP_1) | instid1(VALU_DEP_1)
	s_add_u32 s3, s16, s4
	s_addc_u32 s4, s17, s5
	v_lshlrev_b64 v[60:61], 3, v[51:52]
	s_delay_alu instid0(VALU_DEP_1) | instskip(NEXT) | instid1(VALU_DEP_2)
	v_add_co_u32 v60, vcc_lo, s3, v60
	v_add_co_ci_u32_e32 v61, vcc_lo, s4, v61, vcc_lo
	global_store_b64 v[60:61], v[31:32], off
.LBB381_430:
	s_or_b32 exec_lo, exec_lo, s1
	v_cmp_lt_u32_e32 vcc_lo, v49, v59
	s_or_b32 s3, s29, vcc_lo
	s_delay_alu instid0(SALU_CYCLE_1)
	;; [unrolled: 24-line block ×7, first 2 shown]
	s_and_saveexec_b32 s1, s3
	s_cbranch_execz .LBB381_448
; %bb.446:
	v_and_b32_e32 v40, 1, v56
	s_delay_alu instid0(VALU_DEP_1)
	v_cmp_eq_u32_e32 vcc_lo, 1, v40
	s_and_b32 exec_lo, exec_lo, vcc_lo
	s_cbranch_execz .LBB381_448
; %bb.447:
	v_mov_b32_e32 v40, 0
	s_lshl_b64 s[4:5], s[10:11], 3
	s_delay_alu instid0(SALU_CYCLE_1) | instskip(SKIP_1) | instid1(VALU_DEP_1)
	s_add_u32 s3, s16, s4
	s_addc_u32 s4, s17, s5
	v_lshlrev_b64 v[60:61], 3, v[39:40]
	s_delay_alu instid0(VALU_DEP_1) | instskip(NEXT) | instid1(VALU_DEP_2)
	v_add_co_u32 v60, vcc_lo, s3, v60
	v_add_co_ci_u32_e32 v61, vcc_lo, s4, v61, vcc_lo
	global_store_b64 v[60:61], v[19:20], off
.LBB381_448:
	s_or_b32 exec_lo, exec_lo, s1
	s_mov_b32 s3, 0
.LBB381_449:
	v_and_b32_e32 v33, 1, v33
	s_and_b32 vcc_lo, exec_lo, s3
	s_delay_alu instid0(VALU_DEP_1)
	v_cmp_eq_u32_e64 s1, 1, v33
	s_cbranch_vccz .LBB381_470
; %bb.450:
	s_delay_alu instid0(VALU_DEP_1)
	s_and_saveexec_b32 s3, s1
	s_cbranch_execz .LBB381_452
; %bb.451:
	v_subrev_nc_u32_e32 v40, s12, v53
	s_delay_alu instid0(VALU_DEP_1)
	v_lshlrev_b32_e32 v40, 3, v40
	ds_store_b64 v40, v[29:30]
.LBB381_452:
	s_or_b32 exec_lo, exec_lo, s3
	v_and_b32_e32 v29, 1, v58
	s_mov_b32 s1, exec_lo
	s_delay_alu instid0(VALU_DEP_1)
	v_cmpx_eq_u32_e32 1, v29
	s_cbranch_execz .LBB381_454
; %bb.453:
	v_subrev_nc_u32_e32 v29, s12, v51
	s_delay_alu instid0(VALU_DEP_1)
	v_lshlrev_b32_e32 v29, 3, v29
	ds_store_b64 v29, v[31:32]
.LBB381_454:
	s_or_b32 exec_lo, exec_lo, s1
	v_and_b32_e32 v29, 1, v57
	s_mov_b32 s1, exec_lo
	s_delay_alu instid0(VALU_DEP_1)
	v_cmpx_eq_u32_e32 1, v29
	;; [unrolled: 12-line block ×7, first 2 shown]
	s_cbranch_execz .LBB381_466
; %bb.465:
	v_subrev_nc_u32_e32 v17, s12, v39
	s_delay_alu instid0(VALU_DEP_1)
	v_lshlrev_b32_e32 v17, 3, v17
	ds_store_b64 v17, v[19:20]
.LBB381_466:
	s_or_b32 exec_lo, exec_lo, s1
	s_delay_alu instid0(SALU_CYCLE_1)
	s_mov_b32 s3, exec_lo
	s_waitcnt lgkmcnt(0)
	s_waitcnt_vscnt null, 0x0
	s_barrier
	buffer_gl0_inv
	v_cmpx_lt_u32_e64 v0, v35
	s_cbranch_execz .LBB381_469
; %bb.467:
	s_mov_b32 s13, 0
	s_lshl_b64 s[4:5], s[10:11], 3
	s_lshl_b64 s[6:7], s[12:13], 3
	v_dual_mov_b32 v19, v55 :: v_dual_mov_b32 v20, v0
	s_add_u32 s1, s4, s6
	s_addc_u32 s4, s5, s7
	s_add_u32 s1, s16, s1
	s_addc_u32 s4, s17, s4
	v_add_co_u32 v17, s1, s1, v55
	s_delay_alu instid0(VALU_DEP_1)
	v_add_co_ci_u32_e64 v18, null, s4, 0, s1
	.p2align	6
.LBB381_468:                            ; =>This Inner Loop Header: Depth=1
	ds_load_b64 v[21:22], v19
	v_add_nc_u32_e32 v20, 0x200, v20
	v_add_nc_u32_e32 v19, 0x1000, v19
	s_delay_alu instid0(VALU_DEP_2) | instskip(SKIP_4) | instid1(VALU_DEP_1)
	v_cmp_ge_u32_e32 vcc_lo, v20, v35
	s_or_b32 s13, vcc_lo, s13
	s_waitcnt lgkmcnt(0)
	global_store_b64 v[17:18], v[21:22], off
	v_add_co_u32 v17, s1, 0x1000, v17
	v_add_co_ci_u32_e64 v18, s1, 0, v18, s1
	s_and_not1_b32 exec_lo, exec_lo, s13
	s_cbranch_execnz .LBB381_468
.LBB381_469:
	s_or_b32 exec_lo, exec_lo, s3
.LBB381_470:
	s_delay_alu instid0(SALU_CYCLE_1)
	s_and_b32 vcc_lo, exec_lo, s0
	s_mov_b32 s0, -1
	s_waitcnt_vscnt null, 0x0
	s_barrier
	buffer_gl0_inv
	s_cbranch_vccz .LBB381_498
; %bb.471:
	v_cmp_lt_u32_e32 vcc_lo, v53, v59
	s_or_b32 s1, s29, vcc_lo
	s_delay_alu instid0(SALU_CYCLE_1)
	s_and_saveexec_b32 s0, s1
	s_cbranch_execz .LBB381_474
; %bb.472:
	v_cmp_eq_u32_e32 vcc_lo, 1, v33
	s_and_b32 exec_lo, exec_lo, vcc_lo
	s_cbranch_execz .LBB381_474
; %bb.473:
	v_mov_b32_e32 v54, 0
	s_lshl_b64 s[4:5], s[10:11], 3
	s_delay_alu instid0(SALU_CYCLE_1) | instskip(SKIP_1) | instid1(VALU_DEP_1)
	s_add_u32 s1, s18, s4
	s_addc_u32 s3, s19, s5
	v_lshlrev_b64 v[17:18], 3, v[53:54]
	s_delay_alu instid0(VALU_DEP_1) | instskip(NEXT) | instid1(VALU_DEP_2)
	v_add_co_u32 v17, vcc_lo, s1, v17
	v_add_co_ci_u32_e32 v18, vcc_lo, s3, v18, vcc_lo
	global_store_b64 v[17:18], v[13:14], off
.LBB381_474:
	s_or_b32 exec_lo, exec_lo, s0
	v_cmp_lt_u32_e32 vcc_lo, v51, v59
	s_or_b32 s1, s29, vcc_lo
	s_delay_alu instid0(SALU_CYCLE_1)
	s_and_saveexec_b32 s0, s1
	s_cbranch_execz .LBB381_477
; %bb.475:
	v_and_b32_e32 v17, 1, v58
	s_delay_alu instid0(VALU_DEP_1)
	v_cmp_eq_u32_e32 vcc_lo, 1, v17
	s_and_b32 exec_lo, exec_lo, vcc_lo
	s_cbranch_execz .LBB381_477
; %bb.476:
	v_mov_b32_e32 v52, 0
	s_lshl_b64 s[4:5], s[10:11], 3
	s_delay_alu instid0(SALU_CYCLE_1) | instskip(SKIP_1) | instid1(VALU_DEP_1)
	s_add_u32 s1, s18, s4
	s_addc_u32 s3, s19, s5
	v_lshlrev_b64 v[17:18], 3, v[51:52]
	s_delay_alu instid0(VALU_DEP_1) | instskip(NEXT) | instid1(VALU_DEP_2)
	v_add_co_u32 v17, vcc_lo, s1, v17
	v_add_co_ci_u32_e32 v18, vcc_lo, s3, v18, vcc_lo
	global_store_b64 v[17:18], v[15:16], off
.LBB381_477:
	s_or_b32 exec_lo, exec_lo, s0
	v_cmp_lt_u32_e32 vcc_lo, v49, v59
	s_or_b32 s1, s29, vcc_lo
	s_delay_alu instid0(SALU_CYCLE_1)
	s_and_saveexec_b32 s0, s1
	s_cbranch_execz .LBB381_480
; %bb.478:
	v_and_b32_e32 v17, 1, v57
	s_delay_alu instid0(VALU_DEP_1)
	v_cmp_eq_u32_e32 vcc_lo, 1, v17
	s_and_b32 exec_lo, exec_lo, vcc_lo
	s_cbranch_execz .LBB381_480
; %bb.479:
	v_mov_b32_e32 v50, 0
	s_lshl_b64 s[4:5], s[10:11], 3
	s_delay_alu instid0(SALU_CYCLE_1) | instskip(SKIP_1) | instid1(VALU_DEP_1)
	s_add_u32 s1, s18, s4
	s_addc_u32 s3, s19, s5
	v_lshlrev_b64 v[17:18], 3, v[49:50]
	s_delay_alu instid0(VALU_DEP_1) | instskip(NEXT) | instid1(VALU_DEP_2)
	v_add_co_u32 v17, vcc_lo, s1, v17
	v_add_co_ci_u32_e32 v18, vcc_lo, s3, v18, vcc_lo
	global_store_b64 v[17:18], v[9:10], off
.LBB381_480:
	;; [unrolled: 24-line block ×7, first 2 shown]
	s_or_b32 exec_lo, exec_lo, s0
.LBB381_496:
	s_and_b32 s0, s2, s28
	s_delay_alu instid0(SALU_CYCLE_1)
	s_and_saveexec_b32 s1, s0
	s_cbranch_execz .LBB381_519
.LBB381_497:
	v_add_co_u32 v0, s0, s10, v35
	s_delay_alu instid0(VALU_DEP_1) | instskip(SKIP_1) | instid1(VALU_DEP_3)
	v_add_co_ci_u32_e64 v1, null, s11, 0, s0
	v_mov_b32_e32 v2, 0
	v_add_co_u32 v0, vcc_lo, v0, s12
	s_delay_alu instid0(VALU_DEP_3)
	v_add_co_ci_u32_e32 v1, vcc_lo, 0, v1, vcc_lo
	global_store_b64 v2, v[0:1], s[8:9]
	s_nop 0
	s_sendmsg sendmsg(MSG_DEALLOC_VGPRS)
	s_endpgm
.LBB381_498:
	s_and_b32 vcc_lo, exec_lo, s0
	s_cbranch_vccz .LBB381_496
; %bb.499:
	s_mov_b32 s0, exec_lo
	v_cmpx_eq_u32_e32 1, v33
	s_cbranch_execz .LBB381_501
; %bb.500:
	v_subrev_nc_u32_e32 v17, s12, v53
	s_delay_alu instid0(VALU_DEP_1)
	v_lshlrev_b32_e32 v17, 3, v17
	ds_store_b64 v17, v[13:14]
.LBB381_501:
	s_or_b32 exec_lo, exec_lo, s0
	v_and_b32_e32 v13, 1, v58
	s_mov_b32 s0, exec_lo
	s_delay_alu instid0(VALU_DEP_1)
	v_cmpx_eq_u32_e32 1, v13
	s_cbranch_execz .LBB381_503
; %bb.502:
	v_subrev_nc_u32_e32 v13, s12, v51
	s_delay_alu instid0(VALU_DEP_1)
	v_lshlrev_b32_e32 v13, 3, v13
	ds_store_b64 v13, v[15:16]
.LBB381_503:
	s_or_b32 exec_lo, exec_lo, s0
	v_and_b32_e32 v13, 1, v57
	s_mov_b32 s0, exec_lo
	s_delay_alu instid0(VALU_DEP_1)
	;; [unrolled: 12-line block ×7, first 2 shown]
	v_cmpx_eq_u32_e32 1, v1
	s_cbranch_execz .LBB381_515
; %bb.514:
	v_subrev_nc_u32_e32 v1, s12, v39
	s_delay_alu instid0(VALU_DEP_1)
	v_lshlrev_b32_e32 v1, 3, v1
	ds_store_b64 v1, v[3:4]
.LBB381_515:
	s_or_b32 exec_lo, exec_lo, s0
	s_delay_alu instid0(SALU_CYCLE_1)
	s_mov_b32 s1, exec_lo
	s_waitcnt lgkmcnt(0)
	s_waitcnt_vscnt null, 0x0
	s_barrier
	buffer_gl0_inv
	v_cmpx_lt_u32_e64 v0, v35
	s_cbranch_execz .LBB381_518
; %bb.516:
	s_mov_b32 s13, 0
	s_lshl_b64 s[4:5], s[10:11], 3
	s_lshl_b64 s[6:7], s[12:13], 3
	s_delay_alu instid0(SALU_CYCLE_1) | instskip(SKIP_4) | instid1(VALU_DEP_1)
	s_add_u32 s0, s4, s6
	s_addc_u32 s3, s5, s7
	s_add_u32 s0, s18, s0
	s_addc_u32 s3, s19, s3
	v_add_co_u32 v1, s0, s0, v55
	v_add_co_ci_u32_e64 v2, null, s3, 0, s0
	.p2align	6
.LBB381_517:                            ; =>This Inner Loop Header: Depth=1
	ds_load_b64 v[3:4], v55
	v_add_nc_u32_e32 v0, 0x200, v0
	v_add_nc_u32_e32 v55, 0x1000, v55
	s_delay_alu instid0(VALU_DEP_2) | instskip(SKIP_4) | instid1(VALU_DEP_1)
	v_cmp_ge_u32_e32 vcc_lo, v0, v35
	s_or_b32 s13, vcc_lo, s13
	s_waitcnt lgkmcnt(0)
	global_store_b64 v[1:2], v[3:4], off
	v_add_co_u32 v1, s0, 0x1000, v1
	v_add_co_ci_u32_e64 v2, s0, 0, v2, s0
	s_and_not1_b32 exec_lo, exec_lo, s13
	s_cbranch_execnz .LBB381_517
.LBB381_518:
	s_or_b32 exec_lo, exec_lo, s1
	s_and_b32 s0, s2, s28
	s_delay_alu instid0(SALU_CYCLE_1)
	s_and_saveexec_b32 s1, s0
	s_cbranch_execnz .LBB381_497
.LBB381_519:
	s_nop 0
	s_sendmsg sendmsg(MSG_DEALLOC_VGPRS)
	s_endpgm
	.section	.rodata,"a",@progbits
	.p2align	6, 0x0
	.amdhsa_kernel _ZN7rocprim17ROCPRIM_400000_NS6detail17trampoline_kernelINS0_14default_configENS1_25partition_config_selectorILNS1_17partition_subalgoE9EllbEEZZNS1_14partition_implILS5_9ELb0ES3_jPlS8_PNS0_10empty_typeENS0_5tupleIJS8_S9_EEENSB_IJS8_SA_EEENS0_18inequality_wrapperIZN2at6native12_GLOBAL__N_124unique_dim_cuda_templateIaEESt5tupleIJNSF_6TensorESK_SK_EERKSK_lbbbEUlllE0_EEPmJS9_EEE10hipError_tPvRmT3_T4_T5_T6_T7_T9_mT8_P12ihipStream_tbDpT10_ENKUlT_T0_E_clISt17integral_constantIbLb0EES19_IbLb1EEEEDaS15_S16_EUlS15_E_NS1_11comp_targetILNS1_3genE9ELNS1_11target_archE1100ELNS1_3gpuE3ELNS1_3repE0EEENS1_30default_config_static_selectorELNS0_4arch9wavefront6targetE0EEEvT1_
		.amdhsa_group_segment_fixed_size 33804
		.amdhsa_private_segment_fixed_size 0
		.amdhsa_kernarg_size 136
		.amdhsa_user_sgpr_count 15
		.amdhsa_user_sgpr_dispatch_ptr 0
		.amdhsa_user_sgpr_queue_ptr 0
		.amdhsa_user_sgpr_kernarg_segment_ptr 1
		.amdhsa_user_sgpr_dispatch_id 0
		.amdhsa_user_sgpr_private_segment_size 0
		.amdhsa_wavefront_size32 1
		.amdhsa_uses_dynamic_stack 0
		.amdhsa_enable_private_segment 0
		.amdhsa_system_sgpr_workgroup_id_x 1
		.amdhsa_system_sgpr_workgroup_id_y 0
		.amdhsa_system_sgpr_workgroup_id_z 0
		.amdhsa_system_sgpr_workgroup_info 0
		.amdhsa_system_vgpr_workitem_id 0
		.amdhsa_next_free_vgpr 68
		.amdhsa_next_free_sgpr 40
		.amdhsa_reserve_vcc 1
		.amdhsa_float_round_mode_32 0
		.amdhsa_float_round_mode_16_64 0
		.amdhsa_float_denorm_mode_32 3
		.amdhsa_float_denorm_mode_16_64 3
		.amdhsa_dx10_clamp 1
		.amdhsa_ieee_mode 1
		.amdhsa_fp16_overflow 0
		.amdhsa_workgroup_processor_mode 1
		.amdhsa_memory_ordered 1
		.amdhsa_forward_progress 0
		.amdhsa_shared_vgpr_count 0
		.amdhsa_exception_fp_ieee_invalid_op 0
		.amdhsa_exception_fp_denorm_src 0
		.amdhsa_exception_fp_ieee_div_zero 0
		.amdhsa_exception_fp_ieee_overflow 0
		.amdhsa_exception_fp_ieee_underflow 0
		.amdhsa_exception_fp_ieee_inexact 0
		.amdhsa_exception_int_div_zero 0
	.end_amdhsa_kernel
	.section	.text._ZN7rocprim17ROCPRIM_400000_NS6detail17trampoline_kernelINS0_14default_configENS1_25partition_config_selectorILNS1_17partition_subalgoE9EllbEEZZNS1_14partition_implILS5_9ELb0ES3_jPlS8_PNS0_10empty_typeENS0_5tupleIJS8_S9_EEENSB_IJS8_SA_EEENS0_18inequality_wrapperIZN2at6native12_GLOBAL__N_124unique_dim_cuda_templateIaEESt5tupleIJNSF_6TensorESK_SK_EERKSK_lbbbEUlllE0_EEPmJS9_EEE10hipError_tPvRmT3_T4_T5_T6_T7_T9_mT8_P12ihipStream_tbDpT10_ENKUlT_T0_E_clISt17integral_constantIbLb0EES19_IbLb1EEEEDaS15_S16_EUlS15_E_NS1_11comp_targetILNS1_3genE9ELNS1_11target_archE1100ELNS1_3gpuE3ELNS1_3repE0EEENS1_30default_config_static_selectorELNS0_4arch9wavefront6targetE0EEEvT1_,"axG",@progbits,_ZN7rocprim17ROCPRIM_400000_NS6detail17trampoline_kernelINS0_14default_configENS1_25partition_config_selectorILNS1_17partition_subalgoE9EllbEEZZNS1_14partition_implILS5_9ELb0ES3_jPlS8_PNS0_10empty_typeENS0_5tupleIJS8_S9_EEENSB_IJS8_SA_EEENS0_18inequality_wrapperIZN2at6native12_GLOBAL__N_124unique_dim_cuda_templateIaEESt5tupleIJNSF_6TensorESK_SK_EERKSK_lbbbEUlllE0_EEPmJS9_EEE10hipError_tPvRmT3_T4_T5_T6_T7_T9_mT8_P12ihipStream_tbDpT10_ENKUlT_T0_E_clISt17integral_constantIbLb0EES19_IbLb1EEEEDaS15_S16_EUlS15_E_NS1_11comp_targetILNS1_3genE9ELNS1_11target_archE1100ELNS1_3gpuE3ELNS1_3repE0EEENS1_30default_config_static_selectorELNS0_4arch9wavefront6targetE0EEEvT1_,comdat
.Lfunc_end381:
	.size	_ZN7rocprim17ROCPRIM_400000_NS6detail17trampoline_kernelINS0_14default_configENS1_25partition_config_selectorILNS1_17partition_subalgoE9EllbEEZZNS1_14partition_implILS5_9ELb0ES3_jPlS8_PNS0_10empty_typeENS0_5tupleIJS8_S9_EEENSB_IJS8_SA_EEENS0_18inequality_wrapperIZN2at6native12_GLOBAL__N_124unique_dim_cuda_templateIaEESt5tupleIJNSF_6TensorESK_SK_EERKSK_lbbbEUlllE0_EEPmJS9_EEE10hipError_tPvRmT3_T4_T5_T6_T7_T9_mT8_P12ihipStream_tbDpT10_ENKUlT_T0_E_clISt17integral_constantIbLb0EES19_IbLb1EEEEDaS15_S16_EUlS15_E_NS1_11comp_targetILNS1_3genE9ELNS1_11target_archE1100ELNS1_3gpuE3ELNS1_3repE0EEENS1_30default_config_static_selectorELNS0_4arch9wavefront6targetE0EEEvT1_, .Lfunc_end381-_ZN7rocprim17ROCPRIM_400000_NS6detail17trampoline_kernelINS0_14default_configENS1_25partition_config_selectorILNS1_17partition_subalgoE9EllbEEZZNS1_14partition_implILS5_9ELb0ES3_jPlS8_PNS0_10empty_typeENS0_5tupleIJS8_S9_EEENSB_IJS8_SA_EEENS0_18inequality_wrapperIZN2at6native12_GLOBAL__N_124unique_dim_cuda_templateIaEESt5tupleIJNSF_6TensorESK_SK_EERKSK_lbbbEUlllE0_EEPmJS9_EEE10hipError_tPvRmT3_T4_T5_T6_T7_T9_mT8_P12ihipStream_tbDpT10_ENKUlT_T0_E_clISt17integral_constantIbLb0EES19_IbLb1EEEEDaS15_S16_EUlS15_E_NS1_11comp_targetILNS1_3genE9ELNS1_11target_archE1100ELNS1_3gpuE3ELNS1_3repE0EEENS1_30default_config_static_selectorELNS0_4arch9wavefront6targetE0EEEvT1_
                                        ; -- End function
	.section	.AMDGPU.csdata,"",@progbits
; Kernel info:
; codeLenInByte = 18588
; NumSgprs: 42
; NumVgprs: 68
; ScratchSize: 0
; MemoryBound: 0
; FloatMode: 240
; IeeeMode: 1
; LDSByteSize: 33804 bytes/workgroup (compile time only)
; SGPRBlocks: 5
; VGPRBlocks: 8
; NumSGPRsForWavesPerEU: 42
; NumVGPRsForWavesPerEU: 68
; Occupancy: 12
; WaveLimiterHint : 1
; COMPUTE_PGM_RSRC2:SCRATCH_EN: 0
; COMPUTE_PGM_RSRC2:USER_SGPR: 15
; COMPUTE_PGM_RSRC2:TRAP_HANDLER: 0
; COMPUTE_PGM_RSRC2:TGID_X_EN: 1
; COMPUTE_PGM_RSRC2:TGID_Y_EN: 0
; COMPUTE_PGM_RSRC2:TGID_Z_EN: 0
; COMPUTE_PGM_RSRC2:TIDIG_COMP_CNT: 0
	.section	.text._ZN7rocprim17ROCPRIM_400000_NS6detail17trampoline_kernelINS0_14default_configENS1_25partition_config_selectorILNS1_17partition_subalgoE9EllbEEZZNS1_14partition_implILS5_9ELb0ES3_jPlS8_PNS0_10empty_typeENS0_5tupleIJS8_S9_EEENSB_IJS8_SA_EEENS0_18inequality_wrapperIZN2at6native12_GLOBAL__N_124unique_dim_cuda_templateIaEESt5tupleIJNSF_6TensorESK_SK_EERKSK_lbbbEUlllE0_EEPmJS9_EEE10hipError_tPvRmT3_T4_T5_T6_T7_T9_mT8_P12ihipStream_tbDpT10_ENKUlT_T0_E_clISt17integral_constantIbLb0EES19_IbLb1EEEEDaS15_S16_EUlS15_E_NS1_11comp_targetILNS1_3genE8ELNS1_11target_archE1030ELNS1_3gpuE2ELNS1_3repE0EEENS1_30default_config_static_selectorELNS0_4arch9wavefront6targetE0EEEvT1_,"axG",@progbits,_ZN7rocprim17ROCPRIM_400000_NS6detail17trampoline_kernelINS0_14default_configENS1_25partition_config_selectorILNS1_17partition_subalgoE9EllbEEZZNS1_14partition_implILS5_9ELb0ES3_jPlS8_PNS0_10empty_typeENS0_5tupleIJS8_S9_EEENSB_IJS8_SA_EEENS0_18inequality_wrapperIZN2at6native12_GLOBAL__N_124unique_dim_cuda_templateIaEESt5tupleIJNSF_6TensorESK_SK_EERKSK_lbbbEUlllE0_EEPmJS9_EEE10hipError_tPvRmT3_T4_T5_T6_T7_T9_mT8_P12ihipStream_tbDpT10_ENKUlT_T0_E_clISt17integral_constantIbLb0EES19_IbLb1EEEEDaS15_S16_EUlS15_E_NS1_11comp_targetILNS1_3genE8ELNS1_11target_archE1030ELNS1_3gpuE2ELNS1_3repE0EEENS1_30default_config_static_selectorELNS0_4arch9wavefront6targetE0EEEvT1_,comdat
	.globl	_ZN7rocprim17ROCPRIM_400000_NS6detail17trampoline_kernelINS0_14default_configENS1_25partition_config_selectorILNS1_17partition_subalgoE9EllbEEZZNS1_14partition_implILS5_9ELb0ES3_jPlS8_PNS0_10empty_typeENS0_5tupleIJS8_S9_EEENSB_IJS8_SA_EEENS0_18inequality_wrapperIZN2at6native12_GLOBAL__N_124unique_dim_cuda_templateIaEESt5tupleIJNSF_6TensorESK_SK_EERKSK_lbbbEUlllE0_EEPmJS9_EEE10hipError_tPvRmT3_T4_T5_T6_T7_T9_mT8_P12ihipStream_tbDpT10_ENKUlT_T0_E_clISt17integral_constantIbLb0EES19_IbLb1EEEEDaS15_S16_EUlS15_E_NS1_11comp_targetILNS1_3genE8ELNS1_11target_archE1030ELNS1_3gpuE2ELNS1_3repE0EEENS1_30default_config_static_selectorELNS0_4arch9wavefront6targetE0EEEvT1_ ; -- Begin function _ZN7rocprim17ROCPRIM_400000_NS6detail17trampoline_kernelINS0_14default_configENS1_25partition_config_selectorILNS1_17partition_subalgoE9EllbEEZZNS1_14partition_implILS5_9ELb0ES3_jPlS8_PNS0_10empty_typeENS0_5tupleIJS8_S9_EEENSB_IJS8_SA_EEENS0_18inequality_wrapperIZN2at6native12_GLOBAL__N_124unique_dim_cuda_templateIaEESt5tupleIJNSF_6TensorESK_SK_EERKSK_lbbbEUlllE0_EEPmJS9_EEE10hipError_tPvRmT3_T4_T5_T6_T7_T9_mT8_P12ihipStream_tbDpT10_ENKUlT_T0_E_clISt17integral_constantIbLb0EES19_IbLb1EEEEDaS15_S16_EUlS15_E_NS1_11comp_targetILNS1_3genE8ELNS1_11target_archE1030ELNS1_3gpuE2ELNS1_3repE0EEENS1_30default_config_static_selectorELNS0_4arch9wavefront6targetE0EEEvT1_
	.p2align	8
	.type	_ZN7rocprim17ROCPRIM_400000_NS6detail17trampoline_kernelINS0_14default_configENS1_25partition_config_selectorILNS1_17partition_subalgoE9EllbEEZZNS1_14partition_implILS5_9ELb0ES3_jPlS8_PNS0_10empty_typeENS0_5tupleIJS8_S9_EEENSB_IJS8_SA_EEENS0_18inequality_wrapperIZN2at6native12_GLOBAL__N_124unique_dim_cuda_templateIaEESt5tupleIJNSF_6TensorESK_SK_EERKSK_lbbbEUlllE0_EEPmJS9_EEE10hipError_tPvRmT3_T4_T5_T6_T7_T9_mT8_P12ihipStream_tbDpT10_ENKUlT_T0_E_clISt17integral_constantIbLb0EES19_IbLb1EEEEDaS15_S16_EUlS15_E_NS1_11comp_targetILNS1_3genE8ELNS1_11target_archE1030ELNS1_3gpuE2ELNS1_3repE0EEENS1_30default_config_static_selectorELNS0_4arch9wavefront6targetE0EEEvT1_,@function
_ZN7rocprim17ROCPRIM_400000_NS6detail17trampoline_kernelINS0_14default_configENS1_25partition_config_selectorILNS1_17partition_subalgoE9EllbEEZZNS1_14partition_implILS5_9ELb0ES3_jPlS8_PNS0_10empty_typeENS0_5tupleIJS8_S9_EEENSB_IJS8_SA_EEENS0_18inequality_wrapperIZN2at6native12_GLOBAL__N_124unique_dim_cuda_templateIaEESt5tupleIJNSF_6TensorESK_SK_EERKSK_lbbbEUlllE0_EEPmJS9_EEE10hipError_tPvRmT3_T4_T5_T6_T7_T9_mT8_P12ihipStream_tbDpT10_ENKUlT_T0_E_clISt17integral_constantIbLb0EES19_IbLb1EEEEDaS15_S16_EUlS15_E_NS1_11comp_targetILNS1_3genE8ELNS1_11target_archE1030ELNS1_3gpuE2ELNS1_3repE0EEENS1_30default_config_static_selectorELNS0_4arch9wavefront6targetE0EEEvT1_: ; @_ZN7rocprim17ROCPRIM_400000_NS6detail17trampoline_kernelINS0_14default_configENS1_25partition_config_selectorILNS1_17partition_subalgoE9EllbEEZZNS1_14partition_implILS5_9ELb0ES3_jPlS8_PNS0_10empty_typeENS0_5tupleIJS8_S9_EEENSB_IJS8_SA_EEENS0_18inequality_wrapperIZN2at6native12_GLOBAL__N_124unique_dim_cuda_templateIaEESt5tupleIJNSF_6TensorESK_SK_EERKSK_lbbbEUlllE0_EEPmJS9_EEE10hipError_tPvRmT3_T4_T5_T6_T7_T9_mT8_P12ihipStream_tbDpT10_ENKUlT_T0_E_clISt17integral_constantIbLb0EES19_IbLb1EEEEDaS15_S16_EUlS15_E_NS1_11comp_targetILNS1_3genE8ELNS1_11target_archE1030ELNS1_3gpuE2ELNS1_3repE0EEENS1_30default_config_static_selectorELNS0_4arch9wavefront6targetE0EEEvT1_
; %bb.0:
	.section	.rodata,"a",@progbits
	.p2align	6, 0x0
	.amdhsa_kernel _ZN7rocprim17ROCPRIM_400000_NS6detail17trampoline_kernelINS0_14default_configENS1_25partition_config_selectorILNS1_17partition_subalgoE9EllbEEZZNS1_14partition_implILS5_9ELb0ES3_jPlS8_PNS0_10empty_typeENS0_5tupleIJS8_S9_EEENSB_IJS8_SA_EEENS0_18inequality_wrapperIZN2at6native12_GLOBAL__N_124unique_dim_cuda_templateIaEESt5tupleIJNSF_6TensorESK_SK_EERKSK_lbbbEUlllE0_EEPmJS9_EEE10hipError_tPvRmT3_T4_T5_T6_T7_T9_mT8_P12ihipStream_tbDpT10_ENKUlT_T0_E_clISt17integral_constantIbLb0EES19_IbLb1EEEEDaS15_S16_EUlS15_E_NS1_11comp_targetILNS1_3genE8ELNS1_11target_archE1030ELNS1_3gpuE2ELNS1_3repE0EEENS1_30default_config_static_selectorELNS0_4arch9wavefront6targetE0EEEvT1_
		.amdhsa_group_segment_fixed_size 0
		.amdhsa_private_segment_fixed_size 0
		.amdhsa_kernarg_size 136
		.amdhsa_user_sgpr_count 15
		.amdhsa_user_sgpr_dispatch_ptr 0
		.amdhsa_user_sgpr_queue_ptr 0
		.amdhsa_user_sgpr_kernarg_segment_ptr 1
		.amdhsa_user_sgpr_dispatch_id 0
		.amdhsa_user_sgpr_private_segment_size 0
		.amdhsa_wavefront_size32 1
		.amdhsa_uses_dynamic_stack 0
		.amdhsa_enable_private_segment 0
		.amdhsa_system_sgpr_workgroup_id_x 1
		.amdhsa_system_sgpr_workgroup_id_y 0
		.amdhsa_system_sgpr_workgroup_id_z 0
		.amdhsa_system_sgpr_workgroup_info 0
		.amdhsa_system_vgpr_workitem_id 0
		.amdhsa_next_free_vgpr 1
		.amdhsa_next_free_sgpr 1
		.amdhsa_reserve_vcc 0
		.amdhsa_float_round_mode_32 0
		.amdhsa_float_round_mode_16_64 0
		.amdhsa_float_denorm_mode_32 3
		.amdhsa_float_denorm_mode_16_64 3
		.amdhsa_dx10_clamp 1
		.amdhsa_ieee_mode 1
		.amdhsa_fp16_overflow 0
		.amdhsa_workgroup_processor_mode 1
		.amdhsa_memory_ordered 1
		.amdhsa_forward_progress 0
		.amdhsa_shared_vgpr_count 0
		.amdhsa_exception_fp_ieee_invalid_op 0
		.amdhsa_exception_fp_denorm_src 0
		.amdhsa_exception_fp_ieee_div_zero 0
		.amdhsa_exception_fp_ieee_overflow 0
		.amdhsa_exception_fp_ieee_underflow 0
		.amdhsa_exception_fp_ieee_inexact 0
		.amdhsa_exception_int_div_zero 0
	.end_amdhsa_kernel
	.section	.text._ZN7rocprim17ROCPRIM_400000_NS6detail17trampoline_kernelINS0_14default_configENS1_25partition_config_selectorILNS1_17partition_subalgoE9EllbEEZZNS1_14partition_implILS5_9ELb0ES3_jPlS8_PNS0_10empty_typeENS0_5tupleIJS8_S9_EEENSB_IJS8_SA_EEENS0_18inequality_wrapperIZN2at6native12_GLOBAL__N_124unique_dim_cuda_templateIaEESt5tupleIJNSF_6TensorESK_SK_EERKSK_lbbbEUlllE0_EEPmJS9_EEE10hipError_tPvRmT3_T4_T5_T6_T7_T9_mT8_P12ihipStream_tbDpT10_ENKUlT_T0_E_clISt17integral_constantIbLb0EES19_IbLb1EEEEDaS15_S16_EUlS15_E_NS1_11comp_targetILNS1_3genE8ELNS1_11target_archE1030ELNS1_3gpuE2ELNS1_3repE0EEENS1_30default_config_static_selectorELNS0_4arch9wavefront6targetE0EEEvT1_,"axG",@progbits,_ZN7rocprim17ROCPRIM_400000_NS6detail17trampoline_kernelINS0_14default_configENS1_25partition_config_selectorILNS1_17partition_subalgoE9EllbEEZZNS1_14partition_implILS5_9ELb0ES3_jPlS8_PNS0_10empty_typeENS0_5tupleIJS8_S9_EEENSB_IJS8_SA_EEENS0_18inequality_wrapperIZN2at6native12_GLOBAL__N_124unique_dim_cuda_templateIaEESt5tupleIJNSF_6TensorESK_SK_EERKSK_lbbbEUlllE0_EEPmJS9_EEE10hipError_tPvRmT3_T4_T5_T6_T7_T9_mT8_P12ihipStream_tbDpT10_ENKUlT_T0_E_clISt17integral_constantIbLb0EES19_IbLb1EEEEDaS15_S16_EUlS15_E_NS1_11comp_targetILNS1_3genE8ELNS1_11target_archE1030ELNS1_3gpuE2ELNS1_3repE0EEENS1_30default_config_static_selectorELNS0_4arch9wavefront6targetE0EEEvT1_,comdat
.Lfunc_end382:
	.size	_ZN7rocprim17ROCPRIM_400000_NS6detail17trampoline_kernelINS0_14default_configENS1_25partition_config_selectorILNS1_17partition_subalgoE9EllbEEZZNS1_14partition_implILS5_9ELb0ES3_jPlS8_PNS0_10empty_typeENS0_5tupleIJS8_S9_EEENSB_IJS8_SA_EEENS0_18inequality_wrapperIZN2at6native12_GLOBAL__N_124unique_dim_cuda_templateIaEESt5tupleIJNSF_6TensorESK_SK_EERKSK_lbbbEUlllE0_EEPmJS9_EEE10hipError_tPvRmT3_T4_T5_T6_T7_T9_mT8_P12ihipStream_tbDpT10_ENKUlT_T0_E_clISt17integral_constantIbLb0EES19_IbLb1EEEEDaS15_S16_EUlS15_E_NS1_11comp_targetILNS1_3genE8ELNS1_11target_archE1030ELNS1_3gpuE2ELNS1_3repE0EEENS1_30default_config_static_selectorELNS0_4arch9wavefront6targetE0EEEvT1_, .Lfunc_end382-_ZN7rocprim17ROCPRIM_400000_NS6detail17trampoline_kernelINS0_14default_configENS1_25partition_config_selectorILNS1_17partition_subalgoE9EllbEEZZNS1_14partition_implILS5_9ELb0ES3_jPlS8_PNS0_10empty_typeENS0_5tupleIJS8_S9_EEENSB_IJS8_SA_EEENS0_18inequality_wrapperIZN2at6native12_GLOBAL__N_124unique_dim_cuda_templateIaEESt5tupleIJNSF_6TensorESK_SK_EERKSK_lbbbEUlllE0_EEPmJS9_EEE10hipError_tPvRmT3_T4_T5_T6_T7_T9_mT8_P12ihipStream_tbDpT10_ENKUlT_T0_E_clISt17integral_constantIbLb0EES19_IbLb1EEEEDaS15_S16_EUlS15_E_NS1_11comp_targetILNS1_3genE8ELNS1_11target_archE1030ELNS1_3gpuE2ELNS1_3repE0EEENS1_30default_config_static_selectorELNS0_4arch9wavefront6targetE0EEEvT1_
                                        ; -- End function
	.section	.AMDGPU.csdata,"",@progbits
; Kernel info:
; codeLenInByte = 0
; NumSgprs: 0
; NumVgprs: 0
; ScratchSize: 0
; MemoryBound: 0
; FloatMode: 240
; IeeeMode: 1
; LDSByteSize: 0 bytes/workgroup (compile time only)
; SGPRBlocks: 0
; VGPRBlocks: 0
; NumSGPRsForWavesPerEU: 1
; NumVGPRsForWavesPerEU: 1
; Occupancy: 16
; WaveLimiterHint : 0
; COMPUTE_PGM_RSRC2:SCRATCH_EN: 0
; COMPUTE_PGM_RSRC2:USER_SGPR: 15
; COMPUTE_PGM_RSRC2:TRAP_HANDLER: 0
; COMPUTE_PGM_RSRC2:TGID_X_EN: 1
; COMPUTE_PGM_RSRC2:TGID_Y_EN: 0
; COMPUTE_PGM_RSRC2:TGID_Z_EN: 0
; COMPUTE_PGM_RSRC2:TIDIG_COMP_CNT: 0
	.section	.text._ZN7rocprim17ROCPRIM_400000_NS6detail17trampoline_kernelINS0_14default_configENS1_37merge_sort_block_sort_config_selectorIlNS0_10empty_typeEEEZNS1_21merge_sort_block_sortIS3_PlS8_PS5_S9_ZN2at6native12_GLOBAL__N_124unique_dim_cuda_templateIiEESt5tupleIJNSA_6TensorESF_SF_EERKSF_lbbbEUlllE_EE10hipError_tT0_T1_T2_T3_mRjT4_P12ihipStream_tbNS1_7vsmem_tEEUlT_E_NS1_11comp_targetILNS1_3genE0ELNS1_11target_archE4294967295ELNS1_3gpuE0ELNS1_3repE0EEENS1_30default_config_static_selectorELNS0_4arch9wavefront6targetE0EEEvSM_,"axG",@progbits,_ZN7rocprim17ROCPRIM_400000_NS6detail17trampoline_kernelINS0_14default_configENS1_37merge_sort_block_sort_config_selectorIlNS0_10empty_typeEEEZNS1_21merge_sort_block_sortIS3_PlS8_PS5_S9_ZN2at6native12_GLOBAL__N_124unique_dim_cuda_templateIiEESt5tupleIJNSA_6TensorESF_SF_EERKSF_lbbbEUlllE_EE10hipError_tT0_T1_T2_T3_mRjT4_P12ihipStream_tbNS1_7vsmem_tEEUlT_E_NS1_11comp_targetILNS1_3genE0ELNS1_11target_archE4294967295ELNS1_3gpuE0ELNS1_3repE0EEENS1_30default_config_static_selectorELNS0_4arch9wavefront6targetE0EEEvSM_,comdat
	.globl	_ZN7rocprim17ROCPRIM_400000_NS6detail17trampoline_kernelINS0_14default_configENS1_37merge_sort_block_sort_config_selectorIlNS0_10empty_typeEEEZNS1_21merge_sort_block_sortIS3_PlS8_PS5_S9_ZN2at6native12_GLOBAL__N_124unique_dim_cuda_templateIiEESt5tupleIJNSA_6TensorESF_SF_EERKSF_lbbbEUlllE_EE10hipError_tT0_T1_T2_T3_mRjT4_P12ihipStream_tbNS1_7vsmem_tEEUlT_E_NS1_11comp_targetILNS1_3genE0ELNS1_11target_archE4294967295ELNS1_3gpuE0ELNS1_3repE0EEENS1_30default_config_static_selectorELNS0_4arch9wavefront6targetE0EEEvSM_ ; -- Begin function _ZN7rocprim17ROCPRIM_400000_NS6detail17trampoline_kernelINS0_14default_configENS1_37merge_sort_block_sort_config_selectorIlNS0_10empty_typeEEEZNS1_21merge_sort_block_sortIS3_PlS8_PS5_S9_ZN2at6native12_GLOBAL__N_124unique_dim_cuda_templateIiEESt5tupleIJNSA_6TensorESF_SF_EERKSF_lbbbEUlllE_EE10hipError_tT0_T1_T2_T3_mRjT4_P12ihipStream_tbNS1_7vsmem_tEEUlT_E_NS1_11comp_targetILNS1_3genE0ELNS1_11target_archE4294967295ELNS1_3gpuE0ELNS1_3repE0EEENS1_30default_config_static_selectorELNS0_4arch9wavefront6targetE0EEEvSM_
	.p2align	8
	.type	_ZN7rocprim17ROCPRIM_400000_NS6detail17trampoline_kernelINS0_14default_configENS1_37merge_sort_block_sort_config_selectorIlNS0_10empty_typeEEEZNS1_21merge_sort_block_sortIS3_PlS8_PS5_S9_ZN2at6native12_GLOBAL__N_124unique_dim_cuda_templateIiEESt5tupleIJNSA_6TensorESF_SF_EERKSF_lbbbEUlllE_EE10hipError_tT0_T1_T2_T3_mRjT4_P12ihipStream_tbNS1_7vsmem_tEEUlT_E_NS1_11comp_targetILNS1_3genE0ELNS1_11target_archE4294967295ELNS1_3gpuE0ELNS1_3repE0EEENS1_30default_config_static_selectorELNS0_4arch9wavefront6targetE0EEEvSM_,@function
_ZN7rocprim17ROCPRIM_400000_NS6detail17trampoline_kernelINS0_14default_configENS1_37merge_sort_block_sort_config_selectorIlNS0_10empty_typeEEEZNS1_21merge_sort_block_sortIS3_PlS8_PS5_S9_ZN2at6native12_GLOBAL__N_124unique_dim_cuda_templateIiEESt5tupleIJNSA_6TensorESF_SF_EERKSF_lbbbEUlllE_EE10hipError_tT0_T1_T2_T3_mRjT4_P12ihipStream_tbNS1_7vsmem_tEEUlT_E_NS1_11comp_targetILNS1_3genE0ELNS1_11target_archE4294967295ELNS1_3gpuE0ELNS1_3repE0EEENS1_30default_config_static_selectorELNS0_4arch9wavefront6targetE0EEEvSM_: ; @_ZN7rocprim17ROCPRIM_400000_NS6detail17trampoline_kernelINS0_14default_configENS1_37merge_sort_block_sort_config_selectorIlNS0_10empty_typeEEEZNS1_21merge_sort_block_sortIS3_PlS8_PS5_S9_ZN2at6native12_GLOBAL__N_124unique_dim_cuda_templateIiEESt5tupleIJNSA_6TensorESF_SF_EERKSF_lbbbEUlllE_EE10hipError_tT0_T1_T2_T3_mRjT4_P12ihipStream_tbNS1_7vsmem_tEEUlT_E_NS1_11comp_targetILNS1_3genE0ELNS1_11target_archE4294967295ELNS1_3gpuE0ELNS1_3repE0EEENS1_30default_config_static_selectorELNS0_4arch9wavefront6targetE0EEEvSM_
; %bb.0:
	.section	.rodata,"a",@progbits
	.p2align	6, 0x0
	.amdhsa_kernel _ZN7rocprim17ROCPRIM_400000_NS6detail17trampoline_kernelINS0_14default_configENS1_37merge_sort_block_sort_config_selectorIlNS0_10empty_typeEEEZNS1_21merge_sort_block_sortIS3_PlS8_PS5_S9_ZN2at6native12_GLOBAL__N_124unique_dim_cuda_templateIiEESt5tupleIJNSA_6TensorESF_SF_EERKSF_lbbbEUlllE_EE10hipError_tT0_T1_T2_T3_mRjT4_P12ihipStream_tbNS1_7vsmem_tEEUlT_E_NS1_11comp_targetILNS1_3genE0ELNS1_11target_archE4294967295ELNS1_3gpuE0ELNS1_3repE0EEENS1_30default_config_static_selectorELNS0_4arch9wavefront6targetE0EEEvSM_
		.amdhsa_group_segment_fixed_size 0
		.amdhsa_private_segment_fixed_size 0
		.amdhsa_kernarg_size 72
		.amdhsa_user_sgpr_count 15
		.amdhsa_user_sgpr_dispatch_ptr 0
		.amdhsa_user_sgpr_queue_ptr 0
		.amdhsa_user_sgpr_kernarg_segment_ptr 1
		.amdhsa_user_sgpr_dispatch_id 0
		.amdhsa_user_sgpr_private_segment_size 0
		.amdhsa_wavefront_size32 1
		.amdhsa_uses_dynamic_stack 0
		.amdhsa_enable_private_segment 0
		.amdhsa_system_sgpr_workgroup_id_x 1
		.amdhsa_system_sgpr_workgroup_id_y 0
		.amdhsa_system_sgpr_workgroup_id_z 0
		.amdhsa_system_sgpr_workgroup_info 0
		.amdhsa_system_vgpr_workitem_id 0
		.amdhsa_next_free_vgpr 1
		.amdhsa_next_free_sgpr 1
		.amdhsa_reserve_vcc 0
		.amdhsa_float_round_mode_32 0
		.amdhsa_float_round_mode_16_64 0
		.amdhsa_float_denorm_mode_32 3
		.amdhsa_float_denorm_mode_16_64 3
		.amdhsa_dx10_clamp 1
		.amdhsa_ieee_mode 1
		.amdhsa_fp16_overflow 0
		.amdhsa_workgroup_processor_mode 1
		.amdhsa_memory_ordered 1
		.amdhsa_forward_progress 0
		.amdhsa_shared_vgpr_count 0
		.amdhsa_exception_fp_ieee_invalid_op 0
		.amdhsa_exception_fp_denorm_src 0
		.amdhsa_exception_fp_ieee_div_zero 0
		.amdhsa_exception_fp_ieee_overflow 0
		.amdhsa_exception_fp_ieee_underflow 0
		.amdhsa_exception_fp_ieee_inexact 0
		.amdhsa_exception_int_div_zero 0
	.end_amdhsa_kernel
	.section	.text._ZN7rocprim17ROCPRIM_400000_NS6detail17trampoline_kernelINS0_14default_configENS1_37merge_sort_block_sort_config_selectorIlNS0_10empty_typeEEEZNS1_21merge_sort_block_sortIS3_PlS8_PS5_S9_ZN2at6native12_GLOBAL__N_124unique_dim_cuda_templateIiEESt5tupleIJNSA_6TensorESF_SF_EERKSF_lbbbEUlllE_EE10hipError_tT0_T1_T2_T3_mRjT4_P12ihipStream_tbNS1_7vsmem_tEEUlT_E_NS1_11comp_targetILNS1_3genE0ELNS1_11target_archE4294967295ELNS1_3gpuE0ELNS1_3repE0EEENS1_30default_config_static_selectorELNS0_4arch9wavefront6targetE0EEEvSM_,"axG",@progbits,_ZN7rocprim17ROCPRIM_400000_NS6detail17trampoline_kernelINS0_14default_configENS1_37merge_sort_block_sort_config_selectorIlNS0_10empty_typeEEEZNS1_21merge_sort_block_sortIS3_PlS8_PS5_S9_ZN2at6native12_GLOBAL__N_124unique_dim_cuda_templateIiEESt5tupleIJNSA_6TensorESF_SF_EERKSF_lbbbEUlllE_EE10hipError_tT0_T1_T2_T3_mRjT4_P12ihipStream_tbNS1_7vsmem_tEEUlT_E_NS1_11comp_targetILNS1_3genE0ELNS1_11target_archE4294967295ELNS1_3gpuE0ELNS1_3repE0EEENS1_30default_config_static_selectorELNS0_4arch9wavefront6targetE0EEEvSM_,comdat
.Lfunc_end383:
	.size	_ZN7rocprim17ROCPRIM_400000_NS6detail17trampoline_kernelINS0_14default_configENS1_37merge_sort_block_sort_config_selectorIlNS0_10empty_typeEEEZNS1_21merge_sort_block_sortIS3_PlS8_PS5_S9_ZN2at6native12_GLOBAL__N_124unique_dim_cuda_templateIiEESt5tupleIJNSA_6TensorESF_SF_EERKSF_lbbbEUlllE_EE10hipError_tT0_T1_T2_T3_mRjT4_P12ihipStream_tbNS1_7vsmem_tEEUlT_E_NS1_11comp_targetILNS1_3genE0ELNS1_11target_archE4294967295ELNS1_3gpuE0ELNS1_3repE0EEENS1_30default_config_static_selectorELNS0_4arch9wavefront6targetE0EEEvSM_, .Lfunc_end383-_ZN7rocprim17ROCPRIM_400000_NS6detail17trampoline_kernelINS0_14default_configENS1_37merge_sort_block_sort_config_selectorIlNS0_10empty_typeEEEZNS1_21merge_sort_block_sortIS3_PlS8_PS5_S9_ZN2at6native12_GLOBAL__N_124unique_dim_cuda_templateIiEESt5tupleIJNSA_6TensorESF_SF_EERKSF_lbbbEUlllE_EE10hipError_tT0_T1_T2_T3_mRjT4_P12ihipStream_tbNS1_7vsmem_tEEUlT_E_NS1_11comp_targetILNS1_3genE0ELNS1_11target_archE4294967295ELNS1_3gpuE0ELNS1_3repE0EEENS1_30default_config_static_selectorELNS0_4arch9wavefront6targetE0EEEvSM_
                                        ; -- End function
	.section	.AMDGPU.csdata,"",@progbits
; Kernel info:
; codeLenInByte = 0
; NumSgprs: 0
; NumVgprs: 0
; ScratchSize: 0
; MemoryBound: 0
; FloatMode: 240
; IeeeMode: 1
; LDSByteSize: 0 bytes/workgroup (compile time only)
; SGPRBlocks: 0
; VGPRBlocks: 0
; NumSGPRsForWavesPerEU: 1
; NumVGPRsForWavesPerEU: 1
; Occupancy: 16
; WaveLimiterHint : 0
; COMPUTE_PGM_RSRC2:SCRATCH_EN: 0
; COMPUTE_PGM_RSRC2:USER_SGPR: 15
; COMPUTE_PGM_RSRC2:TRAP_HANDLER: 0
; COMPUTE_PGM_RSRC2:TGID_X_EN: 1
; COMPUTE_PGM_RSRC2:TGID_Y_EN: 0
; COMPUTE_PGM_RSRC2:TGID_Z_EN: 0
; COMPUTE_PGM_RSRC2:TIDIG_COMP_CNT: 0
	.section	.text._ZN7rocprim17ROCPRIM_400000_NS6detail17trampoline_kernelINS0_14default_configENS1_37merge_sort_block_sort_config_selectorIlNS0_10empty_typeEEEZNS1_21merge_sort_block_sortIS3_PlS8_PS5_S9_ZN2at6native12_GLOBAL__N_124unique_dim_cuda_templateIiEESt5tupleIJNSA_6TensorESF_SF_EERKSF_lbbbEUlllE_EE10hipError_tT0_T1_T2_T3_mRjT4_P12ihipStream_tbNS1_7vsmem_tEEUlT_E_NS1_11comp_targetILNS1_3genE5ELNS1_11target_archE942ELNS1_3gpuE9ELNS1_3repE0EEENS1_30default_config_static_selectorELNS0_4arch9wavefront6targetE0EEEvSM_,"axG",@progbits,_ZN7rocprim17ROCPRIM_400000_NS6detail17trampoline_kernelINS0_14default_configENS1_37merge_sort_block_sort_config_selectorIlNS0_10empty_typeEEEZNS1_21merge_sort_block_sortIS3_PlS8_PS5_S9_ZN2at6native12_GLOBAL__N_124unique_dim_cuda_templateIiEESt5tupleIJNSA_6TensorESF_SF_EERKSF_lbbbEUlllE_EE10hipError_tT0_T1_T2_T3_mRjT4_P12ihipStream_tbNS1_7vsmem_tEEUlT_E_NS1_11comp_targetILNS1_3genE5ELNS1_11target_archE942ELNS1_3gpuE9ELNS1_3repE0EEENS1_30default_config_static_selectorELNS0_4arch9wavefront6targetE0EEEvSM_,comdat
	.globl	_ZN7rocprim17ROCPRIM_400000_NS6detail17trampoline_kernelINS0_14default_configENS1_37merge_sort_block_sort_config_selectorIlNS0_10empty_typeEEEZNS1_21merge_sort_block_sortIS3_PlS8_PS5_S9_ZN2at6native12_GLOBAL__N_124unique_dim_cuda_templateIiEESt5tupleIJNSA_6TensorESF_SF_EERKSF_lbbbEUlllE_EE10hipError_tT0_T1_T2_T3_mRjT4_P12ihipStream_tbNS1_7vsmem_tEEUlT_E_NS1_11comp_targetILNS1_3genE5ELNS1_11target_archE942ELNS1_3gpuE9ELNS1_3repE0EEENS1_30default_config_static_selectorELNS0_4arch9wavefront6targetE0EEEvSM_ ; -- Begin function _ZN7rocprim17ROCPRIM_400000_NS6detail17trampoline_kernelINS0_14default_configENS1_37merge_sort_block_sort_config_selectorIlNS0_10empty_typeEEEZNS1_21merge_sort_block_sortIS3_PlS8_PS5_S9_ZN2at6native12_GLOBAL__N_124unique_dim_cuda_templateIiEESt5tupleIJNSA_6TensorESF_SF_EERKSF_lbbbEUlllE_EE10hipError_tT0_T1_T2_T3_mRjT4_P12ihipStream_tbNS1_7vsmem_tEEUlT_E_NS1_11comp_targetILNS1_3genE5ELNS1_11target_archE942ELNS1_3gpuE9ELNS1_3repE0EEENS1_30default_config_static_selectorELNS0_4arch9wavefront6targetE0EEEvSM_
	.p2align	8
	.type	_ZN7rocprim17ROCPRIM_400000_NS6detail17trampoline_kernelINS0_14default_configENS1_37merge_sort_block_sort_config_selectorIlNS0_10empty_typeEEEZNS1_21merge_sort_block_sortIS3_PlS8_PS5_S9_ZN2at6native12_GLOBAL__N_124unique_dim_cuda_templateIiEESt5tupleIJNSA_6TensorESF_SF_EERKSF_lbbbEUlllE_EE10hipError_tT0_T1_T2_T3_mRjT4_P12ihipStream_tbNS1_7vsmem_tEEUlT_E_NS1_11comp_targetILNS1_3genE5ELNS1_11target_archE942ELNS1_3gpuE9ELNS1_3repE0EEENS1_30default_config_static_selectorELNS0_4arch9wavefront6targetE0EEEvSM_,@function
_ZN7rocprim17ROCPRIM_400000_NS6detail17trampoline_kernelINS0_14default_configENS1_37merge_sort_block_sort_config_selectorIlNS0_10empty_typeEEEZNS1_21merge_sort_block_sortIS3_PlS8_PS5_S9_ZN2at6native12_GLOBAL__N_124unique_dim_cuda_templateIiEESt5tupleIJNSA_6TensorESF_SF_EERKSF_lbbbEUlllE_EE10hipError_tT0_T1_T2_T3_mRjT4_P12ihipStream_tbNS1_7vsmem_tEEUlT_E_NS1_11comp_targetILNS1_3genE5ELNS1_11target_archE942ELNS1_3gpuE9ELNS1_3repE0EEENS1_30default_config_static_selectorELNS0_4arch9wavefront6targetE0EEEvSM_: ; @_ZN7rocprim17ROCPRIM_400000_NS6detail17trampoline_kernelINS0_14default_configENS1_37merge_sort_block_sort_config_selectorIlNS0_10empty_typeEEEZNS1_21merge_sort_block_sortIS3_PlS8_PS5_S9_ZN2at6native12_GLOBAL__N_124unique_dim_cuda_templateIiEESt5tupleIJNSA_6TensorESF_SF_EERKSF_lbbbEUlllE_EE10hipError_tT0_T1_T2_T3_mRjT4_P12ihipStream_tbNS1_7vsmem_tEEUlT_E_NS1_11comp_targetILNS1_3genE5ELNS1_11target_archE942ELNS1_3gpuE9ELNS1_3repE0EEENS1_30default_config_static_selectorELNS0_4arch9wavefront6targetE0EEEvSM_
; %bb.0:
	.section	.rodata,"a",@progbits
	.p2align	6, 0x0
	.amdhsa_kernel _ZN7rocprim17ROCPRIM_400000_NS6detail17trampoline_kernelINS0_14default_configENS1_37merge_sort_block_sort_config_selectorIlNS0_10empty_typeEEEZNS1_21merge_sort_block_sortIS3_PlS8_PS5_S9_ZN2at6native12_GLOBAL__N_124unique_dim_cuda_templateIiEESt5tupleIJNSA_6TensorESF_SF_EERKSF_lbbbEUlllE_EE10hipError_tT0_T1_T2_T3_mRjT4_P12ihipStream_tbNS1_7vsmem_tEEUlT_E_NS1_11comp_targetILNS1_3genE5ELNS1_11target_archE942ELNS1_3gpuE9ELNS1_3repE0EEENS1_30default_config_static_selectorELNS0_4arch9wavefront6targetE0EEEvSM_
		.amdhsa_group_segment_fixed_size 0
		.amdhsa_private_segment_fixed_size 0
		.amdhsa_kernarg_size 72
		.amdhsa_user_sgpr_count 15
		.amdhsa_user_sgpr_dispatch_ptr 0
		.amdhsa_user_sgpr_queue_ptr 0
		.amdhsa_user_sgpr_kernarg_segment_ptr 1
		.amdhsa_user_sgpr_dispatch_id 0
		.amdhsa_user_sgpr_private_segment_size 0
		.amdhsa_wavefront_size32 1
		.amdhsa_uses_dynamic_stack 0
		.amdhsa_enable_private_segment 0
		.amdhsa_system_sgpr_workgroup_id_x 1
		.amdhsa_system_sgpr_workgroup_id_y 0
		.amdhsa_system_sgpr_workgroup_id_z 0
		.amdhsa_system_sgpr_workgroup_info 0
		.amdhsa_system_vgpr_workitem_id 0
		.amdhsa_next_free_vgpr 1
		.amdhsa_next_free_sgpr 1
		.amdhsa_reserve_vcc 0
		.amdhsa_float_round_mode_32 0
		.amdhsa_float_round_mode_16_64 0
		.amdhsa_float_denorm_mode_32 3
		.amdhsa_float_denorm_mode_16_64 3
		.amdhsa_dx10_clamp 1
		.amdhsa_ieee_mode 1
		.amdhsa_fp16_overflow 0
		.amdhsa_workgroup_processor_mode 1
		.amdhsa_memory_ordered 1
		.amdhsa_forward_progress 0
		.amdhsa_shared_vgpr_count 0
		.amdhsa_exception_fp_ieee_invalid_op 0
		.amdhsa_exception_fp_denorm_src 0
		.amdhsa_exception_fp_ieee_div_zero 0
		.amdhsa_exception_fp_ieee_overflow 0
		.amdhsa_exception_fp_ieee_underflow 0
		.amdhsa_exception_fp_ieee_inexact 0
		.amdhsa_exception_int_div_zero 0
	.end_amdhsa_kernel
	.section	.text._ZN7rocprim17ROCPRIM_400000_NS6detail17trampoline_kernelINS0_14default_configENS1_37merge_sort_block_sort_config_selectorIlNS0_10empty_typeEEEZNS1_21merge_sort_block_sortIS3_PlS8_PS5_S9_ZN2at6native12_GLOBAL__N_124unique_dim_cuda_templateIiEESt5tupleIJNSA_6TensorESF_SF_EERKSF_lbbbEUlllE_EE10hipError_tT0_T1_T2_T3_mRjT4_P12ihipStream_tbNS1_7vsmem_tEEUlT_E_NS1_11comp_targetILNS1_3genE5ELNS1_11target_archE942ELNS1_3gpuE9ELNS1_3repE0EEENS1_30default_config_static_selectorELNS0_4arch9wavefront6targetE0EEEvSM_,"axG",@progbits,_ZN7rocprim17ROCPRIM_400000_NS6detail17trampoline_kernelINS0_14default_configENS1_37merge_sort_block_sort_config_selectorIlNS0_10empty_typeEEEZNS1_21merge_sort_block_sortIS3_PlS8_PS5_S9_ZN2at6native12_GLOBAL__N_124unique_dim_cuda_templateIiEESt5tupleIJNSA_6TensorESF_SF_EERKSF_lbbbEUlllE_EE10hipError_tT0_T1_T2_T3_mRjT4_P12ihipStream_tbNS1_7vsmem_tEEUlT_E_NS1_11comp_targetILNS1_3genE5ELNS1_11target_archE942ELNS1_3gpuE9ELNS1_3repE0EEENS1_30default_config_static_selectorELNS0_4arch9wavefront6targetE0EEEvSM_,comdat
.Lfunc_end384:
	.size	_ZN7rocprim17ROCPRIM_400000_NS6detail17trampoline_kernelINS0_14default_configENS1_37merge_sort_block_sort_config_selectorIlNS0_10empty_typeEEEZNS1_21merge_sort_block_sortIS3_PlS8_PS5_S9_ZN2at6native12_GLOBAL__N_124unique_dim_cuda_templateIiEESt5tupleIJNSA_6TensorESF_SF_EERKSF_lbbbEUlllE_EE10hipError_tT0_T1_T2_T3_mRjT4_P12ihipStream_tbNS1_7vsmem_tEEUlT_E_NS1_11comp_targetILNS1_3genE5ELNS1_11target_archE942ELNS1_3gpuE9ELNS1_3repE0EEENS1_30default_config_static_selectorELNS0_4arch9wavefront6targetE0EEEvSM_, .Lfunc_end384-_ZN7rocprim17ROCPRIM_400000_NS6detail17trampoline_kernelINS0_14default_configENS1_37merge_sort_block_sort_config_selectorIlNS0_10empty_typeEEEZNS1_21merge_sort_block_sortIS3_PlS8_PS5_S9_ZN2at6native12_GLOBAL__N_124unique_dim_cuda_templateIiEESt5tupleIJNSA_6TensorESF_SF_EERKSF_lbbbEUlllE_EE10hipError_tT0_T1_T2_T3_mRjT4_P12ihipStream_tbNS1_7vsmem_tEEUlT_E_NS1_11comp_targetILNS1_3genE5ELNS1_11target_archE942ELNS1_3gpuE9ELNS1_3repE0EEENS1_30default_config_static_selectorELNS0_4arch9wavefront6targetE0EEEvSM_
                                        ; -- End function
	.section	.AMDGPU.csdata,"",@progbits
; Kernel info:
; codeLenInByte = 0
; NumSgprs: 0
; NumVgprs: 0
; ScratchSize: 0
; MemoryBound: 0
; FloatMode: 240
; IeeeMode: 1
; LDSByteSize: 0 bytes/workgroup (compile time only)
; SGPRBlocks: 0
; VGPRBlocks: 0
; NumSGPRsForWavesPerEU: 1
; NumVGPRsForWavesPerEU: 1
; Occupancy: 16
; WaveLimiterHint : 0
; COMPUTE_PGM_RSRC2:SCRATCH_EN: 0
; COMPUTE_PGM_RSRC2:USER_SGPR: 15
; COMPUTE_PGM_RSRC2:TRAP_HANDLER: 0
; COMPUTE_PGM_RSRC2:TGID_X_EN: 1
; COMPUTE_PGM_RSRC2:TGID_Y_EN: 0
; COMPUTE_PGM_RSRC2:TGID_Z_EN: 0
; COMPUTE_PGM_RSRC2:TIDIG_COMP_CNT: 0
	.section	.text._ZN7rocprim17ROCPRIM_400000_NS6detail17trampoline_kernelINS0_14default_configENS1_37merge_sort_block_sort_config_selectorIlNS0_10empty_typeEEEZNS1_21merge_sort_block_sortIS3_PlS8_PS5_S9_ZN2at6native12_GLOBAL__N_124unique_dim_cuda_templateIiEESt5tupleIJNSA_6TensorESF_SF_EERKSF_lbbbEUlllE_EE10hipError_tT0_T1_T2_T3_mRjT4_P12ihipStream_tbNS1_7vsmem_tEEUlT_E_NS1_11comp_targetILNS1_3genE4ELNS1_11target_archE910ELNS1_3gpuE8ELNS1_3repE0EEENS1_30default_config_static_selectorELNS0_4arch9wavefront6targetE0EEEvSM_,"axG",@progbits,_ZN7rocprim17ROCPRIM_400000_NS6detail17trampoline_kernelINS0_14default_configENS1_37merge_sort_block_sort_config_selectorIlNS0_10empty_typeEEEZNS1_21merge_sort_block_sortIS3_PlS8_PS5_S9_ZN2at6native12_GLOBAL__N_124unique_dim_cuda_templateIiEESt5tupleIJNSA_6TensorESF_SF_EERKSF_lbbbEUlllE_EE10hipError_tT0_T1_T2_T3_mRjT4_P12ihipStream_tbNS1_7vsmem_tEEUlT_E_NS1_11comp_targetILNS1_3genE4ELNS1_11target_archE910ELNS1_3gpuE8ELNS1_3repE0EEENS1_30default_config_static_selectorELNS0_4arch9wavefront6targetE0EEEvSM_,comdat
	.globl	_ZN7rocprim17ROCPRIM_400000_NS6detail17trampoline_kernelINS0_14default_configENS1_37merge_sort_block_sort_config_selectorIlNS0_10empty_typeEEEZNS1_21merge_sort_block_sortIS3_PlS8_PS5_S9_ZN2at6native12_GLOBAL__N_124unique_dim_cuda_templateIiEESt5tupleIJNSA_6TensorESF_SF_EERKSF_lbbbEUlllE_EE10hipError_tT0_T1_T2_T3_mRjT4_P12ihipStream_tbNS1_7vsmem_tEEUlT_E_NS1_11comp_targetILNS1_3genE4ELNS1_11target_archE910ELNS1_3gpuE8ELNS1_3repE0EEENS1_30default_config_static_selectorELNS0_4arch9wavefront6targetE0EEEvSM_ ; -- Begin function _ZN7rocprim17ROCPRIM_400000_NS6detail17trampoline_kernelINS0_14default_configENS1_37merge_sort_block_sort_config_selectorIlNS0_10empty_typeEEEZNS1_21merge_sort_block_sortIS3_PlS8_PS5_S9_ZN2at6native12_GLOBAL__N_124unique_dim_cuda_templateIiEESt5tupleIJNSA_6TensorESF_SF_EERKSF_lbbbEUlllE_EE10hipError_tT0_T1_T2_T3_mRjT4_P12ihipStream_tbNS1_7vsmem_tEEUlT_E_NS1_11comp_targetILNS1_3genE4ELNS1_11target_archE910ELNS1_3gpuE8ELNS1_3repE0EEENS1_30default_config_static_selectorELNS0_4arch9wavefront6targetE0EEEvSM_
	.p2align	8
	.type	_ZN7rocprim17ROCPRIM_400000_NS6detail17trampoline_kernelINS0_14default_configENS1_37merge_sort_block_sort_config_selectorIlNS0_10empty_typeEEEZNS1_21merge_sort_block_sortIS3_PlS8_PS5_S9_ZN2at6native12_GLOBAL__N_124unique_dim_cuda_templateIiEESt5tupleIJNSA_6TensorESF_SF_EERKSF_lbbbEUlllE_EE10hipError_tT0_T1_T2_T3_mRjT4_P12ihipStream_tbNS1_7vsmem_tEEUlT_E_NS1_11comp_targetILNS1_3genE4ELNS1_11target_archE910ELNS1_3gpuE8ELNS1_3repE0EEENS1_30default_config_static_selectorELNS0_4arch9wavefront6targetE0EEEvSM_,@function
_ZN7rocprim17ROCPRIM_400000_NS6detail17trampoline_kernelINS0_14default_configENS1_37merge_sort_block_sort_config_selectorIlNS0_10empty_typeEEEZNS1_21merge_sort_block_sortIS3_PlS8_PS5_S9_ZN2at6native12_GLOBAL__N_124unique_dim_cuda_templateIiEESt5tupleIJNSA_6TensorESF_SF_EERKSF_lbbbEUlllE_EE10hipError_tT0_T1_T2_T3_mRjT4_P12ihipStream_tbNS1_7vsmem_tEEUlT_E_NS1_11comp_targetILNS1_3genE4ELNS1_11target_archE910ELNS1_3gpuE8ELNS1_3repE0EEENS1_30default_config_static_selectorELNS0_4arch9wavefront6targetE0EEEvSM_: ; @_ZN7rocprim17ROCPRIM_400000_NS6detail17trampoline_kernelINS0_14default_configENS1_37merge_sort_block_sort_config_selectorIlNS0_10empty_typeEEEZNS1_21merge_sort_block_sortIS3_PlS8_PS5_S9_ZN2at6native12_GLOBAL__N_124unique_dim_cuda_templateIiEESt5tupleIJNSA_6TensorESF_SF_EERKSF_lbbbEUlllE_EE10hipError_tT0_T1_T2_T3_mRjT4_P12ihipStream_tbNS1_7vsmem_tEEUlT_E_NS1_11comp_targetILNS1_3genE4ELNS1_11target_archE910ELNS1_3gpuE8ELNS1_3repE0EEENS1_30default_config_static_selectorELNS0_4arch9wavefront6targetE0EEEvSM_
; %bb.0:
	.section	.rodata,"a",@progbits
	.p2align	6, 0x0
	.amdhsa_kernel _ZN7rocprim17ROCPRIM_400000_NS6detail17trampoline_kernelINS0_14default_configENS1_37merge_sort_block_sort_config_selectorIlNS0_10empty_typeEEEZNS1_21merge_sort_block_sortIS3_PlS8_PS5_S9_ZN2at6native12_GLOBAL__N_124unique_dim_cuda_templateIiEESt5tupleIJNSA_6TensorESF_SF_EERKSF_lbbbEUlllE_EE10hipError_tT0_T1_T2_T3_mRjT4_P12ihipStream_tbNS1_7vsmem_tEEUlT_E_NS1_11comp_targetILNS1_3genE4ELNS1_11target_archE910ELNS1_3gpuE8ELNS1_3repE0EEENS1_30default_config_static_selectorELNS0_4arch9wavefront6targetE0EEEvSM_
		.amdhsa_group_segment_fixed_size 0
		.amdhsa_private_segment_fixed_size 0
		.amdhsa_kernarg_size 72
		.amdhsa_user_sgpr_count 15
		.amdhsa_user_sgpr_dispatch_ptr 0
		.amdhsa_user_sgpr_queue_ptr 0
		.amdhsa_user_sgpr_kernarg_segment_ptr 1
		.amdhsa_user_sgpr_dispatch_id 0
		.amdhsa_user_sgpr_private_segment_size 0
		.amdhsa_wavefront_size32 1
		.amdhsa_uses_dynamic_stack 0
		.amdhsa_enable_private_segment 0
		.amdhsa_system_sgpr_workgroup_id_x 1
		.amdhsa_system_sgpr_workgroup_id_y 0
		.amdhsa_system_sgpr_workgroup_id_z 0
		.amdhsa_system_sgpr_workgroup_info 0
		.amdhsa_system_vgpr_workitem_id 0
		.amdhsa_next_free_vgpr 1
		.amdhsa_next_free_sgpr 1
		.amdhsa_reserve_vcc 0
		.amdhsa_float_round_mode_32 0
		.amdhsa_float_round_mode_16_64 0
		.amdhsa_float_denorm_mode_32 3
		.amdhsa_float_denorm_mode_16_64 3
		.amdhsa_dx10_clamp 1
		.amdhsa_ieee_mode 1
		.amdhsa_fp16_overflow 0
		.amdhsa_workgroup_processor_mode 1
		.amdhsa_memory_ordered 1
		.amdhsa_forward_progress 0
		.amdhsa_shared_vgpr_count 0
		.amdhsa_exception_fp_ieee_invalid_op 0
		.amdhsa_exception_fp_denorm_src 0
		.amdhsa_exception_fp_ieee_div_zero 0
		.amdhsa_exception_fp_ieee_overflow 0
		.amdhsa_exception_fp_ieee_underflow 0
		.amdhsa_exception_fp_ieee_inexact 0
		.amdhsa_exception_int_div_zero 0
	.end_amdhsa_kernel
	.section	.text._ZN7rocprim17ROCPRIM_400000_NS6detail17trampoline_kernelINS0_14default_configENS1_37merge_sort_block_sort_config_selectorIlNS0_10empty_typeEEEZNS1_21merge_sort_block_sortIS3_PlS8_PS5_S9_ZN2at6native12_GLOBAL__N_124unique_dim_cuda_templateIiEESt5tupleIJNSA_6TensorESF_SF_EERKSF_lbbbEUlllE_EE10hipError_tT0_T1_T2_T3_mRjT4_P12ihipStream_tbNS1_7vsmem_tEEUlT_E_NS1_11comp_targetILNS1_3genE4ELNS1_11target_archE910ELNS1_3gpuE8ELNS1_3repE0EEENS1_30default_config_static_selectorELNS0_4arch9wavefront6targetE0EEEvSM_,"axG",@progbits,_ZN7rocprim17ROCPRIM_400000_NS6detail17trampoline_kernelINS0_14default_configENS1_37merge_sort_block_sort_config_selectorIlNS0_10empty_typeEEEZNS1_21merge_sort_block_sortIS3_PlS8_PS5_S9_ZN2at6native12_GLOBAL__N_124unique_dim_cuda_templateIiEESt5tupleIJNSA_6TensorESF_SF_EERKSF_lbbbEUlllE_EE10hipError_tT0_T1_T2_T3_mRjT4_P12ihipStream_tbNS1_7vsmem_tEEUlT_E_NS1_11comp_targetILNS1_3genE4ELNS1_11target_archE910ELNS1_3gpuE8ELNS1_3repE0EEENS1_30default_config_static_selectorELNS0_4arch9wavefront6targetE0EEEvSM_,comdat
.Lfunc_end385:
	.size	_ZN7rocprim17ROCPRIM_400000_NS6detail17trampoline_kernelINS0_14default_configENS1_37merge_sort_block_sort_config_selectorIlNS0_10empty_typeEEEZNS1_21merge_sort_block_sortIS3_PlS8_PS5_S9_ZN2at6native12_GLOBAL__N_124unique_dim_cuda_templateIiEESt5tupleIJNSA_6TensorESF_SF_EERKSF_lbbbEUlllE_EE10hipError_tT0_T1_T2_T3_mRjT4_P12ihipStream_tbNS1_7vsmem_tEEUlT_E_NS1_11comp_targetILNS1_3genE4ELNS1_11target_archE910ELNS1_3gpuE8ELNS1_3repE0EEENS1_30default_config_static_selectorELNS0_4arch9wavefront6targetE0EEEvSM_, .Lfunc_end385-_ZN7rocprim17ROCPRIM_400000_NS6detail17trampoline_kernelINS0_14default_configENS1_37merge_sort_block_sort_config_selectorIlNS0_10empty_typeEEEZNS1_21merge_sort_block_sortIS3_PlS8_PS5_S9_ZN2at6native12_GLOBAL__N_124unique_dim_cuda_templateIiEESt5tupleIJNSA_6TensorESF_SF_EERKSF_lbbbEUlllE_EE10hipError_tT0_T1_T2_T3_mRjT4_P12ihipStream_tbNS1_7vsmem_tEEUlT_E_NS1_11comp_targetILNS1_3genE4ELNS1_11target_archE910ELNS1_3gpuE8ELNS1_3repE0EEENS1_30default_config_static_selectorELNS0_4arch9wavefront6targetE0EEEvSM_
                                        ; -- End function
	.section	.AMDGPU.csdata,"",@progbits
; Kernel info:
; codeLenInByte = 0
; NumSgprs: 0
; NumVgprs: 0
; ScratchSize: 0
; MemoryBound: 0
; FloatMode: 240
; IeeeMode: 1
; LDSByteSize: 0 bytes/workgroup (compile time only)
; SGPRBlocks: 0
; VGPRBlocks: 0
; NumSGPRsForWavesPerEU: 1
; NumVGPRsForWavesPerEU: 1
; Occupancy: 16
; WaveLimiterHint : 0
; COMPUTE_PGM_RSRC2:SCRATCH_EN: 0
; COMPUTE_PGM_RSRC2:USER_SGPR: 15
; COMPUTE_PGM_RSRC2:TRAP_HANDLER: 0
; COMPUTE_PGM_RSRC2:TGID_X_EN: 1
; COMPUTE_PGM_RSRC2:TGID_Y_EN: 0
; COMPUTE_PGM_RSRC2:TGID_Z_EN: 0
; COMPUTE_PGM_RSRC2:TIDIG_COMP_CNT: 0
	.section	.text._ZN7rocprim17ROCPRIM_400000_NS6detail17trampoline_kernelINS0_14default_configENS1_37merge_sort_block_sort_config_selectorIlNS0_10empty_typeEEEZNS1_21merge_sort_block_sortIS3_PlS8_PS5_S9_ZN2at6native12_GLOBAL__N_124unique_dim_cuda_templateIiEESt5tupleIJNSA_6TensorESF_SF_EERKSF_lbbbEUlllE_EE10hipError_tT0_T1_T2_T3_mRjT4_P12ihipStream_tbNS1_7vsmem_tEEUlT_E_NS1_11comp_targetILNS1_3genE3ELNS1_11target_archE908ELNS1_3gpuE7ELNS1_3repE0EEENS1_30default_config_static_selectorELNS0_4arch9wavefront6targetE0EEEvSM_,"axG",@progbits,_ZN7rocprim17ROCPRIM_400000_NS6detail17trampoline_kernelINS0_14default_configENS1_37merge_sort_block_sort_config_selectorIlNS0_10empty_typeEEEZNS1_21merge_sort_block_sortIS3_PlS8_PS5_S9_ZN2at6native12_GLOBAL__N_124unique_dim_cuda_templateIiEESt5tupleIJNSA_6TensorESF_SF_EERKSF_lbbbEUlllE_EE10hipError_tT0_T1_T2_T3_mRjT4_P12ihipStream_tbNS1_7vsmem_tEEUlT_E_NS1_11comp_targetILNS1_3genE3ELNS1_11target_archE908ELNS1_3gpuE7ELNS1_3repE0EEENS1_30default_config_static_selectorELNS0_4arch9wavefront6targetE0EEEvSM_,comdat
	.globl	_ZN7rocprim17ROCPRIM_400000_NS6detail17trampoline_kernelINS0_14default_configENS1_37merge_sort_block_sort_config_selectorIlNS0_10empty_typeEEEZNS1_21merge_sort_block_sortIS3_PlS8_PS5_S9_ZN2at6native12_GLOBAL__N_124unique_dim_cuda_templateIiEESt5tupleIJNSA_6TensorESF_SF_EERKSF_lbbbEUlllE_EE10hipError_tT0_T1_T2_T3_mRjT4_P12ihipStream_tbNS1_7vsmem_tEEUlT_E_NS1_11comp_targetILNS1_3genE3ELNS1_11target_archE908ELNS1_3gpuE7ELNS1_3repE0EEENS1_30default_config_static_selectorELNS0_4arch9wavefront6targetE0EEEvSM_ ; -- Begin function _ZN7rocprim17ROCPRIM_400000_NS6detail17trampoline_kernelINS0_14default_configENS1_37merge_sort_block_sort_config_selectorIlNS0_10empty_typeEEEZNS1_21merge_sort_block_sortIS3_PlS8_PS5_S9_ZN2at6native12_GLOBAL__N_124unique_dim_cuda_templateIiEESt5tupleIJNSA_6TensorESF_SF_EERKSF_lbbbEUlllE_EE10hipError_tT0_T1_T2_T3_mRjT4_P12ihipStream_tbNS1_7vsmem_tEEUlT_E_NS1_11comp_targetILNS1_3genE3ELNS1_11target_archE908ELNS1_3gpuE7ELNS1_3repE0EEENS1_30default_config_static_selectorELNS0_4arch9wavefront6targetE0EEEvSM_
	.p2align	8
	.type	_ZN7rocprim17ROCPRIM_400000_NS6detail17trampoline_kernelINS0_14default_configENS1_37merge_sort_block_sort_config_selectorIlNS0_10empty_typeEEEZNS1_21merge_sort_block_sortIS3_PlS8_PS5_S9_ZN2at6native12_GLOBAL__N_124unique_dim_cuda_templateIiEESt5tupleIJNSA_6TensorESF_SF_EERKSF_lbbbEUlllE_EE10hipError_tT0_T1_T2_T3_mRjT4_P12ihipStream_tbNS1_7vsmem_tEEUlT_E_NS1_11comp_targetILNS1_3genE3ELNS1_11target_archE908ELNS1_3gpuE7ELNS1_3repE0EEENS1_30default_config_static_selectorELNS0_4arch9wavefront6targetE0EEEvSM_,@function
_ZN7rocprim17ROCPRIM_400000_NS6detail17trampoline_kernelINS0_14default_configENS1_37merge_sort_block_sort_config_selectorIlNS0_10empty_typeEEEZNS1_21merge_sort_block_sortIS3_PlS8_PS5_S9_ZN2at6native12_GLOBAL__N_124unique_dim_cuda_templateIiEESt5tupleIJNSA_6TensorESF_SF_EERKSF_lbbbEUlllE_EE10hipError_tT0_T1_T2_T3_mRjT4_P12ihipStream_tbNS1_7vsmem_tEEUlT_E_NS1_11comp_targetILNS1_3genE3ELNS1_11target_archE908ELNS1_3gpuE7ELNS1_3repE0EEENS1_30default_config_static_selectorELNS0_4arch9wavefront6targetE0EEEvSM_: ; @_ZN7rocprim17ROCPRIM_400000_NS6detail17trampoline_kernelINS0_14default_configENS1_37merge_sort_block_sort_config_selectorIlNS0_10empty_typeEEEZNS1_21merge_sort_block_sortIS3_PlS8_PS5_S9_ZN2at6native12_GLOBAL__N_124unique_dim_cuda_templateIiEESt5tupleIJNSA_6TensorESF_SF_EERKSF_lbbbEUlllE_EE10hipError_tT0_T1_T2_T3_mRjT4_P12ihipStream_tbNS1_7vsmem_tEEUlT_E_NS1_11comp_targetILNS1_3genE3ELNS1_11target_archE908ELNS1_3gpuE7ELNS1_3repE0EEENS1_30default_config_static_selectorELNS0_4arch9wavefront6targetE0EEEvSM_
; %bb.0:
	.section	.rodata,"a",@progbits
	.p2align	6, 0x0
	.amdhsa_kernel _ZN7rocprim17ROCPRIM_400000_NS6detail17trampoline_kernelINS0_14default_configENS1_37merge_sort_block_sort_config_selectorIlNS0_10empty_typeEEEZNS1_21merge_sort_block_sortIS3_PlS8_PS5_S9_ZN2at6native12_GLOBAL__N_124unique_dim_cuda_templateIiEESt5tupleIJNSA_6TensorESF_SF_EERKSF_lbbbEUlllE_EE10hipError_tT0_T1_T2_T3_mRjT4_P12ihipStream_tbNS1_7vsmem_tEEUlT_E_NS1_11comp_targetILNS1_3genE3ELNS1_11target_archE908ELNS1_3gpuE7ELNS1_3repE0EEENS1_30default_config_static_selectorELNS0_4arch9wavefront6targetE0EEEvSM_
		.amdhsa_group_segment_fixed_size 0
		.amdhsa_private_segment_fixed_size 0
		.amdhsa_kernarg_size 72
		.amdhsa_user_sgpr_count 15
		.amdhsa_user_sgpr_dispatch_ptr 0
		.amdhsa_user_sgpr_queue_ptr 0
		.amdhsa_user_sgpr_kernarg_segment_ptr 1
		.amdhsa_user_sgpr_dispatch_id 0
		.amdhsa_user_sgpr_private_segment_size 0
		.amdhsa_wavefront_size32 1
		.amdhsa_uses_dynamic_stack 0
		.amdhsa_enable_private_segment 0
		.amdhsa_system_sgpr_workgroup_id_x 1
		.amdhsa_system_sgpr_workgroup_id_y 0
		.amdhsa_system_sgpr_workgroup_id_z 0
		.amdhsa_system_sgpr_workgroup_info 0
		.amdhsa_system_vgpr_workitem_id 0
		.amdhsa_next_free_vgpr 1
		.amdhsa_next_free_sgpr 1
		.amdhsa_reserve_vcc 0
		.amdhsa_float_round_mode_32 0
		.amdhsa_float_round_mode_16_64 0
		.amdhsa_float_denorm_mode_32 3
		.amdhsa_float_denorm_mode_16_64 3
		.amdhsa_dx10_clamp 1
		.amdhsa_ieee_mode 1
		.amdhsa_fp16_overflow 0
		.amdhsa_workgroup_processor_mode 1
		.amdhsa_memory_ordered 1
		.amdhsa_forward_progress 0
		.amdhsa_shared_vgpr_count 0
		.amdhsa_exception_fp_ieee_invalid_op 0
		.amdhsa_exception_fp_denorm_src 0
		.amdhsa_exception_fp_ieee_div_zero 0
		.amdhsa_exception_fp_ieee_overflow 0
		.amdhsa_exception_fp_ieee_underflow 0
		.amdhsa_exception_fp_ieee_inexact 0
		.amdhsa_exception_int_div_zero 0
	.end_amdhsa_kernel
	.section	.text._ZN7rocprim17ROCPRIM_400000_NS6detail17trampoline_kernelINS0_14default_configENS1_37merge_sort_block_sort_config_selectorIlNS0_10empty_typeEEEZNS1_21merge_sort_block_sortIS3_PlS8_PS5_S9_ZN2at6native12_GLOBAL__N_124unique_dim_cuda_templateIiEESt5tupleIJNSA_6TensorESF_SF_EERKSF_lbbbEUlllE_EE10hipError_tT0_T1_T2_T3_mRjT4_P12ihipStream_tbNS1_7vsmem_tEEUlT_E_NS1_11comp_targetILNS1_3genE3ELNS1_11target_archE908ELNS1_3gpuE7ELNS1_3repE0EEENS1_30default_config_static_selectorELNS0_4arch9wavefront6targetE0EEEvSM_,"axG",@progbits,_ZN7rocprim17ROCPRIM_400000_NS6detail17trampoline_kernelINS0_14default_configENS1_37merge_sort_block_sort_config_selectorIlNS0_10empty_typeEEEZNS1_21merge_sort_block_sortIS3_PlS8_PS5_S9_ZN2at6native12_GLOBAL__N_124unique_dim_cuda_templateIiEESt5tupleIJNSA_6TensorESF_SF_EERKSF_lbbbEUlllE_EE10hipError_tT0_T1_T2_T3_mRjT4_P12ihipStream_tbNS1_7vsmem_tEEUlT_E_NS1_11comp_targetILNS1_3genE3ELNS1_11target_archE908ELNS1_3gpuE7ELNS1_3repE0EEENS1_30default_config_static_selectorELNS0_4arch9wavefront6targetE0EEEvSM_,comdat
.Lfunc_end386:
	.size	_ZN7rocprim17ROCPRIM_400000_NS6detail17trampoline_kernelINS0_14default_configENS1_37merge_sort_block_sort_config_selectorIlNS0_10empty_typeEEEZNS1_21merge_sort_block_sortIS3_PlS8_PS5_S9_ZN2at6native12_GLOBAL__N_124unique_dim_cuda_templateIiEESt5tupleIJNSA_6TensorESF_SF_EERKSF_lbbbEUlllE_EE10hipError_tT0_T1_T2_T3_mRjT4_P12ihipStream_tbNS1_7vsmem_tEEUlT_E_NS1_11comp_targetILNS1_3genE3ELNS1_11target_archE908ELNS1_3gpuE7ELNS1_3repE0EEENS1_30default_config_static_selectorELNS0_4arch9wavefront6targetE0EEEvSM_, .Lfunc_end386-_ZN7rocprim17ROCPRIM_400000_NS6detail17trampoline_kernelINS0_14default_configENS1_37merge_sort_block_sort_config_selectorIlNS0_10empty_typeEEEZNS1_21merge_sort_block_sortIS3_PlS8_PS5_S9_ZN2at6native12_GLOBAL__N_124unique_dim_cuda_templateIiEESt5tupleIJNSA_6TensorESF_SF_EERKSF_lbbbEUlllE_EE10hipError_tT0_T1_T2_T3_mRjT4_P12ihipStream_tbNS1_7vsmem_tEEUlT_E_NS1_11comp_targetILNS1_3genE3ELNS1_11target_archE908ELNS1_3gpuE7ELNS1_3repE0EEENS1_30default_config_static_selectorELNS0_4arch9wavefront6targetE0EEEvSM_
                                        ; -- End function
	.section	.AMDGPU.csdata,"",@progbits
; Kernel info:
; codeLenInByte = 0
; NumSgprs: 0
; NumVgprs: 0
; ScratchSize: 0
; MemoryBound: 0
; FloatMode: 240
; IeeeMode: 1
; LDSByteSize: 0 bytes/workgroup (compile time only)
; SGPRBlocks: 0
; VGPRBlocks: 0
; NumSGPRsForWavesPerEU: 1
; NumVGPRsForWavesPerEU: 1
; Occupancy: 16
; WaveLimiterHint : 0
; COMPUTE_PGM_RSRC2:SCRATCH_EN: 0
; COMPUTE_PGM_RSRC2:USER_SGPR: 15
; COMPUTE_PGM_RSRC2:TRAP_HANDLER: 0
; COMPUTE_PGM_RSRC2:TGID_X_EN: 1
; COMPUTE_PGM_RSRC2:TGID_Y_EN: 0
; COMPUTE_PGM_RSRC2:TGID_Z_EN: 0
; COMPUTE_PGM_RSRC2:TIDIG_COMP_CNT: 0
	.section	.text._ZN7rocprim17ROCPRIM_400000_NS6detail17trampoline_kernelINS0_14default_configENS1_37merge_sort_block_sort_config_selectorIlNS0_10empty_typeEEEZNS1_21merge_sort_block_sortIS3_PlS8_PS5_S9_ZN2at6native12_GLOBAL__N_124unique_dim_cuda_templateIiEESt5tupleIJNSA_6TensorESF_SF_EERKSF_lbbbEUlllE_EE10hipError_tT0_T1_T2_T3_mRjT4_P12ihipStream_tbNS1_7vsmem_tEEUlT_E_NS1_11comp_targetILNS1_3genE2ELNS1_11target_archE906ELNS1_3gpuE6ELNS1_3repE0EEENS1_30default_config_static_selectorELNS0_4arch9wavefront6targetE0EEEvSM_,"axG",@progbits,_ZN7rocprim17ROCPRIM_400000_NS6detail17trampoline_kernelINS0_14default_configENS1_37merge_sort_block_sort_config_selectorIlNS0_10empty_typeEEEZNS1_21merge_sort_block_sortIS3_PlS8_PS5_S9_ZN2at6native12_GLOBAL__N_124unique_dim_cuda_templateIiEESt5tupleIJNSA_6TensorESF_SF_EERKSF_lbbbEUlllE_EE10hipError_tT0_T1_T2_T3_mRjT4_P12ihipStream_tbNS1_7vsmem_tEEUlT_E_NS1_11comp_targetILNS1_3genE2ELNS1_11target_archE906ELNS1_3gpuE6ELNS1_3repE0EEENS1_30default_config_static_selectorELNS0_4arch9wavefront6targetE0EEEvSM_,comdat
	.globl	_ZN7rocprim17ROCPRIM_400000_NS6detail17trampoline_kernelINS0_14default_configENS1_37merge_sort_block_sort_config_selectorIlNS0_10empty_typeEEEZNS1_21merge_sort_block_sortIS3_PlS8_PS5_S9_ZN2at6native12_GLOBAL__N_124unique_dim_cuda_templateIiEESt5tupleIJNSA_6TensorESF_SF_EERKSF_lbbbEUlllE_EE10hipError_tT0_T1_T2_T3_mRjT4_P12ihipStream_tbNS1_7vsmem_tEEUlT_E_NS1_11comp_targetILNS1_3genE2ELNS1_11target_archE906ELNS1_3gpuE6ELNS1_3repE0EEENS1_30default_config_static_selectorELNS0_4arch9wavefront6targetE0EEEvSM_ ; -- Begin function _ZN7rocprim17ROCPRIM_400000_NS6detail17trampoline_kernelINS0_14default_configENS1_37merge_sort_block_sort_config_selectorIlNS0_10empty_typeEEEZNS1_21merge_sort_block_sortIS3_PlS8_PS5_S9_ZN2at6native12_GLOBAL__N_124unique_dim_cuda_templateIiEESt5tupleIJNSA_6TensorESF_SF_EERKSF_lbbbEUlllE_EE10hipError_tT0_T1_T2_T3_mRjT4_P12ihipStream_tbNS1_7vsmem_tEEUlT_E_NS1_11comp_targetILNS1_3genE2ELNS1_11target_archE906ELNS1_3gpuE6ELNS1_3repE0EEENS1_30default_config_static_selectorELNS0_4arch9wavefront6targetE0EEEvSM_
	.p2align	8
	.type	_ZN7rocprim17ROCPRIM_400000_NS6detail17trampoline_kernelINS0_14default_configENS1_37merge_sort_block_sort_config_selectorIlNS0_10empty_typeEEEZNS1_21merge_sort_block_sortIS3_PlS8_PS5_S9_ZN2at6native12_GLOBAL__N_124unique_dim_cuda_templateIiEESt5tupleIJNSA_6TensorESF_SF_EERKSF_lbbbEUlllE_EE10hipError_tT0_T1_T2_T3_mRjT4_P12ihipStream_tbNS1_7vsmem_tEEUlT_E_NS1_11comp_targetILNS1_3genE2ELNS1_11target_archE906ELNS1_3gpuE6ELNS1_3repE0EEENS1_30default_config_static_selectorELNS0_4arch9wavefront6targetE0EEEvSM_,@function
_ZN7rocprim17ROCPRIM_400000_NS6detail17trampoline_kernelINS0_14default_configENS1_37merge_sort_block_sort_config_selectorIlNS0_10empty_typeEEEZNS1_21merge_sort_block_sortIS3_PlS8_PS5_S9_ZN2at6native12_GLOBAL__N_124unique_dim_cuda_templateIiEESt5tupleIJNSA_6TensorESF_SF_EERKSF_lbbbEUlllE_EE10hipError_tT0_T1_T2_T3_mRjT4_P12ihipStream_tbNS1_7vsmem_tEEUlT_E_NS1_11comp_targetILNS1_3genE2ELNS1_11target_archE906ELNS1_3gpuE6ELNS1_3repE0EEENS1_30default_config_static_selectorELNS0_4arch9wavefront6targetE0EEEvSM_: ; @_ZN7rocprim17ROCPRIM_400000_NS6detail17trampoline_kernelINS0_14default_configENS1_37merge_sort_block_sort_config_selectorIlNS0_10empty_typeEEEZNS1_21merge_sort_block_sortIS3_PlS8_PS5_S9_ZN2at6native12_GLOBAL__N_124unique_dim_cuda_templateIiEESt5tupleIJNSA_6TensorESF_SF_EERKSF_lbbbEUlllE_EE10hipError_tT0_T1_T2_T3_mRjT4_P12ihipStream_tbNS1_7vsmem_tEEUlT_E_NS1_11comp_targetILNS1_3genE2ELNS1_11target_archE906ELNS1_3gpuE6ELNS1_3repE0EEENS1_30default_config_static_selectorELNS0_4arch9wavefront6targetE0EEEvSM_
; %bb.0:
	.section	.rodata,"a",@progbits
	.p2align	6, 0x0
	.amdhsa_kernel _ZN7rocprim17ROCPRIM_400000_NS6detail17trampoline_kernelINS0_14default_configENS1_37merge_sort_block_sort_config_selectorIlNS0_10empty_typeEEEZNS1_21merge_sort_block_sortIS3_PlS8_PS5_S9_ZN2at6native12_GLOBAL__N_124unique_dim_cuda_templateIiEESt5tupleIJNSA_6TensorESF_SF_EERKSF_lbbbEUlllE_EE10hipError_tT0_T1_T2_T3_mRjT4_P12ihipStream_tbNS1_7vsmem_tEEUlT_E_NS1_11comp_targetILNS1_3genE2ELNS1_11target_archE906ELNS1_3gpuE6ELNS1_3repE0EEENS1_30default_config_static_selectorELNS0_4arch9wavefront6targetE0EEEvSM_
		.amdhsa_group_segment_fixed_size 0
		.amdhsa_private_segment_fixed_size 0
		.amdhsa_kernarg_size 72
		.amdhsa_user_sgpr_count 15
		.amdhsa_user_sgpr_dispatch_ptr 0
		.amdhsa_user_sgpr_queue_ptr 0
		.amdhsa_user_sgpr_kernarg_segment_ptr 1
		.amdhsa_user_sgpr_dispatch_id 0
		.amdhsa_user_sgpr_private_segment_size 0
		.amdhsa_wavefront_size32 1
		.amdhsa_uses_dynamic_stack 0
		.amdhsa_enable_private_segment 0
		.amdhsa_system_sgpr_workgroup_id_x 1
		.amdhsa_system_sgpr_workgroup_id_y 0
		.amdhsa_system_sgpr_workgroup_id_z 0
		.amdhsa_system_sgpr_workgroup_info 0
		.amdhsa_system_vgpr_workitem_id 0
		.amdhsa_next_free_vgpr 1
		.amdhsa_next_free_sgpr 1
		.amdhsa_reserve_vcc 0
		.amdhsa_float_round_mode_32 0
		.amdhsa_float_round_mode_16_64 0
		.amdhsa_float_denorm_mode_32 3
		.amdhsa_float_denorm_mode_16_64 3
		.amdhsa_dx10_clamp 1
		.amdhsa_ieee_mode 1
		.amdhsa_fp16_overflow 0
		.amdhsa_workgroup_processor_mode 1
		.amdhsa_memory_ordered 1
		.amdhsa_forward_progress 0
		.amdhsa_shared_vgpr_count 0
		.amdhsa_exception_fp_ieee_invalid_op 0
		.amdhsa_exception_fp_denorm_src 0
		.amdhsa_exception_fp_ieee_div_zero 0
		.amdhsa_exception_fp_ieee_overflow 0
		.amdhsa_exception_fp_ieee_underflow 0
		.amdhsa_exception_fp_ieee_inexact 0
		.amdhsa_exception_int_div_zero 0
	.end_amdhsa_kernel
	.section	.text._ZN7rocprim17ROCPRIM_400000_NS6detail17trampoline_kernelINS0_14default_configENS1_37merge_sort_block_sort_config_selectorIlNS0_10empty_typeEEEZNS1_21merge_sort_block_sortIS3_PlS8_PS5_S9_ZN2at6native12_GLOBAL__N_124unique_dim_cuda_templateIiEESt5tupleIJNSA_6TensorESF_SF_EERKSF_lbbbEUlllE_EE10hipError_tT0_T1_T2_T3_mRjT4_P12ihipStream_tbNS1_7vsmem_tEEUlT_E_NS1_11comp_targetILNS1_3genE2ELNS1_11target_archE906ELNS1_3gpuE6ELNS1_3repE0EEENS1_30default_config_static_selectorELNS0_4arch9wavefront6targetE0EEEvSM_,"axG",@progbits,_ZN7rocprim17ROCPRIM_400000_NS6detail17trampoline_kernelINS0_14default_configENS1_37merge_sort_block_sort_config_selectorIlNS0_10empty_typeEEEZNS1_21merge_sort_block_sortIS3_PlS8_PS5_S9_ZN2at6native12_GLOBAL__N_124unique_dim_cuda_templateIiEESt5tupleIJNSA_6TensorESF_SF_EERKSF_lbbbEUlllE_EE10hipError_tT0_T1_T2_T3_mRjT4_P12ihipStream_tbNS1_7vsmem_tEEUlT_E_NS1_11comp_targetILNS1_3genE2ELNS1_11target_archE906ELNS1_3gpuE6ELNS1_3repE0EEENS1_30default_config_static_selectorELNS0_4arch9wavefront6targetE0EEEvSM_,comdat
.Lfunc_end387:
	.size	_ZN7rocprim17ROCPRIM_400000_NS6detail17trampoline_kernelINS0_14default_configENS1_37merge_sort_block_sort_config_selectorIlNS0_10empty_typeEEEZNS1_21merge_sort_block_sortIS3_PlS8_PS5_S9_ZN2at6native12_GLOBAL__N_124unique_dim_cuda_templateIiEESt5tupleIJNSA_6TensorESF_SF_EERKSF_lbbbEUlllE_EE10hipError_tT0_T1_T2_T3_mRjT4_P12ihipStream_tbNS1_7vsmem_tEEUlT_E_NS1_11comp_targetILNS1_3genE2ELNS1_11target_archE906ELNS1_3gpuE6ELNS1_3repE0EEENS1_30default_config_static_selectorELNS0_4arch9wavefront6targetE0EEEvSM_, .Lfunc_end387-_ZN7rocprim17ROCPRIM_400000_NS6detail17trampoline_kernelINS0_14default_configENS1_37merge_sort_block_sort_config_selectorIlNS0_10empty_typeEEEZNS1_21merge_sort_block_sortIS3_PlS8_PS5_S9_ZN2at6native12_GLOBAL__N_124unique_dim_cuda_templateIiEESt5tupleIJNSA_6TensorESF_SF_EERKSF_lbbbEUlllE_EE10hipError_tT0_T1_T2_T3_mRjT4_P12ihipStream_tbNS1_7vsmem_tEEUlT_E_NS1_11comp_targetILNS1_3genE2ELNS1_11target_archE906ELNS1_3gpuE6ELNS1_3repE0EEENS1_30default_config_static_selectorELNS0_4arch9wavefront6targetE0EEEvSM_
                                        ; -- End function
	.section	.AMDGPU.csdata,"",@progbits
; Kernel info:
; codeLenInByte = 0
; NumSgprs: 0
; NumVgprs: 0
; ScratchSize: 0
; MemoryBound: 0
; FloatMode: 240
; IeeeMode: 1
; LDSByteSize: 0 bytes/workgroup (compile time only)
; SGPRBlocks: 0
; VGPRBlocks: 0
; NumSGPRsForWavesPerEU: 1
; NumVGPRsForWavesPerEU: 1
; Occupancy: 16
; WaveLimiterHint : 0
; COMPUTE_PGM_RSRC2:SCRATCH_EN: 0
; COMPUTE_PGM_RSRC2:USER_SGPR: 15
; COMPUTE_PGM_RSRC2:TRAP_HANDLER: 0
; COMPUTE_PGM_RSRC2:TGID_X_EN: 1
; COMPUTE_PGM_RSRC2:TGID_Y_EN: 0
; COMPUTE_PGM_RSRC2:TGID_Z_EN: 0
; COMPUTE_PGM_RSRC2:TIDIG_COMP_CNT: 0
	.section	.text._ZN7rocprim17ROCPRIM_400000_NS6detail17trampoline_kernelINS0_14default_configENS1_37merge_sort_block_sort_config_selectorIlNS0_10empty_typeEEEZNS1_21merge_sort_block_sortIS3_PlS8_PS5_S9_ZN2at6native12_GLOBAL__N_124unique_dim_cuda_templateIiEESt5tupleIJNSA_6TensorESF_SF_EERKSF_lbbbEUlllE_EE10hipError_tT0_T1_T2_T3_mRjT4_P12ihipStream_tbNS1_7vsmem_tEEUlT_E_NS1_11comp_targetILNS1_3genE10ELNS1_11target_archE1201ELNS1_3gpuE5ELNS1_3repE0EEENS1_30default_config_static_selectorELNS0_4arch9wavefront6targetE0EEEvSM_,"axG",@progbits,_ZN7rocprim17ROCPRIM_400000_NS6detail17trampoline_kernelINS0_14default_configENS1_37merge_sort_block_sort_config_selectorIlNS0_10empty_typeEEEZNS1_21merge_sort_block_sortIS3_PlS8_PS5_S9_ZN2at6native12_GLOBAL__N_124unique_dim_cuda_templateIiEESt5tupleIJNSA_6TensorESF_SF_EERKSF_lbbbEUlllE_EE10hipError_tT0_T1_T2_T3_mRjT4_P12ihipStream_tbNS1_7vsmem_tEEUlT_E_NS1_11comp_targetILNS1_3genE10ELNS1_11target_archE1201ELNS1_3gpuE5ELNS1_3repE0EEENS1_30default_config_static_selectorELNS0_4arch9wavefront6targetE0EEEvSM_,comdat
	.globl	_ZN7rocprim17ROCPRIM_400000_NS6detail17trampoline_kernelINS0_14default_configENS1_37merge_sort_block_sort_config_selectorIlNS0_10empty_typeEEEZNS1_21merge_sort_block_sortIS3_PlS8_PS5_S9_ZN2at6native12_GLOBAL__N_124unique_dim_cuda_templateIiEESt5tupleIJNSA_6TensorESF_SF_EERKSF_lbbbEUlllE_EE10hipError_tT0_T1_T2_T3_mRjT4_P12ihipStream_tbNS1_7vsmem_tEEUlT_E_NS1_11comp_targetILNS1_3genE10ELNS1_11target_archE1201ELNS1_3gpuE5ELNS1_3repE0EEENS1_30default_config_static_selectorELNS0_4arch9wavefront6targetE0EEEvSM_ ; -- Begin function _ZN7rocprim17ROCPRIM_400000_NS6detail17trampoline_kernelINS0_14default_configENS1_37merge_sort_block_sort_config_selectorIlNS0_10empty_typeEEEZNS1_21merge_sort_block_sortIS3_PlS8_PS5_S9_ZN2at6native12_GLOBAL__N_124unique_dim_cuda_templateIiEESt5tupleIJNSA_6TensorESF_SF_EERKSF_lbbbEUlllE_EE10hipError_tT0_T1_T2_T3_mRjT4_P12ihipStream_tbNS1_7vsmem_tEEUlT_E_NS1_11comp_targetILNS1_3genE10ELNS1_11target_archE1201ELNS1_3gpuE5ELNS1_3repE0EEENS1_30default_config_static_selectorELNS0_4arch9wavefront6targetE0EEEvSM_
	.p2align	8
	.type	_ZN7rocprim17ROCPRIM_400000_NS6detail17trampoline_kernelINS0_14default_configENS1_37merge_sort_block_sort_config_selectorIlNS0_10empty_typeEEEZNS1_21merge_sort_block_sortIS3_PlS8_PS5_S9_ZN2at6native12_GLOBAL__N_124unique_dim_cuda_templateIiEESt5tupleIJNSA_6TensorESF_SF_EERKSF_lbbbEUlllE_EE10hipError_tT0_T1_T2_T3_mRjT4_P12ihipStream_tbNS1_7vsmem_tEEUlT_E_NS1_11comp_targetILNS1_3genE10ELNS1_11target_archE1201ELNS1_3gpuE5ELNS1_3repE0EEENS1_30default_config_static_selectorELNS0_4arch9wavefront6targetE0EEEvSM_,@function
_ZN7rocprim17ROCPRIM_400000_NS6detail17trampoline_kernelINS0_14default_configENS1_37merge_sort_block_sort_config_selectorIlNS0_10empty_typeEEEZNS1_21merge_sort_block_sortIS3_PlS8_PS5_S9_ZN2at6native12_GLOBAL__N_124unique_dim_cuda_templateIiEESt5tupleIJNSA_6TensorESF_SF_EERKSF_lbbbEUlllE_EE10hipError_tT0_T1_T2_T3_mRjT4_P12ihipStream_tbNS1_7vsmem_tEEUlT_E_NS1_11comp_targetILNS1_3genE10ELNS1_11target_archE1201ELNS1_3gpuE5ELNS1_3repE0EEENS1_30default_config_static_selectorELNS0_4arch9wavefront6targetE0EEEvSM_: ; @_ZN7rocprim17ROCPRIM_400000_NS6detail17trampoline_kernelINS0_14default_configENS1_37merge_sort_block_sort_config_selectorIlNS0_10empty_typeEEEZNS1_21merge_sort_block_sortIS3_PlS8_PS5_S9_ZN2at6native12_GLOBAL__N_124unique_dim_cuda_templateIiEESt5tupleIJNSA_6TensorESF_SF_EERKSF_lbbbEUlllE_EE10hipError_tT0_T1_T2_T3_mRjT4_P12ihipStream_tbNS1_7vsmem_tEEUlT_E_NS1_11comp_targetILNS1_3genE10ELNS1_11target_archE1201ELNS1_3gpuE5ELNS1_3repE0EEENS1_30default_config_static_selectorELNS0_4arch9wavefront6targetE0EEEvSM_
; %bb.0:
	.section	.rodata,"a",@progbits
	.p2align	6, 0x0
	.amdhsa_kernel _ZN7rocprim17ROCPRIM_400000_NS6detail17trampoline_kernelINS0_14default_configENS1_37merge_sort_block_sort_config_selectorIlNS0_10empty_typeEEEZNS1_21merge_sort_block_sortIS3_PlS8_PS5_S9_ZN2at6native12_GLOBAL__N_124unique_dim_cuda_templateIiEESt5tupleIJNSA_6TensorESF_SF_EERKSF_lbbbEUlllE_EE10hipError_tT0_T1_T2_T3_mRjT4_P12ihipStream_tbNS1_7vsmem_tEEUlT_E_NS1_11comp_targetILNS1_3genE10ELNS1_11target_archE1201ELNS1_3gpuE5ELNS1_3repE0EEENS1_30default_config_static_selectorELNS0_4arch9wavefront6targetE0EEEvSM_
		.amdhsa_group_segment_fixed_size 0
		.amdhsa_private_segment_fixed_size 0
		.amdhsa_kernarg_size 72
		.amdhsa_user_sgpr_count 15
		.amdhsa_user_sgpr_dispatch_ptr 0
		.amdhsa_user_sgpr_queue_ptr 0
		.amdhsa_user_sgpr_kernarg_segment_ptr 1
		.amdhsa_user_sgpr_dispatch_id 0
		.amdhsa_user_sgpr_private_segment_size 0
		.amdhsa_wavefront_size32 1
		.amdhsa_uses_dynamic_stack 0
		.amdhsa_enable_private_segment 0
		.amdhsa_system_sgpr_workgroup_id_x 1
		.amdhsa_system_sgpr_workgroup_id_y 0
		.amdhsa_system_sgpr_workgroup_id_z 0
		.amdhsa_system_sgpr_workgroup_info 0
		.amdhsa_system_vgpr_workitem_id 0
		.amdhsa_next_free_vgpr 1
		.amdhsa_next_free_sgpr 1
		.amdhsa_reserve_vcc 0
		.amdhsa_float_round_mode_32 0
		.amdhsa_float_round_mode_16_64 0
		.amdhsa_float_denorm_mode_32 3
		.amdhsa_float_denorm_mode_16_64 3
		.amdhsa_dx10_clamp 1
		.amdhsa_ieee_mode 1
		.amdhsa_fp16_overflow 0
		.amdhsa_workgroup_processor_mode 1
		.amdhsa_memory_ordered 1
		.amdhsa_forward_progress 0
		.amdhsa_shared_vgpr_count 0
		.amdhsa_exception_fp_ieee_invalid_op 0
		.amdhsa_exception_fp_denorm_src 0
		.amdhsa_exception_fp_ieee_div_zero 0
		.amdhsa_exception_fp_ieee_overflow 0
		.amdhsa_exception_fp_ieee_underflow 0
		.amdhsa_exception_fp_ieee_inexact 0
		.amdhsa_exception_int_div_zero 0
	.end_amdhsa_kernel
	.section	.text._ZN7rocprim17ROCPRIM_400000_NS6detail17trampoline_kernelINS0_14default_configENS1_37merge_sort_block_sort_config_selectorIlNS0_10empty_typeEEEZNS1_21merge_sort_block_sortIS3_PlS8_PS5_S9_ZN2at6native12_GLOBAL__N_124unique_dim_cuda_templateIiEESt5tupleIJNSA_6TensorESF_SF_EERKSF_lbbbEUlllE_EE10hipError_tT0_T1_T2_T3_mRjT4_P12ihipStream_tbNS1_7vsmem_tEEUlT_E_NS1_11comp_targetILNS1_3genE10ELNS1_11target_archE1201ELNS1_3gpuE5ELNS1_3repE0EEENS1_30default_config_static_selectorELNS0_4arch9wavefront6targetE0EEEvSM_,"axG",@progbits,_ZN7rocprim17ROCPRIM_400000_NS6detail17trampoline_kernelINS0_14default_configENS1_37merge_sort_block_sort_config_selectorIlNS0_10empty_typeEEEZNS1_21merge_sort_block_sortIS3_PlS8_PS5_S9_ZN2at6native12_GLOBAL__N_124unique_dim_cuda_templateIiEESt5tupleIJNSA_6TensorESF_SF_EERKSF_lbbbEUlllE_EE10hipError_tT0_T1_T2_T3_mRjT4_P12ihipStream_tbNS1_7vsmem_tEEUlT_E_NS1_11comp_targetILNS1_3genE10ELNS1_11target_archE1201ELNS1_3gpuE5ELNS1_3repE0EEENS1_30default_config_static_selectorELNS0_4arch9wavefront6targetE0EEEvSM_,comdat
.Lfunc_end388:
	.size	_ZN7rocprim17ROCPRIM_400000_NS6detail17trampoline_kernelINS0_14default_configENS1_37merge_sort_block_sort_config_selectorIlNS0_10empty_typeEEEZNS1_21merge_sort_block_sortIS3_PlS8_PS5_S9_ZN2at6native12_GLOBAL__N_124unique_dim_cuda_templateIiEESt5tupleIJNSA_6TensorESF_SF_EERKSF_lbbbEUlllE_EE10hipError_tT0_T1_T2_T3_mRjT4_P12ihipStream_tbNS1_7vsmem_tEEUlT_E_NS1_11comp_targetILNS1_3genE10ELNS1_11target_archE1201ELNS1_3gpuE5ELNS1_3repE0EEENS1_30default_config_static_selectorELNS0_4arch9wavefront6targetE0EEEvSM_, .Lfunc_end388-_ZN7rocprim17ROCPRIM_400000_NS6detail17trampoline_kernelINS0_14default_configENS1_37merge_sort_block_sort_config_selectorIlNS0_10empty_typeEEEZNS1_21merge_sort_block_sortIS3_PlS8_PS5_S9_ZN2at6native12_GLOBAL__N_124unique_dim_cuda_templateIiEESt5tupleIJNSA_6TensorESF_SF_EERKSF_lbbbEUlllE_EE10hipError_tT0_T1_T2_T3_mRjT4_P12ihipStream_tbNS1_7vsmem_tEEUlT_E_NS1_11comp_targetILNS1_3genE10ELNS1_11target_archE1201ELNS1_3gpuE5ELNS1_3repE0EEENS1_30default_config_static_selectorELNS0_4arch9wavefront6targetE0EEEvSM_
                                        ; -- End function
	.section	.AMDGPU.csdata,"",@progbits
; Kernel info:
; codeLenInByte = 0
; NumSgprs: 0
; NumVgprs: 0
; ScratchSize: 0
; MemoryBound: 0
; FloatMode: 240
; IeeeMode: 1
; LDSByteSize: 0 bytes/workgroup (compile time only)
; SGPRBlocks: 0
; VGPRBlocks: 0
; NumSGPRsForWavesPerEU: 1
; NumVGPRsForWavesPerEU: 1
; Occupancy: 16
; WaveLimiterHint : 0
; COMPUTE_PGM_RSRC2:SCRATCH_EN: 0
; COMPUTE_PGM_RSRC2:USER_SGPR: 15
; COMPUTE_PGM_RSRC2:TRAP_HANDLER: 0
; COMPUTE_PGM_RSRC2:TGID_X_EN: 1
; COMPUTE_PGM_RSRC2:TGID_Y_EN: 0
; COMPUTE_PGM_RSRC2:TGID_Z_EN: 0
; COMPUTE_PGM_RSRC2:TIDIG_COMP_CNT: 0
	.section	.text._ZN7rocprim17ROCPRIM_400000_NS6detail17trampoline_kernelINS0_14default_configENS1_37merge_sort_block_sort_config_selectorIlNS0_10empty_typeEEEZNS1_21merge_sort_block_sortIS3_PlS8_PS5_S9_ZN2at6native12_GLOBAL__N_124unique_dim_cuda_templateIiEESt5tupleIJNSA_6TensorESF_SF_EERKSF_lbbbEUlllE_EE10hipError_tT0_T1_T2_T3_mRjT4_P12ihipStream_tbNS1_7vsmem_tEEUlT_E_NS1_11comp_targetILNS1_3genE10ELNS1_11target_archE1200ELNS1_3gpuE4ELNS1_3repE0EEENS1_30default_config_static_selectorELNS0_4arch9wavefront6targetE0EEEvSM_,"axG",@progbits,_ZN7rocprim17ROCPRIM_400000_NS6detail17trampoline_kernelINS0_14default_configENS1_37merge_sort_block_sort_config_selectorIlNS0_10empty_typeEEEZNS1_21merge_sort_block_sortIS3_PlS8_PS5_S9_ZN2at6native12_GLOBAL__N_124unique_dim_cuda_templateIiEESt5tupleIJNSA_6TensorESF_SF_EERKSF_lbbbEUlllE_EE10hipError_tT0_T1_T2_T3_mRjT4_P12ihipStream_tbNS1_7vsmem_tEEUlT_E_NS1_11comp_targetILNS1_3genE10ELNS1_11target_archE1200ELNS1_3gpuE4ELNS1_3repE0EEENS1_30default_config_static_selectorELNS0_4arch9wavefront6targetE0EEEvSM_,comdat
	.globl	_ZN7rocprim17ROCPRIM_400000_NS6detail17trampoline_kernelINS0_14default_configENS1_37merge_sort_block_sort_config_selectorIlNS0_10empty_typeEEEZNS1_21merge_sort_block_sortIS3_PlS8_PS5_S9_ZN2at6native12_GLOBAL__N_124unique_dim_cuda_templateIiEESt5tupleIJNSA_6TensorESF_SF_EERKSF_lbbbEUlllE_EE10hipError_tT0_T1_T2_T3_mRjT4_P12ihipStream_tbNS1_7vsmem_tEEUlT_E_NS1_11comp_targetILNS1_3genE10ELNS1_11target_archE1200ELNS1_3gpuE4ELNS1_3repE0EEENS1_30default_config_static_selectorELNS0_4arch9wavefront6targetE0EEEvSM_ ; -- Begin function _ZN7rocprim17ROCPRIM_400000_NS6detail17trampoline_kernelINS0_14default_configENS1_37merge_sort_block_sort_config_selectorIlNS0_10empty_typeEEEZNS1_21merge_sort_block_sortIS3_PlS8_PS5_S9_ZN2at6native12_GLOBAL__N_124unique_dim_cuda_templateIiEESt5tupleIJNSA_6TensorESF_SF_EERKSF_lbbbEUlllE_EE10hipError_tT0_T1_T2_T3_mRjT4_P12ihipStream_tbNS1_7vsmem_tEEUlT_E_NS1_11comp_targetILNS1_3genE10ELNS1_11target_archE1200ELNS1_3gpuE4ELNS1_3repE0EEENS1_30default_config_static_selectorELNS0_4arch9wavefront6targetE0EEEvSM_
	.p2align	8
	.type	_ZN7rocprim17ROCPRIM_400000_NS6detail17trampoline_kernelINS0_14default_configENS1_37merge_sort_block_sort_config_selectorIlNS0_10empty_typeEEEZNS1_21merge_sort_block_sortIS3_PlS8_PS5_S9_ZN2at6native12_GLOBAL__N_124unique_dim_cuda_templateIiEESt5tupleIJNSA_6TensorESF_SF_EERKSF_lbbbEUlllE_EE10hipError_tT0_T1_T2_T3_mRjT4_P12ihipStream_tbNS1_7vsmem_tEEUlT_E_NS1_11comp_targetILNS1_3genE10ELNS1_11target_archE1200ELNS1_3gpuE4ELNS1_3repE0EEENS1_30default_config_static_selectorELNS0_4arch9wavefront6targetE0EEEvSM_,@function
_ZN7rocprim17ROCPRIM_400000_NS6detail17trampoline_kernelINS0_14default_configENS1_37merge_sort_block_sort_config_selectorIlNS0_10empty_typeEEEZNS1_21merge_sort_block_sortIS3_PlS8_PS5_S9_ZN2at6native12_GLOBAL__N_124unique_dim_cuda_templateIiEESt5tupleIJNSA_6TensorESF_SF_EERKSF_lbbbEUlllE_EE10hipError_tT0_T1_T2_T3_mRjT4_P12ihipStream_tbNS1_7vsmem_tEEUlT_E_NS1_11comp_targetILNS1_3genE10ELNS1_11target_archE1200ELNS1_3gpuE4ELNS1_3repE0EEENS1_30default_config_static_selectorELNS0_4arch9wavefront6targetE0EEEvSM_: ; @_ZN7rocprim17ROCPRIM_400000_NS6detail17trampoline_kernelINS0_14default_configENS1_37merge_sort_block_sort_config_selectorIlNS0_10empty_typeEEEZNS1_21merge_sort_block_sortIS3_PlS8_PS5_S9_ZN2at6native12_GLOBAL__N_124unique_dim_cuda_templateIiEESt5tupleIJNSA_6TensorESF_SF_EERKSF_lbbbEUlllE_EE10hipError_tT0_T1_T2_T3_mRjT4_P12ihipStream_tbNS1_7vsmem_tEEUlT_E_NS1_11comp_targetILNS1_3genE10ELNS1_11target_archE1200ELNS1_3gpuE4ELNS1_3repE0EEENS1_30default_config_static_selectorELNS0_4arch9wavefront6targetE0EEEvSM_
; %bb.0:
	.section	.rodata,"a",@progbits
	.p2align	6, 0x0
	.amdhsa_kernel _ZN7rocprim17ROCPRIM_400000_NS6detail17trampoline_kernelINS0_14default_configENS1_37merge_sort_block_sort_config_selectorIlNS0_10empty_typeEEEZNS1_21merge_sort_block_sortIS3_PlS8_PS5_S9_ZN2at6native12_GLOBAL__N_124unique_dim_cuda_templateIiEESt5tupleIJNSA_6TensorESF_SF_EERKSF_lbbbEUlllE_EE10hipError_tT0_T1_T2_T3_mRjT4_P12ihipStream_tbNS1_7vsmem_tEEUlT_E_NS1_11comp_targetILNS1_3genE10ELNS1_11target_archE1200ELNS1_3gpuE4ELNS1_3repE0EEENS1_30default_config_static_selectorELNS0_4arch9wavefront6targetE0EEEvSM_
		.amdhsa_group_segment_fixed_size 0
		.amdhsa_private_segment_fixed_size 0
		.amdhsa_kernarg_size 72
		.amdhsa_user_sgpr_count 15
		.amdhsa_user_sgpr_dispatch_ptr 0
		.amdhsa_user_sgpr_queue_ptr 0
		.amdhsa_user_sgpr_kernarg_segment_ptr 1
		.amdhsa_user_sgpr_dispatch_id 0
		.amdhsa_user_sgpr_private_segment_size 0
		.amdhsa_wavefront_size32 1
		.amdhsa_uses_dynamic_stack 0
		.amdhsa_enable_private_segment 0
		.amdhsa_system_sgpr_workgroup_id_x 1
		.amdhsa_system_sgpr_workgroup_id_y 0
		.amdhsa_system_sgpr_workgroup_id_z 0
		.amdhsa_system_sgpr_workgroup_info 0
		.amdhsa_system_vgpr_workitem_id 0
		.amdhsa_next_free_vgpr 1
		.amdhsa_next_free_sgpr 1
		.amdhsa_reserve_vcc 0
		.amdhsa_float_round_mode_32 0
		.amdhsa_float_round_mode_16_64 0
		.amdhsa_float_denorm_mode_32 3
		.amdhsa_float_denorm_mode_16_64 3
		.amdhsa_dx10_clamp 1
		.amdhsa_ieee_mode 1
		.amdhsa_fp16_overflow 0
		.amdhsa_workgroup_processor_mode 1
		.amdhsa_memory_ordered 1
		.amdhsa_forward_progress 0
		.amdhsa_shared_vgpr_count 0
		.amdhsa_exception_fp_ieee_invalid_op 0
		.amdhsa_exception_fp_denorm_src 0
		.amdhsa_exception_fp_ieee_div_zero 0
		.amdhsa_exception_fp_ieee_overflow 0
		.amdhsa_exception_fp_ieee_underflow 0
		.amdhsa_exception_fp_ieee_inexact 0
		.amdhsa_exception_int_div_zero 0
	.end_amdhsa_kernel
	.section	.text._ZN7rocprim17ROCPRIM_400000_NS6detail17trampoline_kernelINS0_14default_configENS1_37merge_sort_block_sort_config_selectorIlNS0_10empty_typeEEEZNS1_21merge_sort_block_sortIS3_PlS8_PS5_S9_ZN2at6native12_GLOBAL__N_124unique_dim_cuda_templateIiEESt5tupleIJNSA_6TensorESF_SF_EERKSF_lbbbEUlllE_EE10hipError_tT0_T1_T2_T3_mRjT4_P12ihipStream_tbNS1_7vsmem_tEEUlT_E_NS1_11comp_targetILNS1_3genE10ELNS1_11target_archE1200ELNS1_3gpuE4ELNS1_3repE0EEENS1_30default_config_static_selectorELNS0_4arch9wavefront6targetE0EEEvSM_,"axG",@progbits,_ZN7rocprim17ROCPRIM_400000_NS6detail17trampoline_kernelINS0_14default_configENS1_37merge_sort_block_sort_config_selectorIlNS0_10empty_typeEEEZNS1_21merge_sort_block_sortIS3_PlS8_PS5_S9_ZN2at6native12_GLOBAL__N_124unique_dim_cuda_templateIiEESt5tupleIJNSA_6TensorESF_SF_EERKSF_lbbbEUlllE_EE10hipError_tT0_T1_T2_T3_mRjT4_P12ihipStream_tbNS1_7vsmem_tEEUlT_E_NS1_11comp_targetILNS1_3genE10ELNS1_11target_archE1200ELNS1_3gpuE4ELNS1_3repE0EEENS1_30default_config_static_selectorELNS0_4arch9wavefront6targetE0EEEvSM_,comdat
.Lfunc_end389:
	.size	_ZN7rocprim17ROCPRIM_400000_NS6detail17trampoline_kernelINS0_14default_configENS1_37merge_sort_block_sort_config_selectorIlNS0_10empty_typeEEEZNS1_21merge_sort_block_sortIS3_PlS8_PS5_S9_ZN2at6native12_GLOBAL__N_124unique_dim_cuda_templateIiEESt5tupleIJNSA_6TensorESF_SF_EERKSF_lbbbEUlllE_EE10hipError_tT0_T1_T2_T3_mRjT4_P12ihipStream_tbNS1_7vsmem_tEEUlT_E_NS1_11comp_targetILNS1_3genE10ELNS1_11target_archE1200ELNS1_3gpuE4ELNS1_3repE0EEENS1_30default_config_static_selectorELNS0_4arch9wavefront6targetE0EEEvSM_, .Lfunc_end389-_ZN7rocprim17ROCPRIM_400000_NS6detail17trampoline_kernelINS0_14default_configENS1_37merge_sort_block_sort_config_selectorIlNS0_10empty_typeEEEZNS1_21merge_sort_block_sortIS3_PlS8_PS5_S9_ZN2at6native12_GLOBAL__N_124unique_dim_cuda_templateIiEESt5tupleIJNSA_6TensorESF_SF_EERKSF_lbbbEUlllE_EE10hipError_tT0_T1_T2_T3_mRjT4_P12ihipStream_tbNS1_7vsmem_tEEUlT_E_NS1_11comp_targetILNS1_3genE10ELNS1_11target_archE1200ELNS1_3gpuE4ELNS1_3repE0EEENS1_30default_config_static_selectorELNS0_4arch9wavefront6targetE0EEEvSM_
                                        ; -- End function
	.section	.AMDGPU.csdata,"",@progbits
; Kernel info:
; codeLenInByte = 0
; NumSgprs: 0
; NumVgprs: 0
; ScratchSize: 0
; MemoryBound: 0
; FloatMode: 240
; IeeeMode: 1
; LDSByteSize: 0 bytes/workgroup (compile time only)
; SGPRBlocks: 0
; VGPRBlocks: 0
; NumSGPRsForWavesPerEU: 1
; NumVGPRsForWavesPerEU: 1
; Occupancy: 16
; WaveLimiterHint : 0
; COMPUTE_PGM_RSRC2:SCRATCH_EN: 0
; COMPUTE_PGM_RSRC2:USER_SGPR: 15
; COMPUTE_PGM_RSRC2:TRAP_HANDLER: 0
; COMPUTE_PGM_RSRC2:TGID_X_EN: 1
; COMPUTE_PGM_RSRC2:TGID_Y_EN: 0
; COMPUTE_PGM_RSRC2:TGID_Z_EN: 0
; COMPUTE_PGM_RSRC2:TIDIG_COMP_CNT: 0
	.section	.text._ZN7rocprim17ROCPRIM_400000_NS6detail17trampoline_kernelINS0_14default_configENS1_37merge_sort_block_sort_config_selectorIlNS0_10empty_typeEEEZNS1_21merge_sort_block_sortIS3_PlS8_PS5_S9_ZN2at6native12_GLOBAL__N_124unique_dim_cuda_templateIiEESt5tupleIJNSA_6TensorESF_SF_EERKSF_lbbbEUlllE_EE10hipError_tT0_T1_T2_T3_mRjT4_P12ihipStream_tbNS1_7vsmem_tEEUlT_E_NS1_11comp_targetILNS1_3genE9ELNS1_11target_archE1100ELNS1_3gpuE3ELNS1_3repE0EEENS1_30default_config_static_selectorELNS0_4arch9wavefront6targetE0EEEvSM_,"axG",@progbits,_ZN7rocprim17ROCPRIM_400000_NS6detail17trampoline_kernelINS0_14default_configENS1_37merge_sort_block_sort_config_selectorIlNS0_10empty_typeEEEZNS1_21merge_sort_block_sortIS3_PlS8_PS5_S9_ZN2at6native12_GLOBAL__N_124unique_dim_cuda_templateIiEESt5tupleIJNSA_6TensorESF_SF_EERKSF_lbbbEUlllE_EE10hipError_tT0_T1_T2_T3_mRjT4_P12ihipStream_tbNS1_7vsmem_tEEUlT_E_NS1_11comp_targetILNS1_3genE9ELNS1_11target_archE1100ELNS1_3gpuE3ELNS1_3repE0EEENS1_30default_config_static_selectorELNS0_4arch9wavefront6targetE0EEEvSM_,comdat
	.globl	_ZN7rocprim17ROCPRIM_400000_NS6detail17trampoline_kernelINS0_14default_configENS1_37merge_sort_block_sort_config_selectorIlNS0_10empty_typeEEEZNS1_21merge_sort_block_sortIS3_PlS8_PS5_S9_ZN2at6native12_GLOBAL__N_124unique_dim_cuda_templateIiEESt5tupleIJNSA_6TensorESF_SF_EERKSF_lbbbEUlllE_EE10hipError_tT0_T1_T2_T3_mRjT4_P12ihipStream_tbNS1_7vsmem_tEEUlT_E_NS1_11comp_targetILNS1_3genE9ELNS1_11target_archE1100ELNS1_3gpuE3ELNS1_3repE0EEENS1_30default_config_static_selectorELNS0_4arch9wavefront6targetE0EEEvSM_ ; -- Begin function _ZN7rocprim17ROCPRIM_400000_NS6detail17trampoline_kernelINS0_14default_configENS1_37merge_sort_block_sort_config_selectorIlNS0_10empty_typeEEEZNS1_21merge_sort_block_sortIS3_PlS8_PS5_S9_ZN2at6native12_GLOBAL__N_124unique_dim_cuda_templateIiEESt5tupleIJNSA_6TensorESF_SF_EERKSF_lbbbEUlllE_EE10hipError_tT0_T1_T2_T3_mRjT4_P12ihipStream_tbNS1_7vsmem_tEEUlT_E_NS1_11comp_targetILNS1_3genE9ELNS1_11target_archE1100ELNS1_3gpuE3ELNS1_3repE0EEENS1_30default_config_static_selectorELNS0_4arch9wavefront6targetE0EEEvSM_
	.p2align	8
	.type	_ZN7rocprim17ROCPRIM_400000_NS6detail17trampoline_kernelINS0_14default_configENS1_37merge_sort_block_sort_config_selectorIlNS0_10empty_typeEEEZNS1_21merge_sort_block_sortIS3_PlS8_PS5_S9_ZN2at6native12_GLOBAL__N_124unique_dim_cuda_templateIiEESt5tupleIJNSA_6TensorESF_SF_EERKSF_lbbbEUlllE_EE10hipError_tT0_T1_T2_T3_mRjT4_P12ihipStream_tbNS1_7vsmem_tEEUlT_E_NS1_11comp_targetILNS1_3genE9ELNS1_11target_archE1100ELNS1_3gpuE3ELNS1_3repE0EEENS1_30default_config_static_selectorELNS0_4arch9wavefront6targetE0EEEvSM_,@function
_ZN7rocprim17ROCPRIM_400000_NS6detail17trampoline_kernelINS0_14default_configENS1_37merge_sort_block_sort_config_selectorIlNS0_10empty_typeEEEZNS1_21merge_sort_block_sortIS3_PlS8_PS5_S9_ZN2at6native12_GLOBAL__N_124unique_dim_cuda_templateIiEESt5tupleIJNSA_6TensorESF_SF_EERKSF_lbbbEUlllE_EE10hipError_tT0_T1_T2_T3_mRjT4_P12ihipStream_tbNS1_7vsmem_tEEUlT_E_NS1_11comp_targetILNS1_3genE9ELNS1_11target_archE1100ELNS1_3gpuE3ELNS1_3repE0EEENS1_30default_config_static_selectorELNS0_4arch9wavefront6targetE0EEEvSM_: ; @_ZN7rocprim17ROCPRIM_400000_NS6detail17trampoline_kernelINS0_14default_configENS1_37merge_sort_block_sort_config_selectorIlNS0_10empty_typeEEEZNS1_21merge_sort_block_sortIS3_PlS8_PS5_S9_ZN2at6native12_GLOBAL__N_124unique_dim_cuda_templateIiEESt5tupleIJNSA_6TensorESF_SF_EERKSF_lbbbEUlllE_EE10hipError_tT0_T1_T2_T3_mRjT4_P12ihipStream_tbNS1_7vsmem_tEEUlT_E_NS1_11comp_targetILNS1_3genE9ELNS1_11target_archE1100ELNS1_3gpuE3ELNS1_3repE0EEENS1_30default_config_static_selectorELNS0_4arch9wavefront6targetE0EEEvSM_
; %bb.0:
	s_clause 0x1
	s_load_b64 s[6:7], s[0:1], 0x48
	s_load_b32 s3, s[0:1], 0x0
	s_add_u32 s4, s0, 0x48
	s_addc_u32 s5, s1, 0
	s_waitcnt lgkmcnt(0)
	s_mul_i32 s2, s7, s15
	s_delay_alu instid0(SALU_CYCLE_1) | instskip(NEXT) | instid1(SALU_CYCLE_1)
	s_add_i32 s2, s2, s14
	s_mul_i32 s2, s2, s6
	s_delay_alu instid0(SALU_CYCLE_1) | instskip(NEXT) | instid1(SALU_CYCLE_1)
	s_add_i32 s2, s2, s13
	s_cmp_ge_u32 s2, s3
	s_cbranch_scc1 .LBB390_878
; %bb.1:
	s_clause 0x2
	s_load_b64 s[18:19], s[0:1], 0x8
	s_load_b128 s[8:11], s[0:1], 0x38
	s_load_b128 s[20:23], s[0:1], 0x18
	v_and_b32_e32 v12, 0x3ff, v0
	s_mov_b32 s3, 0
	v_bfe_u32 v28, v0, 10, 10
	s_lshl_b64 s[0:1], s[2:3], 13
	v_bfe_u32 v29, v0, 20, 10
	v_lshlrev_b32_e32 v26, 3, v12
	v_lshrrev_b32_e32 v31, 2, v12
	v_add_nc_u32_e32 v34, 0x100, v12
	v_add_nc_u32_e32 v33, 0x200, v12
	;; [unrolled: 1-line block ×3, first 2 shown]
	v_lshlrev_b32_e32 v27, 2, v12
	v_lshrrev_b32_e32 v30, 3, v12
	s_waitcnt lgkmcnt(0)
	s_lshr_b64 s[24:25], s[18:19], 10
	v_cmp_gt_i64_e64 s7, s[8:9], 0
	s_add_u32 s16, s20, s0
	s_addc_u32 s17, s21, s1
	s_add_u32 s14, s22, s0
	s_addc_u32 s15, s23, s1
	s_cmp_lg_u64 s[24:25], s[2:3]
	s_cbranch_scc0 .LBB390_8
; %bb.2:
	v_add_co_u32 v0, s0, s16, v26
	s_delay_alu instid0(VALU_DEP_1) | instskip(SKIP_1) | instid1(VALU_DEP_3)
	v_add_co_ci_u32_e64 v1, null, s17, 0, s0
	v_lshrrev_b32_e32 v8, 2, v34
	v_add_co_u32 v0, vcc_lo, 0x1000, v0
	s_delay_alu instid0(VALU_DEP_3)
	v_add_co_ci_u32_e32 v1, vcc_lo, 0, v1, vcc_lo
	v_lshrrev_b32_e32 v9, 2, v33
	s_clause 0x3
	global_load_b64 v[2:3], v26, s[16:17]
	global_load_b64 v[4:5], v26, s[16:17] offset:2048
	global_load_b64 v[6:7], v[0:1], off
	global_load_b64 v[0:1], v[0:1], off offset:2048
	v_lshrrev_b32_e32 v10, 2, v32
	v_and_b32_e32 v11, 0xf8, v31
	v_dual_mov_b32 v13, 0 :: v_dual_and_b32 v8, 0x1f8, v8
	v_and_b32_e32 v9, 0x1f8, v9
	s_delay_alu instid0(VALU_DEP_4) | instskip(NEXT) | instid1(VALU_DEP_4)
	v_and_b32_e32 v10, 0x1f8, v10
	v_add_nc_u32_e32 v35, v11, v26
	v_add_lshl_u32 v39, v30, v27, 3
	v_add_nc_u32_e32 v38, v8, v26
	v_add_nc_u32_e32 v36, v9, v26
	;; [unrolled: 1-line block ×3, first 2 shown]
	s_waitcnt vmcnt(3)
	ds_store_b64 v35, v[2:3]
	s_waitcnt vmcnt(2)
	ds_store_b64 v38, v[4:5] offset:2048
	s_waitcnt vmcnt(1)
	ds_store_b64 v36, v[6:7] offset:4096
	;; [unrolled: 2-line block ×3, first 2 shown]
	s_waitcnt lgkmcnt(0)
	s_barrier
	buffer_gl0_inv
	ds_load_2addr_b64 v[8:11], v39 offset1:1
	ds_load_2addr_b64 v[4:7], v39 offset0:2 offset1:3
	s_waitcnt lgkmcnt(0)
	s_barrier
	buffer_gl0_inv
	s_load_b32 s0, s[4:5], 0xc
	v_dual_mov_b32 v3, v11 :: v_dual_mov_b32 v2, v10
	s_waitcnt lgkmcnt(0)
	s_lshr_b32 s12, s0, 16
	s_cmp_lt_u32 s13, s6
	v_mad_u32_u24 v1, v29, s12, v28
	s_cselect_b32 s0, 12, 18
	s_mov_b32 s12, exec_lo
	s_add_u32 s0, s4, s0
	s_addc_u32 s1, s5, 0
	global_load_u16 v0, v13, s[0:1]
	s_waitcnt vmcnt(0)
	v_mul_lo_u32 v0, v1, v0
	v_mov_b32_e32 v1, v9
	s_delay_alu instid0(VALU_DEP_2) | instskip(SKIP_1) | instid1(VALU_DEP_2)
	v_add_lshl_u32 v40, v0, v12, 2
	v_mov_b32_e32 v0, v8
	v_cmpx_gt_u32_e32 0x400, v40
	s_cbranch_execz .LBB390_62
; %bb.3:
	s_and_not1_b32 vcc_lo, exec_lo, s7
	s_cbranch_vccnz .LBB390_14
; %bb.4:
	v_mul_lo_u32 v18, v11, s8
	v_mul_lo_u32 v19, v10, s9
	v_mad_u64_u32 v[14:15], null, v10, s8, 0
	v_mul_lo_u32 v20, v9, s8
	v_mul_lo_u32 v21, v8, s9
	v_mad_u64_u32 v[16:17], null, v8, s8, 0
	s_mov_b32 s22, 0
	s_mov_b64 s[20:21], s[8:9]
	s_delay_alu instid0(VALU_DEP_4) | instskip(NEXT) | instid1(VALU_DEP_2)
	v_add3_u32 v15, v15, v19, v18
                                        ; implicit-def: $sgpr19
                                        ; implicit-def: $sgpr23
                                        ; implicit-def: $sgpr25
                                        ; implicit-def: $sgpr24
                                        ; implicit-def: $sgpr26
                                        ; implicit-def: $sgpr27
	v_add3_u32 v17, v17, v21, v20
	s_delay_alu instid0(VALU_DEP_2) | instskip(NEXT) | instid1(VALU_DEP_2)
	v_lshlrev_b64 v[14:15], 2, v[14:15]
	v_lshlrev_b64 v[16:17], 2, v[16:17]
	s_delay_alu instid0(VALU_DEP_2) | instskip(NEXT) | instid1(VALU_DEP_3)
	v_add_co_u32 v14, vcc_lo, s10, v14
	v_add_co_ci_u32_e32 v15, vcc_lo, s11, v15, vcc_lo
	s_delay_alu instid0(VALU_DEP_3) | instskip(NEXT) | instid1(VALU_DEP_4)
	v_add_co_u32 v16, vcc_lo, s10, v16
	v_add_co_ci_u32_e32 v17, vcc_lo, s11, v17, vcc_lo
	s_set_inst_prefetch_distance 0x1
	s_branch .LBB390_6
	.p2align	6
.LBB390_5:                              ;   in Loop: Header=BB390_6 Depth=1
	s_or_b32 exec_lo, exec_lo, s28
	s_delay_alu instid0(SALU_CYCLE_1) | instskip(NEXT) | instid1(SALU_CYCLE_1)
	s_and_b32 s1, exec_lo, s25
	s_or_b32 s22, s1, s22
	s_and_not1_b32 s1, s27, exec_lo
	s_and_b32 s27, s26, exec_lo
	s_and_not1_b32 s23, s23, exec_lo
	s_or_b32 s27, s1, s27
	s_and_b32 s1, s24, exec_lo
	s_and_not1_b32 s19, s19, exec_lo
	s_and_b32 s0, s0, exec_lo
	s_or_b32 s23, s23, s1
	s_or_b32 s19, s19, s0
	s_and_not1_b32 exec_lo, exec_lo, s22
	s_cbranch_execz .LBB390_9
.LBB390_6:                              ; =>This Inner Loop Header: Depth=1
	global_load_b32 v18, v[14:15], off
	global_load_b32 v19, v[16:17], off
	s_and_not1_b32 s26, s26, exec_lo
	s_or_b32 s24, s24, exec_lo
	s_or_b32 s25, s25, exec_lo
	s_waitcnt vmcnt(0)
	v_cmp_le_i32_e32 vcc_lo, v18, v19
	v_cmp_lt_i32_e64 s0, v18, v19
	s_and_b32 s28, vcc_lo, s27
	s_delay_alu instid0(VALU_DEP_1) | instid1(SALU_CYCLE_1)
	s_or_b32 s0, s0, s28
	s_mov_b32 s28, exec_lo
	v_cmpx_eq_u32_e64 v18, v19
	s_cbranch_execz .LBB390_5
; %bb.7:                                ;   in Loop: Header=BB390_6 Depth=1
	s_add_u32 s20, s20, -1
	s_addc_u32 s21, s21, -1
	v_add_co_u32 v14, vcc_lo, v14, 4
	s_cmp_eq_u64 s[20:21], 0
	v_add_co_ci_u32_e32 v15, vcc_lo, 0, v15, vcc_lo
	v_add_co_u32 v16, vcc_lo, v16, 4
	s_cselect_b32 s1, -1, 0
	v_add_co_ci_u32_e32 v17, vcc_lo, 0, v17, vcc_lo
	s_and_not1_b32 s26, s26, exec_lo
	s_and_b32 s27, s0, exec_lo
	s_and_not1_b32 s25, s25, exec_lo
	s_and_b32 s1, s1, exec_lo
	s_or_b32 s26, s26, s27
	s_and_not1_b32 s24, s24, exec_lo
	s_or_b32 s25, s25, s1
                                        ; implicit-def: $sgpr27
	s_branch .LBB390_5
.LBB390_8:
	s_mov_b32 s19, s3
                                        ; implicit-def: $vgpr0_vgpr1
	s_cbranch_execnz .LBB390_520
	s_branch .LBB390_876
.LBB390_9:
	s_set_inst_prefetch_distance 0x2
	s_or_b32 exec_lo, exec_lo, s22
	s_and_saveexec_b32 s0, s23
	s_delay_alu instid0(SALU_CYCLE_1)
	s_xor_b32 s0, exec_lo, s0
	s_cbranch_execz .LBB390_13
; %bb.10:
	v_dual_mov_b32 v15, v11 :: v_dual_mov_b32 v14, v10
	s_and_saveexec_b32 s1, s19
; %bb.11:
	v_dual_mov_b32 v0, v10 :: v_dual_mov_b32 v1, v11
	v_dual_mov_b32 v2, v8 :: v_dual_mov_b32 v3, v9
	;; [unrolled: 1-line block ×4, first 2 shown]
; %bb.12:
	s_or_b32 exec_lo, exec_lo, s1
	s_delay_alu instid0(VALU_DEP_2)
	v_dual_mov_b32 v10, v14 :: v_dual_mov_b32 v11, v15
.LBB390_13:
	s_or_b32 exec_lo, exec_lo, s0
.LBB390_14:
	v_mul_lo_u32 v20, v5, s8
	v_mul_lo_u32 v21, v4, s9
	v_mad_u64_u32 v[18:19], null, v4, s8, 0
	v_dual_mov_b32 v16, v6 :: v_dual_mov_b32 v17, v7
	v_dual_mov_b32 v14, v4 :: v_dual_mov_b32 v15, v5
	s_and_not1_b32 vcc_lo, exec_lo, s7
	s_delay_alu instid0(VALU_DEP_3)
	v_add3_u32 v19, v19, v21, v20
	s_cbranch_vccnz .LBB390_24
; %bb.15:
	v_mul_lo_u32 v22, v7, s8
	v_mul_lo_u32 v23, v6, s9
	v_mad_u64_u32 v[20:21], null, v6, s8, 0
	v_lshlrev_b64 v[24:25], 2, v[18:19]
	s_mov_b32 s22, 0
	s_mov_b64 s[20:21], s[8:9]
                                        ; implicit-def: $sgpr19
                                        ; implicit-def: $sgpr23
                                        ; implicit-def: $sgpr25
                                        ; implicit-def: $sgpr24
                                        ; implicit-def: $sgpr26
                                        ; implicit-def: $sgpr27
	s_delay_alu instid0(VALU_DEP_2) | instskip(NEXT) | instid1(VALU_DEP_1)
	v_add3_u32 v21, v21, v23, v22
	v_lshlrev_b64 v[22:23], 2, v[20:21]
	s_delay_alu instid0(VALU_DEP_1) | instskip(NEXT) | instid1(VALU_DEP_2)
	v_add_co_u32 v22, vcc_lo, s10, v22
	v_add_co_ci_u32_e32 v23, vcc_lo, s11, v23, vcc_lo
	v_add_co_u32 v24, vcc_lo, s10, v24
	v_add_co_ci_u32_e32 v25, vcc_lo, s11, v25, vcc_lo
	s_set_inst_prefetch_distance 0x1
	s_branch .LBB390_17
	.p2align	6
.LBB390_16:                             ;   in Loop: Header=BB390_17 Depth=1
	s_or_b32 exec_lo, exec_lo, s28
	s_delay_alu instid0(SALU_CYCLE_1) | instskip(NEXT) | instid1(SALU_CYCLE_1)
	s_and_b32 s1, exec_lo, s25
	s_or_b32 s22, s1, s22
	s_and_not1_b32 s1, s27, exec_lo
	s_and_b32 s27, s26, exec_lo
	s_and_not1_b32 s23, s23, exec_lo
	s_or_b32 s27, s1, s27
	s_and_b32 s1, s24, exec_lo
	s_and_not1_b32 s19, s19, exec_lo
	s_and_b32 s0, s0, exec_lo
	s_or_b32 s23, s23, s1
	s_or_b32 s19, s19, s0
	s_and_not1_b32 exec_lo, exec_lo, s22
	s_cbranch_execz .LBB390_19
.LBB390_17:                             ; =>This Inner Loop Header: Depth=1
	global_load_b32 v41, v[22:23], off
	global_load_b32 v42, v[24:25], off
	s_and_not1_b32 s26, s26, exec_lo
	s_or_b32 s24, s24, exec_lo
	s_or_b32 s25, s25, exec_lo
	s_waitcnt vmcnt(0)
	v_cmp_le_i32_e32 vcc_lo, v41, v42
	v_cmp_lt_i32_e64 s0, v41, v42
	s_and_b32 s28, vcc_lo, s27
	s_delay_alu instid0(VALU_DEP_1) | instid1(SALU_CYCLE_1)
	s_or_b32 s0, s0, s28
	s_mov_b32 s28, exec_lo
	v_cmpx_eq_u32_e64 v41, v42
	s_cbranch_execz .LBB390_16
; %bb.18:                               ;   in Loop: Header=BB390_17 Depth=1
	s_add_u32 s20, s20, -1
	s_addc_u32 s21, s21, -1
	v_add_co_u32 v22, vcc_lo, v22, 4
	s_cmp_eq_u64 s[20:21], 0
	v_add_co_ci_u32_e32 v23, vcc_lo, 0, v23, vcc_lo
	v_add_co_u32 v24, vcc_lo, v24, 4
	s_cselect_b32 s1, -1, 0
	v_add_co_ci_u32_e32 v25, vcc_lo, 0, v25, vcc_lo
	s_and_not1_b32 s26, s26, exec_lo
	s_and_b32 s27, s0, exec_lo
	s_and_not1_b32 s25, s25, exec_lo
	s_and_b32 s1, s1, exec_lo
	s_or_b32 s26, s26, s27
	s_and_not1_b32 s24, s24, exec_lo
	s_or_b32 s25, s25, s1
                                        ; implicit-def: $sgpr27
	s_branch .LBB390_16
.LBB390_19:
	s_set_inst_prefetch_distance 0x2
	s_or_b32 exec_lo, exec_lo, s22
	s_and_saveexec_b32 s0, s23
	s_delay_alu instid0(SALU_CYCLE_1)
	s_xor_b32 s0, exec_lo, s0
	s_cbranch_execz .LBB390_23
; %bb.20:
	s_and_saveexec_b32 s1, s19
	s_cbranch_execz .LBB390_22
; %bb.21:
	v_dual_mov_b32 v41, v0 :: v_dual_mov_b32 v42, v1
	v_dual_mov_b32 v43, v2 :: v_dual_mov_b32 v44, v3
	;; [unrolled: 1-line block ×12, first 2 shown]
.LBB390_22:
	s_or_b32 exec_lo, exec_lo, s1
.LBB390_23:
	s_delay_alu instid0(SALU_CYCLE_1)
	s_or_b32 exec_lo, exec_lo, s0
.LBB390_24:
	v_mul_lo_u32 v22, v11, s8
	v_mul_lo_u32 v23, v10, s9
	v_mad_u64_u32 v[20:21], null, v10, s8, 0
	s_and_not1_b32 vcc_lo, exec_lo, s7
	s_delay_alu instid0(VALU_DEP_1)
	v_add3_u32 v21, v21, v23, v22
	s_cbranch_vccnz .LBB390_34
; %bb.25:
	v_lshlrev_b64 v[22:23], 2, v[18:19]
	s_delay_alu instid0(VALU_DEP_2) | instskip(SKIP_2) | instid1(VALU_DEP_2)
	v_lshlrev_b64 v[24:25], 2, v[20:21]
	s_mov_b32 s22, 0
	s_mov_b64 s[20:21], s[8:9]
                                        ; implicit-def: $sgpr19
                                        ; implicit-def: $sgpr23
                                        ; implicit-def: $sgpr25
                                        ; implicit-def: $sgpr24
                                        ; implicit-def: $sgpr26
                                        ; implicit-def: $sgpr27
	v_add_co_u32 v22, vcc_lo, s10, v22
	s_delay_alu instid0(VALU_DEP_3) | instskip(NEXT) | instid1(VALU_DEP_3)
	v_add_co_ci_u32_e32 v23, vcc_lo, s11, v23, vcc_lo
	v_add_co_u32 v24, vcc_lo, s10, v24
	v_add_co_ci_u32_e32 v25, vcc_lo, s11, v25, vcc_lo
	s_set_inst_prefetch_distance 0x1
	s_branch .LBB390_27
	.p2align	6
.LBB390_26:                             ;   in Loop: Header=BB390_27 Depth=1
	s_or_b32 exec_lo, exec_lo, s28
	s_delay_alu instid0(SALU_CYCLE_1) | instskip(NEXT) | instid1(SALU_CYCLE_1)
	s_and_b32 s1, exec_lo, s25
	s_or_b32 s22, s1, s22
	s_and_not1_b32 s1, s27, exec_lo
	s_and_b32 s27, s26, exec_lo
	s_and_not1_b32 s23, s23, exec_lo
	s_or_b32 s27, s1, s27
	s_and_b32 s1, s24, exec_lo
	s_and_not1_b32 s19, s19, exec_lo
	s_and_b32 s0, s0, exec_lo
	s_or_b32 s23, s23, s1
	s_or_b32 s19, s19, s0
	s_and_not1_b32 exec_lo, exec_lo, s22
	s_cbranch_execz .LBB390_29
.LBB390_27:                             ; =>This Inner Loop Header: Depth=1
	global_load_b32 v41, v[22:23], off
	global_load_b32 v42, v[24:25], off
	s_and_not1_b32 s26, s26, exec_lo
	s_or_b32 s24, s24, exec_lo
	s_or_b32 s25, s25, exec_lo
	s_waitcnt vmcnt(0)
	v_cmp_le_i32_e32 vcc_lo, v41, v42
	v_cmp_lt_i32_e64 s0, v41, v42
	s_and_b32 s28, vcc_lo, s27
	s_delay_alu instid0(VALU_DEP_1) | instid1(SALU_CYCLE_1)
	s_or_b32 s0, s0, s28
	s_mov_b32 s28, exec_lo
	v_cmpx_eq_u32_e64 v41, v42
	s_cbranch_execz .LBB390_26
; %bb.28:                               ;   in Loop: Header=BB390_27 Depth=1
	s_add_u32 s20, s20, -1
	s_addc_u32 s21, s21, -1
	v_add_co_u32 v22, vcc_lo, v22, 4
	s_cmp_eq_u64 s[20:21], 0
	v_add_co_ci_u32_e32 v23, vcc_lo, 0, v23, vcc_lo
	v_add_co_u32 v24, vcc_lo, v24, 4
	s_cselect_b32 s1, -1, 0
	v_add_co_ci_u32_e32 v25, vcc_lo, 0, v25, vcc_lo
	s_and_not1_b32 s26, s26, exec_lo
	s_and_b32 s27, s0, exec_lo
	s_and_not1_b32 s25, s25, exec_lo
	s_and_b32 s1, s1, exec_lo
	s_or_b32 s26, s26, s27
	s_and_not1_b32 s24, s24, exec_lo
	s_or_b32 s25, s25, s1
                                        ; implicit-def: $sgpr27
	s_branch .LBB390_26
.LBB390_29:
	s_set_inst_prefetch_distance 0x2
	s_or_b32 exec_lo, exec_lo, s22
	s_and_saveexec_b32 s0, s23
	s_delay_alu instid0(SALU_CYCLE_1)
	s_xor_b32 s0, exec_lo, s0
	s_cbranch_execz .LBB390_33
; %bb.30:
	v_dual_mov_b32 v23, v11 :: v_dual_mov_b32 v22, v10
	s_and_saveexec_b32 s1, s19
; %bb.31:
	v_dual_mov_b32 v2, v14 :: v_dual_mov_b32 v3, v15
	v_dual_mov_b32 v4, v10 :: v_dual_mov_b32 v5, v11
	;; [unrolled: 1-line block ×5, first 2 shown]
; %bb.32:
	s_or_b32 exec_lo, exec_lo, s1
	s_delay_alu instid0(VALU_DEP_3)
	v_dual_mov_b32 v10, v22 :: v_dual_mov_b32 v11, v23
.LBB390_33:
	s_or_b32 exec_lo, exec_lo, s0
.LBB390_34:
	s_delay_alu instid0(SALU_CYCLE_1)
	s_and_not1_b32 vcc_lo, exec_lo, s7
	s_cbranch_vccnz .LBB390_44
; %bb.35:
	v_mul_lo_u32 v22, v9, s8
	v_mul_lo_u32 v23, v8, s9
	v_mad_u64_u32 v[18:19], null, v8, s8, 0
	v_lshlrev_b64 v[20:21], 2, v[20:21]
	s_mov_b32 s22, 0
	s_mov_b64 s[20:21], s[8:9]
                                        ; implicit-def: $sgpr19
                                        ; implicit-def: $sgpr23
                                        ; implicit-def: $sgpr25
                                        ; implicit-def: $sgpr24
                                        ; implicit-def: $sgpr26
                                        ; implicit-def: $sgpr27
	s_delay_alu instid0(VALU_DEP_2) | instskip(NEXT) | instid1(VALU_DEP_1)
	v_add3_u32 v19, v19, v23, v22
	v_lshlrev_b64 v[22:23], 2, v[18:19]
	s_delay_alu instid0(VALU_DEP_3) | instskip(SKIP_1) | instid1(VALU_DEP_3)
	v_add_co_u32 v18, vcc_lo, s10, v20
	v_add_co_ci_u32_e32 v19, vcc_lo, s11, v21, vcc_lo
	v_add_co_u32 v20, vcc_lo, s10, v22
	s_delay_alu instid0(VALU_DEP_4)
	v_add_co_ci_u32_e32 v21, vcc_lo, s11, v23, vcc_lo
	s_set_inst_prefetch_distance 0x1
	s_branch .LBB390_37
	.p2align	6
.LBB390_36:                             ;   in Loop: Header=BB390_37 Depth=1
	s_or_b32 exec_lo, exec_lo, s28
	s_delay_alu instid0(SALU_CYCLE_1) | instskip(NEXT) | instid1(SALU_CYCLE_1)
	s_and_b32 s1, exec_lo, s25
	s_or_b32 s22, s1, s22
	s_and_not1_b32 s1, s27, exec_lo
	s_and_b32 s27, s26, exec_lo
	s_and_not1_b32 s23, s23, exec_lo
	s_or_b32 s27, s1, s27
	s_and_b32 s1, s24, exec_lo
	s_and_not1_b32 s19, s19, exec_lo
	s_and_b32 s0, s0, exec_lo
	s_or_b32 s23, s23, s1
	s_or_b32 s19, s19, s0
	s_and_not1_b32 exec_lo, exec_lo, s22
	s_cbranch_execz .LBB390_39
.LBB390_37:                             ; =>This Inner Loop Header: Depth=1
	global_load_b32 v22, v[18:19], off
	global_load_b32 v23, v[20:21], off
	s_and_not1_b32 s26, s26, exec_lo
	s_or_b32 s24, s24, exec_lo
	s_or_b32 s25, s25, exec_lo
	s_waitcnt vmcnt(0)
	v_cmp_le_i32_e32 vcc_lo, v22, v23
	v_cmp_lt_i32_e64 s0, v22, v23
	s_and_b32 s28, vcc_lo, s27
	s_delay_alu instid0(VALU_DEP_1) | instid1(SALU_CYCLE_1)
	s_or_b32 s0, s0, s28
	s_mov_b32 s28, exec_lo
	v_cmpx_eq_u32_e64 v22, v23
	s_cbranch_execz .LBB390_36
; %bb.38:                               ;   in Loop: Header=BB390_37 Depth=1
	s_add_u32 s20, s20, -1
	s_addc_u32 s21, s21, -1
	v_add_co_u32 v18, vcc_lo, v18, 4
	s_cmp_eq_u64 s[20:21], 0
	v_add_co_ci_u32_e32 v19, vcc_lo, 0, v19, vcc_lo
	v_add_co_u32 v20, vcc_lo, v20, 4
	s_cselect_b32 s1, -1, 0
	v_add_co_ci_u32_e32 v21, vcc_lo, 0, v21, vcc_lo
	s_and_not1_b32 s26, s26, exec_lo
	s_and_b32 s27, s0, exec_lo
	s_and_not1_b32 s25, s25, exec_lo
	s_and_b32 s1, s1, exec_lo
	s_or_b32 s26, s26, s27
	s_and_not1_b32 s24, s24, exec_lo
	s_or_b32 s25, s25, s1
                                        ; implicit-def: $sgpr27
	s_branch .LBB390_36
.LBB390_39:
	s_set_inst_prefetch_distance 0x2
	s_or_b32 exec_lo, exec_lo, s22
	s_and_saveexec_b32 s0, s23
	s_delay_alu instid0(SALU_CYCLE_1)
	s_xor_b32 s0, exec_lo, s0
	s_cbranch_execz .LBB390_43
; %bb.40:
	v_dual_mov_b32 v19, v11 :: v_dual_mov_b32 v18, v10
	s_and_saveexec_b32 s1, s19
; %bb.41:
	v_dual_mov_b32 v0, v10 :: v_dual_mov_b32 v1, v11
	v_dual_mov_b32 v2, v8 :: v_dual_mov_b32 v3, v9
	;; [unrolled: 1-line block ×4, first 2 shown]
; %bb.42:
	s_or_b32 exec_lo, exec_lo, s1
	s_delay_alu instid0(VALU_DEP_2)
	v_dual_mov_b32 v10, v18 :: v_dual_mov_b32 v11, v19
.LBB390_43:
	s_or_b32 exec_lo, exec_lo, s0
.LBB390_44:
	v_mul_lo_u32 v20, v15, s8
	v_mul_lo_u32 v21, v14, s9
	v_mad_u64_u32 v[18:19], null, v14, s8, 0
	s_and_not1_b32 vcc_lo, exec_lo, s7
	s_delay_alu instid0(VALU_DEP_1)
	v_add3_u32 v19, v19, v21, v20
	s_cbranch_vccnz .LBB390_54
; %bb.45:
	v_mul_lo_u32 v22, v17, s8
	v_mul_lo_u32 v23, v16, s9
	v_mad_u64_u32 v[20:21], null, v16, s8, 0
	v_lshlrev_b64 v[24:25], 2, v[18:19]
	s_mov_b32 s22, 0
	s_mov_b64 s[20:21], s[8:9]
                                        ; implicit-def: $sgpr19
                                        ; implicit-def: $sgpr23
                                        ; implicit-def: $sgpr25
                                        ; implicit-def: $sgpr24
                                        ; implicit-def: $sgpr26
                                        ; implicit-def: $sgpr27
	s_delay_alu instid0(VALU_DEP_2) | instskip(NEXT) | instid1(VALU_DEP_1)
	v_add3_u32 v21, v21, v23, v22
	v_lshlrev_b64 v[22:23], 2, v[20:21]
	s_delay_alu instid0(VALU_DEP_1) | instskip(NEXT) | instid1(VALU_DEP_2)
	v_add_co_u32 v22, vcc_lo, s10, v22
	v_add_co_ci_u32_e32 v23, vcc_lo, s11, v23, vcc_lo
	v_add_co_u32 v24, vcc_lo, s10, v24
	v_add_co_ci_u32_e32 v25, vcc_lo, s11, v25, vcc_lo
	s_set_inst_prefetch_distance 0x1
	s_branch .LBB390_47
	.p2align	6
.LBB390_46:                             ;   in Loop: Header=BB390_47 Depth=1
	s_or_b32 exec_lo, exec_lo, s28
	s_delay_alu instid0(SALU_CYCLE_1) | instskip(NEXT) | instid1(SALU_CYCLE_1)
	s_and_b32 s1, exec_lo, s25
	s_or_b32 s22, s1, s22
	s_and_not1_b32 s1, s27, exec_lo
	s_and_b32 s27, s26, exec_lo
	s_and_not1_b32 s23, s23, exec_lo
	s_or_b32 s27, s1, s27
	s_and_b32 s1, s24, exec_lo
	s_and_not1_b32 s19, s19, exec_lo
	s_and_b32 s0, s0, exec_lo
	s_or_b32 s23, s23, s1
	s_or_b32 s19, s19, s0
	s_and_not1_b32 exec_lo, exec_lo, s22
	s_cbranch_execz .LBB390_49
.LBB390_47:                             ; =>This Inner Loop Header: Depth=1
	global_load_b32 v41, v[22:23], off
	global_load_b32 v42, v[24:25], off
	s_and_not1_b32 s26, s26, exec_lo
	s_or_b32 s24, s24, exec_lo
	s_or_b32 s25, s25, exec_lo
	s_waitcnt vmcnt(0)
	v_cmp_le_i32_e32 vcc_lo, v41, v42
	v_cmp_lt_i32_e64 s0, v41, v42
	s_and_b32 s28, vcc_lo, s27
	s_delay_alu instid0(VALU_DEP_1) | instid1(SALU_CYCLE_1)
	s_or_b32 s0, s0, s28
	s_mov_b32 s28, exec_lo
	v_cmpx_eq_u32_e64 v41, v42
	s_cbranch_execz .LBB390_46
; %bb.48:                               ;   in Loop: Header=BB390_47 Depth=1
	s_add_u32 s20, s20, -1
	s_addc_u32 s21, s21, -1
	v_add_co_u32 v22, vcc_lo, v22, 4
	s_cmp_eq_u64 s[20:21], 0
	v_add_co_ci_u32_e32 v23, vcc_lo, 0, v23, vcc_lo
	v_add_co_u32 v24, vcc_lo, v24, 4
	s_cselect_b32 s1, -1, 0
	v_add_co_ci_u32_e32 v25, vcc_lo, 0, v25, vcc_lo
	s_and_not1_b32 s26, s26, exec_lo
	s_and_b32 s27, s0, exec_lo
	s_and_not1_b32 s25, s25, exec_lo
	s_and_b32 s1, s1, exec_lo
	s_or_b32 s26, s26, s27
	s_and_not1_b32 s24, s24, exec_lo
	s_or_b32 s25, s25, s1
                                        ; implicit-def: $sgpr27
	s_branch .LBB390_46
.LBB390_49:
	s_set_inst_prefetch_distance 0x2
	s_or_b32 exec_lo, exec_lo, s22
	s_and_saveexec_b32 s0, s23
	s_delay_alu instid0(SALU_CYCLE_1)
	s_xor_b32 s0, exec_lo, s0
	s_cbranch_execz .LBB390_53
; %bb.50:
	s_and_saveexec_b32 s1, s19
; %bb.51:
	v_dual_mov_b32 v4, v16 :: v_dual_mov_b32 v5, v17
	v_dual_mov_b32 v6, v14 :: v_dual_mov_b32 v7, v15
	;; [unrolled: 1-line block ×4, first 2 shown]
; %bb.52:
	s_or_b32 exec_lo, exec_lo, s1
.LBB390_53:
	s_delay_alu instid0(SALU_CYCLE_1)
	s_or_b32 exec_lo, exec_lo, s0
.LBB390_54:
	s_delay_alu instid0(SALU_CYCLE_1)
	s_and_not1_b32 vcc_lo, exec_lo, s7
	s_cbranch_vccnz .LBB390_62
; %bb.55:
	v_mul_lo_u32 v20, v11, s8
	v_mul_lo_u32 v21, v10, s9
	v_mad_u64_u32 v[16:17], null, v10, s8, 0
	v_lshlrev_b64 v[18:19], 2, v[18:19]
	s_mov_b32 s22, 0
	s_mov_b64 s[20:21], s[8:9]
                                        ; implicit-def: $sgpr19
                                        ; implicit-def: $sgpr23
                                        ; implicit-def: $sgpr25
                                        ; implicit-def: $sgpr24
                                        ; implicit-def: $sgpr26
                                        ; implicit-def: $sgpr27
	s_delay_alu instid0(VALU_DEP_2) | instskip(NEXT) | instid1(VALU_DEP_1)
	v_add3_u32 v17, v17, v21, v20
	v_lshlrev_b64 v[20:21], 2, v[16:17]
	s_delay_alu instid0(VALU_DEP_3) | instskip(SKIP_1) | instid1(VALU_DEP_3)
	v_add_co_u32 v16, vcc_lo, s10, v18
	v_add_co_ci_u32_e32 v17, vcc_lo, s11, v19, vcc_lo
	v_add_co_u32 v18, vcc_lo, s10, v20
	s_delay_alu instid0(VALU_DEP_4)
	v_add_co_ci_u32_e32 v19, vcc_lo, s11, v21, vcc_lo
	s_set_inst_prefetch_distance 0x1
	s_branch .LBB390_57
	.p2align	6
.LBB390_56:                             ;   in Loop: Header=BB390_57 Depth=1
	s_or_b32 exec_lo, exec_lo, s28
	s_delay_alu instid0(SALU_CYCLE_1) | instskip(NEXT) | instid1(SALU_CYCLE_1)
	s_and_b32 s1, exec_lo, s25
	s_or_b32 s22, s1, s22
	s_and_not1_b32 s1, s27, exec_lo
	s_and_b32 s27, s26, exec_lo
	s_and_not1_b32 s23, s23, exec_lo
	s_or_b32 s27, s1, s27
	s_and_b32 s1, s24, exec_lo
	s_and_not1_b32 s19, s19, exec_lo
	s_and_b32 s0, s0, exec_lo
	s_or_b32 s23, s23, s1
	s_or_b32 s19, s19, s0
	s_and_not1_b32 exec_lo, exec_lo, s22
	s_cbranch_execz .LBB390_59
.LBB390_57:                             ; =>This Inner Loop Header: Depth=1
	global_load_b32 v20, v[16:17], off
	global_load_b32 v21, v[18:19], off
	s_and_not1_b32 s26, s26, exec_lo
	s_or_b32 s24, s24, exec_lo
	s_or_b32 s25, s25, exec_lo
	s_waitcnt vmcnt(0)
	v_cmp_le_i32_e32 vcc_lo, v20, v21
	v_cmp_lt_i32_e64 s0, v20, v21
	s_and_b32 s28, vcc_lo, s27
	s_delay_alu instid0(VALU_DEP_1) | instid1(SALU_CYCLE_1)
	s_or_b32 s0, s0, s28
	s_mov_b32 s28, exec_lo
	v_cmpx_eq_u32_e64 v20, v21
	s_cbranch_execz .LBB390_56
; %bb.58:                               ;   in Loop: Header=BB390_57 Depth=1
	s_add_u32 s20, s20, -1
	s_addc_u32 s21, s21, -1
	v_add_co_u32 v16, vcc_lo, v16, 4
	s_cmp_eq_u64 s[20:21], 0
	v_add_co_ci_u32_e32 v17, vcc_lo, 0, v17, vcc_lo
	v_add_co_u32 v18, vcc_lo, v18, 4
	s_cselect_b32 s1, -1, 0
	v_add_co_ci_u32_e32 v19, vcc_lo, 0, v19, vcc_lo
	s_and_not1_b32 s26, s26, exec_lo
	s_and_b32 s27, s0, exec_lo
	s_and_not1_b32 s25, s25, exec_lo
	s_and_b32 s1, s1, exec_lo
	s_or_b32 s26, s26, s27
	s_and_not1_b32 s24, s24, exec_lo
	s_or_b32 s25, s25, s1
                                        ; implicit-def: $sgpr27
	s_branch .LBB390_56
.LBB390_59:
	s_set_inst_prefetch_distance 0x2
	s_or_b32 exec_lo, exec_lo, s22
	s_and_saveexec_b32 s0, s23
	s_delay_alu instid0(SALU_CYCLE_1)
	s_xor_b32 s0, exec_lo, s0
; %bb.60:
	v_cndmask_b32_e64 v5, v5, v11, s19
	v_cndmask_b32_e64 v4, v4, v10, s19
	;; [unrolled: 1-line block ×4, first 2 shown]
; %bb.61:
	s_or_b32 exec_lo, exec_lo, s0
.LBB390_62:
	s_delay_alu instid0(SALU_CYCLE_1) | instskip(SKIP_4) | instid1(VALU_DEP_2)
	s_or_b32 exec_lo, exec_lo, s12
	v_mbcnt_lo_u32_b32 v11, -1, 0
	v_and_b32_e32 v10, 0xffffff80, v40
	s_mov_b32 s1, 0
	s_mov_b32 s12, exec_lo
	v_lshlrev_b32_e32 v18, 2, v11
	s_delay_alu instid0(VALU_DEP_2) | instskip(SKIP_2) | instid1(VALU_DEP_4)
	v_sub_nc_u32_e64 v17, 0x400, v10 clamp
	v_lshlrev_b32_e32 v16, 3, v10
	v_mov_b32_e32 v10, v2
	v_or_b32_e32 v14, 4, v18
	v_and_b32_e32 v19, 4, v18
	v_and_b32_e32 v22, 0x78, v18
	s_delay_alu instid0(VALU_DEP_3) | instskip(NEXT) | instid1(VALU_DEP_3)
	v_min_u32_e32 v14, v17, v14
	v_min_u32_e32 v23, v17, v19
	v_lshl_or_b32 v19, v11, 5, v16
	v_mov_b32_e32 v11, v3
	ds_store_b128 v19, v[8:11]
	ds_store_b128 v19, v[4:7] offset:16
	v_add_nc_u32_e32 v15, 4, v14
	v_sub_nc_u32_e32 v21, v14, v22
	; wave barrier
	s_delay_alu instid0(VALU_DEP_2) | instskip(NEXT) | instid1(VALU_DEP_2)
	v_min_u32_e32 v15, v17, v15
	v_min_u32_e32 v24, v23, v21
	v_lshl_or_b32 v21, v22, 3, v16
	s_delay_alu instid0(VALU_DEP_3) | instskip(NEXT) | instid1(VALU_DEP_1)
	v_sub_nc_u32_e32 v20, v15, v14
	v_sub_nc_u32_e64 v20, v23, v20 clamp
	s_delay_alu instid0(VALU_DEP_1)
	v_cmpx_lt_u32_e64 v20, v24
	s_cbranch_execz .LBB390_73
; %bb.63:
	v_lshlrev_b32_e32 v8, 3, v14
	v_lshlrev_b32_e32 v9, 3, v23
	s_lshl_b64 s[20:21], s[8:9], 2
	s_delay_alu instid0(VALU_DEP_1)
	v_add3_u32 v25, v16, v8, v9
	s_branch .LBB390_66
.LBB390_64:                             ;   in Loop: Header=BB390_66 Depth=1
	s_set_inst_prefetch_distance 0x2
	s_or_b32 exec_lo, exec_lo, s19
.LBB390_65:                             ;   in Loop: Header=BB390_66 Depth=1
	s_delay_alu instid0(VALU_DEP_1) | instskip(SKIP_1) | instid1(VALU_DEP_2)
	v_add_nc_u32_e32 v8, 1, v40
	v_cndmask_b32_e64 v24, v24, v40, s24
	v_cndmask_b32_e64 v20, v8, v20, s24
	s_delay_alu instid0(VALU_DEP_1) | instskip(SKIP_1) | instid1(SALU_CYCLE_1)
	v_cmp_ge_u32_e32 vcc_lo, v20, v24
	s_or_b32 s1, vcc_lo, s1
	s_and_not1_b32 exec_lo, exec_lo, s1
	s_cbranch_execz .LBB390_72
.LBB390_66:                             ; =>This Loop Header: Depth=1
                                        ;     Child Loop BB390_69 Depth 2
	v_add_nc_u32_e32 v8, v24, v20
	s_and_not1_b32 vcc_lo, exec_lo, s7
	s_delay_alu instid0(VALU_DEP_1)
	v_lshrrev_b32_e32 v40, 1, v8
	s_cbranch_vccnz .LBB390_71
; %bb.67:                               ;   in Loop: Header=BB390_66 Depth=1
	s_delay_alu instid0(VALU_DEP_1) | instskip(SKIP_3) | instid1(VALU_DEP_2)
	v_not_b32_e32 v8, v40
	v_lshl_add_u32 v9, v40, 3, v21
	s_mov_b32 s19, 0
	s_mov_b64 s[22:23], s[8:9]
                                        ; implicit-def: $sgpr24
                                        ; implicit-def: $sgpr25
                                        ; implicit-def: $sgpr26
                                        ; implicit-def: $sgpr27
                                        ; implicit-def: $sgpr28
	v_lshl_add_u32 v8, v8, 3, v25
	ds_load_b64 v[10:11], v8
	ds_load_b64 v[41:42], v9
	s_waitcnt lgkmcnt(1)
	v_mul_lo_u32 v43, s20, v11
	v_mul_lo_u32 v44, s21, v10
	v_mad_u64_u32 v[8:9], null, s20, v10, s[10:11]
	s_waitcnt lgkmcnt(0)
	v_mul_lo_u32 v42, s20, v42
	v_mul_lo_u32 v45, s21, v41
	v_mad_u64_u32 v[10:11], null, s20, v41, s[10:11]
	s_delay_alu instid0(VALU_DEP_4) | instskip(NEXT) | instid1(VALU_DEP_2)
	v_add3_u32 v9, v44, v9, v43
	v_add3_u32 v11, v45, v11, v42
	s_set_inst_prefetch_distance 0x1
	s_branch .LBB390_69
	.p2align	6
.LBB390_68:                             ;   in Loop: Header=BB390_69 Depth=2
	s_or_b32 exec_lo, exec_lo, s0
	s_delay_alu instid0(SALU_CYCLE_1) | instskip(NEXT) | instid1(SALU_CYCLE_1)
	s_and_b32 s0, exec_lo, s25
	s_or_b32 s19, s0, s19
	s_and_not1_b32 s0, s28, exec_lo
	s_and_b32 s28, s26, exec_lo
	s_and_not1_b32 s24, s24, exec_lo
	s_and_b32 s29, s27, exec_lo
	s_or_b32 s28, s0, s28
	s_or_b32 s24, s24, s29
	s_and_not1_b32 exec_lo, exec_lo, s19
	s_cbranch_execz .LBB390_64
.LBB390_69:                             ;   Parent Loop BB390_66 Depth=1
                                        ; =>  This Inner Loop Header: Depth=2
	global_load_b32 v41, v[8:9], off
	global_load_b32 v42, v[10:11], off
	s_and_not1_b32 s27, s27, exec_lo
	s_and_not1_b32 s26, s26, exec_lo
	s_or_b32 s25, s25, exec_lo
	s_waitcnt vmcnt(0)
	v_cmp_le_i32_e32 vcc_lo, v41, v42
	v_cmp_lt_i32_e64 s0, v41, v42
	s_and_b32 s29, vcc_lo, s28
	s_delay_alu instid0(VALU_DEP_1) | instid1(SALU_CYCLE_1)
	s_or_b32 s29, s0, s29
	s_delay_alu instid0(SALU_CYCLE_1) | instskip(NEXT) | instid1(SALU_CYCLE_1)
	s_and_b32 s0, s29, exec_lo
	s_or_b32 s27, s27, s0
	s_mov_b32 s0, exec_lo
	v_cmpx_eq_u32_e64 v41, v42
	s_cbranch_execz .LBB390_68
; %bb.70:                               ;   in Loop: Header=BB390_69 Depth=2
	s_add_u32 s22, s22, -1
	s_addc_u32 s23, s23, -1
	v_add_co_u32 v8, vcc_lo, v8, 4
	s_cmp_eq_u64 s[22:23], 0
	v_add_co_ci_u32_e32 v9, vcc_lo, 0, v9, vcc_lo
	s_cselect_b32 s28, -1, 0
	v_add_co_u32 v10, vcc_lo, v10, 4
	s_and_not1_b32 s26, s26, exec_lo
	s_and_b32 s29, s29, exec_lo
	s_and_not1_b32 s25, s25, exec_lo
	s_and_b32 s28, s28, exec_lo
	v_add_co_ci_u32_e32 v11, vcc_lo, 0, v11, vcc_lo
	s_and_not1_b32 s27, s27, exec_lo
	s_or_b32 s26, s26, s29
	s_or_b32 s25, s25, s28
                                        ; implicit-def: $sgpr28
	s_branch .LBB390_68
.LBB390_71:                             ;   in Loop: Header=BB390_66 Depth=1
	s_mov_b32 s24, 0
	s_branch .LBB390_65
.LBB390_72:
	s_or_b32 exec_lo, exec_lo, s1
.LBB390_73:
	s_delay_alu instid0(SALU_CYCLE_1) | instskip(SKIP_2) | instid1(VALU_DEP_2)
	s_or_b32 exec_lo, exec_lo, s12
	v_add_nc_u32_e32 v9, v14, v23
	v_add_nc_u32_e32 v8, v20, v22
	v_sub_nc_u32_e32 v9, v9, v20
	s_delay_alu instid0(VALU_DEP_2) | instskip(NEXT) | instid1(VALU_DEP_2)
	v_cmp_le_u32_e32 vcc_lo, v8, v14
	v_cmp_le_u32_e64 s0, v9, v15
	s_delay_alu instid0(VALU_DEP_1) | instskip(NEXT) | instid1(SALU_CYCLE_1)
	s_or_b32 s0, vcc_lo, s0
	s_and_saveexec_b32 s1, s0
	s_cbranch_execz .LBB390_120
; %bb.74:
	v_cmp_ge_u32_e32 vcc_lo, v8, v14
	s_mov_b32 s12, exec_lo
                                        ; implicit-def: $vgpr0_vgpr1
	v_cmpx_lt_u32_e64 v8, v14
	s_cbranch_execz .LBB390_76
; %bb.75:
	v_lshl_add_u32 v0, v20, 3, v21
	ds_load_b64 v[0:1], v0
.LBB390_76:
	s_or_b32 exec_lo, exec_lo, s12
	v_cmp_ge_u32_e64 s12, v9, v15
	s_mov_b32 s19, exec_lo
                                        ; implicit-def: $vgpr2_vgpr3
	v_cmpx_lt_u32_e64 v9, v15
	s_cbranch_execz .LBB390_78
; %bb.77:
	v_lshl_add_u32 v2, v9, 3, v16
	ds_load_b64 v[2:3], v2
.LBB390_78:
	s_or_b32 exec_lo, exec_lo, s19
	s_or_b32 s0, vcc_lo, s12
	s_mov_b32 s19, -1
	s_xor_b32 s0, s0, -1
	s_delay_alu instid0(SALU_CYCLE_1)
	s_and_saveexec_b32 s22, s0
	s_cbranch_execz .LBB390_87
; %bb.79:
	s_and_not1_b32 vcc_lo, exec_lo, s7
	s_cbranch_vccnz .LBB390_85
; %bb.80:
	s_waitcnt lgkmcnt(0)
	v_mul_lo_u32 v10, v3, s8
	v_mul_lo_u32 v11, v2, s9
	v_mad_u64_u32 v[4:5], null, v2, s8, 0
	v_mul_lo_u32 v20, v1, s8
	v_mul_lo_u32 v21, v0, s9
	v_mad_u64_u32 v[6:7], null, v0, s8, 0
	s_mov_b32 s23, 0
	s_mov_b64 s[20:21], s[8:9]
	s_delay_alu instid0(VALU_DEP_4) | instskip(NEXT) | instid1(VALU_DEP_2)
	v_add3_u32 v5, v5, v11, v10
                                        ; implicit-def: $sgpr24
                                        ; implicit-def: $sgpr25
                                        ; implicit-def: $sgpr26
                                        ; implicit-def: $sgpr27
                                        ; implicit-def: $sgpr28
	v_add3_u32 v7, v7, v21, v20
	s_delay_alu instid0(VALU_DEP_2) | instskip(NEXT) | instid1(VALU_DEP_2)
	v_lshlrev_b64 v[4:5], 2, v[4:5]
	v_lshlrev_b64 v[6:7], 2, v[6:7]
	s_delay_alu instid0(VALU_DEP_2) | instskip(NEXT) | instid1(VALU_DEP_3)
	v_add_co_u32 v4, vcc_lo, s10, v4
	v_add_co_ci_u32_e32 v5, vcc_lo, s11, v5, vcc_lo
	s_delay_alu instid0(VALU_DEP_3) | instskip(NEXT) | instid1(VALU_DEP_4)
	v_add_co_u32 v6, vcc_lo, s10, v6
	v_add_co_ci_u32_e32 v7, vcc_lo, s11, v7, vcc_lo
	s_set_inst_prefetch_distance 0x1
	s_branch .LBB390_82
	.p2align	6
.LBB390_81:                             ;   in Loop: Header=BB390_82 Depth=1
	s_or_b32 exec_lo, exec_lo, s0
	s_delay_alu instid0(SALU_CYCLE_1) | instskip(NEXT) | instid1(SALU_CYCLE_1)
	s_and_b32 s0, exec_lo, s25
	s_or_b32 s23, s0, s23
	s_and_not1_b32 s0, s28, exec_lo
	s_and_b32 s28, s27, exec_lo
	s_and_not1_b32 s24, s24, exec_lo
	s_and_b32 s29, s26, exec_lo
	s_or_b32 s28, s0, s28
	s_or_b32 s24, s24, s29
	s_and_not1_b32 exec_lo, exec_lo, s23
	s_cbranch_execz .LBB390_84
.LBB390_82:                             ; =>This Inner Loop Header: Depth=1
	global_load_b32 v10, v[4:5], off
	global_load_b32 v11, v[6:7], off
	s_and_not1_b32 s26, s26, exec_lo
	s_and_not1_b32 s27, s27, exec_lo
	s_or_b32 s25, s25, exec_lo
	s_waitcnt vmcnt(0)
	v_cmp_le_i32_e32 vcc_lo, v10, v11
	v_cmp_lt_i32_e64 s0, v10, v11
	s_and_b32 s29, vcc_lo, s28
	s_delay_alu instid0(VALU_DEP_1) | instid1(SALU_CYCLE_1)
	s_or_b32 s29, s0, s29
	s_delay_alu instid0(SALU_CYCLE_1) | instskip(NEXT) | instid1(SALU_CYCLE_1)
	s_and_b32 s0, s29, exec_lo
	s_or_b32 s26, s26, s0
	s_mov_b32 s0, exec_lo
	v_cmpx_eq_u32_e64 v10, v11
	s_cbranch_execz .LBB390_81
; %bb.83:                               ;   in Loop: Header=BB390_82 Depth=1
	s_add_u32 s20, s20, -1
	s_addc_u32 s21, s21, -1
	v_add_co_u32 v4, vcc_lo, v4, 4
	s_cmp_eq_u64 s[20:21], 0
	v_add_co_ci_u32_e32 v5, vcc_lo, 0, v5, vcc_lo
	s_cselect_b32 s28, -1, 0
	s_and_not1_b32 s27, s27, exec_lo
	s_and_b32 s29, s29, exec_lo
	v_add_co_u32 v6, vcc_lo, v6, 4
	s_and_not1_b32 s25, s25, exec_lo
	s_and_b32 s28, s28, exec_lo
	v_add_co_ci_u32_e32 v7, vcc_lo, 0, v7, vcc_lo
	s_or_b32 s27, s27, s29
	s_and_not1_b32 s26, s26, exec_lo
	s_or_b32 s25, s25, s28
                                        ; implicit-def: $sgpr28
	s_branch .LBB390_81
.LBB390_84:
	s_set_inst_prefetch_distance 0x2
	s_or_b32 exec_lo, exec_lo, s23
	s_xor_b32 s0, s24, -1
	s_branch .LBB390_86
.LBB390_85:
	s_mov_b32 s0, -1
.LBB390_86:
	s_and_not1_b32 s12, s12, exec_lo
	s_and_b32 s0, s0, exec_lo
	s_delay_alu instid0(SALU_CYCLE_1)
	s_or_b32 s12, s12, s0
.LBB390_87:
	s_or_b32 exec_lo, exec_lo, s22
	v_cndmask_b32_e64 v4, v9, v8, s12
	v_cndmask_b32_e64 v5, v15, v14, s12
	s_mov_b32 s22, exec_lo
	s_delay_alu instid0(VALU_DEP_2) | instskip(NEXT) | instid1(VALU_DEP_2)
	v_add_nc_u32_e32 v6, 1, v4
	v_add_nc_u32_e32 v4, -1, v5
	s_delay_alu instid0(VALU_DEP_2) | instskip(NEXT) | instid1(VALU_DEP_2)
	v_cndmask_b32_e64 v9, v6, v9, s12
	v_min_u32_e32 v4, v6, v4
	v_cndmask_b32_e64 v8, v8, v6, s12
	s_delay_alu instid0(VALU_DEP_2)
	v_lshl_add_u32 v4, v4, 3, v16
	ds_load_b64 v[4:5], v4
	s_waitcnt lgkmcnt(0)
	v_cndmask_b32_e64 v20, v5, v3, s12
	v_cndmask_b32_e64 v21, v4, v2, s12
	;; [unrolled: 1-line block ×4, first 2 shown]
	v_cmpx_lt_u32_e64 v9, v15
	s_cbranch_execz .LBB390_98
; %bb.88:
	s_mov_b32 s0, 0
	s_mov_b32 s19, exec_lo
	v_cmpx_lt_u32_e64 v8, v14
	s_cbranch_execz .LBB390_97
; %bb.89:
	s_and_not1_b32 vcc_lo, exec_lo, s7
	s_cbranch_vccnz .LBB390_95
; %bb.90:
	v_mul_lo_u32 v10, v20, s8
	v_mul_lo_u32 v11, v21, s9
	v_mad_u64_u32 v[4:5], null, v21, s8, 0
	v_mul_lo_u32 v24, v22, s8
	v_mul_lo_u32 v25, v23, s9
	v_mad_u64_u32 v[6:7], null, v23, s8, 0
	s_mov_b32 s23, 0
	s_mov_b64 s[20:21], s[8:9]
	s_delay_alu instid0(VALU_DEP_4) | instskip(NEXT) | instid1(VALU_DEP_2)
	v_add3_u32 v5, v5, v11, v10
                                        ; implicit-def: $sgpr24
                                        ; implicit-def: $sgpr25
                                        ; implicit-def: $sgpr26
                                        ; implicit-def: $sgpr27
                                        ; implicit-def: $sgpr28
	v_add3_u32 v7, v7, v25, v24
	s_delay_alu instid0(VALU_DEP_2) | instskip(NEXT) | instid1(VALU_DEP_2)
	v_lshlrev_b64 v[4:5], 2, v[4:5]
	v_lshlrev_b64 v[6:7], 2, v[6:7]
	s_delay_alu instid0(VALU_DEP_2) | instskip(NEXT) | instid1(VALU_DEP_3)
	v_add_co_u32 v4, vcc_lo, s10, v4
	v_add_co_ci_u32_e32 v5, vcc_lo, s11, v5, vcc_lo
	s_delay_alu instid0(VALU_DEP_3) | instskip(NEXT) | instid1(VALU_DEP_4)
	v_add_co_u32 v6, vcc_lo, s10, v6
	v_add_co_ci_u32_e32 v7, vcc_lo, s11, v7, vcc_lo
	s_set_inst_prefetch_distance 0x1
	s_branch .LBB390_92
	.p2align	6
.LBB390_91:                             ;   in Loop: Header=BB390_92 Depth=1
	s_or_b32 exec_lo, exec_lo, s0
	s_delay_alu instid0(SALU_CYCLE_1) | instskip(NEXT) | instid1(SALU_CYCLE_1)
	s_and_b32 s0, exec_lo, s25
	s_or_b32 s23, s0, s23
	s_and_not1_b32 s0, s28, exec_lo
	s_and_b32 s28, s27, exec_lo
	s_and_not1_b32 s24, s24, exec_lo
	s_and_b32 s29, s26, exec_lo
	s_or_b32 s28, s0, s28
	s_or_b32 s24, s24, s29
	s_and_not1_b32 exec_lo, exec_lo, s23
	s_cbranch_execz .LBB390_94
.LBB390_92:                             ; =>This Inner Loop Header: Depth=1
	global_load_b32 v10, v[4:5], off
	global_load_b32 v11, v[6:7], off
	s_and_not1_b32 s26, s26, exec_lo
	s_and_not1_b32 s27, s27, exec_lo
	s_or_b32 s25, s25, exec_lo
	s_waitcnt vmcnt(0)
	v_cmp_le_i32_e32 vcc_lo, v10, v11
	v_cmp_lt_i32_e64 s0, v10, v11
	s_and_b32 s29, vcc_lo, s28
	s_delay_alu instid0(VALU_DEP_1) | instid1(SALU_CYCLE_1)
	s_or_b32 s29, s0, s29
	s_delay_alu instid0(SALU_CYCLE_1) | instskip(NEXT) | instid1(SALU_CYCLE_1)
	s_and_b32 s0, s29, exec_lo
	s_or_b32 s26, s26, s0
	s_mov_b32 s0, exec_lo
	v_cmpx_eq_u32_e64 v10, v11
	s_cbranch_execz .LBB390_91
; %bb.93:                               ;   in Loop: Header=BB390_92 Depth=1
	s_add_u32 s20, s20, -1
	s_addc_u32 s21, s21, -1
	v_add_co_u32 v4, vcc_lo, v4, 4
	s_cmp_eq_u64 s[20:21], 0
	v_add_co_ci_u32_e32 v5, vcc_lo, 0, v5, vcc_lo
	v_add_co_u32 v6, vcc_lo, v6, 4
	s_cselect_b32 s28, -1, 0
	v_add_co_ci_u32_e32 v7, vcc_lo, 0, v7, vcc_lo
	s_and_not1_b32 s27, s27, exec_lo
	s_and_b32 s29, s29, exec_lo
	s_and_not1_b32 s25, s25, exec_lo
	s_and_b32 s28, s28, exec_lo
	s_or_b32 s27, s27, s29
	s_and_not1_b32 s26, s26, exec_lo
	s_or_b32 s25, s25, s28
                                        ; implicit-def: $sgpr28
	s_branch .LBB390_91
.LBB390_94:
	s_set_inst_prefetch_distance 0x2
	s_or_b32 exec_lo, exec_lo, s23
	s_xor_b32 s0, s24, -1
	s_branch .LBB390_96
.LBB390_95:
	s_mov_b32 s0, -1
.LBB390_96:
	s_delay_alu instid0(SALU_CYCLE_1)
	s_and_b32 s0, s0, exec_lo
.LBB390_97:
	s_or_b32 exec_lo, exec_lo, s19
	s_delay_alu instid0(SALU_CYCLE_1)
	s_or_not1_b32 s19, s0, exec_lo
.LBB390_98:
	s_or_b32 exec_lo, exec_lo, s22
	v_cndmask_b32_e64 v4, v9, v8, s19
	v_cndmask_b32_e64 v5, v15, v14, s19
	s_mov_b32 s22, -1
	s_mov_b32 s23, exec_lo
	s_delay_alu instid0(VALU_DEP_2) | instskip(NEXT) | instid1(VALU_DEP_2)
	v_add_nc_u32_e32 v6, 1, v4
	v_add_nc_u32_e32 v4, -1, v5
	s_delay_alu instid0(VALU_DEP_2) | instskip(NEXT) | instid1(VALU_DEP_2)
	v_cndmask_b32_e64 v9, v6, v9, s19
	v_min_u32_e32 v4, v6, v4
	v_cndmask_b32_e64 v8, v8, v6, s19
	s_delay_alu instid0(VALU_DEP_2)
	v_lshl_add_u32 v4, v4, 3, v16
	ds_load_b64 v[4:5], v4
	s_waitcnt lgkmcnt(0)
	v_cndmask_b32_e64 v24, v5, v20, s19
	v_cndmask_b32_e64 v25, v4, v21, s19
	;; [unrolled: 1-line block ×4, first 2 shown]
	v_cmpx_lt_u32_e64 v9, v15
	s_cbranch_execz .LBB390_109
; %bb.99:
	s_mov_b32 s0, 0
	s_mov_b32 s22, exec_lo
	v_cmpx_lt_u32_e64 v8, v14
	s_cbranch_execz .LBB390_108
; %bb.100:
	s_and_not1_b32 vcc_lo, exec_lo, s7
	s_cbranch_vccnz .LBB390_106
; %bb.101:
	v_mul_lo_u32 v10, v24, s8
	v_mul_lo_u32 v11, v25, s9
	v_mad_u64_u32 v[4:5], null, v25, s8, 0
	v_mul_lo_u32 v42, v40, s8
	v_mul_lo_u32 v43, v41, s9
	v_mad_u64_u32 v[6:7], null, v41, s8, 0
	s_mov_b32 s24, 0
	s_mov_b64 s[20:21], s[8:9]
	s_delay_alu instid0(VALU_DEP_4) | instskip(NEXT) | instid1(VALU_DEP_2)
	v_add3_u32 v5, v5, v11, v10
                                        ; implicit-def: $sgpr25
                                        ; implicit-def: $sgpr26
                                        ; implicit-def: $sgpr27
                                        ; implicit-def: $sgpr28
                                        ; implicit-def: $sgpr29
	v_add3_u32 v7, v7, v43, v42
	s_delay_alu instid0(VALU_DEP_2) | instskip(NEXT) | instid1(VALU_DEP_2)
	v_lshlrev_b64 v[4:5], 2, v[4:5]
	v_lshlrev_b64 v[6:7], 2, v[6:7]
	s_delay_alu instid0(VALU_DEP_2) | instskip(NEXT) | instid1(VALU_DEP_3)
	v_add_co_u32 v4, vcc_lo, s10, v4
	v_add_co_ci_u32_e32 v5, vcc_lo, s11, v5, vcc_lo
	s_delay_alu instid0(VALU_DEP_3) | instskip(NEXT) | instid1(VALU_DEP_4)
	v_add_co_u32 v6, vcc_lo, s10, v6
	v_add_co_ci_u32_e32 v7, vcc_lo, s11, v7, vcc_lo
	s_set_inst_prefetch_distance 0x1
	s_branch .LBB390_103
	.p2align	6
.LBB390_102:                            ;   in Loop: Header=BB390_103 Depth=1
	s_or_b32 exec_lo, exec_lo, s0
	s_delay_alu instid0(SALU_CYCLE_1) | instskip(NEXT) | instid1(SALU_CYCLE_1)
	s_and_b32 s0, exec_lo, s26
	s_or_b32 s24, s0, s24
	s_and_not1_b32 s0, s29, exec_lo
	s_and_b32 s29, s28, exec_lo
	s_and_not1_b32 s25, s25, exec_lo
	s_and_b32 s30, s27, exec_lo
	s_or_b32 s29, s0, s29
	s_or_b32 s25, s25, s30
	s_and_not1_b32 exec_lo, exec_lo, s24
	s_cbranch_execz .LBB390_105
.LBB390_103:                            ; =>This Inner Loop Header: Depth=1
	global_load_b32 v10, v[4:5], off
	global_load_b32 v11, v[6:7], off
	s_and_not1_b32 s27, s27, exec_lo
	s_and_not1_b32 s28, s28, exec_lo
	s_or_b32 s26, s26, exec_lo
	s_waitcnt vmcnt(0)
	v_cmp_le_i32_e32 vcc_lo, v10, v11
	v_cmp_lt_i32_e64 s0, v10, v11
	s_and_b32 s30, vcc_lo, s29
	s_delay_alu instid0(VALU_DEP_1) | instid1(SALU_CYCLE_1)
	s_or_b32 s30, s0, s30
	s_delay_alu instid0(SALU_CYCLE_1) | instskip(NEXT) | instid1(SALU_CYCLE_1)
	s_and_b32 s0, s30, exec_lo
	s_or_b32 s27, s27, s0
	s_mov_b32 s0, exec_lo
	v_cmpx_eq_u32_e64 v10, v11
	s_cbranch_execz .LBB390_102
; %bb.104:                              ;   in Loop: Header=BB390_103 Depth=1
	s_add_u32 s20, s20, -1
	s_addc_u32 s21, s21, -1
	v_add_co_u32 v4, vcc_lo, v4, 4
	s_cmp_eq_u64 s[20:21], 0
	v_add_co_ci_u32_e32 v5, vcc_lo, 0, v5, vcc_lo
	v_add_co_u32 v6, vcc_lo, v6, 4
	s_cselect_b32 s29, -1, 0
	v_add_co_ci_u32_e32 v7, vcc_lo, 0, v7, vcc_lo
	s_and_not1_b32 s28, s28, exec_lo
	s_and_b32 s30, s30, exec_lo
	s_and_not1_b32 s26, s26, exec_lo
	s_and_b32 s29, s29, exec_lo
	s_or_b32 s28, s28, s30
	s_and_not1_b32 s27, s27, exec_lo
	s_or_b32 s26, s26, s29
                                        ; implicit-def: $sgpr29
	s_branch .LBB390_102
.LBB390_105:
	s_set_inst_prefetch_distance 0x2
	s_or_b32 exec_lo, exec_lo, s24
	s_xor_b32 s0, s25, -1
	s_branch .LBB390_107
.LBB390_106:
	s_mov_b32 s0, -1
.LBB390_107:
	s_delay_alu instid0(SALU_CYCLE_1)
	s_and_b32 s0, s0, exec_lo
.LBB390_108:
	s_or_b32 exec_lo, exec_lo, s22
	s_delay_alu instid0(SALU_CYCLE_1)
	s_or_not1_b32 s22, s0, exec_lo
.LBB390_109:
	s_or_b32 exec_lo, exec_lo, s23
	v_cndmask_b32_e64 v4, v9, v8, s22
	v_cndmask_b32_e64 v5, v15, v14, s22
	s_mov_b32 s23, exec_lo
	s_delay_alu instid0(VALU_DEP_2) | instskip(NEXT) | instid1(VALU_DEP_2)
	v_add_nc_u32_e32 v10, 1, v4
	v_add_nc_u32_e32 v4, -1, v5
	s_delay_alu instid0(VALU_DEP_2) | instskip(NEXT) | instid1(VALU_DEP_2)
	v_cndmask_b32_e64 v9, v10, v9, s22
	v_min_u32_e32 v4, v10, v4
	s_delay_alu instid0(VALU_DEP_1)
	v_lshl_add_u32 v4, v4, 3, v16
	ds_load_b64 v[4:5], v4
	s_waitcnt lgkmcnt(0)
	v_cndmask_b32_e64 v7, v40, v5, s22
	v_cndmask_b32_e64 v6, v41, v4, s22
	v_cmpx_lt_u32_e64 v9, v15
	s_cbranch_execz .LBB390_119
; %bb.110:
	v_cndmask_b32_e64 v8, v8, v10, s22
	v_cndmask_b32_e64 v5, v5, v24, s22
	v_cndmask_b32_e64 v4, v4, v25, s22
	s_mov_b32 s24, exec_lo
	s_delay_alu instid0(VALU_DEP_3)
	v_cmpx_lt_u32_e64 v8, v14
	s_cbranch_execz .LBB390_118
; %bb.111:
	s_and_not1_b32 vcc_lo, exec_lo, s7
	s_cbranch_vccnz .LBB390_117
; %bb.112:
	v_mul_lo_u32 v14, v5, s8
	v_mul_lo_u32 v15, v4, s9
	v_mad_u64_u32 v[8:9], null, v4, s8, 0
	v_mul_lo_u32 v42, v7, s8
	v_mul_lo_u32 v43, v6, s9
	v_mad_u64_u32 v[10:11], null, v6, s8, 0
	s_mov_b32 s25, 0
	s_mov_b64 s[20:21], s[8:9]
	s_delay_alu instid0(VALU_DEP_4) | instskip(NEXT) | instid1(VALU_DEP_2)
	v_add3_u32 v9, v9, v15, v14
                                        ; implicit-def: $sgpr26
                                        ; implicit-def: $sgpr27
                                        ; implicit-def: $sgpr28
                                        ; implicit-def: $sgpr29
                                        ; implicit-def: $sgpr30
	v_add3_u32 v11, v11, v43, v42
	s_delay_alu instid0(VALU_DEP_2) | instskip(NEXT) | instid1(VALU_DEP_2)
	v_lshlrev_b64 v[8:9], 2, v[8:9]
	v_lshlrev_b64 v[10:11], 2, v[10:11]
	s_delay_alu instid0(VALU_DEP_2) | instskip(NEXT) | instid1(VALU_DEP_3)
	v_add_co_u32 v8, vcc_lo, s10, v8
	v_add_co_ci_u32_e32 v9, vcc_lo, s11, v9, vcc_lo
	s_delay_alu instid0(VALU_DEP_3) | instskip(NEXT) | instid1(VALU_DEP_4)
	v_add_co_u32 v10, vcc_lo, s10, v10
	v_add_co_ci_u32_e32 v11, vcc_lo, s11, v11, vcc_lo
	s_set_inst_prefetch_distance 0x1
	s_branch .LBB390_114
	.p2align	6
.LBB390_113:                            ;   in Loop: Header=BB390_114 Depth=1
	s_or_b32 exec_lo, exec_lo, s0
	s_delay_alu instid0(SALU_CYCLE_1) | instskip(NEXT) | instid1(SALU_CYCLE_1)
	s_and_b32 s0, exec_lo, s27
	s_or_b32 s25, s0, s25
	s_and_not1_b32 s0, s30, exec_lo
	s_and_b32 s30, s29, exec_lo
	s_and_not1_b32 s26, s26, exec_lo
	s_and_b32 s31, s28, exec_lo
	s_or_b32 s30, s0, s30
	s_or_b32 s26, s26, s31
	s_and_not1_b32 exec_lo, exec_lo, s25
	s_cbranch_execz .LBB390_116
.LBB390_114:                            ; =>This Inner Loop Header: Depth=1
	global_load_b32 v14, v[8:9], off
	global_load_b32 v15, v[10:11], off
	s_and_not1_b32 s28, s28, exec_lo
	s_and_not1_b32 s29, s29, exec_lo
	s_or_b32 s27, s27, exec_lo
	s_waitcnt vmcnt(0)
	v_cmp_le_i32_e32 vcc_lo, v14, v15
	v_cmp_lt_i32_e64 s0, v14, v15
	s_and_b32 s31, vcc_lo, s30
	s_delay_alu instid0(VALU_DEP_1) | instid1(SALU_CYCLE_1)
	s_or_b32 s31, s0, s31
	s_delay_alu instid0(SALU_CYCLE_1) | instskip(NEXT) | instid1(SALU_CYCLE_1)
	s_and_b32 s0, s31, exec_lo
	s_or_b32 s28, s28, s0
	s_mov_b32 s0, exec_lo
	v_cmpx_eq_u32_e64 v14, v15
	s_cbranch_execz .LBB390_113
; %bb.115:                              ;   in Loop: Header=BB390_114 Depth=1
	s_add_u32 s20, s20, -1
	s_addc_u32 s21, s21, -1
	v_add_co_u32 v8, vcc_lo, v8, 4
	s_cmp_eq_u64 s[20:21], 0
	v_add_co_ci_u32_e32 v9, vcc_lo, 0, v9, vcc_lo
	v_add_co_u32 v10, vcc_lo, v10, 4
	s_cselect_b32 s30, -1, 0
	v_add_co_ci_u32_e32 v11, vcc_lo, 0, v11, vcc_lo
	s_and_not1_b32 s29, s29, exec_lo
	s_and_b32 s31, s31, exec_lo
	s_and_not1_b32 s27, s27, exec_lo
	s_and_b32 s30, s30, exec_lo
	s_or_b32 s29, s29, s31
	s_and_not1_b32 s28, s28, exec_lo
	s_or_b32 s27, s27, s30
                                        ; implicit-def: $sgpr30
	s_branch .LBB390_113
.LBB390_116:
	s_set_inst_prefetch_distance 0x2
	s_or_b32 exec_lo, exec_lo, s25
	v_cndmask_b32_e64 v7, v7, v5, s26
	v_cndmask_b32_e64 v6, v6, v4, s26
.LBB390_117:
	s_delay_alu instid0(VALU_DEP_1)
	v_dual_mov_b32 v4, v6 :: v_dual_mov_b32 v5, v7
.LBB390_118:
	s_or_b32 exec_lo, exec_lo, s24
	s_delay_alu instid0(VALU_DEP_1)
	v_dual_mov_b32 v7, v5 :: v_dual_mov_b32 v6, v4
.LBB390_119:
	s_or_b32 exec_lo, exec_lo, s23
	v_cndmask_b32_e64 v1, v3, v1, s12
	v_cndmask_b32_e64 v0, v2, v0, s12
	;; [unrolled: 1-line block ×6, first 2 shown]
.LBB390_120:
	s_or_b32 exec_lo, exec_lo, s1
	v_and_b32_e32 v22, 0x70, v18
	v_and_b32_e32 v9, 12, v18
	s_mov_b32 s1, exec_lo
	; wave barrier
	s_delay_alu instid0(VALU_DEP_2) | instskip(NEXT) | instid1(VALU_DEP_2)
	v_or_b32_e32 v8, 8, v22
	v_min_u32_e32 v23, v17, v9
	v_lshl_add_u32 v21, v22, 3, v16
	ds_store_b128 v19, v[0:3]
	ds_store_b128 v19, v[4:7] offset:16
	v_min_u32_e32 v14, v17, v8
	; wave barrier
	s_delay_alu instid0(VALU_DEP_1) | instskip(SKIP_1) | instid1(VALU_DEP_2)
	v_add_nc_u32_e32 v8, 8, v14
	v_sub_nc_u32_e32 v9, v14, v22
	v_min_u32_e32 v15, v17, v8
	s_delay_alu instid0(VALU_DEP_2) | instskip(NEXT) | instid1(VALU_DEP_2)
	v_min_u32_e32 v24, v23, v9
	v_sub_nc_u32_e32 v8, v15, v14
	s_delay_alu instid0(VALU_DEP_1) | instskip(NEXT) | instid1(VALU_DEP_1)
	v_sub_nc_u32_e64 v20, v23, v8 clamp
	v_cmpx_lt_u32_e64 v20, v24
	s_cbranch_execz .LBB390_130
; %bb.121:
	v_lshlrev_b32_e32 v8, 3, v14
	v_lshlrev_b32_e32 v9, 3, v23
	s_lshl_b64 s[20:21], s[8:9], 2
	s_mov_b32 s12, 0
	s_delay_alu instid0(VALU_DEP_1)
	v_add3_u32 v25, v16, v8, v9
	s_branch .LBB390_124
.LBB390_122:                            ;   in Loop: Header=BB390_124 Depth=1
	s_set_inst_prefetch_distance 0x2
	s_or_b32 exec_lo, exec_lo, s19
.LBB390_123:                            ;   in Loop: Header=BB390_124 Depth=1
	s_delay_alu instid0(VALU_DEP_1) | instskip(SKIP_1) | instid1(VALU_DEP_2)
	v_add_nc_u32_e32 v8, 1, v40
	v_cndmask_b32_e64 v24, v24, v40, s24
	v_cndmask_b32_e64 v20, v8, v20, s24
	s_delay_alu instid0(VALU_DEP_1) | instskip(SKIP_1) | instid1(SALU_CYCLE_1)
	v_cmp_ge_u32_e32 vcc_lo, v20, v24
	s_or_b32 s12, vcc_lo, s12
	s_and_not1_b32 exec_lo, exec_lo, s12
	s_cbranch_execz .LBB390_129
.LBB390_124:                            ; =>This Loop Header: Depth=1
                                        ;     Child Loop BB390_127 Depth 2
	v_add_nc_u32_e32 v8, v24, v20
	s_and_not1_b32 vcc_lo, exec_lo, s7
	s_mov_b32 s24, 0
	s_delay_alu instid0(VALU_DEP_1)
	v_lshrrev_b32_e32 v40, 1, v8
	s_cbranch_vccnz .LBB390_123
; %bb.125:                              ;   in Loop: Header=BB390_124 Depth=1
	s_delay_alu instid0(VALU_DEP_1) | instskip(SKIP_3) | instid1(VALU_DEP_2)
	v_not_b32_e32 v8, v40
	v_lshl_add_u32 v9, v40, 3, v21
	s_mov_b32 s19, 0
	s_mov_b64 s[22:23], s[8:9]
                                        ; implicit-def: $sgpr24
                                        ; implicit-def: $sgpr25
                                        ; implicit-def: $sgpr26
                                        ; implicit-def: $sgpr27
                                        ; implicit-def: $sgpr28
	v_lshl_add_u32 v8, v8, 3, v25
	ds_load_b64 v[10:11], v8
	ds_load_b64 v[41:42], v9
	s_waitcnt lgkmcnt(1)
	v_mul_lo_u32 v43, s20, v11
	v_mul_lo_u32 v44, s21, v10
	v_mad_u64_u32 v[8:9], null, s20, v10, s[10:11]
	s_waitcnt lgkmcnt(0)
	v_mul_lo_u32 v42, s20, v42
	v_mul_lo_u32 v45, s21, v41
	v_mad_u64_u32 v[10:11], null, s20, v41, s[10:11]
	s_delay_alu instid0(VALU_DEP_4) | instskip(NEXT) | instid1(VALU_DEP_2)
	v_add3_u32 v9, v44, v9, v43
	v_add3_u32 v11, v45, v11, v42
	s_set_inst_prefetch_distance 0x1
	s_branch .LBB390_127
	.p2align	6
.LBB390_126:                            ;   in Loop: Header=BB390_127 Depth=2
	s_or_b32 exec_lo, exec_lo, s29
	s_delay_alu instid0(SALU_CYCLE_1) | instskip(NEXT) | instid1(SALU_CYCLE_1)
	s_and_b32 s0, exec_lo, s25
	s_or_b32 s19, s0, s19
	s_and_not1_b32 s0, s28, exec_lo
	s_and_b32 s28, s26, exec_lo
	s_and_not1_b32 s24, s24, exec_lo
	s_and_b32 s29, s27, exec_lo
	s_or_b32 s28, s0, s28
	s_or_b32 s24, s24, s29
	s_and_not1_b32 exec_lo, exec_lo, s19
	s_cbranch_execz .LBB390_122
.LBB390_127:                            ;   Parent Loop BB390_124 Depth=1
                                        ; =>  This Inner Loop Header: Depth=2
	global_load_b32 v41, v[8:9], off
	global_load_b32 v42, v[10:11], off
	s_and_not1_b32 s27, s27, exec_lo
	s_and_not1_b32 s26, s26, exec_lo
	s_or_b32 s25, s25, exec_lo
	s_waitcnt vmcnt(0)
	v_cmp_le_i32_e32 vcc_lo, v41, v42
	v_cmp_lt_i32_e64 s0, v41, v42
	s_and_b32 s29, vcc_lo, s28
	s_delay_alu instid0(VALU_DEP_1) | instid1(SALU_CYCLE_1)
	s_or_b32 s0, s0, s29
	s_delay_alu instid0(SALU_CYCLE_1) | instskip(NEXT) | instid1(SALU_CYCLE_1)
	s_and_b32 s29, s0, exec_lo
	s_or_b32 s27, s27, s29
	s_mov_b32 s29, exec_lo
	v_cmpx_eq_u32_e64 v41, v42
	s_cbranch_execz .LBB390_126
; %bb.128:                              ;   in Loop: Header=BB390_127 Depth=2
	s_add_u32 s22, s22, -1
	s_addc_u32 s23, s23, -1
	v_add_co_u32 v8, vcc_lo, v8, 4
	v_add_co_ci_u32_e32 v9, vcc_lo, 0, v9, vcc_lo
	s_cmp_eq_u64 s[22:23], 0
	v_add_co_u32 v10, vcc_lo, v10, 4
	s_cselect_b32 s28, -1, 0
	v_add_co_ci_u32_e32 v11, vcc_lo, 0, v11, vcc_lo
	s_and_not1_b32 s26, s26, exec_lo
	s_and_b32 s0, s0, exec_lo
	s_and_not1_b32 s25, s25, exec_lo
	s_and_b32 s28, s28, exec_lo
	s_and_not1_b32 s27, s27, exec_lo
	s_or_b32 s26, s26, s0
	s_or_b32 s25, s25, s28
                                        ; implicit-def: $sgpr28
	s_branch .LBB390_126
.LBB390_129:
	s_or_b32 exec_lo, exec_lo, s12
.LBB390_130:
	s_delay_alu instid0(SALU_CYCLE_1) | instskip(SKIP_2) | instid1(VALU_DEP_2)
	s_or_b32 exec_lo, exec_lo, s1
	v_add_nc_u32_e32 v9, v14, v23
	v_add_nc_u32_e32 v8, v20, v22
	v_sub_nc_u32_e32 v9, v9, v20
	s_delay_alu instid0(VALU_DEP_2) | instskip(NEXT) | instid1(VALU_DEP_2)
	v_cmp_le_u32_e32 vcc_lo, v8, v14
	v_cmp_le_u32_e64 s0, v9, v15
	s_delay_alu instid0(VALU_DEP_1) | instskip(NEXT) | instid1(SALU_CYCLE_1)
	s_or_b32 s0, vcc_lo, s0
	s_and_saveexec_b32 s1, s0
	s_cbranch_execz .LBB390_177
; %bb.131:
	v_cmp_ge_u32_e32 vcc_lo, v8, v14
	s_mov_b32 s12, exec_lo
                                        ; implicit-def: $vgpr0_vgpr1
	v_cmpx_lt_u32_e64 v8, v14
	s_cbranch_execz .LBB390_133
; %bb.132:
	v_lshl_add_u32 v0, v20, 3, v21
	ds_load_b64 v[0:1], v0
.LBB390_133:
	s_or_b32 exec_lo, exec_lo, s12
	v_cmp_ge_u32_e64 s12, v9, v15
	s_mov_b32 s19, exec_lo
                                        ; implicit-def: $vgpr4_vgpr5
	v_cmpx_lt_u32_e64 v9, v15
	s_cbranch_execz .LBB390_135
; %bb.134:
	v_lshl_add_u32 v2, v9, 3, v16
	ds_load_b64 v[4:5], v2
.LBB390_135:
	s_or_b32 exec_lo, exec_lo, s19
	s_or_b32 s0, vcc_lo, s12
	s_mov_b32 s19, -1
	s_xor_b32 s0, s0, -1
	s_delay_alu instid0(SALU_CYCLE_1)
	s_and_saveexec_b32 s22, s0
	s_cbranch_execz .LBB390_144
; %bb.136:
	s_and_not1_b32 vcc_lo, exec_lo, s7
	s_cbranch_vccnz .LBB390_142
; %bb.137:
	s_waitcnt lgkmcnt(0)
	v_mul_lo_u32 v10, v5, s8
	v_mul_lo_u32 v11, v4, s9
	v_mad_u64_u32 v[2:3], null, v4, s8, 0
	v_mul_lo_u32 v20, v1, s8
	v_mul_lo_u32 v21, v0, s9
	v_mad_u64_u32 v[6:7], null, v0, s8, 0
	s_mov_b32 s23, 0
	s_mov_b64 s[20:21], s[8:9]
	s_delay_alu instid0(VALU_DEP_4) | instskip(NEXT) | instid1(VALU_DEP_2)
	v_add3_u32 v3, v3, v11, v10
                                        ; implicit-def: $sgpr24
                                        ; implicit-def: $sgpr25
                                        ; implicit-def: $sgpr26
                                        ; implicit-def: $sgpr27
                                        ; implicit-def: $sgpr28
	v_add3_u32 v7, v7, v21, v20
	s_delay_alu instid0(VALU_DEP_2) | instskip(NEXT) | instid1(VALU_DEP_2)
	v_lshlrev_b64 v[2:3], 2, v[2:3]
	v_lshlrev_b64 v[6:7], 2, v[6:7]
	s_delay_alu instid0(VALU_DEP_2) | instskip(NEXT) | instid1(VALU_DEP_3)
	v_add_co_u32 v2, vcc_lo, s10, v2
	v_add_co_ci_u32_e32 v3, vcc_lo, s11, v3, vcc_lo
	s_delay_alu instid0(VALU_DEP_3) | instskip(NEXT) | instid1(VALU_DEP_4)
	v_add_co_u32 v6, vcc_lo, s10, v6
	v_add_co_ci_u32_e32 v7, vcc_lo, s11, v7, vcc_lo
	s_set_inst_prefetch_distance 0x1
	s_branch .LBB390_139
	.p2align	6
.LBB390_138:                            ;   in Loop: Header=BB390_139 Depth=1
	s_or_b32 exec_lo, exec_lo, s0
	s_delay_alu instid0(SALU_CYCLE_1) | instskip(NEXT) | instid1(SALU_CYCLE_1)
	s_and_b32 s0, exec_lo, s25
	s_or_b32 s23, s0, s23
	s_and_not1_b32 s0, s28, exec_lo
	s_and_b32 s28, s27, exec_lo
	s_and_not1_b32 s24, s24, exec_lo
	s_and_b32 s29, s26, exec_lo
	s_or_b32 s28, s0, s28
	s_or_b32 s24, s24, s29
	s_and_not1_b32 exec_lo, exec_lo, s23
	s_cbranch_execz .LBB390_141
.LBB390_139:                            ; =>This Inner Loop Header: Depth=1
	global_load_b32 v10, v[2:3], off
	global_load_b32 v11, v[6:7], off
	s_and_not1_b32 s26, s26, exec_lo
	s_and_not1_b32 s27, s27, exec_lo
	s_or_b32 s25, s25, exec_lo
	s_waitcnt vmcnt(0)
	v_cmp_le_i32_e32 vcc_lo, v10, v11
	v_cmp_lt_i32_e64 s0, v10, v11
	s_and_b32 s29, vcc_lo, s28
	s_delay_alu instid0(VALU_DEP_1) | instid1(SALU_CYCLE_1)
	s_or_b32 s29, s0, s29
	s_delay_alu instid0(SALU_CYCLE_1) | instskip(NEXT) | instid1(SALU_CYCLE_1)
	s_and_b32 s0, s29, exec_lo
	s_or_b32 s26, s26, s0
	s_mov_b32 s0, exec_lo
	v_cmpx_eq_u32_e64 v10, v11
	s_cbranch_execz .LBB390_138
; %bb.140:                              ;   in Loop: Header=BB390_139 Depth=1
	s_add_u32 s20, s20, -1
	s_addc_u32 s21, s21, -1
	v_add_co_u32 v2, vcc_lo, v2, 4
	s_cmp_eq_u64 s[20:21], 0
	v_add_co_ci_u32_e32 v3, vcc_lo, 0, v3, vcc_lo
	v_add_co_u32 v6, vcc_lo, v6, 4
	s_cselect_b32 s28, -1, 0
	v_add_co_ci_u32_e32 v7, vcc_lo, 0, v7, vcc_lo
	s_and_not1_b32 s27, s27, exec_lo
	s_and_b32 s29, s29, exec_lo
	s_and_not1_b32 s25, s25, exec_lo
	s_and_b32 s28, s28, exec_lo
	s_or_b32 s27, s27, s29
	s_and_not1_b32 s26, s26, exec_lo
	s_or_b32 s25, s25, s28
                                        ; implicit-def: $sgpr28
	s_branch .LBB390_138
.LBB390_141:
	s_set_inst_prefetch_distance 0x2
	s_or_b32 exec_lo, exec_lo, s23
	s_xor_b32 s0, s24, -1
	s_branch .LBB390_143
.LBB390_142:
	s_mov_b32 s0, -1
.LBB390_143:
	s_and_not1_b32 s12, s12, exec_lo
	s_and_b32 s0, s0, exec_lo
	s_delay_alu instid0(SALU_CYCLE_1)
	s_or_b32 s12, s12, s0
.LBB390_144:
	s_or_b32 exec_lo, exec_lo, s22
	v_cndmask_b32_e64 v2, v9, v8, s12
	v_cndmask_b32_e64 v3, v15, v14, s12
	s_mov_b32 s22, exec_lo
	s_delay_alu instid0(VALU_DEP_2) | instskip(NEXT) | instid1(VALU_DEP_2)
	v_add_nc_u32_e32 v6, 1, v2
	v_add_nc_u32_e32 v2, -1, v3
	s_delay_alu instid0(VALU_DEP_2) | instskip(NEXT) | instid1(VALU_DEP_2)
	v_cndmask_b32_e64 v9, v6, v9, s12
	v_min_u32_e32 v2, v6, v2
	v_cndmask_b32_e64 v8, v8, v6, s12
	s_delay_alu instid0(VALU_DEP_2)
	v_lshl_add_u32 v2, v2, 3, v16
	ds_load_b64 v[2:3], v2
	s_waitcnt lgkmcnt(0)
	v_cndmask_b32_e64 v10, v3, v5, s12
	v_cndmask_b32_e64 v11, v2, v4, s12
	;; [unrolled: 1-line block ×4, first 2 shown]
	v_cmpx_lt_u32_e64 v9, v15
	s_cbranch_execz .LBB390_155
; %bb.145:
	s_mov_b32 s0, 0
	s_mov_b32 s19, exec_lo
	v_cmpx_lt_u32_e64 v8, v14
	s_cbranch_execz .LBB390_154
; %bb.146:
	s_and_not1_b32 vcc_lo, exec_lo, s7
	s_cbranch_vccnz .LBB390_152
; %bb.147:
	v_mul_lo_u32 v22, v10, s8
	v_mul_lo_u32 v23, v11, s9
	v_mad_u64_u32 v[2:3], null, v11, s8, 0
	v_mul_lo_u32 v24, v20, s8
	v_mul_lo_u32 v25, v21, s9
	v_mad_u64_u32 v[6:7], null, v21, s8, 0
	s_mov_b32 s23, 0
	s_mov_b64 s[20:21], s[8:9]
	s_delay_alu instid0(VALU_DEP_4) | instskip(NEXT) | instid1(VALU_DEP_2)
	v_add3_u32 v3, v3, v23, v22
                                        ; implicit-def: $sgpr24
                                        ; implicit-def: $sgpr25
                                        ; implicit-def: $sgpr26
                                        ; implicit-def: $sgpr27
                                        ; implicit-def: $sgpr28
	v_add3_u32 v7, v7, v25, v24
	s_delay_alu instid0(VALU_DEP_2) | instskip(NEXT) | instid1(VALU_DEP_2)
	v_lshlrev_b64 v[2:3], 2, v[2:3]
	v_lshlrev_b64 v[6:7], 2, v[6:7]
	s_delay_alu instid0(VALU_DEP_2) | instskip(NEXT) | instid1(VALU_DEP_3)
	v_add_co_u32 v2, vcc_lo, s10, v2
	v_add_co_ci_u32_e32 v3, vcc_lo, s11, v3, vcc_lo
	s_delay_alu instid0(VALU_DEP_3) | instskip(NEXT) | instid1(VALU_DEP_4)
	v_add_co_u32 v6, vcc_lo, s10, v6
	v_add_co_ci_u32_e32 v7, vcc_lo, s11, v7, vcc_lo
	s_set_inst_prefetch_distance 0x1
	s_branch .LBB390_149
	.p2align	6
.LBB390_148:                            ;   in Loop: Header=BB390_149 Depth=1
	s_or_b32 exec_lo, exec_lo, s0
	s_delay_alu instid0(SALU_CYCLE_1) | instskip(NEXT) | instid1(SALU_CYCLE_1)
	s_and_b32 s0, exec_lo, s25
	s_or_b32 s23, s0, s23
	s_and_not1_b32 s0, s28, exec_lo
	s_and_b32 s28, s27, exec_lo
	s_and_not1_b32 s24, s24, exec_lo
	s_and_b32 s29, s26, exec_lo
	s_or_b32 s28, s0, s28
	s_or_b32 s24, s24, s29
	s_and_not1_b32 exec_lo, exec_lo, s23
	s_cbranch_execz .LBB390_151
.LBB390_149:                            ; =>This Inner Loop Header: Depth=1
	global_load_b32 v22, v[2:3], off
	global_load_b32 v23, v[6:7], off
	s_and_not1_b32 s26, s26, exec_lo
	s_and_not1_b32 s27, s27, exec_lo
	s_or_b32 s25, s25, exec_lo
	s_waitcnt vmcnt(0)
	v_cmp_le_i32_e32 vcc_lo, v22, v23
	v_cmp_lt_i32_e64 s0, v22, v23
	s_and_b32 s29, vcc_lo, s28
	s_delay_alu instid0(VALU_DEP_1) | instid1(SALU_CYCLE_1)
	s_or_b32 s29, s0, s29
	s_delay_alu instid0(SALU_CYCLE_1) | instskip(NEXT) | instid1(SALU_CYCLE_1)
	s_and_b32 s0, s29, exec_lo
	s_or_b32 s26, s26, s0
	s_mov_b32 s0, exec_lo
	v_cmpx_eq_u32_e64 v22, v23
	s_cbranch_execz .LBB390_148
; %bb.150:                              ;   in Loop: Header=BB390_149 Depth=1
	s_add_u32 s20, s20, -1
	s_addc_u32 s21, s21, -1
	v_add_co_u32 v2, vcc_lo, v2, 4
	s_cmp_eq_u64 s[20:21], 0
	v_add_co_ci_u32_e32 v3, vcc_lo, 0, v3, vcc_lo
	v_add_co_u32 v6, vcc_lo, v6, 4
	s_cselect_b32 s28, -1, 0
	v_add_co_ci_u32_e32 v7, vcc_lo, 0, v7, vcc_lo
	s_and_not1_b32 s27, s27, exec_lo
	s_and_b32 s29, s29, exec_lo
	s_and_not1_b32 s25, s25, exec_lo
	s_and_b32 s28, s28, exec_lo
	s_or_b32 s27, s27, s29
	s_and_not1_b32 s26, s26, exec_lo
	s_or_b32 s25, s25, s28
                                        ; implicit-def: $sgpr28
	s_branch .LBB390_148
.LBB390_151:
	s_set_inst_prefetch_distance 0x2
	s_or_b32 exec_lo, exec_lo, s23
	s_xor_b32 s0, s24, -1
	s_branch .LBB390_153
.LBB390_152:
	s_mov_b32 s0, -1
.LBB390_153:
	s_delay_alu instid0(SALU_CYCLE_1)
	s_and_b32 s0, s0, exec_lo
.LBB390_154:
	s_or_b32 exec_lo, exec_lo, s19
	s_delay_alu instid0(SALU_CYCLE_1)
	s_or_not1_b32 s19, s0, exec_lo
.LBB390_155:
	s_or_b32 exec_lo, exec_lo, s22
	v_cndmask_b32_e64 v2, v9, v8, s19
	v_cndmask_b32_e64 v3, v15, v14, s19
	s_mov_b32 s0, -1
	s_mov_b32 s22, exec_lo
	s_delay_alu instid0(VALU_DEP_2) | instskip(NEXT) | instid1(VALU_DEP_2)
	v_add_nc_u32_e32 v6, 1, v2
	v_add_nc_u32_e32 v2, -1, v3
	s_delay_alu instid0(VALU_DEP_2) | instskip(NEXT) | instid1(VALU_DEP_2)
	v_cndmask_b32_e64 v25, v6, v9, s19
	v_min_u32_e32 v2, v6, v2
	v_cndmask_b32_e64 v22, v8, v6, s19
	s_delay_alu instid0(VALU_DEP_2)
	v_lshl_add_u32 v2, v2, 3, v16
	ds_load_b64 v[2:3], v2
	s_waitcnt lgkmcnt(0)
	v_cndmask_b32_e64 v23, v3, v10, s19
	v_cndmask_b32_e64 v24, v2, v11, s19
	;; [unrolled: 1-line block ×4, first 2 shown]
	v_cmpx_lt_u32_e64 v25, v15
	s_cbranch_execz .LBB390_166
; %bb.156:
	s_mov_b32 s0, 0
	s_mov_b32 s23, exec_lo
	v_cmpx_lt_u32_e64 v22, v14
	s_cbranch_execz .LBB390_165
; %bb.157:
	s_and_not1_b32 vcc_lo, exec_lo, s7
	s_cbranch_vccnz .LBB390_163
; %bb.158:
	v_mul_lo_u32 v8, v23, s8
	v_mul_lo_u32 v9, v24, s9
	v_mad_u64_u32 v[2:3], null, v24, s8, 0
	v_mul_lo_u32 v42, v40, s8
	v_mul_lo_u32 v43, v41, s9
	v_mad_u64_u32 v[6:7], null, v41, s8, 0
	s_mov_b32 s24, 0
	s_mov_b64 s[20:21], s[8:9]
	s_delay_alu instid0(VALU_DEP_4) | instskip(NEXT) | instid1(VALU_DEP_2)
	v_add3_u32 v3, v3, v9, v8
                                        ; implicit-def: $sgpr25
                                        ; implicit-def: $sgpr26
                                        ; implicit-def: $sgpr27
                                        ; implicit-def: $sgpr28
                                        ; implicit-def: $sgpr29
	v_add3_u32 v7, v7, v43, v42
	s_delay_alu instid0(VALU_DEP_2) | instskip(NEXT) | instid1(VALU_DEP_2)
	v_lshlrev_b64 v[2:3], 2, v[2:3]
	v_lshlrev_b64 v[6:7], 2, v[6:7]
	s_delay_alu instid0(VALU_DEP_2) | instskip(NEXT) | instid1(VALU_DEP_3)
	v_add_co_u32 v2, vcc_lo, s10, v2
	v_add_co_ci_u32_e32 v3, vcc_lo, s11, v3, vcc_lo
	s_delay_alu instid0(VALU_DEP_3) | instskip(NEXT) | instid1(VALU_DEP_4)
	v_add_co_u32 v6, vcc_lo, s10, v6
	v_add_co_ci_u32_e32 v7, vcc_lo, s11, v7, vcc_lo
	s_set_inst_prefetch_distance 0x1
	s_branch .LBB390_160
	.p2align	6
.LBB390_159:                            ;   in Loop: Header=BB390_160 Depth=1
	s_or_b32 exec_lo, exec_lo, s0
	s_delay_alu instid0(SALU_CYCLE_1) | instskip(NEXT) | instid1(SALU_CYCLE_1)
	s_and_b32 s0, exec_lo, s26
	s_or_b32 s24, s0, s24
	s_and_not1_b32 s0, s29, exec_lo
	s_and_b32 s29, s28, exec_lo
	s_and_not1_b32 s25, s25, exec_lo
	s_and_b32 s30, s27, exec_lo
	s_or_b32 s29, s0, s29
	s_or_b32 s25, s25, s30
	s_and_not1_b32 exec_lo, exec_lo, s24
	s_cbranch_execz .LBB390_162
.LBB390_160:                            ; =>This Inner Loop Header: Depth=1
	global_load_b32 v8, v[2:3], off
	global_load_b32 v9, v[6:7], off
	s_and_not1_b32 s27, s27, exec_lo
	s_and_not1_b32 s28, s28, exec_lo
	s_or_b32 s26, s26, exec_lo
	s_waitcnt vmcnt(0)
	v_cmp_le_i32_e32 vcc_lo, v8, v9
	v_cmp_lt_i32_e64 s0, v8, v9
	s_and_b32 s30, vcc_lo, s29
	s_delay_alu instid0(VALU_DEP_1) | instid1(SALU_CYCLE_1)
	s_or_b32 s30, s0, s30
	s_delay_alu instid0(SALU_CYCLE_1) | instskip(NEXT) | instid1(SALU_CYCLE_1)
	s_and_b32 s0, s30, exec_lo
	s_or_b32 s27, s27, s0
	s_mov_b32 s0, exec_lo
	v_cmpx_eq_u32_e64 v8, v9
	s_cbranch_execz .LBB390_159
; %bb.161:                              ;   in Loop: Header=BB390_160 Depth=1
	s_add_u32 s20, s20, -1
	s_addc_u32 s21, s21, -1
	v_add_co_u32 v2, vcc_lo, v2, 4
	s_cmp_eq_u64 s[20:21], 0
	v_add_co_ci_u32_e32 v3, vcc_lo, 0, v3, vcc_lo
	v_add_co_u32 v6, vcc_lo, v6, 4
	s_cselect_b32 s29, -1, 0
	v_add_co_ci_u32_e32 v7, vcc_lo, 0, v7, vcc_lo
	s_and_not1_b32 s28, s28, exec_lo
	s_and_b32 s30, s30, exec_lo
	s_and_not1_b32 s26, s26, exec_lo
	s_and_b32 s29, s29, exec_lo
	s_or_b32 s28, s28, s30
	s_and_not1_b32 s27, s27, exec_lo
	s_or_b32 s26, s26, s29
                                        ; implicit-def: $sgpr29
	s_branch .LBB390_159
.LBB390_162:
	s_set_inst_prefetch_distance 0x2
	s_or_b32 exec_lo, exec_lo, s24
	s_xor_b32 s0, s25, -1
	s_branch .LBB390_164
.LBB390_163:
	s_mov_b32 s0, -1
.LBB390_164:
	s_delay_alu instid0(SALU_CYCLE_1)
	s_and_b32 s0, s0, exec_lo
.LBB390_165:
	s_or_b32 exec_lo, exec_lo, s23
	s_delay_alu instid0(SALU_CYCLE_1)
	s_or_not1_b32 s0, s0, exec_lo
.LBB390_166:
	s_or_b32 exec_lo, exec_lo, s22
	v_cndmask_b32_e64 v2, v25, v22, s0
	v_cndmask_b32_e64 v3, v15, v14, s0
	;; [unrolled: 1-line block ×5, first 2 shown]
	v_add_nc_u32_e32 v42, 1, v2
	v_add_nc_u32_e32 v2, -1, v3
	v_cndmask_b32_e64 v3, v10, v20, s19
	v_cndmask_b32_e64 v4, v24, v41, s0
	s_mov_b32 s12, exec_lo
	v_cndmask_b32_e64 v10, v42, v25, s0
	v_min_u32_e32 v2, v42, v2
	s_delay_alu instid0(VALU_DEP_1)
	v_lshl_add_u32 v2, v2, 3, v16
	ds_load_b64 v[8:9], v2
	v_cndmask_b32_e64 v2, v11, v21, s19
	s_waitcnt lgkmcnt(0)
	v_cndmask_b32_e64 v7, v40, v9, s0
	v_cndmask_b32_e64 v6, v41, v8, s0
	v_cmpx_lt_u32_e64 v10, v15
	s_cbranch_execz .LBB390_176
; %bb.167:
	v_cndmask_b32_e64 v10, v22, v42, s0
	v_cndmask_b32_e64 v9, v9, v23, s0
	;; [unrolled: 1-line block ×3, first 2 shown]
	s_mov_b32 s19, exec_lo
	s_delay_alu instid0(VALU_DEP_3)
	v_cmpx_lt_u32_e64 v10, v14
	s_cbranch_execz .LBB390_175
; %bb.168:
	s_and_not1_b32 vcc_lo, exec_lo, s7
	s_cbranch_vccnz .LBB390_174
; %bb.169:
	v_mul_lo_u32 v20, v9, s8
	v_mul_lo_u32 v21, v8, s9
	v_mad_u64_u32 v[10:11], null, v8, s8, 0
	v_mul_lo_u32 v22, v7, s8
	v_mul_lo_u32 v23, v6, s9
	v_mad_u64_u32 v[14:15], null, v6, s8, 0
	s_mov_b32 s22, 0
	s_mov_b64 s[20:21], s[8:9]
	s_delay_alu instid0(VALU_DEP_4) | instskip(NEXT) | instid1(VALU_DEP_2)
	v_add3_u32 v11, v11, v21, v20
                                        ; implicit-def: $sgpr23
                                        ; implicit-def: $sgpr24
                                        ; implicit-def: $sgpr25
                                        ; implicit-def: $sgpr26
                                        ; implicit-def: $sgpr27
	v_add3_u32 v15, v15, v23, v22
	s_delay_alu instid0(VALU_DEP_2) | instskip(NEXT) | instid1(VALU_DEP_2)
	v_lshlrev_b64 v[10:11], 2, v[10:11]
	v_lshlrev_b64 v[14:15], 2, v[14:15]
	s_delay_alu instid0(VALU_DEP_2) | instskip(NEXT) | instid1(VALU_DEP_3)
	v_add_co_u32 v10, vcc_lo, s10, v10
	v_add_co_ci_u32_e32 v11, vcc_lo, s11, v11, vcc_lo
	s_delay_alu instid0(VALU_DEP_3) | instskip(NEXT) | instid1(VALU_DEP_4)
	v_add_co_u32 v14, vcc_lo, s10, v14
	v_add_co_ci_u32_e32 v15, vcc_lo, s11, v15, vcc_lo
	s_set_inst_prefetch_distance 0x1
	s_branch .LBB390_171
	.p2align	6
.LBB390_170:                            ;   in Loop: Header=BB390_171 Depth=1
	s_or_b32 exec_lo, exec_lo, s0
	s_delay_alu instid0(SALU_CYCLE_1) | instskip(NEXT) | instid1(SALU_CYCLE_1)
	s_and_b32 s0, exec_lo, s24
	s_or_b32 s22, s0, s22
	s_and_not1_b32 s0, s27, exec_lo
	s_and_b32 s27, s26, exec_lo
	s_and_not1_b32 s23, s23, exec_lo
	s_and_b32 s28, s25, exec_lo
	s_or_b32 s27, s0, s27
	s_or_b32 s23, s23, s28
	s_and_not1_b32 exec_lo, exec_lo, s22
	s_cbranch_execz .LBB390_173
.LBB390_171:                            ; =>This Inner Loop Header: Depth=1
	global_load_b32 v20, v[10:11], off
	global_load_b32 v21, v[14:15], off
	s_and_not1_b32 s25, s25, exec_lo
	s_and_not1_b32 s26, s26, exec_lo
	s_or_b32 s24, s24, exec_lo
	s_waitcnt vmcnt(0)
	v_cmp_le_i32_e32 vcc_lo, v20, v21
	v_cmp_lt_i32_e64 s0, v20, v21
	s_and_b32 s28, vcc_lo, s27
	s_delay_alu instid0(VALU_DEP_1) | instid1(SALU_CYCLE_1)
	s_or_b32 s28, s0, s28
	s_delay_alu instid0(SALU_CYCLE_1) | instskip(NEXT) | instid1(SALU_CYCLE_1)
	s_and_b32 s0, s28, exec_lo
	s_or_b32 s25, s25, s0
	s_mov_b32 s0, exec_lo
	v_cmpx_eq_u32_e64 v20, v21
	s_cbranch_execz .LBB390_170
; %bb.172:                              ;   in Loop: Header=BB390_171 Depth=1
	s_add_u32 s20, s20, -1
	s_addc_u32 s21, s21, -1
	v_add_co_u32 v10, vcc_lo, v10, 4
	s_cmp_eq_u64 s[20:21], 0
	v_add_co_ci_u32_e32 v11, vcc_lo, 0, v11, vcc_lo
	v_add_co_u32 v14, vcc_lo, v14, 4
	s_cselect_b32 s27, -1, 0
	v_add_co_ci_u32_e32 v15, vcc_lo, 0, v15, vcc_lo
	s_and_not1_b32 s26, s26, exec_lo
	s_and_b32 s28, s28, exec_lo
	s_and_not1_b32 s24, s24, exec_lo
	s_and_b32 s27, s27, exec_lo
	s_or_b32 s26, s26, s28
	s_and_not1_b32 s25, s25, exec_lo
	s_or_b32 s24, s24, s27
                                        ; implicit-def: $sgpr27
	s_branch .LBB390_170
.LBB390_173:
	s_set_inst_prefetch_distance 0x2
	s_or_b32 exec_lo, exec_lo, s22
	v_cndmask_b32_e64 v7, v7, v9, s23
	v_cndmask_b32_e64 v6, v6, v8, s23
.LBB390_174:
	s_delay_alu instid0(VALU_DEP_1)
	v_dual_mov_b32 v9, v7 :: v_dual_mov_b32 v8, v6
.LBB390_175:
	s_or_b32 exec_lo, exec_lo, s19
	s_delay_alu instid0(VALU_DEP_1)
	v_dual_mov_b32 v6, v8 :: v_dual_mov_b32 v7, v9
.LBB390_176:
	s_or_b32 exec_lo, exec_lo, s12
.LBB390_177:
	s_delay_alu instid0(SALU_CYCLE_1) | instskip(SKIP_3) | instid1(VALU_DEP_2)
	s_or_b32 exec_lo, exec_lo, s1
	v_and_b32_e32 v22, 0x60, v18
	v_and_b32_e32 v9, 28, v18
	s_mov_b32 s1, exec_lo
	; wave barrier
	v_or_b32_e32 v8, 16, v22
	s_delay_alu instid0(VALU_DEP_2) | instskip(SKIP_4) | instid1(VALU_DEP_1)
	v_min_u32_e32 v23, v17, v9
	v_lshl_add_u32 v21, v22, 3, v16
	ds_store_b128 v19, v[0:3]
	ds_store_b128 v19, v[4:7] offset:16
	v_min_u32_e32 v14, v17, v8
	; wave barrier
	v_add_nc_u32_e32 v8, 16, v14
	v_sub_nc_u32_e32 v9, v14, v22
	s_delay_alu instid0(VALU_DEP_2) | instskip(NEXT) | instid1(VALU_DEP_2)
	v_min_u32_e32 v15, v17, v8
	v_min_u32_e32 v24, v23, v9
	s_delay_alu instid0(VALU_DEP_2) | instskip(NEXT) | instid1(VALU_DEP_1)
	v_sub_nc_u32_e32 v8, v15, v14
	v_sub_nc_u32_e64 v20, v23, v8 clamp
	s_delay_alu instid0(VALU_DEP_1)
	v_cmpx_lt_u32_e64 v20, v24
	s_cbranch_execz .LBB390_187
; %bb.178:
	v_lshlrev_b32_e32 v8, 3, v14
	v_lshlrev_b32_e32 v9, 3, v23
	s_lshl_b64 s[20:21], s[8:9], 2
	s_mov_b32 s12, 0
	s_delay_alu instid0(VALU_DEP_1)
	v_add3_u32 v25, v16, v8, v9
	s_branch .LBB390_181
.LBB390_179:                            ;   in Loop: Header=BB390_181 Depth=1
	s_set_inst_prefetch_distance 0x2
	s_or_b32 exec_lo, exec_lo, s19
.LBB390_180:                            ;   in Loop: Header=BB390_181 Depth=1
	s_delay_alu instid0(VALU_DEP_1) | instskip(SKIP_1) | instid1(VALU_DEP_2)
	v_add_nc_u32_e32 v8, 1, v40
	v_cndmask_b32_e64 v24, v24, v40, s24
	v_cndmask_b32_e64 v20, v8, v20, s24
	s_delay_alu instid0(VALU_DEP_1) | instskip(SKIP_1) | instid1(SALU_CYCLE_1)
	v_cmp_ge_u32_e32 vcc_lo, v20, v24
	s_or_b32 s12, vcc_lo, s12
	s_and_not1_b32 exec_lo, exec_lo, s12
	s_cbranch_execz .LBB390_186
.LBB390_181:                            ; =>This Loop Header: Depth=1
                                        ;     Child Loop BB390_184 Depth 2
	v_add_nc_u32_e32 v8, v24, v20
	s_and_not1_b32 vcc_lo, exec_lo, s7
	s_mov_b32 s24, 0
	s_delay_alu instid0(VALU_DEP_1)
	v_lshrrev_b32_e32 v40, 1, v8
	s_cbranch_vccnz .LBB390_180
; %bb.182:                              ;   in Loop: Header=BB390_181 Depth=1
	s_delay_alu instid0(VALU_DEP_1) | instskip(SKIP_3) | instid1(VALU_DEP_2)
	v_not_b32_e32 v8, v40
	v_lshl_add_u32 v9, v40, 3, v21
	s_mov_b32 s19, 0
	s_mov_b64 s[22:23], s[8:9]
                                        ; implicit-def: $sgpr24
                                        ; implicit-def: $sgpr25
                                        ; implicit-def: $sgpr26
                                        ; implicit-def: $sgpr27
                                        ; implicit-def: $sgpr28
	v_lshl_add_u32 v8, v8, 3, v25
	ds_load_b64 v[10:11], v8
	ds_load_b64 v[41:42], v9
	s_waitcnt lgkmcnt(1)
	v_mul_lo_u32 v43, s20, v11
	v_mul_lo_u32 v44, s21, v10
	v_mad_u64_u32 v[8:9], null, s20, v10, s[10:11]
	s_waitcnt lgkmcnt(0)
	v_mul_lo_u32 v42, s20, v42
	v_mul_lo_u32 v45, s21, v41
	v_mad_u64_u32 v[10:11], null, s20, v41, s[10:11]
	s_delay_alu instid0(VALU_DEP_4) | instskip(NEXT) | instid1(VALU_DEP_2)
	v_add3_u32 v9, v44, v9, v43
	v_add3_u32 v11, v45, v11, v42
	s_set_inst_prefetch_distance 0x1
	s_branch .LBB390_184
	.p2align	6
.LBB390_183:                            ;   in Loop: Header=BB390_184 Depth=2
	s_or_b32 exec_lo, exec_lo, s29
	s_delay_alu instid0(SALU_CYCLE_1) | instskip(NEXT) | instid1(SALU_CYCLE_1)
	s_and_b32 s0, exec_lo, s25
	s_or_b32 s19, s0, s19
	s_and_not1_b32 s0, s28, exec_lo
	s_and_b32 s28, s26, exec_lo
	s_and_not1_b32 s24, s24, exec_lo
	s_and_b32 s29, s27, exec_lo
	s_or_b32 s28, s0, s28
	s_or_b32 s24, s24, s29
	s_and_not1_b32 exec_lo, exec_lo, s19
	s_cbranch_execz .LBB390_179
.LBB390_184:                            ;   Parent Loop BB390_181 Depth=1
                                        ; =>  This Inner Loop Header: Depth=2
	global_load_b32 v41, v[8:9], off
	global_load_b32 v42, v[10:11], off
	s_and_not1_b32 s27, s27, exec_lo
	s_and_not1_b32 s26, s26, exec_lo
	s_or_b32 s25, s25, exec_lo
	s_waitcnt vmcnt(0)
	v_cmp_le_i32_e32 vcc_lo, v41, v42
	v_cmp_lt_i32_e64 s0, v41, v42
	s_and_b32 s29, vcc_lo, s28
	s_delay_alu instid0(VALU_DEP_1) | instid1(SALU_CYCLE_1)
	s_or_b32 s0, s0, s29
	s_delay_alu instid0(SALU_CYCLE_1) | instskip(NEXT) | instid1(SALU_CYCLE_1)
	s_and_b32 s29, s0, exec_lo
	s_or_b32 s27, s27, s29
	s_mov_b32 s29, exec_lo
	v_cmpx_eq_u32_e64 v41, v42
	s_cbranch_execz .LBB390_183
; %bb.185:                              ;   in Loop: Header=BB390_184 Depth=2
	s_add_u32 s22, s22, -1
	s_addc_u32 s23, s23, -1
	v_add_co_u32 v8, vcc_lo, v8, 4
	v_add_co_ci_u32_e32 v9, vcc_lo, 0, v9, vcc_lo
	s_cmp_eq_u64 s[22:23], 0
	v_add_co_u32 v10, vcc_lo, v10, 4
	s_cselect_b32 s28, -1, 0
	v_add_co_ci_u32_e32 v11, vcc_lo, 0, v11, vcc_lo
	s_and_not1_b32 s26, s26, exec_lo
	s_and_b32 s0, s0, exec_lo
	s_and_not1_b32 s25, s25, exec_lo
	s_and_b32 s28, s28, exec_lo
	s_and_not1_b32 s27, s27, exec_lo
	s_or_b32 s26, s26, s0
	s_or_b32 s25, s25, s28
                                        ; implicit-def: $sgpr28
	s_branch .LBB390_183
.LBB390_186:
	s_or_b32 exec_lo, exec_lo, s12
.LBB390_187:
	s_delay_alu instid0(SALU_CYCLE_1) | instskip(SKIP_2) | instid1(VALU_DEP_2)
	s_or_b32 exec_lo, exec_lo, s1
	v_add_nc_u32_e32 v9, v14, v23
	v_add_nc_u32_e32 v8, v20, v22
	v_sub_nc_u32_e32 v9, v9, v20
	s_delay_alu instid0(VALU_DEP_2) | instskip(NEXT) | instid1(VALU_DEP_2)
	v_cmp_le_u32_e32 vcc_lo, v8, v14
	v_cmp_le_u32_e64 s0, v9, v15
	s_delay_alu instid0(VALU_DEP_1) | instskip(NEXT) | instid1(SALU_CYCLE_1)
	s_or_b32 s0, vcc_lo, s0
	s_and_saveexec_b32 s1, s0
	s_cbranch_execz .LBB390_234
; %bb.188:
	v_cmp_ge_u32_e32 vcc_lo, v8, v14
	s_mov_b32 s12, exec_lo
                                        ; implicit-def: $vgpr0_vgpr1
	v_cmpx_lt_u32_e64 v8, v14
	s_cbranch_execz .LBB390_190
; %bb.189:
	v_lshl_add_u32 v0, v20, 3, v21
	ds_load_b64 v[0:1], v0
.LBB390_190:
	s_or_b32 exec_lo, exec_lo, s12
	v_cmp_ge_u32_e64 s12, v9, v15
	s_mov_b32 s19, exec_lo
                                        ; implicit-def: $vgpr4_vgpr5
	v_cmpx_lt_u32_e64 v9, v15
	s_cbranch_execz .LBB390_192
; %bb.191:
	v_lshl_add_u32 v2, v9, 3, v16
	ds_load_b64 v[4:5], v2
.LBB390_192:
	s_or_b32 exec_lo, exec_lo, s19
	s_or_b32 s0, vcc_lo, s12
	s_mov_b32 s19, -1
	s_xor_b32 s0, s0, -1
	s_delay_alu instid0(SALU_CYCLE_1)
	s_and_saveexec_b32 s22, s0
	s_cbranch_execz .LBB390_201
; %bb.193:
	s_and_not1_b32 vcc_lo, exec_lo, s7
	s_cbranch_vccnz .LBB390_199
; %bb.194:
	s_waitcnt lgkmcnt(0)
	v_mul_lo_u32 v10, v5, s8
	v_mul_lo_u32 v11, v4, s9
	v_mad_u64_u32 v[2:3], null, v4, s8, 0
	v_mul_lo_u32 v20, v1, s8
	v_mul_lo_u32 v21, v0, s9
	v_mad_u64_u32 v[6:7], null, v0, s8, 0
	s_mov_b32 s23, 0
	s_mov_b64 s[20:21], s[8:9]
	s_delay_alu instid0(VALU_DEP_4) | instskip(NEXT) | instid1(VALU_DEP_2)
	v_add3_u32 v3, v3, v11, v10
                                        ; implicit-def: $sgpr24
                                        ; implicit-def: $sgpr25
                                        ; implicit-def: $sgpr26
                                        ; implicit-def: $sgpr27
                                        ; implicit-def: $sgpr28
	v_add3_u32 v7, v7, v21, v20
	s_delay_alu instid0(VALU_DEP_2) | instskip(NEXT) | instid1(VALU_DEP_2)
	v_lshlrev_b64 v[2:3], 2, v[2:3]
	v_lshlrev_b64 v[6:7], 2, v[6:7]
	s_delay_alu instid0(VALU_DEP_2) | instskip(NEXT) | instid1(VALU_DEP_3)
	v_add_co_u32 v2, vcc_lo, s10, v2
	v_add_co_ci_u32_e32 v3, vcc_lo, s11, v3, vcc_lo
	s_delay_alu instid0(VALU_DEP_3) | instskip(NEXT) | instid1(VALU_DEP_4)
	v_add_co_u32 v6, vcc_lo, s10, v6
	v_add_co_ci_u32_e32 v7, vcc_lo, s11, v7, vcc_lo
	s_set_inst_prefetch_distance 0x1
	s_branch .LBB390_196
	.p2align	6
.LBB390_195:                            ;   in Loop: Header=BB390_196 Depth=1
	s_or_b32 exec_lo, exec_lo, s0
	s_delay_alu instid0(SALU_CYCLE_1) | instskip(NEXT) | instid1(SALU_CYCLE_1)
	s_and_b32 s0, exec_lo, s25
	s_or_b32 s23, s0, s23
	s_and_not1_b32 s0, s28, exec_lo
	s_and_b32 s28, s27, exec_lo
	s_and_not1_b32 s24, s24, exec_lo
	s_and_b32 s29, s26, exec_lo
	s_or_b32 s28, s0, s28
	s_or_b32 s24, s24, s29
	s_and_not1_b32 exec_lo, exec_lo, s23
	s_cbranch_execz .LBB390_198
.LBB390_196:                            ; =>This Inner Loop Header: Depth=1
	global_load_b32 v10, v[2:3], off
	global_load_b32 v11, v[6:7], off
	s_and_not1_b32 s26, s26, exec_lo
	s_and_not1_b32 s27, s27, exec_lo
	s_or_b32 s25, s25, exec_lo
	s_waitcnt vmcnt(0)
	v_cmp_le_i32_e32 vcc_lo, v10, v11
	v_cmp_lt_i32_e64 s0, v10, v11
	s_and_b32 s29, vcc_lo, s28
	s_delay_alu instid0(VALU_DEP_1) | instid1(SALU_CYCLE_1)
	s_or_b32 s29, s0, s29
	s_delay_alu instid0(SALU_CYCLE_1) | instskip(NEXT) | instid1(SALU_CYCLE_1)
	s_and_b32 s0, s29, exec_lo
	s_or_b32 s26, s26, s0
	s_mov_b32 s0, exec_lo
	v_cmpx_eq_u32_e64 v10, v11
	s_cbranch_execz .LBB390_195
; %bb.197:                              ;   in Loop: Header=BB390_196 Depth=1
	s_add_u32 s20, s20, -1
	s_addc_u32 s21, s21, -1
	v_add_co_u32 v2, vcc_lo, v2, 4
	s_cmp_eq_u64 s[20:21], 0
	v_add_co_ci_u32_e32 v3, vcc_lo, 0, v3, vcc_lo
	v_add_co_u32 v6, vcc_lo, v6, 4
	s_cselect_b32 s28, -1, 0
	v_add_co_ci_u32_e32 v7, vcc_lo, 0, v7, vcc_lo
	s_and_not1_b32 s27, s27, exec_lo
	s_and_b32 s29, s29, exec_lo
	s_and_not1_b32 s25, s25, exec_lo
	s_and_b32 s28, s28, exec_lo
	s_or_b32 s27, s27, s29
	s_and_not1_b32 s26, s26, exec_lo
	s_or_b32 s25, s25, s28
                                        ; implicit-def: $sgpr28
	s_branch .LBB390_195
.LBB390_198:
	s_set_inst_prefetch_distance 0x2
	s_or_b32 exec_lo, exec_lo, s23
	s_xor_b32 s0, s24, -1
	s_branch .LBB390_200
.LBB390_199:
	s_mov_b32 s0, -1
.LBB390_200:
	s_and_not1_b32 s12, s12, exec_lo
	s_and_b32 s0, s0, exec_lo
	s_delay_alu instid0(SALU_CYCLE_1)
	s_or_b32 s12, s12, s0
.LBB390_201:
	s_or_b32 exec_lo, exec_lo, s22
	v_cndmask_b32_e64 v2, v9, v8, s12
	v_cndmask_b32_e64 v3, v15, v14, s12
	s_mov_b32 s22, exec_lo
	s_delay_alu instid0(VALU_DEP_2) | instskip(NEXT) | instid1(VALU_DEP_2)
	v_add_nc_u32_e32 v6, 1, v2
	v_add_nc_u32_e32 v2, -1, v3
	s_delay_alu instid0(VALU_DEP_2) | instskip(NEXT) | instid1(VALU_DEP_2)
	v_cndmask_b32_e64 v9, v6, v9, s12
	v_min_u32_e32 v2, v6, v2
	v_cndmask_b32_e64 v8, v8, v6, s12
	s_delay_alu instid0(VALU_DEP_2)
	v_lshl_add_u32 v2, v2, 3, v16
	ds_load_b64 v[2:3], v2
	s_waitcnt lgkmcnt(0)
	v_cndmask_b32_e64 v10, v3, v5, s12
	v_cndmask_b32_e64 v11, v2, v4, s12
	v_cndmask_b32_e64 v20, v1, v3, s12
	v_cndmask_b32_e64 v21, v0, v2, s12
	v_cmpx_lt_u32_e64 v9, v15
	s_cbranch_execz .LBB390_212
; %bb.202:
	s_mov_b32 s0, 0
	s_mov_b32 s19, exec_lo
	v_cmpx_lt_u32_e64 v8, v14
	s_cbranch_execz .LBB390_211
; %bb.203:
	s_and_not1_b32 vcc_lo, exec_lo, s7
	s_cbranch_vccnz .LBB390_209
; %bb.204:
	v_mul_lo_u32 v22, v10, s8
	v_mul_lo_u32 v23, v11, s9
	v_mad_u64_u32 v[2:3], null, v11, s8, 0
	v_mul_lo_u32 v24, v20, s8
	v_mul_lo_u32 v25, v21, s9
	v_mad_u64_u32 v[6:7], null, v21, s8, 0
	s_mov_b32 s23, 0
	s_mov_b64 s[20:21], s[8:9]
	s_delay_alu instid0(VALU_DEP_4) | instskip(NEXT) | instid1(VALU_DEP_2)
	v_add3_u32 v3, v3, v23, v22
                                        ; implicit-def: $sgpr24
                                        ; implicit-def: $sgpr25
                                        ; implicit-def: $sgpr26
                                        ; implicit-def: $sgpr27
                                        ; implicit-def: $sgpr28
	v_add3_u32 v7, v7, v25, v24
	s_delay_alu instid0(VALU_DEP_2) | instskip(NEXT) | instid1(VALU_DEP_2)
	v_lshlrev_b64 v[2:3], 2, v[2:3]
	v_lshlrev_b64 v[6:7], 2, v[6:7]
	s_delay_alu instid0(VALU_DEP_2) | instskip(NEXT) | instid1(VALU_DEP_3)
	v_add_co_u32 v2, vcc_lo, s10, v2
	v_add_co_ci_u32_e32 v3, vcc_lo, s11, v3, vcc_lo
	s_delay_alu instid0(VALU_DEP_3) | instskip(NEXT) | instid1(VALU_DEP_4)
	v_add_co_u32 v6, vcc_lo, s10, v6
	v_add_co_ci_u32_e32 v7, vcc_lo, s11, v7, vcc_lo
	s_set_inst_prefetch_distance 0x1
	s_branch .LBB390_206
	.p2align	6
.LBB390_205:                            ;   in Loop: Header=BB390_206 Depth=1
	s_or_b32 exec_lo, exec_lo, s0
	s_delay_alu instid0(SALU_CYCLE_1) | instskip(NEXT) | instid1(SALU_CYCLE_1)
	s_and_b32 s0, exec_lo, s25
	s_or_b32 s23, s0, s23
	s_and_not1_b32 s0, s28, exec_lo
	s_and_b32 s28, s27, exec_lo
	s_and_not1_b32 s24, s24, exec_lo
	s_and_b32 s29, s26, exec_lo
	s_or_b32 s28, s0, s28
	s_or_b32 s24, s24, s29
	s_and_not1_b32 exec_lo, exec_lo, s23
	s_cbranch_execz .LBB390_208
.LBB390_206:                            ; =>This Inner Loop Header: Depth=1
	global_load_b32 v22, v[2:3], off
	global_load_b32 v23, v[6:7], off
	s_and_not1_b32 s26, s26, exec_lo
	s_and_not1_b32 s27, s27, exec_lo
	s_or_b32 s25, s25, exec_lo
	s_waitcnt vmcnt(0)
	v_cmp_le_i32_e32 vcc_lo, v22, v23
	v_cmp_lt_i32_e64 s0, v22, v23
	s_and_b32 s29, vcc_lo, s28
	s_delay_alu instid0(VALU_DEP_1) | instid1(SALU_CYCLE_1)
	s_or_b32 s29, s0, s29
	s_delay_alu instid0(SALU_CYCLE_1) | instskip(NEXT) | instid1(SALU_CYCLE_1)
	s_and_b32 s0, s29, exec_lo
	s_or_b32 s26, s26, s0
	s_mov_b32 s0, exec_lo
	v_cmpx_eq_u32_e64 v22, v23
	s_cbranch_execz .LBB390_205
; %bb.207:                              ;   in Loop: Header=BB390_206 Depth=1
	s_add_u32 s20, s20, -1
	s_addc_u32 s21, s21, -1
	v_add_co_u32 v2, vcc_lo, v2, 4
	s_cmp_eq_u64 s[20:21], 0
	v_add_co_ci_u32_e32 v3, vcc_lo, 0, v3, vcc_lo
	v_add_co_u32 v6, vcc_lo, v6, 4
	s_cselect_b32 s28, -1, 0
	v_add_co_ci_u32_e32 v7, vcc_lo, 0, v7, vcc_lo
	s_and_not1_b32 s27, s27, exec_lo
	s_and_b32 s29, s29, exec_lo
	s_and_not1_b32 s25, s25, exec_lo
	s_and_b32 s28, s28, exec_lo
	s_or_b32 s27, s27, s29
	s_and_not1_b32 s26, s26, exec_lo
	s_or_b32 s25, s25, s28
                                        ; implicit-def: $sgpr28
	s_branch .LBB390_205
.LBB390_208:
	s_set_inst_prefetch_distance 0x2
	s_or_b32 exec_lo, exec_lo, s23
	s_xor_b32 s0, s24, -1
	s_branch .LBB390_210
.LBB390_209:
	s_mov_b32 s0, -1
.LBB390_210:
	s_delay_alu instid0(SALU_CYCLE_1)
	s_and_b32 s0, s0, exec_lo
.LBB390_211:
	s_or_b32 exec_lo, exec_lo, s19
	s_delay_alu instid0(SALU_CYCLE_1)
	s_or_not1_b32 s19, s0, exec_lo
.LBB390_212:
	s_or_b32 exec_lo, exec_lo, s22
	v_cndmask_b32_e64 v2, v9, v8, s19
	v_cndmask_b32_e64 v3, v15, v14, s19
	s_mov_b32 s0, -1
	s_mov_b32 s22, exec_lo
	s_delay_alu instid0(VALU_DEP_2) | instskip(NEXT) | instid1(VALU_DEP_2)
	v_add_nc_u32_e32 v6, 1, v2
	v_add_nc_u32_e32 v2, -1, v3
	s_delay_alu instid0(VALU_DEP_2) | instskip(NEXT) | instid1(VALU_DEP_2)
	v_cndmask_b32_e64 v25, v6, v9, s19
	v_min_u32_e32 v2, v6, v2
	v_cndmask_b32_e64 v22, v8, v6, s19
	s_delay_alu instid0(VALU_DEP_2)
	v_lshl_add_u32 v2, v2, 3, v16
	ds_load_b64 v[2:3], v2
	s_waitcnt lgkmcnt(0)
	v_cndmask_b32_e64 v23, v3, v10, s19
	v_cndmask_b32_e64 v24, v2, v11, s19
	;; [unrolled: 1-line block ×4, first 2 shown]
	v_cmpx_lt_u32_e64 v25, v15
	s_cbranch_execz .LBB390_223
; %bb.213:
	s_mov_b32 s0, 0
	s_mov_b32 s23, exec_lo
	v_cmpx_lt_u32_e64 v22, v14
	s_cbranch_execz .LBB390_222
; %bb.214:
	s_and_not1_b32 vcc_lo, exec_lo, s7
	s_cbranch_vccnz .LBB390_220
; %bb.215:
	v_mul_lo_u32 v8, v23, s8
	v_mul_lo_u32 v9, v24, s9
	v_mad_u64_u32 v[2:3], null, v24, s8, 0
	v_mul_lo_u32 v42, v40, s8
	v_mul_lo_u32 v43, v41, s9
	v_mad_u64_u32 v[6:7], null, v41, s8, 0
	s_mov_b32 s24, 0
	s_mov_b64 s[20:21], s[8:9]
	s_delay_alu instid0(VALU_DEP_4) | instskip(NEXT) | instid1(VALU_DEP_2)
	v_add3_u32 v3, v3, v9, v8
                                        ; implicit-def: $sgpr25
                                        ; implicit-def: $sgpr26
                                        ; implicit-def: $sgpr27
                                        ; implicit-def: $sgpr28
                                        ; implicit-def: $sgpr29
	v_add3_u32 v7, v7, v43, v42
	s_delay_alu instid0(VALU_DEP_2) | instskip(NEXT) | instid1(VALU_DEP_2)
	v_lshlrev_b64 v[2:3], 2, v[2:3]
	v_lshlrev_b64 v[6:7], 2, v[6:7]
	s_delay_alu instid0(VALU_DEP_2) | instskip(NEXT) | instid1(VALU_DEP_3)
	v_add_co_u32 v2, vcc_lo, s10, v2
	v_add_co_ci_u32_e32 v3, vcc_lo, s11, v3, vcc_lo
	s_delay_alu instid0(VALU_DEP_3) | instskip(NEXT) | instid1(VALU_DEP_4)
	v_add_co_u32 v6, vcc_lo, s10, v6
	v_add_co_ci_u32_e32 v7, vcc_lo, s11, v7, vcc_lo
	s_set_inst_prefetch_distance 0x1
	s_branch .LBB390_217
	.p2align	6
.LBB390_216:                            ;   in Loop: Header=BB390_217 Depth=1
	s_or_b32 exec_lo, exec_lo, s0
	s_delay_alu instid0(SALU_CYCLE_1) | instskip(NEXT) | instid1(SALU_CYCLE_1)
	s_and_b32 s0, exec_lo, s26
	s_or_b32 s24, s0, s24
	s_and_not1_b32 s0, s29, exec_lo
	s_and_b32 s29, s28, exec_lo
	s_and_not1_b32 s25, s25, exec_lo
	s_and_b32 s30, s27, exec_lo
	s_or_b32 s29, s0, s29
	s_or_b32 s25, s25, s30
	s_and_not1_b32 exec_lo, exec_lo, s24
	s_cbranch_execz .LBB390_219
.LBB390_217:                            ; =>This Inner Loop Header: Depth=1
	global_load_b32 v8, v[2:3], off
	global_load_b32 v9, v[6:7], off
	s_and_not1_b32 s27, s27, exec_lo
	s_and_not1_b32 s28, s28, exec_lo
	s_or_b32 s26, s26, exec_lo
	s_waitcnt vmcnt(0)
	v_cmp_le_i32_e32 vcc_lo, v8, v9
	v_cmp_lt_i32_e64 s0, v8, v9
	s_and_b32 s30, vcc_lo, s29
	s_delay_alu instid0(VALU_DEP_1) | instid1(SALU_CYCLE_1)
	s_or_b32 s30, s0, s30
	s_delay_alu instid0(SALU_CYCLE_1) | instskip(NEXT) | instid1(SALU_CYCLE_1)
	s_and_b32 s0, s30, exec_lo
	s_or_b32 s27, s27, s0
	s_mov_b32 s0, exec_lo
	v_cmpx_eq_u32_e64 v8, v9
	s_cbranch_execz .LBB390_216
; %bb.218:                              ;   in Loop: Header=BB390_217 Depth=1
	s_add_u32 s20, s20, -1
	s_addc_u32 s21, s21, -1
	v_add_co_u32 v2, vcc_lo, v2, 4
	s_cmp_eq_u64 s[20:21], 0
	v_add_co_ci_u32_e32 v3, vcc_lo, 0, v3, vcc_lo
	v_add_co_u32 v6, vcc_lo, v6, 4
	s_cselect_b32 s29, -1, 0
	v_add_co_ci_u32_e32 v7, vcc_lo, 0, v7, vcc_lo
	s_and_not1_b32 s28, s28, exec_lo
	s_and_b32 s30, s30, exec_lo
	s_and_not1_b32 s26, s26, exec_lo
	s_and_b32 s29, s29, exec_lo
	s_or_b32 s28, s28, s30
	s_and_not1_b32 s27, s27, exec_lo
	s_or_b32 s26, s26, s29
                                        ; implicit-def: $sgpr29
	s_branch .LBB390_216
.LBB390_219:
	s_set_inst_prefetch_distance 0x2
	s_or_b32 exec_lo, exec_lo, s24
	s_xor_b32 s0, s25, -1
	s_branch .LBB390_221
.LBB390_220:
	s_mov_b32 s0, -1
.LBB390_221:
	s_delay_alu instid0(SALU_CYCLE_1)
	s_and_b32 s0, s0, exec_lo
.LBB390_222:
	s_or_b32 exec_lo, exec_lo, s23
	s_delay_alu instid0(SALU_CYCLE_1)
	s_or_not1_b32 s0, s0, exec_lo
.LBB390_223:
	s_or_b32 exec_lo, exec_lo, s22
	v_cndmask_b32_e64 v2, v25, v22, s0
	v_cndmask_b32_e64 v3, v15, v14, s0
	;; [unrolled: 1-line block ×5, first 2 shown]
	v_add_nc_u32_e32 v42, 1, v2
	v_add_nc_u32_e32 v2, -1, v3
	v_cndmask_b32_e64 v3, v10, v20, s19
	v_cndmask_b32_e64 v4, v24, v41, s0
	s_mov_b32 s12, exec_lo
	v_cndmask_b32_e64 v10, v42, v25, s0
	v_min_u32_e32 v2, v42, v2
	s_delay_alu instid0(VALU_DEP_1)
	v_lshl_add_u32 v2, v2, 3, v16
	ds_load_b64 v[8:9], v2
	v_cndmask_b32_e64 v2, v11, v21, s19
	s_waitcnt lgkmcnt(0)
	v_cndmask_b32_e64 v7, v40, v9, s0
	v_cndmask_b32_e64 v6, v41, v8, s0
	v_cmpx_lt_u32_e64 v10, v15
	s_cbranch_execz .LBB390_233
; %bb.224:
	v_cndmask_b32_e64 v10, v22, v42, s0
	v_cndmask_b32_e64 v9, v9, v23, s0
	;; [unrolled: 1-line block ×3, first 2 shown]
	s_mov_b32 s19, exec_lo
	s_delay_alu instid0(VALU_DEP_3)
	v_cmpx_lt_u32_e64 v10, v14
	s_cbranch_execz .LBB390_232
; %bb.225:
	s_and_not1_b32 vcc_lo, exec_lo, s7
	s_cbranch_vccnz .LBB390_231
; %bb.226:
	v_mul_lo_u32 v20, v9, s8
	v_mul_lo_u32 v21, v8, s9
	v_mad_u64_u32 v[10:11], null, v8, s8, 0
	v_mul_lo_u32 v22, v7, s8
	v_mul_lo_u32 v23, v6, s9
	v_mad_u64_u32 v[14:15], null, v6, s8, 0
	s_mov_b32 s22, 0
	s_mov_b64 s[20:21], s[8:9]
	s_delay_alu instid0(VALU_DEP_4) | instskip(NEXT) | instid1(VALU_DEP_2)
	v_add3_u32 v11, v11, v21, v20
                                        ; implicit-def: $sgpr23
                                        ; implicit-def: $sgpr24
                                        ; implicit-def: $sgpr25
                                        ; implicit-def: $sgpr26
                                        ; implicit-def: $sgpr27
	v_add3_u32 v15, v15, v23, v22
	s_delay_alu instid0(VALU_DEP_2) | instskip(NEXT) | instid1(VALU_DEP_2)
	v_lshlrev_b64 v[10:11], 2, v[10:11]
	v_lshlrev_b64 v[14:15], 2, v[14:15]
	s_delay_alu instid0(VALU_DEP_2) | instskip(NEXT) | instid1(VALU_DEP_3)
	v_add_co_u32 v10, vcc_lo, s10, v10
	v_add_co_ci_u32_e32 v11, vcc_lo, s11, v11, vcc_lo
	s_delay_alu instid0(VALU_DEP_3) | instskip(NEXT) | instid1(VALU_DEP_4)
	v_add_co_u32 v14, vcc_lo, s10, v14
	v_add_co_ci_u32_e32 v15, vcc_lo, s11, v15, vcc_lo
	s_set_inst_prefetch_distance 0x1
	s_branch .LBB390_228
	.p2align	6
.LBB390_227:                            ;   in Loop: Header=BB390_228 Depth=1
	s_or_b32 exec_lo, exec_lo, s0
	s_delay_alu instid0(SALU_CYCLE_1) | instskip(NEXT) | instid1(SALU_CYCLE_1)
	s_and_b32 s0, exec_lo, s24
	s_or_b32 s22, s0, s22
	s_and_not1_b32 s0, s27, exec_lo
	s_and_b32 s27, s26, exec_lo
	s_and_not1_b32 s23, s23, exec_lo
	s_and_b32 s28, s25, exec_lo
	s_or_b32 s27, s0, s27
	s_or_b32 s23, s23, s28
	s_and_not1_b32 exec_lo, exec_lo, s22
	s_cbranch_execz .LBB390_230
.LBB390_228:                            ; =>This Inner Loop Header: Depth=1
	global_load_b32 v20, v[10:11], off
	global_load_b32 v21, v[14:15], off
	s_and_not1_b32 s25, s25, exec_lo
	s_and_not1_b32 s26, s26, exec_lo
	s_or_b32 s24, s24, exec_lo
	s_waitcnt vmcnt(0)
	v_cmp_le_i32_e32 vcc_lo, v20, v21
	v_cmp_lt_i32_e64 s0, v20, v21
	s_and_b32 s28, vcc_lo, s27
	s_delay_alu instid0(VALU_DEP_1) | instid1(SALU_CYCLE_1)
	s_or_b32 s28, s0, s28
	s_delay_alu instid0(SALU_CYCLE_1) | instskip(NEXT) | instid1(SALU_CYCLE_1)
	s_and_b32 s0, s28, exec_lo
	s_or_b32 s25, s25, s0
	s_mov_b32 s0, exec_lo
	v_cmpx_eq_u32_e64 v20, v21
	s_cbranch_execz .LBB390_227
; %bb.229:                              ;   in Loop: Header=BB390_228 Depth=1
	s_add_u32 s20, s20, -1
	s_addc_u32 s21, s21, -1
	v_add_co_u32 v10, vcc_lo, v10, 4
	s_cmp_eq_u64 s[20:21], 0
	v_add_co_ci_u32_e32 v11, vcc_lo, 0, v11, vcc_lo
	v_add_co_u32 v14, vcc_lo, v14, 4
	s_cselect_b32 s27, -1, 0
	v_add_co_ci_u32_e32 v15, vcc_lo, 0, v15, vcc_lo
	s_and_not1_b32 s26, s26, exec_lo
	s_and_b32 s28, s28, exec_lo
	s_and_not1_b32 s24, s24, exec_lo
	s_and_b32 s27, s27, exec_lo
	s_or_b32 s26, s26, s28
	s_and_not1_b32 s25, s25, exec_lo
	s_or_b32 s24, s24, s27
                                        ; implicit-def: $sgpr27
	s_branch .LBB390_227
.LBB390_230:
	s_set_inst_prefetch_distance 0x2
	s_or_b32 exec_lo, exec_lo, s22
	v_cndmask_b32_e64 v7, v7, v9, s23
	v_cndmask_b32_e64 v6, v6, v8, s23
.LBB390_231:
	s_delay_alu instid0(VALU_DEP_1)
	v_dual_mov_b32 v9, v7 :: v_dual_mov_b32 v8, v6
.LBB390_232:
	s_or_b32 exec_lo, exec_lo, s19
	s_delay_alu instid0(VALU_DEP_1)
	v_dual_mov_b32 v6, v8 :: v_dual_mov_b32 v7, v9
.LBB390_233:
	s_or_b32 exec_lo, exec_lo, s12
.LBB390_234:
	s_delay_alu instid0(SALU_CYCLE_1) | instskip(SKIP_3) | instid1(VALU_DEP_2)
	s_or_b32 exec_lo, exec_lo, s1
	v_and_b32_e32 v20, 64, v18
	v_and_b32_e32 v9, 60, v18
	s_mov_b32 s1, exec_lo
	; wave barrier
	v_or_b32_e32 v8, 32, v20
	s_delay_alu instid0(VALU_DEP_2) | instskip(SKIP_4) | instid1(VALU_DEP_1)
	v_min_u32_e32 v21, v17, v9
	v_lshl_add_u32 v18, v20, 3, v16
	ds_store_b128 v19, v[0:3]
	ds_store_b128 v19, v[4:7] offset:16
	v_min_u32_e32 v14, v17, v8
	; wave barrier
	v_add_nc_u32_e32 v8, 32, v14
	v_sub_nc_u32_e32 v9, v14, v20
	s_delay_alu instid0(VALU_DEP_2) | instskip(NEXT) | instid1(VALU_DEP_2)
	v_min_u32_e32 v15, v17, v8
	v_min_u32_e32 v22, v21, v9
	s_delay_alu instid0(VALU_DEP_2) | instskip(NEXT) | instid1(VALU_DEP_1)
	v_sub_nc_u32_e32 v8, v15, v14
	v_sub_nc_u32_e64 v17, v21, v8 clamp
	s_delay_alu instid0(VALU_DEP_1)
	v_cmpx_lt_u32_e64 v17, v22
	s_cbranch_execz .LBB390_244
; %bb.235:
	v_lshlrev_b32_e32 v8, 3, v14
	v_lshlrev_b32_e32 v9, 3, v21
	s_lshl_b64 s[20:21], s[8:9], 2
	s_mov_b32 s12, 0
	s_delay_alu instid0(VALU_DEP_1)
	v_add3_u32 v19, v16, v8, v9
	s_branch .LBB390_238
.LBB390_236:                            ;   in Loop: Header=BB390_238 Depth=1
	s_set_inst_prefetch_distance 0x2
	s_or_b32 exec_lo, exec_lo, s19
.LBB390_237:                            ;   in Loop: Header=BB390_238 Depth=1
	s_delay_alu instid0(VALU_DEP_1) | instskip(SKIP_1) | instid1(VALU_DEP_2)
	v_add_nc_u32_e32 v8, 1, v23
	v_cndmask_b32_e64 v22, v22, v23, s24
	v_cndmask_b32_e64 v17, v8, v17, s24
	s_delay_alu instid0(VALU_DEP_1) | instskip(SKIP_1) | instid1(SALU_CYCLE_1)
	v_cmp_ge_u32_e32 vcc_lo, v17, v22
	s_or_b32 s12, vcc_lo, s12
	s_and_not1_b32 exec_lo, exec_lo, s12
	s_cbranch_execz .LBB390_243
.LBB390_238:                            ; =>This Loop Header: Depth=1
                                        ;     Child Loop BB390_241 Depth 2
	v_add_nc_u32_e32 v8, v22, v17
	s_and_not1_b32 vcc_lo, exec_lo, s7
	s_mov_b32 s24, 0
	s_delay_alu instid0(VALU_DEP_1)
	v_lshrrev_b32_e32 v23, 1, v8
	s_cbranch_vccnz .LBB390_237
; %bb.239:                              ;   in Loop: Header=BB390_238 Depth=1
	s_delay_alu instid0(VALU_DEP_1) | instskip(SKIP_3) | instid1(VALU_DEP_2)
	v_not_b32_e32 v8, v23
	v_lshl_add_u32 v9, v23, 3, v18
	s_mov_b32 s19, 0
	s_mov_b64 s[22:23], s[8:9]
                                        ; implicit-def: $sgpr24
                                        ; implicit-def: $sgpr25
                                        ; implicit-def: $sgpr26
                                        ; implicit-def: $sgpr27
                                        ; implicit-def: $sgpr28
	v_lshl_add_u32 v8, v8, 3, v19
	ds_load_b64 v[10:11], v8
	ds_load_b64 v[24:25], v9
	s_waitcnt lgkmcnt(1)
	v_mul_lo_u32 v40, s20, v11
	v_mul_lo_u32 v41, s21, v10
	v_mad_u64_u32 v[8:9], null, s20, v10, s[10:11]
	s_waitcnt lgkmcnt(0)
	v_mul_lo_u32 v25, s20, v25
	v_mul_lo_u32 v42, s21, v24
	v_mad_u64_u32 v[10:11], null, s20, v24, s[10:11]
	s_delay_alu instid0(VALU_DEP_4) | instskip(NEXT) | instid1(VALU_DEP_2)
	v_add3_u32 v9, v41, v9, v40
	v_add3_u32 v11, v42, v11, v25
	s_set_inst_prefetch_distance 0x1
	s_branch .LBB390_241
	.p2align	6
.LBB390_240:                            ;   in Loop: Header=BB390_241 Depth=2
	s_or_b32 exec_lo, exec_lo, s29
	s_delay_alu instid0(SALU_CYCLE_1) | instskip(NEXT) | instid1(SALU_CYCLE_1)
	s_and_b32 s0, exec_lo, s25
	s_or_b32 s19, s0, s19
	s_and_not1_b32 s0, s28, exec_lo
	s_and_b32 s28, s26, exec_lo
	s_and_not1_b32 s24, s24, exec_lo
	s_and_b32 s29, s27, exec_lo
	s_or_b32 s28, s0, s28
	s_or_b32 s24, s24, s29
	s_and_not1_b32 exec_lo, exec_lo, s19
	s_cbranch_execz .LBB390_236
.LBB390_241:                            ;   Parent Loop BB390_238 Depth=1
                                        ; =>  This Inner Loop Header: Depth=2
	global_load_b32 v24, v[8:9], off
	global_load_b32 v25, v[10:11], off
	s_and_not1_b32 s27, s27, exec_lo
	s_and_not1_b32 s26, s26, exec_lo
	s_or_b32 s25, s25, exec_lo
	s_waitcnt vmcnt(0)
	v_cmp_le_i32_e32 vcc_lo, v24, v25
	v_cmp_lt_i32_e64 s0, v24, v25
	s_and_b32 s29, vcc_lo, s28
	s_delay_alu instid0(VALU_DEP_1) | instid1(SALU_CYCLE_1)
	s_or_b32 s0, s0, s29
	s_delay_alu instid0(SALU_CYCLE_1) | instskip(NEXT) | instid1(SALU_CYCLE_1)
	s_and_b32 s29, s0, exec_lo
	s_or_b32 s27, s27, s29
	s_mov_b32 s29, exec_lo
	v_cmpx_eq_u32_e64 v24, v25
	s_cbranch_execz .LBB390_240
; %bb.242:                              ;   in Loop: Header=BB390_241 Depth=2
	s_add_u32 s22, s22, -1
	s_addc_u32 s23, s23, -1
	v_add_co_u32 v8, vcc_lo, v8, 4
	v_add_co_ci_u32_e32 v9, vcc_lo, 0, v9, vcc_lo
	s_cmp_eq_u64 s[22:23], 0
	v_add_co_u32 v10, vcc_lo, v10, 4
	s_cselect_b32 s28, -1, 0
	v_add_co_ci_u32_e32 v11, vcc_lo, 0, v11, vcc_lo
	s_and_not1_b32 s26, s26, exec_lo
	s_and_b32 s0, s0, exec_lo
	s_and_not1_b32 s25, s25, exec_lo
	s_and_b32 s28, s28, exec_lo
	s_and_not1_b32 s27, s27, exec_lo
	s_or_b32 s26, s26, s0
	s_or_b32 s25, s25, s28
                                        ; implicit-def: $sgpr28
	s_branch .LBB390_240
.LBB390_243:
	s_or_b32 exec_lo, exec_lo, s12
.LBB390_244:
	s_delay_alu instid0(SALU_CYCLE_1) | instskip(SKIP_2) | instid1(VALU_DEP_2)
	s_or_b32 exec_lo, exec_lo, s1
	v_add_nc_u32_e32 v9, v14, v21
	v_add_nc_u32_e32 v8, v17, v20
	v_sub_nc_u32_e32 v9, v9, v17
	s_delay_alu instid0(VALU_DEP_2) | instskip(NEXT) | instid1(VALU_DEP_2)
	v_cmp_le_u32_e32 vcc_lo, v8, v14
	v_cmp_le_u32_e64 s0, v9, v15
	s_delay_alu instid0(VALU_DEP_1) | instskip(NEXT) | instid1(SALU_CYCLE_1)
	s_or_b32 s0, vcc_lo, s0
	s_and_saveexec_b32 s1, s0
	s_cbranch_execz .LBB390_291
; %bb.245:
	v_cmp_ge_u32_e32 vcc_lo, v8, v14
	s_mov_b32 s12, exec_lo
                                        ; implicit-def: $vgpr0_vgpr1
	v_cmpx_lt_u32_e64 v8, v14
	s_cbranch_execz .LBB390_247
; %bb.246:
	v_lshl_add_u32 v0, v17, 3, v18
	ds_load_b64 v[0:1], v0
.LBB390_247:
	s_or_b32 exec_lo, exec_lo, s12
	v_cmp_ge_u32_e64 s12, v9, v15
	s_mov_b32 s19, exec_lo
                                        ; implicit-def: $vgpr4_vgpr5
	v_cmpx_lt_u32_e64 v9, v15
	s_cbranch_execz .LBB390_249
; %bb.248:
	v_lshl_add_u32 v2, v9, 3, v16
	ds_load_b64 v[4:5], v2
.LBB390_249:
	s_or_b32 exec_lo, exec_lo, s19
	s_or_b32 s0, vcc_lo, s12
	s_mov_b32 s19, -1
	s_xor_b32 s0, s0, -1
	s_delay_alu instid0(SALU_CYCLE_1)
	s_and_saveexec_b32 s22, s0
	s_cbranch_execz .LBB390_258
; %bb.250:
	s_and_not1_b32 vcc_lo, exec_lo, s7
	s_cbranch_vccnz .LBB390_256
; %bb.251:
	s_waitcnt lgkmcnt(0)
	v_mul_lo_u32 v10, v5, s8
	v_mul_lo_u32 v11, v4, s9
	v_mad_u64_u32 v[2:3], null, v4, s8, 0
	v_mul_lo_u32 v17, v1, s8
	v_mul_lo_u32 v18, v0, s9
	v_mad_u64_u32 v[6:7], null, v0, s8, 0
	s_mov_b32 s23, 0
	s_mov_b64 s[20:21], s[8:9]
	s_delay_alu instid0(VALU_DEP_4) | instskip(NEXT) | instid1(VALU_DEP_2)
	v_add3_u32 v3, v3, v11, v10
                                        ; implicit-def: $sgpr24
                                        ; implicit-def: $sgpr25
                                        ; implicit-def: $sgpr26
                                        ; implicit-def: $sgpr27
                                        ; implicit-def: $sgpr28
	v_add3_u32 v7, v7, v18, v17
	s_delay_alu instid0(VALU_DEP_2) | instskip(NEXT) | instid1(VALU_DEP_2)
	v_lshlrev_b64 v[2:3], 2, v[2:3]
	v_lshlrev_b64 v[6:7], 2, v[6:7]
	s_delay_alu instid0(VALU_DEP_2) | instskip(NEXT) | instid1(VALU_DEP_3)
	v_add_co_u32 v2, vcc_lo, s10, v2
	v_add_co_ci_u32_e32 v3, vcc_lo, s11, v3, vcc_lo
	s_delay_alu instid0(VALU_DEP_3) | instskip(NEXT) | instid1(VALU_DEP_4)
	v_add_co_u32 v6, vcc_lo, s10, v6
	v_add_co_ci_u32_e32 v7, vcc_lo, s11, v7, vcc_lo
	s_set_inst_prefetch_distance 0x1
	s_branch .LBB390_253
	.p2align	6
.LBB390_252:                            ;   in Loop: Header=BB390_253 Depth=1
	s_or_b32 exec_lo, exec_lo, s0
	s_delay_alu instid0(SALU_CYCLE_1) | instskip(NEXT) | instid1(SALU_CYCLE_1)
	s_and_b32 s0, exec_lo, s25
	s_or_b32 s23, s0, s23
	s_and_not1_b32 s0, s28, exec_lo
	s_and_b32 s28, s27, exec_lo
	s_and_not1_b32 s24, s24, exec_lo
	s_and_b32 s29, s26, exec_lo
	s_or_b32 s28, s0, s28
	s_or_b32 s24, s24, s29
	s_and_not1_b32 exec_lo, exec_lo, s23
	s_cbranch_execz .LBB390_255
.LBB390_253:                            ; =>This Inner Loop Header: Depth=1
	global_load_b32 v10, v[2:3], off
	global_load_b32 v11, v[6:7], off
	s_and_not1_b32 s26, s26, exec_lo
	s_and_not1_b32 s27, s27, exec_lo
	s_or_b32 s25, s25, exec_lo
	s_waitcnt vmcnt(0)
	v_cmp_le_i32_e32 vcc_lo, v10, v11
	v_cmp_lt_i32_e64 s0, v10, v11
	s_and_b32 s29, vcc_lo, s28
	s_delay_alu instid0(VALU_DEP_1) | instid1(SALU_CYCLE_1)
	s_or_b32 s29, s0, s29
	s_delay_alu instid0(SALU_CYCLE_1) | instskip(NEXT) | instid1(SALU_CYCLE_1)
	s_and_b32 s0, s29, exec_lo
	s_or_b32 s26, s26, s0
	s_mov_b32 s0, exec_lo
	v_cmpx_eq_u32_e64 v10, v11
	s_cbranch_execz .LBB390_252
; %bb.254:                              ;   in Loop: Header=BB390_253 Depth=1
	s_add_u32 s20, s20, -1
	s_addc_u32 s21, s21, -1
	v_add_co_u32 v2, vcc_lo, v2, 4
	s_cmp_eq_u64 s[20:21], 0
	v_add_co_ci_u32_e32 v3, vcc_lo, 0, v3, vcc_lo
	v_add_co_u32 v6, vcc_lo, v6, 4
	s_cselect_b32 s28, -1, 0
	v_add_co_ci_u32_e32 v7, vcc_lo, 0, v7, vcc_lo
	s_and_not1_b32 s27, s27, exec_lo
	s_and_b32 s29, s29, exec_lo
	s_and_not1_b32 s25, s25, exec_lo
	s_and_b32 s28, s28, exec_lo
	s_or_b32 s27, s27, s29
	s_and_not1_b32 s26, s26, exec_lo
	s_or_b32 s25, s25, s28
                                        ; implicit-def: $sgpr28
	s_branch .LBB390_252
.LBB390_255:
	s_set_inst_prefetch_distance 0x2
	s_or_b32 exec_lo, exec_lo, s23
	s_xor_b32 s0, s24, -1
	s_branch .LBB390_257
.LBB390_256:
	s_mov_b32 s0, -1
.LBB390_257:
	s_and_not1_b32 s12, s12, exec_lo
	s_and_b32 s0, s0, exec_lo
	s_delay_alu instid0(SALU_CYCLE_1)
	s_or_b32 s12, s12, s0
.LBB390_258:
	s_or_b32 exec_lo, exec_lo, s22
	v_cndmask_b32_e64 v2, v9, v8, s12
	v_cndmask_b32_e64 v3, v15, v14, s12
	s_mov_b32 s22, exec_lo
	s_delay_alu instid0(VALU_DEP_2) | instskip(NEXT) | instid1(VALU_DEP_2)
	v_add_nc_u32_e32 v6, 1, v2
	v_add_nc_u32_e32 v2, -1, v3
	s_delay_alu instid0(VALU_DEP_2) | instskip(NEXT) | instid1(VALU_DEP_2)
	v_cndmask_b32_e64 v9, v6, v9, s12
	v_min_u32_e32 v2, v6, v2
	v_cndmask_b32_e64 v8, v8, v6, s12
	s_delay_alu instid0(VALU_DEP_2)
	v_lshl_add_u32 v2, v2, 3, v16
	ds_load_b64 v[2:3], v2
	s_waitcnt lgkmcnt(0)
	v_cndmask_b32_e64 v10, v3, v5, s12
	v_cndmask_b32_e64 v11, v2, v4, s12
	;; [unrolled: 1-line block ×4, first 2 shown]
	v_cmpx_lt_u32_e64 v9, v15
	s_cbranch_execz .LBB390_269
; %bb.259:
	s_mov_b32 s0, 0
	s_mov_b32 s19, exec_lo
	v_cmpx_lt_u32_e64 v8, v14
	s_cbranch_execz .LBB390_268
; %bb.260:
	s_and_not1_b32 vcc_lo, exec_lo, s7
	s_cbranch_vccnz .LBB390_266
; %bb.261:
	v_mul_lo_u32 v19, v10, s8
	v_mul_lo_u32 v20, v11, s9
	v_mad_u64_u32 v[2:3], null, v11, s8, 0
	v_mul_lo_u32 v21, v17, s8
	v_mul_lo_u32 v22, v18, s9
	v_mad_u64_u32 v[6:7], null, v18, s8, 0
	s_mov_b32 s23, 0
	s_mov_b64 s[20:21], s[8:9]
	s_delay_alu instid0(VALU_DEP_4) | instskip(NEXT) | instid1(VALU_DEP_2)
	v_add3_u32 v3, v3, v20, v19
                                        ; implicit-def: $sgpr24
                                        ; implicit-def: $sgpr25
                                        ; implicit-def: $sgpr26
                                        ; implicit-def: $sgpr27
                                        ; implicit-def: $sgpr28
	v_add3_u32 v7, v7, v22, v21
	s_delay_alu instid0(VALU_DEP_2) | instskip(NEXT) | instid1(VALU_DEP_2)
	v_lshlrev_b64 v[2:3], 2, v[2:3]
	v_lshlrev_b64 v[6:7], 2, v[6:7]
	s_delay_alu instid0(VALU_DEP_2) | instskip(NEXT) | instid1(VALU_DEP_3)
	v_add_co_u32 v2, vcc_lo, s10, v2
	v_add_co_ci_u32_e32 v3, vcc_lo, s11, v3, vcc_lo
	s_delay_alu instid0(VALU_DEP_3) | instskip(NEXT) | instid1(VALU_DEP_4)
	v_add_co_u32 v6, vcc_lo, s10, v6
	v_add_co_ci_u32_e32 v7, vcc_lo, s11, v7, vcc_lo
	s_set_inst_prefetch_distance 0x1
	s_branch .LBB390_263
	.p2align	6
.LBB390_262:                            ;   in Loop: Header=BB390_263 Depth=1
	s_or_b32 exec_lo, exec_lo, s0
	s_delay_alu instid0(SALU_CYCLE_1) | instskip(NEXT) | instid1(SALU_CYCLE_1)
	s_and_b32 s0, exec_lo, s25
	s_or_b32 s23, s0, s23
	s_and_not1_b32 s0, s28, exec_lo
	s_and_b32 s28, s27, exec_lo
	s_and_not1_b32 s24, s24, exec_lo
	s_and_b32 s29, s26, exec_lo
	s_or_b32 s28, s0, s28
	s_or_b32 s24, s24, s29
	s_and_not1_b32 exec_lo, exec_lo, s23
	s_cbranch_execz .LBB390_265
.LBB390_263:                            ; =>This Inner Loop Header: Depth=1
	global_load_b32 v19, v[2:3], off
	global_load_b32 v20, v[6:7], off
	s_and_not1_b32 s26, s26, exec_lo
	s_and_not1_b32 s27, s27, exec_lo
	s_or_b32 s25, s25, exec_lo
	s_waitcnt vmcnt(0)
	v_cmp_le_i32_e32 vcc_lo, v19, v20
	v_cmp_lt_i32_e64 s0, v19, v20
	s_and_b32 s29, vcc_lo, s28
	s_delay_alu instid0(VALU_DEP_1) | instid1(SALU_CYCLE_1)
	s_or_b32 s29, s0, s29
	s_delay_alu instid0(SALU_CYCLE_1) | instskip(NEXT) | instid1(SALU_CYCLE_1)
	s_and_b32 s0, s29, exec_lo
	s_or_b32 s26, s26, s0
	s_mov_b32 s0, exec_lo
	v_cmpx_eq_u32_e64 v19, v20
	s_cbranch_execz .LBB390_262
; %bb.264:                              ;   in Loop: Header=BB390_263 Depth=1
	s_add_u32 s20, s20, -1
	s_addc_u32 s21, s21, -1
	v_add_co_u32 v2, vcc_lo, v2, 4
	s_cmp_eq_u64 s[20:21], 0
	v_add_co_ci_u32_e32 v3, vcc_lo, 0, v3, vcc_lo
	v_add_co_u32 v6, vcc_lo, v6, 4
	s_cselect_b32 s28, -1, 0
	v_add_co_ci_u32_e32 v7, vcc_lo, 0, v7, vcc_lo
	s_and_not1_b32 s27, s27, exec_lo
	s_and_b32 s29, s29, exec_lo
	s_and_not1_b32 s25, s25, exec_lo
	s_and_b32 s28, s28, exec_lo
	s_or_b32 s27, s27, s29
	s_and_not1_b32 s26, s26, exec_lo
	s_or_b32 s25, s25, s28
                                        ; implicit-def: $sgpr28
	s_branch .LBB390_262
.LBB390_265:
	s_set_inst_prefetch_distance 0x2
	s_or_b32 exec_lo, exec_lo, s23
	s_xor_b32 s0, s24, -1
	s_branch .LBB390_267
.LBB390_266:
	s_mov_b32 s0, -1
.LBB390_267:
	s_delay_alu instid0(SALU_CYCLE_1)
	s_and_b32 s0, s0, exec_lo
.LBB390_268:
	s_or_b32 exec_lo, exec_lo, s19
	s_delay_alu instid0(SALU_CYCLE_1)
	s_or_not1_b32 s19, s0, exec_lo
.LBB390_269:
	s_or_b32 exec_lo, exec_lo, s22
	v_cndmask_b32_e64 v2, v9, v8, s19
	v_cndmask_b32_e64 v3, v15, v14, s19
	s_mov_b32 s0, -1
	s_mov_b32 s22, exec_lo
	s_delay_alu instid0(VALU_DEP_2) | instskip(NEXT) | instid1(VALU_DEP_2)
	v_add_nc_u32_e32 v6, 1, v2
	v_add_nc_u32_e32 v2, -1, v3
	s_delay_alu instid0(VALU_DEP_2) | instskip(NEXT) | instid1(VALU_DEP_2)
	v_cndmask_b32_e64 v22, v6, v9, s19
	v_min_u32_e32 v2, v6, v2
	v_cndmask_b32_e64 v19, v8, v6, s19
	s_delay_alu instid0(VALU_DEP_2)
	v_lshl_add_u32 v2, v2, 3, v16
	ds_load_b64 v[2:3], v2
	s_waitcnt lgkmcnt(0)
	v_cndmask_b32_e64 v20, v3, v10, s19
	v_cndmask_b32_e64 v21, v2, v11, s19
	v_cndmask_b32_e64 v23, v17, v3, s19
	v_cndmask_b32_e64 v24, v18, v2, s19
	v_cmpx_lt_u32_e64 v22, v15
	s_cbranch_execz .LBB390_280
; %bb.270:
	s_mov_b32 s0, 0
	s_mov_b32 s23, exec_lo
	v_cmpx_lt_u32_e64 v19, v14
	s_cbranch_execz .LBB390_279
; %bb.271:
	s_and_not1_b32 vcc_lo, exec_lo, s7
	s_cbranch_vccnz .LBB390_277
; %bb.272:
	v_mul_lo_u32 v8, v20, s8
	v_mul_lo_u32 v9, v21, s9
	v_mad_u64_u32 v[2:3], null, v21, s8, 0
	v_mul_lo_u32 v25, v23, s8
	v_mul_lo_u32 v40, v24, s9
	v_mad_u64_u32 v[6:7], null, v24, s8, 0
	s_mov_b32 s24, 0
	s_mov_b64 s[20:21], s[8:9]
	s_delay_alu instid0(VALU_DEP_4) | instskip(NEXT) | instid1(VALU_DEP_2)
	v_add3_u32 v3, v3, v9, v8
                                        ; implicit-def: $sgpr25
                                        ; implicit-def: $sgpr26
                                        ; implicit-def: $sgpr27
                                        ; implicit-def: $sgpr28
                                        ; implicit-def: $sgpr29
	v_add3_u32 v7, v7, v40, v25
	s_delay_alu instid0(VALU_DEP_2) | instskip(NEXT) | instid1(VALU_DEP_2)
	v_lshlrev_b64 v[2:3], 2, v[2:3]
	v_lshlrev_b64 v[6:7], 2, v[6:7]
	s_delay_alu instid0(VALU_DEP_2) | instskip(NEXT) | instid1(VALU_DEP_3)
	v_add_co_u32 v2, vcc_lo, s10, v2
	v_add_co_ci_u32_e32 v3, vcc_lo, s11, v3, vcc_lo
	s_delay_alu instid0(VALU_DEP_3) | instskip(NEXT) | instid1(VALU_DEP_4)
	v_add_co_u32 v6, vcc_lo, s10, v6
	v_add_co_ci_u32_e32 v7, vcc_lo, s11, v7, vcc_lo
	s_set_inst_prefetch_distance 0x1
	s_branch .LBB390_274
	.p2align	6
.LBB390_273:                            ;   in Loop: Header=BB390_274 Depth=1
	s_or_b32 exec_lo, exec_lo, s0
	s_delay_alu instid0(SALU_CYCLE_1) | instskip(NEXT) | instid1(SALU_CYCLE_1)
	s_and_b32 s0, exec_lo, s26
	s_or_b32 s24, s0, s24
	s_and_not1_b32 s0, s29, exec_lo
	s_and_b32 s29, s28, exec_lo
	s_and_not1_b32 s25, s25, exec_lo
	s_and_b32 s30, s27, exec_lo
	s_or_b32 s29, s0, s29
	s_or_b32 s25, s25, s30
	s_and_not1_b32 exec_lo, exec_lo, s24
	s_cbranch_execz .LBB390_276
.LBB390_274:                            ; =>This Inner Loop Header: Depth=1
	global_load_b32 v8, v[2:3], off
	global_load_b32 v9, v[6:7], off
	s_and_not1_b32 s27, s27, exec_lo
	s_and_not1_b32 s28, s28, exec_lo
	s_or_b32 s26, s26, exec_lo
	s_waitcnt vmcnt(0)
	v_cmp_le_i32_e32 vcc_lo, v8, v9
	v_cmp_lt_i32_e64 s0, v8, v9
	s_and_b32 s30, vcc_lo, s29
	s_delay_alu instid0(VALU_DEP_1) | instid1(SALU_CYCLE_1)
	s_or_b32 s30, s0, s30
	s_delay_alu instid0(SALU_CYCLE_1) | instskip(NEXT) | instid1(SALU_CYCLE_1)
	s_and_b32 s0, s30, exec_lo
	s_or_b32 s27, s27, s0
	s_mov_b32 s0, exec_lo
	v_cmpx_eq_u32_e64 v8, v9
	s_cbranch_execz .LBB390_273
; %bb.275:                              ;   in Loop: Header=BB390_274 Depth=1
	s_add_u32 s20, s20, -1
	s_addc_u32 s21, s21, -1
	v_add_co_u32 v2, vcc_lo, v2, 4
	s_cmp_eq_u64 s[20:21], 0
	v_add_co_ci_u32_e32 v3, vcc_lo, 0, v3, vcc_lo
	v_add_co_u32 v6, vcc_lo, v6, 4
	s_cselect_b32 s29, -1, 0
	v_add_co_ci_u32_e32 v7, vcc_lo, 0, v7, vcc_lo
	s_and_not1_b32 s28, s28, exec_lo
	s_and_b32 s30, s30, exec_lo
	s_and_not1_b32 s26, s26, exec_lo
	s_and_b32 s29, s29, exec_lo
	s_or_b32 s28, s28, s30
	s_and_not1_b32 s27, s27, exec_lo
	s_or_b32 s26, s26, s29
                                        ; implicit-def: $sgpr29
	s_branch .LBB390_273
.LBB390_276:
	s_set_inst_prefetch_distance 0x2
	s_or_b32 exec_lo, exec_lo, s24
	s_xor_b32 s0, s25, -1
	s_branch .LBB390_278
.LBB390_277:
	s_mov_b32 s0, -1
.LBB390_278:
	s_delay_alu instid0(SALU_CYCLE_1)
	s_and_b32 s0, s0, exec_lo
.LBB390_279:
	s_or_b32 exec_lo, exec_lo, s23
	s_delay_alu instid0(SALU_CYCLE_1)
	s_or_not1_b32 s0, s0, exec_lo
.LBB390_280:
	s_or_b32 exec_lo, exec_lo, s22
	v_cndmask_b32_e64 v2, v22, v19, s0
	v_cndmask_b32_e64 v3, v15, v14, s0
	;; [unrolled: 1-line block ×5, first 2 shown]
	v_add_nc_u32_e32 v25, 1, v2
	v_add_nc_u32_e32 v2, -1, v3
	v_cndmask_b32_e64 v3, v10, v17, s19
	v_cndmask_b32_e64 v4, v21, v24, s0
	s_mov_b32 s12, exec_lo
	v_cndmask_b32_e64 v10, v25, v22, s0
	v_min_u32_e32 v2, v25, v2
	s_delay_alu instid0(VALU_DEP_1)
	v_lshl_add_u32 v2, v2, 3, v16
	ds_load_b64 v[8:9], v2
	v_cndmask_b32_e64 v2, v11, v18, s19
	s_waitcnt lgkmcnt(0)
	v_cndmask_b32_e64 v7, v23, v9, s0
	v_cndmask_b32_e64 v6, v24, v8, s0
	v_cmpx_lt_u32_e64 v10, v15
	s_cbranch_execz .LBB390_290
; %bb.281:
	v_cndmask_b32_e64 v10, v19, v25, s0
	v_cndmask_b32_e64 v9, v9, v20, s0
	;; [unrolled: 1-line block ×3, first 2 shown]
	s_mov_b32 s19, exec_lo
	s_delay_alu instid0(VALU_DEP_3)
	v_cmpx_lt_u32_e64 v10, v14
	s_cbranch_execz .LBB390_289
; %bb.282:
	s_and_not1_b32 vcc_lo, exec_lo, s7
	s_cbranch_vccnz .LBB390_288
; %bb.283:
	v_mul_lo_u32 v16, v9, s8
	v_mul_lo_u32 v17, v8, s9
	v_mad_u64_u32 v[10:11], null, v8, s8, 0
	v_mul_lo_u32 v18, v7, s8
	v_mul_lo_u32 v19, v6, s9
	v_mad_u64_u32 v[14:15], null, v6, s8, 0
	s_mov_b32 s22, 0
	s_mov_b64 s[20:21], s[8:9]
	s_delay_alu instid0(VALU_DEP_4) | instskip(NEXT) | instid1(VALU_DEP_2)
	v_add3_u32 v11, v11, v17, v16
                                        ; implicit-def: $sgpr23
                                        ; implicit-def: $sgpr24
                                        ; implicit-def: $sgpr25
                                        ; implicit-def: $sgpr26
                                        ; implicit-def: $sgpr27
	v_add3_u32 v15, v15, v19, v18
	s_delay_alu instid0(VALU_DEP_2) | instskip(NEXT) | instid1(VALU_DEP_2)
	v_lshlrev_b64 v[10:11], 2, v[10:11]
	v_lshlrev_b64 v[14:15], 2, v[14:15]
	s_delay_alu instid0(VALU_DEP_2) | instskip(NEXT) | instid1(VALU_DEP_3)
	v_add_co_u32 v10, vcc_lo, s10, v10
	v_add_co_ci_u32_e32 v11, vcc_lo, s11, v11, vcc_lo
	s_delay_alu instid0(VALU_DEP_3) | instskip(NEXT) | instid1(VALU_DEP_4)
	v_add_co_u32 v14, vcc_lo, s10, v14
	v_add_co_ci_u32_e32 v15, vcc_lo, s11, v15, vcc_lo
	s_set_inst_prefetch_distance 0x1
	s_branch .LBB390_285
	.p2align	6
.LBB390_284:                            ;   in Loop: Header=BB390_285 Depth=1
	s_or_b32 exec_lo, exec_lo, s0
	s_delay_alu instid0(SALU_CYCLE_1) | instskip(NEXT) | instid1(SALU_CYCLE_1)
	s_and_b32 s0, exec_lo, s24
	s_or_b32 s22, s0, s22
	s_and_not1_b32 s0, s27, exec_lo
	s_and_b32 s27, s26, exec_lo
	s_and_not1_b32 s23, s23, exec_lo
	s_and_b32 s28, s25, exec_lo
	s_or_b32 s27, s0, s27
	s_or_b32 s23, s23, s28
	s_and_not1_b32 exec_lo, exec_lo, s22
	s_cbranch_execz .LBB390_287
.LBB390_285:                            ; =>This Inner Loop Header: Depth=1
	global_load_b32 v16, v[10:11], off
	global_load_b32 v17, v[14:15], off
	s_and_not1_b32 s25, s25, exec_lo
	s_and_not1_b32 s26, s26, exec_lo
	s_or_b32 s24, s24, exec_lo
	s_waitcnt vmcnt(0)
	v_cmp_le_i32_e32 vcc_lo, v16, v17
	v_cmp_lt_i32_e64 s0, v16, v17
	s_and_b32 s28, vcc_lo, s27
	s_delay_alu instid0(VALU_DEP_1) | instid1(SALU_CYCLE_1)
	s_or_b32 s28, s0, s28
	s_delay_alu instid0(SALU_CYCLE_1) | instskip(NEXT) | instid1(SALU_CYCLE_1)
	s_and_b32 s0, s28, exec_lo
	s_or_b32 s25, s25, s0
	s_mov_b32 s0, exec_lo
	v_cmpx_eq_u32_e64 v16, v17
	s_cbranch_execz .LBB390_284
; %bb.286:                              ;   in Loop: Header=BB390_285 Depth=1
	s_add_u32 s20, s20, -1
	s_addc_u32 s21, s21, -1
	v_add_co_u32 v10, vcc_lo, v10, 4
	s_cmp_eq_u64 s[20:21], 0
	v_add_co_ci_u32_e32 v11, vcc_lo, 0, v11, vcc_lo
	v_add_co_u32 v14, vcc_lo, v14, 4
	s_cselect_b32 s27, -1, 0
	v_add_co_ci_u32_e32 v15, vcc_lo, 0, v15, vcc_lo
	s_and_not1_b32 s26, s26, exec_lo
	s_and_b32 s28, s28, exec_lo
	s_and_not1_b32 s24, s24, exec_lo
	s_and_b32 s27, s27, exec_lo
	s_or_b32 s26, s26, s28
	s_and_not1_b32 s25, s25, exec_lo
	s_or_b32 s24, s24, s27
                                        ; implicit-def: $sgpr27
	s_branch .LBB390_284
.LBB390_287:
	s_set_inst_prefetch_distance 0x2
	s_or_b32 exec_lo, exec_lo, s22
	v_cndmask_b32_e64 v7, v7, v9, s23
	v_cndmask_b32_e64 v6, v6, v8, s23
.LBB390_288:
	s_delay_alu instid0(VALU_DEP_1)
	v_dual_mov_b32 v9, v7 :: v_dual_mov_b32 v8, v6
.LBB390_289:
	s_or_b32 exec_lo, exec_lo, s19
	s_delay_alu instid0(VALU_DEP_1)
	v_dual_mov_b32 v6, v8 :: v_dual_mov_b32 v7, v9
.LBB390_290:
	s_or_b32 exec_lo, exec_lo, s12
.LBB390_291:
	s_delay_alu instid0(SALU_CYCLE_1) | instskip(SKIP_4) | instid1(VALU_DEP_3)
	s_or_b32 exec_lo, exec_lo, s1
	v_and_b32_e32 v19, 0xf80, v27
	v_and_b32_e32 v20, 0x7c, v27
	v_lshlrev_b32_e32 v16, 3, v27
	s_mov_b32 s1, exec_lo
	v_or_b32_e32 v8, 64, v19
	v_lshlrev_b32_e32 v18, 3, v19
	; wave barrier
	s_waitcnt lgkmcnt(0)
	s_barrier
	s_delay_alu instid0(VALU_DEP_2)
	v_min_u32_e32 v9, 0x3c0, v8
	v_min_u32_e32 v14, 0x400, v8
	buffer_gl0_inv
	ds_store_b128 v16, v[0:3]
	ds_store_b128 v16, v[4:7] offset:16
	s_waitcnt lgkmcnt(0)
	v_add_nc_u32_e32 v15, 64, v9
	v_sub_nc_u32_e32 v8, v14, v19
	s_barrier
	buffer_gl0_inv
	v_sub_nc_u32_e32 v9, v15, v14
	v_min_u32_e32 v21, v20, v8
	s_delay_alu instid0(VALU_DEP_2) | instskip(NEXT) | instid1(VALU_DEP_1)
	v_sub_nc_u32_e64 v17, v20, v9 clamp
	v_cmpx_lt_u32_e64 v17, v21
	s_cbranch_execz .LBB390_301
; %bb.292:
	v_lshlrev_b32_e32 v8, 3, v20
	s_lshl_b64 s[20:21], s[8:9], 2
	s_mov_b32 s12, 0
	s_delay_alu instid0(VALU_DEP_1)
	v_lshl_add_u32 v22, v14, 3, v8
	s_branch .LBB390_295
.LBB390_293:                            ;   in Loop: Header=BB390_295 Depth=1
	s_set_inst_prefetch_distance 0x2
	s_or_b32 exec_lo, exec_lo, s19
.LBB390_294:                            ;   in Loop: Header=BB390_295 Depth=1
	s_delay_alu instid0(VALU_DEP_1) | instskip(SKIP_1) | instid1(VALU_DEP_2)
	v_add_nc_u32_e32 v8, 1, v23
	v_cndmask_b32_e64 v21, v21, v23, s24
	v_cndmask_b32_e64 v17, v8, v17, s24
	s_delay_alu instid0(VALU_DEP_1) | instskip(SKIP_1) | instid1(SALU_CYCLE_1)
	v_cmp_ge_u32_e32 vcc_lo, v17, v21
	s_or_b32 s12, vcc_lo, s12
	s_and_not1_b32 exec_lo, exec_lo, s12
	s_cbranch_execz .LBB390_300
.LBB390_295:                            ; =>This Loop Header: Depth=1
                                        ;     Child Loop BB390_298 Depth 2
	v_add_nc_u32_e32 v8, v21, v17
	s_and_not1_b32 vcc_lo, exec_lo, s7
	s_mov_b32 s24, 0
	s_delay_alu instid0(VALU_DEP_1)
	v_lshrrev_b32_e32 v23, 1, v8
	s_cbranch_vccnz .LBB390_294
; %bb.296:                              ;   in Loop: Header=BB390_295 Depth=1
	s_delay_alu instid0(VALU_DEP_1) | instskip(SKIP_3) | instid1(VALU_DEP_2)
	v_not_b32_e32 v8, v23
	v_lshl_add_u32 v9, v23, 3, v18
	s_mov_b32 s19, 0
	s_mov_b64 s[22:23], s[8:9]
                                        ; implicit-def: $sgpr24
                                        ; implicit-def: $sgpr25
                                        ; implicit-def: $sgpr26
                                        ; implicit-def: $sgpr27
                                        ; implicit-def: $sgpr28
	v_lshl_add_u32 v8, v8, 3, v22
	ds_load_b64 v[10:11], v8
	ds_load_b64 v[24:25], v9
	s_waitcnt lgkmcnt(1)
	v_mul_lo_u32 v40, s20, v11
	v_mul_lo_u32 v41, s21, v10
	v_mad_u64_u32 v[8:9], null, s20, v10, s[10:11]
	s_waitcnt lgkmcnt(0)
	v_mul_lo_u32 v25, s20, v25
	v_mul_lo_u32 v42, s21, v24
	v_mad_u64_u32 v[10:11], null, s20, v24, s[10:11]
	s_delay_alu instid0(VALU_DEP_4) | instskip(NEXT) | instid1(VALU_DEP_2)
	v_add3_u32 v9, v41, v9, v40
	v_add3_u32 v11, v42, v11, v25
	s_set_inst_prefetch_distance 0x1
	s_branch .LBB390_298
	.p2align	6
.LBB390_297:                            ;   in Loop: Header=BB390_298 Depth=2
	s_or_b32 exec_lo, exec_lo, s0
	s_delay_alu instid0(SALU_CYCLE_1) | instskip(NEXT) | instid1(SALU_CYCLE_1)
	s_and_b32 s0, exec_lo, s25
	s_or_b32 s19, s0, s19
	s_and_not1_b32 s0, s28, exec_lo
	s_and_b32 s28, s26, exec_lo
	s_and_not1_b32 s24, s24, exec_lo
	s_and_b32 s29, s27, exec_lo
	s_or_b32 s28, s0, s28
	s_or_b32 s24, s24, s29
	s_and_not1_b32 exec_lo, exec_lo, s19
	s_cbranch_execz .LBB390_293
.LBB390_298:                            ;   Parent Loop BB390_295 Depth=1
                                        ; =>  This Inner Loop Header: Depth=2
	global_load_b32 v24, v[8:9], off
	global_load_b32 v25, v[10:11], off
	s_and_not1_b32 s27, s27, exec_lo
	s_and_not1_b32 s26, s26, exec_lo
	s_or_b32 s25, s25, exec_lo
	s_waitcnt vmcnt(0)
	v_cmp_le_i32_e32 vcc_lo, v24, v25
	v_cmp_lt_i32_e64 s0, v24, v25
	s_and_b32 s29, vcc_lo, s28
	s_delay_alu instid0(VALU_DEP_1) | instid1(SALU_CYCLE_1)
	s_or_b32 s29, s0, s29
	s_delay_alu instid0(SALU_CYCLE_1) | instskip(NEXT) | instid1(SALU_CYCLE_1)
	s_and_b32 s0, s29, exec_lo
	s_or_b32 s27, s27, s0
	s_mov_b32 s0, exec_lo
	v_cmpx_eq_u32_e64 v24, v25
	s_cbranch_execz .LBB390_297
; %bb.299:                              ;   in Loop: Header=BB390_298 Depth=2
	s_add_u32 s22, s22, -1
	s_addc_u32 s23, s23, -1
	v_add_co_u32 v8, vcc_lo, v8, 4
	v_add_co_ci_u32_e32 v9, vcc_lo, 0, v9, vcc_lo
	s_cmp_eq_u64 s[22:23], 0
	v_add_co_u32 v10, vcc_lo, v10, 4
	s_cselect_b32 s28, -1, 0
	v_add_co_ci_u32_e32 v11, vcc_lo, 0, v11, vcc_lo
	s_and_not1_b32 s26, s26, exec_lo
	s_and_b32 s29, s29, exec_lo
	s_and_not1_b32 s25, s25, exec_lo
	s_and_b32 s28, s28, exec_lo
	s_and_not1_b32 s27, s27, exec_lo
	s_or_b32 s26, s26, s29
	s_or_b32 s25, s25, s28
                                        ; implicit-def: $sgpr28
	s_branch .LBB390_297
.LBB390_300:
	s_or_b32 exec_lo, exec_lo, s12
.LBB390_301:
	s_delay_alu instid0(SALU_CYCLE_1) | instskip(SKIP_2) | instid1(VALU_DEP_2)
	s_or_b32 exec_lo, exec_lo, s1
	v_sub_nc_u32_e32 v9, v20, v17
	v_add_nc_u32_e32 v8, v17, v19
	v_add_nc_u32_e32 v9, v9, v14
	s_delay_alu instid0(VALU_DEP_2) | instskip(NEXT) | instid1(VALU_DEP_2)
	v_cmp_le_u32_e32 vcc_lo, v8, v14
	v_cmp_le_u32_e64 s0, v9, v15
	s_delay_alu instid0(VALU_DEP_1) | instskip(NEXT) | instid1(SALU_CYCLE_1)
	s_or_b32 s0, vcc_lo, s0
	s_and_saveexec_b32 s1, s0
	s_cbranch_execz .LBB390_348
; %bb.302:
	v_cmp_ge_u32_e32 vcc_lo, v8, v14
	s_mov_b32 s12, exec_lo
                                        ; implicit-def: $vgpr0_vgpr1
	v_cmpx_lt_u32_e64 v8, v14
	s_cbranch_execz .LBB390_304
; %bb.303:
	v_lshl_add_u32 v0, v17, 3, v18
	ds_load_b64 v[0:1], v0
.LBB390_304:
	s_or_b32 exec_lo, exec_lo, s12
	v_cmp_ge_u32_e64 s12, v9, v15
	s_mov_b32 s19, exec_lo
                                        ; implicit-def: $vgpr4_vgpr5
	v_cmpx_lt_u32_e64 v9, v15
	s_cbranch_execz .LBB390_306
; %bb.305:
	v_lshlrev_b32_e32 v2, 3, v9
	ds_load_b64 v[4:5], v2
.LBB390_306:
	s_or_b32 exec_lo, exec_lo, s19
	s_or_b32 s0, vcc_lo, s12
	s_mov_b32 s19, -1
	s_xor_b32 s0, s0, -1
	s_delay_alu instid0(SALU_CYCLE_1)
	s_and_saveexec_b32 s22, s0
	s_cbranch_execz .LBB390_315
; %bb.307:
	s_and_not1_b32 vcc_lo, exec_lo, s7
	s_cbranch_vccnz .LBB390_313
; %bb.308:
	s_waitcnt lgkmcnt(0)
	v_mul_lo_u32 v10, v5, s8
	v_mul_lo_u32 v11, v4, s9
	v_mad_u64_u32 v[2:3], null, v4, s8, 0
	v_mul_lo_u32 v17, v1, s8
	v_mul_lo_u32 v18, v0, s9
	v_mad_u64_u32 v[6:7], null, v0, s8, 0
	s_mov_b32 s23, 0
	s_mov_b64 s[20:21], s[8:9]
	s_delay_alu instid0(VALU_DEP_4) | instskip(NEXT) | instid1(VALU_DEP_2)
	v_add3_u32 v3, v3, v11, v10
                                        ; implicit-def: $sgpr24
                                        ; implicit-def: $sgpr25
                                        ; implicit-def: $sgpr26
                                        ; implicit-def: $sgpr27
                                        ; implicit-def: $sgpr28
	v_add3_u32 v7, v7, v18, v17
	s_delay_alu instid0(VALU_DEP_2) | instskip(NEXT) | instid1(VALU_DEP_2)
	v_lshlrev_b64 v[2:3], 2, v[2:3]
	v_lshlrev_b64 v[6:7], 2, v[6:7]
	s_delay_alu instid0(VALU_DEP_2) | instskip(NEXT) | instid1(VALU_DEP_3)
	v_add_co_u32 v2, vcc_lo, s10, v2
	v_add_co_ci_u32_e32 v3, vcc_lo, s11, v3, vcc_lo
	s_delay_alu instid0(VALU_DEP_3) | instskip(NEXT) | instid1(VALU_DEP_4)
	v_add_co_u32 v6, vcc_lo, s10, v6
	v_add_co_ci_u32_e32 v7, vcc_lo, s11, v7, vcc_lo
	s_set_inst_prefetch_distance 0x1
	s_branch .LBB390_310
	.p2align	6
.LBB390_309:                            ;   in Loop: Header=BB390_310 Depth=1
	s_or_b32 exec_lo, exec_lo, s0
	s_delay_alu instid0(SALU_CYCLE_1) | instskip(NEXT) | instid1(SALU_CYCLE_1)
	s_and_b32 s0, exec_lo, s25
	s_or_b32 s23, s0, s23
	s_and_not1_b32 s0, s28, exec_lo
	s_and_b32 s28, s27, exec_lo
	s_and_not1_b32 s24, s24, exec_lo
	s_and_b32 s29, s26, exec_lo
	s_or_b32 s28, s0, s28
	s_or_b32 s24, s24, s29
	s_and_not1_b32 exec_lo, exec_lo, s23
	s_cbranch_execz .LBB390_312
.LBB390_310:                            ; =>This Inner Loop Header: Depth=1
	global_load_b32 v10, v[2:3], off
	global_load_b32 v11, v[6:7], off
	s_and_not1_b32 s26, s26, exec_lo
	s_and_not1_b32 s27, s27, exec_lo
	s_or_b32 s25, s25, exec_lo
	s_waitcnt vmcnt(0)
	v_cmp_le_i32_e32 vcc_lo, v10, v11
	v_cmp_lt_i32_e64 s0, v10, v11
	s_and_b32 s29, vcc_lo, s28
	s_delay_alu instid0(VALU_DEP_1) | instid1(SALU_CYCLE_1)
	s_or_b32 s29, s0, s29
	s_delay_alu instid0(SALU_CYCLE_1) | instskip(NEXT) | instid1(SALU_CYCLE_1)
	s_and_b32 s0, s29, exec_lo
	s_or_b32 s26, s26, s0
	s_mov_b32 s0, exec_lo
	v_cmpx_eq_u32_e64 v10, v11
	s_cbranch_execz .LBB390_309
; %bb.311:                              ;   in Loop: Header=BB390_310 Depth=1
	s_add_u32 s20, s20, -1
	s_addc_u32 s21, s21, -1
	v_add_co_u32 v2, vcc_lo, v2, 4
	s_cmp_eq_u64 s[20:21], 0
	v_add_co_ci_u32_e32 v3, vcc_lo, 0, v3, vcc_lo
	s_cselect_b32 s28, -1, 0
	s_and_not1_b32 s27, s27, exec_lo
	s_and_b32 s29, s29, exec_lo
	v_add_co_u32 v6, vcc_lo, v6, 4
	s_and_not1_b32 s25, s25, exec_lo
	s_and_b32 s28, s28, exec_lo
	v_add_co_ci_u32_e32 v7, vcc_lo, 0, v7, vcc_lo
	s_or_b32 s27, s27, s29
	s_and_not1_b32 s26, s26, exec_lo
	s_or_b32 s25, s25, s28
                                        ; implicit-def: $sgpr28
	s_branch .LBB390_309
.LBB390_312:
	s_set_inst_prefetch_distance 0x2
	s_or_b32 exec_lo, exec_lo, s23
	s_xor_b32 s0, s24, -1
	s_branch .LBB390_314
.LBB390_313:
	s_mov_b32 s0, -1
.LBB390_314:
	s_and_not1_b32 s12, s12, exec_lo
	s_and_b32 s0, s0, exec_lo
	s_delay_alu instid0(SALU_CYCLE_1)
	s_or_b32 s12, s12, s0
.LBB390_315:
	s_or_b32 exec_lo, exec_lo, s22
	v_cndmask_b32_e64 v2, v9, v8, s12
	v_cndmask_b32_e64 v3, v15, v14, s12
	s_mov_b32 s22, exec_lo
	s_delay_alu instid0(VALU_DEP_2) | instskip(NEXT) | instid1(VALU_DEP_2)
	v_add_nc_u32_e32 v6, 1, v2
	v_add_nc_u32_e32 v2, -1, v3
	s_delay_alu instid0(VALU_DEP_2) | instskip(NEXT) | instid1(VALU_DEP_2)
	v_cndmask_b32_e64 v9, v6, v9, s12
	v_min_u32_e32 v2, v6, v2
	v_cndmask_b32_e64 v8, v8, v6, s12
	s_delay_alu instid0(VALU_DEP_2)
	v_lshlrev_b32_e32 v2, 3, v2
	ds_load_b64 v[2:3], v2
	s_waitcnt lgkmcnt(0)
	v_cndmask_b32_e64 v10, v3, v5, s12
	v_cndmask_b32_e64 v11, v2, v4, s12
	;; [unrolled: 1-line block ×4, first 2 shown]
	v_cmpx_lt_u32_e64 v9, v15
	s_cbranch_execz .LBB390_326
; %bb.316:
	s_mov_b32 s0, 0
	s_mov_b32 s19, exec_lo
	v_cmpx_lt_u32_e64 v8, v14
	s_cbranch_execz .LBB390_325
; %bb.317:
	s_and_not1_b32 vcc_lo, exec_lo, s7
	s_cbranch_vccnz .LBB390_323
; %bb.318:
	v_mul_lo_u32 v19, v10, s8
	v_mul_lo_u32 v20, v11, s9
	v_mad_u64_u32 v[2:3], null, v11, s8, 0
	v_mul_lo_u32 v21, v17, s8
	v_mul_lo_u32 v22, v18, s9
	v_mad_u64_u32 v[6:7], null, v18, s8, 0
	s_mov_b32 s23, 0
	s_mov_b64 s[20:21], s[8:9]
	s_delay_alu instid0(VALU_DEP_4) | instskip(NEXT) | instid1(VALU_DEP_2)
	v_add3_u32 v3, v3, v20, v19
                                        ; implicit-def: $sgpr24
                                        ; implicit-def: $sgpr25
                                        ; implicit-def: $sgpr26
                                        ; implicit-def: $sgpr27
                                        ; implicit-def: $sgpr28
	v_add3_u32 v7, v7, v22, v21
	s_delay_alu instid0(VALU_DEP_2) | instskip(NEXT) | instid1(VALU_DEP_2)
	v_lshlrev_b64 v[2:3], 2, v[2:3]
	v_lshlrev_b64 v[6:7], 2, v[6:7]
	s_delay_alu instid0(VALU_DEP_2) | instskip(NEXT) | instid1(VALU_DEP_3)
	v_add_co_u32 v2, vcc_lo, s10, v2
	v_add_co_ci_u32_e32 v3, vcc_lo, s11, v3, vcc_lo
	s_delay_alu instid0(VALU_DEP_3) | instskip(NEXT) | instid1(VALU_DEP_4)
	v_add_co_u32 v6, vcc_lo, s10, v6
	v_add_co_ci_u32_e32 v7, vcc_lo, s11, v7, vcc_lo
	s_set_inst_prefetch_distance 0x1
	s_branch .LBB390_320
	.p2align	6
.LBB390_319:                            ;   in Loop: Header=BB390_320 Depth=1
	s_or_b32 exec_lo, exec_lo, s0
	s_delay_alu instid0(SALU_CYCLE_1) | instskip(NEXT) | instid1(SALU_CYCLE_1)
	s_and_b32 s0, exec_lo, s25
	s_or_b32 s23, s0, s23
	s_and_not1_b32 s0, s28, exec_lo
	s_and_b32 s28, s27, exec_lo
	s_and_not1_b32 s24, s24, exec_lo
	s_and_b32 s29, s26, exec_lo
	s_or_b32 s28, s0, s28
	s_or_b32 s24, s24, s29
	s_and_not1_b32 exec_lo, exec_lo, s23
	s_cbranch_execz .LBB390_322
.LBB390_320:                            ; =>This Inner Loop Header: Depth=1
	global_load_b32 v19, v[2:3], off
	global_load_b32 v20, v[6:7], off
	s_and_not1_b32 s26, s26, exec_lo
	s_and_not1_b32 s27, s27, exec_lo
	s_or_b32 s25, s25, exec_lo
	s_waitcnt vmcnt(0)
	v_cmp_le_i32_e32 vcc_lo, v19, v20
	v_cmp_lt_i32_e64 s0, v19, v20
	s_and_b32 s29, vcc_lo, s28
	s_delay_alu instid0(VALU_DEP_1) | instid1(SALU_CYCLE_1)
	s_or_b32 s29, s0, s29
	s_delay_alu instid0(SALU_CYCLE_1) | instskip(NEXT) | instid1(SALU_CYCLE_1)
	s_and_b32 s0, s29, exec_lo
	s_or_b32 s26, s26, s0
	s_mov_b32 s0, exec_lo
	v_cmpx_eq_u32_e64 v19, v20
	s_cbranch_execz .LBB390_319
; %bb.321:                              ;   in Loop: Header=BB390_320 Depth=1
	s_add_u32 s20, s20, -1
	s_addc_u32 s21, s21, -1
	v_add_co_u32 v2, vcc_lo, v2, 4
	s_cmp_eq_u64 s[20:21], 0
	v_add_co_ci_u32_e32 v3, vcc_lo, 0, v3, vcc_lo
	v_add_co_u32 v6, vcc_lo, v6, 4
	s_cselect_b32 s28, -1, 0
	v_add_co_ci_u32_e32 v7, vcc_lo, 0, v7, vcc_lo
	s_and_not1_b32 s27, s27, exec_lo
	s_and_b32 s29, s29, exec_lo
	s_and_not1_b32 s25, s25, exec_lo
	s_and_b32 s28, s28, exec_lo
	s_or_b32 s27, s27, s29
	s_and_not1_b32 s26, s26, exec_lo
	s_or_b32 s25, s25, s28
                                        ; implicit-def: $sgpr28
	s_branch .LBB390_319
.LBB390_322:
	s_set_inst_prefetch_distance 0x2
	s_or_b32 exec_lo, exec_lo, s23
	s_xor_b32 s0, s24, -1
	s_branch .LBB390_324
.LBB390_323:
	s_mov_b32 s0, -1
.LBB390_324:
	s_delay_alu instid0(SALU_CYCLE_1)
	s_and_b32 s0, s0, exec_lo
.LBB390_325:
	s_or_b32 exec_lo, exec_lo, s19
	s_delay_alu instid0(SALU_CYCLE_1)
	s_or_not1_b32 s19, s0, exec_lo
.LBB390_326:
	s_or_b32 exec_lo, exec_lo, s22
	v_cndmask_b32_e64 v2, v9, v8, s19
	v_cndmask_b32_e64 v3, v15, v14, s19
	s_mov_b32 s0, -1
	s_mov_b32 s22, exec_lo
	s_delay_alu instid0(VALU_DEP_2) | instskip(NEXT) | instid1(VALU_DEP_2)
	v_add_nc_u32_e32 v6, 1, v2
	v_add_nc_u32_e32 v2, -1, v3
	s_delay_alu instid0(VALU_DEP_2) | instskip(NEXT) | instid1(VALU_DEP_2)
	v_cndmask_b32_e64 v22, v6, v9, s19
	v_min_u32_e32 v2, v6, v2
	v_cndmask_b32_e64 v19, v8, v6, s19
	s_delay_alu instid0(VALU_DEP_2)
	v_lshlrev_b32_e32 v2, 3, v2
	ds_load_b64 v[2:3], v2
	s_waitcnt lgkmcnt(0)
	v_cndmask_b32_e64 v20, v3, v10, s19
	v_cndmask_b32_e64 v21, v2, v11, s19
	;; [unrolled: 1-line block ×4, first 2 shown]
	v_cmpx_lt_u32_e64 v22, v15
	s_cbranch_execz .LBB390_337
; %bb.327:
	s_mov_b32 s0, 0
	s_mov_b32 s23, exec_lo
	v_cmpx_lt_u32_e64 v19, v14
	s_cbranch_execz .LBB390_336
; %bb.328:
	s_and_not1_b32 vcc_lo, exec_lo, s7
	s_cbranch_vccnz .LBB390_334
; %bb.329:
	v_mul_lo_u32 v8, v20, s8
	v_mul_lo_u32 v9, v21, s9
	v_mad_u64_u32 v[2:3], null, v21, s8, 0
	v_mul_lo_u32 v25, v23, s8
	v_mul_lo_u32 v40, v24, s9
	v_mad_u64_u32 v[6:7], null, v24, s8, 0
	s_mov_b32 s24, 0
	s_mov_b64 s[20:21], s[8:9]
	s_delay_alu instid0(VALU_DEP_4) | instskip(NEXT) | instid1(VALU_DEP_2)
	v_add3_u32 v3, v3, v9, v8
                                        ; implicit-def: $sgpr25
                                        ; implicit-def: $sgpr26
                                        ; implicit-def: $sgpr27
                                        ; implicit-def: $sgpr28
                                        ; implicit-def: $sgpr29
	v_add3_u32 v7, v7, v40, v25
	s_delay_alu instid0(VALU_DEP_2) | instskip(NEXT) | instid1(VALU_DEP_2)
	v_lshlrev_b64 v[2:3], 2, v[2:3]
	v_lshlrev_b64 v[6:7], 2, v[6:7]
	s_delay_alu instid0(VALU_DEP_2) | instskip(NEXT) | instid1(VALU_DEP_3)
	v_add_co_u32 v2, vcc_lo, s10, v2
	v_add_co_ci_u32_e32 v3, vcc_lo, s11, v3, vcc_lo
	s_delay_alu instid0(VALU_DEP_3) | instskip(NEXT) | instid1(VALU_DEP_4)
	v_add_co_u32 v6, vcc_lo, s10, v6
	v_add_co_ci_u32_e32 v7, vcc_lo, s11, v7, vcc_lo
	s_set_inst_prefetch_distance 0x1
	s_branch .LBB390_331
	.p2align	6
.LBB390_330:                            ;   in Loop: Header=BB390_331 Depth=1
	s_or_b32 exec_lo, exec_lo, s0
	s_delay_alu instid0(SALU_CYCLE_1) | instskip(NEXT) | instid1(SALU_CYCLE_1)
	s_and_b32 s0, exec_lo, s26
	s_or_b32 s24, s0, s24
	s_and_not1_b32 s0, s29, exec_lo
	s_and_b32 s29, s28, exec_lo
	s_and_not1_b32 s25, s25, exec_lo
	s_and_b32 s30, s27, exec_lo
	s_or_b32 s29, s0, s29
	s_or_b32 s25, s25, s30
	s_and_not1_b32 exec_lo, exec_lo, s24
	s_cbranch_execz .LBB390_333
.LBB390_331:                            ; =>This Inner Loop Header: Depth=1
	global_load_b32 v8, v[2:3], off
	global_load_b32 v9, v[6:7], off
	s_and_not1_b32 s27, s27, exec_lo
	s_and_not1_b32 s28, s28, exec_lo
	s_or_b32 s26, s26, exec_lo
	s_waitcnt vmcnt(0)
	v_cmp_le_i32_e32 vcc_lo, v8, v9
	v_cmp_lt_i32_e64 s0, v8, v9
	s_and_b32 s30, vcc_lo, s29
	s_delay_alu instid0(VALU_DEP_1) | instid1(SALU_CYCLE_1)
	s_or_b32 s30, s0, s30
	s_delay_alu instid0(SALU_CYCLE_1) | instskip(NEXT) | instid1(SALU_CYCLE_1)
	s_and_b32 s0, s30, exec_lo
	s_or_b32 s27, s27, s0
	s_mov_b32 s0, exec_lo
	v_cmpx_eq_u32_e64 v8, v9
	s_cbranch_execz .LBB390_330
; %bb.332:                              ;   in Loop: Header=BB390_331 Depth=1
	s_add_u32 s20, s20, -1
	s_addc_u32 s21, s21, -1
	v_add_co_u32 v2, vcc_lo, v2, 4
	s_cmp_eq_u64 s[20:21], 0
	v_add_co_ci_u32_e32 v3, vcc_lo, 0, v3, vcc_lo
	v_add_co_u32 v6, vcc_lo, v6, 4
	s_cselect_b32 s29, -1, 0
	v_add_co_ci_u32_e32 v7, vcc_lo, 0, v7, vcc_lo
	s_and_not1_b32 s28, s28, exec_lo
	s_and_b32 s30, s30, exec_lo
	s_and_not1_b32 s26, s26, exec_lo
	s_and_b32 s29, s29, exec_lo
	s_or_b32 s28, s28, s30
	s_and_not1_b32 s27, s27, exec_lo
	s_or_b32 s26, s26, s29
                                        ; implicit-def: $sgpr29
	s_branch .LBB390_330
.LBB390_333:
	s_set_inst_prefetch_distance 0x2
	s_or_b32 exec_lo, exec_lo, s24
	s_xor_b32 s0, s25, -1
	s_branch .LBB390_335
.LBB390_334:
	s_mov_b32 s0, -1
.LBB390_335:
	s_delay_alu instid0(SALU_CYCLE_1)
	s_and_b32 s0, s0, exec_lo
.LBB390_336:
	s_or_b32 exec_lo, exec_lo, s23
	s_delay_alu instid0(SALU_CYCLE_1)
	s_or_not1_b32 s0, s0, exec_lo
.LBB390_337:
	s_or_b32 exec_lo, exec_lo, s22
	v_cndmask_b32_e64 v2, v22, v19, s0
	v_cndmask_b32_e64 v3, v15, v14, s0
	;; [unrolled: 1-line block ×5, first 2 shown]
	v_add_nc_u32_e32 v25, 1, v2
	v_add_nc_u32_e32 v2, -1, v3
	v_cndmask_b32_e64 v3, v10, v17, s19
	v_cndmask_b32_e64 v4, v21, v24, s0
	s_mov_b32 s12, exec_lo
	v_cndmask_b32_e64 v10, v25, v22, s0
	v_min_u32_e32 v2, v25, v2
	s_delay_alu instid0(VALU_DEP_1)
	v_lshlrev_b32_e32 v2, 3, v2
	ds_load_b64 v[8:9], v2
	v_cndmask_b32_e64 v2, v11, v18, s19
	s_waitcnt lgkmcnt(0)
	v_cndmask_b32_e64 v7, v23, v9, s0
	v_cndmask_b32_e64 v6, v24, v8, s0
	v_cmpx_lt_u32_e64 v10, v15
	s_cbranch_execz .LBB390_347
; %bb.338:
	v_cndmask_b32_e64 v10, v19, v25, s0
	v_cndmask_b32_e64 v9, v9, v20, s0
	;; [unrolled: 1-line block ×3, first 2 shown]
	s_mov_b32 s19, exec_lo
	s_delay_alu instid0(VALU_DEP_3)
	v_cmpx_lt_u32_e64 v10, v14
	s_cbranch_execz .LBB390_346
; %bb.339:
	s_and_not1_b32 vcc_lo, exec_lo, s7
	s_cbranch_vccnz .LBB390_345
; %bb.340:
	v_mul_lo_u32 v17, v9, s8
	v_mul_lo_u32 v18, v8, s9
	v_mad_u64_u32 v[10:11], null, v8, s8, 0
	v_mul_lo_u32 v19, v7, s8
	v_mul_lo_u32 v20, v6, s9
	v_mad_u64_u32 v[14:15], null, v6, s8, 0
	s_mov_b32 s22, 0
	s_mov_b64 s[20:21], s[8:9]
	s_delay_alu instid0(VALU_DEP_4) | instskip(NEXT) | instid1(VALU_DEP_2)
	v_add3_u32 v11, v11, v18, v17
                                        ; implicit-def: $sgpr23
                                        ; implicit-def: $sgpr24
                                        ; implicit-def: $sgpr25
                                        ; implicit-def: $sgpr26
                                        ; implicit-def: $sgpr27
	v_add3_u32 v15, v15, v20, v19
	s_delay_alu instid0(VALU_DEP_2) | instskip(NEXT) | instid1(VALU_DEP_2)
	v_lshlrev_b64 v[10:11], 2, v[10:11]
	v_lshlrev_b64 v[14:15], 2, v[14:15]
	s_delay_alu instid0(VALU_DEP_2) | instskip(NEXT) | instid1(VALU_DEP_3)
	v_add_co_u32 v10, vcc_lo, s10, v10
	v_add_co_ci_u32_e32 v11, vcc_lo, s11, v11, vcc_lo
	s_delay_alu instid0(VALU_DEP_3) | instskip(NEXT) | instid1(VALU_DEP_4)
	v_add_co_u32 v14, vcc_lo, s10, v14
	v_add_co_ci_u32_e32 v15, vcc_lo, s11, v15, vcc_lo
	s_set_inst_prefetch_distance 0x1
	s_branch .LBB390_342
	.p2align	6
.LBB390_341:                            ;   in Loop: Header=BB390_342 Depth=1
	s_or_b32 exec_lo, exec_lo, s0
	s_delay_alu instid0(SALU_CYCLE_1) | instskip(NEXT) | instid1(SALU_CYCLE_1)
	s_and_b32 s0, exec_lo, s24
	s_or_b32 s22, s0, s22
	s_and_not1_b32 s0, s27, exec_lo
	s_and_b32 s27, s26, exec_lo
	s_and_not1_b32 s23, s23, exec_lo
	s_and_b32 s28, s25, exec_lo
	s_or_b32 s27, s0, s27
	s_or_b32 s23, s23, s28
	s_and_not1_b32 exec_lo, exec_lo, s22
	s_cbranch_execz .LBB390_344
.LBB390_342:                            ; =>This Inner Loop Header: Depth=1
	global_load_b32 v17, v[10:11], off
	global_load_b32 v18, v[14:15], off
	s_and_not1_b32 s25, s25, exec_lo
	s_and_not1_b32 s26, s26, exec_lo
	s_or_b32 s24, s24, exec_lo
	s_waitcnt vmcnt(0)
	v_cmp_le_i32_e32 vcc_lo, v17, v18
	v_cmp_lt_i32_e64 s0, v17, v18
	s_and_b32 s28, vcc_lo, s27
	s_delay_alu instid0(VALU_DEP_1) | instid1(SALU_CYCLE_1)
	s_or_b32 s28, s0, s28
	s_delay_alu instid0(SALU_CYCLE_1) | instskip(NEXT) | instid1(SALU_CYCLE_1)
	s_and_b32 s0, s28, exec_lo
	s_or_b32 s25, s25, s0
	s_mov_b32 s0, exec_lo
	v_cmpx_eq_u32_e64 v17, v18
	s_cbranch_execz .LBB390_341
; %bb.343:                              ;   in Loop: Header=BB390_342 Depth=1
	s_add_u32 s20, s20, -1
	s_addc_u32 s21, s21, -1
	v_add_co_u32 v10, vcc_lo, v10, 4
	s_cmp_eq_u64 s[20:21], 0
	v_add_co_ci_u32_e32 v11, vcc_lo, 0, v11, vcc_lo
	v_add_co_u32 v14, vcc_lo, v14, 4
	s_cselect_b32 s27, -1, 0
	v_add_co_ci_u32_e32 v15, vcc_lo, 0, v15, vcc_lo
	s_and_not1_b32 s26, s26, exec_lo
	s_and_b32 s28, s28, exec_lo
	s_and_not1_b32 s24, s24, exec_lo
	s_and_b32 s27, s27, exec_lo
	s_or_b32 s26, s26, s28
	s_and_not1_b32 s25, s25, exec_lo
	s_or_b32 s24, s24, s27
                                        ; implicit-def: $sgpr27
	s_branch .LBB390_341
.LBB390_344:
	s_set_inst_prefetch_distance 0x2
	s_or_b32 exec_lo, exec_lo, s22
	v_cndmask_b32_e64 v7, v7, v9, s23
	v_cndmask_b32_e64 v6, v6, v8, s23
.LBB390_345:
	s_delay_alu instid0(VALU_DEP_1)
	v_dual_mov_b32 v9, v7 :: v_dual_mov_b32 v8, v6
.LBB390_346:
	s_or_b32 exec_lo, exec_lo, s19
	s_delay_alu instid0(VALU_DEP_1)
	v_dual_mov_b32 v6, v8 :: v_dual_mov_b32 v7, v9
.LBB390_347:
	s_or_b32 exec_lo, exec_lo, s12
.LBB390_348:
	s_delay_alu instid0(SALU_CYCLE_1) | instskip(SKIP_4) | instid1(VALU_DEP_2)
	s_or_b32 exec_lo, exec_lo, s1
	v_and_b32_e32 v19, 0xf00, v27
	v_and_b32_e32 v20, 0xfc, v27
	s_mov_b32 s1, exec_lo
	s_barrier
	v_or_b32_e32 v8, 0x80, v19
	v_lshlrev_b32_e32 v18, 3, v19
	buffer_gl0_inv
	ds_store_b128 v16, v[0:3]
	ds_store_b128 v16, v[4:7] offset:16
	s_waitcnt lgkmcnt(0)
	v_min_u32_e32 v9, 0x380, v8
	v_min_u32_e32 v14, 0x400, v8
	s_barrier
	buffer_gl0_inv
	v_add_nc_u32_e32 v15, 0x80, v9
	v_sub_nc_u32_e32 v8, v14, v19
	s_delay_alu instid0(VALU_DEP_2) | instskip(NEXT) | instid1(VALU_DEP_2)
	v_sub_nc_u32_e32 v9, v15, v14
	v_min_u32_e32 v21, v20, v8
	s_delay_alu instid0(VALU_DEP_2) | instskip(NEXT) | instid1(VALU_DEP_1)
	v_sub_nc_u32_e64 v17, v20, v9 clamp
	v_cmpx_lt_u32_e64 v17, v21
	s_cbranch_execz .LBB390_358
; %bb.349:
	v_lshlrev_b32_e32 v8, 3, v20
	s_lshl_b64 s[20:21], s[8:9], 2
	s_mov_b32 s12, 0
	s_delay_alu instid0(VALU_DEP_1)
	v_lshl_add_u32 v22, v14, 3, v8
	s_branch .LBB390_352
.LBB390_350:                            ;   in Loop: Header=BB390_352 Depth=1
	s_set_inst_prefetch_distance 0x2
	s_or_b32 exec_lo, exec_lo, s19
.LBB390_351:                            ;   in Loop: Header=BB390_352 Depth=1
	s_delay_alu instid0(VALU_DEP_1) | instskip(SKIP_1) | instid1(VALU_DEP_2)
	v_add_nc_u32_e32 v8, 1, v23
	v_cndmask_b32_e64 v21, v21, v23, s24
	v_cndmask_b32_e64 v17, v8, v17, s24
	s_delay_alu instid0(VALU_DEP_1) | instskip(SKIP_1) | instid1(SALU_CYCLE_1)
	v_cmp_ge_u32_e32 vcc_lo, v17, v21
	s_or_b32 s12, vcc_lo, s12
	s_and_not1_b32 exec_lo, exec_lo, s12
	s_cbranch_execz .LBB390_357
.LBB390_352:                            ; =>This Loop Header: Depth=1
                                        ;     Child Loop BB390_355 Depth 2
	v_add_nc_u32_e32 v8, v21, v17
	s_and_not1_b32 vcc_lo, exec_lo, s7
	s_mov_b32 s24, 0
	s_delay_alu instid0(VALU_DEP_1)
	v_lshrrev_b32_e32 v23, 1, v8
	s_cbranch_vccnz .LBB390_351
; %bb.353:                              ;   in Loop: Header=BB390_352 Depth=1
	s_delay_alu instid0(VALU_DEP_1) | instskip(SKIP_3) | instid1(VALU_DEP_2)
	v_not_b32_e32 v8, v23
	v_lshl_add_u32 v9, v23, 3, v18
	s_mov_b32 s19, 0
	s_mov_b64 s[22:23], s[8:9]
                                        ; implicit-def: $sgpr24
                                        ; implicit-def: $sgpr25
                                        ; implicit-def: $sgpr26
                                        ; implicit-def: $sgpr27
                                        ; implicit-def: $sgpr28
	v_lshl_add_u32 v8, v8, 3, v22
	ds_load_b64 v[10:11], v8
	ds_load_b64 v[24:25], v9
	s_waitcnt lgkmcnt(1)
	v_mul_lo_u32 v40, s20, v11
	v_mul_lo_u32 v41, s21, v10
	v_mad_u64_u32 v[8:9], null, s20, v10, s[10:11]
	s_waitcnt lgkmcnt(0)
	v_mul_lo_u32 v25, s20, v25
	v_mul_lo_u32 v42, s21, v24
	v_mad_u64_u32 v[10:11], null, s20, v24, s[10:11]
	s_delay_alu instid0(VALU_DEP_4) | instskip(NEXT) | instid1(VALU_DEP_2)
	v_add3_u32 v9, v41, v9, v40
	v_add3_u32 v11, v42, v11, v25
	s_set_inst_prefetch_distance 0x1
	s_branch .LBB390_355
	.p2align	6
.LBB390_354:                            ;   in Loop: Header=BB390_355 Depth=2
	s_or_b32 exec_lo, exec_lo, s29
	s_delay_alu instid0(SALU_CYCLE_1) | instskip(NEXT) | instid1(SALU_CYCLE_1)
	s_and_b32 s0, exec_lo, s25
	s_or_b32 s19, s0, s19
	s_and_not1_b32 s0, s28, exec_lo
	s_and_b32 s28, s26, exec_lo
	s_and_not1_b32 s24, s24, exec_lo
	s_and_b32 s29, s27, exec_lo
	s_or_b32 s28, s0, s28
	s_or_b32 s24, s24, s29
	s_and_not1_b32 exec_lo, exec_lo, s19
	s_cbranch_execz .LBB390_350
.LBB390_355:                            ;   Parent Loop BB390_352 Depth=1
                                        ; =>  This Inner Loop Header: Depth=2
	global_load_b32 v24, v[8:9], off
	global_load_b32 v25, v[10:11], off
	s_and_not1_b32 s27, s27, exec_lo
	s_and_not1_b32 s26, s26, exec_lo
	s_or_b32 s25, s25, exec_lo
	s_waitcnt vmcnt(0)
	v_cmp_le_i32_e32 vcc_lo, v24, v25
	v_cmp_lt_i32_e64 s0, v24, v25
	s_and_b32 s29, vcc_lo, s28
	s_delay_alu instid0(VALU_DEP_1) | instid1(SALU_CYCLE_1)
	s_or_b32 s0, s0, s29
	s_delay_alu instid0(SALU_CYCLE_1) | instskip(NEXT) | instid1(SALU_CYCLE_1)
	s_and_b32 s29, s0, exec_lo
	s_or_b32 s27, s27, s29
	s_mov_b32 s29, exec_lo
	v_cmpx_eq_u32_e64 v24, v25
	s_cbranch_execz .LBB390_354
; %bb.356:                              ;   in Loop: Header=BB390_355 Depth=2
	s_add_u32 s22, s22, -1
	s_addc_u32 s23, s23, -1
	v_add_co_u32 v8, vcc_lo, v8, 4
	v_add_co_ci_u32_e32 v9, vcc_lo, 0, v9, vcc_lo
	s_cmp_eq_u64 s[22:23], 0
	v_add_co_u32 v10, vcc_lo, v10, 4
	s_cselect_b32 s28, -1, 0
	v_add_co_ci_u32_e32 v11, vcc_lo, 0, v11, vcc_lo
	s_and_not1_b32 s26, s26, exec_lo
	s_and_b32 s0, s0, exec_lo
	s_and_not1_b32 s25, s25, exec_lo
	s_and_b32 s28, s28, exec_lo
	s_and_not1_b32 s27, s27, exec_lo
	s_or_b32 s26, s26, s0
	s_or_b32 s25, s25, s28
                                        ; implicit-def: $sgpr28
	s_branch .LBB390_354
.LBB390_357:
	s_or_b32 exec_lo, exec_lo, s12
.LBB390_358:
	s_delay_alu instid0(SALU_CYCLE_1) | instskip(SKIP_2) | instid1(VALU_DEP_2)
	s_or_b32 exec_lo, exec_lo, s1
	v_sub_nc_u32_e32 v9, v20, v17
	v_add_nc_u32_e32 v8, v17, v19
	v_add_nc_u32_e32 v9, v9, v14
	s_delay_alu instid0(VALU_DEP_2) | instskip(NEXT) | instid1(VALU_DEP_2)
	v_cmp_le_u32_e32 vcc_lo, v8, v14
	v_cmp_le_u32_e64 s0, v9, v15
	s_delay_alu instid0(VALU_DEP_1) | instskip(NEXT) | instid1(SALU_CYCLE_1)
	s_or_b32 s0, vcc_lo, s0
	s_and_saveexec_b32 s1, s0
	s_cbranch_execz .LBB390_405
; %bb.359:
	v_cmp_ge_u32_e32 vcc_lo, v8, v14
	s_mov_b32 s12, exec_lo
                                        ; implicit-def: $vgpr0_vgpr1
	v_cmpx_lt_u32_e64 v8, v14
	s_cbranch_execz .LBB390_361
; %bb.360:
	v_lshl_add_u32 v0, v17, 3, v18
	ds_load_b64 v[0:1], v0
.LBB390_361:
	s_or_b32 exec_lo, exec_lo, s12
	v_cmp_ge_u32_e64 s12, v9, v15
	s_mov_b32 s19, exec_lo
                                        ; implicit-def: $vgpr4_vgpr5
	v_cmpx_lt_u32_e64 v9, v15
	s_cbranch_execz .LBB390_363
; %bb.362:
	v_lshlrev_b32_e32 v2, 3, v9
	ds_load_b64 v[4:5], v2
.LBB390_363:
	s_or_b32 exec_lo, exec_lo, s19
	s_or_b32 s0, vcc_lo, s12
	s_mov_b32 s19, -1
	s_xor_b32 s0, s0, -1
	s_delay_alu instid0(SALU_CYCLE_1)
	s_and_saveexec_b32 s22, s0
	s_cbranch_execz .LBB390_372
; %bb.364:
	s_and_not1_b32 vcc_lo, exec_lo, s7
	s_cbranch_vccnz .LBB390_370
; %bb.365:
	s_waitcnt lgkmcnt(0)
	v_mul_lo_u32 v10, v5, s8
	v_mul_lo_u32 v11, v4, s9
	v_mad_u64_u32 v[2:3], null, v4, s8, 0
	v_mul_lo_u32 v17, v1, s8
	v_mul_lo_u32 v18, v0, s9
	v_mad_u64_u32 v[6:7], null, v0, s8, 0
	s_mov_b32 s23, 0
	s_mov_b64 s[20:21], s[8:9]
	s_delay_alu instid0(VALU_DEP_4) | instskip(NEXT) | instid1(VALU_DEP_2)
	v_add3_u32 v3, v3, v11, v10
                                        ; implicit-def: $sgpr24
                                        ; implicit-def: $sgpr25
                                        ; implicit-def: $sgpr26
                                        ; implicit-def: $sgpr27
                                        ; implicit-def: $sgpr28
	v_add3_u32 v7, v7, v18, v17
	s_delay_alu instid0(VALU_DEP_2) | instskip(NEXT) | instid1(VALU_DEP_2)
	v_lshlrev_b64 v[2:3], 2, v[2:3]
	v_lshlrev_b64 v[6:7], 2, v[6:7]
	s_delay_alu instid0(VALU_DEP_2) | instskip(NEXT) | instid1(VALU_DEP_3)
	v_add_co_u32 v2, vcc_lo, s10, v2
	v_add_co_ci_u32_e32 v3, vcc_lo, s11, v3, vcc_lo
	s_delay_alu instid0(VALU_DEP_3) | instskip(NEXT) | instid1(VALU_DEP_4)
	v_add_co_u32 v6, vcc_lo, s10, v6
	v_add_co_ci_u32_e32 v7, vcc_lo, s11, v7, vcc_lo
	s_set_inst_prefetch_distance 0x1
	s_branch .LBB390_367
	.p2align	6
.LBB390_366:                            ;   in Loop: Header=BB390_367 Depth=1
	s_or_b32 exec_lo, exec_lo, s0
	s_delay_alu instid0(SALU_CYCLE_1) | instskip(NEXT) | instid1(SALU_CYCLE_1)
	s_and_b32 s0, exec_lo, s25
	s_or_b32 s23, s0, s23
	s_and_not1_b32 s0, s28, exec_lo
	s_and_b32 s28, s27, exec_lo
	s_and_not1_b32 s24, s24, exec_lo
	s_and_b32 s29, s26, exec_lo
	s_or_b32 s28, s0, s28
	s_or_b32 s24, s24, s29
	s_and_not1_b32 exec_lo, exec_lo, s23
	s_cbranch_execz .LBB390_369
.LBB390_367:                            ; =>This Inner Loop Header: Depth=1
	global_load_b32 v10, v[2:3], off
	global_load_b32 v11, v[6:7], off
	s_and_not1_b32 s26, s26, exec_lo
	s_and_not1_b32 s27, s27, exec_lo
	s_or_b32 s25, s25, exec_lo
	s_waitcnt vmcnt(0)
	v_cmp_le_i32_e32 vcc_lo, v10, v11
	v_cmp_lt_i32_e64 s0, v10, v11
	s_and_b32 s29, vcc_lo, s28
	s_delay_alu instid0(VALU_DEP_1) | instid1(SALU_CYCLE_1)
	s_or_b32 s29, s0, s29
	s_delay_alu instid0(SALU_CYCLE_1) | instskip(NEXT) | instid1(SALU_CYCLE_1)
	s_and_b32 s0, s29, exec_lo
	s_or_b32 s26, s26, s0
	s_mov_b32 s0, exec_lo
	v_cmpx_eq_u32_e64 v10, v11
	s_cbranch_execz .LBB390_366
; %bb.368:                              ;   in Loop: Header=BB390_367 Depth=1
	s_add_u32 s20, s20, -1
	s_addc_u32 s21, s21, -1
	v_add_co_u32 v2, vcc_lo, v2, 4
	s_cmp_eq_u64 s[20:21], 0
	v_add_co_ci_u32_e32 v3, vcc_lo, 0, v3, vcc_lo
	v_add_co_u32 v6, vcc_lo, v6, 4
	s_cselect_b32 s28, -1, 0
	v_add_co_ci_u32_e32 v7, vcc_lo, 0, v7, vcc_lo
	s_and_not1_b32 s27, s27, exec_lo
	s_and_b32 s29, s29, exec_lo
	s_and_not1_b32 s25, s25, exec_lo
	s_and_b32 s28, s28, exec_lo
	s_or_b32 s27, s27, s29
	s_and_not1_b32 s26, s26, exec_lo
	s_or_b32 s25, s25, s28
                                        ; implicit-def: $sgpr28
	s_branch .LBB390_366
.LBB390_369:
	s_set_inst_prefetch_distance 0x2
	s_or_b32 exec_lo, exec_lo, s23
	s_xor_b32 s0, s24, -1
	s_branch .LBB390_371
.LBB390_370:
	s_mov_b32 s0, -1
.LBB390_371:
	s_and_not1_b32 s12, s12, exec_lo
	s_and_b32 s0, s0, exec_lo
	s_delay_alu instid0(SALU_CYCLE_1)
	s_or_b32 s12, s12, s0
.LBB390_372:
	s_or_b32 exec_lo, exec_lo, s22
	v_cndmask_b32_e64 v2, v9, v8, s12
	v_cndmask_b32_e64 v3, v15, v14, s12
	s_mov_b32 s22, exec_lo
	s_delay_alu instid0(VALU_DEP_2) | instskip(NEXT) | instid1(VALU_DEP_2)
	v_add_nc_u32_e32 v6, 1, v2
	v_add_nc_u32_e32 v2, -1, v3
	s_delay_alu instid0(VALU_DEP_2) | instskip(NEXT) | instid1(VALU_DEP_2)
	v_cndmask_b32_e64 v9, v6, v9, s12
	v_min_u32_e32 v2, v6, v2
	v_cndmask_b32_e64 v8, v8, v6, s12
	s_delay_alu instid0(VALU_DEP_2)
	v_lshlrev_b32_e32 v2, 3, v2
	ds_load_b64 v[2:3], v2
	s_waitcnt lgkmcnt(0)
	v_cndmask_b32_e64 v10, v3, v5, s12
	v_cndmask_b32_e64 v11, v2, v4, s12
	;; [unrolled: 1-line block ×4, first 2 shown]
	v_cmpx_lt_u32_e64 v9, v15
	s_cbranch_execz .LBB390_383
; %bb.373:
	s_mov_b32 s0, 0
	s_mov_b32 s19, exec_lo
	v_cmpx_lt_u32_e64 v8, v14
	s_cbranch_execz .LBB390_382
; %bb.374:
	s_and_not1_b32 vcc_lo, exec_lo, s7
	s_cbranch_vccnz .LBB390_380
; %bb.375:
	v_mul_lo_u32 v19, v10, s8
	v_mul_lo_u32 v20, v11, s9
	v_mad_u64_u32 v[2:3], null, v11, s8, 0
	v_mul_lo_u32 v21, v17, s8
	v_mul_lo_u32 v22, v18, s9
	v_mad_u64_u32 v[6:7], null, v18, s8, 0
	s_mov_b32 s23, 0
	s_mov_b64 s[20:21], s[8:9]
	s_delay_alu instid0(VALU_DEP_4) | instskip(NEXT) | instid1(VALU_DEP_2)
	v_add3_u32 v3, v3, v20, v19
                                        ; implicit-def: $sgpr24
                                        ; implicit-def: $sgpr25
                                        ; implicit-def: $sgpr26
                                        ; implicit-def: $sgpr27
                                        ; implicit-def: $sgpr28
	v_add3_u32 v7, v7, v22, v21
	s_delay_alu instid0(VALU_DEP_2) | instskip(NEXT) | instid1(VALU_DEP_2)
	v_lshlrev_b64 v[2:3], 2, v[2:3]
	v_lshlrev_b64 v[6:7], 2, v[6:7]
	s_delay_alu instid0(VALU_DEP_2) | instskip(NEXT) | instid1(VALU_DEP_3)
	v_add_co_u32 v2, vcc_lo, s10, v2
	v_add_co_ci_u32_e32 v3, vcc_lo, s11, v3, vcc_lo
	s_delay_alu instid0(VALU_DEP_3) | instskip(NEXT) | instid1(VALU_DEP_4)
	v_add_co_u32 v6, vcc_lo, s10, v6
	v_add_co_ci_u32_e32 v7, vcc_lo, s11, v7, vcc_lo
	s_set_inst_prefetch_distance 0x1
	s_branch .LBB390_377
	.p2align	6
.LBB390_376:                            ;   in Loop: Header=BB390_377 Depth=1
	s_or_b32 exec_lo, exec_lo, s0
	s_delay_alu instid0(SALU_CYCLE_1) | instskip(NEXT) | instid1(SALU_CYCLE_1)
	s_and_b32 s0, exec_lo, s25
	s_or_b32 s23, s0, s23
	s_and_not1_b32 s0, s28, exec_lo
	s_and_b32 s28, s27, exec_lo
	s_and_not1_b32 s24, s24, exec_lo
	s_and_b32 s29, s26, exec_lo
	s_or_b32 s28, s0, s28
	s_or_b32 s24, s24, s29
	s_and_not1_b32 exec_lo, exec_lo, s23
	s_cbranch_execz .LBB390_379
.LBB390_377:                            ; =>This Inner Loop Header: Depth=1
	global_load_b32 v19, v[2:3], off
	global_load_b32 v20, v[6:7], off
	s_and_not1_b32 s26, s26, exec_lo
	s_and_not1_b32 s27, s27, exec_lo
	s_or_b32 s25, s25, exec_lo
	s_waitcnt vmcnt(0)
	v_cmp_le_i32_e32 vcc_lo, v19, v20
	v_cmp_lt_i32_e64 s0, v19, v20
	s_and_b32 s29, vcc_lo, s28
	s_delay_alu instid0(VALU_DEP_1) | instid1(SALU_CYCLE_1)
	s_or_b32 s29, s0, s29
	s_delay_alu instid0(SALU_CYCLE_1) | instskip(NEXT) | instid1(SALU_CYCLE_1)
	s_and_b32 s0, s29, exec_lo
	s_or_b32 s26, s26, s0
	s_mov_b32 s0, exec_lo
	v_cmpx_eq_u32_e64 v19, v20
	s_cbranch_execz .LBB390_376
; %bb.378:                              ;   in Loop: Header=BB390_377 Depth=1
	s_add_u32 s20, s20, -1
	s_addc_u32 s21, s21, -1
	v_add_co_u32 v2, vcc_lo, v2, 4
	s_cmp_eq_u64 s[20:21], 0
	v_add_co_ci_u32_e32 v3, vcc_lo, 0, v3, vcc_lo
	v_add_co_u32 v6, vcc_lo, v6, 4
	s_cselect_b32 s28, -1, 0
	v_add_co_ci_u32_e32 v7, vcc_lo, 0, v7, vcc_lo
	s_and_not1_b32 s27, s27, exec_lo
	s_and_b32 s29, s29, exec_lo
	s_and_not1_b32 s25, s25, exec_lo
	s_and_b32 s28, s28, exec_lo
	s_or_b32 s27, s27, s29
	s_and_not1_b32 s26, s26, exec_lo
	s_or_b32 s25, s25, s28
                                        ; implicit-def: $sgpr28
	s_branch .LBB390_376
.LBB390_379:
	s_set_inst_prefetch_distance 0x2
	s_or_b32 exec_lo, exec_lo, s23
	s_xor_b32 s0, s24, -1
	s_branch .LBB390_381
.LBB390_380:
	s_mov_b32 s0, -1
.LBB390_381:
	s_delay_alu instid0(SALU_CYCLE_1)
	s_and_b32 s0, s0, exec_lo
.LBB390_382:
	s_or_b32 exec_lo, exec_lo, s19
	s_delay_alu instid0(SALU_CYCLE_1)
	s_or_not1_b32 s19, s0, exec_lo
.LBB390_383:
	s_or_b32 exec_lo, exec_lo, s22
	v_cndmask_b32_e64 v2, v9, v8, s19
	v_cndmask_b32_e64 v3, v15, v14, s19
	s_mov_b32 s0, -1
	s_mov_b32 s22, exec_lo
	s_delay_alu instid0(VALU_DEP_2) | instskip(NEXT) | instid1(VALU_DEP_2)
	v_add_nc_u32_e32 v6, 1, v2
	v_add_nc_u32_e32 v2, -1, v3
	s_delay_alu instid0(VALU_DEP_2) | instskip(NEXT) | instid1(VALU_DEP_2)
	v_cndmask_b32_e64 v22, v6, v9, s19
	v_min_u32_e32 v2, v6, v2
	v_cndmask_b32_e64 v19, v8, v6, s19
	s_delay_alu instid0(VALU_DEP_2)
	v_lshlrev_b32_e32 v2, 3, v2
	ds_load_b64 v[2:3], v2
	s_waitcnt lgkmcnt(0)
	v_cndmask_b32_e64 v20, v3, v10, s19
	v_cndmask_b32_e64 v21, v2, v11, s19
	;; [unrolled: 1-line block ×4, first 2 shown]
	v_cmpx_lt_u32_e64 v22, v15
	s_cbranch_execz .LBB390_394
; %bb.384:
	s_mov_b32 s0, 0
	s_mov_b32 s23, exec_lo
	v_cmpx_lt_u32_e64 v19, v14
	s_cbranch_execz .LBB390_393
; %bb.385:
	s_and_not1_b32 vcc_lo, exec_lo, s7
	s_cbranch_vccnz .LBB390_391
; %bb.386:
	v_mul_lo_u32 v8, v20, s8
	v_mul_lo_u32 v9, v21, s9
	v_mad_u64_u32 v[2:3], null, v21, s8, 0
	v_mul_lo_u32 v25, v23, s8
	v_mul_lo_u32 v40, v24, s9
	v_mad_u64_u32 v[6:7], null, v24, s8, 0
	s_mov_b32 s24, 0
	s_mov_b64 s[20:21], s[8:9]
	s_delay_alu instid0(VALU_DEP_4) | instskip(NEXT) | instid1(VALU_DEP_2)
	v_add3_u32 v3, v3, v9, v8
                                        ; implicit-def: $sgpr25
                                        ; implicit-def: $sgpr26
                                        ; implicit-def: $sgpr27
                                        ; implicit-def: $sgpr28
                                        ; implicit-def: $sgpr29
	v_add3_u32 v7, v7, v40, v25
	s_delay_alu instid0(VALU_DEP_2) | instskip(NEXT) | instid1(VALU_DEP_2)
	v_lshlrev_b64 v[2:3], 2, v[2:3]
	v_lshlrev_b64 v[6:7], 2, v[6:7]
	s_delay_alu instid0(VALU_DEP_2) | instskip(NEXT) | instid1(VALU_DEP_3)
	v_add_co_u32 v2, vcc_lo, s10, v2
	v_add_co_ci_u32_e32 v3, vcc_lo, s11, v3, vcc_lo
	s_delay_alu instid0(VALU_DEP_3) | instskip(NEXT) | instid1(VALU_DEP_4)
	v_add_co_u32 v6, vcc_lo, s10, v6
	v_add_co_ci_u32_e32 v7, vcc_lo, s11, v7, vcc_lo
	s_set_inst_prefetch_distance 0x1
	s_branch .LBB390_388
	.p2align	6
.LBB390_387:                            ;   in Loop: Header=BB390_388 Depth=1
	s_or_b32 exec_lo, exec_lo, s0
	s_delay_alu instid0(SALU_CYCLE_1) | instskip(NEXT) | instid1(SALU_CYCLE_1)
	s_and_b32 s0, exec_lo, s26
	s_or_b32 s24, s0, s24
	s_and_not1_b32 s0, s29, exec_lo
	s_and_b32 s29, s28, exec_lo
	s_and_not1_b32 s25, s25, exec_lo
	s_and_b32 s30, s27, exec_lo
	s_or_b32 s29, s0, s29
	s_or_b32 s25, s25, s30
	s_and_not1_b32 exec_lo, exec_lo, s24
	s_cbranch_execz .LBB390_390
.LBB390_388:                            ; =>This Inner Loop Header: Depth=1
	global_load_b32 v8, v[2:3], off
	global_load_b32 v9, v[6:7], off
	s_and_not1_b32 s27, s27, exec_lo
	s_and_not1_b32 s28, s28, exec_lo
	s_or_b32 s26, s26, exec_lo
	s_waitcnt vmcnt(0)
	v_cmp_le_i32_e32 vcc_lo, v8, v9
	v_cmp_lt_i32_e64 s0, v8, v9
	s_and_b32 s30, vcc_lo, s29
	s_delay_alu instid0(VALU_DEP_1) | instid1(SALU_CYCLE_1)
	s_or_b32 s30, s0, s30
	s_delay_alu instid0(SALU_CYCLE_1) | instskip(NEXT) | instid1(SALU_CYCLE_1)
	s_and_b32 s0, s30, exec_lo
	s_or_b32 s27, s27, s0
	s_mov_b32 s0, exec_lo
	v_cmpx_eq_u32_e64 v8, v9
	s_cbranch_execz .LBB390_387
; %bb.389:                              ;   in Loop: Header=BB390_388 Depth=1
	s_add_u32 s20, s20, -1
	s_addc_u32 s21, s21, -1
	v_add_co_u32 v2, vcc_lo, v2, 4
	s_cmp_eq_u64 s[20:21], 0
	v_add_co_ci_u32_e32 v3, vcc_lo, 0, v3, vcc_lo
	v_add_co_u32 v6, vcc_lo, v6, 4
	s_cselect_b32 s29, -1, 0
	v_add_co_ci_u32_e32 v7, vcc_lo, 0, v7, vcc_lo
	s_and_not1_b32 s28, s28, exec_lo
	s_and_b32 s30, s30, exec_lo
	s_and_not1_b32 s26, s26, exec_lo
	s_and_b32 s29, s29, exec_lo
	s_or_b32 s28, s28, s30
	s_and_not1_b32 s27, s27, exec_lo
	s_or_b32 s26, s26, s29
                                        ; implicit-def: $sgpr29
	s_branch .LBB390_387
.LBB390_390:
	s_set_inst_prefetch_distance 0x2
	s_or_b32 exec_lo, exec_lo, s24
	s_xor_b32 s0, s25, -1
	s_branch .LBB390_392
.LBB390_391:
	s_mov_b32 s0, -1
.LBB390_392:
	s_delay_alu instid0(SALU_CYCLE_1)
	s_and_b32 s0, s0, exec_lo
.LBB390_393:
	s_or_b32 exec_lo, exec_lo, s23
	s_delay_alu instid0(SALU_CYCLE_1)
	s_or_not1_b32 s0, s0, exec_lo
.LBB390_394:
	s_or_b32 exec_lo, exec_lo, s22
	v_cndmask_b32_e64 v2, v22, v19, s0
	v_cndmask_b32_e64 v3, v15, v14, s0
	;; [unrolled: 1-line block ×5, first 2 shown]
	v_add_nc_u32_e32 v25, 1, v2
	v_add_nc_u32_e32 v2, -1, v3
	v_cndmask_b32_e64 v3, v10, v17, s19
	v_cndmask_b32_e64 v4, v21, v24, s0
	s_mov_b32 s12, exec_lo
	v_cndmask_b32_e64 v10, v25, v22, s0
	v_min_u32_e32 v2, v25, v2
	s_delay_alu instid0(VALU_DEP_1)
	v_lshlrev_b32_e32 v2, 3, v2
	ds_load_b64 v[8:9], v2
	v_cndmask_b32_e64 v2, v11, v18, s19
	s_waitcnt lgkmcnt(0)
	v_cndmask_b32_e64 v7, v23, v9, s0
	v_cndmask_b32_e64 v6, v24, v8, s0
	v_cmpx_lt_u32_e64 v10, v15
	s_cbranch_execz .LBB390_404
; %bb.395:
	v_cndmask_b32_e64 v10, v19, v25, s0
	v_cndmask_b32_e64 v9, v9, v20, s0
	;; [unrolled: 1-line block ×3, first 2 shown]
	s_mov_b32 s19, exec_lo
	s_delay_alu instid0(VALU_DEP_3)
	v_cmpx_lt_u32_e64 v10, v14
	s_cbranch_execz .LBB390_403
; %bb.396:
	s_and_not1_b32 vcc_lo, exec_lo, s7
	s_cbranch_vccnz .LBB390_402
; %bb.397:
	v_mul_lo_u32 v17, v9, s8
	v_mul_lo_u32 v18, v8, s9
	v_mad_u64_u32 v[10:11], null, v8, s8, 0
	v_mul_lo_u32 v19, v7, s8
	v_mul_lo_u32 v20, v6, s9
	v_mad_u64_u32 v[14:15], null, v6, s8, 0
	s_mov_b32 s22, 0
	s_mov_b64 s[20:21], s[8:9]
	s_delay_alu instid0(VALU_DEP_4) | instskip(NEXT) | instid1(VALU_DEP_2)
	v_add3_u32 v11, v11, v18, v17
                                        ; implicit-def: $sgpr23
                                        ; implicit-def: $sgpr24
                                        ; implicit-def: $sgpr25
                                        ; implicit-def: $sgpr26
                                        ; implicit-def: $sgpr27
	v_add3_u32 v15, v15, v20, v19
	s_delay_alu instid0(VALU_DEP_2) | instskip(NEXT) | instid1(VALU_DEP_2)
	v_lshlrev_b64 v[10:11], 2, v[10:11]
	v_lshlrev_b64 v[14:15], 2, v[14:15]
	s_delay_alu instid0(VALU_DEP_2) | instskip(NEXT) | instid1(VALU_DEP_3)
	v_add_co_u32 v10, vcc_lo, s10, v10
	v_add_co_ci_u32_e32 v11, vcc_lo, s11, v11, vcc_lo
	s_delay_alu instid0(VALU_DEP_3) | instskip(NEXT) | instid1(VALU_DEP_4)
	v_add_co_u32 v14, vcc_lo, s10, v14
	v_add_co_ci_u32_e32 v15, vcc_lo, s11, v15, vcc_lo
	s_set_inst_prefetch_distance 0x1
	s_branch .LBB390_399
	.p2align	6
.LBB390_398:                            ;   in Loop: Header=BB390_399 Depth=1
	s_or_b32 exec_lo, exec_lo, s0
	s_delay_alu instid0(SALU_CYCLE_1) | instskip(NEXT) | instid1(SALU_CYCLE_1)
	s_and_b32 s0, exec_lo, s24
	s_or_b32 s22, s0, s22
	s_and_not1_b32 s0, s27, exec_lo
	s_and_b32 s27, s26, exec_lo
	s_and_not1_b32 s23, s23, exec_lo
	s_and_b32 s28, s25, exec_lo
	s_or_b32 s27, s0, s27
	s_or_b32 s23, s23, s28
	s_and_not1_b32 exec_lo, exec_lo, s22
	s_cbranch_execz .LBB390_401
.LBB390_399:                            ; =>This Inner Loop Header: Depth=1
	global_load_b32 v17, v[10:11], off
	global_load_b32 v18, v[14:15], off
	s_and_not1_b32 s25, s25, exec_lo
	s_and_not1_b32 s26, s26, exec_lo
	s_or_b32 s24, s24, exec_lo
	s_waitcnt vmcnt(0)
	v_cmp_le_i32_e32 vcc_lo, v17, v18
	v_cmp_lt_i32_e64 s0, v17, v18
	s_and_b32 s28, vcc_lo, s27
	s_delay_alu instid0(VALU_DEP_1) | instid1(SALU_CYCLE_1)
	s_or_b32 s28, s0, s28
	s_delay_alu instid0(SALU_CYCLE_1) | instskip(NEXT) | instid1(SALU_CYCLE_1)
	s_and_b32 s0, s28, exec_lo
	s_or_b32 s25, s25, s0
	s_mov_b32 s0, exec_lo
	v_cmpx_eq_u32_e64 v17, v18
	s_cbranch_execz .LBB390_398
; %bb.400:                              ;   in Loop: Header=BB390_399 Depth=1
	s_add_u32 s20, s20, -1
	s_addc_u32 s21, s21, -1
	v_add_co_u32 v10, vcc_lo, v10, 4
	s_cmp_eq_u64 s[20:21], 0
	v_add_co_ci_u32_e32 v11, vcc_lo, 0, v11, vcc_lo
	v_add_co_u32 v14, vcc_lo, v14, 4
	s_cselect_b32 s27, -1, 0
	v_add_co_ci_u32_e32 v15, vcc_lo, 0, v15, vcc_lo
	s_and_not1_b32 s26, s26, exec_lo
	s_and_b32 s28, s28, exec_lo
	s_and_not1_b32 s24, s24, exec_lo
	s_and_b32 s27, s27, exec_lo
	s_or_b32 s26, s26, s28
	s_and_not1_b32 s25, s25, exec_lo
	s_or_b32 s24, s24, s27
                                        ; implicit-def: $sgpr27
	s_branch .LBB390_398
.LBB390_401:
	s_set_inst_prefetch_distance 0x2
	s_or_b32 exec_lo, exec_lo, s22
	v_cndmask_b32_e64 v7, v7, v9, s23
	v_cndmask_b32_e64 v6, v6, v8, s23
.LBB390_402:
	s_delay_alu instid0(VALU_DEP_1)
	v_dual_mov_b32 v9, v7 :: v_dual_mov_b32 v8, v6
.LBB390_403:
	s_or_b32 exec_lo, exec_lo, s19
	s_delay_alu instid0(VALU_DEP_1)
	v_dual_mov_b32 v6, v8 :: v_dual_mov_b32 v7, v9
.LBB390_404:
	s_or_b32 exec_lo, exec_lo, s12
.LBB390_405:
	s_delay_alu instid0(SALU_CYCLE_1) | instskip(SKIP_4) | instid1(VALU_DEP_2)
	s_or_b32 exec_lo, exec_lo, s1
	v_and_b32_e32 v19, 0xe00, v27
	v_and_b32_e32 v20, 0x1fc, v27
	s_mov_b32 s1, exec_lo
	s_barrier
	v_or_b32_e32 v8, 0x100, v19
	v_lshlrev_b32_e32 v18, 3, v19
	buffer_gl0_inv
	ds_store_b128 v16, v[0:3]
	ds_store_b128 v16, v[4:7] offset:16
	s_waitcnt lgkmcnt(0)
	v_min_u32_e32 v9, 0x300, v8
	v_min_u32_e32 v14, 0x400, v8
	s_barrier
	buffer_gl0_inv
	v_add_nc_u32_e32 v15, 0x100, v9
	v_sub_nc_u32_e32 v8, v14, v19
	s_delay_alu instid0(VALU_DEP_2) | instskip(NEXT) | instid1(VALU_DEP_2)
	v_sub_nc_u32_e32 v9, v15, v14
	v_min_u32_e32 v21, v20, v8
	s_delay_alu instid0(VALU_DEP_2) | instskip(NEXT) | instid1(VALU_DEP_1)
	v_sub_nc_u32_e64 v17, v20, v9 clamp
	v_cmpx_lt_u32_e64 v17, v21
	s_cbranch_execz .LBB390_415
; %bb.406:
	v_lshlrev_b32_e32 v8, 3, v20
	s_lshl_b64 s[20:21], s[8:9], 2
	s_mov_b32 s12, 0
	s_delay_alu instid0(VALU_DEP_1)
	v_lshl_add_u32 v22, v14, 3, v8
	s_branch .LBB390_409
.LBB390_407:                            ;   in Loop: Header=BB390_409 Depth=1
	s_set_inst_prefetch_distance 0x2
	s_or_b32 exec_lo, exec_lo, s19
.LBB390_408:                            ;   in Loop: Header=BB390_409 Depth=1
	s_delay_alu instid0(VALU_DEP_1) | instskip(SKIP_1) | instid1(VALU_DEP_2)
	v_add_nc_u32_e32 v8, 1, v23
	v_cndmask_b32_e64 v21, v21, v23, s24
	v_cndmask_b32_e64 v17, v8, v17, s24
	s_delay_alu instid0(VALU_DEP_1) | instskip(SKIP_1) | instid1(SALU_CYCLE_1)
	v_cmp_ge_u32_e32 vcc_lo, v17, v21
	s_or_b32 s12, vcc_lo, s12
	s_and_not1_b32 exec_lo, exec_lo, s12
	s_cbranch_execz .LBB390_414
.LBB390_409:                            ; =>This Loop Header: Depth=1
                                        ;     Child Loop BB390_412 Depth 2
	v_add_nc_u32_e32 v8, v21, v17
	s_and_not1_b32 vcc_lo, exec_lo, s7
	s_mov_b32 s24, 0
	s_delay_alu instid0(VALU_DEP_1)
	v_lshrrev_b32_e32 v23, 1, v8
	s_cbranch_vccnz .LBB390_408
; %bb.410:                              ;   in Loop: Header=BB390_409 Depth=1
	s_delay_alu instid0(VALU_DEP_1) | instskip(SKIP_3) | instid1(VALU_DEP_2)
	v_not_b32_e32 v8, v23
	v_lshl_add_u32 v9, v23, 3, v18
	s_mov_b32 s19, 0
	s_mov_b64 s[22:23], s[8:9]
                                        ; implicit-def: $sgpr24
                                        ; implicit-def: $sgpr25
                                        ; implicit-def: $sgpr26
                                        ; implicit-def: $sgpr27
                                        ; implicit-def: $sgpr28
	v_lshl_add_u32 v8, v8, 3, v22
	ds_load_b64 v[10:11], v8
	ds_load_b64 v[24:25], v9
	s_waitcnt lgkmcnt(1)
	v_mul_lo_u32 v40, s20, v11
	v_mul_lo_u32 v41, s21, v10
	v_mad_u64_u32 v[8:9], null, s20, v10, s[10:11]
	s_waitcnt lgkmcnt(0)
	v_mul_lo_u32 v25, s20, v25
	v_mul_lo_u32 v42, s21, v24
	v_mad_u64_u32 v[10:11], null, s20, v24, s[10:11]
	s_delay_alu instid0(VALU_DEP_4) | instskip(NEXT) | instid1(VALU_DEP_2)
	v_add3_u32 v9, v41, v9, v40
	v_add3_u32 v11, v42, v11, v25
	s_set_inst_prefetch_distance 0x1
	s_branch .LBB390_412
	.p2align	6
.LBB390_411:                            ;   in Loop: Header=BB390_412 Depth=2
	s_or_b32 exec_lo, exec_lo, s29
	s_delay_alu instid0(SALU_CYCLE_1) | instskip(NEXT) | instid1(SALU_CYCLE_1)
	s_and_b32 s0, exec_lo, s25
	s_or_b32 s19, s0, s19
	s_and_not1_b32 s0, s28, exec_lo
	s_and_b32 s28, s26, exec_lo
	s_and_not1_b32 s24, s24, exec_lo
	s_and_b32 s29, s27, exec_lo
	s_or_b32 s28, s0, s28
	s_or_b32 s24, s24, s29
	s_and_not1_b32 exec_lo, exec_lo, s19
	s_cbranch_execz .LBB390_407
.LBB390_412:                            ;   Parent Loop BB390_409 Depth=1
                                        ; =>  This Inner Loop Header: Depth=2
	global_load_b32 v24, v[8:9], off
	global_load_b32 v25, v[10:11], off
	s_and_not1_b32 s27, s27, exec_lo
	s_and_not1_b32 s26, s26, exec_lo
	s_or_b32 s25, s25, exec_lo
	s_waitcnt vmcnt(0)
	v_cmp_le_i32_e32 vcc_lo, v24, v25
	v_cmp_lt_i32_e64 s0, v24, v25
	s_and_b32 s29, vcc_lo, s28
	s_delay_alu instid0(VALU_DEP_1) | instid1(SALU_CYCLE_1)
	s_or_b32 s0, s0, s29
	s_delay_alu instid0(SALU_CYCLE_1) | instskip(NEXT) | instid1(SALU_CYCLE_1)
	s_and_b32 s29, s0, exec_lo
	s_or_b32 s27, s27, s29
	s_mov_b32 s29, exec_lo
	v_cmpx_eq_u32_e64 v24, v25
	s_cbranch_execz .LBB390_411
; %bb.413:                              ;   in Loop: Header=BB390_412 Depth=2
	s_add_u32 s22, s22, -1
	s_addc_u32 s23, s23, -1
	v_add_co_u32 v8, vcc_lo, v8, 4
	v_add_co_ci_u32_e32 v9, vcc_lo, 0, v9, vcc_lo
	s_cmp_eq_u64 s[22:23], 0
	v_add_co_u32 v10, vcc_lo, v10, 4
	s_cselect_b32 s28, -1, 0
	v_add_co_ci_u32_e32 v11, vcc_lo, 0, v11, vcc_lo
	s_and_not1_b32 s26, s26, exec_lo
	s_and_b32 s0, s0, exec_lo
	s_and_not1_b32 s25, s25, exec_lo
	s_and_b32 s28, s28, exec_lo
	s_and_not1_b32 s27, s27, exec_lo
	s_or_b32 s26, s26, s0
	s_or_b32 s25, s25, s28
                                        ; implicit-def: $sgpr28
	s_branch .LBB390_411
.LBB390_414:
	s_or_b32 exec_lo, exec_lo, s12
.LBB390_415:
	s_delay_alu instid0(SALU_CYCLE_1) | instskip(SKIP_2) | instid1(VALU_DEP_2)
	s_or_b32 exec_lo, exec_lo, s1
	v_sub_nc_u32_e32 v9, v20, v17
	v_add_nc_u32_e32 v8, v17, v19
	v_add_nc_u32_e32 v9, v9, v14
	s_delay_alu instid0(VALU_DEP_2) | instskip(NEXT) | instid1(VALU_DEP_2)
	v_cmp_le_u32_e32 vcc_lo, v8, v14
	v_cmp_le_u32_e64 s0, v9, v15
	s_delay_alu instid0(VALU_DEP_1) | instskip(NEXT) | instid1(SALU_CYCLE_1)
	s_or_b32 s0, vcc_lo, s0
	s_and_saveexec_b32 s1, s0
	s_cbranch_execz .LBB390_462
; %bb.416:
	v_cmp_ge_u32_e32 vcc_lo, v8, v14
	s_mov_b32 s12, exec_lo
                                        ; implicit-def: $vgpr0_vgpr1
	v_cmpx_lt_u32_e64 v8, v14
	s_cbranch_execz .LBB390_418
; %bb.417:
	v_lshl_add_u32 v0, v17, 3, v18
	ds_load_b64 v[0:1], v0
.LBB390_418:
	s_or_b32 exec_lo, exec_lo, s12
	v_cmp_ge_u32_e64 s12, v9, v15
	s_mov_b32 s19, exec_lo
                                        ; implicit-def: $vgpr4_vgpr5
	v_cmpx_lt_u32_e64 v9, v15
	s_cbranch_execz .LBB390_420
; %bb.419:
	v_lshlrev_b32_e32 v2, 3, v9
	ds_load_b64 v[4:5], v2
.LBB390_420:
	s_or_b32 exec_lo, exec_lo, s19
	s_or_b32 s0, vcc_lo, s12
	s_mov_b32 s19, -1
	s_xor_b32 s0, s0, -1
	s_delay_alu instid0(SALU_CYCLE_1)
	s_and_saveexec_b32 s22, s0
	s_cbranch_execz .LBB390_429
; %bb.421:
	s_and_not1_b32 vcc_lo, exec_lo, s7
	s_cbranch_vccnz .LBB390_427
; %bb.422:
	s_waitcnt lgkmcnt(0)
	v_mul_lo_u32 v10, v5, s8
	v_mul_lo_u32 v11, v4, s9
	v_mad_u64_u32 v[2:3], null, v4, s8, 0
	v_mul_lo_u32 v17, v1, s8
	v_mul_lo_u32 v18, v0, s9
	v_mad_u64_u32 v[6:7], null, v0, s8, 0
	s_mov_b32 s23, 0
	s_mov_b64 s[20:21], s[8:9]
	s_delay_alu instid0(VALU_DEP_4) | instskip(NEXT) | instid1(VALU_DEP_2)
	v_add3_u32 v3, v3, v11, v10
                                        ; implicit-def: $sgpr24
                                        ; implicit-def: $sgpr25
                                        ; implicit-def: $sgpr26
                                        ; implicit-def: $sgpr27
                                        ; implicit-def: $sgpr28
	v_add3_u32 v7, v7, v18, v17
	s_delay_alu instid0(VALU_DEP_2) | instskip(NEXT) | instid1(VALU_DEP_2)
	v_lshlrev_b64 v[2:3], 2, v[2:3]
	v_lshlrev_b64 v[6:7], 2, v[6:7]
	s_delay_alu instid0(VALU_DEP_2) | instskip(NEXT) | instid1(VALU_DEP_3)
	v_add_co_u32 v2, vcc_lo, s10, v2
	v_add_co_ci_u32_e32 v3, vcc_lo, s11, v3, vcc_lo
	s_delay_alu instid0(VALU_DEP_3) | instskip(NEXT) | instid1(VALU_DEP_4)
	v_add_co_u32 v6, vcc_lo, s10, v6
	v_add_co_ci_u32_e32 v7, vcc_lo, s11, v7, vcc_lo
	s_set_inst_prefetch_distance 0x1
	s_branch .LBB390_424
	.p2align	6
.LBB390_423:                            ;   in Loop: Header=BB390_424 Depth=1
	s_or_b32 exec_lo, exec_lo, s0
	s_delay_alu instid0(SALU_CYCLE_1) | instskip(NEXT) | instid1(SALU_CYCLE_1)
	s_and_b32 s0, exec_lo, s25
	s_or_b32 s23, s0, s23
	s_and_not1_b32 s0, s28, exec_lo
	s_and_b32 s28, s27, exec_lo
	s_and_not1_b32 s24, s24, exec_lo
	s_and_b32 s29, s26, exec_lo
	s_or_b32 s28, s0, s28
	s_or_b32 s24, s24, s29
	s_and_not1_b32 exec_lo, exec_lo, s23
	s_cbranch_execz .LBB390_426
.LBB390_424:                            ; =>This Inner Loop Header: Depth=1
	global_load_b32 v10, v[2:3], off
	global_load_b32 v11, v[6:7], off
	s_and_not1_b32 s26, s26, exec_lo
	s_and_not1_b32 s27, s27, exec_lo
	s_or_b32 s25, s25, exec_lo
	s_waitcnt vmcnt(0)
	v_cmp_le_i32_e32 vcc_lo, v10, v11
	v_cmp_lt_i32_e64 s0, v10, v11
	s_and_b32 s29, vcc_lo, s28
	s_delay_alu instid0(VALU_DEP_1) | instid1(SALU_CYCLE_1)
	s_or_b32 s29, s0, s29
	s_delay_alu instid0(SALU_CYCLE_1) | instskip(NEXT) | instid1(SALU_CYCLE_1)
	s_and_b32 s0, s29, exec_lo
	s_or_b32 s26, s26, s0
	s_mov_b32 s0, exec_lo
	v_cmpx_eq_u32_e64 v10, v11
	s_cbranch_execz .LBB390_423
; %bb.425:                              ;   in Loop: Header=BB390_424 Depth=1
	s_add_u32 s20, s20, -1
	s_addc_u32 s21, s21, -1
	v_add_co_u32 v2, vcc_lo, v2, 4
	s_cmp_eq_u64 s[20:21], 0
	v_add_co_ci_u32_e32 v3, vcc_lo, 0, v3, vcc_lo
	v_add_co_u32 v6, vcc_lo, v6, 4
	s_cselect_b32 s28, -1, 0
	v_add_co_ci_u32_e32 v7, vcc_lo, 0, v7, vcc_lo
	s_and_not1_b32 s27, s27, exec_lo
	s_and_b32 s29, s29, exec_lo
	s_and_not1_b32 s25, s25, exec_lo
	s_and_b32 s28, s28, exec_lo
	s_or_b32 s27, s27, s29
	s_and_not1_b32 s26, s26, exec_lo
	s_or_b32 s25, s25, s28
                                        ; implicit-def: $sgpr28
	s_branch .LBB390_423
.LBB390_426:
	s_set_inst_prefetch_distance 0x2
	s_or_b32 exec_lo, exec_lo, s23
	s_xor_b32 s0, s24, -1
	s_branch .LBB390_428
.LBB390_427:
	s_mov_b32 s0, -1
.LBB390_428:
	s_and_not1_b32 s12, s12, exec_lo
	s_and_b32 s0, s0, exec_lo
	s_delay_alu instid0(SALU_CYCLE_1)
	s_or_b32 s12, s12, s0
.LBB390_429:
	s_or_b32 exec_lo, exec_lo, s22
	v_cndmask_b32_e64 v2, v9, v8, s12
	v_cndmask_b32_e64 v3, v15, v14, s12
	s_mov_b32 s22, exec_lo
	s_delay_alu instid0(VALU_DEP_2) | instskip(NEXT) | instid1(VALU_DEP_2)
	v_add_nc_u32_e32 v6, 1, v2
	v_add_nc_u32_e32 v2, -1, v3
	s_delay_alu instid0(VALU_DEP_2) | instskip(NEXT) | instid1(VALU_DEP_2)
	v_cndmask_b32_e64 v9, v6, v9, s12
	v_min_u32_e32 v2, v6, v2
	v_cndmask_b32_e64 v8, v8, v6, s12
	s_delay_alu instid0(VALU_DEP_2)
	v_lshlrev_b32_e32 v2, 3, v2
	ds_load_b64 v[2:3], v2
	s_waitcnt lgkmcnt(0)
	v_cndmask_b32_e64 v10, v3, v5, s12
	v_cndmask_b32_e64 v11, v2, v4, s12
	;; [unrolled: 1-line block ×4, first 2 shown]
	v_cmpx_lt_u32_e64 v9, v15
	s_cbranch_execz .LBB390_440
; %bb.430:
	s_mov_b32 s0, 0
	s_mov_b32 s19, exec_lo
	v_cmpx_lt_u32_e64 v8, v14
	s_cbranch_execz .LBB390_439
; %bb.431:
	s_and_not1_b32 vcc_lo, exec_lo, s7
	s_cbranch_vccnz .LBB390_437
; %bb.432:
	v_mul_lo_u32 v19, v10, s8
	v_mul_lo_u32 v20, v11, s9
	v_mad_u64_u32 v[2:3], null, v11, s8, 0
	v_mul_lo_u32 v21, v17, s8
	v_mul_lo_u32 v22, v18, s9
	v_mad_u64_u32 v[6:7], null, v18, s8, 0
	s_mov_b32 s23, 0
	s_mov_b64 s[20:21], s[8:9]
	s_delay_alu instid0(VALU_DEP_4) | instskip(NEXT) | instid1(VALU_DEP_2)
	v_add3_u32 v3, v3, v20, v19
                                        ; implicit-def: $sgpr24
                                        ; implicit-def: $sgpr25
                                        ; implicit-def: $sgpr26
                                        ; implicit-def: $sgpr27
                                        ; implicit-def: $sgpr28
	v_add3_u32 v7, v7, v22, v21
	s_delay_alu instid0(VALU_DEP_2) | instskip(NEXT) | instid1(VALU_DEP_2)
	v_lshlrev_b64 v[2:3], 2, v[2:3]
	v_lshlrev_b64 v[6:7], 2, v[6:7]
	s_delay_alu instid0(VALU_DEP_2) | instskip(NEXT) | instid1(VALU_DEP_3)
	v_add_co_u32 v2, vcc_lo, s10, v2
	v_add_co_ci_u32_e32 v3, vcc_lo, s11, v3, vcc_lo
	s_delay_alu instid0(VALU_DEP_3) | instskip(NEXT) | instid1(VALU_DEP_4)
	v_add_co_u32 v6, vcc_lo, s10, v6
	v_add_co_ci_u32_e32 v7, vcc_lo, s11, v7, vcc_lo
	s_set_inst_prefetch_distance 0x1
	s_branch .LBB390_434
	.p2align	6
.LBB390_433:                            ;   in Loop: Header=BB390_434 Depth=1
	s_or_b32 exec_lo, exec_lo, s0
	s_delay_alu instid0(SALU_CYCLE_1) | instskip(NEXT) | instid1(SALU_CYCLE_1)
	s_and_b32 s0, exec_lo, s25
	s_or_b32 s23, s0, s23
	s_and_not1_b32 s0, s28, exec_lo
	s_and_b32 s28, s27, exec_lo
	s_and_not1_b32 s24, s24, exec_lo
	s_and_b32 s29, s26, exec_lo
	s_or_b32 s28, s0, s28
	s_or_b32 s24, s24, s29
	s_and_not1_b32 exec_lo, exec_lo, s23
	s_cbranch_execz .LBB390_436
.LBB390_434:                            ; =>This Inner Loop Header: Depth=1
	global_load_b32 v19, v[2:3], off
	global_load_b32 v20, v[6:7], off
	s_and_not1_b32 s26, s26, exec_lo
	s_and_not1_b32 s27, s27, exec_lo
	s_or_b32 s25, s25, exec_lo
	s_waitcnt vmcnt(0)
	v_cmp_le_i32_e32 vcc_lo, v19, v20
	v_cmp_lt_i32_e64 s0, v19, v20
	s_and_b32 s29, vcc_lo, s28
	s_delay_alu instid0(VALU_DEP_1) | instid1(SALU_CYCLE_1)
	s_or_b32 s29, s0, s29
	s_delay_alu instid0(SALU_CYCLE_1) | instskip(NEXT) | instid1(SALU_CYCLE_1)
	s_and_b32 s0, s29, exec_lo
	s_or_b32 s26, s26, s0
	s_mov_b32 s0, exec_lo
	v_cmpx_eq_u32_e64 v19, v20
	s_cbranch_execz .LBB390_433
; %bb.435:                              ;   in Loop: Header=BB390_434 Depth=1
	s_add_u32 s20, s20, -1
	s_addc_u32 s21, s21, -1
	v_add_co_u32 v2, vcc_lo, v2, 4
	s_cmp_eq_u64 s[20:21], 0
	v_add_co_ci_u32_e32 v3, vcc_lo, 0, v3, vcc_lo
	v_add_co_u32 v6, vcc_lo, v6, 4
	s_cselect_b32 s28, -1, 0
	v_add_co_ci_u32_e32 v7, vcc_lo, 0, v7, vcc_lo
	s_and_not1_b32 s27, s27, exec_lo
	s_and_b32 s29, s29, exec_lo
	s_and_not1_b32 s25, s25, exec_lo
	s_and_b32 s28, s28, exec_lo
	s_or_b32 s27, s27, s29
	s_and_not1_b32 s26, s26, exec_lo
	s_or_b32 s25, s25, s28
                                        ; implicit-def: $sgpr28
	s_branch .LBB390_433
.LBB390_436:
	s_set_inst_prefetch_distance 0x2
	s_or_b32 exec_lo, exec_lo, s23
	s_xor_b32 s0, s24, -1
	s_branch .LBB390_438
.LBB390_437:
	s_mov_b32 s0, -1
.LBB390_438:
	s_delay_alu instid0(SALU_CYCLE_1)
	s_and_b32 s0, s0, exec_lo
.LBB390_439:
	s_or_b32 exec_lo, exec_lo, s19
	s_delay_alu instid0(SALU_CYCLE_1)
	s_or_not1_b32 s19, s0, exec_lo
.LBB390_440:
	s_or_b32 exec_lo, exec_lo, s22
	v_cndmask_b32_e64 v2, v9, v8, s19
	v_cndmask_b32_e64 v3, v15, v14, s19
	s_mov_b32 s0, -1
	s_mov_b32 s22, exec_lo
	s_delay_alu instid0(VALU_DEP_2) | instskip(NEXT) | instid1(VALU_DEP_2)
	v_add_nc_u32_e32 v6, 1, v2
	v_add_nc_u32_e32 v2, -1, v3
	s_delay_alu instid0(VALU_DEP_2) | instskip(NEXT) | instid1(VALU_DEP_2)
	v_cndmask_b32_e64 v22, v6, v9, s19
	v_min_u32_e32 v2, v6, v2
	v_cndmask_b32_e64 v19, v8, v6, s19
	s_delay_alu instid0(VALU_DEP_2)
	v_lshlrev_b32_e32 v2, 3, v2
	ds_load_b64 v[2:3], v2
	s_waitcnt lgkmcnt(0)
	v_cndmask_b32_e64 v20, v3, v10, s19
	v_cndmask_b32_e64 v21, v2, v11, s19
	;; [unrolled: 1-line block ×4, first 2 shown]
	v_cmpx_lt_u32_e64 v22, v15
	s_cbranch_execz .LBB390_451
; %bb.441:
	s_mov_b32 s0, 0
	s_mov_b32 s23, exec_lo
	v_cmpx_lt_u32_e64 v19, v14
	s_cbranch_execz .LBB390_450
; %bb.442:
	s_and_not1_b32 vcc_lo, exec_lo, s7
	s_cbranch_vccnz .LBB390_448
; %bb.443:
	v_mul_lo_u32 v8, v20, s8
	v_mul_lo_u32 v9, v21, s9
	v_mad_u64_u32 v[2:3], null, v21, s8, 0
	v_mul_lo_u32 v25, v23, s8
	v_mul_lo_u32 v40, v24, s9
	v_mad_u64_u32 v[6:7], null, v24, s8, 0
	s_mov_b32 s24, 0
	s_mov_b64 s[20:21], s[8:9]
	s_delay_alu instid0(VALU_DEP_4) | instskip(NEXT) | instid1(VALU_DEP_2)
	v_add3_u32 v3, v3, v9, v8
                                        ; implicit-def: $sgpr25
                                        ; implicit-def: $sgpr26
                                        ; implicit-def: $sgpr27
                                        ; implicit-def: $sgpr28
                                        ; implicit-def: $sgpr29
	v_add3_u32 v7, v7, v40, v25
	s_delay_alu instid0(VALU_DEP_2) | instskip(NEXT) | instid1(VALU_DEP_2)
	v_lshlrev_b64 v[2:3], 2, v[2:3]
	v_lshlrev_b64 v[6:7], 2, v[6:7]
	s_delay_alu instid0(VALU_DEP_2) | instskip(NEXT) | instid1(VALU_DEP_3)
	v_add_co_u32 v2, vcc_lo, s10, v2
	v_add_co_ci_u32_e32 v3, vcc_lo, s11, v3, vcc_lo
	s_delay_alu instid0(VALU_DEP_3) | instskip(NEXT) | instid1(VALU_DEP_4)
	v_add_co_u32 v6, vcc_lo, s10, v6
	v_add_co_ci_u32_e32 v7, vcc_lo, s11, v7, vcc_lo
	s_set_inst_prefetch_distance 0x1
	s_branch .LBB390_445
	.p2align	6
.LBB390_444:                            ;   in Loop: Header=BB390_445 Depth=1
	s_or_b32 exec_lo, exec_lo, s0
	s_delay_alu instid0(SALU_CYCLE_1) | instskip(NEXT) | instid1(SALU_CYCLE_1)
	s_and_b32 s0, exec_lo, s26
	s_or_b32 s24, s0, s24
	s_and_not1_b32 s0, s29, exec_lo
	s_and_b32 s29, s28, exec_lo
	s_and_not1_b32 s25, s25, exec_lo
	s_and_b32 s30, s27, exec_lo
	s_or_b32 s29, s0, s29
	s_or_b32 s25, s25, s30
	s_and_not1_b32 exec_lo, exec_lo, s24
	s_cbranch_execz .LBB390_447
.LBB390_445:                            ; =>This Inner Loop Header: Depth=1
	global_load_b32 v8, v[2:3], off
	global_load_b32 v9, v[6:7], off
	s_and_not1_b32 s27, s27, exec_lo
	s_and_not1_b32 s28, s28, exec_lo
	s_or_b32 s26, s26, exec_lo
	s_waitcnt vmcnt(0)
	v_cmp_le_i32_e32 vcc_lo, v8, v9
	v_cmp_lt_i32_e64 s0, v8, v9
	s_and_b32 s30, vcc_lo, s29
	s_delay_alu instid0(VALU_DEP_1) | instid1(SALU_CYCLE_1)
	s_or_b32 s30, s0, s30
	s_delay_alu instid0(SALU_CYCLE_1) | instskip(NEXT) | instid1(SALU_CYCLE_1)
	s_and_b32 s0, s30, exec_lo
	s_or_b32 s27, s27, s0
	s_mov_b32 s0, exec_lo
	v_cmpx_eq_u32_e64 v8, v9
	s_cbranch_execz .LBB390_444
; %bb.446:                              ;   in Loop: Header=BB390_445 Depth=1
	s_add_u32 s20, s20, -1
	s_addc_u32 s21, s21, -1
	v_add_co_u32 v2, vcc_lo, v2, 4
	s_cmp_eq_u64 s[20:21], 0
	v_add_co_ci_u32_e32 v3, vcc_lo, 0, v3, vcc_lo
	v_add_co_u32 v6, vcc_lo, v6, 4
	s_cselect_b32 s29, -1, 0
	v_add_co_ci_u32_e32 v7, vcc_lo, 0, v7, vcc_lo
	s_and_not1_b32 s28, s28, exec_lo
	s_and_b32 s30, s30, exec_lo
	s_and_not1_b32 s26, s26, exec_lo
	s_and_b32 s29, s29, exec_lo
	s_or_b32 s28, s28, s30
	s_and_not1_b32 s27, s27, exec_lo
	s_or_b32 s26, s26, s29
                                        ; implicit-def: $sgpr29
	s_branch .LBB390_444
.LBB390_447:
	s_set_inst_prefetch_distance 0x2
	s_or_b32 exec_lo, exec_lo, s24
	s_xor_b32 s0, s25, -1
	s_branch .LBB390_449
.LBB390_448:
	s_mov_b32 s0, -1
.LBB390_449:
	s_delay_alu instid0(SALU_CYCLE_1)
	s_and_b32 s0, s0, exec_lo
.LBB390_450:
	s_or_b32 exec_lo, exec_lo, s23
	s_delay_alu instid0(SALU_CYCLE_1)
	s_or_not1_b32 s0, s0, exec_lo
.LBB390_451:
	s_or_b32 exec_lo, exec_lo, s22
	v_cndmask_b32_e64 v2, v22, v19, s0
	v_cndmask_b32_e64 v3, v15, v14, s0
	;; [unrolled: 1-line block ×5, first 2 shown]
	v_add_nc_u32_e32 v25, 1, v2
	v_add_nc_u32_e32 v2, -1, v3
	v_cndmask_b32_e64 v3, v10, v17, s19
	v_cndmask_b32_e64 v4, v21, v24, s0
	s_mov_b32 s12, exec_lo
	v_cndmask_b32_e64 v10, v25, v22, s0
	v_min_u32_e32 v2, v25, v2
	s_delay_alu instid0(VALU_DEP_1)
	v_lshlrev_b32_e32 v2, 3, v2
	ds_load_b64 v[8:9], v2
	v_cndmask_b32_e64 v2, v11, v18, s19
	s_waitcnt lgkmcnt(0)
	v_cndmask_b32_e64 v7, v23, v9, s0
	v_cndmask_b32_e64 v6, v24, v8, s0
	v_cmpx_lt_u32_e64 v10, v15
	s_cbranch_execz .LBB390_461
; %bb.452:
	v_cndmask_b32_e64 v10, v19, v25, s0
	v_cndmask_b32_e64 v9, v9, v20, s0
	;; [unrolled: 1-line block ×3, first 2 shown]
	s_mov_b32 s19, exec_lo
	s_delay_alu instid0(VALU_DEP_3)
	v_cmpx_lt_u32_e64 v10, v14
	s_cbranch_execz .LBB390_460
; %bb.453:
	s_and_not1_b32 vcc_lo, exec_lo, s7
	s_cbranch_vccnz .LBB390_459
; %bb.454:
	v_mul_lo_u32 v17, v9, s8
	v_mul_lo_u32 v18, v8, s9
	v_mad_u64_u32 v[10:11], null, v8, s8, 0
	v_mul_lo_u32 v19, v7, s8
	v_mul_lo_u32 v20, v6, s9
	v_mad_u64_u32 v[14:15], null, v6, s8, 0
	s_mov_b32 s22, 0
	s_mov_b64 s[20:21], s[8:9]
	s_delay_alu instid0(VALU_DEP_4) | instskip(NEXT) | instid1(VALU_DEP_2)
	v_add3_u32 v11, v11, v18, v17
                                        ; implicit-def: $sgpr23
                                        ; implicit-def: $sgpr24
                                        ; implicit-def: $sgpr25
                                        ; implicit-def: $sgpr26
                                        ; implicit-def: $sgpr27
	v_add3_u32 v15, v15, v20, v19
	s_delay_alu instid0(VALU_DEP_2) | instskip(NEXT) | instid1(VALU_DEP_2)
	v_lshlrev_b64 v[10:11], 2, v[10:11]
	v_lshlrev_b64 v[14:15], 2, v[14:15]
	s_delay_alu instid0(VALU_DEP_2) | instskip(NEXT) | instid1(VALU_DEP_3)
	v_add_co_u32 v10, vcc_lo, s10, v10
	v_add_co_ci_u32_e32 v11, vcc_lo, s11, v11, vcc_lo
	s_delay_alu instid0(VALU_DEP_3) | instskip(NEXT) | instid1(VALU_DEP_4)
	v_add_co_u32 v14, vcc_lo, s10, v14
	v_add_co_ci_u32_e32 v15, vcc_lo, s11, v15, vcc_lo
	s_set_inst_prefetch_distance 0x1
	s_branch .LBB390_456
	.p2align	6
.LBB390_455:                            ;   in Loop: Header=BB390_456 Depth=1
	s_or_b32 exec_lo, exec_lo, s0
	s_delay_alu instid0(SALU_CYCLE_1) | instskip(NEXT) | instid1(SALU_CYCLE_1)
	s_and_b32 s0, exec_lo, s24
	s_or_b32 s22, s0, s22
	s_and_not1_b32 s0, s27, exec_lo
	s_and_b32 s27, s26, exec_lo
	s_and_not1_b32 s23, s23, exec_lo
	s_and_b32 s28, s25, exec_lo
	s_or_b32 s27, s0, s27
	s_or_b32 s23, s23, s28
	s_and_not1_b32 exec_lo, exec_lo, s22
	s_cbranch_execz .LBB390_458
.LBB390_456:                            ; =>This Inner Loop Header: Depth=1
	global_load_b32 v17, v[10:11], off
	global_load_b32 v18, v[14:15], off
	s_and_not1_b32 s25, s25, exec_lo
	s_and_not1_b32 s26, s26, exec_lo
	s_or_b32 s24, s24, exec_lo
	s_waitcnt vmcnt(0)
	v_cmp_le_i32_e32 vcc_lo, v17, v18
	v_cmp_lt_i32_e64 s0, v17, v18
	s_and_b32 s28, vcc_lo, s27
	s_delay_alu instid0(VALU_DEP_1) | instid1(SALU_CYCLE_1)
	s_or_b32 s28, s0, s28
	s_delay_alu instid0(SALU_CYCLE_1) | instskip(NEXT) | instid1(SALU_CYCLE_1)
	s_and_b32 s0, s28, exec_lo
	s_or_b32 s25, s25, s0
	s_mov_b32 s0, exec_lo
	v_cmpx_eq_u32_e64 v17, v18
	s_cbranch_execz .LBB390_455
; %bb.457:                              ;   in Loop: Header=BB390_456 Depth=1
	s_add_u32 s20, s20, -1
	s_addc_u32 s21, s21, -1
	v_add_co_u32 v10, vcc_lo, v10, 4
	s_cmp_eq_u64 s[20:21], 0
	v_add_co_ci_u32_e32 v11, vcc_lo, 0, v11, vcc_lo
	v_add_co_u32 v14, vcc_lo, v14, 4
	s_cselect_b32 s27, -1, 0
	v_add_co_ci_u32_e32 v15, vcc_lo, 0, v15, vcc_lo
	s_and_not1_b32 s26, s26, exec_lo
	s_and_b32 s28, s28, exec_lo
	s_and_not1_b32 s24, s24, exec_lo
	s_and_b32 s27, s27, exec_lo
	s_or_b32 s26, s26, s28
	s_and_not1_b32 s25, s25, exec_lo
	s_or_b32 s24, s24, s27
                                        ; implicit-def: $sgpr27
	s_branch .LBB390_455
.LBB390_458:
	s_set_inst_prefetch_distance 0x2
	s_or_b32 exec_lo, exec_lo, s22
	v_cndmask_b32_e64 v7, v7, v9, s23
	v_cndmask_b32_e64 v6, v6, v8, s23
.LBB390_459:
	s_delay_alu instid0(VALU_DEP_1)
	v_dual_mov_b32 v9, v7 :: v_dual_mov_b32 v8, v6
.LBB390_460:
	s_or_b32 exec_lo, exec_lo, s19
	s_delay_alu instid0(VALU_DEP_1)
	v_dual_mov_b32 v6, v8 :: v_dual_mov_b32 v7, v9
.LBB390_461:
	s_or_b32 exec_lo, exec_lo, s12
.LBB390_462:
	s_delay_alu instid0(SALU_CYCLE_1) | instskip(SKIP_4) | instid1(VALU_DEP_2)
	s_or_b32 exec_lo, exec_lo, s1
	v_and_b32_e32 v18, 0xc00, v27
	v_and_b32_e32 v19, 0x3fc, v27
	s_mov_b32 s1, exec_lo
	s_barrier
	v_or_b32_e32 v8, 0x200, v18
	v_lshlrev_b32_e32 v17, 3, v18
	buffer_gl0_inv
	ds_store_b128 v16, v[0:3]
	ds_store_b128 v16, v[4:7] offset:16
	s_waitcnt lgkmcnt(0)
	v_min_u32_e32 v14, 0x400, v8
	s_barrier
	buffer_gl0_inv
	v_sub_nc_u32_e32 v8, 0x400, v14
	v_sub_nc_u32_e32 v9, v14, v18
	s_delay_alu instid0(VALU_DEP_2) | instskip(NEXT) | instid1(VALU_DEP_2)
	v_sub_nc_u32_e64 v15, v19, v8 clamp
	v_min_u32_e32 v20, v19, v9
	s_delay_alu instid0(VALU_DEP_1)
	v_cmpx_lt_u32_e64 v15, v20
	s_cbranch_execz .LBB390_472
; %bb.463:
	v_lshlrev_b32_e32 v8, 3, v19
	s_lshl_b64 s[20:21], s[8:9], 2
	s_mov_b32 s12, 0
	s_delay_alu instid0(VALU_DEP_1)
	v_lshl_add_u32 v16, v14, 3, v8
	s_branch .LBB390_466
.LBB390_464:                            ;   in Loop: Header=BB390_466 Depth=1
	s_set_inst_prefetch_distance 0x2
	s_or_b32 exec_lo, exec_lo, s19
.LBB390_465:                            ;   in Loop: Header=BB390_466 Depth=1
	s_delay_alu instid0(VALU_DEP_1) | instskip(SKIP_1) | instid1(VALU_DEP_2)
	v_add_nc_u32_e32 v8, 1, v21
	v_cndmask_b32_e64 v20, v20, v21, s24
	v_cndmask_b32_e64 v15, v8, v15, s24
	s_delay_alu instid0(VALU_DEP_1) | instskip(SKIP_1) | instid1(SALU_CYCLE_1)
	v_cmp_ge_u32_e32 vcc_lo, v15, v20
	s_or_b32 s12, vcc_lo, s12
	s_and_not1_b32 exec_lo, exec_lo, s12
	s_cbranch_execz .LBB390_471
.LBB390_466:                            ; =>This Loop Header: Depth=1
                                        ;     Child Loop BB390_469 Depth 2
	v_add_nc_u32_e32 v8, v20, v15
	s_and_not1_b32 vcc_lo, exec_lo, s7
	s_mov_b32 s24, 0
	s_delay_alu instid0(VALU_DEP_1)
	v_lshrrev_b32_e32 v21, 1, v8
	s_cbranch_vccnz .LBB390_465
; %bb.467:                              ;   in Loop: Header=BB390_466 Depth=1
	s_delay_alu instid0(VALU_DEP_1) | instskip(SKIP_3) | instid1(VALU_DEP_2)
	v_not_b32_e32 v8, v21
	v_lshl_add_u32 v9, v21, 3, v17
	s_mov_b32 s19, 0
	s_mov_b64 s[22:23], s[8:9]
                                        ; implicit-def: $sgpr24
                                        ; implicit-def: $sgpr25
                                        ; implicit-def: $sgpr26
                                        ; implicit-def: $sgpr27
                                        ; implicit-def: $sgpr28
	v_lshl_add_u32 v8, v8, 3, v16
	ds_load_b64 v[10:11], v8
	ds_load_b64 v[22:23], v9
	s_waitcnt lgkmcnt(1)
	v_mul_lo_u32 v24, s20, v11
	v_mul_lo_u32 v25, s21, v10
	v_mad_u64_u32 v[8:9], null, s20, v10, s[10:11]
	s_waitcnt lgkmcnt(0)
	v_mul_lo_u32 v23, s20, v23
	v_mul_lo_u32 v40, s21, v22
	v_mad_u64_u32 v[10:11], null, s20, v22, s[10:11]
	s_delay_alu instid0(VALU_DEP_4) | instskip(NEXT) | instid1(VALU_DEP_2)
	v_add3_u32 v9, v25, v9, v24
	v_add3_u32 v11, v40, v11, v23
	s_set_inst_prefetch_distance 0x1
	s_branch .LBB390_469
	.p2align	6
.LBB390_468:                            ;   in Loop: Header=BB390_469 Depth=2
	s_or_b32 exec_lo, exec_lo, s29
	s_delay_alu instid0(SALU_CYCLE_1) | instskip(NEXT) | instid1(SALU_CYCLE_1)
	s_and_b32 s0, exec_lo, s25
	s_or_b32 s19, s0, s19
	s_and_not1_b32 s0, s28, exec_lo
	s_and_b32 s28, s26, exec_lo
	s_and_not1_b32 s24, s24, exec_lo
	s_and_b32 s29, s27, exec_lo
	s_or_b32 s28, s0, s28
	s_or_b32 s24, s24, s29
	s_and_not1_b32 exec_lo, exec_lo, s19
	s_cbranch_execz .LBB390_464
.LBB390_469:                            ;   Parent Loop BB390_466 Depth=1
                                        ; =>  This Inner Loop Header: Depth=2
	global_load_b32 v22, v[8:9], off
	global_load_b32 v23, v[10:11], off
	s_and_not1_b32 s27, s27, exec_lo
	s_and_not1_b32 s26, s26, exec_lo
	s_or_b32 s25, s25, exec_lo
	s_waitcnt vmcnt(0)
	v_cmp_le_i32_e32 vcc_lo, v22, v23
	v_cmp_lt_i32_e64 s0, v22, v23
	s_and_b32 s29, vcc_lo, s28
	s_delay_alu instid0(VALU_DEP_1) | instid1(SALU_CYCLE_1)
	s_or_b32 s0, s0, s29
	s_delay_alu instid0(SALU_CYCLE_1) | instskip(NEXT) | instid1(SALU_CYCLE_1)
	s_and_b32 s29, s0, exec_lo
	s_or_b32 s27, s27, s29
	s_mov_b32 s29, exec_lo
	v_cmpx_eq_u32_e64 v22, v23
	s_cbranch_execz .LBB390_468
; %bb.470:                              ;   in Loop: Header=BB390_469 Depth=2
	s_add_u32 s22, s22, -1
	s_addc_u32 s23, s23, -1
	v_add_co_u32 v8, vcc_lo, v8, 4
	v_add_co_ci_u32_e32 v9, vcc_lo, 0, v9, vcc_lo
	s_cmp_eq_u64 s[22:23], 0
	v_add_co_u32 v10, vcc_lo, v10, 4
	s_cselect_b32 s28, -1, 0
	v_add_co_ci_u32_e32 v11, vcc_lo, 0, v11, vcc_lo
	s_and_not1_b32 s26, s26, exec_lo
	s_and_b32 s0, s0, exec_lo
	s_and_not1_b32 s25, s25, exec_lo
	s_and_b32 s28, s28, exec_lo
	s_and_not1_b32 s27, s27, exec_lo
	s_or_b32 s26, s26, s0
	s_or_b32 s25, s25, s28
                                        ; implicit-def: $sgpr28
	s_branch .LBB390_468
.LBB390_471:
	s_or_b32 exec_lo, exec_lo, s12
.LBB390_472:
	s_delay_alu instid0(SALU_CYCLE_1) | instskip(SKIP_2) | instid1(VALU_DEP_2)
	s_or_b32 exec_lo, exec_lo, s1
	v_sub_nc_u32_e32 v8, v19, v15
	v_add_nc_u32_e32 v9, v15, v18
	v_add_nc_u32_e32 v10, v8, v14
	s_delay_alu instid0(VALU_DEP_2) | instskip(NEXT) | instid1(VALU_DEP_2)
	v_cmp_le_u32_e32 vcc_lo, v9, v14
	v_cmp_gt_u32_e64 s0, 0x401, v10
	s_delay_alu instid0(VALU_DEP_1) | instskip(NEXT) | instid1(SALU_CYCLE_1)
	s_or_b32 s0, vcc_lo, s0
	s_and_saveexec_b32 s1, s0
	s_cbranch_execz .LBB390_519
; %bb.473:
	v_cmp_ge_u32_e32 vcc_lo, v9, v14
	s_mov_b32 s12, exec_lo
                                        ; implicit-def: $vgpr0_vgpr1
	v_cmpx_lt_u32_e64 v9, v14
	s_cbranch_execz .LBB390_475
; %bb.474:
	v_lshl_add_u32 v0, v15, 3, v17
	ds_load_b64 v[0:1], v0
.LBB390_475:
	s_or_b32 exec_lo, exec_lo, s12
	v_cmp_lt_u32_e64 s12, 0x3ff, v10
	s_mov_b32 s19, exec_lo
                                        ; implicit-def: $vgpr4_vgpr5
	v_cmpx_gt_u32_e32 0x400, v10
	s_cbranch_execz .LBB390_477
; %bb.476:
	v_lshlrev_b32_e32 v2, 3, v10
	ds_load_b64 v[4:5], v2
.LBB390_477:
	s_or_b32 exec_lo, exec_lo, s19
	s_or_b32 s0, vcc_lo, s12
	s_mov_b32 s19, -1
	s_xor_b32 s0, s0, -1
	s_delay_alu instid0(SALU_CYCLE_1)
	s_and_saveexec_b32 s22, s0
	s_cbranch_execz .LBB390_486
; %bb.478:
	s_and_not1_b32 vcc_lo, exec_lo, s7
	s_cbranch_vccnz .LBB390_484
; %bb.479:
	s_waitcnt lgkmcnt(0)
	v_mul_lo_u32 v8, v5, s8
	v_mul_lo_u32 v11, v4, s9
	v_mad_u64_u32 v[2:3], null, v4, s8, 0
	v_mul_lo_u32 v15, v1, s8
	v_mul_lo_u32 v16, v0, s9
	v_mad_u64_u32 v[6:7], null, v0, s8, 0
	s_mov_b32 s23, 0
	s_mov_b64 s[20:21], s[8:9]
	s_delay_alu instid0(VALU_DEP_4) | instskip(NEXT) | instid1(VALU_DEP_2)
	v_add3_u32 v3, v3, v11, v8
                                        ; implicit-def: $sgpr24
                                        ; implicit-def: $sgpr25
                                        ; implicit-def: $sgpr26
                                        ; implicit-def: $sgpr27
                                        ; implicit-def: $sgpr28
	v_add3_u32 v7, v7, v16, v15
	s_delay_alu instid0(VALU_DEP_2) | instskip(NEXT) | instid1(VALU_DEP_2)
	v_lshlrev_b64 v[2:3], 2, v[2:3]
	v_lshlrev_b64 v[6:7], 2, v[6:7]
	s_delay_alu instid0(VALU_DEP_2) | instskip(NEXT) | instid1(VALU_DEP_3)
	v_add_co_u32 v2, vcc_lo, s10, v2
	v_add_co_ci_u32_e32 v3, vcc_lo, s11, v3, vcc_lo
	s_delay_alu instid0(VALU_DEP_3) | instskip(NEXT) | instid1(VALU_DEP_4)
	v_add_co_u32 v6, vcc_lo, s10, v6
	v_add_co_ci_u32_e32 v7, vcc_lo, s11, v7, vcc_lo
	s_set_inst_prefetch_distance 0x1
	s_branch .LBB390_481
	.p2align	6
.LBB390_480:                            ;   in Loop: Header=BB390_481 Depth=1
	s_or_b32 exec_lo, exec_lo, s0
	s_delay_alu instid0(SALU_CYCLE_1) | instskip(NEXT) | instid1(SALU_CYCLE_1)
	s_and_b32 s0, exec_lo, s25
	s_or_b32 s23, s0, s23
	s_and_not1_b32 s0, s28, exec_lo
	s_and_b32 s28, s27, exec_lo
	s_and_not1_b32 s24, s24, exec_lo
	s_and_b32 s29, s26, exec_lo
	s_or_b32 s28, s0, s28
	s_or_b32 s24, s24, s29
	s_and_not1_b32 exec_lo, exec_lo, s23
	s_cbranch_execz .LBB390_483
.LBB390_481:                            ; =>This Inner Loop Header: Depth=1
	global_load_b32 v8, v[2:3], off
	global_load_b32 v11, v[6:7], off
	s_and_not1_b32 s26, s26, exec_lo
	s_and_not1_b32 s27, s27, exec_lo
	s_or_b32 s25, s25, exec_lo
	s_waitcnt vmcnt(0)
	v_cmp_le_i32_e32 vcc_lo, v8, v11
	v_cmp_lt_i32_e64 s0, v8, v11
	s_and_b32 s29, vcc_lo, s28
	s_delay_alu instid0(VALU_DEP_1) | instid1(SALU_CYCLE_1)
	s_or_b32 s29, s0, s29
	s_delay_alu instid0(SALU_CYCLE_1) | instskip(NEXT) | instid1(SALU_CYCLE_1)
	s_and_b32 s0, s29, exec_lo
	s_or_b32 s26, s26, s0
	s_mov_b32 s0, exec_lo
	v_cmpx_eq_u32_e64 v8, v11
	s_cbranch_execz .LBB390_480
; %bb.482:                              ;   in Loop: Header=BB390_481 Depth=1
	s_add_u32 s20, s20, -1
	s_addc_u32 s21, s21, -1
	v_add_co_u32 v2, vcc_lo, v2, 4
	s_cmp_eq_u64 s[20:21], 0
	v_add_co_ci_u32_e32 v3, vcc_lo, 0, v3, vcc_lo
	v_add_co_u32 v6, vcc_lo, v6, 4
	s_cselect_b32 s28, -1, 0
	v_add_co_ci_u32_e32 v7, vcc_lo, 0, v7, vcc_lo
	s_and_not1_b32 s27, s27, exec_lo
	s_and_b32 s29, s29, exec_lo
	s_and_not1_b32 s25, s25, exec_lo
	s_and_b32 s28, s28, exec_lo
	s_or_b32 s27, s27, s29
	s_and_not1_b32 s26, s26, exec_lo
	s_or_b32 s25, s25, s28
                                        ; implicit-def: $sgpr28
	s_branch .LBB390_480
.LBB390_483:
	s_set_inst_prefetch_distance 0x2
	s_or_b32 exec_lo, exec_lo, s23
	s_xor_b32 s0, s24, -1
	s_branch .LBB390_485
.LBB390_484:
	s_mov_b32 s0, -1
.LBB390_485:
	s_and_not1_b32 s12, s12, exec_lo
	s_and_b32 s0, s0, exec_lo
	s_delay_alu instid0(SALU_CYCLE_1)
	s_or_b32 s12, s12, s0
.LBB390_486:
	s_or_b32 exec_lo, exec_lo, s22
	v_cndmask_b32_e64 v2, v10, v9, s12
	v_add_nc_u32_e32 v8, -1, v14
	s_mov_b32 s22, exec_lo
	s_delay_alu instid0(VALU_DEP_2) | instskip(NEXT) | instid1(VALU_DEP_2)
	v_add_nc_u32_e32 v6, 1, v2
	v_cndmask_b32_e64 v2, 0x3ff, v8, s12
	s_delay_alu instid0(VALU_DEP_2) | instskip(NEXT) | instid1(VALU_DEP_2)
	v_cndmask_b32_e64 v17, v6, v10, s12
	v_min_u32_e32 v2, v6, v2
	v_cndmask_b32_e64 v9, v9, v6, s12
	s_delay_alu instid0(VALU_DEP_2)
	v_lshlrev_b32_e32 v2, 3, v2
	ds_load_b64 v[2:3], v2
	s_waitcnt lgkmcnt(0)
	v_cndmask_b32_e64 v10, v3, v5, s12
	v_cndmask_b32_e64 v11, v2, v4, s12
	v_cndmask_b32_e64 v15, v1, v3, s12
	v_cndmask_b32_e64 v16, v0, v2, s12
	v_cmpx_gt_u32_e32 0x400, v17
	s_cbranch_execz .LBB390_497
; %bb.487:
	s_mov_b32 s0, 0
	s_mov_b32 s19, exec_lo
	v_cmpx_lt_u32_e64 v9, v14
	s_cbranch_execz .LBB390_496
; %bb.488:
	s_and_not1_b32 vcc_lo, exec_lo, s7
	s_cbranch_vccnz .LBB390_494
; %bb.489:
	v_mul_lo_u32 v18, v10, s8
	v_mul_lo_u32 v19, v11, s9
	v_mad_u64_u32 v[2:3], null, v11, s8, 0
	v_mul_lo_u32 v20, v15, s8
	v_mul_lo_u32 v21, v16, s9
	v_mad_u64_u32 v[6:7], null, v16, s8, 0
	s_mov_b32 s23, 0
	s_mov_b64 s[20:21], s[8:9]
	s_delay_alu instid0(VALU_DEP_4) | instskip(NEXT) | instid1(VALU_DEP_2)
	v_add3_u32 v3, v3, v19, v18
                                        ; implicit-def: $sgpr24
                                        ; implicit-def: $sgpr25
                                        ; implicit-def: $sgpr26
                                        ; implicit-def: $sgpr27
                                        ; implicit-def: $sgpr28
	v_add3_u32 v7, v7, v21, v20
	s_delay_alu instid0(VALU_DEP_2) | instskip(NEXT) | instid1(VALU_DEP_2)
	v_lshlrev_b64 v[2:3], 2, v[2:3]
	v_lshlrev_b64 v[6:7], 2, v[6:7]
	s_delay_alu instid0(VALU_DEP_2) | instskip(NEXT) | instid1(VALU_DEP_3)
	v_add_co_u32 v2, vcc_lo, s10, v2
	v_add_co_ci_u32_e32 v3, vcc_lo, s11, v3, vcc_lo
	s_delay_alu instid0(VALU_DEP_3) | instskip(NEXT) | instid1(VALU_DEP_4)
	v_add_co_u32 v6, vcc_lo, s10, v6
	v_add_co_ci_u32_e32 v7, vcc_lo, s11, v7, vcc_lo
	s_set_inst_prefetch_distance 0x1
	s_branch .LBB390_491
	.p2align	6
.LBB390_490:                            ;   in Loop: Header=BB390_491 Depth=1
	s_or_b32 exec_lo, exec_lo, s0
	s_delay_alu instid0(SALU_CYCLE_1) | instskip(NEXT) | instid1(SALU_CYCLE_1)
	s_and_b32 s0, exec_lo, s25
	s_or_b32 s23, s0, s23
	s_and_not1_b32 s0, s28, exec_lo
	s_and_b32 s28, s27, exec_lo
	s_and_not1_b32 s24, s24, exec_lo
	s_and_b32 s29, s26, exec_lo
	s_or_b32 s28, s0, s28
	s_or_b32 s24, s24, s29
	s_and_not1_b32 exec_lo, exec_lo, s23
	s_cbranch_execz .LBB390_493
.LBB390_491:                            ; =>This Inner Loop Header: Depth=1
	global_load_b32 v18, v[2:3], off
	global_load_b32 v19, v[6:7], off
	s_and_not1_b32 s26, s26, exec_lo
	s_and_not1_b32 s27, s27, exec_lo
	s_or_b32 s25, s25, exec_lo
	s_waitcnt vmcnt(0)
	v_cmp_le_i32_e32 vcc_lo, v18, v19
	v_cmp_lt_i32_e64 s0, v18, v19
	s_and_b32 s29, vcc_lo, s28
	s_delay_alu instid0(VALU_DEP_1) | instid1(SALU_CYCLE_1)
	s_or_b32 s29, s0, s29
	s_delay_alu instid0(SALU_CYCLE_1) | instskip(NEXT) | instid1(SALU_CYCLE_1)
	s_and_b32 s0, s29, exec_lo
	s_or_b32 s26, s26, s0
	s_mov_b32 s0, exec_lo
	v_cmpx_eq_u32_e64 v18, v19
	s_cbranch_execz .LBB390_490
; %bb.492:                              ;   in Loop: Header=BB390_491 Depth=1
	s_add_u32 s20, s20, -1
	s_addc_u32 s21, s21, -1
	v_add_co_u32 v2, vcc_lo, v2, 4
	s_cmp_eq_u64 s[20:21], 0
	v_add_co_ci_u32_e32 v3, vcc_lo, 0, v3, vcc_lo
	v_add_co_u32 v6, vcc_lo, v6, 4
	s_cselect_b32 s28, -1, 0
	v_add_co_ci_u32_e32 v7, vcc_lo, 0, v7, vcc_lo
	s_and_not1_b32 s27, s27, exec_lo
	s_and_b32 s29, s29, exec_lo
	s_and_not1_b32 s25, s25, exec_lo
	s_and_b32 s28, s28, exec_lo
	s_or_b32 s27, s27, s29
	s_and_not1_b32 s26, s26, exec_lo
	s_or_b32 s25, s25, s28
                                        ; implicit-def: $sgpr28
	s_branch .LBB390_490
.LBB390_493:
	s_set_inst_prefetch_distance 0x2
	s_or_b32 exec_lo, exec_lo, s23
	s_xor_b32 s0, s24, -1
	s_branch .LBB390_495
.LBB390_494:
	s_mov_b32 s0, -1
.LBB390_495:
	s_delay_alu instid0(SALU_CYCLE_1)
	s_and_b32 s0, s0, exec_lo
.LBB390_496:
	s_or_b32 exec_lo, exec_lo, s19
	s_delay_alu instid0(SALU_CYCLE_1)
	s_or_not1_b32 s19, s0, exec_lo
.LBB390_497:
	s_or_b32 exec_lo, exec_lo, s22
	v_cndmask_b32_e64 v2, v17, v9, s19
	v_cndmask_b32_e64 v3, 0x3ff, v8, s19
	s_mov_b32 s0, -1
	s_mov_b32 s22, exec_lo
	s_delay_alu instid0(VALU_DEP_2) | instskip(NEXT) | instid1(VALU_DEP_1)
	v_add_nc_u32_e32 v6, 1, v2
	v_min_u32_e32 v2, v6, v3
	v_cndmask_b32_e64 v20, v6, v17, s19
	v_cndmask_b32_e64 v17, v9, v6, s19
	s_delay_alu instid0(VALU_DEP_3)
	v_lshlrev_b32_e32 v2, 3, v2
	ds_load_b64 v[2:3], v2
	s_waitcnt lgkmcnt(0)
	v_cndmask_b32_e64 v18, v3, v10, s19
	v_cndmask_b32_e64 v19, v2, v11, s19
	;; [unrolled: 1-line block ×4, first 2 shown]
	v_cmpx_gt_u32_e32 0x400, v20
	s_cbranch_execz .LBB390_508
; %bb.498:
	s_mov_b32 s0, 0
	s_mov_b32 s23, exec_lo
	v_cmpx_lt_u32_e64 v17, v14
	s_cbranch_execz .LBB390_507
; %bb.499:
	s_and_not1_b32 vcc_lo, exec_lo, s7
	s_cbranch_vccnz .LBB390_505
; %bb.500:
	v_mul_lo_u32 v9, v18, s8
	v_mul_lo_u32 v23, v19, s9
	v_mad_u64_u32 v[2:3], null, v19, s8, 0
	v_mul_lo_u32 v24, v21, s8
	v_mul_lo_u32 v25, v22, s9
	v_mad_u64_u32 v[6:7], null, v22, s8, 0
	s_mov_b32 s24, 0
	s_mov_b64 s[20:21], s[8:9]
	s_delay_alu instid0(VALU_DEP_4) | instskip(NEXT) | instid1(VALU_DEP_2)
	v_add3_u32 v3, v3, v23, v9
                                        ; implicit-def: $sgpr25
                                        ; implicit-def: $sgpr26
                                        ; implicit-def: $sgpr27
                                        ; implicit-def: $sgpr28
                                        ; implicit-def: $sgpr29
	v_add3_u32 v7, v7, v25, v24
	s_delay_alu instid0(VALU_DEP_2) | instskip(NEXT) | instid1(VALU_DEP_2)
	v_lshlrev_b64 v[2:3], 2, v[2:3]
	v_lshlrev_b64 v[6:7], 2, v[6:7]
	s_delay_alu instid0(VALU_DEP_2) | instskip(NEXT) | instid1(VALU_DEP_3)
	v_add_co_u32 v2, vcc_lo, s10, v2
	v_add_co_ci_u32_e32 v3, vcc_lo, s11, v3, vcc_lo
	s_delay_alu instid0(VALU_DEP_3) | instskip(NEXT) | instid1(VALU_DEP_4)
	v_add_co_u32 v6, vcc_lo, s10, v6
	v_add_co_ci_u32_e32 v7, vcc_lo, s11, v7, vcc_lo
	s_set_inst_prefetch_distance 0x1
	s_branch .LBB390_502
	.p2align	6
.LBB390_501:                            ;   in Loop: Header=BB390_502 Depth=1
	s_or_b32 exec_lo, exec_lo, s0
	s_delay_alu instid0(SALU_CYCLE_1) | instskip(NEXT) | instid1(SALU_CYCLE_1)
	s_and_b32 s0, exec_lo, s26
	s_or_b32 s24, s0, s24
	s_and_not1_b32 s0, s29, exec_lo
	s_and_b32 s29, s28, exec_lo
	s_and_not1_b32 s25, s25, exec_lo
	s_and_b32 s30, s27, exec_lo
	s_or_b32 s29, s0, s29
	s_or_b32 s25, s25, s30
	s_and_not1_b32 exec_lo, exec_lo, s24
	s_cbranch_execz .LBB390_504
.LBB390_502:                            ; =>This Inner Loop Header: Depth=1
	global_load_b32 v9, v[2:3], off
	global_load_b32 v23, v[6:7], off
	s_and_not1_b32 s27, s27, exec_lo
	s_and_not1_b32 s28, s28, exec_lo
	s_or_b32 s26, s26, exec_lo
	s_waitcnt vmcnt(0)
	v_cmp_le_i32_e32 vcc_lo, v9, v23
	v_cmp_lt_i32_e64 s0, v9, v23
	s_and_b32 s30, vcc_lo, s29
	s_delay_alu instid0(VALU_DEP_1) | instid1(SALU_CYCLE_1)
	s_or_b32 s30, s0, s30
	s_delay_alu instid0(SALU_CYCLE_1) | instskip(NEXT) | instid1(SALU_CYCLE_1)
	s_and_b32 s0, s30, exec_lo
	s_or_b32 s27, s27, s0
	s_mov_b32 s0, exec_lo
	v_cmpx_eq_u32_e64 v9, v23
	s_cbranch_execz .LBB390_501
; %bb.503:                              ;   in Loop: Header=BB390_502 Depth=1
	s_add_u32 s20, s20, -1
	s_addc_u32 s21, s21, -1
	v_add_co_u32 v2, vcc_lo, v2, 4
	s_cmp_eq_u64 s[20:21], 0
	v_add_co_ci_u32_e32 v3, vcc_lo, 0, v3, vcc_lo
	v_add_co_u32 v6, vcc_lo, v6, 4
	s_cselect_b32 s29, -1, 0
	v_add_co_ci_u32_e32 v7, vcc_lo, 0, v7, vcc_lo
	s_and_not1_b32 s28, s28, exec_lo
	s_and_b32 s30, s30, exec_lo
	s_and_not1_b32 s26, s26, exec_lo
	s_and_b32 s29, s29, exec_lo
	s_or_b32 s28, s28, s30
	s_and_not1_b32 s27, s27, exec_lo
	s_or_b32 s26, s26, s29
                                        ; implicit-def: $sgpr29
	s_branch .LBB390_501
.LBB390_504:
	s_set_inst_prefetch_distance 0x2
	s_or_b32 exec_lo, exec_lo, s24
	s_xor_b32 s0, s25, -1
	s_branch .LBB390_506
.LBB390_505:
	s_mov_b32 s0, -1
.LBB390_506:
	s_delay_alu instid0(SALU_CYCLE_1)
	s_and_b32 s0, s0, exec_lo
.LBB390_507:
	s_or_b32 exec_lo, exec_lo, s23
	s_delay_alu instid0(SALU_CYCLE_1)
	s_or_not1_b32 s0, s0, exec_lo
.LBB390_508:
	s_or_b32 exec_lo, exec_lo, s22
	v_cndmask_b32_e64 v2, v20, v17, s0
	v_cndmask_b32_e64 v3, 0x3ff, v8, s0
	;; [unrolled: 1-line block ×5, first 2 shown]
	v_add_nc_u32_e32 v23, 1, v2
	v_cndmask_b32_e64 v4, v19, v22, s0
	s_mov_b32 s12, exec_lo
	s_delay_alu instid0(VALU_DEP_2) | instskip(SKIP_2) | instid1(VALU_DEP_3)
	v_min_u32_e32 v2, v23, v3
	v_cndmask_b32_e64 v3, v10, v15, s19
	v_cndmask_b32_e64 v10, v23, v20, s0
	v_lshlrev_b32_e32 v2, 3, v2
	ds_load_b64 v[8:9], v2
	v_cndmask_b32_e64 v2, v11, v16, s19
	s_waitcnt lgkmcnt(0)
	v_cndmask_b32_e64 v7, v21, v9, s0
	v_cndmask_b32_e64 v6, v22, v8, s0
	v_cmpx_gt_u32_e32 0x400, v10
	s_cbranch_execz .LBB390_518
; %bb.509:
	v_cndmask_b32_e64 v10, v17, v23, s0
	v_cndmask_b32_e64 v9, v9, v18, s0
	;; [unrolled: 1-line block ×3, first 2 shown]
	s_mov_b32 s19, exec_lo
	s_delay_alu instid0(VALU_DEP_3)
	v_cmpx_lt_u32_e64 v10, v14
	s_cbranch_execz .LBB390_517
; %bb.510:
	s_and_not1_b32 vcc_lo, exec_lo, s7
	s_cbranch_vccnz .LBB390_516
; %bb.511:
	v_mul_lo_u32 v16, v9, s8
	v_mul_lo_u32 v17, v8, s9
	v_mad_u64_u32 v[10:11], null, v8, s8, 0
	v_mul_lo_u32 v18, v7, s8
	v_mul_lo_u32 v19, v6, s9
	v_mad_u64_u32 v[14:15], null, v6, s8, 0
	s_mov_b32 s7, 0
	s_mov_b64 s[20:21], s[8:9]
	s_delay_alu instid0(VALU_DEP_4) | instskip(NEXT) | instid1(VALU_DEP_2)
	v_add3_u32 v11, v11, v17, v16
                                        ; implicit-def: $sgpr22
                                        ; implicit-def: $sgpr23
                                        ; implicit-def: $sgpr24
                                        ; implicit-def: $sgpr25
                                        ; implicit-def: $sgpr26
	v_add3_u32 v15, v15, v19, v18
	s_delay_alu instid0(VALU_DEP_2) | instskip(NEXT) | instid1(VALU_DEP_2)
	v_lshlrev_b64 v[10:11], 2, v[10:11]
	v_lshlrev_b64 v[14:15], 2, v[14:15]
	s_delay_alu instid0(VALU_DEP_2) | instskip(NEXT) | instid1(VALU_DEP_3)
	v_add_co_u32 v10, vcc_lo, s10, v10
	v_add_co_ci_u32_e32 v11, vcc_lo, s11, v11, vcc_lo
	s_delay_alu instid0(VALU_DEP_3) | instskip(NEXT) | instid1(VALU_DEP_4)
	v_add_co_u32 v14, vcc_lo, s10, v14
	v_add_co_ci_u32_e32 v15, vcc_lo, s11, v15, vcc_lo
	s_set_inst_prefetch_distance 0x1
	s_branch .LBB390_513
	.p2align	6
.LBB390_512:                            ;   in Loop: Header=BB390_513 Depth=1
	s_or_b32 exec_lo, exec_lo, s0
	s_delay_alu instid0(SALU_CYCLE_1) | instskip(NEXT) | instid1(SALU_CYCLE_1)
	s_and_b32 s0, exec_lo, s23
	s_or_b32 s7, s0, s7
	s_and_not1_b32 s0, s26, exec_lo
	s_and_b32 s26, s25, exec_lo
	s_and_not1_b32 s22, s22, exec_lo
	s_and_b32 s27, s24, exec_lo
	s_or_b32 s26, s0, s26
	s_or_b32 s22, s22, s27
	s_and_not1_b32 exec_lo, exec_lo, s7
	s_cbranch_execz .LBB390_515
.LBB390_513:                            ; =>This Inner Loop Header: Depth=1
	global_load_b32 v16, v[10:11], off
	global_load_b32 v17, v[14:15], off
	s_and_not1_b32 s24, s24, exec_lo
	s_and_not1_b32 s25, s25, exec_lo
	s_or_b32 s23, s23, exec_lo
	s_waitcnt vmcnt(0)
	v_cmp_le_i32_e32 vcc_lo, v16, v17
	v_cmp_lt_i32_e64 s0, v16, v17
	s_and_b32 s27, vcc_lo, s26
	s_delay_alu instid0(VALU_DEP_1) | instid1(SALU_CYCLE_1)
	s_or_b32 s27, s0, s27
	s_delay_alu instid0(SALU_CYCLE_1) | instskip(NEXT) | instid1(SALU_CYCLE_1)
	s_and_b32 s0, s27, exec_lo
	s_or_b32 s24, s24, s0
	s_mov_b32 s0, exec_lo
	v_cmpx_eq_u32_e64 v16, v17
	s_cbranch_execz .LBB390_512
; %bb.514:                              ;   in Loop: Header=BB390_513 Depth=1
	s_add_u32 s20, s20, -1
	s_addc_u32 s21, s21, -1
	v_add_co_u32 v10, vcc_lo, v10, 4
	s_cmp_eq_u64 s[20:21], 0
	v_add_co_ci_u32_e32 v11, vcc_lo, 0, v11, vcc_lo
	v_add_co_u32 v14, vcc_lo, v14, 4
	s_cselect_b32 s26, -1, 0
	v_add_co_ci_u32_e32 v15, vcc_lo, 0, v15, vcc_lo
	s_and_not1_b32 s25, s25, exec_lo
	s_and_b32 s27, s27, exec_lo
	s_and_not1_b32 s23, s23, exec_lo
	s_and_b32 s26, s26, exec_lo
	s_or_b32 s25, s25, s27
	s_and_not1_b32 s24, s24, exec_lo
	s_or_b32 s23, s23, s26
                                        ; implicit-def: $sgpr26
	s_branch .LBB390_512
.LBB390_515:
	s_set_inst_prefetch_distance 0x2
	s_or_b32 exec_lo, exec_lo, s7
	v_cndmask_b32_e64 v7, v7, v9, s22
	v_cndmask_b32_e64 v6, v6, v8, s22
.LBB390_516:
	s_delay_alu instid0(VALU_DEP_1)
	v_dual_mov_b32 v9, v7 :: v_dual_mov_b32 v8, v6
.LBB390_517:
	s_or_b32 exec_lo, exec_lo, s19
	s_delay_alu instid0(VALU_DEP_1)
	v_dual_mov_b32 v6, v8 :: v_dual_mov_b32 v7, v9
.LBB390_518:
	s_or_b32 exec_lo, exec_lo, s12
.LBB390_519:
	s_delay_alu instid0(SALU_CYCLE_1)
	s_or_b32 exec_lo, exec_lo, s1
	s_barrier
	buffer_gl0_inv
	s_barrier
	buffer_gl0_inv
	ds_store_2addr_b64 v39, v[0:1], v[2:3] offset1:1
	ds_store_2addr_b64 v39, v[4:5], v[6:7] offset0:2 offset1:3
	s_waitcnt lgkmcnt(0)
	s_barrier
	buffer_gl0_inv
	ds_load_b64 v[2:3], v38 offset:2048
	ds_load_b64 v[4:5], v35
	ds_load_b64 v[6:7], v36 offset:4096
	ds_load_b64 v[0:1], v37 offset:6144
	v_add_co_u32 v8, s0, s14, v26
	s_delay_alu instid0(VALU_DEP_1) | instskip(NEXT) | instid1(VALU_DEP_2)
	v_add_co_ci_u32_e64 v9, null, s15, 0, s0
	v_add_co_u32 v8, vcc_lo, 0x1000, v8
	s_delay_alu instid0(VALU_DEP_2)
	v_add_co_ci_u32_e32 v9, vcc_lo, 0, v9, vcc_lo
	s_mov_b32 s19, -1
	s_waitcnt lgkmcnt(3)
	global_store_b64 v26, v[2:3], s[14:15] offset:2048
	s_waitcnt lgkmcnt(2)
	global_store_b64 v26, v[4:5], s[14:15]
	s_waitcnt lgkmcnt(1)
	global_store_b64 v[8:9], v[6:7], off
	s_branch .LBB390_876
.LBB390_520:
	s_lshl_b64 s[0:1], s[2:3], 10
                                        ; implicit-def: $vgpr0_vgpr1_vgpr2_vgpr3_vgpr4_vgpr5_vgpr6_vgpr7
	s_delay_alu instid0(SALU_CYCLE_1) | instskip(NEXT) | instid1(SALU_CYCLE_1)
	s_sub_i32 s18, s18, s0
	v_cmp_gt_u32_e64 s0, s18, v12
	s_delay_alu instid0(VALU_DEP_1)
	s_and_saveexec_b32 s1, s0
	s_cbranch_execnz .LBB390_531
; %bb.521:
	s_or_b32 exec_lo, exec_lo, s1
	v_cmp_gt_u32_e64 s1, s18, v34
	s_delay_alu instid0(VALU_DEP_1)
	s_and_saveexec_b32 s2, s1
	s_cbranch_execnz .LBB390_532
.LBB390_522:
	s_or_b32 exec_lo, exec_lo, s2
	v_cmp_gt_u32_e64 s2, s18, v33
	s_delay_alu instid0(VALU_DEP_1)
	s_and_saveexec_b32 s3, s2
	s_cbranch_execnz .LBB390_533
.LBB390_523:
	s_or_b32 exec_lo, exec_lo, s3
	v_cmp_gt_u32_e64 s19, s18, v32
	s_delay_alu instid0(VALU_DEP_1)
	s_and_saveexec_b32 s3, s19
	s_cbranch_execz .LBB390_525
.LBB390_524:
	v_lshlrev_b32_e32 v6, 3, v32
	global_load_b64 v[6:7], v6, s[16:17]
.LBB390_525:
	s_or_b32 exec_lo, exec_lo, s3
	v_lshrrev_b32_e32 v8, 2, v34
	v_lshrrev_b32_e32 v9, 2, v33
	;; [unrolled: 1-line block ×3, first 2 shown]
	v_and_b32_e32 v11, 0xf8, v31
	v_add_lshl_u32 v17, v30, v27, 3
	v_and_b32_e32 v8, 0x1f8, v8
	v_and_b32_e32 v9, 0x1f8, v9
	;; [unrolled: 1-line block ×3, first 2 shown]
	v_cmp_gt_i64_e64 s16, s[8:9], 0
	s_delay_alu instid0(VALU_DEP_4)
	v_dual_mov_b32 v8, 0 :: v_dual_add_nc_u32 v13, v8, v26
	v_add_nc_u32_e32 v14, v11, v26
	v_add_nc_u32_e32 v15, v9, v26
	;; [unrolled: 1-line block ×3, first 2 shown]
	s_waitcnt vmcnt(0) lgkmcnt(0)
	ds_store_b64 v14, v[0:1]
	ds_store_b64 v13, v[2:3] offset:2048
	ds_store_b64 v15, v[4:5] offset:4096
	;; [unrolled: 1-line block ×3, first 2 shown]
	s_waitcnt lgkmcnt(0)
	s_waitcnt_vscnt null, 0x0
	s_barrier
	buffer_gl0_inv
	ds_load_2addr_b64 v[0:3], v17 offset1:1
	ds_load_2addr_b64 v[4:7], v17 offset0:2 offset1:3
	s_waitcnt lgkmcnt(0)
	s_barrier
	buffer_gl0_inv
	s_load_b32 s3, s[4:5], 0xc
	s_waitcnt lgkmcnt(0)
	s_lshr_b32 s3, s3, 16
	s_cmp_lt_u32 s13, s6
	v_mad_u32_u24 v9, v29, s3, v28
	s_cselect_b32 s6, 12, 18
	s_delay_alu instid0(SALU_CYCLE_1) | instskip(SKIP_4) | instid1(VALU_DEP_1)
	s_add_u32 s4, s4, s6
	s_addc_u32 s5, s5, 0
	global_load_u16 v8, v8, s[4:5]
	s_waitcnt vmcnt(0)
	v_mul_lo_u32 v8, v9, v8
	v_add_lshl_u32 v18, v8, v12, 2
	s_delay_alu instid0(VALU_DEP_1) | instskip(NEXT) | instid1(VALU_DEP_1)
	v_sub_nc_u32_e64 v19, s18, v18 clamp
	v_cmp_lt_u32_e64 s3, 1, v19
	s_delay_alu instid0(VALU_DEP_1)
	s_and_saveexec_b32 s12, s3
	s_cbranch_execz .LBB390_537
; %bb.526:
	s_and_not1_b32 vcc_lo, exec_lo, s16
	s_cbranch_vccnz .LBB390_537
; %bb.527:
	v_mul_lo_u32 v20, v3, s8
	v_mul_lo_u32 v21, v2, s9
	v_mad_u64_u32 v[8:9], null, v2, s8, 0
	v_mul_lo_u32 v22, v1, s8
	v_mul_lo_u32 v23, v0, s9
	v_mad_u64_u32 v[10:11], null, v0, s8, 0
	s_mov_b32 s13, 0
	s_mov_b64 s[6:7], s[8:9]
	s_delay_alu instid0(VALU_DEP_4) | instskip(NEXT) | instid1(VALU_DEP_2)
	v_add3_u32 v9, v9, v21, v20
                                        ; implicit-def: $sgpr17
                                        ; implicit-def: $sgpr20
                                        ; implicit-def: $sgpr22
                                        ; implicit-def: $sgpr21
                                        ; implicit-def: $sgpr23
                                        ; implicit-def: $sgpr24
	v_add3_u32 v11, v11, v23, v22
	s_delay_alu instid0(VALU_DEP_2) | instskip(NEXT) | instid1(VALU_DEP_2)
	v_lshlrev_b64 v[8:9], 2, v[8:9]
	v_lshlrev_b64 v[10:11], 2, v[10:11]
	s_delay_alu instid0(VALU_DEP_2) | instskip(NEXT) | instid1(VALU_DEP_3)
	v_add_co_u32 v8, vcc_lo, s10, v8
	v_add_co_ci_u32_e32 v9, vcc_lo, s11, v9, vcc_lo
	s_delay_alu instid0(VALU_DEP_3) | instskip(NEXT) | instid1(VALU_DEP_4)
	v_add_co_u32 v10, vcc_lo, s10, v10
	v_add_co_ci_u32_e32 v11, vcc_lo, s11, v11, vcc_lo
	s_set_inst_prefetch_distance 0x1
	s_branch .LBB390_529
	.p2align	6
.LBB390_528:                            ;   in Loop: Header=BB390_529 Depth=1
	s_or_b32 exec_lo, exec_lo, s25
	s_delay_alu instid0(SALU_CYCLE_1) | instskip(NEXT) | instid1(SALU_CYCLE_1)
	s_and_b32 s5, exec_lo, s22
	s_or_b32 s13, s5, s13
	s_and_not1_b32 s5, s24, exec_lo
	s_and_b32 s24, s23, exec_lo
	s_and_not1_b32 s20, s20, exec_lo
	s_or_b32 s24, s5, s24
	s_and_b32 s5, s21, exec_lo
	s_and_not1_b32 s17, s17, exec_lo
	s_and_b32 s4, s4, exec_lo
	s_or_b32 s20, s20, s5
	s_or_b32 s17, s17, s4
	s_and_not1_b32 exec_lo, exec_lo, s13
	s_cbranch_execz .LBB390_534
.LBB390_529:                            ; =>This Inner Loop Header: Depth=1
	global_load_b32 v20, v[8:9], off
	global_load_b32 v21, v[10:11], off
	s_and_not1_b32 s23, s23, exec_lo
	s_or_b32 s21, s21, exec_lo
	s_or_b32 s22, s22, exec_lo
	s_waitcnt vmcnt(0)
	v_cmp_le_i32_e32 vcc_lo, v20, v21
	v_cmp_lt_i32_e64 s4, v20, v21
	s_and_b32 s25, vcc_lo, s24
	s_delay_alu instid0(VALU_DEP_1) | instid1(SALU_CYCLE_1)
	s_or_b32 s4, s4, s25
	s_mov_b32 s25, exec_lo
	v_cmpx_eq_u32_e64 v20, v21
	s_cbranch_execz .LBB390_528
; %bb.530:                              ;   in Loop: Header=BB390_529 Depth=1
	s_add_u32 s6, s6, -1
	s_addc_u32 s7, s7, -1
	v_add_co_u32 v8, vcc_lo, v8, 4
	s_cmp_eq_u64 s[6:7], 0
	v_add_co_ci_u32_e32 v9, vcc_lo, 0, v9, vcc_lo
	v_add_co_u32 v10, vcc_lo, v10, 4
	s_cselect_b32 s5, -1, 0
	v_add_co_ci_u32_e32 v11, vcc_lo, 0, v11, vcc_lo
	s_and_not1_b32 s23, s23, exec_lo
	s_and_b32 s24, s4, exec_lo
	s_and_not1_b32 s22, s22, exec_lo
	s_and_b32 s5, s5, exec_lo
	s_or_b32 s23, s23, s24
	s_and_not1_b32 s21, s21, exec_lo
	s_or_b32 s22, s22, s5
                                        ; implicit-def: $sgpr24
	s_branch .LBB390_528
.LBB390_531:
	s_waitcnt lgkmcnt(0)
	global_load_b64 v[0:1], v26, s[16:17]
	s_or_b32 exec_lo, exec_lo, s1
	v_cmp_gt_u32_e64 s1, s18, v34
	s_delay_alu instid0(VALU_DEP_1)
	s_and_saveexec_b32 s2, s1
	s_cbranch_execz .LBB390_522
.LBB390_532:
	global_load_b64 v[2:3], v26, s[16:17] offset:2048
	s_or_b32 exec_lo, exec_lo, s2
	v_cmp_gt_u32_e64 s2, s18, v33
	s_delay_alu instid0(VALU_DEP_1)
	s_and_saveexec_b32 s3, s2
	s_cbranch_execz .LBB390_523
.LBB390_533:
	v_lshlrev_b32_e32 v4, 3, v33
	global_load_b64 v[4:5], v4, s[16:17]
	s_or_b32 exec_lo, exec_lo, s3
	v_cmp_gt_u32_e64 s19, s18, v32
	s_delay_alu instid0(VALU_DEP_1)
	s_and_saveexec_b32 s3, s19
	s_cbranch_execnz .LBB390_524
	s_branch .LBB390_525
.LBB390_534:
	s_set_inst_prefetch_distance 0x2
	s_or_b32 exec_lo, exec_lo, s13
	s_and_saveexec_b32 s4, s20
	s_delay_alu instid0(SALU_CYCLE_1)
	s_xor_b32 s4, exec_lo, s4
; %bb.535:
	v_cndmask_b32_e64 v28, v0, v2, s17
	v_cndmask_b32_e64 v31, v3, v1, s17
	;; [unrolled: 1-line block ×4, first 2 shown]
	v_dual_mov_b32 v32, v4 :: v_dual_mov_b32 v33, v5
	v_dual_mov_b32 v34, v6 :: v_dual_mov_b32 v35, v7
	s_delay_alu instid0(VALU_DEP_3) | instskip(SKIP_1) | instid1(VALU_DEP_4)
	v_dual_mov_b32 v0, v28 :: v_dual_mov_b32 v1, v29
	v_dual_mov_b32 v2, v30 :: v_dual_mov_b32 v3, v31
	;; [unrolled: 1-line block ×3, first 2 shown]
	s_delay_alu instid0(VALU_DEP_4)
	v_dual_mov_b32 v6, v34 :: v_dual_mov_b32 v7, v35
; %bb.536:
	s_or_b32 exec_lo, exec_lo, s4
.LBB390_537:
	s_delay_alu instid0(SALU_CYCLE_1) | instskip(SKIP_1) | instid1(VALU_DEP_1)
	s_or_b32 exec_lo, exec_lo, s12
	v_cmp_lt_u32_e64 s4, 3, v19
	s_and_saveexec_b32 s7, s4
	s_cbranch_execz .LBB390_546
; %bb.538:
	s_and_not1_b32 vcc_lo, exec_lo, s16
	s_cbranch_vccnz .LBB390_546
; %bb.539:
	v_mul_lo_u32 v20, v7, s8
	v_mul_lo_u32 v21, v6, s9
	v_mad_u64_u32 v[8:9], null, v6, s8, 0
	v_mul_lo_u32 v22, v5, s8
	v_mul_lo_u32 v23, v4, s9
	v_mad_u64_u32 v[10:11], null, v4, s8, 0
	s_mov_b32 s20, 0
	s_mov_b64 s[12:13], s[8:9]
	s_delay_alu instid0(VALU_DEP_4) | instskip(NEXT) | instid1(VALU_DEP_2)
	v_add3_u32 v9, v9, v21, v20
                                        ; implicit-def: $sgpr17
                                        ; implicit-def: $sgpr21
                                        ; implicit-def: $sgpr23
                                        ; implicit-def: $sgpr22
                                        ; implicit-def: $sgpr24
                                        ; implicit-def: $sgpr25
	v_add3_u32 v11, v11, v23, v22
	s_delay_alu instid0(VALU_DEP_2) | instskip(NEXT) | instid1(VALU_DEP_2)
	v_lshlrev_b64 v[8:9], 2, v[8:9]
	v_lshlrev_b64 v[10:11], 2, v[10:11]
	s_delay_alu instid0(VALU_DEP_2) | instskip(NEXT) | instid1(VALU_DEP_3)
	v_add_co_u32 v8, vcc_lo, s10, v8
	v_add_co_ci_u32_e32 v9, vcc_lo, s11, v9, vcc_lo
	s_delay_alu instid0(VALU_DEP_3) | instskip(NEXT) | instid1(VALU_DEP_4)
	v_add_co_u32 v10, vcc_lo, s10, v10
	v_add_co_ci_u32_e32 v11, vcc_lo, s11, v11, vcc_lo
	s_set_inst_prefetch_distance 0x1
	s_branch .LBB390_541
	.p2align	6
.LBB390_540:                            ;   in Loop: Header=BB390_541 Depth=1
	s_or_b32 exec_lo, exec_lo, s26
	s_delay_alu instid0(SALU_CYCLE_1) | instskip(NEXT) | instid1(SALU_CYCLE_1)
	s_and_b32 s6, exec_lo, s23
	s_or_b32 s20, s6, s20
	s_and_not1_b32 s6, s25, exec_lo
	s_and_b32 s25, s24, exec_lo
	s_and_not1_b32 s21, s21, exec_lo
	s_or_b32 s25, s6, s25
	s_and_b32 s6, s22, exec_lo
	s_and_not1_b32 s17, s17, exec_lo
	s_and_b32 s5, s5, exec_lo
	s_or_b32 s21, s21, s6
	s_or_b32 s17, s17, s5
	s_and_not1_b32 exec_lo, exec_lo, s20
	s_cbranch_execz .LBB390_543
.LBB390_541:                            ; =>This Inner Loop Header: Depth=1
	global_load_b32 v20, v[8:9], off
	global_load_b32 v21, v[10:11], off
	s_and_not1_b32 s24, s24, exec_lo
	s_or_b32 s22, s22, exec_lo
	s_or_b32 s23, s23, exec_lo
	s_waitcnt vmcnt(0)
	v_cmp_le_i32_e32 vcc_lo, v20, v21
	v_cmp_lt_i32_e64 s5, v20, v21
	s_and_b32 s26, vcc_lo, s25
	s_delay_alu instid0(VALU_DEP_1) | instid1(SALU_CYCLE_1)
	s_or_b32 s5, s5, s26
	s_mov_b32 s26, exec_lo
	v_cmpx_eq_u32_e64 v20, v21
	s_cbranch_execz .LBB390_540
; %bb.542:                              ;   in Loop: Header=BB390_541 Depth=1
	s_add_u32 s12, s12, -1
	s_addc_u32 s13, s13, -1
	v_add_co_u32 v8, vcc_lo, v8, 4
	s_cmp_eq_u64 s[12:13], 0
	v_add_co_ci_u32_e32 v9, vcc_lo, 0, v9, vcc_lo
	v_add_co_u32 v10, vcc_lo, v10, 4
	s_cselect_b32 s6, -1, 0
	v_add_co_ci_u32_e32 v11, vcc_lo, 0, v11, vcc_lo
	s_and_not1_b32 s24, s24, exec_lo
	s_and_b32 s25, s5, exec_lo
	s_and_not1_b32 s23, s23, exec_lo
	s_and_b32 s6, s6, exec_lo
	s_or_b32 s24, s24, s25
	s_and_not1_b32 s22, s22, exec_lo
	s_or_b32 s23, s23, s6
                                        ; implicit-def: $sgpr25
	s_branch .LBB390_540
.LBB390_543:
	s_set_inst_prefetch_distance 0x2
	s_or_b32 exec_lo, exec_lo, s20
	s_and_saveexec_b32 s5, s21
	s_delay_alu instid0(SALU_CYCLE_1)
	s_xor_b32 s5, exec_lo, s5
; %bb.544:
	v_cndmask_b32_e64 v8, v6, v4, s17
	v_cndmask_b32_e64 v9, v7, v5, s17
	;; [unrolled: 1-line block ×4, first 2 shown]
	s_delay_alu instid0(VALU_DEP_3)
	v_dual_mov_b32 v6, v8 :: v_dual_mov_b32 v7, v9
; %bb.545:
	s_or_b32 exec_lo, exec_lo, s5
.LBB390_546:
	s_delay_alu instid0(SALU_CYCLE_1) | instskip(SKIP_1) | instid1(VALU_DEP_1)
	s_or_b32 exec_lo, exec_lo, s7
	v_cmp_lt_u32_e64 s5, 2, v19
	s_and_saveexec_b32 s6, s5
	s_delay_alu instid0(SALU_CYCLE_1)
	s_xor_b32 s17, exec_lo, s6
	s_cbranch_execz .LBB390_555
; %bb.547:
	s_and_not1_b32 vcc_lo, exec_lo, s16
	s_cbranch_vccnz .LBB390_555
; %bb.548:
	v_mul_lo_u32 v19, v5, s8
	v_mul_lo_u32 v20, v4, s9
	v_mad_u64_u32 v[8:9], null, v4, s8, 0
	v_mul_lo_u32 v21, v3, s8
	v_mul_lo_u32 v22, v2, s9
	v_mad_u64_u32 v[10:11], null, v2, s8, 0
	s_mov_b32 s21, 0
	s_mov_b64 s[12:13], s[8:9]
	s_delay_alu instid0(VALU_DEP_4) | instskip(NEXT) | instid1(VALU_DEP_2)
	v_add3_u32 v9, v9, v20, v19
                                        ; implicit-def: $sgpr20
                                        ; implicit-def: $sgpr22
                                        ; implicit-def: $sgpr24
                                        ; implicit-def: $sgpr23
                                        ; implicit-def: $sgpr25
                                        ; implicit-def: $sgpr26
	v_add3_u32 v11, v11, v22, v21
	s_delay_alu instid0(VALU_DEP_2) | instskip(NEXT) | instid1(VALU_DEP_2)
	v_lshlrev_b64 v[8:9], 2, v[8:9]
	v_lshlrev_b64 v[10:11], 2, v[10:11]
	s_delay_alu instid0(VALU_DEP_2) | instskip(NEXT) | instid1(VALU_DEP_3)
	v_add_co_u32 v8, vcc_lo, s10, v8
	v_add_co_ci_u32_e32 v9, vcc_lo, s11, v9, vcc_lo
	s_delay_alu instid0(VALU_DEP_3) | instskip(NEXT) | instid1(VALU_DEP_4)
	v_add_co_u32 v10, vcc_lo, s10, v10
	v_add_co_ci_u32_e32 v11, vcc_lo, s11, v11, vcc_lo
	s_set_inst_prefetch_distance 0x1
	s_branch .LBB390_550
	.p2align	6
.LBB390_549:                            ;   in Loop: Header=BB390_550 Depth=1
	s_or_b32 exec_lo, exec_lo, s27
	s_delay_alu instid0(SALU_CYCLE_1) | instskip(NEXT) | instid1(SALU_CYCLE_1)
	s_and_b32 s7, exec_lo, s24
	s_or_b32 s21, s7, s21
	s_and_not1_b32 s7, s26, exec_lo
	s_and_b32 s26, s25, exec_lo
	s_and_not1_b32 s22, s22, exec_lo
	s_or_b32 s26, s7, s26
	s_and_b32 s7, s23, exec_lo
	s_and_not1_b32 s20, s20, exec_lo
	s_and_b32 s6, s6, exec_lo
	s_or_b32 s22, s22, s7
	s_or_b32 s20, s20, s6
	s_and_not1_b32 exec_lo, exec_lo, s21
	s_cbranch_execz .LBB390_552
.LBB390_550:                            ; =>This Inner Loop Header: Depth=1
	global_load_b32 v19, v[8:9], off
	global_load_b32 v20, v[10:11], off
	s_and_not1_b32 s25, s25, exec_lo
	s_or_b32 s23, s23, exec_lo
	s_or_b32 s24, s24, exec_lo
	s_waitcnt vmcnt(0)
	v_cmp_le_i32_e32 vcc_lo, v19, v20
	v_cmp_lt_i32_e64 s6, v19, v20
	s_and_b32 s27, vcc_lo, s26
	s_delay_alu instid0(VALU_DEP_1) | instid1(SALU_CYCLE_1)
	s_or_b32 s6, s6, s27
	s_mov_b32 s27, exec_lo
	v_cmpx_eq_u32_e64 v19, v20
	s_cbranch_execz .LBB390_549
; %bb.551:                              ;   in Loop: Header=BB390_550 Depth=1
	s_add_u32 s12, s12, -1
	s_addc_u32 s13, s13, -1
	v_add_co_u32 v8, vcc_lo, v8, 4
	s_cmp_eq_u64 s[12:13], 0
	v_add_co_ci_u32_e32 v9, vcc_lo, 0, v9, vcc_lo
	v_add_co_u32 v10, vcc_lo, v10, 4
	s_cselect_b32 s7, -1, 0
	v_add_co_ci_u32_e32 v11, vcc_lo, 0, v11, vcc_lo
	s_and_not1_b32 s25, s25, exec_lo
	s_and_b32 s26, s6, exec_lo
	s_and_not1_b32 s24, s24, exec_lo
	s_and_b32 s7, s7, exec_lo
	s_or_b32 s25, s25, s26
	s_and_not1_b32 s23, s23, exec_lo
	s_or_b32 s24, s24, s7
                                        ; implicit-def: $sgpr26
	s_branch .LBB390_549
.LBB390_552:
	s_set_inst_prefetch_distance 0x2
	s_or_b32 exec_lo, exec_lo, s21
	s_and_saveexec_b32 s6, s22
	s_delay_alu instid0(SALU_CYCLE_1)
	s_xor_b32 s6, exec_lo, s6
; %bb.553:
	v_cndmask_b32_e64 v8, v4, v2, s20
	v_cndmask_b32_e64 v9, v5, v3, s20
	v_cndmask_b32_e64 v3, v3, v5, s20
	v_cndmask_b32_e64 v2, v2, v4, s20
	s_delay_alu instid0(VALU_DEP_3)
	v_dual_mov_b32 v4, v8 :: v_dual_mov_b32 v5, v9
; %bb.554:
	s_or_b32 exec_lo, exec_lo, s6
.LBB390_555:
	s_delay_alu instid0(SALU_CYCLE_1)
	s_or_b32 exec_lo, exec_lo, s17
	s_and_saveexec_b32 s7, s3
	s_cbranch_execz .LBB390_564
; %bb.556:
	s_and_not1_b32 vcc_lo, exec_lo, s16
	s_cbranch_vccnz .LBB390_564
; %bb.557:
	v_mul_lo_u32 v19, v3, s8
	v_mul_lo_u32 v20, v2, s9
	v_mad_u64_u32 v[8:9], null, v2, s8, 0
	v_mul_lo_u32 v21, v1, s8
	v_mul_lo_u32 v22, v0, s9
	v_mad_u64_u32 v[10:11], null, v0, s8, 0
	s_mov_b32 s17, 0
	s_mov_b64 s[12:13], s[8:9]
	s_delay_alu instid0(VALU_DEP_4) | instskip(NEXT) | instid1(VALU_DEP_2)
	v_add3_u32 v9, v9, v20, v19
                                        ; implicit-def: $sgpr20
                                        ; implicit-def: $sgpr21
                                        ; implicit-def: $sgpr23
                                        ; implicit-def: $sgpr22
                                        ; implicit-def: $sgpr24
                                        ; implicit-def: $sgpr25
	v_add3_u32 v11, v11, v22, v21
	s_delay_alu instid0(VALU_DEP_2) | instskip(NEXT) | instid1(VALU_DEP_2)
	v_lshlrev_b64 v[8:9], 2, v[8:9]
	v_lshlrev_b64 v[10:11], 2, v[10:11]
	s_delay_alu instid0(VALU_DEP_2) | instskip(NEXT) | instid1(VALU_DEP_3)
	v_add_co_u32 v8, vcc_lo, s10, v8
	v_add_co_ci_u32_e32 v9, vcc_lo, s11, v9, vcc_lo
	s_delay_alu instid0(VALU_DEP_3) | instskip(NEXT) | instid1(VALU_DEP_4)
	v_add_co_u32 v10, vcc_lo, s10, v10
	v_add_co_ci_u32_e32 v11, vcc_lo, s11, v11, vcc_lo
	s_set_inst_prefetch_distance 0x1
	s_branch .LBB390_559
	.p2align	6
.LBB390_558:                            ;   in Loop: Header=BB390_559 Depth=1
	s_or_b32 exec_lo, exec_lo, s26
	s_delay_alu instid0(SALU_CYCLE_1) | instskip(NEXT) | instid1(SALU_CYCLE_1)
	s_and_b32 s6, exec_lo, s23
	s_or_b32 s17, s6, s17
	s_and_not1_b32 s6, s25, exec_lo
	s_and_b32 s25, s24, exec_lo
	s_and_not1_b32 s21, s21, exec_lo
	s_or_b32 s25, s6, s25
	s_and_b32 s6, s22, exec_lo
	s_and_not1_b32 s20, s20, exec_lo
	s_and_b32 s3, s3, exec_lo
	s_or_b32 s21, s21, s6
	s_or_b32 s20, s20, s3
	s_and_not1_b32 exec_lo, exec_lo, s17
	s_cbranch_execz .LBB390_561
.LBB390_559:                            ; =>This Inner Loop Header: Depth=1
	global_load_b32 v19, v[8:9], off
	global_load_b32 v20, v[10:11], off
	s_and_not1_b32 s24, s24, exec_lo
	s_or_b32 s22, s22, exec_lo
	s_or_b32 s23, s23, exec_lo
	s_waitcnt vmcnt(0)
	v_cmp_le_i32_e32 vcc_lo, v19, v20
	v_cmp_lt_i32_e64 s3, v19, v20
	s_and_b32 s26, vcc_lo, s25
	s_delay_alu instid0(VALU_DEP_1) | instid1(SALU_CYCLE_1)
	s_or_b32 s3, s3, s26
	s_mov_b32 s26, exec_lo
	v_cmpx_eq_u32_e64 v19, v20
	s_cbranch_execz .LBB390_558
; %bb.560:                              ;   in Loop: Header=BB390_559 Depth=1
	s_add_u32 s12, s12, -1
	s_addc_u32 s13, s13, -1
	v_add_co_u32 v8, vcc_lo, v8, 4
	s_cmp_eq_u64 s[12:13], 0
	v_add_co_ci_u32_e32 v9, vcc_lo, 0, v9, vcc_lo
	v_add_co_u32 v10, vcc_lo, v10, 4
	s_cselect_b32 s6, -1, 0
	v_add_co_ci_u32_e32 v11, vcc_lo, 0, v11, vcc_lo
	s_and_not1_b32 s24, s24, exec_lo
	s_and_b32 s25, s3, exec_lo
	s_and_not1_b32 s23, s23, exec_lo
	s_and_b32 s6, s6, exec_lo
	s_or_b32 s24, s24, s25
	s_and_not1_b32 s22, s22, exec_lo
	s_or_b32 s23, s23, s6
                                        ; implicit-def: $sgpr25
	s_branch .LBB390_558
.LBB390_561:
	s_set_inst_prefetch_distance 0x2
	s_or_b32 exec_lo, exec_lo, s17
	s_and_saveexec_b32 s3, s21
	s_delay_alu instid0(SALU_CYCLE_1)
	s_xor_b32 s3, exec_lo, s3
; %bb.562:
	v_cndmask_b32_e64 v28, v0, v2, s20
	v_cndmask_b32_e64 v31, v3, v1, s20
	;; [unrolled: 1-line block ×4, first 2 shown]
	v_dual_mov_b32 v32, v4 :: v_dual_mov_b32 v33, v5
	v_dual_mov_b32 v34, v6 :: v_dual_mov_b32 v35, v7
	s_delay_alu instid0(VALU_DEP_3) | instskip(SKIP_1) | instid1(VALU_DEP_4)
	v_dual_mov_b32 v0, v28 :: v_dual_mov_b32 v1, v29
	v_dual_mov_b32 v2, v30 :: v_dual_mov_b32 v3, v31
	;; [unrolled: 1-line block ×3, first 2 shown]
	s_delay_alu instid0(VALU_DEP_4)
	v_dual_mov_b32 v6, v34 :: v_dual_mov_b32 v7, v35
; %bb.563:
	s_or_b32 exec_lo, exec_lo, s3
.LBB390_564:
	s_delay_alu instid0(SALU_CYCLE_1)
	s_or_b32 exec_lo, exec_lo, s7
	s_and_saveexec_b32 s12, s4
	s_cbranch_execz .LBB390_573
; %bb.565:
	s_and_not1_b32 vcc_lo, exec_lo, s16
	s_cbranch_vccnz .LBB390_573
; %bb.566:
	v_mul_lo_u32 v19, v7, s8
	v_mul_lo_u32 v20, v6, s9
	v_mad_u64_u32 v[8:9], null, v6, s8, 0
	v_mul_lo_u32 v21, v5, s8
	v_mul_lo_u32 v22, v4, s9
	v_mad_u64_u32 v[10:11], null, v4, s8, 0
	s_mov_b32 s17, 0
	s_mov_b64 s[6:7], s[8:9]
	s_delay_alu instid0(VALU_DEP_4) | instskip(NEXT) | instid1(VALU_DEP_2)
	v_add3_u32 v9, v9, v20, v19
                                        ; implicit-def: $sgpr13
                                        ; implicit-def: $sgpr20
                                        ; implicit-def: $sgpr22
                                        ; implicit-def: $sgpr21
                                        ; implicit-def: $sgpr23
                                        ; implicit-def: $sgpr24
	v_add3_u32 v11, v11, v22, v21
	s_delay_alu instid0(VALU_DEP_2) | instskip(NEXT) | instid1(VALU_DEP_2)
	v_lshlrev_b64 v[8:9], 2, v[8:9]
	v_lshlrev_b64 v[10:11], 2, v[10:11]
	s_delay_alu instid0(VALU_DEP_2) | instskip(NEXT) | instid1(VALU_DEP_3)
	v_add_co_u32 v8, vcc_lo, s10, v8
	v_add_co_ci_u32_e32 v9, vcc_lo, s11, v9, vcc_lo
	s_delay_alu instid0(VALU_DEP_3) | instskip(NEXT) | instid1(VALU_DEP_4)
	v_add_co_u32 v10, vcc_lo, s10, v10
	v_add_co_ci_u32_e32 v11, vcc_lo, s11, v11, vcc_lo
	s_set_inst_prefetch_distance 0x1
	s_branch .LBB390_568
	.p2align	6
.LBB390_567:                            ;   in Loop: Header=BB390_568 Depth=1
	s_or_b32 exec_lo, exec_lo, s25
	s_delay_alu instid0(SALU_CYCLE_1) | instskip(NEXT) | instid1(SALU_CYCLE_1)
	s_and_b32 s4, exec_lo, s22
	s_or_b32 s17, s4, s17
	s_and_not1_b32 s4, s24, exec_lo
	s_and_b32 s24, s23, exec_lo
	s_and_not1_b32 s20, s20, exec_lo
	s_or_b32 s24, s4, s24
	s_and_b32 s4, s21, exec_lo
	s_and_not1_b32 s13, s13, exec_lo
	s_and_b32 s3, s3, exec_lo
	s_or_b32 s20, s20, s4
	s_or_b32 s13, s13, s3
	s_and_not1_b32 exec_lo, exec_lo, s17
	s_cbranch_execz .LBB390_570
.LBB390_568:                            ; =>This Inner Loop Header: Depth=1
	global_load_b32 v19, v[8:9], off
	global_load_b32 v20, v[10:11], off
	s_and_not1_b32 s23, s23, exec_lo
	s_or_b32 s21, s21, exec_lo
	s_or_b32 s22, s22, exec_lo
	s_waitcnt vmcnt(0)
	v_cmp_le_i32_e32 vcc_lo, v19, v20
	v_cmp_lt_i32_e64 s3, v19, v20
	s_and_b32 s25, vcc_lo, s24
	s_delay_alu instid0(VALU_DEP_1) | instid1(SALU_CYCLE_1)
	s_or_b32 s3, s3, s25
	s_mov_b32 s25, exec_lo
	v_cmpx_eq_u32_e64 v19, v20
	s_cbranch_execz .LBB390_567
; %bb.569:                              ;   in Loop: Header=BB390_568 Depth=1
	s_add_u32 s6, s6, -1
	s_addc_u32 s7, s7, -1
	v_add_co_u32 v8, vcc_lo, v8, 4
	s_cmp_eq_u64 s[6:7], 0
	v_add_co_ci_u32_e32 v9, vcc_lo, 0, v9, vcc_lo
	v_add_co_u32 v10, vcc_lo, v10, 4
	s_cselect_b32 s4, -1, 0
	v_add_co_ci_u32_e32 v11, vcc_lo, 0, v11, vcc_lo
	s_and_not1_b32 s23, s23, exec_lo
	s_and_b32 s24, s3, exec_lo
	s_and_not1_b32 s22, s22, exec_lo
	s_and_b32 s4, s4, exec_lo
	s_or_b32 s23, s23, s24
	s_and_not1_b32 s21, s21, exec_lo
	s_or_b32 s22, s22, s4
                                        ; implicit-def: $sgpr24
	s_branch .LBB390_567
.LBB390_570:
	s_set_inst_prefetch_distance 0x2
	s_or_b32 exec_lo, exec_lo, s17
	s_and_saveexec_b32 s3, s20
	s_delay_alu instid0(SALU_CYCLE_1)
	s_xor_b32 s3, exec_lo, s3
; %bb.571:
	v_cndmask_b32_e64 v8, v6, v4, s13
	v_cndmask_b32_e64 v9, v7, v5, s13
	;; [unrolled: 1-line block ×4, first 2 shown]
	s_delay_alu instid0(VALU_DEP_3)
	v_dual_mov_b32 v6, v8 :: v_dual_mov_b32 v7, v9
; %bb.572:
	s_or_b32 exec_lo, exec_lo, s3
.LBB390_573:
	s_delay_alu instid0(SALU_CYCLE_1)
	s_or_b32 exec_lo, exec_lo, s12
	s_and_saveexec_b32 s12, s5
	s_cbranch_execz .LBB390_582
; %bb.574:
	s_and_not1_b32 vcc_lo, exec_lo, s16
	s_cbranch_vccnz .LBB390_582
; %bb.575:
	v_mul_lo_u32 v19, v5, s8
	v_mul_lo_u32 v20, v4, s9
	v_mad_u64_u32 v[8:9], null, v4, s8, 0
	v_mul_lo_u32 v21, v3, s8
	v_mul_lo_u32 v22, v2, s9
	v_mad_u64_u32 v[10:11], null, v2, s8, 0
	s_mov_b32 s13, 0
	s_mov_b64 s[6:7], s[8:9]
	s_delay_alu instid0(VALU_DEP_4) | instskip(NEXT) | instid1(VALU_DEP_2)
	v_add3_u32 v9, v9, v20, v19
                                        ; implicit-def: $sgpr5
                                        ; implicit-def: $sgpr17
                                        ; implicit-def: $sgpr21
                                        ; implicit-def: $sgpr20
                                        ; implicit-def: $sgpr22
                                        ; implicit-def: $sgpr23
	v_add3_u32 v11, v11, v22, v21
	s_delay_alu instid0(VALU_DEP_2) | instskip(NEXT) | instid1(VALU_DEP_2)
	v_lshlrev_b64 v[8:9], 2, v[8:9]
	v_lshlrev_b64 v[10:11], 2, v[10:11]
	s_delay_alu instid0(VALU_DEP_2) | instskip(NEXT) | instid1(VALU_DEP_3)
	v_add_co_u32 v8, vcc_lo, s10, v8
	v_add_co_ci_u32_e32 v9, vcc_lo, s11, v9, vcc_lo
	s_delay_alu instid0(VALU_DEP_3) | instskip(NEXT) | instid1(VALU_DEP_4)
	v_add_co_u32 v10, vcc_lo, s10, v10
	v_add_co_ci_u32_e32 v11, vcc_lo, s11, v11, vcc_lo
	s_set_inst_prefetch_distance 0x1
	s_branch .LBB390_577
	.p2align	6
.LBB390_576:                            ;   in Loop: Header=BB390_577 Depth=1
	s_or_b32 exec_lo, exec_lo, s24
	s_delay_alu instid0(SALU_CYCLE_1) | instskip(NEXT) | instid1(SALU_CYCLE_1)
	s_and_b32 s4, exec_lo, s21
	s_or_b32 s13, s4, s13
	s_and_not1_b32 s4, s23, exec_lo
	s_and_b32 s23, s22, exec_lo
	s_and_not1_b32 s17, s17, exec_lo
	s_or_b32 s23, s4, s23
	s_and_b32 s4, s20, exec_lo
	s_and_not1_b32 s5, s5, exec_lo
	s_and_b32 s3, s3, exec_lo
	s_or_b32 s17, s17, s4
	s_or_b32 s5, s5, s3
	s_and_not1_b32 exec_lo, exec_lo, s13
	s_cbranch_execz .LBB390_579
.LBB390_577:                            ; =>This Inner Loop Header: Depth=1
	global_load_b32 v19, v[8:9], off
	global_load_b32 v20, v[10:11], off
	s_and_not1_b32 s22, s22, exec_lo
	s_or_b32 s20, s20, exec_lo
	s_or_b32 s21, s21, exec_lo
	s_waitcnt vmcnt(0)
	v_cmp_le_i32_e32 vcc_lo, v19, v20
	v_cmp_lt_i32_e64 s3, v19, v20
	s_and_b32 s24, vcc_lo, s23
	s_delay_alu instid0(VALU_DEP_1) | instid1(SALU_CYCLE_1)
	s_or_b32 s3, s3, s24
	s_mov_b32 s24, exec_lo
	v_cmpx_eq_u32_e64 v19, v20
	s_cbranch_execz .LBB390_576
; %bb.578:                              ;   in Loop: Header=BB390_577 Depth=1
	s_add_u32 s6, s6, -1
	s_addc_u32 s7, s7, -1
	v_add_co_u32 v8, vcc_lo, v8, 4
	s_cmp_eq_u64 s[6:7], 0
	v_add_co_ci_u32_e32 v9, vcc_lo, 0, v9, vcc_lo
	v_add_co_u32 v10, vcc_lo, v10, 4
	s_cselect_b32 s4, -1, 0
	v_add_co_ci_u32_e32 v11, vcc_lo, 0, v11, vcc_lo
	s_and_not1_b32 s22, s22, exec_lo
	s_and_b32 s23, s3, exec_lo
	s_and_not1_b32 s21, s21, exec_lo
	s_and_b32 s4, s4, exec_lo
	s_or_b32 s22, s22, s23
	s_and_not1_b32 s20, s20, exec_lo
	s_or_b32 s21, s21, s4
                                        ; implicit-def: $sgpr23
	s_branch .LBB390_576
.LBB390_579:
	s_set_inst_prefetch_distance 0x2
	s_or_b32 exec_lo, exec_lo, s13
	s_and_saveexec_b32 s3, s17
	s_delay_alu instid0(SALU_CYCLE_1)
	s_xor_b32 s3, exec_lo, s3
; %bb.580:
	v_cndmask_b32_e64 v8, v4, v2, s5
	v_cndmask_b32_e64 v9, v5, v3, s5
	;; [unrolled: 1-line block ×4, first 2 shown]
	s_delay_alu instid0(VALU_DEP_3)
	v_dual_mov_b32 v4, v8 :: v_dual_mov_b32 v5, v9
; %bb.581:
	s_or_b32 exec_lo, exec_lo, s3
.LBB390_582:
	s_delay_alu instid0(SALU_CYCLE_1) | instskip(SKIP_4) | instid1(VALU_DEP_2)
	s_or_b32 exec_lo, exec_lo, s12
	v_mbcnt_lo_u32_b32 v8, -1, 0
	v_and_b32_e32 v9, 0xffffff80, v18
	s_mov_b32 s12, 0
	s_mov_b32 s13, exec_lo
	v_lshlrev_b32_e32 v20, 2, v8
	s_delay_alu instid0(VALU_DEP_2) | instskip(SKIP_1) | instid1(VALU_DEP_3)
	v_sub_nc_u32_e64 v19, s18, v9 clamp
	v_lshlrev_b32_e32 v18, 3, v9
	v_or_b32_e32 v10, 4, v20
	v_and_b32_e32 v11, 4, v20
	v_and_b32_e32 v28, 0x78, v20
	s_delay_alu instid0(VALU_DEP_4)
	v_lshl_or_b32 v21, v8, 5, v18
	ds_store_b128 v21, v[0:3]
	ds_store_b128 v21, v[4:7] offset:16
	v_min_u32_e32 v22, v19, v10
	v_min_u32_e32 v29, v19, v11
	v_lshl_or_b32 v25, v28, 3, v18
	; wave barrier
	s_delay_alu instid0(VALU_DEP_3) | instskip(SKIP_1) | instid1(VALU_DEP_2)
	v_add_nc_u32_e32 v10, 4, v22
	v_sub_nc_u32_e32 v11, v22, v28
	v_min_u32_e32 v23, v19, v10
	s_delay_alu instid0(VALU_DEP_2) | instskip(NEXT) | instid1(VALU_DEP_2)
	v_min_u32_e32 v30, v29, v11
	v_sub_nc_u32_e32 v10, v23, v22
	s_delay_alu instid0(VALU_DEP_1) | instskip(NEXT) | instid1(VALU_DEP_1)
	v_sub_nc_u32_e64 v24, v29, v10 clamp
	v_cmpx_lt_u32_e64 v24, v30
	s_cbranch_execz .LBB390_593
; %bb.583:
	v_lshlrev_b32_e32 v8, 3, v22
	v_lshlrev_b32_e32 v9, 3, v29
	s_lshl_b64 s[4:5], s[8:9], 2
	s_delay_alu instid0(VALU_DEP_1)
	v_add3_u32 v31, v18, v8, v9
	s_branch .LBB390_586
.LBB390_584:                            ;   in Loop: Header=BB390_586 Depth=1
	s_set_inst_prefetch_distance 0x2
	s_or_b32 exec_lo, exec_lo, s17
.LBB390_585:                            ;   in Loop: Header=BB390_586 Depth=1
	s_delay_alu instid0(VALU_DEP_1) | instskip(SKIP_1) | instid1(VALU_DEP_2)
	v_add_nc_u32_e32 v8, 1, v32
	v_cndmask_b32_e64 v30, v30, v32, s20
	v_cndmask_b32_e64 v24, v8, v24, s20
	s_delay_alu instid0(VALU_DEP_1) | instskip(SKIP_1) | instid1(SALU_CYCLE_1)
	v_cmp_ge_u32_e32 vcc_lo, v24, v30
	s_or_b32 s12, vcc_lo, s12
	s_and_not1_b32 exec_lo, exec_lo, s12
	s_cbranch_execz .LBB390_592
.LBB390_586:                            ; =>This Loop Header: Depth=1
                                        ;     Child Loop BB390_589 Depth 2
	v_add_nc_u32_e32 v8, v30, v24
	s_and_not1_b32 vcc_lo, exec_lo, s16
	s_delay_alu instid0(VALU_DEP_1)
	v_lshrrev_b32_e32 v32, 1, v8
	s_cbranch_vccnz .LBB390_591
; %bb.587:                              ;   in Loop: Header=BB390_586 Depth=1
	s_delay_alu instid0(VALU_DEP_1) | instskip(SKIP_3) | instid1(VALU_DEP_2)
	v_not_b32_e32 v8, v32
	v_lshl_add_u32 v9, v32, 3, v25
	s_mov_b32 s17, 0
	s_mov_b64 s[6:7], s[8:9]
                                        ; implicit-def: $sgpr20
                                        ; implicit-def: $sgpr21
                                        ; implicit-def: $sgpr22
                                        ; implicit-def: $sgpr23
                                        ; implicit-def: $sgpr24
	v_lshl_add_u32 v8, v8, 3, v31
	ds_load_b64 v[10:11], v8
	ds_load_b64 v[33:34], v9
	s_waitcnt lgkmcnt(1)
	v_mul_lo_u32 v35, s4, v11
	v_mul_lo_u32 v36, s5, v10
	v_mad_u64_u32 v[8:9], null, s4, v10, s[10:11]
	s_waitcnt lgkmcnt(0)
	v_mul_lo_u32 v34, s4, v34
	v_mul_lo_u32 v37, s5, v33
	v_mad_u64_u32 v[10:11], null, s4, v33, s[10:11]
	s_delay_alu instid0(VALU_DEP_4) | instskip(NEXT) | instid1(VALU_DEP_2)
	v_add3_u32 v9, v36, v9, v35
	v_add3_u32 v11, v37, v11, v34
	s_set_inst_prefetch_distance 0x1
	s_branch .LBB390_589
	.p2align	6
.LBB390_588:                            ;   in Loop: Header=BB390_589 Depth=2
	s_or_b32 exec_lo, exec_lo, s3
	s_delay_alu instid0(SALU_CYCLE_1) | instskip(NEXT) | instid1(SALU_CYCLE_1)
	s_and_b32 s3, exec_lo, s21
	s_or_b32 s17, s3, s17
	s_and_not1_b32 s3, s24, exec_lo
	s_and_b32 s24, s22, exec_lo
	s_and_not1_b32 s20, s20, exec_lo
	s_and_b32 s25, s23, exec_lo
	s_or_b32 s24, s3, s24
	s_or_b32 s20, s20, s25
	s_and_not1_b32 exec_lo, exec_lo, s17
	s_cbranch_execz .LBB390_584
.LBB390_589:                            ;   Parent Loop BB390_586 Depth=1
                                        ; =>  This Inner Loop Header: Depth=2
	global_load_b32 v33, v[8:9], off
	global_load_b32 v34, v[10:11], off
	s_and_not1_b32 s23, s23, exec_lo
	s_and_not1_b32 s22, s22, exec_lo
	s_or_b32 s21, s21, exec_lo
	s_waitcnt vmcnt(0)
	v_cmp_le_i32_e32 vcc_lo, v33, v34
	v_cmp_lt_i32_e64 s3, v33, v34
	s_and_b32 s25, vcc_lo, s24
	s_delay_alu instid0(VALU_DEP_1) | instid1(SALU_CYCLE_1)
	s_or_b32 s25, s3, s25
	s_delay_alu instid0(SALU_CYCLE_1) | instskip(NEXT) | instid1(SALU_CYCLE_1)
	s_and_b32 s3, s25, exec_lo
	s_or_b32 s23, s23, s3
	s_mov_b32 s3, exec_lo
	v_cmpx_eq_u32_e64 v33, v34
	s_cbranch_execz .LBB390_588
; %bb.590:                              ;   in Loop: Header=BB390_589 Depth=2
	s_add_u32 s6, s6, -1
	s_addc_u32 s7, s7, -1
	v_add_co_u32 v8, vcc_lo, v8, 4
	s_cmp_eq_u64 s[6:7], 0
	v_add_co_ci_u32_e32 v9, vcc_lo, 0, v9, vcc_lo
	s_cselect_b32 s24, -1, 0
	v_add_co_u32 v10, vcc_lo, v10, 4
	s_and_not1_b32 s22, s22, exec_lo
	s_and_b32 s25, s25, exec_lo
	s_and_not1_b32 s21, s21, exec_lo
	s_and_b32 s24, s24, exec_lo
	v_add_co_ci_u32_e32 v11, vcc_lo, 0, v11, vcc_lo
	s_and_not1_b32 s23, s23, exec_lo
	s_or_b32 s22, s22, s25
	s_or_b32 s21, s21, s24
                                        ; implicit-def: $sgpr24
	s_branch .LBB390_588
.LBB390_591:                            ;   in Loop: Header=BB390_586 Depth=1
	s_mov_b32 s20, 0
	s_branch .LBB390_585
.LBB390_592:
	s_or_b32 exec_lo, exec_lo, s12
.LBB390_593:
	s_delay_alu instid0(SALU_CYCLE_1) | instskip(SKIP_2) | instid1(VALU_DEP_2)
	s_or_b32 exec_lo, exec_lo, s13
	v_add_nc_u32_e32 v9, v22, v29
	v_add_nc_u32_e32 v8, v24, v28
	v_sub_nc_u32_e32 v9, v9, v24
	s_delay_alu instid0(VALU_DEP_2) | instskip(NEXT) | instid1(VALU_DEP_2)
	v_cmp_le_u32_e32 vcc_lo, v8, v22
	v_cmp_le_u32_e64 s3, v9, v23
	s_delay_alu instid0(VALU_DEP_1) | instskip(NEXT) | instid1(SALU_CYCLE_1)
	s_or_b32 s3, vcc_lo, s3
	s_and_saveexec_b32 s6, s3
	s_cbranch_execz .LBB390_640
; %bb.594:
	v_cmp_ge_u32_e32 vcc_lo, v8, v22
	s_mov_b32 s4, exec_lo
                                        ; implicit-def: $vgpr0_vgpr1
	v_cmpx_lt_u32_e64 v8, v22
	s_cbranch_execz .LBB390_596
; %bb.595:
	v_lshl_add_u32 v0, v24, 3, v25
	ds_load_b64 v[0:1], v0
.LBB390_596:
	s_or_b32 exec_lo, exec_lo, s4
	v_cmp_ge_u32_e64 s7, v9, v23
	s_mov_b32 s4, exec_lo
                                        ; implicit-def: $vgpr2_vgpr3
	v_cmpx_lt_u32_e64 v9, v23
	s_cbranch_execz .LBB390_598
; %bb.597:
	v_lshl_add_u32 v2, v9, 3, v18
	ds_load_b64 v[2:3], v2
.LBB390_598:
	s_or_b32 exec_lo, exec_lo, s4
	s_or_b32 s3, vcc_lo, s7
	s_mov_b32 s12, -1
	s_xor_b32 s3, s3, -1
	s_delay_alu instid0(SALU_CYCLE_1)
	s_and_saveexec_b32 s13, s3
	s_cbranch_execz .LBB390_607
; %bb.599:
	s_and_not1_b32 vcc_lo, exec_lo, s16
	s_cbranch_vccnz .LBB390_605
; %bb.600:
	s_waitcnt lgkmcnt(0)
	v_mul_lo_u32 v10, v3, s8
	v_mul_lo_u32 v11, v2, s9
	v_mad_u64_u32 v[4:5], null, v2, s8, 0
	v_mul_lo_u32 v24, v1, s8
	v_mul_lo_u32 v25, v0, s9
	v_mad_u64_u32 v[6:7], null, v0, s8, 0
	s_mov_b32 s17, 0
	s_mov_b64 s[4:5], s[8:9]
	s_delay_alu instid0(VALU_DEP_4) | instskip(NEXT) | instid1(VALU_DEP_2)
	v_add3_u32 v5, v5, v11, v10
                                        ; implicit-def: $sgpr20
                                        ; implicit-def: $sgpr21
                                        ; implicit-def: $sgpr22
                                        ; implicit-def: $sgpr23
                                        ; implicit-def: $sgpr24
	v_add3_u32 v7, v7, v25, v24
	s_delay_alu instid0(VALU_DEP_2) | instskip(NEXT) | instid1(VALU_DEP_2)
	v_lshlrev_b64 v[4:5], 2, v[4:5]
	v_lshlrev_b64 v[6:7], 2, v[6:7]
	s_delay_alu instid0(VALU_DEP_2) | instskip(NEXT) | instid1(VALU_DEP_3)
	v_add_co_u32 v4, vcc_lo, s10, v4
	v_add_co_ci_u32_e32 v5, vcc_lo, s11, v5, vcc_lo
	s_delay_alu instid0(VALU_DEP_3) | instskip(NEXT) | instid1(VALU_DEP_4)
	v_add_co_u32 v6, vcc_lo, s10, v6
	v_add_co_ci_u32_e32 v7, vcc_lo, s11, v7, vcc_lo
	s_set_inst_prefetch_distance 0x1
	s_branch .LBB390_602
	.p2align	6
.LBB390_601:                            ;   in Loop: Header=BB390_602 Depth=1
	s_or_b32 exec_lo, exec_lo, s3
	s_delay_alu instid0(SALU_CYCLE_1) | instskip(NEXT) | instid1(SALU_CYCLE_1)
	s_and_b32 s3, exec_lo, s21
	s_or_b32 s17, s3, s17
	s_and_not1_b32 s3, s24, exec_lo
	s_and_b32 s24, s23, exec_lo
	s_and_not1_b32 s20, s20, exec_lo
	s_and_b32 s25, s22, exec_lo
	s_or_b32 s24, s3, s24
	s_or_b32 s20, s20, s25
	s_and_not1_b32 exec_lo, exec_lo, s17
	s_cbranch_execz .LBB390_604
.LBB390_602:                            ; =>This Inner Loop Header: Depth=1
	global_load_b32 v10, v[4:5], off
	global_load_b32 v11, v[6:7], off
	s_and_not1_b32 s22, s22, exec_lo
	s_and_not1_b32 s23, s23, exec_lo
	s_or_b32 s21, s21, exec_lo
	s_waitcnt vmcnt(0)
	v_cmp_le_i32_e32 vcc_lo, v10, v11
	v_cmp_lt_i32_e64 s3, v10, v11
	s_and_b32 s25, vcc_lo, s24
	s_delay_alu instid0(VALU_DEP_1) | instid1(SALU_CYCLE_1)
	s_or_b32 s25, s3, s25
	s_delay_alu instid0(SALU_CYCLE_1) | instskip(NEXT) | instid1(SALU_CYCLE_1)
	s_and_b32 s3, s25, exec_lo
	s_or_b32 s22, s22, s3
	s_mov_b32 s3, exec_lo
	v_cmpx_eq_u32_e64 v10, v11
	s_cbranch_execz .LBB390_601
; %bb.603:                              ;   in Loop: Header=BB390_602 Depth=1
	s_add_u32 s4, s4, -1
	s_addc_u32 s5, s5, -1
	v_add_co_u32 v4, vcc_lo, v4, 4
	s_cmp_eq_u64 s[4:5], 0
	v_add_co_ci_u32_e32 v5, vcc_lo, 0, v5, vcc_lo
	s_cselect_b32 s24, -1, 0
	s_and_not1_b32 s23, s23, exec_lo
	s_and_b32 s25, s25, exec_lo
	v_add_co_u32 v6, vcc_lo, v6, 4
	s_and_not1_b32 s21, s21, exec_lo
	s_and_b32 s24, s24, exec_lo
	v_add_co_ci_u32_e32 v7, vcc_lo, 0, v7, vcc_lo
	s_or_b32 s23, s23, s25
	s_and_not1_b32 s22, s22, exec_lo
	s_or_b32 s21, s21, s24
                                        ; implicit-def: $sgpr24
	s_branch .LBB390_601
.LBB390_604:
	s_set_inst_prefetch_distance 0x2
	s_or_b32 exec_lo, exec_lo, s17
	s_xor_b32 s3, s20, -1
	s_branch .LBB390_606
.LBB390_605:
	s_mov_b32 s3, -1
.LBB390_606:
	s_and_not1_b32 s4, s7, exec_lo
	s_and_b32 s3, s3, exec_lo
	s_delay_alu instid0(SALU_CYCLE_1)
	s_or_b32 s7, s4, s3
.LBB390_607:
	s_or_b32 exec_lo, exec_lo, s13
	v_cndmask_b32_e64 v4, v9, v8, s7
	v_cndmask_b32_e64 v5, v23, v22, s7
	s_mov_b32 s13, exec_lo
	s_delay_alu instid0(VALU_DEP_2) | instskip(NEXT) | instid1(VALU_DEP_2)
	v_add_nc_u32_e32 v6, 1, v4
	v_add_nc_u32_e32 v4, -1, v5
	s_delay_alu instid0(VALU_DEP_2) | instskip(NEXT) | instid1(VALU_DEP_2)
	v_cndmask_b32_e64 v9, v6, v9, s7
	v_min_u32_e32 v4, v6, v4
	v_cndmask_b32_e64 v8, v8, v6, s7
	s_delay_alu instid0(VALU_DEP_2)
	v_lshl_add_u32 v4, v4, 3, v18
	ds_load_b64 v[4:5], v4
	s_waitcnt lgkmcnt(0)
	v_cndmask_b32_e64 v24, v5, v3, s7
	v_cndmask_b32_e64 v25, v4, v2, s7
	;; [unrolled: 1-line block ×4, first 2 shown]
	v_cmpx_lt_u32_e64 v9, v23
	s_cbranch_execz .LBB390_618
; %bb.608:
	s_mov_b32 s3, 0
	s_mov_b32 s12, exec_lo
	v_cmpx_lt_u32_e64 v8, v22
	s_cbranch_execz .LBB390_617
; %bb.609:
	s_and_not1_b32 vcc_lo, exec_lo, s16
	s_cbranch_vccnz .LBB390_615
; %bb.610:
	v_mul_lo_u32 v10, v24, s8
	v_mul_lo_u32 v11, v25, s9
	v_mad_u64_u32 v[4:5], null, v25, s8, 0
	v_mul_lo_u32 v30, v28, s8
	v_mul_lo_u32 v31, v29, s9
	v_mad_u64_u32 v[6:7], null, v29, s8, 0
	s_mov_b32 s17, 0
	s_mov_b64 s[4:5], s[8:9]
	s_delay_alu instid0(VALU_DEP_4) | instskip(NEXT) | instid1(VALU_DEP_2)
	v_add3_u32 v5, v5, v11, v10
                                        ; implicit-def: $sgpr20
                                        ; implicit-def: $sgpr21
                                        ; implicit-def: $sgpr22
                                        ; implicit-def: $sgpr23
                                        ; implicit-def: $sgpr24
	v_add3_u32 v7, v7, v31, v30
	s_delay_alu instid0(VALU_DEP_2) | instskip(NEXT) | instid1(VALU_DEP_2)
	v_lshlrev_b64 v[4:5], 2, v[4:5]
	v_lshlrev_b64 v[6:7], 2, v[6:7]
	s_delay_alu instid0(VALU_DEP_2) | instskip(NEXT) | instid1(VALU_DEP_3)
	v_add_co_u32 v4, vcc_lo, s10, v4
	v_add_co_ci_u32_e32 v5, vcc_lo, s11, v5, vcc_lo
	s_delay_alu instid0(VALU_DEP_3) | instskip(NEXT) | instid1(VALU_DEP_4)
	v_add_co_u32 v6, vcc_lo, s10, v6
	v_add_co_ci_u32_e32 v7, vcc_lo, s11, v7, vcc_lo
	s_set_inst_prefetch_distance 0x1
	s_branch .LBB390_612
	.p2align	6
.LBB390_611:                            ;   in Loop: Header=BB390_612 Depth=1
	s_or_b32 exec_lo, exec_lo, s3
	s_delay_alu instid0(SALU_CYCLE_1) | instskip(NEXT) | instid1(SALU_CYCLE_1)
	s_and_b32 s3, exec_lo, s21
	s_or_b32 s17, s3, s17
	s_and_not1_b32 s3, s24, exec_lo
	s_and_b32 s24, s23, exec_lo
	s_and_not1_b32 s20, s20, exec_lo
	s_and_b32 s25, s22, exec_lo
	s_or_b32 s24, s3, s24
	s_or_b32 s20, s20, s25
	s_and_not1_b32 exec_lo, exec_lo, s17
	s_cbranch_execz .LBB390_614
.LBB390_612:                            ; =>This Inner Loop Header: Depth=1
	global_load_b32 v10, v[4:5], off
	global_load_b32 v11, v[6:7], off
	s_and_not1_b32 s22, s22, exec_lo
	s_and_not1_b32 s23, s23, exec_lo
	s_or_b32 s21, s21, exec_lo
	s_waitcnt vmcnt(0)
	v_cmp_le_i32_e32 vcc_lo, v10, v11
	v_cmp_lt_i32_e64 s3, v10, v11
	s_and_b32 s25, vcc_lo, s24
	s_delay_alu instid0(VALU_DEP_1) | instid1(SALU_CYCLE_1)
	s_or_b32 s25, s3, s25
	s_delay_alu instid0(SALU_CYCLE_1) | instskip(NEXT) | instid1(SALU_CYCLE_1)
	s_and_b32 s3, s25, exec_lo
	s_or_b32 s22, s22, s3
	s_mov_b32 s3, exec_lo
	v_cmpx_eq_u32_e64 v10, v11
	s_cbranch_execz .LBB390_611
; %bb.613:                              ;   in Loop: Header=BB390_612 Depth=1
	s_add_u32 s4, s4, -1
	s_addc_u32 s5, s5, -1
	v_add_co_u32 v4, vcc_lo, v4, 4
	s_cmp_eq_u64 s[4:5], 0
	v_add_co_ci_u32_e32 v5, vcc_lo, 0, v5, vcc_lo
	v_add_co_u32 v6, vcc_lo, v6, 4
	s_cselect_b32 s24, -1, 0
	v_add_co_ci_u32_e32 v7, vcc_lo, 0, v7, vcc_lo
	s_and_not1_b32 s23, s23, exec_lo
	s_and_b32 s25, s25, exec_lo
	s_and_not1_b32 s21, s21, exec_lo
	s_and_b32 s24, s24, exec_lo
	s_or_b32 s23, s23, s25
	s_and_not1_b32 s22, s22, exec_lo
	s_or_b32 s21, s21, s24
                                        ; implicit-def: $sgpr24
	s_branch .LBB390_611
.LBB390_614:
	s_set_inst_prefetch_distance 0x2
	s_or_b32 exec_lo, exec_lo, s17
	s_xor_b32 s3, s20, -1
	s_branch .LBB390_616
.LBB390_615:
	s_mov_b32 s3, -1
.LBB390_616:
	s_delay_alu instid0(SALU_CYCLE_1)
	s_and_b32 s3, s3, exec_lo
.LBB390_617:
	s_or_b32 exec_lo, exec_lo, s12
	s_delay_alu instid0(SALU_CYCLE_1)
	s_or_not1_b32 s12, s3, exec_lo
.LBB390_618:
	s_or_b32 exec_lo, exec_lo, s13
	v_cndmask_b32_e64 v4, v9, v8, s12
	v_cndmask_b32_e64 v5, v23, v22, s12
	s_mov_b32 s13, -1
	s_mov_b32 s17, exec_lo
	s_delay_alu instid0(VALU_DEP_2) | instskip(NEXT) | instid1(VALU_DEP_2)
	v_add_nc_u32_e32 v6, 1, v4
	v_add_nc_u32_e32 v4, -1, v5
	s_delay_alu instid0(VALU_DEP_2) | instskip(NEXT) | instid1(VALU_DEP_2)
	v_cndmask_b32_e64 v9, v6, v9, s12
	v_min_u32_e32 v4, v6, v4
	v_cndmask_b32_e64 v8, v8, v6, s12
	s_delay_alu instid0(VALU_DEP_2)
	v_lshl_add_u32 v4, v4, 3, v18
	ds_load_b64 v[4:5], v4
	s_waitcnt lgkmcnt(0)
	v_cndmask_b32_e64 v30, v5, v24, s12
	v_cndmask_b32_e64 v31, v4, v25, s12
	;; [unrolled: 1-line block ×4, first 2 shown]
	v_cmpx_lt_u32_e64 v9, v23
	s_cbranch_execz .LBB390_629
; %bb.619:
	s_mov_b32 s3, 0
	s_mov_b32 s13, exec_lo
	v_cmpx_lt_u32_e64 v8, v22
	s_cbranch_execz .LBB390_628
; %bb.620:
	s_and_not1_b32 vcc_lo, exec_lo, s16
	s_cbranch_vccnz .LBB390_626
; %bb.621:
	v_mul_lo_u32 v10, v30, s8
	v_mul_lo_u32 v11, v31, s9
	v_mad_u64_u32 v[4:5], null, v31, s8, 0
	v_mul_lo_u32 v34, v32, s8
	v_mul_lo_u32 v35, v33, s9
	v_mad_u64_u32 v[6:7], null, v33, s8, 0
	s_mov_b32 s20, 0
	s_mov_b64 s[4:5], s[8:9]
	s_delay_alu instid0(VALU_DEP_4) | instskip(NEXT) | instid1(VALU_DEP_2)
	v_add3_u32 v5, v5, v11, v10
                                        ; implicit-def: $sgpr21
                                        ; implicit-def: $sgpr22
                                        ; implicit-def: $sgpr23
                                        ; implicit-def: $sgpr24
                                        ; implicit-def: $sgpr25
	v_add3_u32 v7, v7, v35, v34
	s_delay_alu instid0(VALU_DEP_2) | instskip(NEXT) | instid1(VALU_DEP_2)
	v_lshlrev_b64 v[4:5], 2, v[4:5]
	v_lshlrev_b64 v[6:7], 2, v[6:7]
	s_delay_alu instid0(VALU_DEP_2) | instskip(NEXT) | instid1(VALU_DEP_3)
	v_add_co_u32 v4, vcc_lo, s10, v4
	v_add_co_ci_u32_e32 v5, vcc_lo, s11, v5, vcc_lo
	s_delay_alu instid0(VALU_DEP_3) | instskip(NEXT) | instid1(VALU_DEP_4)
	v_add_co_u32 v6, vcc_lo, s10, v6
	v_add_co_ci_u32_e32 v7, vcc_lo, s11, v7, vcc_lo
	s_set_inst_prefetch_distance 0x1
	s_branch .LBB390_623
	.p2align	6
.LBB390_622:                            ;   in Loop: Header=BB390_623 Depth=1
	s_or_b32 exec_lo, exec_lo, s3
	s_delay_alu instid0(SALU_CYCLE_1) | instskip(NEXT) | instid1(SALU_CYCLE_1)
	s_and_b32 s3, exec_lo, s22
	s_or_b32 s20, s3, s20
	s_and_not1_b32 s3, s25, exec_lo
	s_and_b32 s25, s24, exec_lo
	s_and_not1_b32 s21, s21, exec_lo
	s_and_b32 s26, s23, exec_lo
	s_or_b32 s25, s3, s25
	s_or_b32 s21, s21, s26
	s_and_not1_b32 exec_lo, exec_lo, s20
	s_cbranch_execz .LBB390_625
.LBB390_623:                            ; =>This Inner Loop Header: Depth=1
	global_load_b32 v10, v[4:5], off
	global_load_b32 v11, v[6:7], off
	s_and_not1_b32 s23, s23, exec_lo
	s_and_not1_b32 s24, s24, exec_lo
	s_or_b32 s22, s22, exec_lo
	s_waitcnt vmcnt(0)
	v_cmp_le_i32_e32 vcc_lo, v10, v11
	v_cmp_lt_i32_e64 s3, v10, v11
	s_and_b32 s26, vcc_lo, s25
	s_delay_alu instid0(VALU_DEP_1) | instid1(SALU_CYCLE_1)
	s_or_b32 s26, s3, s26
	s_delay_alu instid0(SALU_CYCLE_1) | instskip(NEXT) | instid1(SALU_CYCLE_1)
	s_and_b32 s3, s26, exec_lo
	s_or_b32 s23, s23, s3
	s_mov_b32 s3, exec_lo
	v_cmpx_eq_u32_e64 v10, v11
	s_cbranch_execz .LBB390_622
; %bb.624:                              ;   in Loop: Header=BB390_623 Depth=1
	s_add_u32 s4, s4, -1
	s_addc_u32 s5, s5, -1
	v_add_co_u32 v4, vcc_lo, v4, 4
	s_cmp_eq_u64 s[4:5], 0
	v_add_co_ci_u32_e32 v5, vcc_lo, 0, v5, vcc_lo
	v_add_co_u32 v6, vcc_lo, v6, 4
	s_cselect_b32 s25, -1, 0
	v_add_co_ci_u32_e32 v7, vcc_lo, 0, v7, vcc_lo
	s_and_not1_b32 s24, s24, exec_lo
	s_and_b32 s26, s26, exec_lo
	s_and_not1_b32 s22, s22, exec_lo
	s_and_b32 s25, s25, exec_lo
	s_or_b32 s24, s24, s26
	s_and_not1_b32 s23, s23, exec_lo
	s_or_b32 s22, s22, s25
                                        ; implicit-def: $sgpr25
	s_branch .LBB390_622
.LBB390_625:
	s_set_inst_prefetch_distance 0x2
	s_or_b32 exec_lo, exec_lo, s20
	s_xor_b32 s3, s21, -1
	s_branch .LBB390_627
.LBB390_626:
	s_mov_b32 s3, -1
.LBB390_627:
	s_delay_alu instid0(SALU_CYCLE_1)
	s_and_b32 s3, s3, exec_lo
.LBB390_628:
	s_or_b32 exec_lo, exec_lo, s13
	s_delay_alu instid0(SALU_CYCLE_1)
	s_or_not1_b32 s13, s3, exec_lo
.LBB390_629:
	s_or_b32 exec_lo, exec_lo, s17
	v_cndmask_b32_e64 v4, v9, v8, s13
	v_cndmask_b32_e64 v5, v23, v22, s13
	s_mov_b32 s17, exec_lo
	s_delay_alu instid0(VALU_DEP_2) | instskip(NEXT) | instid1(VALU_DEP_2)
	v_add_nc_u32_e32 v10, 1, v4
	v_add_nc_u32_e32 v4, -1, v5
	s_delay_alu instid0(VALU_DEP_2) | instskip(NEXT) | instid1(VALU_DEP_2)
	v_cndmask_b32_e64 v9, v10, v9, s13
	v_min_u32_e32 v4, v10, v4
	s_delay_alu instid0(VALU_DEP_1)
	v_lshl_add_u32 v4, v4, 3, v18
	ds_load_b64 v[4:5], v4
	s_waitcnt lgkmcnt(0)
	v_cndmask_b32_e64 v7, v32, v5, s13
	v_cndmask_b32_e64 v6, v33, v4, s13
	v_cmpx_lt_u32_e64 v9, v23
	s_cbranch_execz .LBB390_639
; %bb.630:
	v_cndmask_b32_e64 v8, v8, v10, s13
	v_cndmask_b32_e64 v5, v5, v30, s13
	;; [unrolled: 1-line block ×3, first 2 shown]
	s_mov_b32 s20, exec_lo
	s_delay_alu instid0(VALU_DEP_3)
	v_cmpx_lt_u32_e64 v8, v22
	s_cbranch_execz .LBB390_638
; %bb.631:
	s_and_not1_b32 vcc_lo, exec_lo, s16
	s_cbranch_vccnz .LBB390_637
; %bb.632:
	v_mul_lo_u32 v22, v5, s8
	v_mul_lo_u32 v23, v4, s9
	v_mad_u64_u32 v[8:9], null, v4, s8, 0
	v_mul_lo_u32 v34, v7, s8
	v_mul_lo_u32 v35, v6, s9
	v_mad_u64_u32 v[10:11], null, v6, s8, 0
	s_mov_b32 s21, 0
	s_mov_b64 s[4:5], s[8:9]
	s_delay_alu instid0(VALU_DEP_4) | instskip(NEXT) | instid1(VALU_DEP_2)
	v_add3_u32 v9, v9, v23, v22
                                        ; implicit-def: $sgpr22
                                        ; implicit-def: $sgpr23
                                        ; implicit-def: $sgpr24
                                        ; implicit-def: $sgpr25
                                        ; implicit-def: $sgpr26
	v_add3_u32 v11, v11, v35, v34
	s_delay_alu instid0(VALU_DEP_2) | instskip(NEXT) | instid1(VALU_DEP_2)
	v_lshlrev_b64 v[8:9], 2, v[8:9]
	v_lshlrev_b64 v[10:11], 2, v[10:11]
	s_delay_alu instid0(VALU_DEP_2) | instskip(NEXT) | instid1(VALU_DEP_3)
	v_add_co_u32 v8, vcc_lo, s10, v8
	v_add_co_ci_u32_e32 v9, vcc_lo, s11, v9, vcc_lo
	s_delay_alu instid0(VALU_DEP_3) | instskip(NEXT) | instid1(VALU_DEP_4)
	v_add_co_u32 v10, vcc_lo, s10, v10
	v_add_co_ci_u32_e32 v11, vcc_lo, s11, v11, vcc_lo
	s_set_inst_prefetch_distance 0x1
	s_branch .LBB390_634
	.p2align	6
.LBB390_633:                            ;   in Loop: Header=BB390_634 Depth=1
	s_or_b32 exec_lo, exec_lo, s3
	s_delay_alu instid0(SALU_CYCLE_1) | instskip(NEXT) | instid1(SALU_CYCLE_1)
	s_and_b32 s3, exec_lo, s23
	s_or_b32 s21, s3, s21
	s_and_not1_b32 s3, s26, exec_lo
	s_and_b32 s26, s25, exec_lo
	s_and_not1_b32 s22, s22, exec_lo
	s_and_b32 s27, s24, exec_lo
	s_or_b32 s26, s3, s26
	s_or_b32 s22, s22, s27
	s_and_not1_b32 exec_lo, exec_lo, s21
	s_cbranch_execz .LBB390_636
.LBB390_634:                            ; =>This Inner Loop Header: Depth=1
	global_load_b32 v22, v[8:9], off
	global_load_b32 v23, v[10:11], off
	s_and_not1_b32 s24, s24, exec_lo
	s_and_not1_b32 s25, s25, exec_lo
	s_or_b32 s23, s23, exec_lo
	s_waitcnt vmcnt(0)
	v_cmp_le_i32_e32 vcc_lo, v22, v23
	v_cmp_lt_i32_e64 s3, v22, v23
	s_and_b32 s27, vcc_lo, s26
	s_delay_alu instid0(VALU_DEP_1) | instid1(SALU_CYCLE_1)
	s_or_b32 s27, s3, s27
	s_delay_alu instid0(SALU_CYCLE_1) | instskip(NEXT) | instid1(SALU_CYCLE_1)
	s_and_b32 s3, s27, exec_lo
	s_or_b32 s24, s24, s3
	s_mov_b32 s3, exec_lo
	v_cmpx_eq_u32_e64 v22, v23
	s_cbranch_execz .LBB390_633
; %bb.635:                              ;   in Loop: Header=BB390_634 Depth=1
	s_add_u32 s4, s4, -1
	s_addc_u32 s5, s5, -1
	v_add_co_u32 v8, vcc_lo, v8, 4
	s_cmp_eq_u64 s[4:5], 0
	v_add_co_ci_u32_e32 v9, vcc_lo, 0, v9, vcc_lo
	v_add_co_u32 v10, vcc_lo, v10, 4
	s_cselect_b32 s26, -1, 0
	v_add_co_ci_u32_e32 v11, vcc_lo, 0, v11, vcc_lo
	s_and_not1_b32 s25, s25, exec_lo
	s_and_b32 s27, s27, exec_lo
	s_and_not1_b32 s23, s23, exec_lo
	s_and_b32 s26, s26, exec_lo
	s_or_b32 s25, s25, s27
	s_and_not1_b32 s24, s24, exec_lo
	s_or_b32 s23, s23, s26
                                        ; implicit-def: $sgpr26
	s_branch .LBB390_633
.LBB390_636:
	s_set_inst_prefetch_distance 0x2
	s_or_b32 exec_lo, exec_lo, s21
	v_cndmask_b32_e64 v7, v7, v5, s22
	v_cndmask_b32_e64 v6, v6, v4, s22
.LBB390_637:
	s_delay_alu instid0(VALU_DEP_1)
	v_dual_mov_b32 v4, v6 :: v_dual_mov_b32 v5, v7
.LBB390_638:
	s_or_b32 exec_lo, exec_lo, s20
	s_delay_alu instid0(VALU_DEP_1)
	v_dual_mov_b32 v7, v5 :: v_dual_mov_b32 v6, v4
.LBB390_639:
	s_or_b32 exec_lo, exec_lo, s17
	v_cndmask_b32_e64 v1, v3, v1, s7
	v_cndmask_b32_e64 v0, v2, v0, s7
	;; [unrolled: 1-line block ×6, first 2 shown]
.LBB390_640:
	s_or_b32 exec_lo, exec_lo, s6
	v_and_b32_e32 v28, 0x70, v20
	v_and_b32_e32 v9, 12, v20
	s_mov_b32 s12, exec_lo
	; wave barrier
	s_delay_alu instid0(VALU_DEP_2) | instskip(NEXT) | instid1(VALU_DEP_2)
	v_or_b32_e32 v8, 8, v28
	v_min_u32_e32 v29, v19, v9
	v_lshl_add_u32 v25, v28, 3, v18
	ds_store_b128 v21, v[0:3]
	ds_store_b128 v21, v[4:7] offset:16
	v_min_u32_e32 v22, v19, v8
	; wave barrier
	s_delay_alu instid0(VALU_DEP_1) | instskip(SKIP_1) | instid1(VALU_DEP_2)
	v_add_nc_u32_e32 v8, 8, v22
	v_sub_nc_u32_e32 v9, v22, v28
	v_min_u32_e32 v23, v19, v8
	s_delay_alu instid0(VALU_DEP_2) | instskip(NEXT) | instid1(VALU_DEP_2)
	v_min_u32_e32 v30, v29, v9
	v_sub_nc_u32_e32 v8, v23, v22
	s_delay_alu instid0(VALU_DEP_1) | instskip(NEXT) | instid1(VALU_DEP_1)
	v_sub_nc_u32_e64 v24, v29, v8 clamp
	v_cmpx_lt_u32_e64 v24, v30
	s_cbranch_execz .LBB390_650
; %bb.641:
	v_lshlrev_b32_e32 v8, 3, v22
	v_lshlrev_b32_e32 v9, 3, v29
	s_lshl_b64 s[4:5], s[8:9], 2
	s_mov_b32 s13, 0
	s_delay_alu instid0(VALU_DEP_1)
	v_add3_u32 v31, v18, v8, v9
	s_branch .LBB390_644
.LBB390_642:                            ;   in Loop: Header=BB390_644 Depth=1
	s_set_inst_prefetch_distance 0x2
	s_or_b32 exec_lo, exec_lo, s17
.LBB390_643:                            ;   in Loop: Header=BB390_644 Depth=1
	s_delay_alu instid0(VALU_DEP_1) | instskip(SKIP_1) | instid1(VALU_DEP_2)
	v_add_nc_u32_e32 v8, 1, v32
	v_cndmask_b32_e64 v30, v30, v32, s20
	v_cndmask_b32_e64 v24, v8, v24, s20
	s_delay_alu instid0(VALU_DEP_1) | instskip(SKIP_1) | instid1(SALU_CYCLE_1)
	v_cmp_ge_u32_e32 vcc_lo, v24, v30
	s_or_b32 s13, vcc_lo, s13
	s_and_not1_b32 exec_lo, exec_lo, s13
	s_cbranch_execz .LBB390_649
.LBB390_644:                            ; =>This Loop Header: Depth=1
                                        ;     Child Loop BB390_647 Depth 2
	v_add_nc_u32_e32 v8, v30, v24
	s_and_not1_b32 vcc_lo, exec_lo, s16
	s_mov_b32 s20, 0
	s_delay_alu instid0(VALU_DEP_1)
	v_lshrrev_b32_e32 v32, 1, v8
	s_cbranch_vccnz .LBB390_643
; %bb.645:                              ;   in Loop: Header=BB390_644 Depth=1
	s_delay_alu instid0(VALU_DEP_1) | instskip(SKIP_3) | instid1(VALU_DEP_2)
	v_not_b32_e32 v8, v32
	v_lshl_add_u32 v9, v32, 3, v25
	s_mov_b32 s17, 0
	s_mov_b64 s[6:7], s[8:9]
                                        ; implicit-def: $sgpr20
                                        ; implicit-def: $sgpr21
                                        ; implicit-def: $sgpr22
                                        ; implicit-def: $sgpr23
                                        ; implicit-def: $sgpr24
	v_lshl_add_u32 v8, v8, 3, v31
	ds_load_b64 v[10:11], v8
	ds_load_b64 v[33:34], v9
	s_waitcnt lgkmcnt(1)
	v_mul_lo_u32 v35, s4, v11
	v_mul_lo_u32 v36, s5, v10
	v_mad_u64_u32 v[8:9], null, s4, v10, s[10:11]
	s_waitcnt lgkmcnt(0)
	v_mul_lo_u32 v34, s4, v34
	v_mul_lo_u32 v37, s5, v33
	v_mad_u64_u32 v[10:11], null, s4, v33, s[10:11]
	s_delay_alu instid0(VALU_DEP_4) | instskip(NEXT) | instid1(VALU_DEP_2)
	v_add3_u32 v9, v36, v9, v35
	v_add3_u32 v11, v37, v11, v34
	s_set_inst_prefetch_distance 0x1
	s_branch .LBB390_647
	.p2align	6
.LBB390_646:                            ;   in Loop: Header=BB390_647 Depth=2
	s_or_b32 exec_lo, exec_lo, s25
	s_delay_alu instid0(SALU_CYCLE_1) | instskip(NEXT) | instid1(SALU_CYCLE_1)
	s_and_b32 s3, exec_lo, s21
	s_or_b32 s17, s3, s17
	s_and_not1_b32 s3, s24, exec_lo
	s_and_b32 s24, s22, exec_lo
	s_and_not1_b32 s20, s20, exec_lo
	s_and_b32 s25, s23, exec_lo
	s_or_b32 s24, s3, s24
	s_or_b32 s20, s20, s25
	s_and_not1_b32 exec_lo, exec_lo, s17
	s_cbranch_execz .LBB390_642
.LBB390_647:                            ;   Parent Loop BB390_644 Depth=1
                                        ; =>  This Inner Loop Header: Depth=2
	global_load_b32 v33, v[8:9], off
	global_load_b32 v34, v[10:11], off
	s_and_not1_b32 s23, s23, exec_lo
	s_and_not1_b32 s22, s22, exec_lo
	s_or_b32 s21, s21, exec_lo
	s_waitcnt vmcnt(0)
	v_cmp_le_i32_e32 vcc_lo, v33, v34
	v_cmp_lt_i32_e64 s3, v33, v34
	s_and_b32 s25, vcc_lo, s24
	s_delay_alu instid0(VALU_DEP_1) | instid1(SALU_CYCLE_1)
	s_or_b32 s3, s3, s25
	s_delay_alu instid0(SALU_CYCLE_1) | instskip(NEXT) | instid1(SALU_CYCLE_1)
	s_and_b32 s25, s3, exec_lo
	s_or_b32 s23, s23, s25
	s_mov_b32 s25, exec_lo
	v_cmpx_eq_u32_e64 v33, v34
	s_cbranch_execz .LBB390_646
; %bb.648:                              ;   in Loop: Header=BB390_647 Depth=2
	s_add_u32 s6, s6, -1
	s_addc_u32 s7, s7, -1
	v_add_co_u32 v8, vcc_lo, v8, 4
	v_add_co_ci_u32_e32 v9, vcc_lo, 0, v9, vcc_lo
	s_cmp_eq_u64 s[6:7], 0
	v_add_co_u32 v10, vcc_lo, v10, 4
	s_cselect_b32 s24, -1, 0
	v_add_co_ci_u32_e32 v11, vcc_lo, 0, v11, vcc_lo
	s_and_not1_b32 s22, s22, exec_lo
	s_and_b32 s3, s3, exec_lo
	s_and_not1_b32 s21, s21, exec_lo
	s_and_b32 s24, s24, exec_lo
	s_and_not1_b32 s23, s23, exec_lo
	s_or_b32 s22, s22, s3
	s_or_b32 s21, s21, s24
                                        ; implicit-def: $sgpr24
	s_branch .LBB390_646
.LBB390_649:
	s_or_b32 exec_lo, exec_lo, s13
.LBB390_650:
	s_delay_alu instid0(SALU_CYCLE_1) | instskip(SKIP_2) | instid1(VALU_DEP_2)
	s_or_b32 exec_lo, exec_lo, s12
	v_add_nc_u32_e32 v9, v22, v29
	v_add_nc_u32_e32 v8, v24, v28
	v_sub_nc_u32_e32 v9, v9, v24
	s_delay_alu instid0(VALU_DEP_2) | instskip(NEXT) | instid1(VALU_DEP_2)
	v_cmp_le_u32_e32 vcc_lo, v8, v22
	v_cmp_le_u32_e64 s3, v9, v23
	s_delay_alu instid0(VALU_DEP_1) | instskip(NEXT) | instid1(SALU_CYCLE_1)
	s_or_b32 s3, vcc_lo, s3
	s_and_saveexec_b32 s6, s3
	s_cbranch_execz .LBB390_697
; %bb.651:
	v_cmp_ge_u32_e32 vcc_lo, v8, v22
	s_mov_b32 s4, exec_lo
                                        ; implicit-def: $vgpr0_vgpr1
	v_cmpx_lt_u32_e64 v8, v22
	s_cbranch_execz .LBB390_653
; %bb.652:
	v_lshl_add_u32 v0, v24, 3, v25
	ds_load_b64 v[0:1], v0
.LBB390_653:
	s_or_b32 exec_lo, exec_lo, s4
	v_cmp_ge_u32_e64 s7, v9, v23
	s_mov_b32 s4, exec_lo
                                        ; implicit-def: $vgpr2_vgpr3
	v_cmpx_lt_u32_e64 v9, v23
	s_cbranch_execz .LBB390_655
; %bb.654:
	v_lshl_add_u32 v2, v9, 3, v18
	ds_load_b64 v[2:3], v2
.LBB390_655:
	s_or_b32 exec_lo, exec_lo, s4
	s_or_b32 s3, vcc_lo, s7
	s_mov_b32 s12, -1
	s_xor_b32 s3, s3, -1
	s_delay_alu instid0(SALU_CYCLE_1)
	s_and_saveexec_b32 s13, s3
	s_cbranch_execz .LBB390_664
; %bb.656:
	s_and_not1_b32 vcc_lo, exec_lo, s16
	s_cbranch_vccnz .LBB390_662
; %bb.657:
	s_waitcnt lgkmcnt(0)
	v_mul_lo_u32 v10, v3, s8
	v_mul_lo_u32 v11, v2, s9
	v_mad_u64_u32 v[4:5], null, v2, s8, 0
	v_mul_lo_u32 v24, v1, s8
	v_mul_lo_u32 v25, v0, s9
	v_mad_u64_u32 v[6:7], null, v0, s8, 0
	s_mov_b32 s17, 0
	s_mov_b64 s[4:5], s[8:9]
	s_delay_alu instid0(VALU_DEP_4) | instskip(NEXT) | instid1(VALU_DEP_2)
	v_add3_u32 v5, v5, v11, v10
                                        ; implicit-def: $sgpr20
                                        ; implicit-def: $sgpr21
                                        ; implicit-def: $sgpr22
                                        ; implicit-def: $sgpr23
                                        ; implicit-def: $sgpr24
	v_add3_u32 v7, v7, v25, v24
	s_delay_alu instid0(VALU_DEP_2) | instskip(NEXT) | instid1(VALU_DEP_2)
	v_lshlrev_b64 v[4:5], 2, v[4:5]
	v_lshlrev_b64 v[6:7], 2, v[6:7]
	s_delay_alu instid0(VALU_DEP_2) | instskip(NEXT) | instid1(VALU_DEP_3)
	v_add_co_u32 v4, vcc_lo, s10, v4
	v_add_co_ci_u32_e32 v5, vcc_lo, s11, v5, vcc_lo
	s_delay_alu instid0(VALU_DEP_3) | instskip(NEXT) | instid1(VALU_DEP_4)
	v_add_co_u32 v6, vcc_lo, s10, v6
	v_add_co_ci_u32_e32 v7, vcc_lo, s11, v7, vcc_lo
	s_set_inst_prefetch_distance 0x1
	s_branch .LBB390_659
	.p2align	6
.LBB390_658:                            ;   in Loop: Header=BB390_659 Depth=1
	s_or_b32 exec_lo, exec_lo, s3
	s_delay_alu instid0(SALU_CYCLE_1) | instskip(NEXT) | instid1(SALU_CYCLE_1)
	s_and_b32 s3, exec_lo, s21
	s_or_b32 s17, s3, s17
	s_and_not1_b32 s3, s24, exec_lo
	s_and_b32 s24, s23, exec_lo
	s_and_not1_b32 s20, s20, exec_lo
	s_and_b32 s25, s22, exec_lo
	s_or_b32 s24, s3, s24
	s_or_b32 s20, s20, s25
	s_and_not1_b32 exec_lo, exec_lo, s17
	s_cbranch_execz .LBB390_661
.LBB390_659:                            ; =>This Inner Loop Header: Depth=1
	global_load_b32 v10, v[4:5], off
	global_load_b32 v11, v[6:7], off
	s_and_not1_b32 s22, s22, exec_lo
	s_and_not1_b32 s23, s23, exec_lo
	s_or_b32 s21, s21, exec_lo
	s_waitcnt vmcnt(0)
	v_cmp_le_i32_e32 vcc_lo, v10, v11
	v_cmp_lt_i32_e64 s3, v10, v11
	s_and_b32 s25, vcc_lo, s24
	s_delay_alu instid0(VALU_DEP_1) | instid1(SALU_CYCLE_1)
	s_or_b32 s25, s3, s25
	s_delay_alu instid0(SALU_CYCLE_1) | instskip(NEXT) | instid1(SALU_CYCLE_1)
	s_and_b32 s3, s25, exec_lo
	s_or_b32 s22, s22, s3
	s_mov_b32 s3, exec_lo
	v_cmpx_eq_u32_e64 v10, v11
	s_cbranch_execz .LBB390_658
; %bb.660:                              ;   in Loop: Header=BB390_659 Depth=1
	s_add_u32 s4, s4, -1
	s_addc_u32 s5, s5, -1
	v_add_co_u32 v4, vcc_lo, v4, 4
	s_cmp_eq_u64 s[4:5], 0
	v_add_co_ci_u32_e32 v5, vcc_lo, 0, v5, vcc_lo
	v_add_co_u32 v6, vcc_lo, v6, 4
	s_cselect_b32 s24, -1, 0
	v_add_co_ci_u32_e32 v7, vcc_lo, 0, v7, vcc_lo
	s_and_not1_b32 s23, s23, exec_lo
	s_and_b32 s25, s25, exec_lo
	s_and_not1_b32 s21, s21, exec_lo
	s_and_b32 s24, s24, exec_lo
	s_or_b32 s23, s23, s25
	s_and_not1_b32 s22, s22, exec_lo
	s_or_b32 s21, s21, s24
                                        ; implicit-def: $sgpr24
	s_branch .LBB390_658
.LBB390_661:
	s_set_inst_prefetch_distance 0x2
	s_or_b32 exec_lo, exec_lo, s17
	s_xor_b32 s3, s20, -1
	s_branch .LBB390_663
.LBB390_662:
	s_mov_b32 s3, -1
.LBB390_663:
	s_and_not1_b32 s4, s7, exec_lo
	s_and_b32 s3, s3, exec_lo
	s_delay_alu instid0(SALU_CYCLE_1)
	s_or_b32 s7, s4, s3
.LBB390_664:
	s_or_b32 exec_lo, exec_lo, s13
	v_cndmask_b32_e64 v4, v9, v8, s7
	v_cndmask_b32_e64 v5, v23, v22, s7
	s_mov_b32 s13, exec_lo
	s_delay_alu instid0(VALU_DEP_2) | instskip(NEXT) | instid1(VALU_DEP_2)
	v_add_nc_u32_e32 v6, 1, v4
	v_add_nc_u32_e32 v4, -1, v5
	s_delay_alu instid0(VALU_DEP_2) | instskip(NEXT) | instid1(VALU_DEP_2)
	v_cndmask_b32_e64 v9, v6, v9, s7
	v_min_u32_e32 v4, v6, v4
	v_cndmask_b32_e64 v8, v8, v6, s7
	s_delay_alu instid0(VALU_DEP_2)
	v_lshl_add_u32 v4, v4, 3, v18
	ds_load_b64 v[4:5], v4
	s_waitcnt lgkmcnt(0)
	v_cndmask_b32_e64 v24, v5, v3, s7
	v_cndmask_b32_e64 v25, v4, v2, s7
	v_cndmask_b32_e64 v28, v1, v5, s7
	v_cndmask_b32_e64 v29, v0, v4, s7
	v_cmpx_lt_u32_e64 v9, v23
	s_cbranch_execz .LBB390_675
; %bb.665:
	s_mov_b32 s3, 0
	s_mov_b32 s12, exec_lo
	v_cmpx_lt_u32_e64 v8, v22
	s_cbranch_execz .LBB390_674
; %bb.666:
	s_and_not1_b32 vcc_lo, exec_lo, s16
	s_cbranch_vccnz .LBB390_672
; %bb.667:
	v_mul_lo_u32 v10, v24, s8
	v_mul_lo_u32 v11, v25, s9
	v_mad_u64_u32 v[4:5], null, v25, s8, 0
	v_mul_lo_u32 v30, v28, s8
	v_mul_lo_u32 v31, v29, s9
	v_mad_u64_u32 v[6:7], null, v29, s8, 0
	s_mov_b32 s17, 0
	s_mov_b64 s[4:5], s[8:9]
	s_delay_alu instid0(VALU_DEP_4) | instskip(NEXT) | instid1(VALU_DEP_2)
	v_add3_u32 v5, v5, v11, v10
                                        ; implicit-def: $sgpr20
                                        ; implicit-def: $sgpr21
                                        ; implicit-def: $sgpr22
                                        ; implicit-def: $sgpr23
                                        ; implicit-def: $sgpr24
	v_add3_u32 v7, v7, v31, v30
	s_delay_alu instid0(VALU_DEP_2) | instskip(NEXT) | instid1(VALU_DEP_2)
	v_lshlrev_b64 v[4:5], 2, v[4:5]
	v_lshlrev_b64 v[6:7], 2, v[6:7]
	s_delay_alu instid0(VALU_DEP_2) | instskip(NEXT) | instid1(VALU_DEP_3)
	v_add_co_u32 v4, vcc_lo, s10, v4
	v_add_co_ci_u32_e32 v5, vcc_lo, s11, v5, vcc_lo
	s_delay_alu instid0(VALU_DEP_3) | instskip(NEXT) | instid1(VALU_DEP_4)
	v_add_co_u32 v6, vcc_lo, s10, v6
	v_add_co_ci_u32_e32 v7, vcc_lo, s11, v7, vcc_lo
	s_set_inst_prefetch_distance 0x1
	s_branch .LBB390_669
	.p2align	6
.LBB390_668:                            ;   in Loop: Header=BB390_669 Depth=1
	s_or_b32 exec_lo, exec_lo, s3
	s_delay_alu instid0(SALU_CYCLE_1) | instskip(NEXT) | instid1(SALU_CYCLE_1)
	s_and_b32 s3, exec_lo, s21
	s_or_b32 s17, s3, s17
	s_and_not1_b32 s3, s24, exec_lo
	s_and_b32 s24, s23, exec_lo
	s_and_not1_b32 s20, s20, exec_lo
	s_and_b32 s25, s22, exec_lo
	s_or_b32 s24, s3, s24
	s_or_b32 s20, s20, s25
	s_and_not1_b32 exec_lo, exec_lo, s17
	s_cbranch_execz .LBB390_671
.LBB390_669:                            ; =>This Inner Loop Header: Depth=1
	global_load_b32 v10, v[4:5], off
	global_load_b32 v11, v[6:7], off
	s_and_not1_b32 s22, s22, exec_lo
	s_and_not1_b32 s23, s23, exec_lo
	s_or_b32 s21, s21, exec_lo
	s_waitcnt vmcnt(0)
	v_cmp_le_i32_e32 vcc_lo, v10, v11
	v_cmp_lt_i32_e64 s3, v10, v11
	s_and_b32 s25, vcc_lo, s24
	s_delay_alu instid0(VALU_DEP_1) | instid1(SALU_CYCLE_1)
	s_or_b32 s25, s3, s25
	s_delay_alu instid0(SALU_CYCLE_1) | instskip(NEXT) | instid1(SALU_CYCLE_1)
	s_and_b32 s3, s25, exec_lo
	s_or_b32 s22, s22, s3
	s_mov_b32 s3, exec_lo
	v_cmpx_eq_u32_e64 v10, v11
	s_cbranch_execz .LBB390_668
; %bb.670:                              ;   in Loop: Header=BB390_669 Depth=1
	s_add_u32 s4, s4, -1
	s_addc_u32 s5, s5, -1
	v_add_co_u32 v4, vcc_lo, v4, 4
	s_cmp_eq_u64 s[4:5], 0
	v_add_co_ci_u32_e32 v5, vcc_lo, 0, v5, vcc_lo
	v_add_co_u32 v6, vcc_lo, v6, 4
	s_cselect_b32 s24, -1, 0
	v_add_co_ci_u32_e32 v7, vcc_lo, 0, v7, vcc_lo
	s_and_not1_b32 s23, s23, exec_lo
	s_and_b32 s25, s25, exec_lo
	s_and_not1_b32 s21, s21, exec_lo
	s_and_b32 s24, s24, exec_lo
	s_or_b32 s23, s23, s25
	s_and_not1_b32 s22, s22, exec_lo
	s_or_b32 s21, s21, s24
                                        ; implicit-def: $sgpr24
	s_branch .LBB390_668
.LBB390_671:
	s_set_inst_prefetch_distance 0x2
	s_or_b32 exec_lo, exec_lo, s17
	s_xor_b32 s3, s20, -1
	s_branch .LBB390_673
.LBB390_672:
	s_mov_b32 s3, -1
.LBB390_673:
	s_delay_alu instid0(SALU_CYCLE_1)
	s_and_b32 s3, s3, exec_lo
.LBB390_674:
	s_or_b32 exec_lo, exec_lo, s12
	s_delay_alu instid0(SALU_CYCLE_1)
	s_or_not1_b32 s12, s3, exec_lo
.LBB390_675:
	s_or_b32 exec_lo, exec_lo, s13
	v_cndmask_b32_e64 v4, v9, v8, s12
	v_cndmask_b32_e64 v5, v23, v22, s12
	s_mov_b32 s13, -1
	s_mov_b32 s17, exec_lo
	s_delay_alu instid0(VALU_DEP_2) | instskip(NEXT) | instid1(VALU_DEP_2)
	v_add_nc_u32_e32 v6, 1, v4
	v_add_nc_u32_e32 v4, -1, v5
	s_delay_alu instid0(VALU_DEP_2) | instskip(NEXT) | instid1(VALU_DEP_2)
	v_cndmask_b32_e64 v9, v6, v9, s12
	v_min_u32_e32 v4, v6, v4
	v_cndmask_b32_e64 v8, v8, v6, s12
	s_delay_alu instid0(VALU_DEP_2)
	v_lshl_add_u32 v4, v4, 3, v18
	ds_load_b64 v[4:5], v4
	s_waitcnt lgkmcnt(0)
	v_cndmask_b32_e64 v30, v5, v24, s12
	v_cndmask_b32_e64 v31, v4, v25, s12
	;; [unrolled: 1-line block ×4, first 2 shown]
	v_cmpx_lt_u32_e64 v9, v23
	s_cbranch_execz .LBB390_686
; %bb.676:
	s_mov_b32 s3, 0
	s_mov_b32 s13, exec_lo
	v_cmpx_lt_u32_e64 v8, v22
	s_cbranch_execz .LBB390_685
; %bb.677:
	s_and_not1_b32 vcc_lo, exec_lo, s16
	s_cbranch_vccnz .LBB390_683
; %bb.678:
	v_mul_lo_u32 v10, v30, s8
	v_mul_lo_u32 v11, v31, s9
	v_mad_u64_u32 v[4:5], null, v31, s8, 0
	v_mul_lo_u32 v34, v32, s8
	v_mul_lo_u32 v35, v33, s9
	v_mad_u64_u32 v[6:7], null, v33, s8, 0
	s_mov_b32 s20, 0
	s_mov_b64 s[4:5], s[8:9]
	s_delay_alu instid0(VALU_DEP_4) | instskip(NEXT) | instid1(VALU_DEP_2)
	v_add3_u32 v5, v5, v11, v10
                                        ; implicit-def: $sgpr21
                                        ; implicit-def: $sgpr22
                                        ; implicit-def: $sgpr23
                                        ; implicit-def: $sgpr24
                                        ; implicit-def: $sgpr25
	v_add3_u32 v7, v7, v35, v34
	s_delay_alu instid0(VALU_DEP_2) | instskip(NEXT) | instid1(VALU_DEP_2)
	v_lshlrev_b64 v[4:5], 2, v[4:5]
	v_lshlrev_b64 v[6:7], 2, v[6:7]
	s_delay_alu instid0(VALU_DEP_2) | instskip(NEXT) | instid1(VALU_DEP_3)
	v_add_co_u32 v4, vcc_lo, s10, v4
	v_add_co_ci_u32_e32 v5, vcc_lo, s11, v5, vcc_lo
	s_delay_alu instid0(VALU_DEP_3) | instskip(NEXT) | instid1(VALU_DEP_4)
	v_add_co_u32 v6, vcc_lo, s10, v6
	v_add_co_ci_u32_e32 v7, vcc_lo, s11, v7, vcc_lo
	s_set_inst_prefetch_distance 0x1
	s_branch .LBB390_680
	.p2align	6
.LBB390_679:                            ;   in Loop: Header=BB390_680 Depth=1
	s_or_b32 exec_lo, exec_lo, s3
	s_delay_alu instid0(SALU_CYCLE_1) | instskip(NEXT) | instid1(SALU_CYCLE_1)
	s_and_b32 s3, exec_lo, s22
	s_or_b32 s20, s3, s20
	s_and_not1_b32 s3, s25, exec_lo
	s_and_b32 s25, s24, exec_lo
	s_and_not1_b32 s21, s21, exec_lo
	s_and_b32 s26, s23, exec_lo
	s_or_b32 s25, s3, s25
	s_or_b32 s21, s21, s26
	s_and_not1_b32 exec_lo, exec_lo, s20
	s_cbranch_execz .LBB390_682
.LBB390_680:                            ; =>This Inner Loop Header: Depth=1
	global_load_b32 v10, v[4:5], off
	global_load_b32 v11, v[6:7], off
	s_and_not1_b32 s23, s23, exec_lo
	s_and_not1_b32 s24, s24, exec_lo
	s_or_b32 s22, s22, exec_lo
	s_waitcnt vmcnt(0)
	v_cmp_le_i32_e32 vcc_lo, v10, v11
	v_cmp_lt_i32_e64 s3, v10, v11
	s_and_b32 s26, vcc_lo, s25
	s_delay_alu instid0(VALU_DEP_1) | instid1(SALU_CYCLE_1)
	s_or_b32 s26, s3, s26
	s_delay_alu instid0(SALU_CYCLE_1) | instskip(NEXT) | instid1(SALU_CYCLE_1)
	s_and_b32 s3, s26, exec_lo
	s_or_b32 s23, s23, s3
	s_mov_b32 s3, exec_lo
	v_cmpx_eq_u32_e64 v10, v11
	s_cbranch_execz .LBB390_679
; %bb.681:                              ;   in Loop: Header=BB390_680 Depth=1
	s_add_u32 s4, s4, -1
	s_addc_u32 s5, s5, -1
	v_add_co_u32 v4, vcc_lo, v4, 4
	s_cmp_eq_u64 s[4:5], 0
	v_add_co_ci_u32_e32 v5, vcc_lo, 0, v5, vcc_lo
	v_add_co_u32 v6, vcc_lo, v6, 4
	s_cselect_b32 s25, -1, 0
	v_add_co_ci_u32_e32 v7, vcc_lo, 0, v7, vcc_lo
	s_and_not1_b32 s24, s24, exec_lo
	s_and_b32 s26, s26, exec_lo
	s_and_not1_b32 s22, s22, exec_lo
	s_and_b32 s25, s25, exec_lo
	s_or_b32 s24, s24, s26
	s_and_not1_b32 s23, s23, exec_lo
	s_or_b32 s22, s22, s25
                                        ; implicit-def: $sgpr25
	s_branch .LBB390_679
.LBB390_682:
	s_set_inst_prefetch_distance 0x2
	s_or_b32 exec_lo, exec_lo, s20
	s_xor_b32 s3, s21, -1
	s_branch .LBB390_684
.LBB390_683:
	s_mov_b32 s3, -1
.LBB390_684:
	s_delay_alu instid0(SALU_CYCLE_1)
	s_and_b32 s3, s3, exec_lo
.LBB390_685:
	s_or_b32 exec_lo, exec_lo, s13
	s_delay_alu instid0(SALU_CYCLE_1)
	s_or_not1_b32 s13, s3, exec_lo
.LBB390_686:
	s_or_b32 exec_lo, exec_lo, s17
	v_cndmask_b32_e64 v4, v9, v8, s13
	v_cndmask_b32_e64 v5, v23, v22, s13
	s_mov_b32 s17, exec_lo
	s_delay_alu instid0(VALU_DEP_2) | instskip(NEXT) | instid1(VALU_DEP_2)
	v_add_nc_u32_e32 v10, 1, v4
	v_add_nc_u32_e32 v4, -1, v5
	s_delay_alu instid0(VALU_DEP_2) | instskip(NEXT) | instid1(VALU_DEP_2)
	v_cndmask_b32_e64 v9, v10, v9, s13
	v_min_u32_e32 v4, v10, v4
	s_delay_alu instid0(VALU_DEP_1)
	v_lshl_add_u32 v4, v4, 3, v18
	ds_load_b64 v[4:5], v4
	s_waitcnt lgkmcnt(0)
	v_cndmask_b32_e64 v7, v32, v5, s13
	v_cndmask_b32_e64 v6, v33, v4, s13
	v_cmpx_lt_u32_e64 v9, v23
	s_cbranch_execz .LBB390_696
; %bb.687:
	v_cndmask_b32_e64 v8, v8, v10, s13
	v_cndmask_b32_e64 v5, v5, v30, s13
	;; [unrolled: 1-line block ×3, first 2 shown]
	s_mov_b32 s20, exec_lo
	s_delay_alu instid0(VALU_DEP_3)
	v_cmpx_lt_u32_e64 v8, v22
	s_cbranch_execz .LBB390_695
; %bb.688:
	s_and_not1_b32 vcc_lo, exec_lo, s16
	s_cbranch_vccnz .LBB390_694
; %bb.689:
	v_mul_lo_u32 v22, v5, s8
	v_mul_lo_u32 v23, v4, s9
	v_mad_u64_u32 v[8:9], null, v4, s8, 0
	v_mul_lo_u32 v34, v7, s8
	v_mul_lo_u32 v35, v6, s9
	v_mad_u64_u32 v[10:11], null, v6, s8, 0
	s_mov_b32 s21, 0
	s_mov_b64 s[4:5], s[8:9]
	s_delay_alu instid0(VALU_DEP_4) | instskip(NEXT) | instid1(VALU_DEP_2)
	v_add3_u32 v9, v9, v23, v22
                                        ; implicit-def: $sgpr22
                                        ; implicit-def: $sgpr23
                                        ; implicit-def: $sgpr24
                                        ; implicit-def: $sgpr25
                                        ; implicit-def: $sgpr26
	v_add3_u32 v11, v11, v35, v34
	s_delay_alu instid0(VALU_DEP_2) | instskip(NEXT) | instid1(VALU_DEP_2)
	v_lshlrev_b64 v[8:9], 2, v[8:9]
	v_lshlrev_b64 v[10:11], 2, v[10:11]
	s_delay_alu instid0(VALU_DEP_2) | instskip(NEXT) | instid1(VALU_DEP_3)
	v_add_co_u32 v8, vcc_lo, s10, v8
	v_add_co_ci_u32_e32 v9, vcc_lo, s11, v9, vcc_lo
	s_delay_alu instid0(VALU_DEP_3) | instskip(NEXT) | instid1(VALU_DEP_4)
	v_add_co_u32 v10, vcc_lo, s10, v10
	v_add_co_ci_u32_e32 v11, vcc_lo, s11, v11, vcc_lo
	s_set_inst_prefetch_distance 0x1
	s_branch .LBB390_691
	.p2align	6
.LBB390_690:                            ;   in Loop: Header=BB390_691 Depth=1
	s_or_b32 exec_lo, exec_lo, s3
	s_delay_alu instid0(SALU_CYCLE_1) | instskip(NEXT) | instid1(SALU_CYCLE_1)
	s_and_b32 s3, exec_lo, s23
	s_or_b32 s21, s3, s21
	s_and_not1_b32 s3, s26, exec_lo
	s_and_b32 s26, s25, exec_lo
	s_and_not1_b32 s22, s22, exec_lo
	s_and_b32 s27, s24, exec_lo
	s_or_b32 s26, s3, s26
	s_or_b32 s22, s22, s27
	s_and_not1_b32 exec_lo, exec_lo, s21
	s_cbranch_execz .LBB390_693
.LBB390_691:                            ; =>This Inner Loop Header: Depth=1
	global_load_b32 v22, v[8:9], off
	global_load_b32 v23, v[10:11], off
	s_and_not1_b32 s24, s24, exec_lo
	s_and_not1_b32 s25, s25, exec_lo
	s_or_b32 s23, s23, exec_lo
	s_waitcnt vmcnt(0)
	v_cmp_le_i32_e32 vcc_lo, v22, v23
	v_cmp_lt_i32_e64 s3, v22, v23
	s_and_b32 s27, vcc_lo, s26
	s_delay_alu instid0(VALU_DEP_1) | instid1(SALU_CYCLE_1)
	s_or_b32 s27, s3, s27
	s_delay_alu instid0(SALU_CYCLE_1) | instskip(NEXT) | instid1(SALU_CYCLE_1)
	s_and_b32 s3, s27, exec_lo
	s_or_b32 s24, s24, s3
	s_mov_b32 s3, exec_lo
	v_cmpx_eq_u32_e64 v22, v23
	s_cbranch_execz .LBB390_690
; %bb.692:                              ;   in Loop: Header=BB390_691 Depth=1
	s_add_u32 s4, s4, -1
	s_addc_u32 s5, s5, -1
	v_add_co_u32 v8, vcc_lo, v8, 4
	s_cmp_eq_u64 s[4:5], 0
	v_add_co_ci_u32_e32 v9, vcc_lo, 0, v9, vcc_lo
	v_add_co_u32 v10, vcc_lo, v10, 4
	s_cselect_b32 s26, -1, 0
	v_add_co_ci_u32_e32 v11, vcc_lo, 0, v11, vcc_lo
	s_and_not1_b32 s25, s25, exec_lo
	s_and_b32 s27, s27, exec_lo
	s_and_not1_b32 s23, s23, exec_lo
	s_and_b32 s26, s26, exec_lo
	s_or_b32 s25, s25, s27
	s_and_not1_b32 s24, s24, exec_lo
	s_or_b32 s23, s23, s26
                                        ; implicit-def: $sgpr26
	s_branch .LBB390_690
.LBB390_693:
	s_set_inst_prefetch_distance 0x2
	s_or_b32 exec_lo, exec_lo, s21
	v_cndmask_b32_e64 v7, v7, v5, s22
	v_cndmask_b32_e64 v6, v6, v4, s22
.LBB390_694:
	s_delay_alu instid0(VALU_DEP_1)
	v_dual_mov_b32 v4, v6 :: v_dual_mov_b32 v5, v7
.LBB390_695:
	s_or_b32 exec_lo, exec_lo, s20
	s_delay_alu instid0(VALU_DEP_1)
	v_dual_mov_b32 v7, v5 :: v_dual_mov_b32 v6, v4
.LBB390_696:
	s_or_b32 exec_lo, exec_lo, s17
	v_cndmask_b32_e64 v1, v3, v1, s7
	v_cndmask_b32_e64 v0, v2, v0, s7
	;; [unrolled: 1-line block ×6, first 2 shown]
.LBB390_697:
	s_or_b32 exec_lo, exec_lo, s6
	v_and_b32_e32 v28, 0x60, v20
	v_and_b32_e32 v9, 28, v20
	s_mov_b32 s12, exec_lo
	; wave barrier
	s_delay_alu instid0(VALU_DEP_2) | instskip(NEXT) | instid1(VALU_DEP_2)
	v_or_b32_e32 v8, 16, v28
	v_min_u32_e32 v29, v19, v9
	v_lshl_add_u32 v25, v28, 3, v18
	ds_store_b128 v21, v[0:3]
	ds_store_b128 v21, v[4:7] offset:16
	v_min_u32_e32 v22, v19, v8
	; wave barrier
	s_delay_alu instid0(VALU_DEP_1) | instskip(SKIP_1) | instid1(VALU_DEP_2)
	v_add_nc_u32_e32 v8, 16, v22
	v_sub_nc_u32_e32 v9, v22, v28
	v_min_u32_e32 v23, v19, v8
	s_delay_alu instid0(VALU_DEP_2) | instskip(NEXT) | instid1(VALU_DEP_2)
	v_min_u32_e32 v30, v29, v9
	v_sub_nc_u32_e32 v8, v23, v22
	s_delay_alu instid0(VALU_DEP_1) | instskip(NEXT) | instid1(VALU_DEP_1)
	v_sub_nc_u32_e64 v24, v29, v8 clamp
	v_cmpx_lt_u32_e64 v24, v30
	s_cbranch_execz .LBB390_707
; %bb.698:
	v_lshlrev_b32_e32 v8, 3, v22
	v_lshlrev_b32_e32 v9, 3, v29
	s_lshl_b64 s[4:5], s[8:9], 2
	s_mov_b32 s13, 0
	s_delay_alu instid0(VALU_DEP_1)
	v_add3_u32 v31, v18, v8, v9
	s_branch .LBB390_701
.LBB390_699:                            ;   in Loop: Header=BB390_701 Depth=1
	s_set_inst_prefetch_distance 0x2
	s_or_b32 exec_lo, exec_lo, s17
.LBB390_700:                            ;   in Loop: Header=BB390_701 Depth=1
	s_delay_alu instid0(VALU_DEP_1) | instskip(SKIP_1) | instid1(VALU_DEP_2)
	v_add_nc_u32_e32 v8, 1, v32
	v_cndmask_b32_e64 v30, v30, v32, s20
	v_cndmask_b32_e64 v24, v8, v24, s20
	s_delay_alu instid0(VALU_DEP_1) | instskip(SKIP_1) | instid1(SALU_CYCLE_1)
	v_cmp_ge_u32_e32 vcc_lo, v24, v30
	s_or_b32 s13, vcc_lo, s13
	s_and_not1_b32 exec_lo, exec_lo, s13
	s_cbranch_execz .LBB390_706
.LBB390_701:                            ; =>This Loop Header: Depth=1
                                        ;     Child Loop BB390_704 Depth 2
	v_add_nc_u32_e32 v8, v30, v24
	s_and_not1_b32 vcc_lo, exec_lo, s16
	s_mov_b32 s20, 0
	s_delay_alu instid0(VALU_DEP_1)
	v_lshrrev_b32_e32 v32, 1, v8
	s_cbranch_vccnz .LBB390_700
; %bb.702:                              ;   in Loop: Header=BB390_701 Depth=1
	s_delay_alu instid0(VALU_DEP_1) | instskip(SKIP_3) | instid1(VALU_DEP_2)
	v_not_b32_e32 v8, v32
	v_lshl_add_u32 v9, v32, 3, v25
	s_mov_b32 s17, 0
	s_mov_b64 s[6:7], s[8:9]
                                        ; implicit-def: $sgpr20
                                        ; implicit-def: $sgpr21
                                        ; implicit-def: $sgpr22
                                        ; implicit-def: $sgpr23
                                        ; implicit-def: $sgpr24
	v_lshl_add_u32 v8, v8, 3, v31
	ds_load_b64 v[10:11], v8
	ds_load_b64 v[33:34], v9
	s_waitcnt lgkmcnt(1)
	v_mul_lo_u32 v35, s4, v11
	v_mul_lo_u32 v36, s5, v10
	v_mad_u64_u32 v[8:9], null, s4, v10, s[10:11]
	s_waitcnt lgkmcnt(0)
	v_mul_lo_u32 v34, s4, v34
	v_mul_lo_u32 v37, s5, v33
	v_mad_u64_u32 v[10:11], null, s4, v33, s[10:11]
	s_delay_alu instid0(VALU_DEP_4) | instskip(NEXT) | instid1(VALU_DEP_2)
	v_add3_u32 v9, v36, v9, v35
	v_add3_u32 v11, v37, v11, v34
	s_set_inst_prefetch_distance 0x1
	s_branch .LBB390_704
	.p2align	6
.LBB390_703:                            ;   in Loop: Header=BB390_704 Depth=2
	s_or_b32 exec_lo, exec_lo, s25
	s_delay_alu instid0(SALU_CYCLE_1) | instskip(NEXT) | instid1(SALU_CYCLE_1)
	s_and_b32 s3, exec_lo, s21
	s_or_b32 s17, s3, s17
	s_and_not1_b32 s3, s24, exec_lo
	s_and_b32 s24, s22, exec_lo
	s_and_not1_b32 s20, s20, exec_lo
	s_and_b32 s25, s23, exec_lo
	s_or_b32 s24, s3, s24
	s_or_b32 s20, s20, s25
	s_and_not1_b32 exec_lo, exec_lo, s17
	s_cbranch_execz .LBB390_699
.LBB390_704:                            ;   Parent Loop BB390_701 Depth=1
                                        ; =>  This Inner Loop Header: Depth=2
	global_load_b32 v33, v[8:9], off
	global_load_b32 v34, v[10:11], off
	s_and_not1_b32 s23, s23, exec_lo
	s_and_not1_b32 s22, s22, exec_lo
	s_or_b32 s21, s21, exec_lo
	s_waitcnt vmcnt(0)
	v_cmp_le_i32_e32 vcc_lo, v33, v34
	v_cmp_lt_i32_e64 s3, v33, v34
	s_and_b32 s25, vcc_lo, s24
	s_delay_alu instid0(VALU_DEP_1) | instid1(SALU_CYCLE_1)
	s_or_b32 s3, s3, s25
	s_delay_alu instid0(SALU_CYCLE_1) | instskip(NEXT) | instid1(SALU_CYCLE_1)
	s_and_b32 s25, s3, exec_lo
	s_or_b32 s23, s23, s25
	s_mov_b32 s25, exec_lo
	v_cmpx_eq_u32_e64 v33, v34
	s_cbranch_execz .LBB390_703
; %bb.705:                              ;   in Loop: Header=BB390_704 Depth=2
	s_add_u32 s6, s6, -1
	s_addc_u32 s7, s7, -1
	v_add_co_u32 v8, vcc_lo, v8, 4
	v_add_co_ci_u32_e32 v9, vcc_lo, 0, v9, vcc_lo
	s_cmp_eq_u64 s[6:7], 0
	v_add_co_u32 v10, vcc_lo, v10, 4
	s_cselect_b32 s24, -1, 0
	v_add_co_ci_u32_e32 v11, vcc_lo, 0, v11, vcc_lo
	s_and_not1_b32 s22, s22, exec_lo
	s_and_b32 s3, s3, exec_lo
	s_and_not1_b32 s21, s21, exec_lo
	s_and_b32 s24, s24, exec_lo
	s_and_not1_b32 s23, s23, exec_lo
	s_or_b32 s22, s22, s3
	s_or_b32 s21, s21, s24
                                        ; implicit-def: $sgpr24
	s_branch .LBB390_703
.LBB390_706:
	s_or_b32 exec_lo, exec_lo, s13
.LBB390_707:
	s_delay_alu instid0(SALU_CYCLE_1) | instskip(SKIP_2) | instid1(VALU_DEP_2)
	s_or_b32 exec_lo, exec_lo, s12
	v_add_nc_u32_e32 v9, v22, v29
	v_add_nc_u32_e32 v8, v24, v28
	v_sub_nc_u32_e32 v9, v9, v24
	s_delay_alu instid0(VALU_DEP_2) | instskip(NEXT) | instid1(VALU_DEP_2)
	v_cmp_le_u32_e32 vcc_lo, v8, v22
	v_cmp_le_u32_e64 s3, v9, v23
	s_delay_alu instid0(VALU_DEP_1) | instskip(NEXT) | instid1(SALU_CYCLE_1)
	s_or_b32 s3, vcc_lo, s3
	s_and_saveexec_b32 s6, s3
	s_cbranch_execz .LBB390_754
; %bb.708:
	v_cmp_ge_u32_e32 vcc_lo, v8, v22
	s_mov_b32 s4, exec_lo
                                        ; implicit-def: $vgpr0_vgpr1
	v_cmpx_lt_u32_e64 v8, v22
	s_cbranch_execz .LBB390_710
; %bb.709:
	v_lshl_add_u32 v0, v24, 3, v25
	ds_load_b64 v[0:1], v0
.LBB390_710:
	s_or_b32 exec_lo, exec_lo, s4
	v_cmp_ge_u32_e64 s7, v9, v23
	s_mov_b32 s4, exec_lo
                                        ; implicit-def: $vgpr2_vgpr3
	v_cmpx_lt_u32_e64 v9, v23
	s_cbranch_execz .LBB390_712
; %bb.711:
	v_lshl_add_u32 v2, v9, 3, v18
	ds_load_b64 v[2:3], v2
.LBB390_712:
	s_or_b32 exec_lo, exec_lo, s4
	s_or_b32 s3, vcc_lo, s7
	s_mov_b32 s12, -1
	s_xor_b32 s3, s3, -1
	s_delay_alu instid0(SALU_CYCLE_1)
	s_and_saveexec_b32 s13, s3
	s_cbranch_execz .LBB390_721
; %bb.713:
	s_and_not1_b32 vcc_lo, exec_lo, s16
	s_cbranch_vccnz .LBB390_719
; %bb.714:
	s_waitcnt lgkmcnt(0)
	v_mul_lo_u32 v10, v3, s8
	v_mul_lo_u32 v11, v2, s9
	v_mad_u64_u32 v[4:5], null, v2, s8, 0
	v_mul_lo_u32 v24, v1, s8
	v_mul_lo_u32 v25, v0, s9
	v_mad_u64_u32 v[6:7], null, v0, s8, 0
	s_mov_b32 s17, 0
	s_mov_b64 s[4:5], s[8:9]
	s_delay_alu instid0(VALU_DEP_4) | instskip(NEXT) | instid1(VALU_DEP_2)
	v_add3_u32 v5, v5, v11, v10
                                        ; implicit-def: $sgpr20
                                        ; implicit-def: $sgpr21
                                        ; implicit-def: $sgpr22
                                        ; implicit-def: $sgpr23
                                        ; implicit-def: $sgpr24
	v_add3_u32 v7, v7, v25, v24
	s_delay_alu instid0(VALU_DEP_2) | instskip(NEXT) | instid1(VALU_DEP_2)
	v_lshlrev_b64 v[4:5], 2, v[4:5]
	v_lshlrev_b64 v[6:7], 2, v[6:7]
	s_delay_alu instid0(VALU_DEP_2) | instskip(NEXT) | instid1(VALU_DEP_3)
	v_add_co_u32 v4, vcc_lo, s10, v4
	v_add_co_ci_u32_e32 v5, vcc_lo, s11, v5, vcc_lo
	s_delay_alu instid0(VALU_DEP_3) | instskip(NEXT) | instid1(VALU_DEP_4)
	v_add_co_u32 v6, vcc_lo, s10, v6
	v_add_co_ci_u32_e32 v7, vcc_lo, s11, v7, vcc_lo
	s_set_inst_prefetch_distance 0x1
	s_branch .LBB390_716
	.p2align	6
.LBB390_715:                            ;   in Loop: Header=BB390_716 Depth=1
	s_or_b32 exec_lo, exec_lo, s3
	s_delay_alu instid0(SALU_CYCLE_1) | instskip(NEXT) | instid1(SALU_CYCLE_1)
	s_and_b32 s3, exec_lo, s21
	s_or_b32 s17, s3, s17
	s_and_not1_b32 s3, s24, exec_lo
	s_and_b32 s24, s23, exec_lo
	s_and_not1_b32 s20, s20, exec_lo
	s_and_b32 s25, s22, exec_lo
	s_or_b32 s24, s3, s24
	s_or_b32 s20, s20, s25
	s_and_not1_b32 exec_lo, exec_lo, s17
	s_cbranch_execz .LBB390_718
.LBB390_716:                            ; =>This Inner Loop Header: Depth=1
	global_load_b32 v10, v[4:5], off
	global_load_b32 v11, v[6:7], off
	s_and_not1_b32 s22, s22, exec_lo
	s_and_not1_b32 s23, s23, exec_lo
	s_or_b32 s21, s21, exec_lo
	s_waitcnt vmcnt(0)
	v_cmp_le_i32_e32 vcc_lo, v10, v11
	v_cmp_lt_i32_e64 s3, v10, v11
	s_and_b32 s25, vcc_lo, s24
	s_delay_alu instid0(VALU_DEP_1) | instid1(SALU_CYCLE_1)
	s_or_b32 s25, s3, s25
	s_delay_alu instid0(SALU_CYCLE_1) | instskip(NEXT) | instid1(SALU_CYCLE_1)
	s_and_b32 s3, s25, exec_lo
	s_or_b32 s22, s22, s3
	s_mov_b32 s3, exec_lo
	v_cmpx_eq_u32_e64 v10, v11
	s_cbranch_execz .LBB390_715
; %bb.717:                              ;   in Loop: Header=BB390_716 Depth=1
	s_add_u32 s4, s4, -1
	s_addc_u32 s5, s5, -1
	v_add_co_u32 v4, vcc_lo, v4, 4
	s_cmp_eq_u64 s[4:5], 0
	v_add_co_ci_u32_e32 v5, vcc_lo, 0, v5, vcc_lo
	v_add_co_u32 v6, vcc_lo, v6, 4
	s_cselect_b32 s24, -1, 0
	v_add_co_ci_u32_e32 v7, vcc_lo, 0, v7, vcc_lo
	s_and_not1_b32 s23, s23, exec_lo
	s_and_b32 s25, s25, exec_lo
	s_and_not1_b32 s21, s21, exec_lo
	s_and_b32 s24, s24, exec_lo
	s_or_b32 s23, s23, s25
	s_and_not1_b32 s22, s22, exec_lo
	s_or_b32 s21, s21, s24
                                        ; implicit-def: $sgpr24
	s_branch .LBB390_715
.LBB390_718:
	s_set_inst_prefetch_distance 0x2
	s_or_b32 exec_lo, exec_lo, s17
	s_xor_b32 s3, s20, -1
	s_branch .LBB390_720
.LBB390_719:
	s_mov_b32 s3, -1
.LBB390_720:
	s_and_not1_b32 s4, s7, exec_lo
	s_and_b32 s3, s3, exec_lo
	s_delay_alu instid0(SALU_CYCLE_1)
	s_or_b32 s7, s4, s3
.LBB390_721:
	s_or_b32 exec_lo, exec_lo, s13
	v_cndmask_b32_e64 v4, v9, v8, s7
	v_cndmask_b32_e64 v5, v23, v22, s7
	s_mov_b32 s13, exec_lo
	s_delay_alu instid0(VALU_DEP_2) | instskip(NEXT) | instid1(VALU_DEP_2)
	v_add_nc_u32_e32 v6, 1, v4
	v_add_nc_u32_e32 v4, -1, v5
	s_delay_alu instid0(VALU_DEP_2) | instskip(NEXT) | instid1(VALU_DEP_2)
	v_cndmask_b32_e64 v9, v6, v9, s7
	v_min_u32_e32 v4, v6, v4
	v_cndmask_b32_e64 v8, v8, v6, s7
	s_delay_alu instid0(VALU_DEP_2)
	v_lshl_add_u32 v4, v4, 3, v18
	ds_load_b64 v[4:5], v4
	s_waitcnt lgkmcnt(0)
	v_cndmask_b32_e64 v24, v5, v3, s7
	v_cndmask_b32_e64 v25, v4, v2, s7
	;; [unrolled: 1-line block ×4, first 2 shown]
	v_cmpx_lt_u32_e64 v9, v23
	s_cbranch_execz .LBB390_732
; %bb.722:
	s_mov_b32 s3, 0
	s_mov_b32 s12, exec_lo
	v_cmpx_lt_u32_e64 v8, v22
	s_cbranch_execz .LBB390_731
; %bb.723:
	s_and_not1_b32 vcc_lo, exec_lo, s16
	s_cbranch_vccnz .LBB390_729
; %bb.724:
	v_mul_lo_u32 v10, v24, s8
	v_mul_lo_u32 v11, v25, s9
	v_mad_u64_u32 v[4:5], null, v25, s8, 0
	v_mul_lo_u32 v30, v28, s8
	v_mul_lo_u32 v31, v29, s9
	v_mad_u64_u32 v[6:7], null, v29, s8, 0
	s_mov_b32 s17, 0
	s_mov_b64 s[4:5], s[8:9]
	s_delay_alu instid0(VALU_DEP_4) | instskip(NEXT) | instid1(VALU_DEP_2)
	v_add3_u32 v5, v5, v11, v10
                                        ; implicit-def: $sgpr20
                                        ; implicit-def: $sgpr21
                                        ; implicit-def: $sgpr22
                                        ; implicit-def: $sgpr23
                                        ; implicit-def: $sgpr24
	v_add3_u32 v7, v7, v31, v30
	s_delay_alu instid0(VALU_DEP_2) | instskip(NEXT) | instid1(VALU_DEP_2)
	v_lshlrev_b64 v[4:5], 2, v[4:5]
	v_lshlrev_b64 v[6:7], 2, v[6:7]
	s_delay_alu instid0(VALU_DEP_2) | instskip(NEXT) | instid1(VALU_DEP_3)
	v_add_co_u32 v4, vcc_lo, s10, v4
	v_add_co_ci_u32_e32 v5, vcc_lo, s11, v5, vcc_lo
	s_delay_alu instid0(VALU_DEP_3) | instskip(NEXT) | instid1(VALU_DEP_4)
	v_add_co_u32 v6, vcc_lo, s10, v6
	v_add_co_ci_u32_e32 v7, vcc_lo, s11, v7, vcc_lo
	s_set_inst_prefetch_distance 0x1
	s_branch .LBB390_726
	.p2align	6
.LBB390_725:                            ;   in Loop: Header=BB390_726 Depth=1
	s_or_b32 exec_lo, exec_lo, s3
	s_delay_alu instid0(SALU_CYCLE_1) | instskip(NEXT) | instid1(SALU_CYCLE_1)
	s_and_b32 s3, exec_lo, s21
	s_or_b32 s17, s3, s17
	s_and_not1_b32 s3, s24, exec_lo
	s_and_b32 s24, s23, exec_lo
	s_and_not1_b32 s20, s20, exec_lo
	s_and_b32 s25, s22, exec_lo
	s_or_b32 s24, s3, s24
	s_or_b32 s20, s20, s25
	s_and_not1_b32 exec_lo, exec_lo, s17
	s_cbranch_execz .LBB390_728
.LBB390_726:                            ; =>This Inner Loop Header: Depth=1
	global_load_b32 v10, v[4:5], off
	global_load_b32 v11, v[6:7], off
	s_and_not1_b32 s22, s22, exec_lo
	s_and_not1_b32 s23, s23, exec_lo
	s_or_b32 s21, s21, exec_lo
	s_waitcnt vmcnt(0)
	v_cmp_le_i32_e32 vcc_lo, v10, v11
	v_cmp_lt_i32_e64 s3, v10, v11
	s_and_b32 s25, vcc_lo, s24
	s_delay_alu instid0(VALU_DEP_1) | instid1(SALU_CYCLE_1)
	s_or_b32 s25, s3, s25
	s_delay_alu instid0(SALU_CYCLE_1) | instskip(NEXT) | instid1(SALU_CYCLE_1)
	s_and_b32 s3, s25, exec_lo
	s_or_b32 s22, s22, s3
	s_mov_b32 s3, exec_lo
	v_cmpx_eq_u32_e64 v10, v11
	s_cbranch_execz .LBB390_725
; %bb.727:                              ;   in Loop: Header=BB390_726 Depth=1
	s_add_u32 s4, s4, -1
	s_addc_u32 s5, s5, -1
	v_add_co_u32 v4, vcc_lo, v4, 4
	s_cmp_eq_u64 s[4:5], 0
	v_add_co_ci_u32_e32 v5, vcc_lo, 0, v5, vcc_lo
	v_add_co_u32 v6, vcc_lo, v6, 4
	s_cselect_b32 s24, -1, 0
	v_add_co_ci_u32_e32 v7, vcc_lo, 0, v7, vcc_lo
	s_and_not1_b32 s23, s23, exec_lo
	s_and_b32 s25, s25, exec_lo
	s_and_not1_b32 s21, s21, exec_lo
	s_and_b32 s24, s24, exec_lo
	s_or_b32 s23, s23, s25
	s_and_not1_b32 s22, s22, exec_lo
	s_or_b32 s21, s21, s24
                                        ; implicit-def: $sgpr24
	s_branch .LBB390_725
.LBB390_728:
	s_set_inst_prefetch_distance 0x2
	s_or_b32 exec_lo, exec_lo, s17
	s_xor_b32 s3, s20, -1
	s_branch .LBB390_730
.LBB390_729:
	s_mov_b32 s3, -1
.LBB390_730:
	s_delay_alu instid0(SALU_CYCLE_1)
	s_and_b32 s3, s3, exec_lo
.LBB390_731:
	s_or_b32 exec_lo, exec_lo, s12
	s_delay_alu instid0(SALU_CYCLE_1)
	s_or_not1_b32 s12, s3, exec_lo
.LBB390_732:
	s_or_b32 exec_lo, exec_lo, s13
	v_cndmask_b32_e64 v4, v9, v8, s12
	v_cndmask_b32_e64 v5, v23, v22, s12
	s_mov_b32 s13, -1
	s_mov_b32 s17, exec_lo
	s_delay_alu instid0(VALU_DEP_2) | instskip(NEXT) | instid1(VALU_DEP_2)
	v_add_nc_u32_e32 v6, 1, v4
	v_add_nc_u32_e32 v4, -1, v5
	s_delay_alu instid0(VALU_DEP_2) | instskip(NEXT) | instid1(VALU_DEP_2)
	v_cndmask_b32_e64 v9, v6, v9, s12
	v_min_u32_e32 v4, v6, v4
	v_cndmask_b32_e64 v8, v8, v6, s12
	s_delay_alu instid0(VALU_DEP_2)
	v_lshl_add_u32 v4, v4, 3, v18
	ds_load_b64 v[4:5], v4
	s_waitcnt lgkmcnt(0)
	v_cndmask_b32_e64 v30, v5, v24, s12
	v_cndmask_b32_e64 v31, v4, v25, s12
	;; [unrolled: 1-line block ×4, first 2 shown]
	v_cmpx_lt_u32_e64 v9, v23
	s_cbranch_execz .LBB390_743
; %bb.733:
	s_mov_b32 s3, 0
	s_mov_b32 s13, exec_lo
	v_cmpx_lt_u32_e64 v8, v22
	s_cbranch_execz .LBB390_742
; %bb.734:
	s_and_not1_b32 vcc_lo, exec_lo, s16
	s_cbranch_vccnz .LBB390_740
; %bb.735:
	v_mul_lo_u32 v10, v30, s8
	v_mul_lo_u32 v11, v31, s9
	v_mad_u64_u32 v[4:5], null, v31, s8, 0
	v_mul_lo_u32 v34, v32, s8
	v_mul_lo_u32 v35, v33, s9
	v_mad_u64_u32 v[6:7], null, v33, s8, 0
	s_mov_b32 s20, 0
	s_mov_b64 s[4:5], s[8:9]
	s_delay_alu instid0(VALU_DEP_4) | instskip(NEXT) | instid1(VALU_DEP_2)
	v_add3_u32 v5, v5, v11, v10
                                        ; implicit-def: $sgpr21
                                        ; implicit-def: $sgpr22
                                        ; implicit-def: $sgpr23
                                        ; implicit-def: $sgpr24
                                        ; implicit-def: $sgpr25
	v_add3_u32 v7, v7, v35, v34
	s_delay_alu instid0(VALU_DEP_2) | instskip(NEXT) | instid1(VALU_DEP_2)
	v_lshlrev_b64 v[4:5], 2, v[4:5]
	v_lshlrev_b64 v[6:7], 2, v[6:7]
	s_delay_alu instid0(VALU_DEP_2) | instskip(NEXT) | instid1(VALU_DEP_3)
	v_add_co_u32 v4, vcc_lo, s10, v4
	v_add_co_ci_u32_e32 v5, vcc_lo, s11, v5, vcc_lo
	s_delay_alu instid0(VALU_DEP_3) | instskip(NEXT) | instid1(VALU_DEP_4)
	v_add_co_u32 v6, vcc_lo, s10, v6
	v_add_co_ci_u32_e32 v7, vcc_lo, s11, v7, vcc_lo
	s_set_inst_prefetch_distance 0x1
	s_branch .LBB390_737
	.p2align	6
.LBB390_736:                            ;   in Loop: Header=BB390_737 Depth=1
	s_or_b32 exec_lo, exec_lo, s3
	s_delay_alu instid0(SALU_CYCLE_1) | instskip(NEXT) | instid1(SALU_CYCLE_1)
	s_and_b32 s3, exec_lo, s22
	s_or_b32 s20, s3, s20
	s_and_not1_b32 s3, s25, exec_lo
	s_and_b32 s25, s24, exec_lo
	s_and_not1_b32 s21, s21, exec_lo
	s_and_b32 s26, s23, exec_lo
	s_or_b32 s25, s3, s25
	s_or_b32 s21, s21, s26
	s_and_not1_b32 exec_lo, exec_lo, s20
	s_cbranch_execz .LBB390_739
.LBB390_737:                            ; =>This Inner Loop Header: Depth=1
	global_load_b32 v10, v[4:5], off
	global_load_b32 v11, v[6:7], off
	s_and_not1_b32 s23, s23, exec_lo
	s_and_not1_b32 s24, s24, exec_lo
	s_or_b32 s22, s22, exec_lo
	s_waitcnt vmcnt(0)
	v_cmp_le_i32_e32 vcc_lo, v10, v11
	v_cmp_lt_i32_e64 s3, v10, v11
	s_and_b32 s26, vcc_lo, s25
	s_delay_alu instid0(VALU_DEP_1) | instid1(SALU_CYCLE_1)
	s_or_b32 s26, s3, s26
	s_delay_alu instid0(SALU_CYCLE_1) | instskip(NEXT) | instid1(SALU_CYCLE_1)
	s_and_b32 s3, s26, exec_lo
	s_or_b32 s23, s23, s3
	s_mov_b32 s3, exec_lo
	v_cmpx_eq_u32_e64 v10, v11
	s_cbranch_execz .LBB390_736
; %bb.738:                              ;   in Loop: Header=BB390_737 Depth=1
	s_add_u32 s4, s4, -1
	s_addc_u32 s5, s5, -1
	v_add_co_u32 v4, vcc_lo, v4, 4
	s_cmp_eq_u64 s[4:5], 0
	v_add_co_ci_u32_e32 v5, vcc_lo, 0, v5, vcc_lo
	v_add_co_u32 v6, vcc_lo, v6, 4
	s_cselect_b32 s25, -1, 0
	v_add_co_ci_u32_e32 v7, vcc_lo, 0, v7, vcc_lo
	s_and_not1_b32 s24, s24, exec_lo
	s_and_b32 s26, s26, exec_lo
	s_and_not1_b32 s22, s22, exec_lo
	s_and_b32 s25, s25, exec_lo
	s_or_b32 s24, s24, s26
	s_and_not1_b32 s23, s23, exec_lo
	s_or_b32 s22, s22, s25
                                        ; implicit-def: $sgpr25
	s_branch .LBB390_736
.LBB390_739:
	s_set_inst_prefetch_distance 0x2
	s_or_b32 exec_lo, exec_lo, s20
	s_xor_b32 s3, s21, -1
	s_branch .LBB390_741
.LBB390_740:
	s_mov_b32 s3, -1
.LBB390_741:
	s_delay_alu instid0(SALU_CYCLE_1)
	s_and_b32 s3, s3, exec_lo
.LBB390_742:
	s_or_b32 exec_lo, exec_lo, s13
	s_delay_alu instid0(SALU_CYCLE_1)
	s_or_not1_b32 s13, s3, exec_lo
.LBB390_743:
	s_or_b32 exec_lo, exec_lo, s17
	v_cndmask_b32_e64 v4, v9, v8, s13
	v_cndmask_b32_e64 v5, v23, v22, s13
	s_mov_b32 s17, exec_lo
	s_delay_alu instid0(VALU_DEP_2) | instskip(NEXT) | instid1(VALU_DEP_2)
	v_add_nc_u32_e32 v10, 1, v4
	v_add_nc_u32_e32 v4, -1, v5
	s_delay_alu instid0(VALU_DEP_2) | instskip(NEXT) | instid1(VALU_DEP_2)
	v_cndmask_b32_e64 v9, v10, v9, s13
	v_min_u32_e32 v4, v10, v4
	s_delay_alu instid0(VALU_DEP_1)
	v_lshl_add_u32 v4, v4, 3, v18
	ds_load_b64 v[4:5], v4
	s_waitcnt lgkmcnt(0)
	v_cndmask_b32_e64 v7, v32, v5, s13
	v_cndmask_b32_e64 v6, v33, v4, s13
	v_cmpx_lt_u32_e64 v9, v23
	s_cbranch_execz .LBB390_753
; %bb.744:
	v_cndmask_b32_e64 v8, v8, v10, s13
	v_cndmask_b32_e64 v5, v5, v30, s13
	;; [unrolled: 1-line block ×3, first 2 shown]
	s_mov_b32 s20, exec_lo
	s_delay_alu instid0(VALU_DEP_3)
	v_cmpx_lt_u32_e64 v8, v22
	s_cbranch_execz .LBB390_752
; %bb.745:
	s_and_not1_b32 vcc_lo, exec_lo, s16
	s_cbranch_vccnz .LBB390_751
; %bb.746:
	v_mul_lo_u32 v22, v5, s8
	v_mul_lo_u32 v23, v4, s9
	v_mad_u64_u32 v[8:9], null, v4, s8, 0
	v_mul_lo_u32 v34, v7, s8
	v_mul_lo_u32 v35, v6, s9
	v_mad_u64_u32 v[10:11], null, v6, s8, 0
	s_mov_b32 s21, 0
	s_mov_b64 s[4:5], s[8:9]
	s_delay_alu instid0(VALU_DEP_4) | instskip(NEXT) | instid1(VALU_DEP_2)
	v_add3_u32 v9, v9, v23, v22
                                        ; implicit-def: $sgpr22
                                        ; implicit-def: $sgpr23
                                        ; implicit-def: $sgpr24
                                        ; implicit-def: $sgpr25
                                        ; implicit-def: $sgpr26
	v_add3_u32 v11, v11, v35, v34
	s_delay_alu instid0(VALU_DEP_2) | instskip(NEXT) | instid1(VALU_DEP_2)
	v_lshlrev_b64 v[8:9], 2, v[8:9]
	v_lshlrev_b64 v[10:11], 2, v[10:11]
	s_delay_alu instid0(VALU_DEP_2) | instskip(NEXT) | instid1(VALU_DEP_3)
	v_add_co_u32 v8, vcc_lo, s10, v8
	v_add_co_ci_u32_e32 v9, vcc_lo, s11, v9, vcc_lo
	s_delay_alu instid0(VALU_DEP_3) | instskip(NEXT) | instid1(VALU_DEP_4)
	v_add_co_u32 v10, vcc_lo, s10, v10
	v_add_co_ci_u32_e32 v11, vcc_lo, s11, v11, vcc_lo
	s_set_inst_prefetch_distance 0x1
	s_branch .LBB390_748
	.p2align	6
.LBB390_747:                            ;   in Loop: Header=BB390_748 Depth=1
	s_or_b32 exec_lo, exec_lo, s3
	s_delay_alu instid0(SALU_CYCLE_1) | instskip(NEXT) | instid1(SALU_CYCLE_1)
	s_and_b32 s3, exec_lo, s23
	s_or_b32 s21, s3, s21
	s_and_not1_b32 s3, s26, exec_lo
	s_and_b32 s26, s25, exec_lo
	s_and_not1_b32 s22, s22, exec_lo
	s_and_b32 s27, s24, exec_lo
	s_or_b32 s26, s3, s26
	s_or_b32 s22, s22, s27
	s_and_not1_b32 exec_lo, exec_lo, s21
	s_cbranch_execz .LBB390_750
.LBB390_748:                            ; =>This Inner Loop Header: Depth=1
	global_load_b32 v22, v[8:9], off
	global_load_b32 v23, v[10:11], off
	s_and_not1_b32 s24, s24, exec_lo
	s_and_not1_b32 s25, s25, exec_lo
	s_or_b32 s23, s23, exec_lo
	s_waitcnt vmcnt(0)
	v_cmp_le_i32_e32 vcc_lo, v22, v23
	v_cmp_lt_i32_e64 s3, v22, v23
	s_and_b32 s27, vcc_lo, s26
	s_delay_alu instid0(VALU_DEP_1) | instid1(SALU_CYCLE_1)
	s_or_b32 s27, s3, s27
	s_delay_alu instid0(SALU_CYCLE_1) | instskip(NEXT) | instid1(SALU_CYCLE_1)
	s_and_b32 s3, s27, exec_lo
	s_or_b32 s24, s24, s3
	s_mov_b32 s3, exec_lo
	v_cmpx_eq_u32_e64 v22, v23
	s_cbranch_execz .LBB390_747
; %bb.749:                              ;   in Loop: Header=BB390_748 Depth=1
	s_add_u32 s4, s4, -1
	s_addc_u32 s5, s5, -1
	v_add_co_u32 v8, vcc_lo, v8, 4
	s_cmp_eq_u64 s[4:5], 0
	v_add_co_ci_u32_e32 v9, vcc_lo, 0, v9, vcc_lo
	v_add_co_u32 v10, vcc_lo, v10, 4
	s_cselect_b32 s26, -1, 0
	v_add_co_ci_u32_e32 v11, vcc_lo, 0, v11, vcc_lo
	s_and_not1_b32 s25, s25, exec_lo
	s_and_b32 s27, s27, exec_lo
	s_and_not1_b32 s23, s23, exec_lo
	s_and_b32 s26, s26, exec_lo
	s_or_b32 s25, s25, s27
	s_and_not1_b32 s24, s24, exec_lo
	s_or_b32 s23, s23, s26
                                        ; implicit-def: $sgpr26
	s_branch .LBB390_747
.LBB390_750:
	s_set_inst_prefetch_distance 0x2
	s_or_b32 exec_lo, exec_lo, s21
	v_cndmask_b32_e64 v7, v7, v5, s22
	v_cndmask_b32_e64 v6, v6, v4, s22
.LBB390_751:
	s_delay_alu instid0(VALU_DEP_1)
	v_dual_mov_b32 v4, v6 :: v_dual_mov_b32 v5, v7
.LBB390_752:
	s_or_b32 exec_lo, exec_lo, s20
	s_delay_alu instid0(VALU_DEP_1)
	v_dual_mov_b32 v7, v5 :: v_dual_mov_b32 v6, v4
.LBB390_753:
	s_or_b32 exec_lo, exec_lo, s17
	v_cndmask_b32_e64 v1, v3, v1, s7
	v_cndmask_b32_e64 v0, v2, v0, s7
	;; [unrolled: 1-line block ×6, first 2 shown]
.LBB390_754:
	s_or_b32 exec_lo, exec_lo, s6
	v_and_b32_e32 v24, 64, v20
	v_and_b32_e32 v9, 60, v20
	s_mov_b32 s12, exec_lo
	; wave barrier
	s_delay_alu instid0(VALU_DEP_2) | instskip(NEXT) | instid1(VALU_DEP_2)
	v_or_b32_e32 v8, 32, v24
	v_min_u32_e32 v25, v19, v9
	v_lshl_add_u32 v23, v24, 3, v18
	ds_store_b128 v21, v[0:3]
	ds_store_b128 v21, v[4:7] offset:16
	v_min_u32_e32 v22, v19, v8
	; wave barrier
	s_delay_alu instid0(VALU_DEP_1) | instskip(SKIP_1) | instid1(VALU_DEP_2)
	v_add_nc_u32_e32 v8, 32, v22
	v_sub_nc_u32_e32 v9, v22, v24
	v_min_u32_e32 v20, v19, v8
	s_delay_alu instid0(VALU_DEP_2) | instskip(NEXT) | instid1(VALU_DEP_2)
	v_min_u32_e32 v28, v25, v9
	v_sub_nc_u32_e32 v8, v20, v22
	s_delay_alu instid0(VALU_DEP_1) | instskip(NEXT) | instid1(VALU_DEP_1)
	v_sub_nc_u32_e64 v19, v25, v8 clamp
	v_cmpx_lt_u32_e64 v19, v28
	s_cbranch_execz .LBB390_764
; %bb.755:
	v_lshlrev_b32_e32 v8, 3, v22
	v_lshlrev_b32_e32 v9, 3, v25
	s_lshl_b64 s[4:5], s[8:9], 2
	s_mov_b32 s13, 0
	s_delay_alu instid0(VALU_DEP_1)
	v_add3_u32 v21, v18, v8, v9
	s_branch .LBB390_758
.LBB390_756:                            ;   in Loop: Header=BB390_758 Depth=1
	s_set_inst_prefetch_distance 0x2
	s_or_b32 exec_lo, exec_lo, s17
.LBB390_757:                            ;   in Loop: Header=BB390_758 Depth=1
	s_delay_alu instid0(VALU_DEP_1) | instskip(SKIP_1) | instid1(VALU_DEP_2)
	v_add_nc_u32_e32 v8, 1, v29
	v_cndmask_b32_e64 v28, v28, v29, s20
	v_cndmask_b32_e64 v19, v8, v19, s20
	s_delay_alu instid0(VALU_DEP_1) | instskip(SKIP_1) | instid1(SALU_CYCLE_1)
	v_cmp_ge_u32_e32 vcc_lo, v19, v28
	s_or_b32 s13, vcc_lo, s13
	s_and_not1_b32 exec_lo, exec_lo, s13
	s_cbranch_execz .LBB390_763
.LBB390_758:                            ; =>This Loop Header: Depth=1
                                        ;     Child Loop BB390_761 Depth 2
	v_add_nc_u32_e32 v8, v28, v19
	s_and_not1_b32 vcc_lo, exec_lo, s16
	s_mov_b32 s20, 0
	s_delay_alu instid0(VALU_DEP_1)
	v_lshrrev_b32_e32 v29, 1, v8
	s_cbranch_vccnz .LBB390_757
; %bb.759:                              ;   in Loop: Header=BB390_758 Depth=1
	s_delay_alu instid0(VALU_DEP_1) | instskip(SKIP_3) | instid1(VALU_DEP_2)
	v_not_b32_e32 v8, v29
	v_lshl_add_u32 v9, v29, 3, v23
	s_mov_b32 s17, 0
	s_mov_b64 s[6:7], s[8:9]
                                        ; implicit-def: $sgpr20
                                        ; implicit-def: $sgpr21
                                        ; implicit-def: $sgpr22
                                        ; implicit-def: $sgpr23
                                        ; implicit-def: $sgpr24
	v_lshl_add_u32 v8, v8, 3, v21
	ds_load_b64 v[10:11], v8
	ds_load_b64 v[30:31], v9
	s_waitcnt lgkmcnt(1)
	v_mul_lo_u32 v32, s4, v11
	v_mul_lo_u32 v33, s5, v10
	v_mad_u64_u32 v[8:9], null, s4, v10, s[10:11]
	s_waitcnt lgkmcnt(0)
	v_mul_lo_u32 v31, s4, v31
	v_mul_lo_u32 v34, s5, v30
	v_mad_u64_u32 v[10:11], null, s4, v30, s[10:11]
	s_delay_alu instid0(VALU_DEP_4) | instskip(NEXT) | instid1(VALU_DEP_2)
	v_add3_u32 v9, v33, v9, v32
	v_add3_u32 v11, v34, v11, v31
	s_set_inst_prefetch_distance 0x1
	s_branch .LBB390_761
	.p2align	6
.LBB390_760:                            ;   in Loop: Header=BB390_761 Depth=2
	s_or_b32 exec_lo, exec_lo, s25
	s_delay_alu instid0(SALU_CYCLE_1) | instskip(NEXT) | instid1(SALU_CYCLE_1)
	s_and_b32 s3, exec_lo, s21
	s_or_b32 s17, s3, s17
	s_and_not1_b32 s3, s24, exec_lo
	s_and_b32 s24, s22, exec_lo
	s_and_not1_b32 s20, s20, exec_lo
	s_and_b32 s25, s23, exec_lo
	s_or_b32 s24, s3, s24
	s_or_b32 s20, s20, s25
	s_and_not1_b32 exec_lo, exec_lo, s17
	s_cbranch_execz .LBB390_756
.LBB390_761:                            ;   Parent Loop BB390_758 Depth=1
                                        ; =>  This Inner Loop Header: Depth=2
	global_load_b32 v30, v[8:9], off
	global_load_b32 v31, v[10:11], off
	s_and_not1_b32 s23, s23, exec_lo
	s_and_not1_b32 s22, s22, exec_lo
	s_or_b32 s21, s21, exec_lo
	s_waitcnt vmcnt(0)
	v_cmp_le_i32_e32 vcc_lo, v30, v31
	v_cmp_lt_i32_e64 s3, v30, v31
	s_and_b32 s25, vcc_lo, s24
	s_delay_alu instid0(VALU_DEP_1) | instid1(SALU_CYCLE_1)
	s_or_b32 s3, s3, s25
	s_delay_alu instid0(SALU_CYCLE_1) | instskip(NEXT) | instid1(SALU_CYCLE_1)
	s_and_b32 s25, s3, exec_lo
	s_or_b32 s23, s23, s25
	s_mov_b32 s25, exec_lo
	v_cmpx_eq_u32_e64 v30, v31
	s_cbranch_execz .LBB390_760
; %bb.762:                              ;   in Loop: Header=BB390_761 Depth=2
	s_add_u32 s6, s6, -1
	s_addc_u32 s7, s7, -1
	v_add_co_u32 v8, vcc_lo, v8, 4
	v_add_co_ci_u32_e32 v9, vcc_lo, 0, v9, vcc_lo
	s_cmp_eq_u64 s[6:7], 0
	v_add_co_u32 v10, vcc_lo, v10, 4
	s_cselect_b32 s24, -1, 0
	v_add_co_ci_u32_e32 v11, vcc_lo, 0, v11, vcc_lo
	s_and_not1_b32 s22, s22, exec_lo
	s_and_b32 s3, s3, exec_lo
	s_and_not1_b32 s21, s21, exec_lo
	s_and_b32 s24, s24, exec_lo
	s_and_not1_b32 s23, s23, exec_lo
	s_or_b32 s22, s22, s3
	s_or_b32 s21, s21, s24
                                        ; implicit-def: $sgpr24
	s_branch .LBB390_760
.LBB390_763:
	s_or_b32 exec_lo, exec_lo, s13
.LBB390_764:
	s_delay_alu instid0(SALU_CYCLE_1) | instskip(SKIP_2) | instid1(VALU_DEP_2)
	s_or_b32 exec_lo, exec_lo, s12
	v_add_nc_u32_e32 v9, v22, v25
	v_add_nc_u32_e32 v8, v19, v24
	v_sub_nc_u32_e32 v9, v9, v19
	s_delay_alu instid0(VALU_DEP_2) | instskip(NEXT) | instid1(VALU_DEP_2)
	v_cmp_le_u32_e32 vcc_lo, v8, v22
	v_cmp_le_u32_e64 s3, v9, v20
	s_delay_alu instid0(VALU_DEP_1) | instskip(NEXT) | instid1(SALU_CYCLE_1)
	s_or_b32 s3, vcc_lo, s3
	s_and_saveexec_b32 s6, s3
	s_cbranch_execz .LBB390_811
; %bb.765:
	v_cmp_ge_u32_e32 vcc_lo, v8, v22
	s_mov_b32 s4, exec_lo
                                        ; implicit-def: $vgpr0_vgpr1
	v_cmpx_lt_u32_e64 v8, v22
	s_cbranch_execz .LBB390_767
; %bb.766:
	v_lshl_add_u32 v0, v19, 3, v23
	ds_load_b64 v[0:1], v0
.LBB390_767:
	s_or_b32 exec_lo, exec_lo, s4
	v_cmp_ge_u32_e64 s7, v9, v20
	s_mov_b32 s4, exec_lo
                                        ; implicit-def: $vgpr2_vgpr3
	v_cmpx_lt_u32_e64 v9, v20
	s_cbranch_execz .LBB390_769
; %bb.768:
	v_lshl_add_u32 v2, v9, 3, v18
	ds_load_b64 v[2:3], v2
.LBB390_769:
	s_or_b32 exec_lo, exec_lo, s4
	s_or_b32 s3, vcc_lo, s7
	s_mov_b32 s12, -1
	s_xor_b32 s3, s3, -1
	s_delay_alu instid0(SALU_CYCLE_1)
	s_and_saveexec_b32 s13, s3
	s_cbranch_execz .LBB390_778
; %bb.770:
	s_and_not1_b32 vcc_lo, exec_lo, s16
	s_cbranch_vccnz .LBB390_776
; %bb.771:
	s_waitcnt lgkmcnt(0)
	v_mul_lo_u32 v10, v3, s8
	v_mul_lo_u32 v11, v2, s9
	v_mad_u64_u32 v[4:5], null, v2, s8, 0
	v_mul_lo_u32 v19, v1, s8
	v_mul_lo_u32 v21, v0, s9
	v_mad_u64_u32 v[6:7], null, v0, s8, 0
	s_mov_b32 s17, 0
	s_mov_b64 s[4:5], s[8:9]
	s_delay_alu instid0(VALU_DEP_4) | instskip(NEXT) | instid1(VALU_DEP_2)
	v_add3_u32 v5, v5, v11, v10
                                        ; implicit-def: $sgpr20
                                        ; implicit-def: $sgpr21
                                        ; implicit-def: $sgpr22
                                        ; implicit-def: $sgpr23
                                        ; implicit-def: $sgpr24
	v_add3_u32 v7, v7, v21, v19
	s_delay_alu instid0(VALU_DEP_2) | instskip(NEXT) | instid1(VALU_DEP_2)
	v_lshlrev_b64 v[4:5], 2, v[4:5]
	v_lshlrev_b64 v[6:7], 2, v[6:7]
	s_delay_alu instid0(VALU_DEP_2) | instskip(NEXT) | instid1(VALU_DEP_3)
	v_add_co_u32 v4, vcc_lo, s10, v4
	v_add_co_ci_u32_e32 v5, vcc_lo, s11, v5, vcc_lo
	s_delay_alu instid0(VALU_DEP_3) | instskip(NEXT) | instid1(VALU_DEP_4)
	v_add_co_u32 v6, vcc_lo, s10, v6
	v_add_co_ci_u32_e32 v7, vcc_lo, s11, v7, vcc_lo
	s_set_inst_prefetch_distance 0x1
	s_branch .LBB390_773
	.p2align	6
.LBB390_772:                            ;   in Loop: Header=BB390_773 Depth=1
	s_or_b32 exec_lo, exec_lo, s3
	s_delay_alu instid0(SALU_CYCLE_1) | instskip(NEXT) | instid1(SALU_CYCLE_1)
	s_and_b32 s3, exec_lo, s21
	s_or_b32 s17, s3, s17
	s_and_not1_b32 s3, s24, exec_lo
	s_and_b32 s24, s23, exec_lo
	s_and_not1_b32 s20, s20, exec_lo
	s_and_b32 s25, s22, exec_lo
	s_or_b32 s24, s3, s24
	s_or_b32 s20, s20, s25
	s_and_not1_b32 exec_lo, exec_lo, s17
	s_cbranch_execz .LBB390_775
.LBB390_773:                            ; =>This Inner Loop Header: Depth=1
	global_load_b32 v10, v[4:5], off
	global_load_b32 v11, v[6:7], off
	s_and_not1_b32 s22, s22, exec_lo
	s_and_not1_b32 s23, s23, exec_lo
	s_or_b32 s21, s21, exec_lo
	s_waitcnt vmcnt(0)
	v_cmp_le_i32_e32 vcc_lo, v10, v11
	v_cmp_lt_i32_e64 s3, v10, v11
	s_and_b32 s25, vcc_lo, s24
	s_delay_alu instid0(VALU_DEP_1) | instid1(SALU_CYCLE_1)
	s_or_b32 s25, s3, s25
	s_delay_alu instid0(SALU_CYCLE_1) | instskip(NEXT) | instid1(SALU_CYCLE_1)
	s_and_b32 s3, s25, exec_lo
	s_or_b32 s22, s22, s3
	s_mov_b32 s3, exec_lo
	v_cmpx_eq_u32_e64 v10, v11
	s_cbranch_execz .LBB390_772
; %bb.774:                              ;   in Loop: Header=BB390_773 Depth=1
	s_add_u32 s4, s4, -1
	s_addc_u32 s5, s5, -1
	v_add_co_u32 v4, vcc_lo, v4, 4
	s_cmp_eq_u64 s[4:5], 0
	v_add_co_ci_u32_e32 v5, vcc_lo, 0, v5, vcc_lo
	v_add_co_u32 v6, vcc_lo, v6, 4
	s_cselect_b32 s24, -1, 0
	v_add_co_ci_u32_e32 v7, vcc_lo, 0, v7, vcc_lo
	s_and_not1_b32 s23, s23, exec_lo
	s_and_b32 s25, s25, exec_lo
	s_and_not1_b32 s21, s21, exec_lo
	s_and_b32 s24, s24, exec_lo
	s_or_b32 s23, s23, s25
	s_and_not1_b32 s22, s22, exec_lo
	s_or_b32 s21, s21, s24
                                        ; implicit-def: $sgpr24
	s_branch .LBB390_772
.LBB390_775:
	s_set_inst_prefetch_distance 0x2
	s_or_b32 exec_lo, exec_lo, s17
	s_xor_b32 s3, s20, -1
	s_branch .LBB390_777
.LBB390_776:
	s_mov_b32 s3, -1
.LBB390_777:
	s_and_not1_b32 s4, s7, exec_lo
	s_and_b32 s3, s3, exec_lo
	s_delay_alu instid0(SALU_CYCLE_1)
	s_or_b32 s7, s4, s3
.LBB390_778:
	s_or_b32 exec_lo, exec_lo, s13
	v_cndmask_b32_e64 v4, v9, v8, s7
	v_cndmask_b32_e64 v5, v20, v22, s7
	s_mov_b32 s13, exec_lo
	s_delay_alu instid0(VALU_DEP_2) | instskip(NEXT) | instid1(VALU_DEP_2)
	v_add_nc_u32_e32 v6, 1, v4
	v_add_nc_u32_e32 v4, -1, v5
	s_delay_alu instid0(VALU_DEP_2) | instskip(NEXT) | instid1(VALU_DEP_2)
	v_cndmask_b32_e64 v9, v6, v9, s7
	v_min_u32_e32 v4, v6, v4
	v_cndmask_b32_e64 v8, v8, v6, s7
	s_delay_alu instid0(VALU_DEP_2)
	v_lshl_add_u32 v4, v4, 3, v18
	ds_load_b64 v[4:5], v4
	s_waitcnt lgkmcnt(0)
	v_cndmask_b32_e64 v19, v5, v3, s7
	v_cndmask_b32_e64 v21, v4, v2, s7
	;; [unrolled: 1-line block ×4, first 2 shown]
	v_cmpx_lt_u32_e64 v9, v20
	s_cbranch_execz .LBB390_789
; %bb.779:
	s_mov_b32 s3, 0
	s_mov_b32 s12, exec_lo
	v_cmpx_lt_u32_e64 v8, v22
	s_cbranch_execz .LBB390_788
; %bb.780:
	s_and_not1_b32 vcc_lo, exec_lo, s16
	s_cbranch_vccnz .LBB390_786
; %bb.781:
	v_mul_lo_u32 v10, v19, s8
	v_mul_lo_u32 v11, v21, s9
	v_mad_u64_u32 v[4:5], null, v21, s8, 0
	v_mul_lo_u32 v25, v23, s8
	v_mul_lo_u32 v28, v24, s9
	v_mad_u64_u32 v[6:7], null, v24, s8, 0
	s_mov_b32 s17, 0
	s_mov_b64 s[4:5], s[8:9]
	s_delay_alu instid0(VALU_DEP_4) | instskip(NEXT) | instid1(VALU_DEP_2)
	v_add3_u32 v5, v5, v11, v10
                                        ; implicit-def: $sgpr20
                                        ; implicit-def: $sgpr21
                                        ; implicit-def: $sgpr22
                                        ; implicit-def: $sgpr23
                                        ; implicit-def: $sgpr24
	v_add3_u32 v7, v7, v28, v25
	s_delay_alu instid0(VALU_DEP_2) | instskip(NEXT) | instid1(VALU_DEP_2)
	v_lshlrev_b64 v[4:5], 2, v[4:5]
	v_lshlrev_b64 v[6:7], 2, v[6:7]
	s_delay_alu instid0(VALU_DEP_2) | instskip(NEXT) | instid1(VALU_DEP_3)
	v_add_co_u32 v4, vcc_lo, s10, v4
	v_add_co_ci_u32_e32 v5, vcc_lo, s11, v5, vcc_lo
	s_delay_alu instid0(VALU_DEP_3) | instskip(NEXT) | instid1(VALU_DEP_4)
	v_add_co_u32 v6, vcc_lo, s10, v6
	v_add_co_ci_u32_e32 v7, vcc_lo, s11, v7, vcc_lo
	s_set_inst_prefetch_distance 0x1
	s_branch .LBB390_783
	.p2align	6
.LBB390_782:                            ;   in Loop: Header=BB390_783 Depth=1
	s_or_b32 exec_lo, exec_lo, s3
	s_delay_alu instid0(SALU_CYCLE_1) | instskip(NEXT) | instid1(SALU_CYCLE_1)
	s_and_b32 s3, exec_lo, s21
	s_or_b32 s17, s3, s17
	s_and_not1_b32 s3, s24, exec_lo
	s_and_b32 s24, s23, exec_lo
	s_and_not1_b32 s20, s20, exec_lo
	s_and_b32 s25, s22, exec_lo
	s_or_b32 s24, s3, s24
	s_or_b32 s20, s20, s25
	s_and_not1_b32 exec_lo, exec_lo, s17
	s_cbranch_execz .LBB390_785
.LBB390_783:                            ; =>This Inner Loop Header: Depth=1
	global_load_b32 v10, v[4:5], off
	global_load_b32 v11, v[6:7], off
	s_and_not1_b32 s22, s22, exec_lo
	s_and_not1_b32 s23, s23, exec_lo
	s_or_b32 s21, s21, exec_lo
	s_waitcnt vmcnt(0)
	v_cmp_le_i32_e32 vcc_lo, v10, v11
	v_cmp_lt_i32_e64 s3, v10, v11
	s_and_b32 s25, vcc_lo, s24
	s_delay_alu instid0(VALU_DEP_1) | instid1(SALU_CYCLE_1)
	s_or_b32 s25, s3, s25
	s_delay_alu instid0(SALU_CYCLE_1) | instskip(NEXT) | instid1(SALU_CYCLE_1)
	s_and_b32 s3, s25, exec_lo
	s_or_b32 s22, s22, s3
	s_mov_b32 s3, exec_lo
	v_cmpx_eq_u32_e64 v10, v11
	s_cbranch_execz .LBB390_782
; %bb.784:                              ;   in Loop: Header=BB390_783 Depth=1
	s_add_u32 s4, s4, -1
	s_addc_u32 s5, s5, -1
	v_add_co_u32 v4, vcc_lo, v4, 4
	s_cmp_eq_u64 s[4:5], 0
	v_add_co_ci_u32_e32 v5, vcc_lo, 0, v5, vcc_lo
	v_add_co_u32 v6, vcc_lo, v6, 4
	s_cselect_b32 s24, -1, 0
	v_add_co_ci_u32_e32 v7, vcc_lo, 0, v7, vcc_lo
	s_and_not1_b32 s23, s23, exec_lo
	s_and_b32 s25, s25, exec_lo
	s_and_not1_b32 s21, s21, exec_lo
	s_and_b32 s24, s24, exec_lo
	s_or_b32 s23, s23, s25
	s_and_not1_b32 s22, s22, exec_lo
	s_or_b32 s21, s21, s24
                                        ; implicit-def: $sgpr24
	s_branch .LBB390_782
.LBB390_785:
	s_set_inst_prefetch_distance 0x2
	s_or_b32 exec_lo, exec_lo, s17
	s_xor_b32 s3, s20, -1
	s_branch .LBB390_787
.LBB390_786:
	s_mov_b32 s3, -1
.LBB390_787:
	s_delay_alu instid0(SALU_CYCLE_1)
	s_and_b32 s3, s3, exec_lo
.LBB390_788:
	s_or_b32 exec_lo, exec_lo, s12
	s_delay_alu instid0(SALU_CYCLE_1)
	s_or_not1_b32 s12, s3, exec_lo
.LBB390_789:
	s_or_b32 exec_lo, exec_lo, s13
	v_cndmask_b32_e64 v4, v9, v8, s12
	v_cndmask_b32_e64 v5, v20, v22, s12
	s_mov_b32 s13, -1
	s_mov_b32 s17, exec_lo
	s_delay_alu instid0(VALU_DEP_2) | instskip(NEXT) | instid1(VALU_DEP_2)
	v_add_nc_u32_e32 v6, 1, v4
	v_add_nc_u32_e32 v4, -1, v5
	s_delay_alu instid0(VALU_DEP_2) | instskip(NEXT) | instid1(VALU_DEP_2)
	v_cndmask_b32_e64 v9, v6, v9, s12
	v_min_u32_e32 v4, v6, v4
	v_cndmask_b32_e64 v8, v8, v6, s12
	s_delay_alu instid0(VALU_DEP_2)
	v_lshl_add_u32 v4, v4, 3, v18
	ds_load_b64 v[4:5], v4
	s_waitcnt lgkmcnt(0)
	v_cndmask_b32_e64 v25, v5, v19, s12
	v_cndmask_b32_e64 v28, v4, v21, s12
	;; [unrolled: 1-line block ×4, first 2 shown]
	v_cmpx_lt_u32_e64 v9, v20
	s_cbranch_execz .LBB390_800
; %bb.790:
	s_mov_b32 s3, 0
	s_mov_b32 s13, exec_lo
	v_cmpx_lt_u32_e64 v8, v22
	s_cbranch_execz .LBB390_799
; %bb.791:
	s_and_not1_b32 vcc_lo, exec_lo, s16
	s_cbranch_vccnz .LBB390_797
; %bb.792:
	v_mul_lo_u32 v10, v25, s8
	v_mul_lo_u32 v11, v28, s9
	v_mad_u64_u32 v[4:5], null, v28, s8, 0
	v_mul_lo_u32 v31, v29, s8
	v_mul_lo_u32 v32, v30, s9
	v_mad_u64_u32 v[6:7], null, v30, s8, 0
	s_mov_b32 s20, 0
	s_mov_b64 s[4:5], s[8:9]
	s_delay_alu instid0(VALU_DEP_4) | instskip(NEXT) | instid1(VALU_DEP_2)
	v_add3_u32 v5, v5, v11, v10
                                        ; implicit-def: $sgpr21
                                        ; implicit-def: $sgpr22
                                        ; implicit-def: $sgpr23
                                        ; implicit-def: $sgpr24
                                        ; implicit-def: $sgpr25
	v_add3_u32 v7, v7, v32, v31
	s_delay_alu instid0(VALU_DEP_2) | instskip(NEXT) | instid1(VALU_DEP_2)
	v_lshlrev_b64 v[4:5], 2, v[4:5]
	v_lshlrev_b64 v[6:7], 2, v[6:7]
	s_delay_alu instid0(VALU_DEP_2) | instskip(NEXT) | instid1(VALU_DEP_3)
	v_add_co_u32 v4, vcc_lo, s10, v4
	v_add_co_ci_u32_e32 v5, vcc_lo, s11, v5, vcc_lo
	s_delay_alu instid0(VALU_DEP_3) | instskip(NEXT) | instid1(VALU_DEP_4)
	v_add_co_u32 v6, vcc_lo, s10, v6
	v_add_co_ci_u32_e32 v7, vcc_lo, s11, v7, vcc_lo
	s_set_inst_prefetch_distance 0x1
	s_branch .LBB390_794
	.p2align	6
.LBB390_793:                            ;   in Loop: Header=BB390_794 Depth=1
	s_or_b32 exec_lo, exec_lo, s3
	s_delay_alu instid0(SALU_CYCLE_1) | instskip(NEXT) | instid1(SALU_CYCLE_1)
	s_and_b32 s3, exec_lo, s22
	s_or_b32 s20, s3, s20
	s_and_not1_b32 s3, s25, exec_lo
	s_and_b32 s25, s24, exec_lo
	s_and_not1_b32 s21, s21, exec_lo
	s_and_b32 s26, s23, exec_lo
	s_or_b32 s25, s3, s25
	s_or_b32 s21, s21, s26
	s_and_not1_b32 exec_lo, exec_lo, s20
	s_cbranch_execz .LBB390_796
.LBB390_794:                            ; =>This Inner Loop Header: Depth=1
	global_load_b32 v10, v[4:5], off
	global_load_b32 v11, v[6:7], off
	s_and_not1_b32 s23, s23, exec_lo
	s_and_not1_b32 s24, s24, exec_lo
	s_or_b32 s22, s22, exec_lo
	s_waitcnt vmcnt(0)
	v_cmp_le_i32_e32 vcc_lo, v10, v11
	v_cmp_lt_i32_e64 s3, v10, v11
	s_and_b32 s26, vcc_lo, s25
	s_delay_alu instid0(VALU_DEP_1) | instid1(SALU_CYCLE_1)
	s_or_b32 s26, s3, s26
	s_delay_alu instid0(SALU_CYCLE_1) | instskip(NEXT) | instid1(SALU_CYCLE_1)
	s_and_b32 s3, s26, exec_lo
	s_or_b32 s23, s23, s3
	s_mov_b32 s3, exec_lo
	v_cmpx_eq_u32_e64 v10, v11
	s_cbranch_execz .LBB390_793
; %bb.795:                              ;   in Loop: Header=BB390_794 Depth=1
	s_add_u32 s4, s4, -1
	s_addc_u32 s5, s5, -1
	v_add_co_u32 v4, vcc_lo, v4, 4
	s_cmp_eq_u64 s[4:5], 0
	v_add_co_ci_u32_e32 v5, vcc_lo, 0, v5, vcc_lo
	v_add_co_u32 v6, vcc_lo, v6, 4
	s_cselect_b32 s25, -1, 0
	v_add_co_ci_u32_e32 v7, vcc_lo, 0, v7, vcc_lo
	s_and_not1_b32 s24, s24, exec_lo
	s_and_b32 s26, s26, exec_lo
	s_and_not1_b32 s22, s22, exec_lo
	s_and_b32 s25, s25, exec_lo
	s_or_b32 s24, s24, s26
	s_and_not1_b32 s23, s23, exec_lo
	s_or_b32 s22, s22, s25
                                        ; implicit-def: $sgpr25
	s_branch .LBB390_793
.LBB390_796:
	s_set_inst_prefetch_distance 0x2
	s_or_b32 exec_lo, exec_lo, s20
	s_xor_b32 s3, s21, -1
	s_branch .LBB390_798
.LBB390_797:
	s_mov_b32 s3, -1
.LBB390_798:
	s_delay_alu instid0(SALU_CYCLE_1)
	s_and_b32 s3, s3, exec_lo
.LBB390_799:
	s_or_b32 exec_lo, exec_lo, s13
	s_delay_alu instid0(SALU_CYCLE_1)
	s_or_not1_b32 s13, s3, exec_lo
.LBB390_800:
	s_or_b32 exec_lo, exec_lo, s17
	v_cndmask_b32_e64 v4, v9, v8, s13
	v_cndmask_b32_e64 v5, v20, v22, s13
	s_mov_b32 s17, exec_lo
	s_delay_alu instid0(VALU_DEP_2) | instskip(NEXT) | instid1(VALU_DEP_2)
	v_add_nc_u32_e32 v10, 1, v4
	v_add_nc_u32_e32 v4, -1, v5
	s_delay_alu instid0(VALU_DEP_2) | instskip(NEXT) | instid1(VALU_DEP_2)
	v_cndmask_b32_e64 v9, v10, v9, s13
	v_min_u32_e32 v4, v10, v4
	s_delay_alu instid0(VALU_DEP_1)
	v_lshl_add_u32 v4, v4, 3, v18
	ds_load_b64 v[4:5], v4
	s_waitcnt lgkmcnt(0)
	v_cndmask_b32_e64 v7, v29, v5, s13
	v_cndmask_b32_e64 v6, v30, v4, s13
	v_cmpx_lt_u32_e64 v9, v20
	s_cbranch_execz .LBB390_810
; %bb.801:
	v_cndmask_b32_e64 v8, v8, v10, s13
	v_cndmask_b32_e64 v5, v5, v25, s13
	;; [unrolled: 1-line block ×3, first 2 shown]
	s_mov_b32 s20, exec_lo
	s_delay_alu instid0(VALU_DEP_3)
	v_cmpx_lt_u32_e64 v8, v22
	s_cbranch_execz .LBB390_809
; %bb.802:
	s_and_not1_b32 vcc_lo, exec_lo, s16
	s_cbranch_vccnz .LBB390_808
; %bb.803:
	v_mul_lo_u32 v18, v5, s8
	v_mul_lo_u32 v20, v4, s9
	v_mad_u64_u32 v[8:9], null, v4, s8, 0
	v_mul_lo_u32 v22, v7, s8
	v_mul_lo_u32 v31, v6, s9
	v_mad_u64_u32 v[10:11], null, v6, s8, 0
	s_mov_b32 s21, 0
	s_mov_b64 s[4:5], s[8:9]
	s_delay_alu instid0(VALU_DEP_4) | instskip(NEXT) | instid1(VALU_DEP_2)
	v_add3_u32 v9, v9, v20, v18
                                        ; implicit-def: $sgpr22
                                        ; implicit-def: $sgpr23
                                        ; implicit-def: $sgpr24
                                        ; implicit-def: $sgpr25
                                        ; implicit-def: $sgpr26
	v_add3_u32 v11, v11, v31, v22
	s_delay_alu instid0(VALU_DEP_2) | instskip(NEXT) | instid1(VALU_DEP_2)
	v_lshlrev_b64 v[8:9], 2, v[8:9]
	v_lshlrev_b64 v[10:11], 2, v[10:11]
	s_delay_alu instid0(VALU_DEP_2) | instskip(NEXT) | instid1(VALU_DEP_3)
	v_add_co_u32 v8, vcc_lo, s10, v8
	v_add_co_ci_u32_e32 v9, vcc_lo, s11, v9, vcc_lo
	s_delay_alu instid0(VALU_DEP_3) | instskip(NEXT) | instid1(VALU_DEP_4)
	v_add_co_u32 v10, vcc_lo, s10, v10
	v_add_co_ci_u32_e32 v11, vcc_lo, s11, v11, vcc_lo
	s_set_inst_prefetch_distance 0x1
	s_branch .LBB390_805
	.p2align	6
.LBB390_804:                            ;   in Loop: Header=BB390_805 Depth=1
	s_or_b32 exec_lo, exec_lo, s3
	s_delay_alu instid0(SALU_CYCLE_1) | instskip(NEXT) | instid1(SALU_CYCLE_1)
	s_and_b32 s3, exec_lo, s23
	s_or_b32 s21, s3, s21
	s_and_not1_b32 s3, s26, exec_lo
	s_and_b32 s26, s25, exec_lo
	s_and_not1_b32 s22, s22, exec_lo
	s_and_b32 s27, s24, exec_lo
	s_or_b32 s26, s3, s26
	s_or_b32 s22, s22, s27
	s_and_not1_b32 exec_lo, exec_lo, s21
	s_cbranch_execz .LBB390_807
.LBB390_805:                            ; =>This Inner Loop Header: Depth=1
	global_load_b32 v18, v[8:9], off
	global_load_b32 v20, v[10:11], off
	s_and_not1_b32 s24, s24, exec_lo
	s_and_not1_b32 s25, s25, exec_lo
	s_or_b32 s23, s23, exec_lo
	s_waitcnt vmcnt(0)
	v_cmp_le_i32_e32 vcc_lo, v18, v20
	v_cmp_lt_i32_e64 s3, v18, v20
	s_and_b32 s27, vcc_lo, s26
	s_delay_alu instid0(VALU_DEP_1) | instid1(SALU_CYCLE_1)
	s_or_b32 s27, s3, s27
	s_delay_alu instid0(SALU_CYCLE_1) | instskip(NEXT) | instid1(SALU_CYCLE_1)
	s_and_b32 s3, s27, exec_lo
	s_or_b32 s24, s24, s3
	s_mov_b32 s3, exec_lo
	v_cmpx_eq_u32_e64 v18, v20
	s_cbranch_execz .LBB390_804
; %bb.806:                              ;   in Loop: Header=BB390_805 Depth=1
	s_add_u32 s4, s4, -1
	s_addc_u32 s5, s5, -1
	v_add_co_u32 v8, vcc_lo, v8, 4
	s_cmp_eq_u64 s[4:5], 0
	v_add_co_ci_u32_e32 v9, vcc_lo, 0, v9, vcc_lo
	v_add_co_u32 v10, vcc_lo, v10, 4
	s_cselect_b32 s26, -1, 0
	v_add_co_ci_u32_e32 v11, vcc_lo, 0, v11, vcc_lo
	s_and_not1_b32 s25, s25, exec_lo
	s_and_b32 s27, s27, exec_lo
	s_and_not1_b32 s23, s23, exec_lo
	s_and_b32 s26, s26, exec_lo
	s_or_b32 s25, s25, s27
	s_and_not1_b32 s24, s24, exec_lo
	s_or_b32 s23, s23, s26
                                        ; implicit-def: $sgpr26
	s_branch .LBB390_804
.LBB390_807:
	s_set_inst_prefetch_distance 0x2
	s_or_b32 exec_lo, exec_lo, s21
	v_cndmask_b32_e64 v7, v7, v5, s22
	v_cndmask_b32_e64 v6, v6, v4, s22
.LBB390_808:
	s_delay_alu instid0(VALU_DEP_1)
	v_dual_mov_b32 v4, v6 :: v_dual_mov_b32 v5, v7
.LBB390_809:
	s_or_b32 exec_lo, exec_lo, s20
	s_delay_alu instid0(VALU_DEP_1)
	v_dual_mov_b32 v7, v5 :: v_dual_mov_b32 v6, v4
.LBB390_810:
	s_or_b32 exec_lo, exec_lo, s17
	v_cndmask_b32_e64 v1, v3, v1, s7
	v_cndmask_b32_e64 v0, v2, v0, s7
	;; [unrolled: 1-line block ×6, first 2 shown]
.LBB390_811:
	s_or_b32 exec_lo, exec_lo, s6
	s_cmpk_lt_u32 s18, 0x41
	; wave barrier
	s_waitcnt lgkmcnt(0)
	s_barrier
	buffer_gl0_inv
	s_cbranch_scc1 .LBB390_871
; %bb.812:
	v_lshlrev_b32_e32 v18, 3, v27
	s_lshl_b64 s[4:5], s[8:9], 2
	s_mov_b32 s12, 64
	s_branch .LBB390_818
.LBB390_813:                            ;   in Loop: Header=BB390_818 Depth=1
	s_set_inst_prefetch_distance 0x2
	s_or_b32 exec_lo, exec_lo, s24
	v_cndmask_b32_e64 v7, v7, v5, s25
	v_cndmask_b32_e64 v6, v6, v4, s25
.LBB390_814:                            ;   in Loop: Header=BB390_818 Depth=1
	s_delay_alu instid0(VALU_DEP_1)
	v_dual_mov_b32 v4, v6 :: v_dual_mov_b32 v5, v7
.LBB390_815:                            ;   in Loop: Header=BB390_818 Depth=1
	s_or_b32 exec_lo, exec_lo, s23
	s_delay_alu instid0(VALU_DEP_1)
	v_dual_mov_b32 v7, v5 :: v_dual_mov_b32 v6, v4
.LBB390_816:                            ;   in Loop: Header=BB390_818 Depth=1
	s_or_b32 exec_lo, exec_lo, s22
	v_cndmask_b32_e64 v1, v3, v1, s17
	v_cndmask_b32_e64 v0, v2, v0, s17
	;; [unrolled: 1-line block ×6, first 2 shown]
.LBB390_817:                            ;   in Loop: Header=BB390_818 Depth=1
	s_or_b32 exec_lo, exec_lo, s13
	s_cmp_lt_u32 s12, s18
	s_barrier
	buffer_gl0_inv
	s_cbranch_scc0 .LBB390_871
.LBB390_818:                            ; =>This Loop Header: Depth=1
                                        ;     Child Loop BB390_822 Depth 2
                                        ;       Child Loop BB390_825 Depth 3
                                        ;     Child Loop BB390_837 Depth 2
                                        ;     Child Loop BB390_847 Depth 2
                                        ;     Child Loop BB390_858 Depth 2
                                        ;     Child Loop BB390_869 Depth 2
	s_mov_b32 s3, s12
	s_lshl_b32 s12, s12, 1
	s_mov_b32 s13, exec_lo
	s_sub_i32 s6, 0, s12
	ds_store_b128 v18, v[0:3]
	ds_store_b128 v18, v[4:7] offset:16
	v_and_b32_e32 v23, s6, v27
	s_waitcnt lgkmcnt(0)
	s_barrier
	buffer_gl0_inv
	v_add_nc_u32_e32 v8, s3, v23
	v_lshlrev_b32_e32 v22, 3, v23
	s_delay_alu instid0(VALU_DEP_2) | instskip(NEXT) | instid1(VALU_DEP_1)
	v_min_u32_e32 v19, s18, v8
	v_add_nc_u32_e32 v8, s3, v19
	s_add_i32 s3, s12, -1
	s_delay_alu instid0(SALU_CYCLE_1) | instskip(NEXT) | instid1(VALU_DEP_2)
	v_and_b32_e32 v9, s3, v27
	v_min_u32_e32 v20, s18, v8
	v_sub_nc_u32_e32 v8, v19, v23
	s_delay_alu instid0(VALU_DEP_3) | instskip(NEXT) | instid1(VALU_DEP_3)
	v_min_u32_e32 v24, s18, v9
	v_sub_nc_u32_e32 v9, v20, v19
	s_delay_alu instid0(VALU_DEP_2) | instskip(NEXT) | instid1(VALU_DEP_2)
	v_min_u32_e32 v25, v24, v8
	v_sub_nc_u32_e64 v21, v24, v9 clamp
	s_delay_alu instid0(VALU_DEP_1)
	v_cmpx_lt_u32_e64 v21, v25
	s_cbranch_execz .LBB390_828
; %bb.819:                              ;   in Loop: Header=BB390_818 Depth=1
	v_lshlrev_b32_e32 v8, 3, v24
	s_mov_b32 s17, 0
	s_delay_alu instid0(VALU_DEP_1)
	v_lshl_add_u32 v28, v19, 3, v8
	s_branch .LBB390_822
.LBB390_820:                            ;   in Loop: Header=BB390_822 Depth=2
	s_set_inst_prefetch_distance 0x2
	s_or_b32 exec_lo, exec_lo, s20
.LBB390_821:                            ;   in Loop: Header=BB390_822 Depth=2
	s_delay_alu instid0(VALU_DEP_1) | instskip(SKIP_1) | instid1(VALU_DEP_2)
	v_add_nc_u32_e32 v8, 1, v29
	v_cndmask_b32_e64 v25, v25, v29, s21
	v_cndmask_b32_e64 v21, v8, v21, s21
	s_delay_alu instid0(VALU_DEP_1) | instskip(SKIP_1) | instid1(SALU_CYCLE_1)
	v_cmp_ge_u32_e32 vcc_lo, v21, v25
	s_or_b32 s17, vcc_lo, s17
	s_and_not1_b32 exec_lo, exec_lo, s17
	s_cbranch_execz .LBB390_827
.LBB390_822:                            ;   Parent Loop BB390_818 Depth=1
                                        ; =>  This Loop Header: Depth=2
                                        ;       Child Loop BB390_825 Depth 3
	v_add_nc_u32_e32 v8, v25, v21
	s_and_not1_b32 vcc_lo, exec_lo, s16
	s_mov_b32 s21, 0
	s_delay_alu instid0(VALU_DEP_1)
	v_lshrrev_b32_e32 v29, 1, v8
	s_cbranch_vccnz .LBB390_821
; %bb.823:                              ;   in Loop: Header=BB390_822 Depth=2
	s_delay_alu instid0(VALU_DEP_1) | instskip(SKIP_3) | instid1(VALU_DEP_2)
	v_not_b32_e32 v8, v29
	v_lshl_add_u32 v9, v29, 3, v22
	s_mov_b32 s20, 0
	s_mov_b64 s[6:7], s[8:9]
                                        ; implicit-def: $sgpr21
                                        ; implicit-def: $sgpr22
                                        ; implicit-def: $sgpr23
                                        ; implicit-def: $sgpr24
                                        ; implicit-def: $sgpr25
	v_lshl_add_u32 v8, v8, 3, v28
	ds_load_b64 v[10:11], v8
	ds_load_b64 v[30:31], v9
	s_waitcnt lgkmcnt(1)
	v_mul_lo_u32 v32, s4, v11
	v_mul_lo_u32 v33, s5, v10
	v_mad_u64_u32 v[8:9], null, s4, v10, s[10:11]
	s_waitcnt lgkmcnt(0)
	v_mul_lo_u32 v31, s4, v31
	v_mul_lo_u32 v34, s5, v30
	v_mad_u64_u32 v[10:11], null, s4, v30, s[10:11]
	s_delay_alu instid0(VALU_DEP_4) | instskip(NEXT) | instid1(VALU_DEP_2)
	v_add3_u32 v9, v33, v9, v32
	v_add3_u32 v11, v34, v11, v31
	s_set_inst_prefetch_distance 0x1
	s_branch .LBB390_825
	.p2align	6
.LBB390_824:                            ;   in Loop: Header=BB390_825 Depth=3
	s_or_b32 exec_lo, exec_lo, s3
	s_delay_alu instid0(SALU_CYCLE_1) | instskip(NEXT) | instid1(SALU_CYCLE_1)
	s_and_b32 s3, exec_lo, s22
	s_or_b32 s20, s3, s20
	s_and_not1_b32 s3, s25, exec_lo
	s_and_b32 s25, s23, exec_lo
	s_and_not1_b32 s21, s21, exec_lo
	s_and_b32 s26, s24, exec_lo
	s_or_b32 s25, s3, s25
	s_or_b32 s21, s21, s26
	s_and_not1_b32 exec_lo, exec_lo, s20
	s_cbranch_execz .LBB390_820
.LBB390_825:                            ;   Parent Loop BB390_818 Depth=1
                                        ;     Parent Loop BB390_822 Depth=2
                                        ; =>    This Inner Loop Header: Depth=3
	global_load_b32 v30, v[8:9], off
	global_load_b32 v31, v[10:11], off
	s_and_not1_b32 s24, s24, exec_lo
	s_and_not1_b32 s23, s23, exec_lo
	s_or_b32 s22, s22, exec_lo
	s_waitcnt vmcnt(0)
	v_cmp_le_i32_e32 vcc_lo, v30, v31
	v_cmp_lt_i32_e64 s3, v30, v31
	s_and_b32 s26, vcc_lo, s25
	s_delay_alu instid0(VALU_DEP_1) | instid1(SALU_CYCLE_1)
	s_or_b32 s26, s3, s26
	s_delay_alu instid0(SALU_CYCLE_1) | instskip(NEXT) | instid1(SALU_CYCLE_1)
	s_and_b32 s3, s26, exec_lo
	s_or_b32 s24, s24, s3
	s_mov_b32 s3, exec_lo
	v_cmpx_eq_u32_e64 v30, v31
	s_cbranch_execz .LBB390_824
; %bb.826:                              ;   in Loop: Header=BB390_825 Depth=3
	s_add_u32 s6, s6, -1
	s_addc_u32 s7, s7, -1
	v_add_co_u32 v8, vcc_lo, v8, 4
	v_add_co_ci_u32_e32 v9, vcc_lo, 0, v9, vcc_lo
	s_cmp_eq_u64 s[6:7], 0
	v_add_co_u32 v10, vcc_lo, v10, 4
	s_cselect_b32 s25, -1, 0
	v_add_co_ci_u32_e32 v11, vcc_lo, 0, v11, vcc_lo
	s_and_not1_b32 s23, s23, exec_lo
	s_and_b32 s26, s26, exec_lo
	s_and_not1_b32 s22, s22, exec_lo
	s_and_b32 s25, s25, exec_lo
	s_and_not1_b32 s24, s24, exec_lo
	s_or_b32 s23, s23, s26
	s_or_b32 s22, s22, s25
                                        ; implicit-def: $sgpr25
	s_branch .LBB390_824
.LBB390_827:                            ;   in Loop: Header=BB390_818 Depth=1
	s_or_b32 exec_lo, exec_lo, s17
.LBB390_828:                            ;   in Loop: Header=BB390_818 Depth=1
	s_delay_alu instid0(SALU_CYCLE_1) | instskip(SKIP_2) | instid1(VALU_DEP_2)
	s_or_b32 exec_lo, exec_lo, s13
	v_sub_nc_u32_e32 v9, v24, v21
	v_add_nc_u32_e32 v8, v21, v23
	v_add_nc_u32_e32 v9, v9, v19
	s_delay_alu instid0(VALU_DEP_2) | instskip(NEXT) | instid1(VALU_DEP_2)
	v_cmp_le_u32_e32 vcc_lo, v8, v19
	v_cmp_le_u32_e64 s3, v9, v20
	s_delay_alu instid0(VALU_DEP_1) | instskip(NEXT) | instid1(SALU_CYCLE_1)
	s_or_b32 s3, vcc_lo, s3
	s_and_saveexec_b32 s13, s3
	s_cbranch_execz .LBB390_817
; %bb.829:                              ;   in Loop: Header=BB390_818 Depth=1
	v_cmp_ge_u32_e32 vcc_lo, v8, v19
	s_mov_b32 s6, exec_lo
                                        ; implicit-def: $vgpr0_vgpr1
	v_cmpx_lt_u32_e64 v8, v19
	s_cbranch_execz .LBB390_831
; %bb.830:                              ;   in Loop: Header=BB390_818 Depth=1
	v_lshl_add_u32 v0, v21, 3, v22
	ds_load_b64 v[0:1], v0
.LBB390_831:                            ;   in Loop: Header=BB390_818 Depth=1
	s_or_b32 exec_lo, exec_lo, s6
	v_cmp_ge_u32_e64 s17, v9, v20
	s_mov_b32 s6, exec_lo
                                        ; implicit-def: $vgpr2_vgpr3
	v_cmpx_lt_u32_e64 v9, v20
	s_cbranch_execz .LBB390_833
; %bb.832:                              ;   in Loop: Header=BB390_818 Depth=1
	v_lshlrev_b32_e32 v2, 3, v9
	ds_load_b64 v[2:3], v2
.LBB390_833:                            ;   in Loop: Header=BB390_818 Depth=1
	s_or_b32 exec_lo, exec_lo, s6
	s_or_b32 s3, vcc_lo, s17
	s_delay_alu instid0(SALU_CYCLE_1) | instskip(NEXT) | instid1(SALU_CYCLE_1)
	s_xor_b32 s3, s3, -1
	s_and_saveexec_b32 s20, s3
	s_cbranch_execz .LBB390_842
; %bb.834:                              ;   in Loop: Header=BB390_818 Depth=1
	s_and_not1_b32 vcc_lo, exec_lo, s16
	s_cbranch_vccnz .LBB390_840
; %bb.835:                              ;   in Loop: Header=BB390_818 Depth=1
	s_waitcnt lgkmcnt(0)
	v_mad_u64_u32 v[4:5], null, s4, v2, s[10:11]
	v_mul_lo_u32 v10, s4, v3
	v_mul_lo_u32 v11, s5, v2
	v_mad_u64_u32 v[6:7], null, s4, v0, s[10:11]
	v_mul_lo_u32 v21, s4, v1
	v_mul_lo_u32 v22, s5, v0
	s_mov_b32 s21, 0
	s_mov_b64 s[6:7], s[8:9]
                                        ; implicit-def: $sgpr22
                                        ; implicit-def: $sgpr23
                                        ; implicit-def: $sgpr24
                                        ; implicit-def: $sgpr25
                                        ; implicit-def: $sgpr26
	s_delay_alu instid0(VALU_DEP_4) | instskip(NEXT) | instid1(VALU_DEP_2)
	v_add3_u32 v5, v11, v5, v10
	v_add3_u32 v7, v22, v7, v21
	s_set_inst_prefetch_distance 0x1
	s_branch .LBB390_837
	.p2align	6
.LBB390_836:                            ;   in Loop: Header=BB390_837 Depth=2
	s_or_b32 exec_lo, exec_lo, s3
	s_delay_alu instid0(SALU_CYCLE_1) | instskip(NEXT) | instid1(SALU_CYCLE_1)
	s_and_b32 s3, exec_lo, s23
	s_or_b32 s21, s3, s21
	s_and_not1_b32 s3, s26, exec_lo
	s_and_b32 s26, s25, exec_lo
	s_and_not1_b32 s22, s22, exec_lo
	s_and_b32 s27, s24, exec_lo
	s_or_b32 s26, s3, s26
	s_or_b32 s22, s22, s27
	s_and_not1_b32 exec_lo, exec_lo, s21
	s_cbranch_execz .LBB390_839
.LBB390_837:                            ;   Parent Loop BB390_818 Depth=1
                                        ; =>  This Inner Loop Header: Depth=2
	global_load_b32 v10, v[4:5], off
	global_load_b32 v11, v[6:7], off
	s_and_not1_b32 s24, s24, exec_lo
	s_and_not1_b32 s25, s25, exec_lo
	s_or_b32 s23, s23, exec_lo
	s_waitcnt vmcnt(0)
	v_cmp_le_i32_e32 vcc_lo, v10, v11
	v_cmp_lt_i32_e64 s3, v10, v11
	s_and_b32 s27, vcc_lo, s26
	s_delay_alu instid0(VALU_DEP_1) | instid1(SALU_CYCLE_1)
	s_or_b32 s27, s3, s27
	s_delay_alu instid0(SALU_CYCLE_1) | instskip(NEXT) | instid1(SALU_CYCLE_1)
	s_and_b32 s3, s27, exec_lo
	s_or_b32 s24, s24, s3
	s_mov_b32 s3, exec_lo
	v_cmpx_eq_u32_e64 v10, v11
	s_cbranch_execz .LBB390_836
; %bb.838:                              ;   in Loop: Header=BB390_837 Depth=2
	s_add_u32 s6, s6, -1
	s_addc_u32 s7, s7, -1
	v_add_co_u32 v4, vcc_lo, v4, 4
	s_cmp_eq_u64 s[6:7], 0
	v_add_co_ci_u32_e32 v5, vcc_lo, 0, v5, vcc_lo
	s_cselect_b32 s26, -1, 0
	s_and_not1_b32 s25, s25, exec_lo
	s_and_b32 s27, s27, exec_lo
	v_add_co_u32 v6, vcc_lo, v6, 4
	s_and_not1_b32 s23, s23, exec_lo
	s_and_b32 s26, s26, exec_lo
	v_add_co_ci_u32_e32 v7, vcc_lo, 0, v7, vcc_lo
	s_or_b32 s25, s25, s27
	s_and_not1_b32 s24, s24, exec_lo
	s_or_b32 s23, s23, s26
                                        ; implicit-def: $sgpr26
	s_branch .LBB390_836
.LBB390_839:                            ;   in Loop: Header=BB390_818 Depth=1
	s_set_inst_prefetch_distance 0x2
	s_or_b32 exec_lo, exec_lo, s21
	s_xor_b32 s3, s22, -1
	s_branch .LBB390_841
.LBB390_840:                            ;   in Loop: Header=BB390_818 Depth=1
	s_mov_b32 s3, -1
.LBB390_841:                            ;   in Loop: Header=BB390_818 Depth=1
	s_and_not1_b32 s6, s17, exec_lo
	s_and_b32 s3, s3, exec_lo
	s_delay_alu instid0(SALU_CYCLE_1)
	s_or_b32 s17, s6, s3
.LBB390_842:                            ;   in Loop: Header=BB390_818 Depth=1
	s_or_b32 exec_lo, exec_lo, s20
	v_cndmask_b32_e64 v4, v9, v8, s17
	v_cndmask_b32_e64 v5, v20, v19, s17
	s_mov_b32 s20, -1
	s_mov_b32 s21, -1
	s_mov_b32 s22, exec_lo
	v_add_nc_u32_e32 v6, 1, v4
	v_add_nc_u32_e32 v4, -1, v5
	s_delay_alu instid0(VALU_DEP_2) | instskip(NEXT) | instid1(VALU_DEP_2)
	v_cndmask_b32_e64 v9, v6, v9, s17
	v_min_u32_e32 v4, v6, v4
	v_cndmask_b32_e64 v8, v8, v6, s17
	s_delay_alu instid0(VALU_DEP_2)
	v_lshlrev_b32_e32 v4, 3, v4
	ds_load_b64 v[4:5], v4
	s_waitcnt lgkmcnt(0)
	v_cndmask_b32_e64 v21, v5, v3, s17
	v_cndmask_b32_e64 v22, v4, v2, s17
	v_cndmask_b32_e64 v23, v1, v5, s17
	v_cndmask_b32_e64 v24, v0, v4, s17
	v_cmpx_lt_u32_e64 v9, v20
	s_cbranch_execz .LBB390_853
; %bb.843:                              ;   in Loop: Header=BB390_818 Depth=1
	s_mov_b32 s3, 0
	s_mov_b32 s21, exec_lo
	v_cmpx_lt_u32_e64 v8, v19
	s_cbranch_execz .LBB390_852
; %bb.844:                              ;   in Loop: Header=BB390_818 Depth=1
	s_and_not1_b32 vcc_lo, exec_lo, s16
	s_cbranch_vccnz .LBB390_850
; %bb.845:                              ;   in Loop: Header=BB390_818 Depth=1
	v_mad_u64_u32 v[4:5], null, s4, v22, s[10:11]
	v_mul_lo_u32 v10, s4, v21
	v_mul_lo_u32 v11, s5, v22
	v_mad_u64_u32 v[6:7], null, s4, v24, s[10:11]
	v_mul_lo_u32 v25, s4, v23
	v_mul_lo_u32 v28, s5, v24
	s_mov_b32 s23, 0
	s_mov_b64 s[6:7], s[8:9]
                                        ; implicit-def: $sgpr24
                                        ; implicit-def: $sgpr25
                                        ; implicit-def: $sgpr26
                                        ; implicit-def: $sgpr27
                                        ; implicit-def: $sgpr28
	s_delay_alu instid0(VALU_DEP_4) | instskip(NEXT) | instid1(VALU_DEP_2)
	v_add3_u32 v5, v11, v5, v10
	v_add3_u32 v7, v28, v7, v25
	s_set_inst_prefetch_distance 0x1
	s_branch .LBB390_847
	.p2align	6
.LBB390_846:                            ;   in Loop: Header=BB390_847 Depth=2
	s_or_b32 exec_lo, exec_lo, s3
	s_delay_alu instid0(SALU_CYCLE_1) | instskip(NEXT) | instid1(SALU_CYCLE_1)
	s_and_b32 s3, exec_lo, s25
	s_or_b32 s23, s3, s23
	s_and_not1_b32 s3, s28, exec_lo
	s_and_b32 s28, s27, exec_lo
	s_and_not1_b32 s24, s24, exec_lo
	s_and_b32 s29, s26, exec_lo
	s_or_b32 s28, s3, s28
	s_or_b32 s24, s24, s29
	s_and_not1_b32 exec_lo, exec_lo, s23
	s_cbranch_execz .LBB390_849
.LBB390_847:                            ;   Parent Loop BB390_818 Depth=1
                                        ; =>  This Inner Loop Header: Depth=2
	global_load_b32 v10, v[4:5], off
	global_load_b32 v11, v[6:7], off
	s_and_not1_b32 s26, s26, exec_lo
	s_and_not1_b32 s27, s27, exec_lo
	s_or_b32 s25, s25, exec_lo
	s_waitcnt vmcnt(0)
	v_cmp_le_i32_e32 vcc_lo, v10, v11
	v_cmp_lt_i32_e64 s3, v10, v11
	s_and_b32 s29, vcc_lo, s28
	s_delay_alu instid0(VALU_DEP_1) | instid1(SALU_CYCLE_1)
	s_or_b32 s29, s3, s29
	s_delay_alu instid0(SALU_CYCLE_1) | instskip(NEXT) | instid1(SALU_CYCLE_1)
	s_and_b32 s3, s29, exec_lo
	s_or_b32 s26, s26, s3
	s_mov_b32 s3, exec_lo
	v_cmpx_eq_u32_e64 v10, v11
	s_cbranch_execz .LBB390_846
; %bb.848:                              ;   in Loop: Header=BB390_847 Depth=2
	s_add_u32 s6, s6, -1
	s_addc_u32 s7, s7, -1
	v_add_co_u32 v4, vcc_lo, v4, 4
	s_cmp_eq_u64 s[6:7], 0
	v_add_co_ci_u32_e32 v5, vcc_lo, 0, v5, vcc_lo
	v_add_co_u32 v6, vcc_lo, v6, 4
	s_cselect_b32 s28, -1, 0
	v_add_co_ci_u32_e32 v7, vcc_lo, 0, v7, vcc_lo
	s_and_not1_b32 s27, s27, exec_lo
	s_and_b32 s29, s29, exec_lo
	s_and_not1_b32 s25, s25, exec_lo
	s_and_b32 s28, s28, exec_lo
	s_or_b32 s27, s27, s29
	s_and_not1_b32 s26, s26, exec_lo
	s_or_b32 s25, s25, s28
                                        ; implicit-def: $sgpr28
	s_branch .LBB390_846
.LBB390_849:                            ;   in Loop: Header=BB390_818 Depth=1
	s_set_inst_prefetch_distance 0x2
	s_or_b32 exec_lo, exec_lo, s23
	s_xor_b32 s3, s24, -1
	s_branch .LBB390_851
.LBB390_850:                            ;   in Loop: Header=BB390_818 Depth=1
	s_mov_b32 s3, -1
.LBB390_851:                            ;   in Loop: Header=BB390_818 Depth=1
	s_delay_alu instid0(SALU_CYCLE_1)
	s_and_b32 s3, s3, exec_lo
.LBB390_852:                            ;   in Loop: Header=BB390_818 Depth=1
	s_or_b32 exec_lo, exec_lo, s21
	s_delay_alu instid0(SALU_CYCLE_1)
	s_or_not1_b32 s21, s3, exec_lo
.LBB390_853:                            ;   in Loop: Header=BB390_818 Depth=1
	s_or_b32 exec_lo, exec_lo, s22
	v_cndmask_b32_e64 v4, v9, v8, s21
	v_cndmask_b32_e64 v5, v20, v19, s21
	s_mov_b32 s22, exec_lo
	s_delay_alu instid0(VALU_DEP_2) | instskip(NEXT) | instid1(VALU_DEP_2)
	v_add_nc_u32_e32 v6, 1, v4
	v_add_nc_u32_e32 v4, -1, v5
	s_delay_alu instid0(VALU_DEP_2) | instskip(NEXT) | instid1(VALU_DEP_2)
	v_cndmask_b32_e64 v9, v6, v9, s21
	v_min_u32_e32 v4, v6, v4
	v_cndmask_b32_e64 v8, v8, v6, s21
	s_delay_alu instid0(VALU_DEP_2)
	v_lshlrev_b32_e32 v4, 3, v4
	ds_load_b64 v[4:5], v4
	s_waitcnt lgkmcnt(0)
	v_cndmask_b32_e64 v25, v5, v21, s21
	v_cndmask_b32_e64 v28, v4, v22, s21
	;; [unrolled: 1-line block ×4, first 2 shown]
	v_cmpx_lt_u32_e64 v9, v20
	s_cbranch_execz .LBB390_864
; %bb.854:                              ;   in Loop: Header=BB390_818 Depth=1
	s_mov_b32 s3, 0
	s_mov_b32 s20, exec_lo
	v_cmpx_lt_u32_e64 v8, v19
	s_cbranch_execz .LBB390_863
; %bb.855:                              ;   in Loop: Header=BB390_818 Depth=1
	s_and_not1_b32 vcc_lo, exec_lo, s16
	s_cbranch_vccnz .LBB390_861
; %bb.856:                              ;   in Loop: Header=BB390_818 Depth=1
	v_mad_u64_u32 v[4:5], null, s4, v28, s[10:11]
	v_mul_lo_u32 v10, s4, v25
	v_mul_lo_u32 v11, s5, v28
	v_mad_u64_u32 v[6:7], null, s4, v30, s[10:11]
	v_mul_lo_u32 v31, s4, v29
	v_mul_lo_u32 v32, s5, v30
	s_mov_b32 s23, 0
	s_mov_b64 s[6:7], s[8:9]
                                        ; implicit-def: $sgpr24
                                        ; implicit-def: $sgpr25
                                        ; implicit-def: $sgpr26
                                        ; implicit-def: $sgpr27
                                        ; implicit-def: $sgpr28
	s_delay_alu instid0(VALU_DEP_4) | instskip(NEXT) | instid1(VALU_DEP_2)
	v_add3_u32 v5, v11, v5, v10
	v_add3_u32 v7, v32, v7, v31
	s_set_inst_prefetch_distance 0x1
	s_branch .LBB390_858
	.p2align	6
.LBB390_857:                            ;   in Loop: Header=BB390_858 Depth=2
	s_or_b32 exec_lo, exec_lo, s3
	s_delay_alu instid0(SALU_CYCLE_1) | instskip(NEXT) | instid1(SALU_CYCLE_1)
	s_and_b32 s3, exec_lo, s25
	s_or_b32 s23, s3, s23
	s_and_not1_b32 s3, s28, exec_lo
	s_and_b32 s28, s27, exec_lo
	s_and_not1_b32 s24, s24, exec_lo
	s_and_b32 s29, s26, exec_lo
	s_or_b32 s28, s3, s28
	s_or_b32 s24, s24, s29
	s_and_not1_b32 exec_lo, exec_lo, s23
	s_cbranch_execz .LBB390_860
.LBB390_858:                            ;   Parent Loop BB390_818 Depth=1
                                        ; =>  This Inner Loop Header: Depth=2
	global_load_b32 v10, v[4:5], off
	global_load_b32 v11, v[6:7], off
	s_and_not1_b32 s26, s26, exec_lo
	s_and_not1_b32 s27, s27, exec_lo
	s_or_b32 s25, s25, exec_lo
	s_waitcnt vmcnt(0)
	v_cmp_le_i32_e32 vcc_lo, v10, v11
	v_cmp_lt_i32_e64 s3, v10, v11
	s_and_b32 s29, vcc_lo, s28
	s_delay_alu instid0(VALU_DEP_1) | instid1(SALU_CYCLE_1)
	s_or_b32 s29, s3, s29
	s_delay_alu instid0(SALU_CYCLE_1) | instskip(NEXT) | instid1(SALU_CYCLE_1)
	s_and_b32 s3, s29, exec_lo
	s_or_b32 s26, s26, s3
	s_mov_b32 s3, exec_lo
	v_cmpx_eq_u32_e64 v10, v11
	s_cbranch_execz .LBB390_857
; %bb.859:                              ;   in Loop: Header=BB390_858 Depth=2
	s_add_u32 s6, s6, -1
	s_addc_u32 s7, s7, -1
	v_add_co_u32 v4, vcc_lo, v4, 4
	s_cmp_eq_u64 s[6:7], 0
	v_add_co_ci_u32_e32 v5, vcc_lo, 0, v5, vcc_lo
	v_add_co_u32 v6, vcc_lo, v6, 4
	s_cselect_b32 s28, -1, 0
	v_add_co_ci_u32_e32 v7, vcc_lo, 0, v7, vcc_lo
	s_and_not1_b32 s27, s27, exec_lo
	s_and_b32 s29, s29, exec_lo
	s_and_not1_b32 s25, s25, exec_lo
	s_and_b32 s28, s28, exec_lo
	s_or_b32 s27, s27, s29
	s_and_not1_b32 s26, s26, exec_lo
	s_or_b32 s25, s25, s28
                                        ; implicit-def: $sgpr28
	s_branch .LBB390_857
.LBB390_860:                            ;   in Loop: Header=BB390_818 Depth=1
	s_set_inst_prefetch_distance 0x2
	s_or_b32 exec_lo, exec_lo, s23
	s_xor_b32 s3, s24, -1
	s_branch .LBB390_862
.LBB390_861:                            ;   in Loop: Header=BB390_818 Depth=1
	s_mov_b32 s3, -1
.LBB390_862:                            ;   in Loop: Header=BB390_818 Depth=1
	s_delay_alu instid0(SALU_CYCLE_1)
	s_and_b32 s3, s3, exec_lo
.LBB390_863:                            ;   in Loop: Header=BB390_818 Depth=1
	s_or_b32 exec_lo, exec_lo, s20
	s_delay_alu instid0(SALU_CYCLE_1)
	s_or_not1_b32 s20, s3, exec_lo
.LBB390_864:                            ;   in Loop: Header=BB390_818 Depth=1
	s_or_b32 exec_lo, exec_lo, s22
	v_cndmask_b32_e64 v4, v9, v8, s20
	v_cndmask_b32_e64 v5, v20, v19, s20
	s_mov_b32 s22, exec_lo
	s_delay_alu instid0(VALU_DEP_2) | instskip(NEXT) | instid1(VALU_DEP_2)
	v_add_nc_u32_e32 v10, 1, v4
	v_add_nc_u32_e32 v4, -1, v5
	s_delay_alu instid0(VALU_DEP_2) | instskip(NEXT) | instid1(VALU_DEP_2)
	v_cndmask_b32_e64 v9, v10, v9, s20
	v_min_u32_e32 v4, v10, v4
	s_delay_alu instid0(VALU_DEP_1)
	v_lshlrev_b32_e32 v4, 3, v4
	ds_load_b64 v[4:5], v4
	s_waitcnt lgkmcnt(0)
	v_cndmask_b32_e64 v7, v29, v5, s20
	v_cndmask_b32_e64 v6, v30, v4, s20
	v_cmpx_lt_u32_e64 v9, v20
	s_cbranch_execz .LBB390_816
; %bb.865:                              ;   in Loop: Header=BB390_818 Depth=1
	v_cndmask_b32_e64 v8, v8, v10, s20
	v_cndmask_b32_e64 v5, v5, v25, s20
	;; [unrolled: 1-line block ×3, first 2 shown]
	s_mov_b32 s23, exec_lo
	s_delay_alu instid0(VALU_DEP_3)
	v_cmpx_lt_u32_e64 v8, v19
	s_cbranch_execz .LBB390_815
; %bb.866:                              ;   in Loop: Header=BB390_818 Depth=1
	s_and_not1_b32 vcc_lo, exec_lo, s16
	s_cbranch_vccnz .LBB390_814
; %bb.867:                              ;   in Loop: Header=BB390_818 Depth=1
	v_mad_u64_u32 v[8:9], null, s4, v4, s[10:11]
	v_mul_lo_u32 v19, s4, v5
	v_mul_lo_u32 v20, s5, v4
	v_mad_u64_u32 v[10:11], null, s4, v6, s[10:11]
	v_mul_lo_u32 v31, s4, v7
	v_mul_lo_u32 v32, s5, v6
	s_mov_b32 s24, 0
	s_mov_b64 s[6:7], s[8:9]
                                        ; implicit-def: $sgpr25
                                        ; implicit-def: $sgpr26
                                        ; implicit-def: $sgpr27
                                        ; implicit-def: $sgpr28
                                        ; implicit-def: $sgpr29
	s_delay_alu instid0(VALU_DEP_4) | instskip(NEXT) | instid1(VALU_DEP_2)
	v_add3_u32 v9, v20, v9, v19
	v_add3_u32 v11, v32, v11, v31
	s_set_inst_prefetch_distance 0x1
	s_branch .LBB390_869
	.p2align	6
.LBB390_868:                            ;   in Loop: Header=BB390_869 Depth=2
	s_or_b32 exec_lo, exec_lo, s3
	s_delay_alu instid0(SALU_CYCLE_1) | instskip(NEXT) | instid1(SALU_CYCLE_1)
	s_and_b32 s3, exec_lo, s26
	s_or_b32 s24, s3, s24
	s_and_not1_b32 s3, s29, exec_lo
	s_and_b32 s29, s28, exec_lo
	s_and_not1_b32 s25, s25, exec_lo
	s_and_b32 s30, s27, exec_lo
	s_or_b32 s29, s3, s29
	s_or_b32 s25, s25, s30
	s_and_not1_b32 exec_lo, exec_lo, s24
	s_cbranch_execz .LBB390_813
.LBB390_869:                            ;   Parent Loop BB390_818 Depth=1
                                        ; =>  This Inner Loop Header: Depth=2
	global_load_b32 v19, v[8:9], off
	global_load_b32 v20, v[10:11], off
	s_and_not1_b32 s27, s27, exec_lo
	s_and_not1_b32 s28, s28, exec_lo
	s_or_b32 s26, s26, exec_lo
	s_waitcnt vmcnt(0)
	v_cmp_le_i32_e32 vcc_lo, v19, v20
	v_cmp_lt_i32_e64 s3, v19, v20
	s_and_b32 s30, vcc_lo, s29
	s_delay_alu instid0(VALU_DEP_1) | instid1(SALU_CYCLE_1)
	s_or_b32 s30, s3, s30
	s_delay_alu instid0(SALU_CYCLE_1) | instskip(NEXT) | instid1(SALU_CYCLE_1)
	s_and_b32 s3, s30, exec_lo
	s_or_b32 s27, s27, s3
	s_mov_b32 s3, exec_lo
	v_cmpx_eq_u32_e64 v19, v20
	s_cbranch_execz .LBB390_868
; %bb.870:                              ;   in Loop: Header=BB390_869 Depth=2
	s_add_u32 s6, s6, -1
	s_addc_u32 s7, s7, -1
	v_add_co_u32 v8, vcc_lo, v8, 4
	s_cmp_eq_u64 s[6:7], 0
	v_add_co_ci_u32_e32 v9, vcc_lo, 0, v9, vcc_lo
	v_add_co_u32 v10, vcc_lo, v10, 4
	s_cselect_b32 s29, -1, 0
	v_add_co_ci_u32_e32 v11, vcc_lo, 0, v11, vcc_lo
	s_and_not1_b32 s28, s28, exec_lo
	s_and_b32 s30, s30, exec_lo
	s_and_not1_b32 s26, s26, exec_lo
	s_and_b32 s29, s29, exec_lo
	s_or_b32 s28, s28, s30
	s_and_not1_b32 s27, s27, exec_lo
	s_or_b32 s26, s26, s29
                                        ; implicit-def: $sgpr29
	s_branch .LBB390_868
.LBB390_871:
	s_barrier
	buffer_gl0_inv
	ds_store_2addr_b64 v17, v[0:1], v[2:3] offset1:1
	ds_store_2addr_b64 v17, v[4:5], v[6:7] offset0:2 offset1:3
	s_waitcnt lgkmcnt(0)
	s_barrier
	buffer_gl0_inv
	ds_load_b64 v[6:7], v13 offset:2048
	ds_load_b64 v[2:3], v15 offset:4096
	;; [unrolled: 1-line block ×3, first 2 shown]
	v_add_co_u32 v4, s3, s14, v26
	v_mov_b32_e32 v13, 0
	v_add_co_ci_u32_e64 v5, null, s15, 0, s3
	s_and_saveexec_b32 s3, s0
	s_cbranch_execnz .LBB390_879
; %bb.872:
	s_or_b32 exec_lo, exec_lo, s3
	s_and_saveexec_b32 s0, s1
	s_cbranch_execnz .LBB390_880
.LBB390_873:
	s_or_b32 exec_lo, exec_lo, s0
	s_and_saveexec_b32 s0, s2
	s_cbranch_execz .LBB390_875
.LBB390_874:
	v_add_co_u32 v4, vcc_lo, 0x1000, v4
	v_add_co_ci_u32_e32 v5, vcc_lo, 0, v5, vcc_lo
	s_waitcnt lgkmcnt(1)
	global_store_b64 v[4:5], v[2:3], off
.LBB390_875:
	s_or_b32 exec_lo, exec_lo, s0
.LBB390_876:
	s_and_saveexec_b32 s0, s19
	s_cbranch_execz .LBB390_878
; %bb.877:
	s_waitcnt lgkmcnt(1)
	v_lshlrev_b64 v[2:3], 3, v[12:13]
	s_delay_alu instid0(VALU_DEP_1) | instskip(NEXT) | instid1(VALU_DEP_2)
	v_add_co_u32 v2, vcc_lo, s14, v2
	v_add_co_ci_u32_e32 v3, vcc_lo, s15, v3, vcc_lo
	s_delay_alu instid0(VALU_DEP_2) | instskip(NEXT) | instid1(VALU_DEP_2)
	v_add_co_u32 v2, vcc_lo, 0x1000, v2
	v_add_co_ci_u32_e32 v3, vcc_lo, 0, v3, vcc_lo
	s_waitcnt lgkmcnt(0)
	global_store_b64 v[2:3], v[0:1], off offset:2048
.LBB390_878:
	s_nop 0
	s_sendmsg sendmsg(MSG_DEALLOC_VGPRS)
	s_endpgm
.LBB390_879:
	ds_load_b64 v[8:9], v14
	s_waitcnt lgkmcnt(0)
	global_store_b64 v[4:5], v[8:9], off
	s_or_b32 exec_lo, exec_lo, s3
	s_and_saveexec_b32 s0, s1
	s_cbranch_execz .LBB390_873
.LBB390_880:
	s_waitcnt lgkmcnt(2)
	global_store_b64 v[4:5], v[6:7], off offset:2048
	s_or_b32 exec_lo, exec_lo, s0
	s_and_saveexec_b32 s0, s2
	s_cbranch_execnz .LBB390_874
	s_branch .LBB390_875
	.section	.rodata,"a",@progbits
	.p2align	6, 0x0
	.amdhsa_kernel _ZN7rocprim17ROCPRIM_400000_NS6detail17trampoline_kernelINS0_14default_configENS1_37merge_sort_block_sort_config_selectorIlNS0_10empty_typeEEEZNS1_21merge_sort_block_sortIS3_PlS8_PS5_S9_ZN2at6native12_GLOBAL__N_124unique_dim_cuda_templateIiEESt5tupleIJNSA_6TensorESF_SF_EERKSF_lbbbEUlllE_EE10hipError_tT0_T1_T2_T3_mRjT4_P12ihipStream_tbNS1_7vsmem_tEEUlT_E_NS1_11comp_targetILNS1_3genE9ELNS1_11target_archE1100ELNS1_3gpuE3ELNS1_3repE0EEENS1_30default_config_static_selectorELNS0_4arch9wavefront6targetE0EEEvSM_
		.amdhsa_group_segment_fixed_size 8448
		.amdhsa_private_segment_fixed_size 0
		.amdhsa_kernarg_size 328
		.amdhsa_user_sgpr_count 13
		.amdhsa_user_sgpr_dispatch_ptr 0
		.amdhsa_user_sgpr_queue_ptr 0
		.amdhsa_user_sgpr_kernarg_segment_ptr 1
		.amdhsa_user_sgpr_dispatch_id 0
		.amdhsa_user_sgpr_private_segment_size 0
		.amdhsa_wavefront_size32 1
		.amdhsa_uses_dynamic_stack 0
		.amdhsa_enable_private_segment 0
		.amdhsa_system_sgpr_workgroup_id_x 1
		.amdhsa_system_sgpr_workgroup_id_y 1
		.amdhsa_system_sgpr_workgroup_id_z 1
		.amdhsa_system_sgpr_workgroup_info 0
		.amdhsa_system_vgpr_workitem_id 2
		.amdhsa_next_free_vgpr 49
		.amdhsa_next_free_sgpr 32
		.amdhsa_reserve_vcc 1
		.amdhsa_float_round_mode_32 0
		.amdhsa_float_round_mode_16_64 0
		.amdhsa_float_denorm_mode_32 3
		.amdhsa_float_denorm_mode_16_64 3
		.amdhsa_dx10_clamp 1
		.amdhsa_ieee_mode 1
		.amdhsa_fp16_overflow 0
		.amdhsa_workgroup_processor_mode 1
		.amdhsa_memory_ordered 1
		.amdhsa_forward_progress 0
		.amdhsa_shared_vgpr_count 0
		.amdhsa_exception_fp_ieee_invalid_op 0
		.amdhsa_exception_fp_denorm_src 0
		.amdhsa_exception_fp_ieee_div_zero 0
		.amdhsa_exception_fp_ieee_overflow 0
		.amdhsa_exception_fp_ieee_underflow 0
		.amdhsa_exception_fp_ieee_inexact 0
		.amdhsa_exception_int_div_zero 0
	.end_amdhsa_kernel
	.section	.text._ZN7rocprim17ROCPRIM_400000_NS6detail17trampoline_kernelINS0_14default_configENS1_37merge_sort_block_sort_config_selectorIlNS0_10empty_typeEEEZNS1_21merge_sort_block_sortIS3_PlS8_PS5_S9_ZN2at6native12_GLOBAL__N_124unique_dim_cuda_templateIiEESt5tupleIJNSA_6TensorESF_SF_EERKSF_lbbbEUlllE_EE10hipError_tT0_T1_T2_T3_mRjT4_P12ihipStream_tbNS1_7vsmem_tEEUlT_E_NS1_11comp_targetILNS1_3genE9ELNS1_11target_archE1100ELNS1_3gpuE3ELNS1_3repE0EEENS1_30default_config_static_selectorELNS0_4arch9wavefront6targetE0EEEvSM_,"axG",@progbits,_ZN7rocprim17ROCPRIM_400000_NS6detail17trampoline_kernelINS0_14default_configENS1_37merge_sort_block_sort_config_selectorIlNS0_10empty_typeEEEZNS1_21merge_sort_block_sortIS3_PlS8_PS5_S9_ZN2at6native12_GLOBAL__N_124unique_dim_cuda_templateIiEESt5tupleIJNSA_6TensorESF_SF_EERKSF_lbbbEUlllE_EE10hipError_tT0_T1_T2_T3_mRjT4_P12ihipStream_tbNS1_7vsmem_tEEUlT_E_NS1_11comp_targetILNS1_3genE9ELNS1_11target_archE1100ELNS1_3gpuE3ELNS1_3repE0EEENS1_30default_config_static_selectorELNS0_4arch9wavefront6targetE0EEEvSM_,comdat
.Lfunc_end390:
	.size	_ZN7rocprim17ROCPRIM_400000_NS6detail17trampoline_kernelINS0_14default_configENS1_37merge_sort_block_sort_config_selectorIlNS0_10empty_typeEEEZNS1_21merge_sort_block_sortIS3_PlS8_PS5_S9_ZN2at6native12_GLOBAL__N_124unique_dim_cuda_templateIiEESt5tupleIJNSA_6TensorESF_SF_EERKSF_lbbbEUlllE_EE10hipError_tT0_T1_T2_T3_mRjT4_P12ihipStream_tbNS1_7vsmem_tEEUlT_E_NS1_11comp_targetILNS1_3genE9ELNS1_11target_archE1100ELNS1_3gpuE3ELNS1_3repE0EEENS1_30default_config_static_selectorELNS0_4arch9wavefront6targetE0EEEvSM_, .Lfunc_end390-_ZN7rocprim17ROCPRIM_400000_NS6detail17trampoline_kernelINS0_14default_configENS1_37merge_sort_block_sort_config_selectorIlNS0_10empty_typeEEEZNS1_21merge_sort_block_sortIS3_PlS8_PS5_S9_ZN2at6native12_GLOBAL__N_124unique_dim_cuda_templateIiEESt5tupleIJNSA_6TensorESF_SF_EERKSF_lbbbEUlllE_EE10hipError_tT0_T1_T2_T3_mRjT4_P12ihipStream_tbNS1_7vsmem_tEEUlT_E_NS1_11comp_targetILNS1_3genE9ELNS1_11target_archE1100ELNS1_3gpuE3ELNS1_3repE0EEENS1_30default_config_static_selectorELNS0_4arch9wavefront6targetE0EEEvSM_
                                        ; -- End function
	.section	.AMDGPU.csdata,"",@progbits
; Kernel info:
; codeLenInByte = 42940
; NumSgprs: 34
; NumVgprs: 49
; ScratchSize: 0
; MemoryBound: 0
; FloatMode: 240
; IeeeMode: 1
; LDSByteSize: 8448 bytes/workgroup (compile time only)
; SGPRBlocks: 4
; VGPRBlocks: 6
; NumSGPRsForWavesPerEU: 34
; NumVGPRsForWavesPerEU: 49
; Occupancy: 16
; WaveLimiterHint : 1
; COMPUTE_PGM_RSRC2:SCRATCH_EN: 0
; COMPUTE_PGM_RSRC2:USER_SGPR: 13
; COMPUTE_PGM_RSRC2:TRAP_HANDLER: 0
; COMPUTE_PGM_RSRC2:TGID_X_EN: 1
; COMPUTE_PGM_RSRC2:TGID_Y_EN: 1
; COMPUTE_PGM_RSRC2:TGID_Z_EN: 1
; COMPUTE_PGM_RSRC2:TIDIG_COMP_CNT: 2
	.section	.text._ZN7rocprim17ROCPRIM_400000_NS6detail17trampoline_kernelINS0_14default_configENS1_37merge_sort_block_sort_config_selectorIlNS0_10empty_typeEEEZNS1_21merge_sort_block_sortIS3_PlS8_PS5_S9_ZN2at6native12_GLOBAL__N_124unique_dim_cuda_templateIiEESt5tupleIJNSA_6TensorESF_SF_EERKSF_lbbbEUlllE_EE10hipError_tT0_T1_T2_T3_mRjT4_P12ihipStream_tbNS1_7vsmem_tEEUlT_E_NS1_11comp_targetILNS1_3genE8ELNS1_11target_archE1030ELNS1_3gpuE2ELNS1_3repE0EEENS1_30default_config_static_selectorELNS0_4arch9wavefront6targetE0EEEvSM_,"axG",@progbits,_ZN7rocprim17ROCPRIM_400000_NS6detail17trampoline_kernelINS0_14default_configENS1_37merge_sort_block_sort_config_selectorIlNS0_10empty_typeEEEZNS1_21merge_sort_block_sortIS3_PlS8_PS5_S9_ZN2at6native12_GLOBAL__N_124unique_dim_cuda_templateIiEESt5tupleIJNSA_6TensorESF_SF_EERKSF_lbbbEUlllE_EE10hipError_tT0_T1_T2_T3_mRjT4_P12ihipStream_tbNS1_7vsmem_tEEUlT_E_NS1_11comp_targetILNS1_3genE8ELNS1_11target_archE1030ELNS1_3gpuE2ELNS1_3repE0EEENS1_30default_config_static_selectorELNS0_4arch9wavefront6targetE0EEEvSM_,comdat
	.globl	_ZN7rocprim17ROCPRIM_400000_NS6detail17trampoline_kernelINS0_14default_configENS1_37merge_sort_block_sort_config_selectorIlNS0_10empty_typeEEEZNS1_21merge_sort_block_sortIS3_PlS8_PS5_S9_ZN2at6native12_GLOBAL__N_124unique_dim_cuda_templateIiEESt5tupleIJNSA_6TensorESF_SF_EERKSF_lbbbEUlllE_EE10hipError_tT0_T1_T2_T3_mRjT4_P12ihipStream_tbNS1_7vsmem_tEEUlT_E_NS1_11comp_targetILNS1_3genE8ELNS1_11target_archE1030ELNS1_3gpuE2ELNS1_3repE0EEENS1_30default_config_static_selectorELNS0_4arch9wavefront6targetE0EEEvSM_ ; -- Begin function _ZN7rocprim17ROCPRIM_400000_NS6detail17trampoline_kernelINS0_14default_configENS1_37merge_sort_block_sort_config_selectorIlNS0_10empty_typeEEEZNS1_21merge_sort_block_sortIS3_PlS8_PS5_S9_ZN2at6native12_GLOBAL__N_124unique_dim_cuda_templateIiEESt5tupleIJNSA_6TensorESF_SF_EERKSF_lbbbEUlllE_EE10hipError_tT0_T1_T2_T3_mRjT4_P12ihipStream_tbNS1_7vsmem_tEEUlT_E_NS1_11comp_targetILNS1_3genE8ELNS1_11target_archE1030ELNS1_3gpuE2ELNS1_3repE0EEENS1_30default_config_static_selectorELNS0_4arch9wavefront6targetE0EEEvSM_
	.p2align	8
	.type	_ZN7rocprim17ROCPRIM_400000_NS6detail17trampoline_kernelINS0_14default_configENS1_37merge_sort_block_sort_config_selectorIlNS0_10empty_typeEEEZNS1_21merge_sort_block_sortIS3_PlS8_PS5_S9_ZN2at6native12_GLOBAL__N_124unique_dim_cuda_templateIiEESt5tupleIJNSA_6TensorESF_SF_EERKSF_lbbbEUlllE_EE10hipError_tT0_T1_T2_T3_mRjT4_P12ihipStream_tbNS1_7vsmem_tEEUlT_E_NS1_11comp_targetILNS1_3genE8ELNS1_11target_archE1030ELNS1_3gpuE2ELNS1_3repE0EEENS1_30default_config_static_selectorELNS0_4arch9wavefront6targetE0EEEvSM_,@function
_ZN7rocprim17ROCPRIM_400000_NS6detail17trampoline_kernelINS0_14default_configENS1_37merge_sort_block_sort_config_selectorIlNS0_10empty_typeEEEZNS1_21merge_sort_block_sortIS3_PlS8_PS5_S9_ZN2at6native12_GLOBAL__N_124unique_dim_cuda_templateIiEESt5tupleIJNSA_6TensorESF_SF_EERKSF_lbbbEUlllE_EE10hipError_tT0_T1_T2_T3_mRjT4_P12ihipStream_tbNS1_7vsmem_tEEUlT_E_NS1_11comp_targetILNS1_3genE8ELNS1_11target_archE1030ELNS1_3gpuE2ELNS1_3repE0EEENS1_30default_config_static_selectorELNS0_4arch9wavefront6targetE0EEEvSM_: ; @_ZN7rocprim17ROCPRIM_400000_NS6detail17trampoline_kernelINS0_14default_configENS1_37merge_sort_block_sort_config_selectorIlNS0_10empty_typeEEEZNS1_21merge_sort_block_sortIS3_PlS8_PS5_S9_ZN2at6native12_GLOBAL__N_124unique_dim_cuda_templateIiEESt5tupleIJNSA_6TensorESF_SF_EERKSF_lbbbEUlllE_EE10hipError_tT0_T1_T2_T3_mRjT4_P12ihipStream_tbNS1_7vsmem_tEEUlT_E_NS1_11comp_targetILNS1_3genE8ELNS1_11target_archE1030ELNS1_3gpuE2ELNS1_3repE0EEENS1_30default_config_static_selectorELNS0_4arch9wavefront6targetE0EEEvSM_
; %bb.0:
	.section	.rodata,"a",@progbits
	.p2align	6, 0x0
	.amdhsa_kernel _ZN7rocprim17ROCPRIM_400000_NS6detail17trampoline_kernelINS0_14default_configENS1_37merge_sort_block_sort_config_selectorIlNS0_10empty_typeEEEZNS1_21merge_sort_block_sortIS3_PlS8_PS5_S9_ZN2at6native12_GLOBAL__N_124unique_dim_cuda_templateIiEESt5tupleIJNSA_6TensorESF_SF_EERKSF_lbbbEUlllE_EE10hipError_tT0_T1_T2_T3_mRjT4_P12ihipStream_tbNS1_7vsmem_tEEUlT_E_NS1_11comp_targetILNS1_3genE8ELNS1_11target_archE1030ELNS1_3gpuE2ELNS1_3repE0EEENS1_30default_config_static_selectorELNS0_4arch9wavefront6targetE0EEEvSM_
		.amdhsa_group_segment_fixed_size 0
		.amdhsa_private_segment_fixed_size 0
		.amdhsa_kernarg_size 72
		.amdhsa_user_sgpr_count 15
		.amdhsa_user_sgpr_dispatch_ptr 0
		.amdhsa_user_sgpr_queue_ptr 0
		.amdhsa_user_sgpr_kernarg_segment_ptr 1
		.amdhsa_user_sgpr_dispatch_id 0
		.amdhsa_user_sgpr_private_segment_size 0
		.amdhsa_wavefront_size32 1
		.amdhsa_uses_dynamic_stack 0
		.amdhsa_enable_private_segment 0
		.amdhsa_system_sgpr_workgroup_id_x 1
		.amdhsa_system_sgpr_workgroup_id_y 0
		.amdhsa_system_sgpr_workgroup_id_z 0
		.amdhsa_system_sgpr_workgroup_info 0
		.amdhsa_system_vgpr_workitem_id 0
		.amdhsa_next_free_vgpr 1
		.amdhsa_next_free_sgpr 1
		.amdhsa_reserve_vcc 0
		.amdhsa_float_round_mode_32 0
		.amdhsa_float_round_mode_16_64 0
		.amdhsa_float_denorm_mode_32 3
		.amdhsa_float_denorm_mode_16_64 3
		.amdhsa_dx10_clamp 1
		.amdhsa_ieee_mode 1
		.amdhsa_fp16_overflow 0
		.amdhsa_workgroup_processor_mode 1
		.amdhsa_memory_ordered 1
		.amdhsa_forward_progress 0
		.amdhsa_shared_vgpr_count 0
		.amdhsa_exception_fp_ieee_invalid_op 0
		.amdhsa_exception_fp_denorm_src 0
		.amdhsa_exception_fp_ieee_div_zero 0
		.amdhsa_exception_fp_ieee_overflow 0
		.amdhsa_exception_fp_ieee_underflow 0
		.amdhsa_exception_fp_ieee_inexact 0
		.amdhsa_exception_int_div_zero 0
	.end_amdhsa_kernel
	.section	.text._ZN7rocprim17ROCPRIM_400000_NS6detail17trampoline_kernelINS0_14default_configENS1_37merge_sort_block_sort_config_selectorIlNS0_10empty_typeEEEZNS1_21merge_sort_block_sortIS3_PlS8_PS5_S9_ZN2at6native12_GLOBAL__N_124unique_dim_cuda_templateIiEESt5tupleIJNSA_6TensorESF_SF_EERKSF_lbbbEUlllE_EE10hipError_tT0_T1_T2_T3_mRjT4_P12ihipStream_tbNS1_7vsmem_tEEUlT_E_NS1_11comp_targetILNS1_3genE8ELNS1_11target_archE1030ELNS1_3gpuE2ELNS1_3repE0EEENS1_30default_config_static_selectorELNS0_4arch9wavefront6targetE0EEEvSM_,"axG",@progbits,_ZN7rocprim17ROCPRIM_400000_NS6detail17trampoline_kernelINS0_14default_configENS1_37merge_sort_block_sort_config_selectorIlNS0_10empty_typeEEEZNS1_21merge_sort_block_sortIS3_PlS8_PS5_S9_ZN2at6native12_GLOBAL__N_124unique_dim_cuda_templateIiEESt5tupleIJNSA_6TensorESF_SF_EERKSF_lbbbEUlllE_EE10hipError_tT0_T1_T2_T3_mRjT4_P12ihipStream_tbNS1_7vsmem_tEEUlT_E_NS1_11comp_targetILNS1_3genE8ELNS1_11target_archE1030ELNS1_3gpuE2ELNS1_3repE0EEENS1_30default_config_static_selectorELNS0_4arch9wavefront6targetE0EEEvSM_,comdat
.Lfunc_end391:
	.size	_ZN7rocprim17ROCPRIM_400000_NS6detail17trampoline_kernelINS0_14default_configENS1_37merge_sort_block_sort_config_selectorIlNS0_10empty_typeEEEZNS1_21merge_sort_block_sortIS3_PlS8_PS5_S9_ZN2at6native12_GLOBAL__N_124unique_dim_cuda_templateIiEESt5tupleIJNSA_6TensorESF_SF_EERKSF_lbbbEUlllE_EE10hipError_tT0_T1_T2_T3_mRjT4_P12ihipStream_tbNS1_7vsmem_tEEUlT_E_NS1_11comp_targetILNS1_3genE8ELNS1_11target_archE1030ELNS1_3gpuE2ELNS1_3repE0EEENS1_30default_config_static_selectorELNS0_4arch9wavefront6targetE0EEEvSM_, .Lfunc_end391-_ZN7rocprim17ROCPRIM_400000_NS6detail17trampoline_kernelINS0_14default_configENS1_37merge_sort_block_sort_config_selectorIlNS0_10empty_typeEEEZNS1_21merge_sort_block_sortIS3_PlS8_PS5_S9_ZN2at6native12_GLOBAL__N_124unique_dim_cuda_templateIiEESt5tupleIJNSA_6TensorESF_SF_EERKSF_lbbbEUlllE_EE10hipError_tT0_T1_T2_T3_mRjT4_P12ihipStream_tbNS1_7vsmem_tEEUlT_E_NS1_11comp_targetILNS1_3genE8ELNS1_11target_archE1030ELNS1_3gpuE2ELNS1_3repE0EEENS1_30default_config_static_selectorELNS0_4arch9wavefront6targetE0EEEvSM_
                                        ; -- End function
	.section	.AMDGPU.csdata,"",@progbits
; Kernel info:
; codeLenInByte = 0
; NumSgprs: 0
; NumVgprs: 0
; ScratchSize: 0
; MemoryBound: 0
; FloatMode: 240
; IeeeMode: 1
; LDSByteSize: 0 bytes/workgroup (compile time only)
; SGPRBlocks: 0
; VGPRBlocks: 0
; NumSGPRsForWavesPerEU: 1
; NumVGPRsForWavesPerEU: 1
; Occupancy: 16
; WaveLimiterHint : 0
; COMPUTE_PGM_RSRC2:SCRATCH_EN: 0
; COMPUTE_PGM_RSRC2:USER_SGPR: 15
; COMPUTE_PGM_RSRC2:TRAP_HANDLER: 0
; COMPUTE_PGM_RSRC2:TGID_X_EN: 1
; COMPUTE_PGM_RSRC2:TGID_Y_EN: 0
; COMPUTE_PGM_RSRC2:TGID_Z_EN: 0
; COMPUTE_PGM_RSRC2:TIDIG_COMP_CNT: 0
	.section	.text._ZN7rocprim17ROCPRIM_400000_NS6detail17trampoline_kernelINS0_14default_configENS1_38merge_sort_block_merge_config_selectorIlNS0_10empty_typeEEEZZNS1_27merge_sort_block_merge_implIS3_PlPS5_mZN2at6native12_GLOBAL__N_124unique_dim_cuda_templateIiEESt5tupleIJNSA_6TensorESF_SF_EERKSF_lbbbEUlllE_EE10hipError_tT0_T1_T2_jT3_P12ihipStream_tbPNSt15iterator_traitsISL_E10value_typeEPNSR_ISM_E10value_typeEPSN_NS1_7vsmem_tEENKUlT_SL_SM_SN_E_clIS8_S8_S9_S9_EESK_S10_SL_SM_SN_EUlS10_E_NS1_11comp_targetILNS1_3genE0ELNS1_11target_archE4294967295ELNS1_3gpuE0ELNS1_3repE0EEENS1_48merge_mergepath_partition_config_static_selectorELNS0_4arch9wavefront6targetE0EEEvSM_,"axG",@progbits,_ZN7rocprim17ROCPRIM_400000_NS6detail17trampoline_kernelINS0_14default_configENS1_38merge_sort_block_merge_config_selectorIlNS0_10empty_typeEEEZZNS1_27merge_sort_block_merge_implIS3_PlPS5_mZN2at6native12_GLOBAL__N_124unique_dim_cuda_templateIiEESt5tupleIJNSA_6TensorESF_SF_EERKSF_lbbbEUlllE_EE10hipError_tT0_T1_T2_jT3_P12ihipStream_tbPNSt15iterator_traitsISL_E10value_typeEPNSR_ISM_E10value_typeEPSN_NS1_7vsmem_tEENKUlT_SL_SM_SN_E_clIS8_S8_S9_S9_EESK_S10_SL_SM_SN_EUlS10_E_NS1_11comp_targetILNS1_3genE0ELNS1_11target_archE4294967295ELNS1_3gpuE0ELNS1_3repE0EEENS1_48merge_mergepath_partition_config_static_selectorELNS0_4arch9wavefront6targetE0EEEvSM_,comdat
	.globl	_ZN7rocprim17ROCPRIM_400000_NS6detail17trampoline_kernelINS0_14default_configENS1_38merge_sort_block_merge_config_selectorIlNS0_10empty_typeEEEZZNS1_27merge_sort_block_merge_implIS3_PlPS5_mZN2at6native12_GLOBAL__N_124unique_dim_cuda_templateIiEESt5tupleIJNSA_6TensorESF_SF_EERKSF_lbbbEUlllE_EE10hipError_tT0_T1_T2_jT3_P12ihipStream_tbPNSt15iterator_traitsISL_E10value_typeEPNSR_ISM_E10value_typeEPSN_NS1_7vsmem_tEENKUlT_SL_SM_SN_E_clIS8_S8_S9_S9_EESK_S10_SL_SM_SN_EUlS10_E_NS1_11comp_targetILNS1_3genE0ELNS1_11target_archE4294967295ELNS1_3gpuE0ELNS1_3repE0EEENS1_48merge_mergepath_partition_config_static_selectorELNS0_4arch9wavefront6targetE0EEEvSM_ ; -- Begin function _ZN7rocprim17ROCPRIM_400000_NS6detail17trampoline_kernelINS0_14default_configENS1_38merge_sort_block_merge_config_selectorIlNS0_10empty_typeEEEZZNS1_27merge_sort_block_merge_implIS3_PlPS5_mZN2at6native12_GLOBAL__N_124unique_dim_cuda_templateIiEESt5tupleIJNSA_6TensorESF_SF_EERKSF_lbbbEUlllE_EE10hipError_tT0_T1_T2_jT3_P12ihipStream_tbPNSt15iterator_traitsISL_E10value_typeEPNSR_ISM_E10value_typeEPSN_NS1_7vsmem_tEENKUlT_SL_SM_SN_E_clIS8_S8_S9_S9_EESK_S10_SL_SM_SN_EUlS10_E_NS1_11comp_targetILNS1_3genE0ELNS1_11target_archE4294967295ELNS1_3gpuE0ELNS1_3repE0EEENS1_48merge_mergepath_partition_config_static_selectorELNS0_4arch9wavefront6targetE0EEEvSM_
	.p2align	8
	.type	_ZN7rocprim17ROCPRIM_400000_NS6detail17trampoline_kernelINS0_14default_configENS1_38merge_sort_block_merge_config_selectorIlNS0_10empty_typeEEEZZNS1_27merge_sort_block_merge_implIS3_PlPS5_mZN2at6native12_GLOBAL__N_124unique_dim_cuda_templateIiEESt5tupleIJNSA_6TensorESF_SF_EERKSF_lbbbEUlllE_EE10hipError_tT0_T1_T2_jT3_P12ihipStream_tbPNSt15iterator_traitsISL_E10value_typeEPNSR_ISM_E10value_typeEPSN_NS1_7vsmem_tEENKUlT_SL_SM_SN_E_clIS8_S8_S9_S9_EESK_S10_SL_SM_SN_EUlS10_E_NS1_11comp_targetILNS1_3genE0ELNS1_11target_archE4294967295ELNS1_3gpuE0ELNS1_3repE0EEENS1_48merge_mergepath_partition_config_static_selectorELNS0_4arch9wavefront6targetE0EEEvSM_,@function
_ZN7rocprim17ROCPRIM_400000_NS6detail17trampoline_kernelINS0_14default_configENS1_38merge_sort_block_merge_config_selectorIlNS0_10empty_typeEEEZZNS1_27merge_sort_block_merge_implIS3_PlPS5_mZN2at6native12_GLOBAL__N_124unique_dim_cuda_templateIiEESt5tupleIJNSA_6TensorESF_SF_EERKSF_lbbbEUlllE_EE10hipError_tT0_T1_T2_jT3_P12ihipStream_tbPNSt15iterator_traitsISL_E10value_typeEPNSR_ISM_E10value_typeEPSN_NS1_7vsmem_tEENKUlT_SL_SM_SN_E_clIS8_S8_S9_S9_EESK_S10_SL_SM_SN_EUlS10_E_NS1_11comp_targetILNS1_3genE0ELNS1_11target_archE4294967295ELNS1_3gpuE0ELNS1_3repE0EEENS1_48merge_mergepath_partition_config_static_selectorELNS0_4arch9wavefront6targetE0EEEvSM_: ; @_ZN7rocprim17ROCPRIM_400000_NS6detail17trampoline_kernelINS0_14default_configENS1_38merge_sort_block_merge_config_selectorIlNS0_10empty_typeEEEZZNS1_27merge_sort_block_merge_implIS3_PlPS5_mZN2at6native12_GLOBAL__N_124unique_dim_cuda_templateIiEESt5tupleIJNSA_6TensorESF_SF_EERKSF_lbbbEUlllE_EE10hipError_tT0_T1_T2_jT3_P12ihipStream_tbPNSt15iterator_traitsISL_E10value_typeEPNSR_ISM_E10value_typeEPSN_NS1_7vsmem_tEENKUlT_SL_SM_SN_E_clIS8_S8_S9_S9_EESK_S10_SL_SM_SN_EUlS10_E_NS1_11comp_targetILNS1_3genE0ELNS1_11target_archE4294967295ELNS1_3gpuE0ELNS1_3repE0EEENS1_48merge_mergepath_partition_config_static_selectorELNS0_4arch9wavefront6targetE0EEEvSM_
; %bb.0:
	.section	.rodata,"a",@progbits
	.p2align	6, 0x0
	.amdhsa_kernel _ZN7rocprim17ROCPRIM_400000_NS6detail17trampoline_kernelINS0_14default_configENS1_38merge_sort_block_merge_config_selectorIlNS0_10empty_typeEEEZZNS1_27merge_sort_block_merge_implIS3_PlPS5_mZN2at6native12_GLOBAL__N_124unique_dim_cuda_templateIiEESt5tupleIJNSA_6TensorESF_SF_EERKSF_lbbbEUlllE_EE10hipError_tT0_T1_T2_jT3_P12ihipStream_tbPNSt15iterator_traitsISL_E10value_typeEPNSR_ISM_E10value_typeEPSN_NS1_7vsmem_tEENKUlT_SL_SM_SN_E_clIS8_S8_S9_S9_EESK_S10_SL_SM_SN_EUlS10_E_NS1_11comp_targetILNS1_3genE0ELNS1_11target_archE4294967295ELNS1_3gpuE0ELNS1_3repE0EEENS1_48merge_mergepath_partition_config_static_selectorELNS0_4arch9wavefront6targetE0EEEvSM_
		.amdhsa_group_segment_fixed_size 0
		.amdhsa_private_segment_fixed_size 0
		.amdhsa_kernarg_size 56
		.amdhsa_user_sgpr_count 15
		.amdhsa_user_sgpr_dispatch_ptr 0
		.amdhsa_user_sgpr_queue_ptr 0
		.amdhsa_user_sgpr_kernarg_segment_ptr 1
		.amdhsa_user_sgpr_dispatch_id 0
		.amdhsa_user_sgpr_private_segment_size 0
		.amdhsa_wavefront_size32 1
		.amdhsa_uses_dynamic_stack 0
		.amdhsa_enable_private_segment 0
		.amdhsa_system_sgpr_workgroup_id_x 1
		.amdhsa_system_sgpr_workgroup_id_y 0
		.amdhsa_system_sgpr_workgroup_id_z 0
		.amdhsa_system_sgpr_workgroup_info 0
		.amdhsa_system_vgpr_workitem_id 0
		.amdhsa_next_free_vgpr 1
		.amdhsa_next_free_sgpr 1
		.amdhsa_reserve_vcc 0
		.amdhsa_float_round_mode_32 0
		.amdhsa_float_round_mode_16_64 0
		.amdhsa_float_denorm_mode_32 3
		.amdhsa_float_denorm_mode_16_64 3
		.amdhsa_dx10_clamp 1
		.amdhsa_ieee_mode 1
		.amdhsa_fp16_overflow 0
		.amdhsa_workgroup_processor_mode 1
		.amdhsa_memory_ordered 1
		.amdhsa_forward_progress 0
		.amdhsa_shared_vgpr_count 0
		.amdhsa_exception_fp_ieee_invalid_op 0
		.amdhsa_exception_fp_denorm_src 0
		.amdhsa_exception_fp_ieee_div_zero 0
		.amdhsa_exception_fp_ieee_overflow 0
		.amdhsa_exception_fp_ieee_underflow 0
		.amdhsa_exception_fp_ieee_inexact 0
		.amdhsa_exception_int_div_zero 0
	.end_amdhsa_kernel
	.section	.text._ZN7rocprim17ROCPRIM_400000_NS6detail17trampoline_kernelINS0_14default_configENS1_38merge_sort_block_merge_config_selectorIlNS0_10empty_typeEEEZZNS1_27merge_sort_block_merge_implIS3_PlPS5_mZN2at6native12_GLOBAL__N_124unique_dim_cuda_templateIiEESt5tupleIJNSA_6TensorESF_SF_EERKSF_lbbbEUlllE_EE10hipError_tT0_T1_T2_jT3_P12ihipStream_tbPNSt15iterator_traitsISL_E10value_typeEPNSR_ISM_E10value_typeEPSN_NS1_7vsmem_tEENKUlT_SL_SM_SN_E_clIS8_S8_S9_S9_EESK_S10_SL_SM_SN_EUlS10_E_NS1_11comp_targetILNS1_3genE0ELNS1_11target_archE4294967295ELNS1_3gpuE0ELNS1_3repE0EEENS1_48merge_mergepath_partition_config_static_selectorELNS0_4arch9wavefront6targetE0EEEvSM_,"axG",@progbits,_ZN7rocprim17ROCPRIM_400000_NS6detail17trampoline_kernelINS0_14default_configENS1_38merge_sort_block_merge_config_selectorIlNS0_10empty_typeEEEZZNS1_27merge_sort_block_merge_implIS3_PlPS5_mZN2at6native12_GLOBAL__N_124unique_dim_cuda_templateIiEESt5tupleIJNSA_6TensorESF_SF_EERKSF_lbbbEUlllE_EE10hipError_tT0_T1_T2_jT3_P12ihipStream_tbPNSt15iterator_traitsISL_E10value_typeEPNSR_ISM_E10value_typeEPSN_NS1_7vsmem_tEENKUlT_SL_SM_SN_E_clIS8_S8_S9_S9_EESK_S10_SL_SM_SN_EUlS10_E_NS1_11comp_targetILNS1_3genE0ELNS1_11target_archE4294967295ELNS1_3gpuE0ELNS1_3repE0EEENS1_48merge_mergepath_partition_config_static_selectorELNS0_4arch9wavefront6targetE0EEEvSM_,comdat
.Lfunc_end392:
	.size	_ZN7rocprim17ROCPRIM_400000_NS6detail17trampoline_kernelINS0_14default_configENS1_38merge_sort_block_merge_config_selectorIlNS0_10empty_typeEEEZZNS1_27merge_sort_block_merge_implIS3_PlPS5_mZN2at6native12_GLOBAL__N_124unique_dim_cuda_templateIiEESt5tupleIJNSA_6TensorESF_SF_EERKSF_lbbbEUlllE_EE10hipError_tT0_T1_T2_jT3_P12ihipStream_tbPNSt15iterator_traitsISL_E10value_typeEPNSR_ISM_E10value_typeEPSN_NS1_7vsmem_tEENKUlT_SL_SM_SN_E_clIS8_S8_S9_S9_EESK_S10_SL_SM_SN_EUlS10_E_NS1_11comp_targetILNS1_3genE0ELNS1_11target_archE4294967295ELNS1_3gpuE0ELNS1_3repE0EEENS1_48merge_mergepath_partition_config_static_selectorELNS0_4arch9wavefront6targetE0EEEvSM_, .Lfunc_end392-_ZN7rocprim17ROCPRIM_400000_NS6detail17trampoline_kernelINS0_14default_configENS1_38merge_sort_block_merge_config_selectorIlNS0_10empty_typeEEEZZNS1_27merge_sort_block_merge_implIS3_PlPS5_mZN2at6native12_GLOBAL__N_124unique_dim_cuda_templateIiEESt5tupleIJNSA_6TensorESF_SF_EERKSF_lbbbEUlllE_EE10hipError_tT0_T1_T2_jT3_P12ihipStream_tbPNSt15iterator_traitsISL_E10value_typeEPNSR_ISM_E10value_typeEPSN_NS1_7vsmem_tEENKUlT_SL_SM_SN_E_clIS8_S8_S9_S9_EESK_S10_SL_SM_SN_EUlS10_E_NS1_11comp_targetILNS1_3genE0ELNS1_11target_archE4294967295ELNS1_3gpuE0ELNS1_3repE0EEENS1_48merge_mergepath_partition_config_static_selectorELNS0_4arch9wavefront6targetE0EEEvSM_
                                        ; -- End function
	.section	.AMDGPU.csdata,"",@progbits
; Kernel info:
; codeLenInByte = 0
; NumSgprs: 0
; NumVgprs: 0
; ScratchSize: 0
; MemoryBound: 0
; FloatMode: 240
; IeeeMode: 1
; LDSByteSize: 0 bytes/workgroup (compile time only)
; SGPRBlocks: 0
; VGPRBlocks: 0
; NumSGPRsForWavesPerEU: 1
; NumVGPRsForWavesPerEU: 1
; Occupancy: 16
; WaveLimiterHint : 0
; COMPUTE_PGM_RSRC2:SCRATCH_EN: 0
; COMPUTE_PGM_RSRC2:USER_SGPR: 15
; COMPUTE_PGM_RSRC2:TRAP_HANDLER: 0
; COMPUTE_PGM_RSRC2:TGID_X_EN: 1
; COMPUTE_PGM_RSRC2:TGID_Y_EN: 0
; COMPUTE_PGM_RSRC2:TGID_Z_EN: 0
; COMPUTE_PGM_RSRC2:TIDIG_COMP_CNT: 0
	.section	.text._ZN7rocprim17ROCPRIM_400000_NS6detail17trampoline_kernelINS0_14default_configENS1_38merge_sort_block_merge_config_selectorIlNS0_10empty_typeEEEZZNS1_27merge_sort_block_merge_implIS3_PlPS5_mZN2at6native12_GLOBAL__N_124unique_dim_cuda_templateIiEESt5tupleIJNSA_6TensorESF_SF_EERKSF_lbbbEUlllE_EE10hipError_tT0_T1_T2_jT3_P12ihipStream_tbPNSt15iterator_traitsISL_E10value_typeEPNSR_ISM_E10value_typeEPSN_NS1_7vsmem_tEENKUlT_SL_SM_SN_E_clIS8_S8_S9_S9_EESK_S10_SL_SM_SN_EUlS10_E_NS1_11comp_targetILNS1_3genE10ELNS1_11target_archE1201ELNS1_3gpuE5ELNS1_3repE0EEENS1_48merge_mergepath_partition_config_static_selectorELNS0_4arch9wavefront6targetE0EEEvSM_,"axG",@progbits,_ZN7rocprim17ROCPRIM_400000_NS6detail17trampoline_kernelINS0_14default_configENS1_38merge_sort_block_merge_config_selectorIlNS0_10empty_typeEEEZZNS1_27merge_sort_block_merge_implIS3_PlPS5_mZN2at6native12_GLOBAL__N_124unique_dim_cuda_templateIiEESt5tupleIJNSA_6TensorESF_SF_EERKSF_lbbbEUlllE_EE10hipError_tT0_T1_T2_jT3_P12ihipStream_tbPNSt15iterator_traitsISL_E10value_typeEPNSR_ISM_E10value_typeEPSN_NS1_7vsmem_tEENKUlT_SL_SM_SN_E_clIS8_S8_S9_S9_EESK_S10_SL_SM_SN_EUlS10_E_NS1_11comp_targetILNS1_3genE10ELNS1_11target_archE1201ELNS1_3gpuE5ELNS1_3repE0EEENS1_48merge_mergepath_partition_config_static_selectorELNS0_4arch9wavefront6targetE0EEEvSM_,comdat
	.globl	_ZN7rocprim17ROCPRIM_400000_NS6detail17trampoline_kernelINS0_14default_configENS1_38merge_sort_block_merge_config_selectorIlNS0_10empty_typeEEEZZNS1_27merge_sort_block_merge_implIS3_PlPS5_mZN2at6native12_GLOBAL__N_124unique_dim_cuda_templateIiEESt5tupleIJNSA_6TensorESF_SF_EERKSF_lbbbEUlllE_EE10hipError_tT0_T1_T2_jT3_P12ihipStream_tbPNSt15iterator_traitsISL_E10value_typeEPNSR_ISM_E10value_typeEPSN_NS1_7vsmem_tEENKUlT_SL_SM_SN_E_clIS8_S8_S9_S9_EESK_S10_SL_SM_SN_EUlS10_E_NS1_11comp_targetILNS1_3genE10ELNS1_11target_archE1201ELNS1_3gpuE5ELNS1_3repE0EEENS1_48merge_mergepath_partition_config_static_selectorELNS0_4arch9wavefront6targetE0EEEvSM_ ; -- Begin function _ZN7rocprim17ROCPRIM_400000_NS6detail17trampoline_kernelINS0_14default_configENS1_38merge_sort_block_merge_config_selectorIlNS0_10empty_typeEEEZZNS1_27merge_sort_block_merge_implIS3_PlPS5_mZN2at6native12_GLOBAL__N_124unique_dim_cuda_templateIiEESt5tupleIJNSA_6TensorESF_SF_EERKSF_lbbbEUlllE_EE10hipError_tT0_T1_T2_jT3_P12ihipStream_tbPNSt15iterator_traitsISL_E10value_typeEPNSR_ISM_E10value_typeEPSN_NS1_7vsmem_tEENKUlT_SL_SM_SN_E_clIS8_S8_S9_S9_EESK_S10_SL_SM_SN_EUlS10_E_NS1_11comp_targetILNS1_3genE10ELNS1_11target_archE1201ELNS1_3gpuE5ELNS1_3repE0EEENS1_48merge_mergepath_partition_config_static_selectorELNS0_4arch9wavefront6targetE0EEEvSM_
	.p2align	8
	.type	_ZN7rocprim17ROCPRIM_400000_NS6detail17trampoline_kernelINS0_14default_configENS1_38merge_sort_block_merge_config_selectorIlNS0_10empty_typeEEEZZNS1_27merge_sort_block_merge_implIS3_PlPS5_mZN2at6native12_GLOBAL__N_124unique_dim_cuda_templateIiEESt5tupleIJNSA_6TensorESF_SF_EERKSF_lbbbEUlllE_EE10hipError_tT0_T1_T2_jT3_P12ihipStream_tbPNSt15iterator_traitsISL_E10value_typeEPNSR_ISM_E10value_typeEPSN_NS1_7vsmem_tEENKUlT_SL_SM_SN_E_clIS8_S8_S9_S9_EESK_S10_SL_SM_SN_EUlS10_E_NS1_11comp_targetILNS1_3genE10ELNS1_11target_archE1201ELNS1_3gpuE5ELNS1_3repE0EEENS1_48merge_mergepath_partition_config_static_selectorELNS0_4arch9wavefront6targetE0EEEvSM_,@function
_ZN7rocprim17ROCPRIM_400000_NS6detail17trampoline_kernelINS0_14default_configENS1_38merge_sort_block_merge_config_selectorIlNS0_10empty_typeEEEZZNS1_27merge_sort_block_merge_implIS3_PlPS5_mZN2at6native12_GLOBAL__N_124unique_dim_cuda_templateIiEESt5tupleIJNSA_6TensorESF_SF_EERKSF_lbbbEUlllE_EE10hipError_tT0_T1_T2_jT3_P12ihipStream_tbPNSt15iterator_traitsISL_E10value_typeEPNSR_ISM_E10value_typeEPSN_NS1_7vsmem_tEENKUlT_SL_SM_SN_E_clIS8_S8_S9_S9_EESK_S10_SL_SM_SN_EUlS10_E_NS1_11comp_targetILNS1_3genE10ELNS1_11target_archE1201ELNS1_3gpuE5ELNS1_3repE0EEENS1_48merge_mergepath_partition_config_static_selectorELNS0_4arch9wavefront6targetE0EEEvSM_: ; @_ZN7rocprim17ROCPRIM_400000_NS6detail17trampoline_kernelINS0_14default_configENS1_38merge_sort_block_merge_config_selectorIlNS0_10empty_typeEEEZZNS1_27merge_sort_block_merge_implIS3_PlPS5_mZN2at6native12_GLOBAL__N_124unique_dim_cuda_templateIiEESt5tupleIJNSA_6TensorESF_SF_EERKSF_lbbbEUlllE_EE10hipError_tT0_T1_T2_jT3_P12ihipStream_tbPNSt15iterator_traitsISL_E10value_typeEPNSR_ISM_E10value_typeEPSN_NS1_7vsmem_tEENKUlT_SL_SM_SN_E_clIS8_S8_S9_S9_EESK_S10_SL_SM_SN_EUlS10_E_NS1_11comp_targetILNS1_3genE10ELNS1_11target_archE1201ELNS1_3gpuE5ELNS1_3repE0EEENS1_48merge_mergepath_partition_config_static_selectorELNS0_4arch9wavefront6targetE0EEEvSM_
; %bb.0:
	.section	.rodata,"a",@progbits
	.p2align	6, 0x0
	.amdhsa_kernel _ZN7rocprim17ROCPRIM_400000_NS6detail17trampoline_kernelINS0_14default_configENS1_38merge_sort_block_merge_config_selectorIlNS0_10empty_typeEEEZZNS1_27merge_sort_block_merge_implIS3_PlPS5_mZN2at6native12_GLOBAL__N_124unique_dim_cuda_templateIiEESt5tupleIJNSA_6TensorESF_SF_EERKSF_lbbbEUlllE_EE10hipError_tT0_T1_T2_jT3_P12ihipStream_tbPNSt15iterator_traitsISL_E10value_typeEPNSR_ISM_E10value_typeEPSN_NS1_7vsmem_tEENKUlT_SL_SM_SN_E_clIS8_S8_S9_S9_EESK_S10_SL_SM_SN_EUlS10_E_NS1_11comp_targetILNS1_3genE10ELNS1_11target_archE1201ELNS1_3gpuE5ELNS1_3repE0EEENS1_48merge_mergepath_partition_config_static_selectorELNS0_4arch9wavefront6targetE0EEEvSM_
		.amdhsa_group_segment_fixed_size 0
		.amdhsa_private_segment_fixed_size 0
		.amdhsa_kernarg_size 56
		.amdhsa_user_sgpr_count 15
		.amdhsa_user_sgpr_dispatch_ptr 0
		.amdhsa_user_sgpr_queue_ptr 0
		.amdhsa_user_sgpr_kernarg_segment_ptr 1
		.amdhsa_user_sgpr_dispatch_id 0
		.amdhsa_user_sgpr_private_segment_size 0
		.amdhsa_wavefront_size32 1
		.amdhsa_uses_dynamic_stack 0
		.amdhsa_enable_private_segment 0
		.amdhsa_system_sgpr_workgroup_id_x 1
		.amdhsa_system_sgpr_workgroup_id_y 0
		.amdhsa_system_sgpr_workgroup_id_z 0
		.amdhsa_system_sgpr_workgroup_info 0
		.amdhsa_system_vgpr_workitem_id 0
		.amdhsa_next_free_vgpr 1
		.amdhsa_next_free_sgpr 1
		.amdhsa_reserve_vcc 0
		.amdhsa_float_round_mode_32 0
		.amdhsa_float_round_mode_16_64 0
		.amdhsa_float_denorm_mode_32 3
		.amdhsa_float_denorm_mode_16_64 3
		.amdhsa_dx10_clamp 1
		.amdhsa_ieee_mode 1
		.amdhsa_fp16_overflow 0
		.amdhsa_workgroup_processor_mode 1
		.amdhsa_memory_ordered 1
		.amdhsa_forward_progress 0
		.amdhsa_shared_vgpr_count 0
		.amdhsa_exception_fp_ieee_invalid_op 0
		.amdhsa_exception_fp_denorm_src 0
		.amdhsa_exception_fp_ieee_div_zero 0
		.amdhsa_exception_fp_ieee_overflow 0
		.amdhsa_exception_fp_ieee_underflow 0
		.amdhsa_exception_fp_ieee_inexact 0
		.amdhsa_exception_int_div_zero 0
	.end_amdhsa_kernel
	.section	.text._ZN7rocprim17ROCPRIM_400000_NS6detail17trampoline_kernelINS0_14default_configENS1_38merge_sort_block_merge_config_selectorIlNS0_10empty_typeEEEZZNS1_27merge_sort_block_merge_implIS3_PlPS5_mZN2at6native12_GLOBAL__N_124unique_dim_cuda_templateIiEESt5tupleIJNSA_6TensorESF_SF_EERKSF_lbbbEUlllE_EE10hipError_tT0_T1_T2_jT3_P12ihipStream_tbPNSt15iterator_traitsISL_E10value_typeEPNSR_ISM_E10value_typeEPSN_NS1_7vsmem_tEENKUlT_SL_SM_SN_E_clIS8_S8_S9_S9_EESK_S10_SL_SM_SN_EUlS10_E_NS1_11comp_targetILNS1_3genE10ELNS1_11target_archE1201ELNS1_3gpuE5ELNS1_3repE0EEENS1_48merge_mergepath_partition_config_static_selectorELNS0_4arch9wavefront6targetE0EEEvSM_,"axG",@progbits,_ZN7rocprim17ROCPRIM_400000_NS6detail17trampoline_kernelINS0_14default_configENS1_38merge_sort_block_merge_config_selectorIlNS0_10empty_typeEEEZZNS1_27merge_sort_block_merge_implIS3_PlPS5_mZN2at6native12_GLOBAL__N_124unique_dim_cuda_templateIiEESt5tupleIJNSA_6TensorESF_SF_EERKSF_lbbbEUlllE_EE10hipError_tT0_T1_T2_jT3_P12ihipStream_tbPNSt15iterator_traitsISL_E10value_typeEPNSR_ISM_E10value_typeEPSN_NS1_7vsmem_tEENKUlT_SL_SM_SN_E_clIS8_S8_S9_S9_EESK_S10_SL_SM_SN_EUlS10_E_NS1_11comp_targetILNS1_3genE10ELNS1_11target_archE1201ELNS1_3gpuE5ELNS1_3repE0EEENS1_48merge_mergepath_partition_config_static_selectorELNS0_4arch9wavefront6targetE0EEEvSM_,comdat
.Lfunc_end393:
	.size	_ZN7rocprim17ROCPRIM_400000_NS6detail17trampoline_kernelINS0_14default_configENS1_38merge_sort_block_merge_config_selectorIlNS0_10empty_typeEEEZZNS1_27merge_sort_block_merge_implIS3_PlPS5_mZN2at6native12_GLOBAL__N_124unique_dim_cuda_templateIiEESt5tupleIJNSA_6TensorESF_SF_EERKSF_lbbbEUlllE_EE10hipError_tT0_T1_T2_jT3_P12ihipStream_tbPNSt15iterator_traitsISL_E10value_typeEPNSR_ISM_E10value_typeEPSN_NS1_7vsmem_tEENKUlT_SL_SM_SN_E_clIS8_S8_S9_S9_EESK_S10_SL_SM_SN_EUlS10_E_NS1_11comp_targetILNS1_3genE10ELNS1_11target_archE1201ELNS1_3gpuE5ELNS1_3repE0EEENS1_48merge_mergepath_partition_config_static_selectorELNS0_4arch9wavefront6targetE0EEEvSM_, .Lfunc_end393-_ZN7rocprim17ROCPRIM_400000_NS6detail17trampoline_kernelINS0_14default_configENS1_38merge_sort_block_merge_config_selectorIlNS0_10empty_typeEEEZZNS1_27merge_sort_block_merge_implIS3_PlPS5_mZN2at6native12_GLOBAL__N_124unique_dim_cuda_templateIiEESt5tupleIJNSA_6TensorESF_SF_EERKSF_lbbbEUlllE_EE10hipError_tT0_T1_T2_jT3_P12ihipStream_tbPNSt15iterator_traitsISL_E10value_typeEPNSR_ISM_E10value_typeEPSN_NS1_7vsmem_tEENKUlT_SL_SM_SN_E_clIS8_S8_S9_S9_EESK_S10_SL_SM_SN_EUlS10_E_NS1_11comp_targetILNS1_3genE10ELNS1_11target_archE1201ELNS1_3gpuE5ELNS1_3repE0EEENS1_48merge_mergepath_partition_config_static_selectorELNS0_4arch9wavefront6targetE0EEEvSM_
                                        ; -- End function
	.section	.AMDGPU.csdata,"",@progbits
; Kernel info:
; codeLenInByte = 0
; NumSgprs: 0
; NumVgprs: 0
; ScratchSize: 0
; MemoryBound: 0
; FloatMode: 240
; IeeeMode: 1
; LDSByteSize: 0 bytes/workgroup (compile time only)
; SGPRBlocks: 0
; VGPRBlocks: 0
; NumSGPRsForWavesPerEU: 1
; NumVGPRsForWavesPerEU: 1
; Occupancy: 16
; WaveLimiterHint : 0
; COMPUTE_PGM_RSRC2:SCRATCH_EN: 0
; COMPUTE_PGM_RSRC2:USER_SGPR: 15
; COMPUTE_PGM_RSRC2:TRAP_HANDLER: 0
; COMPUTE_PGM_RSRC2:TGID_X_EN: 1
; COMPUTE_PGM_RSRC2:TGID_Y_EN: 0
; COMPUTE_PGM_RSRC2:TGID_Z_EN: 0
; COMPUTE_PGM_RSRC2:TIDIG_COMP_CNT: 0
	.section	.text._ZN7rocprim17ROCPRIM_400000_NS6detail17trampoline_kernelINS0_14default_configENS1_38merge_sort_block_merge_config_selectorIlNS0_10empty_typeEEEZZNS1_27merge_sort_block_merge_implIS3_PlPS5_mZN2at6native12_GLOBAL__N_124unique_dim_cuda_templateIiEESt5tupleIJNSA_6TensorESF_SF_EERKSF_lbbbEUlllE_EE10hipError_tT0_T1_T2_jT3_P12ihipStream_tbPNSt15iterator_traitsISL_E10value_typeEPNSR_ISM_E10value_typeEPSN_NS1_7vsmem_tEENKUlT_SL_SM_SN_E_clIS8_S8_S9_S9_EESK_S10_SL_SM_SN_EUlS10_E_NS1_11comp_targetILNS1_3genE5ELNS1_11target_archE942ELNS1_3gpuE9ELNS1_3repE0EEENS1_48merge_mergepath_partition_config_static_selectorELNS0_4arch9wavefront6targetE0EEEvSM_,"axG",@progbits,_ZN7rocprim17ROCPRIM_400000_NS6detail17trampoline_kernelINS0_14default_configENS1_38merge_sort_block_merge_config_selectorIlNS0_10empty_typeEEEZZNS1_27merge_sort_block_merge_implIS3_PlPS5_mZN2at6native12_GLOBAL__N_124unique_dim_cuda_templateIiEESt5tupleIJNSA_6TensorESF_SF_EERKSF_lbbbEUlllE_EE10hipError_tT0_T1_T2_jT3_P12ihipStream_tbPNSt15iterator_traitsISL_E10value_typeEPNSR_ISM_E10value_typeEPSN_NS1_7vsmem_tEENKUlT_SL_SM_SN_E_clIS8_S8_S9_S9_EESK_S10_SL_SM_SN_EUlS10_E_NS1_11comp_targetILNS1_3genE5ELNS1_11target_archE942ELNS1_3gpuE9ELNS1_3repE0EEENS1_48merge_mergepath_partition_config_static_selectorELNS0_4arch9wavefront6targetE0EEEvSM_,comdat
	.globl	_ZN7rocprim17ROCPRIM_400000_NS6detail17trampoline_kernelINS0_14default_configENS1_38merge_sort_block_merge_config_selectorIlNS0_10empty_typeEEEZZNS1_27merge_sort_block_merge_implIS3_PlPS5_mZN2at6native12_GLOBAL__N_124unique_dim_cuda_templateIiEESt5tupleIJNSA_6TensorESF_SF_EERKSF_lbbbEUlllE_EE10hipError_tT0_T1_T2_jT3_P12ihipStream_tbPNSt15iterator_traitsISL_E10value_typeEPNSR_ISM_E10value_typeEPSN_NS1_7vsmem_tEENKUlT_SL_SM_SN_E_clIS8_S8_S9_S9_EESK_S10_SL_SM_SN_EUlS10_E_NS1_11comp_targetILNS1_3genE5ELNS1_11target_archE942ELNS1_3gpuE9ELNS1_3repE0EEENS1_48merge_mergepath_partition_config_static_selectorELNS0_4arch9wavefront6targetE0EEEvSM_ ; -- Begin function _ZN7rocprim17ROCPRIM_400000_NS6detail17trampoline_kernelINS0_14default_configENS1_38merge_sort_block_merge_config_selectorIlNS0_10empty_typeEEEZZNS1_27merge_sort_block_merge_implIS3_PlPS5_mZN2at6native12_GLOBAL__N_124unique_dim_cuda_templateIiEESt5tupleIJNSA_6TensorESF_SF_EERKSF_lbbbEUlllE_EE10hipError_tT0_T1_T2_jT3_P12ihipStream_tbPNSt15iterator_traitsISL_E10value_typeEPNSR_ISM_E10value_typeEPSN_NS1_7vsmem_tEENKUlT_SL_SM_SN_E_clIS8_S8_S9_S9_EESK_S10_SL_SM_SN_EUlS10_E_NS1_11comp_targetILNS1_3genE5ELNS1_11target_archE942ELNS1_3gpuE9ELNS1_3repE0EEENS1_48merge_mergepath_partition_config_static_selectorELNS0_4arch9wavefront6targetE0EEEvSM_
	.p2align	8
	.type	_ZN7rocprim17ROCPRIM_400000_NS6detail17trampoline_kernelINS0_14default_configENS1_38merge_sort_block_merge_config_selectorIlNS0_10empty_typeEEEZZNS1_27merge_sort_block_merge_implIS3_PlPS5_mZN2at6native12_GLOBAL__N_124unique_dim_cuda_templateIiEESt5tupleIJNSA_6TensorESF_SF_EERKSF_lbbbEUlllE_EE10hipError_tT0_T1_T2_jT3_P12ihipStream_tbPNSt15iterator_traitsISL_E10value_typeEPNSR_ISM_E10value_typeEPSN_NS1_7vsmem_tEENKUlT_SL_SM_SN_E_clIS8_S8_S9_S9_EESK_S10_SL_SM_SN_EUlS10_E_NS1_11comp_targetILNS1_3genE5ELNS1_11target_archE942ELNS1_3gpuE9ELNS1_3repE0EEENS1_48merge_mergepath_partition_config_static_selectorELNS0_4arch9wavefront6targetE0EEEvSM_,@function
_ZN7rocprim17ROCPRIM_400000_NS6detail17trampoline_kernelINS0_14default_configENS1_38merge_sort_block_merge_config_selectorIlNS0_10empty_typeEEEZZNS1_27merge_sort_block_merge_implIS3_PlPS5_mZN2at6native12_GLOBAL__N_124unique_dim_cuda_templateIiEESt5tupleIJNSA_6TensorESF_SF_EERKSF_lbbbEUlllE_EE10hipError_tT0_T1_T2_jT3_P12ihipStream_tbPNSt15iterator_traitsISL_E10value_typeEPNSR_ISM_E10value_typeEPSN_NS1_7vsmem_tEENKUlT_SL_SM_SN_E_clIS8_S8_S9_S9_EESK_S10_SL_SM_SN_EUlS10_E_NS1_11comp_targetILNS1_3genE5ELNS1_11target_archE942ELNS1_3gpuE9ELNS1_3repE0EEENS1_48merge_mergepath_partition_config_static_selectorELNS0_4arch9wavefront6targetE0EEEvSM_: ; @_ZN7rocprim17ROCPRIM_400000_NS6detail17trampoline_kernelINS0_14default_configENS1_38merge_sort_block_merge_config_selectorIlNS0_10empty_typeEEEZZNS1_27merge_sort_block_merge_implIS3_PlPS5_mZN2at6native12_GLOBAL__N_124unique_dim_cuda_templateIiEESt5tupleIJNSA_6TensorESF_SF_EERKSF_lbbbEUlllE_EE10hipError_tT0_T1_T2_jT3_P12ihipStream_tbPNSt15iterator_traitsISL_E10value_typeEPNSR_ISM_E10value_typeEPSN_NS1_7vsmem_tEENKUlT_SL_SM_SN_E_clIS8_S8_S9_S9_EESK_S10_SL_SM_SN_EUlS10_E_NS1_11comp_targetILNS1_3genE5ELNS1_11target_archE942ELNS1_3gpuE9ELNS1_3repE0EEENS1_48merge_mergepath_partition_config_static_selectorELNS0_4arch9wavefront6targetE0EEEvSM_
; %bb.0:
	.section	.rodata,"a",@progbits
	.p2align	6, 0x0
	.amdhsa_kernel _ZN7rocprim17ROCPRIM_400000_NS6detail17trampoline_kernelINS0_14default_configENS1_38merge_sort_block_merge_config_selectorIlNS0_10empty_typeEEEZZNS1_27merge_sort_block_merge_implIS3_PlPS5_mZN2at6native12_GLOBAL__N_124unique_dim_cuda_templateIiEESt5tupleIJNSA_6TensorESF_SF_EERKSF_lbbbEUlllE_EE10hipError_tT0_T1_T2_jT3_P12ihipStream_tbPNSt15iterator_traitsISL_E10value_typeEPNSR_ISM_E10value_typeEPSN_NS1_7vsmem_tEENKUlT_SL_SM_SN_E_clIS8_S8_S9_S9_EESK_S10_SL_SM_SN_EUlS10_E_NS1_11comp_targetILNS1_3genE5ELNS1_11target_archE942ELNS1_3gpuE9ELNS1_3repE0EEENS1_48merge_mergepath_partition_config_static_selectorELNS0_4arch9wavefront6targetE0EEEvSM_
		.amdhsa_group_segment_fixed_size 0
		.amdhsa_private_segment_fixed_size 0
		.amdhsa_kernarg_size 56
		.amdhsa_user_sgpr_count 15
		.amdhsa_user_sgpr_dispatch_ptr 0
		.amdhsa_user_sgpr_queue_ptr 0
		.amdhsa_user_sgpr_kernarg_segment_ptr 1
		.amdhsa_user_sgpr_dispatch_id 0
		.amdhsa_user_sgpr_private_segment_size 0
		.amdhsa_wavefront_size32 1
		.amdhsa_uses_dynamic_stack 0
		.amdhsa_enable_private_segment 0
		.amdhsa_system_sgpr_workgroup_id_x 1
		.amdhsa_system_sgpr_workgroup_id_y 0
		.amdhsa_system_sgpr_workgroup_id_z 0
		.amdhsa_system_sgpr_workgroup_info 0
		.amdhsa_system_vgpr_workitem_id 0
		.amdhsa_next_free_vgpr 1
		.amdhsa_next_free_sgpr 1
		.amdhsa_reserve_vcc 0
		.amdhsa_float_round_mode_32 0
		.amdhsa_float_round_mode_16_64 0
		.amdhsa_float_denorm_mode_32 3
		.amdhsa_float_denorm_mode_16_64 3
		.amdhsa_dx10_clamp 1
		.amdhsa_ieee_mode 1
		.amdhsa_fp16_overflow 0
		.amdhsa_workgroup_processor_mode 1
		.amdhsa_memory_ordered 1
		.amdhsa_forward_progress 0
		.amdhsa_shared_vgpr_count 0
		.amdhsa_exception_fp_ieee_invalid_op 0
		.amdhsa_exception_fp_denorm_src 0
		.amdhsa_exception_fp_ieee_div_zero 0
		.amdhsa_exception_fp_ieee_overflow 0
		.amdhsa_exception_fp_ieee_underflow 0
		.amdhsa_exception_fp_ieee_inexact 0
		.amdhsa_exception_int_div_zero 0
	.end_amdhsa_kernel
	.section	.text._ZN7rocprim17ROCPRIM_400000_NS6detail17trampoline_kernelINS0_14default_configENS1_38merge_sort_block_merge_config_selectorIlNS0_10empty_typeEEEZZNS1_27merge_sort_block_merge_implIS3_PlPS5_mZN2at6native12_GLOBAL__N_124unique_dim_cuda_templateIiEESt5tupleIJNSA_6TensorESF_SF_EERKSF_lbbbEUlllE_EE10hipError_tT0_T1_T2_jT3_P12ihipStream_tbPNSt15iterator_traitsISL_E10value_typeEPNSR_ISM_E10value_typeEPSN_NS1_7vsmem_tEENKUlT_SL_SM_SN_E_clIS8_S8_S9_S9_EESK_S10_SL_SM_SN_EUlS10_E_NS1_11comp_targetILNS1_3genE5ELNS1_11target_archE942ELNS1_3gpuE9ELNS1_3repE0EEENS1_48merge_mergepath_partition_config_static_selectorELNS0_4arch9wavefront6targetE0EEEvSM_,"axG",@progbits,_ZN7rocprim17ROCPRIM_400000_NS6detail17trampoline_kernelINS0_14default_configENS1_38merge_sort_block_merge_config_selectorIlNS0_10empty_typeEEEZZNS1_27merge_sort_block_merge_implIS3_PlPS5_mZN2at6native12_GLOBAL__N_124unique_dim_cuda_templateIiEESt5tupleIJNSA_6TensorESF_SF_EERKSF_lbbbEUlllE_EE10hipError_tT0_T1_T2_jT3_P12ihipStream_tbPNSt15iterator_traitsISL_E10value_typeEPNSR_ISM_E10value_typeEPSN_NS1_7vsmem_tEENKUlT_SL_SM_SN_E_clIS8_S8_S9_S9_EESK_S10_SL_SM_SN_EUlS10_E_NS1_11comp_targetILNS1_3genE5ELNS1_11target_archE942ELNS1_3gpuE9ELNS1_3repE0EEENS1_48merge_mergepath_partition_config_static_selectorELNS0_4arch9wavefront6targetE0EEEvSM_,comdat
.Lfunc_end394:
	.size	_ZN7rocprim17ROCPRIM_400000_NS6detail17trampoline_kernelINS0_14default_configENS1_38merge_sort_block_merge_config_selectorIlNS0_10empty_typeEEEZZNS1_27merge_sort_block_merge_implIS3_PlPS5_mZN2at6native12_GLOBAL__N_124unique_dim_cuda_templateIiEESt5tupleIJNSA_6TensorESF_SF_EERKSF_lbbbEUlllE_EE10hipError_tT0_T1_T2_jT3_P12ihipStream_tbPNSt15iterator_traitsISL_E10value_typeEPNSR_ISM_E10value_typeEPSN_NS1_7vsmem_tEENKUlT_SL_SM_SN_E_clIS8_S8_S9_S9_EESK_S10_SL_SM_SN_EUlS10_E_NS1_11comp_targetILNS1_3genE5ELNS1_11target_archE942ELNS1_3gpuE9ELNS1_3repE0EEENS1_48merge_mergepath_partition_config_static_selectorELNS0_4arch9wavefront6targetE0EEEvSM_, .Lfunc_end394-_ZN7rocprim17ROCPRIM_400000_NS6detail17trampoline_kernelINS0_14default_configENS1_38merge_sort_block_merge_config_selectorIlNS0_10empty_typeEEEZZNS1_27merge_sort_block_merge_implIS3_PlPS5_mZN2at6native12_GLOBAL__N_124unique_dim_cuda_templateIiEESt5tupleIJNSA_6TensorESF_SF_EERKSF_lbbbEUlllE_EE10hipError_tT0_T1_T2_jT3_P12ihipStream_tbPNSt15iterator_traitsISL_E10value_typeEPNSR_ISM_E10value_typeEPSN_NS1_7vsmem_tEENKUlT_SL_SM_SN_E_clIS8_S8_S9_S9_EESK_S10_SL_SM_SN_EUlS10_E_NS1_11comp_targetILNS1_3genE5ELNS1_11target_archE942ELNS1_3gpuE9ELNS1_3repE0EEENS1_48merge_mergepath_partition_config_static_selectorELNS0_4arch9wavefront6targetE0EEEvSM_
                                        ; -- End function
	.section	.AMDGPU.csdata,"",@progbits
; Kernel info:
; codeLenInByte = 0
; NumSgprs: 0
; NumVgprs: 0
; ScratchSize: 0
; MemoryBound: 0
; FloatMode: 240
; IeeeMode: 1
; LDSByteSize: 0 bytes/workgroup (compile time only)
; SGPRBlocks: 0
; VGPRBlocks: 0
; NumSGPRsForWavesPerEU: 1
; NumVGPRsForWavesPerEU: 1
; Occupancy: 16
; WaveLimiterHint : 0
; COMPUTE_PGM_RSRC2:SCRATCH_EN: 0
; COMPUTE_PGM_RSRC2:USER_SGPR: 15
; COMPUTE_PGM_RSRC2:TRAP_HANDLER: 0
; COMPUTE_PGM_RSRC2:TGID_X_EN: 1
; COMPUTE_PGM_RSRC2:TGID_Y_EN: 0
; COMPUTE_PGM_RSRC2:TGID_Z_EN: 0
; COMPUTE_PGM_RSRC2:TIDIG_COMP_CNT: 0
	.section	.text._ZN7rocprim17ROCPRIM_400000_NS6detail17trampoline_kernelINS0_14default_configENS1_38merge_sort_block_merge_config_selectorIlNS0_10empty_typeEEEZZNS1_27merge_sort_block_merge_implIS3_PlPS5_mZN2at6native12_GLOBAL__N_124unique_dim_cuda_templateIiEESt5tupleIJNSA_6TensorESF_SF_EERKSF_lbbbEUlllE_EE10hipError_tT0_T1_T2_jT3_P12ihipStream_tbPNSt15iterator_traitsISL_E10value_typeEPNSR_ISM_E10value_typeEPSN_NS1_7vsmem_tEENKUlT_SL_SM_SN_E_clIS8_S8_S9_S9_EESK_S10_SL_SM_SN_EUlS10_E_NS1_11comp_targetILNS1_3genE4ELNS1_11target_archE910ELNS1_3gpuE8ELNS1_3repE0EEENS1_48merge_mergepath_partition_config_static_selectorELNS0_4arch9wavefront6targetE0EEEvSM_,"axG",@progbits,_ZN7rocprim17ROCPRIM_400000_NS6detail17trampoline_kernelINS0_14default_configENS1_38merge_sort_block_merge_config_selectorIlNS0_10empty_typeEEEZZNS1_27merge_sort_block_merge_implIS3_PlPS5_mZN2at6native12_GLOBAL__N_124unique_dim_cuda_templateIiEESt5tupleIJNSA_6TensorESF_SF_EERKSF_lbbbEUlllE_EE10hipError_tT0_T1_T2_jT3_P12ihipStream_tbPNSt15iterator_traitsISL_E10value_typeEPNSR_ISM_E10value_typeEPSN_NS1_7vsmem_tEENKUlT_SL_SM_SN_E_clIS8_S8_S9_S9_EESK_S10_SL_SM_SN_EUlS10_E_NS1_11comp_targetILNS1_3genE4ELNS1_11target_archE910ELNS1_3gpuE8ELNS1_3repE0EEENS1_48merge_mergepath_partition_config_static_selectorELNS0_4arch9wavefront6targetE0EEEvSM_,comdat
	.globl	_ZN7rocprim17ROCPRIM_400000_NS6detail17trampoline_kernelINS0_14default_configENS1_38merge_sort_block_merge_config_selectorIlNS0_10empty_typeEEEZZNS1_27merge_sort_block_merge_implIS3_PlPS5_mZN2at6native12_GLOBAL__N_124unique_dim_cuda_templateIiEESt5tupleIJNSA_6TensorESF_SF_EERKSF_lbbbEUlllE_EE10hipError_tT0_T1_T2_jT3_P12ihipStream_tbPNSt15iterator_traitsISL_E10value_typeEPNSR_ISM_E10value_typeEPSN_NS1_7vsmem_tEENKUlT_SL_SM_SN_E_clIS8_S8_S9_S9_EESK_S10_SL_SM_SN_EUlS10_E_NS1_11comp_targetILNS1_3genE4ELNS1_11target_archE910ELNS1_3gpuE8ELNS1_3repE0EEENS1_48merge_mergepath_partition_config_static_selectorELNS0_4arch9wavefront6targetE0EEEvSM_ ; -- Begin function _ZN7rocprim17ROCPRIM_400000_NS6detail17trampoline_kernelINS0_14default_configENS1_38merge_sort_block_merge_config_selectorIlNS0_10empty_typeEEEZZNS1_27merge_sort_block_merge_implIS3_PlPS5_mZN2at6native12_GLOBAL__N_124unique_dim_cuda_templateIiEESt5tupleIJNSA_6TensorESF_SF_EERKSF_lbbbEUlllE_EE10hipError_tT0_T1_T2_jT3_P12ihipStream_tbPNSt15iterator_traitsISL_E10value_typeEPNSR_ISM_E10value_typeEPSN_NS1_7vsmem_tEENKUlT_SL_SM_SN_E_clIS8_S8_S9_S9_EESK_S10_SL_SM_SN_EUlS10_E_NS1_11comp_targetILNS1_3genE4ELNS1_11target_archE910ELNS1_3gpuE8ELNS1_3repE0EEENS1_48merge_mergepath_partition_config_static_selectorELNS0_4arch9wavefront6targetE0EEEvSM_
	.p2align	8
	.type	_ZN7rocprim17ROCPRIM_400000_NS6detail17trampoline_kernelINS0_14default_configENS1_38merge_sort_block_merge_config_selectorIlNS0_10empty_typeEEEZZNS1_27merge_sort_block_merge_implIS3_PlPS5_mZN2at6native12_GLOBAL__N_124unique_dim_cuda_templateIiEESt5tupleIJNSA_6TensorESF_SF_EERKSF_lbbbEUlllE_EE10hipError_tT0_T1_T2_jT3_P12ihipStream_tbPNSt15iterator_traitsISL_E10value_typeEPNSR_ISM_E10value_typeEPSN_NS1_7vsmem_tEENKUlT_SL_SM_SN_E_clIS8_S8_S9_S9_EESK_S10_SL_SM_SN_EUlS10_E_NS1_11comp_targetILNS1_3genE4ELNS1_11target_archE910ELNS1_3gpuE8ELNS1_3repE0EEENS1_48merge_mergepath_partition_config_static_selectorELNS0_4arch9wavefront6targetE0EEEvSM_,@function
_ZN7rocprim17ROCPRIM_400000_NS6detail17trampoline_kernelINS0_14default_configENS1_38merge_sort_block_merge_config_selectorIlNS0_10empty_typeEEEZZNS1_27merge_sort_block_merge_implIS3_PlPS5_mZN2at6native12_GLOBAL__N_124unique_dim_cuda_templateIiEESt5tupleIJNSA_6TensorESF_SF_EERKSF_lbbbEUlllE_EE10hipError_tT0_T1_T2_jT3_P12ihipStream_tbPNSt15iterator_traitsISL_E10value_typeEPNSR_ISM_E10value_typeEPSN_NS1_7vsmem_tEENKUlT_SL_SM_SN_E_clIS8_S8_S9_S9_EESK_S10_SL_SM_SN_EUlS10_E_NS1_11comp_targetILNS1_3genE4ELNS1_11target_archE910ELNS1_3gpuE8ELNS1_3repE0EEENS1_48merge_mergepath_partition_config_static_selectorELNS0_4arch9wavefront6targetE0EEEvSM_: ; @_ZN7rocprim17ROCPRIM_400000_NS6detail17trampoline_kernelINS0_14default_configENS1_38merge_sort_block_merge_config_selectorIlNS0_10empty_typeEEEZZNS1_27merge_sort_block_merge_implIS3_PlPS5_mZN2at6native12_GLOBAL__N_124unique_dim_cuda_templateIiEESt5tupleIJNSA_6TensorESF_SF_EERKSF_lbbbEUlllE_EE10hipError_tT0_T1_T2_jT3_P12ihipStream_tbPNSt15iterator_traitsISL_E10value_typeEPNSR_ISM_E10value_typeEPSN_NS1_7vsmem_tEENKUlT_SL_SM_SN_E_clIS8_S8_S9_S9_EESK_S10_SL_SM_SN_EUlS10_E_NS1_11comp_targetILNS1_3genE4ELNS1_11target_archE910ELNS1_3gpuE8ELNS1_3repE0EEENS1_48merge_mergepath_partition_config_static_selectorELNS0_4arch9wavefront6targetE0EEEvSM_
; %bb.0:
	.section	.rodata,"a",@progbits
	.p2align	6, 0x0
	.amdhsa_kernel _ZN7rocprim17ROCPRIM_400000_NS6detail17trampoline_kernelINS0_14default_configENS1_38merge_sort_block_merge_config_selectorIlNS0_10empty_typeEEEZZNS1_27merge_sort_block_merge_implIS3_PlPS5_mZN2at6native12_GLOBAL__N_124unique_dim_cuda_templateIiEESt5tupleIJNSA_6TensorESF_SF_EERKSF_lbbbEUlllE_EE10hipError_tT0_T1_T2_jT3_P12ihipStream_tbPNSt15iterator_traitsISL_E10value_typeEPNSR_ISM_E10value_typeEPSN_NS1_7vsmem_tEENKUlT_SL_SM_SN_E_clIS8_S8_S9_S9_EESK_S10_SL_SM_SN_EUlS10_E_NS1_11comp_targetILNS1_3genE4ELNS1_11target_archE910ELNS1_3gpuE8ELNS1_3repE0EEENS1_48merge_mergepath_partition_config_static_selectorELNS0_4arch9wavefront6targetE0EEEvSM_
		.amdhsa_group_segment_fixed_size 0
		.amdhsa_private_segment_fixed_size 0
		.amdhsa_kernarg_size 56
		.amdhsa_user_sgpr_count 15
		.amdhsa_user_sgpr_dispatch_ptr 0
		.amdhsa_user_sgpr_queue_ptr 0
		.amdhsa_user_sgpr_kernarg_segment_ptr 1
		.amdhsa_user_sgpr_dispatch_id 0
		.amdhsa_user_sgpr_private_segment_size 0
		.amdhsa_wavefront_size32 1
		.amdhsa_uses_dynamic_stack 0
		.amdhsa_enable_private_segment 0
		.amdhsa_system_sgpr_workgroup_id_x 1
		.amdhsa_system_sgpr_workgroup_id_y 0
		.amdhsa_system_sgpr_workgroup_id_z 0
		.amdhsa_system_sgpr_workgroup_info 0
		.amdhsa_system_vgpr_workitem_id 0
		.amdhsa_next_free_vgpr 1
		.amdhsa_next_free_sgpr 1
		.amdhsa_reserve_vcc 0
		.amdhsa_float_round_mode_32 0
		.amdhsa_float_round_mode_16_64 0
		.amdhsa_float_denorm_mode_32 3
		.amdhsa_float_denorm_mode_16_64 3
		.amdhsa_dx10_clamp 1
		.amdhsa_ieee_mode 1
		.amdhsa_fp16_overflow 0
		.amdhsa_workgroup_processor_mode 1
		.amdhsa_memory_ordered 1
		.amdhsa_forward_progress 0
		.amdhsa_shared_vgpr_count 0
		.amdhsa_exception_fp_ieee_invalid_op 0
		.amdhsa_exception_fp_denorm_src 0
		.amdhsa_exception_fp_ieee_div_zero 0
		.amdhsa_exception_fp_ieee_overflow 0
		.amdhsa_exception_fp_ieee_underflow 0
		.amdhsa_exception_fp_ieee_inexact 0
		.amdhsa_exception_int_div_zero 0
	.end_amdhsa_kernel
	.section	.text._ZN7rocprim17ROCPRIM_400000_NS6detail17trampoline_kernelINS0_14default_configENS1_38merge_sort_block_merge_config_selectorIlNS0_10empty_typeEEEZZNS1_27merge_sort_block_merge_implIS3_PlPS5_mZN2at6native12_GLOBAL__N_124unique_dim_cuda_templateIiEESt5tupleIJNSA_6TensorESF_SF_EERKSF_lbbbEUlllE_EE10hipError_tT0_T1_T2_jT3_P12ihipStream_tbPNSt15iterator_traitsISL_E10value_typeEPNSR_ISM_E10value_typeEPSN_NS1_7vsmem_tEENKUlT_SL_SM_SN_E_clIS8_S8_S9_S9_EESK_S10_SL_SM_SN_EUlS10_E_NS1_11comp_targetILNS1_3genE4ELNS1_11target_archE910ELNS1_3gpuE8ELNS1_3repE0EEENS1_48merge_mergepath_partition_config_static_selectorELNS0_4arch9wavefront6targetE0EEEvSM_,"axG",@progbits,_ZN7rocprim17ROCPRIM_400000_NS6detail17trampoline_kernelINS0_14default_configENS1_38merge_sort_block_merge_config_selectorIlNS0_10empty_typeEEEZZNS1_27merge_sort_block_merge_implIS3_PlPS5_mZN2at6native12_GLOBAL__N_124unique_dim_cuda_templateIiEESt5tupleIJNSA_6TensorESF_SF_EERKSF_lbbbEUlllE_EE10hipError_tT0_T1_T2_jT3_P12ihipStream_tbPNSt15iterator_traitsISL_E10value_typeEPNSR_ISM_E10value_typeEPSN_NS1_7vsmem_tEENKUlT_SL_SM_SN_E_clIS8_S8_S9_S9_EESK_S10_SL_SM_SN_EUlS10_E_NS1_11comp_targetILNS1_3genE4ELNS1_11target_archE910ELNS1_3gpuE8ELNS1_3repE0EEENS1_48merge_mergepath_partition_config_static_selectorELNS0_4arch9wavefront6targetE0EEEvSM_,comdat
.Lfunc_end395:
	.size	_ZN7rocprim17ROCPRIM_400000_NS6detail17trampoline_kernelINS0_14default_configENS1_38merge_sort_block_merge_config_selectorIlNS0_10empty_typeEEEZZNS1_27merge_sort_block_merge_implIS3_PlPS5_mZN2at6native12_GLOBAL__N_124unique_dim_cuda_templateIiEESt5tupleIJNSA_6TensorESF_SF_EERKSF_lbbbEUlllE_EE10hipError_tT0_T1_T2_jT3_P12ihipStream_tbPNSt15iterator_traitsISL_E10value_typeEPNSR_ISM_E10value_typeEPSN_NS1_7vsmem_tEENKUlT_SL_SM_SN_E_clIS8_S8_S9_S9_EESK_S10_SL_SM_SN_EUlS10_E_NS1_11comp_targetILNS1_3genE4ELNS1_11target_archE910ELNS1_3gpuE8ELNS1_3repE0EEENS1_48merge_mergepath_partition_config_static_selectorELNS0_4arch9wavefront6targetE0EEEvSM_, .Lfunc_end395-_ZN7rocprim17ROCPRIM_400000_NS6detail17trampoline_kernelINS0_14default_configENS1_38merge_sort_block_merge_config_selectorIlNS0_10empty_typeEEEZZNS1_27merge_sort_block_merge_implIS3_PlPS5_mZN2at6native12_GLOBAL__N_124unique_dim_cuda_templateIiEESt5tupleIJNSA_6TensorESF_SF_EERKSF_lbbbEUlllE_EE10hipError_tT0_T1_T2_jT3_P12ihipStream_tbPNSt15iterator_traitsISL_E10value_typeEPNSR_ISM_E10value_typeEPSN_NS1_7vsmem_tEENKUlT_SL_SM_SN_E_clIS8_S8_S9_S9_EESK_S10_SL_SM_SN_EUlS10_E_NS1_11comp_targetILNS1_3genE4ELNS1_11target_archE910ELNS1_3gpuE8ELNS1_3repE0EEENS1_48merge_mergepath_partition_config_static_selectorELNS0_4arch9wavefront6targetE0EEEvSM_
                                        ; -- End function
	.section	.AMDGPU.csdata,"",@progbits
; Kernel info:
; codeLenInByte = 0
; NumSgprs: 0
; NumVgprs: 0
; ScratchSize: 0
; MemoryBound: 0
; FloatMode: 240
; IeeeMode: 1
; LDSByteSize: 0 bytes/workgroup (compile time only)
; SGPRBlocks: 0
; VGPRBlocks: 0
; NumSGPRsForWavesPerEU: 1
; NumVGPRsForWavesPerEU: 1
; Occupancy: 16
; WaveLimiterHint : 0
; COMPUTE_PGM_RSRC2:SCRATCH_EN: 0
; COMPUTE_PGM_RSRC2:USER_SGPR: 15
; COMPUTE_PGM_RSRC2:TRAP_HANDLER: 0
; COMPUTE_PGM_RSRC2:TGID_X_EN: 1
; COMPUTE_PGM_RSRC2:TGID_Y_EN: 0
; COMPUTE_PGM_RSRC2:TGID_Z_EN: 0
; COMPUTE_PGM_RSRC2:TIDIG_COMP_CNT: 0
	.section	.text._ZN7rocprim17ROCPRIM_400000_NS6detail17trampoline_kernelINS0_14default_configENS1_38merge_sort_block_merge_config_selectorIlNS0_10empty_typeEEEZZNS1_27merge_sort_block_merge_implIS3_PlPS5_mZN2at6native12_GLOBAL__N_124unique_dim_cuda_templateIiEESt5tupleIJNSA_6TensorESF_SF_EERKSF_lbbbEUlllE_EE10hipError_tT0_T1_T2_jT3_P12ihipStream_tbPNSt15iterator_traitsISL_E10value_typeEPNSR_ISM_E10value_typeEPSN_NS1_7vsmem_tEENKUlT_SL_SM_SN_E_clIS8_S8_S9_S9_EESK_S10_SL_SM_SN_EUlS10_E_NS1_11comp_targetILNS1_3genE3ELNS1_11target_archE908ELNS1_3gpuE7ELNS1_3repE0EEENS1_48merge_mergepath_partition_config_static_selectorELNS0_4arch9wavefront6targetE0EEEvSM_,"axG",@progbits,_ZN7rocprim17ROCPRIM_400000_NS6detail17trampoline_kernelINS0_14default_configENS1_38merge_sort_block_merge_config_selectorIlNS0_10empty_typeEEEZZNS1_27merge_sort_block_merge_implIS3_PlPS5_mZN2at6native12_GLOBAL__N_124unique_dim_cuda_templateIiEESt5tupleIJNSA_6TensorESF_SF_EERKSF_lbbbEUlllE_EE10hipError_tT0_T1_T2_jT3_P12ihipStream_tbPNSt15iterator_traitsISL_E10value_typeEPNSR_ISM_E10value_typeEPSN_NS1_7vsmem_tEENKUlT_SL_SM_SN_E_clIS8_S8_S9_S9_EESK_S10_SL_SM_SN_EUlS10_E_NS1_11comp_targetILNS1_3genE3ELNS1_11target_archE908ELNS1_3gpuE7ELNS1_3repE0EEENS1_48merge_mergepath_partition_config_static_selectorELNS0_4arch9wavefront6targetE0EEEvSM_,comdat
	.globl	_ZN7rocprim17ROCPRIM_400000_NS6detail17trampoline_kernelINS0_14default_configENS1_38merge_sort_block_merge_config_selectorIlNS0_10empty_typeEEEZZNS1_27merge_sort_block_merge_implIS3_PlPS5_mZN2at6native12_GLOBAL__N_124unique_dim_cuda_templateIiEESt5tupleIJNSA_6TensorESF_SF_EERKSF_lbbbEUlllE_EE10hipError_tT0_T1_T2_jT3_P12ihipStream_tbPNSt15iterator_traitsISL_E10value_typeEPNSR_ISM_E10value_typeEPSN_NS1_7vsmem_tEENKUlT_SL_SM_SN_E_clIS8_S8_S9_S9_EESK_S10_SL_SM_SN_EUlS10_E_NS1_11comp_targetILNS1_3genE3ELNS1_11target_archE908ELNS1_3gpuE7ELNS1_3repE0EEENS1_48merge_mergepath_partition_config_static_selectorELNS0_4arch9wavefront6targetE0EEEvSM_ ; -- Begin function _ZN7rocprim17ROCPRIM_400000_NS6detail17trampoline_kernelINS0_14default_configENS1_38merge_sort_block_merge_config_selectorIlNS0_10empty_typeEEEZZNS1_27merge_sort_block_merge_implIS3_PlPS5_mZN2at6native12_GLOBAL__N_124unique_dim_cuda_templateIiEESt5tupleIJNSA_6TensorESF_SF_EERKSF_lbbbEUlllE_EE10hipError_tT0_T1_T2_jT3_P12ihipStream_tbPNSt15iterator_traitsISL_E10value_typeEPNSR_ISM_E10value_typeEPSN_NS1_7vsmem_tEENKUlT_SL_SM_SN_E_clIS8_S8_S9_S9_EESK_S10_SL_SM_SN_EUlS10_E_NS1_11comp_targetILNS1_3genE3ELNS1_11target_archE908ELNS1_3gpuE7ELNS1_3repE0EEENS1_48merge_mergepath_partition_config_static_selectorELNS0_4arch9wavefront6targetE0EEEvSM_
	.p2align	8
	.type	_ZN7rocprim17ROCPRIM_400000_NS6detail17trampoline_kernelINS0_14default_configENS1_38merge_sort_block_merge_config_selectorIlNS0_10empty_typeEEEZZNS1_27merge_sort_block_merge_implIS3_PlPS5_mZN2at6native12_GLOBAL__N_124unique_dim_cuda_templateIiEESt5tupleIJNSA_6TensorESF_SF_EERKSF_lbbbEUlllE_EE10hipError_tT0_T1_T2_jT3_P12ihipStream_tbPNSt15iterator_traitsISL_E10value_typeEPNSR_ISM_E10value_typeEPSN_NS1_7vsmem_tEENKUlT_SL_SM_SN_E_clIS8_S8_S9_S9_EESK_S10_SL_SM_SN_EUlS10_E_NS1_11comp_targetILNS1_3genE3ELNS1_11target_archE908ELNS1_3gpuE7ELNS1_3repE0EEENS1_48merge_mergepath_partition_config_static_selectorELNS0_4arch9wavefront6targetE0EEEvSM_,@function
_ZN7rocprim17ROCPRIM_400000_NS6detail17trampoline_kernelINS0_14default_configENS1_38merge_sort_block_merge_config_selectorIlNS0_10empty_typeEEEZZNS1_27merge_sort_block_merge_implIS3_PlPS5_mZN2at6native12_GLOBAL__N_124unique_dim_cuda_templateIiEESt5tupleIJNSA_6TensorESF_SF_EERKSF_lbbbEUlllE_EE10hipError_tT0_T1_T2_jT3_P12ihipStream_tbPNSt15iterator_traitsISL_E10value_typeEPNSR_ISM_E10value_typeEPSN_NS1_7vsmem_tEENKUlT_SL_SM_SN_E_clIS8_S8_S9_S9_EESK_S10_SL_SM_SN_EUlS10_E_NS1_11comp_targetILNS1_3genE3ELNS1_11target_archE908ELNS1_3gpuE7ELNS1_3repE0EEENS1_48merge_mergepath_partition_config_static_selectorELNS0_4arch9wavefront6targetE0EEEvSM_: ; @_ZN7rocprim17ROCPRIM_400000_NS6detail17trampoline_kernelINS0_14default_configENS1_38merge_sort_block_merge_config_selectorIlNS0_10empty_typeEEEZZNS1_27merge_sort_block_merge_implIS3_PlPS5_mZN2at6native12_GLOBAL__N_124unique_dim_cuda_templateIiEESt5tupleIJNSA_6TensorESF_SF_EERKSF_lbbbEUlllE_EE10hipError_tT0_T1_T2_jT3_P12ihipStream_tbPNSt15iterator_traitsISL_E10value_typeEPNSR_ISM_E10value_typeEPSN_NS1_7vsmem_tEENKUlT_SL_SM_SN_E_clIS8_S8_S9_S9_EESK_S10_SL_SM_SN_EUlS10_E_NS1_11comp_targetILNS1_3genE3ELNS1_11target_archE908ELNS1_3gpuE7ELNS1_3repE0EEENS1_48merge_mergepath_partition_config_static_selectorELNS0_4arch9wavefront6targetE0EEEvSM_
; %bb.0:
	.section	.rodata,"a",@progbits
	.p2align	6, 0x0
	.amdhsa_kernel _ZN7rocprim17ROCPRIM_400000_NS6detail17trampoline_kernelINS0_14default_configENS1_38merge_sort_block_merge_config_selectorIlNS0_10empty_typeEEEZZNS1_27merge_sort_block_merge_implIS3_PlPS5_mZN2at6native12_GLOBAL__N_124unique_dim_cuda_templateIiEESt5tupleIJNSA_6TensorESF_SF_EERKSF_lbbbEUlllE_EE10hipError_tT0_T1_T2_jT3_P12ihipStream_tbPNSt15iterator_traitsISL_E10value_typeEPNSR_ISM_E10value_typeEPSN_NS1_7vsmem_tEENKUlT_SL_SM_SN_E_clIS8_S8_S9_S9_EESK_S10_SL_SM_SN_EUlS10_E_NS1_11comp_targetILNS1_3genE3ELNS1_11target_archE908ELNS1_3gpuE7ELNS1_3repE0EEENS1_48merge_mergepath_partition_config_static_selectorELNS0_4arch9wavefront6targetE0EEEvSM_
		.amdhsa_group_segment_fixed_size 0
		.amdhsa_private_segment_fixed_size 0
		.amdhsa_kernarg_size 56
		.amdhsa_user_sgpr_count 15
		.amdhsa_user_sgpr_dispatch_ptr 0
		.amdhsa_user_sgpr_queue_ptr 0
		.amdhsa_user_sgpr_kernarg_segment_ptr 1
		.amdhsa_user_sgpr_dispatch_id 0
		.amdhsa_user_sgpr_private_segment_size 0
		.amdhsa_wavefront_size32 1
		.amdhsa_uses_dynamic_stack 0
		.amdhsa_enable_private_segment 0
		.amdhsa_system_sgpr_workgroup_id_x 1
		.amdhsa_system_sgpr_workgroup_id_y 0
		.amdhsa_system_sgpr_workgroup_id_z 0
		.amdhsa_system_sgpr_workgroup_info 0
		.amdhsa_system_vgpr_workitem_id 0
		.amdhsa_next_free_vgpr 1
		.amdhsa_next_free_sgpr 1
		.amdhsa_reserve_vcc 0
		.amdhsa_float_round_mode_32 0
		.amdhsa_float_round_mode_16_64 0
		.amdhsa_float_denorm_mode_32 3
		.amdhsa_float_denorm_mode_16_64 3
		.amdhsa_dx10_clamp 1
		.amdhsa_ieee_mode 1
		.amdhsa_fp16_overflow 0
		.amdhsa_workgroup_processor_mode 1
		.amdhsa_memory_ordered 1
		.amdhsa_forward_progress 0
		.amdhsa_shared_vgpr_count 0
		.amdhsa_exception_fp_ieee_invalid_op 0
		.amdhsa_exception_fp_denorm_src 0
		.amdhsa_exception_fp_ieee_div_zero 0
		.amdhsa_exception_fp_ieee_overflow 0
		.amdhsa_exception_fp_ieee_underflow 0
		.amdhsa_exception_fp_ieee_inexact 0
		.amdhsa_exception_int_div_zero 0
	.end_amdhsa_kernel
	.section	.text._ZN7rocprim17ROCPRIM_400000_NS6detail17trampoline_kernelINS0_14default_configENS1_38merge_sort_block_merge_config_selectorIlNS0_10empty_typeEEEZZNS1_27merge_sort_block_merge_implIS3_PlPS5_mZN2at6native12_GLOBAL__N_124unique_dim_cuda_templateIiEESt5tupleIJNSA_6TensorESF_SF_EERKSF_lbbbEUlllE_EE10hipError_tT0_T1_T2_jT3_P12ihipStream_tbPNSt15iterator_traitsISL_E10value_typeEPNSR_ISM_E10value_typeEPSN_NS1_7vsmem_tEENKUlT_SL_SM_SN_E_clIS8_S8_S9_S9_EESK_S10_SL_SM_SN_EUlS10_E_NS1_11comp_targetILNS1_3genE3ELNS1_11target_archE908ELNS1_3gpuE7ELNS1_3repE0EEENS1_48merge_mergepath_partition_config_static_selectorELNS0_4arch9wavefront6targetE0EEEvSM_,"axG",@progbits,_ZN7rocprim17ROCPRIM_400000_NS6detail17trampoline_kernelINS0_14default_configENS1_38merge_sort_block_merge_config_selectorIlNS0_10empty_typeEEEZZNS1_27merge_sort_block_merge_implIS3_PlPS5_mZN2at6native12_GLOBAL__N_124unique_dim_cuda_templateIiEESt5tupleIJNSA_6TensorESF_SF_EERKSF_lbbbEUlllE_EE10hipError_tT0_T1_T2_jT3_P12ihipStream_tbPNSt15iterator_traitsISL_E10value_typeEPNSR_ISM_E10value_typeEPSN_NS1_7vsmem_tEENKUlT_SL_SM_SN_E_clIS8_S8_S9_S9_EESK_S10_SL_SM_SN_EUlS10_E_NS1_11comp_targetILNS1_3genE3ELNS1_11target_archE908ELNS1_3gpuE7ELNS1_3repE0EEENS1_48merge_mergepath_partition_config_static_selectorELNS0_4arch9wavefront6targetE0EEEvSM_,comdat
.Lfunc_end396:
	.size	_ZN7rocprim17ROCPRIM_400000_NS6detail17trampoline_kernelINS0_14default_configENS1_38merge_sort_block_merge_config_selectorIlNS0_10empty_typeEEEZZNS1_27merge_sort_block_merge_implIS3_PlPS5_mZN2at6native12_GLOBAL__N_124unique_dim_cuda_templateIiEESt5tupleIJNSA_6TensorESF_SF_EERKSF_lbbbEUlllE_EE10hipError_tT0_T1_T2_jT3_P12ihipStream_tbPNSt15iterator_traitsISL_E10value_typeEPNSR_ISM_E10value_typeEPSN_NS1_7vsmem_tEENKUlT_SL_SM_SN_E_clIS8_S8_S9_S9_EESK_S10_SL_SM_SN_EUlS10_E_NS1_11comp_targetILNS1_3genE3ELNS1_11target_archE908ELNS1_3gpuE7ELNS1_3repE0EEENS1_48merge_mergepath_partition_config_static_selectorELNS0_4arch9wavefront6targetE0EEEvSM_, .Lfunc_end396-_ZN7rocprim17ROCPRIM_400000_NS6detail17trampoline_kernelINS0_14default_configENS1_38merge_sort_block_merge_config_selectorIlNS0_10empty_typeEEEZZNS1_27merge_sort_block_merge_implIS3_PlPS5_mZN2at6native12_GLOBAL__N_124unique_dim_cuda_templateIiEESt5tupleIJNSA_6TensorESF_SF_EERKSF_lbbbEUlllE_EE10hipError_tT0_T1_T2_jT3_P12ihipStream_tbPNSt15iterator_traitsISL_E10value_typeEPNSR_ISM_E10value_typeEPSN_NS1_7vsmem_tEENKUlT_SL_SM_SN_E_clIS8_S8_S9_S9_EESK_S10_SL_SM_SN_EUlS10_E_NS1_11comp_targetILNS1_3genE3ELNS1_11target_archE908ELNS1_3gpuE7ELNS1_3repE0EEENS1_48merge_mergepath_partition_config_static_selectorELNS0_4arch9wavefront6targetE0EEEvSM_
                                        ; -- End function
	.section	.AMDGPU.csdata,"",@progbits
; Kernel info:
; codeLenInByte = 0
; NumSgprs: 0
; NumVgprs: 0
; ScratchSize: 0
; MemoryBound: 0
; FloatMode: 240
; IeeeMode: 1
; LDSByteSize: 0 bytes/workgroup (compile time only)
; SGPRBlocks: 0
; VGPRBlocks: 0
; NumSGPRsForWavesPerEU: 1
; NumVGPRsForWavesPerEU: 1
; Occupancy: 16
; WaveLimiterHint : 0
; COMPUTE_PGM_RSRC2:SCRATCH_EN: 0
; COMPUTE_PGM_RSRC2:USER_SGPR: 15
; COMPUTE_PGM_RSRC2:TRAP_HANDLER: 0
; COMPUTE_PGM_RSRC2:TGID_X_EN: 1
; COMPUTE_PGM_RSRC2:TGID_Y_EN: 0
; COMPUTE_PGM_RSRC2:TGID_Z_EN: 0
; COMPUTE_PGM_RSRC2:TIDIG_COMP_CNT: 0
	.section	.text._ZN7rocprim17ROCPRIM_400000_NS6detail17trampoline_kernelINS0_14default_configENS1_38merge_sort_block_merge_config_selectorIlNS0_10empty_typeEEEZZNS1_27merge_sort_block_merge_implIS3_PlPS5_mZN2at6native12_GLOBAL__N_124unique_dim_cuda_templateIiEESt5tupleIJNSA_6TensorESF_SF_EERKSF_lbbbEUlllE_EE10hipError_tT0_T1_T2_jT3_P12ihipStream_tbPNSt15iterator_traitsISL_E10value_typeEPNSR_ISM_E10value_typeEPSN_NS1_7vsmem_tEENKUlT_SL_SM_SN_E_clIS8_S8_S9_S9_EESK_S10_SL_SM_SN_EUlS10_E_NS1_11comp_targetILNS1_3genE2ELNS1_11target_archE906ELNS1_3gpuE6ELNS1_3repE0EEENS1_48merge_mergepath_partition_config_static_selectorELNS0_4arch9wavefront6targetE0EEEvSM_,"axG",@progbits,_ZN7rocprim17ROCPRIM_400000_NS6detail17trampoline_kernelINS0_14default_configENS1_38merge_sort_block_merge_config_selectorIlNS0_10empty_typeEEEZZNS1_27merge_sort_block_merge_implIS3_PlPS5_mZN2at6native12_GLOBAL__N_124unique_dim_cuda_templateIiEESt5tupleIJNSA_6TensorESF_SF_EERKSF_lbbbEUlllE_EE10hipError_tT0_T1_T2_jT3_P12ihipStream_tbPNSt15iterator_traitsISL_E10value_typeEPNSR_ISM_E10value_typeEPSN_NS1_7vsmem_tEENKUlT_SL_SM_SN_E_clIS8_S8_S9_S9_EESK_S10_SL_SM_SN_EUlS10_E_NS1_11comp_targetILNS1_3genE2ELNS1_11target_archE906ELNS1_3gpuE6ELNS1_3repE0EEENS1_48merge_mergepath_partition_config_static_selectorELNS0_4arch9wavefront6targetE0EEEvSM_,comdat
	.globl	_ZN7rocprim17ROCPRIM_400000_NS6detail17trampoline_kernelINS0_14default_configENS1_38merge_sort_block_merge_config_selectorIlNS0_10empty_typeEEEZZNS1_27merge_sort_block_merge_implIS3_PlPS5_mZN2at6native12_GLOBAL__N_124unique_dim_cuda_templateIiEESt5tupleIJNSA_6TensorESF_SF_EERKSF_lbbbEUlllE_EE10hipError_tT0_T1_T2_jT3_P12ihipStream_tbPNSt15iterator_traitsISL_E10value_typeEPNSR_ISM_E10value_typeEPSN_NS1_7vsmem_tEENKUlT_SL_SM_SN_E_clIS8_S8_S9_S9_EESK_S10_SL_SM_SN_EUlS10_E_NS1_11comp_targetILNS1_3genE2ELNS1_11target_archE906ELNS1_3gpuE6ELNS1_3repE0EEENS1_48merge_mergepath_partition_config_static_selectorELNS0_4arch9wavefront6targetE0EEEvSM_ ; -- Begin function _ZN7rocprim17ROCPRIM_400000_NS6detail17trampoline_kernelINS0_14default_configENS1_38merge_sort_block_merge_config_selectorIlNS0_10empty_typeEEEZZNS1_27merge_sort_block_merge_implIS3_PlPS5_mZN2at6native12_GLOBAL__N_124unique_dim_cuda_templateIiEESt5tupleIJNSA_6TensorESF_SF_EERKSF_lbbbEUlllE_EE10hipError_tT0_T1_T2_jT3_P12ihipStream_tbPNSt15iterator_traitsISL_E10value_typeEPNSR_ISM_E10value_typeEPSN_NS1_7vsmem_tEENKUlT_SL_SM_SN_E_clIS8_S8_S9_S9_EESK_S10_SL_SM_SN_EUlS10_E_NS1_11comp_targetILNS1_3genE2ELNS1_11target_archE906ELNS1_3gpuE6ELNS1_3repE0EEENS1_48merge_mergepath_partition_config_static_selectorELNS0_4arch9wavefront6targetE0EEEvSM_
	.p2align	8
	.type	_ZN7rocprim17ROCPRIM_400000_NS6detail17trampoline_kernelINS0_14default_configENS1_38merge_sort_block_merge_config_selectorIlNS0_10empty_typeEEEZZNS1_27merge_sort_block_merge_implIS3_PlPS5_mZN2at6native12_GLOBAL__N_124unique_dim_cuda_templateIiEESt5tupleIJNSA_6TensorESF_SF_EERKSF_lbbbEUlllE_EE10hipError_tT0_T1_T2_jT3_P12ihipStream_tbPNSt15iterator_traitsISL_E10value_typeEPNSR_ISM_E10value_typeEPSN_NS1_7vsmem_tEENKUlT_SL_SM_SN_E_clIS8_S8_S9_S9_EESK_S10_SL_SM_SN_EUlS10_E_NS1_11comp_targetILNS1_3genE2ELNS1_11target_archE906ELNS1_3gpuE6ELNS1_3repE0EEENS1_48merge_mergepath_partition_config_static_selectorELNS0_4arch9wavefront6targetE0EEEvSM_,@function
_ZN7rocprim17ROCPRIM_400000_NS6detail17trampoline_kernelINS0_14default_configENS1_38merge_sort_block_merge_config_selectorIlNS0_10empty_typeEEEZZNS1_27merge_sort_block_merge_implIS3_PlPS5_mZN2at6native12_GLOBAL__N_124unique_dim_cuda_templateIiEESt5tupleIJNSA_6TensorESF_SF_EERKSF_lbbbEUlllE_EE10hipError_tT0_T1_T2_jT3_P12ihipStream_tbPNSt15iterator_traitsISL_E10value_typeEPNSR_ISM_E10value_typeEPSN_NS1_7vsmem_tEENKUlT_SL_SM_SN_E_clIS8_S8_S9_S9_EESK_S10_SL_SM_SN_EUlS10_E_NS1_11comp_targetILNS1_3genE2ELNS1_11target_archE906ELNS1_3gpuE6ELNS1_3repE0EEENS1_48merge_mergepath_partition_config_static_selectorELNS0_4arch9wavefront6targetE0EEEvSM_: ; @_ZN7rocprim17ROCPRIM_400000_NS6detail17trampoline_kernelINS0_14default_configENS1_38merge_sort_block_merge_config_selectorIlNS0_10empty_typeEEEZZNS1_27merge_sort_block_merge_implIS3_PlPS5_mZN2at6native12_GLOBAL__N_124unique_dim_cuda_templateIiEESt5tupleIJNSA_6TensorESF_SF_EERKSF_lbbbEUlllE_EE10hipError_tT0_T1_T2_jT3_P12ihipStream_tbPNSt15iterator_traitsISL_E10value_typeEPNSR_ISM_E10value_typeEPSN_NS1_7vsmem_tEENKUlT_SL_SM_SN_E_clIS8_S8_S9_S9_EESK_S10_SL_SM_SN_EUlS10_E_NS1_11comp_targetILNS1_3genE2ELNS1_11target_archE906ELNS1_3gpuE6ELNS1_3repE0EEENS1_48merge_mergepath_partition_config_static_selectorELNS0_4arch9wavefront6targetE0EEEvSM_
; %bb.0:
	.section	.rodata,"a",@progbits
	.p2align	6, 0x0
	.amdhsa_kernel _ZN7rocprim17ROCPRIM_400000_NS6detail17trampoline_kernelINS0_14default_configENS1_38merge_sort_block_merge_config_selectorIlNS0_10empty_typeEEEZZNS1_27merge_sort_block_merge_implIS3_PlPS5_mZN2at6native12_GLOBAL__N_124unique_dim_cuda_templateIiEESt5tupleIJNSA_6TensorESF_SF_EERKSF_lbbbEUlllE_EE10hipError_tT0_T1_T2_jT3_P12ihipStream_tbPNSt15iterator_traitsISL_E10value_typeEPNSR_ISM_E10value_typeEPSN_NS1_7vsmem_tEENKUlT_SL_SM_SN_E_clIS8_S8_S9_S9_EESK_S10_SL_SM_SN_EUlS10_E_NS1_11comp_targetILNS1_3genE2ELNS1_11target_archE906ELNS1_3gpuE6ELNS1_3repE0EEENS1_48merge_mergepath_partition_config_static_selectorELNS0_4arch9wavefront6targetE0EEEvSM_
		.amdhsa_group_segment_fixed_size 0
		.amdhsa_private_segment_fixed_size 0
		.amdhsa_kernarg_size 56
		.amdhsa_user_sgpr_count 15
		.amdhsa_user_sgpr_dispatch_ptr 0
		.amdhsa_user_sgpr_queue_ptr 0
		.amdhsa_user_sgpr_kernarg_segment_ptr 1
		.amdhsa_user_sgpr_dispatch_id 0
		.amdhsa_user_sgpr_private_segment_size 0
		.amdhsa_wavefront_size32 1
		.amdhsa_uses_dynamic_stack 0
		.amdhsa_enable_private_segment 0
		.amdhsa_system_sgpr_workgroup_id_x 1
		.amdhsa_system_sgpr_workgroup_id_y 0
		.amdhsa_system_sgpr_workgroup_id_z 0
		.amdhsa_system_sgpr_workgroup_info 0
		.amdhsa_system_vgpr_workitem_id 0
		.amdhsa_next_free_vgpr 1
		.amdhsa_next_free_sgpr 1
		.amdhsa_reserve_vcc 0
		.amdhsa_float_round_mode_32 0
		.amdhsa_float_round_mode_16_64 0
		.amdhsa_float_denorm_mode_32 3
		.amdhsa_float_denorm_mode_16_64 3
		.amdhsa_dx10_clamp 1
		.amdhsa_ieee_mode 1
		.amdhsa_fp16_overflow 0
		.amdhsa_workgroup_processor_mode 1
		.amdhsa_memory_ordered 1
		.amdhsa_forward_progress 0
		.amdhsa_shared_vgpr_count 0
		.amdhsa_exception_fp_ieee_invalid_op 0
		.amdhsa_exception_fp_denorm_src 0
		.amdhsa_exception_fp_ieee_div_zero 0
		.amdhsa_exception_fp_ieee_overflow 0
		.amdhsa_exception_fp_ieee_underflow 0
		.amdhsa_exception_fp_ieee_inexact 0
		.amdhsa_exception_int_div_zero 0
	.end_amdhsa_kernel
	.section	.text._ZN7rocprim17ROCPRIM_400000_NS6detail17trampoline_kernelINS0_14default_configENS1_38merge_sort_block_merge_config_selectorIlNS0_10empty_typeEEEZZNS1_27merge_sort_block_merge_implIS3_PlPS5_mZN2at6native12_GLOBAL__N_124unique_dim_cuda_templateIiEESt5tupleIJNSA_6TensorESF_SF_EERKSF_lbbbEUlllE_EE10hipError_tT0_T1_T2_jT3_P12ihipStream_tbPNSt15iterator_traitsISL_E10value_typeEPNSR_ISM_E10value_typeEPSN_NS1_7vsmem_tEENKUlT_SL_SM_SN_E_clIS8_S8_S9_S9_EESK_S10_SL_SM_SN_EUlS10_E_NS1_11comp_targetILNS1_3genE2ELNS1_11target_archE906ELNS1_3gpuE6ELNS1_3repE0EEENS1_48merge_mergepath_partition_config_static_selectorELNS0_4arch9wavefront6targetE0EEEvSM_,"axG",@progbits,_ZN7rocprim17ROCPRIM_400000_NS6detail17trampoline_kernelINS0_14default_configENS1_38merge_sort_block_merge_config_selectorIlNS0_10empty_typeEEEZZNS1_27merge_sort_block_merge_implIS3_PlPS5_mZN2at6native12_GLOBAL__N_124unique_dim_cuda_templateIiEESt5tupleIJNSA_6TensorESF_SF_EERKSF_lbbbEUlllE_EE10hipError_tT0_T1_T2_jT3_P12ihipStream_tbPNSt15iterator_traitsISL_E10value_typeEPNSR_ISM_E10value_typeEPSN_NS1_7vsmem_tEENKUlT_SL_SM_SN_E_clIS8_S8_S9_S9_EESK_S10_SL_SM_SN_EUlS10_E_NS1_11comp_targetILNS1_3genE2ELNS1_11target_archE906ELNS1_3gpuE6ELNS1_3repE0EEENS1_48merge_mergepath_partition_config_static_selectorELNS0_4arch9wavefront6targetE0EEEvSM_,comdat
.Lfunc_end397:
	.size	_ZN7rocprim17ROCPRIM_400000_NS6detail17trampoline_kernelINS0_14default_configENS1_38merge_sort_block_merge_config_selectorIlNS0_10empty_typeEEEZZNS1_27merge_sort_block_merge_implIS3_PlPS5_mZN2at6native12_GLOBAL__N_124unique_dim_cuda_templateIiEESt5tupleIJNSA_6TensorESF_SF_EERKSF_lbbbEUlllE_EE10hipError_tT0_T1_T2_jT3_P12ihipStream_tbPNSt15iterator_traitsISL_E10value_typeEPNSR_ISM_E10value_typeEPSN_NS1_7vsmem_tEENKUlT_SL_SM_SN_E_clIS8_S8_S9_S9_EESK_S10_SL_SM_SN_EUlS10_E_NS1_11comp_targetILNS1_3genE2ELNS1_11target_archE906ELNS1_3gpuE6ELNS1_3repE0EEENS1_48merge_mergepath_partition_config_static_selectorELNS0_4arch9wavefront6targetE0EEEvSM_, .Lfunc_end397-_ZN7rocprim17ROCPRIM_400000_NS6detail17trampoline_kernelINS0_14default_configENS1_38merge_sort_block_merge_config_selectorIlNS0_10empty_typeEEEZZNS1_27merge_sort_block_merge_implIS3_PlPS5_mZN2at6native12_GLOBAL__N_124unique_dim_cuda_templateIiEESt5tupleIJNSA_6TensorESF_SF_EERKSF_lbbbEUlllE_EE10hipError_tT0_T1_T2_jT3_P12ihipStream_tbPNSt15iterator_traitsISL_E10value_typeEPNSR_ISM_E10value_typeEPSN_NS1_7vsmem_tEENKUlT_SL_SM_SN_E_clIS8_S8_S9_S9_EESK_S10_SL_SM_SN_EUlS10_E_NS1_11comp_targetILNS1_3genE2ELNS1_11target_archE906ELNS1_3gpuE6ELNS1_3repE0EEENS1_48merge_mergepath_partition_config_static_selectorELNS0_4arch9wavefront6targetE0EEEvSM_
                                        ; -- End function
	.section	.AMDGPU.csdata,"",@progbits
; Kernel info:
; codeLenInByte = 0
; NumSgprs: 0
; NumVgprs: 0
; ScratchSize: 0
; MemoryBound: 0
; FloatMode: 240
; IeeeMode: 1
; LDSByteSize: 0 bytes/workgroup (compile time only)
; SGPRBlocks: 0
; VGPRBlocks: 0
; NumSGPRsForWavesPerEU: 1
; NumVGPRsForWavesPerEU: 1
; Occupancy: 16
; WaveLimiterHint : 0
; COMPUTE_PGM_RSRC2:SCRATCH_EN: 0
; COMPUTE_PGM_RSRC2:USER_SGPR: 15
; COMPUTE_PGM_RSRC2:TRAP_HANDLER: 0
; COMPUTE_PGM_RSRC2:TGID_X_EN: 1
; COMPUTE_PGM_RSRC2:TGID_Y_EN: 0
; COMPUTE_PGM_RSRC2:TGID_Z_EN: 0
; COMPUTE_PGM_RSRC2:TIDIG_COMP_CNT: 0
	.section	.text._ZN7rocprim17ROCPRIM_400000_NS6detail17trampoline_kernelINS0_14default_configENS1_38merge_sort_block_merge_config_selectorIlNS0_10empty_typeEEEZZNS1_27merge_sort_block_merge_implIS3_PlPS5_mZN2at6native12_GLOBAL__N_124unique_dim_cuda_templateIiEESt5tupleIJNSA_6TensorESF_SF_EERKSF_lbbbEUlllE_EE10hipError_tT0_T1_T2_jT3_P12ihipStream_tbPNSt15iterator_traitsISL_E10value_typeEPNSR_ISM_E10value_typeEPSN_NS1_7vsmem_tEENKUlT_SL_SM_SN_E_clIS8_S8_S9_S9_EESK_S10_SL_SM_SN_EUlS10_E_NS1_11comp_targetILNS1_3genE9ELNS1_11target_archE1100ELNS1_3gpuE3ELNS1_3repE0EEENS1_48merge_mergepath_partition_config_static_selectorELNS0_4arch9wavefront6targetE0EEEvSM_,"axG",@progbits,_ZN7rocprim17ROCPRIM_400000_NS6detail17trampoline_kernelINS0_14default_configENS1_38merge_sort_block_merge_config_selectorIlNS0_10empty_typeEEEZZNS1_27merge_sort_block_merge_implIS3_PlPS5_mZN2at6native12_GLOBAL__N_124unique_dim_cuda_templateIiEESt5tupleIJNSA_6TensorESF_SF_EERKSF_lbbbEUlllE_EE10hipError_tT0_T1_T2_jT3_P12ihipStream_tbPNSt15iterator_traitsISL_E10value_typeEPNSR_ISM_E10value_typeEPSN_NS1_7vsmem_tEENKUlT_SL_SM_SN_E_clIS8_S8_S9_S9_EESK_S10_SL_SM_SN_EUlS10_E_NS1_11comp_targetILNS1_3genE9ELNS1_11target_archE1100ELNS1_3gpuE3ELNS1_3repE0EEENS1_48merge_mergepath_partition_config_static_selectorELNS0_4arch9wavefront6targetE0EEEvSM_,comdat
	.globl	_ZN7rocprim17ROCPRIM_400000_NS6detail17trampoline_kernelINS0_14default_configENS1_38merge_sort_block_merge_config_selectorIlNS0_10empty_typeEEEZZNS1_27merge_sort_block_merge_implIS3_PlPS5_mZN2at6native12_GLOBAL__N_124unique_dim_cuda_templateIiEESt5tupleIJNSA_6TensorESF_SF_EERKSF_lbbbEUlllE_EE10hipError_tT0_T1_T2_jT3_P12ihipStream_tbPNSt15iterator_traitsISL_E10value_typeEPNSR_ISM_E10value_typeEPSN_NS1_7vsmem_tEENKUlT_SL_SM_SN_E_clIS8_S8_S9_S9_EESK_S10_SL_SM_SN_EUlS10_E_NS1_11comp_targetILNS1_3genE9ELNS1_11target_archE1100ELNS1_3gpuE3ELNS1_3repE0EEENS1_48merge_mergepath_partition_config_static_selectorELNS0_4arch9wavefront6targetE0EEEvSM_ ; -- Begin function _ZN7rocprim17ROCPRIM_400000_NS6detail17trampoline_kernelINS0_14default_configENS1_38merge_sort_block_merge_config_selectorIlNS0_10empty_typeEEEZZNS1_27merge_sort_block_merge_implIS3_PlPS5_mZN2at6native12_GLOBAL__N_124unique_dim_cuda_templateIiEESt5tupleIJNSA_6TensorESF_SF_EERKSF_lbbbEUlllE_EE10hipError_tT0_T1_T2_jT3_P12ihipStream_tbPNSt15iterator_traitsISL_E10value_typeEPNSR_ISM_E10value_typeEPSN_NS1_7vsmem_tEENKUlT_SL_SM_SN_E_clIS8_S8_S9_S9_EESK_S10_SL_SM_SN_EUlS10_E_NS1_11comp_targetILNS1_3genE9ELNS1_11target_archE1100ELNS1_3gpuE3ELNS1_3repE0EEENS1_48merge_mergepath_partition_config_static_selectorELNS0_4arch9wavefront6targetE0EEEvSM_
	.p2align	8
	.type	_ZN7rocprim17ROCPRIM_400000_NS6detail17trampoline_kernelINS0_14default_configENS1_38merge_sort_block_merge_config_selectorIlNS0_10empty_typeEEEZZNS1_27merge_sort_block_merge_implIS3_PlPS5_mZN2at6native12_GLOBAL__N_124unique_dim_cuda_templateIiEESt5tupleIJNSA_6TensorESF_SF_EERKSF_lbbbEUlllE_EE10hipError_tT0_T1_T2_jT3_P12ihipStream_tbPNSt15iterator_traitsISL_E10value_typeEPNSR_ISM_E10value_typeEPSN_NS1_7vsmem_tEENKUlT_SL_SM_SN_E_clIS8_S8_S9_S9_EESK_S10_SL_SM_SN_EUlS10_E_NS1_11comp_targetILNS1_3genE9ELNS1_11target_archE1100ELNS1_3gpuE3ELNS1_3repE0EEENS1_48merge_mergepath_partition_config_static_selectorELNS0_4arch9wavefront6targetE0EEEvSM_,@function
_ZN7rocprim17ROCPRIM_400000_NS6detail17trampoline_kernelINS0_14default_configENS1_38merge_sort_block_merge_config_selectorIlNS0_10empty_typeEEEZZNS1_27merge_sort_block_merge_implIS3_PlPS5_mZN2at6native12_GLOBAL__N_124unique_dim_cuda_templateIiEESt5tupleIJNSA_6TensorESF_SF_EERKSF_lbbbEUlllE_EE10hipError_tT0_T1_T2_jT3_P12ihipStream_tbPNSt15iterator_traitsISL_E10value_typeEPNSR_ISM_E10value_typeEPSN_NS1_7vsmem_tEENKUlT_SL_SM_SN_E_clIS8_S8_S9_S9_EESK_S10_SL_SM_SN_EUlS10_E_NS1_11comp_targetILNS1_3genE9ELNS1_11target_archE1100ELNS1_3gpuE3ELNS1_3repE0EEENS1_48merge_mergepath_partition_config_static_selectorELNS0_4arch9wavefront6targetE0EEEvSM_: ; @_ZN7rocprim17ROCPRIM_400000_NS6detail17trampoline_kernelINS0_14default_configENS1_38merge_sort_block_merge_config_selectorIlNS0_10empty_typeEEEZZNS1_27merge_sort_block_merge_implIS3_PlPS5_mZN2at6native12_GLOBAL__N_124unique_dim_cuda_templateIiEESt5tupleIJNSA_6TensorESF_SF_EERKSF_lbbbEUlllE_EE10hipError_tT0_T1_T2_jT3_P12ihipStream_tbPNSt15iterator_traitsISL_E10value_typeEPNSR_ISM_E10value_typeEPSN_NS1_7vsmem_tEENKUlT_SL_SM_SN_E_clIS8_S8_S9_S9_EESK_S10_SL_SM_SN_EUlS10_E_NS1_11comp_targetILNS1_3genE9ELNS1_11target_archE1100ELNS1_3gpuE3ELNS1_3repE0EEENS1_48merge_mergepath_partition_config_static_selectorELNS0_4arch9wavefront6targetE0EEEvSM_
; %bb.0:
	s_load_b32 s2, s[0:1], 0x0
	v_lshl_or_b32 v0, s15, 7, v0
	s_waitcnt lgkmcnt(0)
	s_delay_alu instid0(VALU_DEP_1)
	v_cmp_gt_u32_e32 vcc_lo, s2, v0
	s_and_saveexec_b32 s2, vcc_lo
	s_cbranch_execz .LBB398_13
; %bb.1:
	s_load_b128 s[4:7], s[0:1], 0x8
	s_mov_b32 s12, 0
	v_mov_b32_e32 v2, 0
	s_waitcnt lgkmcnt(0)
	v_alignbit_b32 v1, s5, s4, 9
	s_delay_alu instid0(VALU_DEP_1) | instskip(NEXT) | instid1(VALU_DEP_1)
	v_and_b32_e32 v3, -2, v1
	v_sub_nc_u32_e32 v1, 0, v3
	s_delay_alu instid0(VALU_DEP_1) | instskip(NEXT) | instid1(VALU_DEP_1)
	v_and_b32_e32 v1, v0, v1
	v_lshlrev_b64 v[4:5], 10, v[1:2]
	v_add_nc_u32_e32 v1, -1, v3
	s_delay_alu instid0(VALU_DEP_1) | instskip(NEXT) | instid1(VALU_DEP_3)
	v_dual_mov_b32 v11, v2 :: v_dual_and_b32 v10, v1, v0
	v_add_co_u32 v6, vcc_lo, v4, s4
	s_delay_alu instid0(VALU_DEP_4) | instskip(NEXT) | instid1(VALU_DEP_1)
	v_add_co_ci_u32_e32 v7, vcc_lo, s5, v5, vcc_lo
	v_cmp_lt_u64_e32 vcc_lo, s[6:7], v[6:7]
	v_cndmask_b32_e64 v8, v6, s6, vcc_lo
	v_cndmask_b32_e64 v9, v7, s7, vcc_lo
	s_delay_alu instid0(VALU_DEP_2) | instskip(NEXT) | instid1(VALU_DEP_2)
	v_add_co_u32 v6, vcc_lo, v8, s4
	v_add_co_ci_u32_e32 v7, vcc_lo, s5, v9, vcc_lo
	v_cmp_lt_u64_e32 vcc_lo, s[6:7], v[4:5]
	s_delay_alu instid0(VALU_DEP_2) | instskip(SKIP_3) | instid1(VALU_DEP_4)
	v_cmp_lt_u64_e64 s2, s[6:7], v[6:7]
	v_cndmask_b32_e64 v2, v4, s6, vcc_lo
	v_cndmask_b32_e64 v3, v5, s7, vcc_lo
	v_lshlrev_b64 v[4:5], 10, v[10:11]
	v_cndmask_b32_e64 v12, v6, s6, s2
	v_cndmask_b32_e64 v1, v7, s7, s2
	s_load_b256 s[4:11], s[0:1], 0x18
	s_mov_b32 s1, exec_lo
	s_delay_alu instid0(VALU_DEP_2) | instskip(NEXT) | instid1(VALU_DEP_2)
	v_sub_co_u32 v6, vcc_lo, v12, v2
	v_sub_co_ci_u32_e32 v7, vcc_lo, v1, v3, vcc_lo
	s_delay_alu instid0(VALU_DEP_1) | instskip(SKIP_3) | instid1(VALU_DEP_2)
	v_cmp_lt_u64_e32 vcc_lo, v[6:7], v[4:5]
	v_dual_cndmask_b32 v11, v5, v7 :: v_dual_cndmask_b32 v10, v4, v6
	v_sub_co_u32 v4, vcc_lo, v8, v12
	v_sub_co_ci_u32_e32 v1, vcc_lo, v9, v1, vcc_lo
	v_add_co_u32 v4, vcc_lo, v10, v4
	s_delay_alu instid0(VALU_DEP_2) | instskip(SKIP_2) | instid1(VALU_DEP_3)
	v_add_co_ci_u32_e32 v5, vcc_lo, v11, v1, vcc_lo
	v_sub_co_u32 v6, vcc_lo, v8, v2
	v_sub_co_ci_u32_e32 v7, vcc_lo, v9, v3, vcc_lo
	v_cmp_gt_u64_e32 vcc_lo, v[4:5], v[10:11]
	s_delay_alu instid0(VALU_DEP_2) | instskip(SKIP_2) | instid1(VALU_DEP_3)
	v_cmp_lt_u64_e64 s0, v[10:11], v[6:7]
	v_cndmask_b32_e64 v5, v5, 0, vcc_lo
	v_cndmask_b32_e64 v4, v4, 0, vcc_lo
	v_cndmask_b32_e64 v7, v7, v11, s0
	v_cndmask_b32_e64 v6, v6, v10, s0
	s_delay_alu instid0(VALU_DEP_1)
	v_cmpx_lt_u64_e64 v[4:5], v[6:7]
	s_cbranch_execz .LBB398_12
; %bb.2:
	v_lshlrev_b64 v[8:9], 3, v[8:9]
	v_lshlrev_b64 v[12:13], 3, v[2:3]
	;; [unrolled: 1-line block ×3, first 2 shown]
	s_waitcnt lgkmcnt(0)
	v_cmp_gt_i64_e64 s13, s[6:7], 0
	s_lshl_b64 s[2:3], s[6:7], 2
	v_add_co_u32 v8, vcc_lo, s4, v8
	v_add_co_ci_u32_e32 v9, vcc_lo, s5, v9, vcc_lo
	v_add_co_u32 v1, vcc_lo, s4, v12
	v_add_co_ci_u32_e32 v14, vcc_lo, s5, v13, vcc_lo
	s_delay_alu instid0(VALU_DEP_4) | instskip(NEXT) | instid1(VALU_DEP_4)
	v_add_co_u32 v15, vcc_lo, v8, v10
	v_add_co_ci_u32_e32 v16, vcc_lo, v9, v11, vcc_lo
	s_branch .LBB398_5
.LBB398_3:                              ;   in Loop: Header=BB398_5 Depth=1
	s_set_inst_prefetch_distance 0x2
	s_or_b32 exec_lo, exec_lo, s15
.LBB398_4:                              ;   in Loop: Header=BB398_5 Depth=1
	s_delay_alu instid0(VALU_DEP_1) | instskip(NEXT) | instid1(VALU_DEP_2)
	v_add_co_u32 v10, vcc_lo, v8, 1
	v_add_co_ci_u32_e32 v11, vcc_lo, 0, v9, vcc_lo
	v_cndmask_b32_e64 v7, v7, v9, s14
	v_cndmask_b32_e64 v6, v6, v8, s14
	s_delay_alu instid0(VALU_DEP_4) | instskip(NEXT) | instid1(VALU_DEP_4)
	v_cndmask_b32_e64 v4, v10, v4, s14
	v_cndmask_b32_e64 v5, v11, v5, s14
	s_delay_alu instid0(VALU_DEP_1) | instskip(SKIP_1) | instid1(SALU_CYCLE_1)
	v_cmp_ge_u64_e32 vcc_lo, v[4:5], v[6:7]
	s_or_b32 s12, vcc_lo, s12
	s_and_not1_b32 exec_lo, exec_lo, s12
	s_cbranch_execz .LBB398_11
.LBB398_5:                              ; =>This Loop Header: Depth=1
                                        ;     Child Loop BB398_8 Depth 2
	v_add_co_u32 v8, vcc_lo, v6, v4
	v_add_co_ci_u32_e32 v9, vcc_lo, v7, v5, vcc_lo
	s_and_not1_b32 vcc_lo, exec_lo, s13
	s_delay_alu instid0(VALU_DEP_1)
	v_lshrrev_b64 v[8:9], 1, v[8:9]
	s_cbranch_vccnz .LBB398_10
; %bb.6:                                ;   in Loop: Header=BB398_5 Depth=1
	s_delay_alu instid0(VALU_DEP_1) | instskip(NEXT) | instid1(VALU_DEP_2)
	v_not_b32_e32 v11, v9
	v_not_b32_e32 v10, v8
	v_lshlrev_b64 v[12:13], 3, v[8:9]
	s_mov_b32 s15, 0
	s_mov_b64 s[4:5], s[6:7]
                                        ; implicit-def: $sgpr14
                                        ; implicit-def: $sgpr16
                                        ; implicit-def: $sgpr17
                                        ; implicit-def: $sgpr18
                                        ; implicit-def: $sgpr19
	s_delay_alu instid0(VALU_DEP_2) | instskip(NEXT) | instid1(VALU_DEP_1)
	v_lshlrev_b64 v[10:11], 3, v[10:11]
	v_add_co_u32 v10, vcc_lo, v15, v10
	s_delay_alu instid0(VALU_DEP_2)
	v_add_co_ci_u32_e32 v11, vcc_lo, v16, v11, vcc_lo
	v_add_co_u32 v12, vcc_lo, v1, v12
	v_add_co_ci_u32_e32 v13, vcc_lo, v14, v13, vcc_lo
	s_clause 0x1
	global_load_b64 v[17:18], v[10:11], off
	global_load_b64 v[19:20], v[12:13], off
	s_waitcnt vmcnt(1)
	v_mul_lo_u32 v18, s2, v18
	v_mul_lo_u32 v21, s3, v17
	v_mad_u64_u32 v[10:11], null, s2, v17, s[8:9]
	s_waitcnt vmcnt(0)
	v_mul_lo_u32 v17, s2, v20
	v_mul_lo_u32 v20, s3, v19
	v_mad_u64_u32 v[12:13], null, s2, v19, s[8:9]
	s_delay_alu instid0(VALU_DEP_4) | instskip(NEXT) | instid1(VALU_DEP_2)
	v_add3_u32 v11, v21, v11, v18
	v_add3_u32 v13, v20, v13, v17
	s_set_inst_prefetch_distance 0x1
	s_branch .LBB398_8
	.p2align	6
.LBB398_7:                              ;   in Loop: Header=BB398_8 Depth=2
	s_or_b32 exec_lo, exec_lo, s0
	s_delay_alu instid0(SALU_CYCLE_1) | instskip(NEXT) | instid1(SALU_CYCLE_1)
	s_and_b32 s0, exec_lo, s16
	s_or_b32 s15, s0, s15
	s_and_not1_b32 s0, s19, exec_lo
	s_and_b32 s19, s17, exec_lo
	s_and_not1_b32 s14, s14, exec_lo
	s_and_b32 s20, s18, exec_lo
	s_or_b32 s19, s0, s19
	s_or_b32 s14, s14, s20
	s_and_not1_b32 exec_lo, exec_lo, s15
	s_cbranch_execz .LBB398_3
.LBB398_8:                              ;   Parent Loop BB398_5 Depth=1
                                        ; =>  This Inner Loop Header: Depth=2
	global_load_b32 v17, v[10:11], off
	global_load_b32 v18, v[12:13], off
	s_and_not1_b32 s18, s18, exec_lo
	s_and_not1_b32 s17, s17, exec_lo
	s_or_b32 s16, s16, exec_lo
	s_waitcnt vmcnt(0)
	v_cmp_le_i32_e32 vcc_lo, v17, v18
	v_cmp_lt_i32_e64 s0, v17, v18
	s_and_b32 s20, vcc_lo, s19
	s_delay_alu instid0(VALU_DEP_1) | instid1(SALU_CYCLE_1)
	s_or_b32 s20, s0, s20
	s_delay_alu instid0(SALU_CYCLE_1) | instskip(NEXT) | instid1(SALU_CYCLE_1)
	s_and_b32 s0, s20, exec_lo
	s_or_b32 s18, s18, s0
	s_mov_b32 s0, exec_lo
	v_cmpx_eq_u32_e64 v17, v18
	s_cbranch_execz .LBB398_7
; %bb.9:                                ;   in Loop: Header=BB398_8 Depth=2
	s_add_u32 s4, s4, -1
	s_addc_u32 s5, s5, -1
	v_add_co_u32 v10, vcc_lo, v10, 4
	s_cmp_eq_u64 s[4:5], 0
	v_add_co_ci_u32_e32 v11, vcc_lo, 0, v11, vcc_lo
	s_cselect_b32 s19, -1, 0
	v_add_co_u32 v12, vcc_lo, v12, 4
	s_and_not1_b32 s17, s17, exec_lo
	s_and_b32 s20, s20, exec_lo
	s_and_not1_b32 s16, s16, exec_lo
	s_and_b32 s19, s19, exec_lo
	v_add_co_ci_u32_e32 v13, vcc_lo, 0, v13, vcc_lo
	s_and_not1_b32 s18, s18, exec_lo
	s_or_b32 s17, s17, s20
	s_or_b32 s16, s16, s19
                                        ; implicit-def: $sgpr19
	s_branch .LBB398_7
.LBB398_10:                             ;   in Loop: Header=BB398_5 Depth=1
	s_mov_b32 s14, 0
	s_branch .LBB398_4
.LBB398_11:
	s_or_b32 exec_lo, exec_lo, s12
.LBB398_12:
	s_delay_alu instid0(SALU_CYCLE_1) | instskip(SKIP_3) | instid1(VALU_DEP_3)
	s_or_b32 exec_lo, exec_lo, s1
	v_mov_b32_e32 v1, 0
	v_add_co_u32 v2, vcc_lo, v4, v2
	v_add_co_ci_u32_e32 v3, vcc_lo, v5, v3, vcc_lo
	v_lshlrev_b64 v[0:1], 3, v[0:1]
	s_waitcnt lgkmcnt(0)
	s_delay_alu instid0(VALU_DEP_1) | instskip(NEXT) | instid1(VALU_DEP_2)
	v_add_co_u32 v0, vcc_lo, s10, v0
	v_add_co_ci_u32_e32 v1, vcc_lo, s11, v1, vcc_lo
	global_store_b64 v[0:1], v[2:3], off
.LBB398_13:
	s_nop 0
	s_sendmsg sendmsg(MSG_DEALLOC_VGPRS)
	s_endpgm
	.section	.rodata,"a",@progbits
	.p2align	6, 0x0
	.amdhsa_kernel _ZN7rocprim17ROCPRIM_400000_NS6detail17trampoline_kernelINS0_14default_configENS1_38merge_sort_block_merge_config_selectorIlNS0_10empty_typeEEEZZNS1_27merge_sort_block_merge_implIS3_PlPS5_mZN2at6native12_GLOBAL__N_124unique_dim_cuda_templateIiEESt5tupleIJNSA_6TensorESF_SF_EERKSF_lbbbEUlllE_EE10hipError_tT0_T1_T2_jT3_P12ihipStream_tbPNSt15iterator_traitsISL_E10value_typeEPNSR_ISM_E10value_typeEPSN_NS1_7vsmem_tEENKUlT_SL_SM_SN_E_clIS8_S8_S9_S9_EESK_S10_SL_SM_SN_EUlS10_E_NS1_11comp_targetILNS1_3genE9ELNS1_11target_archE1100ELNS1_3gpuE3ELNS1_3repE0EEENS1_48merge_mergepath_partition_config_static_selectorELNS0_4arch9wavefront6targetE0EEEvSM_
		.amdhsa_group_segment_fixed_size 0
		.amdhsa_private_segment_fixed_size 0
		.amdhsa_kernarg_size 56
		.amdhsa_user_sgpr_count 15
		.amdhsa_user_sgpr_dispatch_ptr 0
		.amdhsa_user_sgpr_queue_ptr 0
		.amdhsa_user_sgpr_kernarg_segment_ptr 1
		.amdhsa_user_sgpr_dispatch_id 0
		.amdhsa_user_sgpr_private_segment_size 0
		.amdhsa_wavefront_size32 1
		.amdhsa_uses_dynamic_stack 0
		.amdhsa_enable_private_segment 0
		.amdhsa_system_sgpr_workgroup_id_x 1
		.amdhsa_system_sgpr_workgroup_id_y 0
		.amdhsa_system_sgpr_workgroup_id_z 0
		.amdhsa_system_sgpr_workgroup_info 0
		.amdhsa_system_vgpr_workitem_id 0
		.amdhsa_next_free_vgpr 22
		.amdhsa_next_free_sgpr 21
		.amdhsa_reserve_vcc 1
		.amdhsa_float_round_mode_32 0
		.amdhsa_float_round_mode_16_64 0
		.amdhsa_float_denorm_mode_32 3
		.amdhsa_float_denorm_mode_16_64 3
		.amdhsa_dx10_clamp 1
		.amdhsa_ieee_mode 1
		.amdhsa_fp16_overflow 0
		.amdhsa_workgroup_processor_mode 1
		.amdhsa_memory_ordered 1
		.amdhsa_forward_progress 0
		.amdhsa_shared_vgpr_count 0
		.amdhsa_exception_fp_ieee_invalid_op 0
		.amdhsa_exception_fp_denorm_src 0
		.amdhsa_exception_fp_ieee_div_zero 0
		.amdhsa_exception_fp_ieee_overflow 0
		.amdhsa_exception_fp_ieee_underflow 0
		.amdhsa_exception_fp_ieee_inexact 0
		.amdhsa_exception_int_div_zero 0
	.end_amdhsa_kernel
	.section	.text._ZN7rocprim17ROCPRIM_400000_NS6detail17trampoline_kernelINS0_14default_configENS1_38merge_sort_block_merge_config_selectorIlNS0_10empty_typeEEEZZNS1_27merge_sort_block_merge_implIS3_PlPS5_mZN2at6native12_GLOBAL__N_124unique_dim_cuda_templateIiEESt5tupleIJNSA_6TensorESF_SF_EERKSF_lbbbEUlllE_EE10hipError_tT0_T1_T2_jT3_P12ihipStream_tbPNSt15iterator_traitsISL_E10value_typeEPNSR_ISM_E10value_typeEPSN_NS1_7vsmem_tEENKUlT_SL_SM_SN_E_clIS8_S8_S9_S9_EESK_S10_SL_SM_SN_EUlS10_E_NS1_11comp_targetILNS1_3genE9ELNS1_11target_archE1100ELNS1_3gpuE3ELNS1_3repE0EEENS1_48merge_mergepath_partition_config_static_selectorELNS0_4arch9wavefront6targetE0EEEvSM_,"axG",@progbits,_ZN7rocprim17ROCPRIM_400000_NS6detail17trampoline_kernelINS0_14default_configENS1_38merge_sort_block_merge_config_selectorIlNS0_10empty_typeEEEZZNS1_27merge_sort_block_merge_implIS3_PlPS5_mZN2at6native12_GLOBAL__N_124unique_dim_cuda_templateIiEESt5tupleIJNSA_6TensorESF_SF_EERKSF_lbbbEUlllE_EE10hipError_tT0_T1_T2_jT3_P12ihipStream_tbPNSt15iterator_traitsISL_E10value_typeEPNSR_ISM_E10value_typeEPSN_NS1_7vsmem_tEENKUlT_SL_SM_SN_E_clIS8_S8_S9_S9_EESK_S10_SL_SM_SN_EUlS10_E_NS1_11comp_targetILNS1_3genE9ELNS1_11target_archE1100ELNS1_3gpuE3ELNS1_3repE0EEENS1_48merge_mergepath_partition_config_static_selectorELNS0_4arch9wavefront6targetE0EEEvSM_,comdat
.Lfunc_end398:
	.size	_ZN7rocprim17ROCPRIM_400000_NS6detail17trampoline_kernelINS0_14default_configENS1_38merge_sort_block_merge_config_selectorIlNS0_10empty_typeEEEZZNS1_27merge_sort_block_merge_implIS3_PlPS5_mZN2at6native12_GLOBAL__N_124unique_dim_cuda_templateIiEESt5tupleIJNSA_6TensorESF_SF_EERKSF_lbbbEUlllE_EE10hipError_tT0_T1_T2_jT3_P12ihipStream_tbPNSt15iterator_traitsISL_E10value_typeEPNSR_ISM_E10value_typeEPSN_NS1_7vsmem_tEENKUlT_SL_SM_SN_E_clIS8_S8_S9_S9_EESK_S10_SL_SM_SN_EUlS10_E_NS1_11comp_targetILNS1_3genE9ELNS1_11target_archE1100ELNS1_3gpuE3ELNS1_3repE0EEENS1_48merge_mergepath_partition_config_static_selectorELNS0_4arch9wavefront6targetE0EEEvSM_, .Lfunc_end398-_ZN7rocprim17ROCPRIM_400000_NS6detail17trampoline_kernelINS0_14default_configENS1_38merge_sort_block_merge_config_selectorIlNS0_10empty_typeEEEZZNS1_27merge_sort_block_merge_implIS3_PlPS5_mZN2at6native12_GLOBAL__N_124unique_dim_cuda_templateIiEESt5tupleIJNSA_6TensorESF_SF_EERKSF_lbbbEUlllE_EE10hipError_tT0_T1_T2_jT3_P12ihipStream_tbPNSt15iterator_traitsISL_E10value_typeEPNSR_ISM_E10value_typeEPSN_NS1_7vsmem_tEENKUlT_SL_SM_SN_E_clIS8_S8_S9_S9_EESK_S10_SL_SM_SN_EUlS10_E_NS1_11comp_targetILNS1_3genE9ELNS1_11target_archE1100ELNS1_3gpuE3ELNS1_3repE0EEENS1_48merge_mergepath_partition_config_static_selectorELNS0_4arch9wavefront6targetE0EEEvSM_
                                        ; -- End function
	.section	.AMDGPU.csdata,"",@progbits
; Kernel info:
; codeLenInByte = 1020
; NumSgprs: 23
; NumVgprs: 22
; ScratchSize: 0
; MemoryBound: 0
; FloatMode: 240
; IeeeMode: 1
; LDSByteSize: 0 bytes/workgroup (compile time only)
; SGPRBlocks: 2
; VGPRBlocks: 2
; NumSGPRsForWavesPerEU: 23
; NumVGPRsForWavesPerEU: 22
; Occupancy: 16
; WaveLimiterHint : 0
; COMPUTE_PGM_RSRC2:SCRATCH_EN: 0
; COMPUTE_PGM_RSRC2:USER_SGPR: 15
; COMPUTE_PGM_RSRC2:TRAP_HANDLER: 0
; COMPUTE_PGM_RSRC2:TGID_X_EN: 1
; COMPUTE_PGM_RSRC2:TGID_Y_EN: 0
; COMPUTE_PGM_RSRC2:TGID_Z_EN: 0
; COMPUTE_PGM_RSRC2:TIDIG_COMP_CNT: 0
	.section	.text._ZN7rocprim17ROCPRIM_400000_NS6detail17trampoline_kernelINS0_14default_configENS1_38merge_sort_block_merge_config_selectorIlNS0_10empty_typeEEEZZNS1_27merge_sort_block_merge_implIS3_PlPS5_mZN2at6native12_GLOBAL__N_124unique_dim_cuda_templateIiEESt5tupleIJNSA_6TensorESF_SF_EERKSF_lbbbEUlllE_EE10hipError_tT0_T1_T2_jT3_P12ihipStream_tbPNSt15iterator_traitsISL_E10value_typeEPNSR_ISM_E10value_typeEPSN_NS1_7vsmem_tEENKUlT_SL_SM_SN_E_clIS8_S8_S9_S9_EESK_S10_SL_SM_SN_EUlS10_E_NS1_11comp_targetILNS1_3genE8ELNS1_11target_archE1030ELNS1_3gpuE2ELNS1_3repE0EEENS1_48merge_mergepath_partition_config_static_selectorELNS0_4arch9wavefront6targetE0EEEvSM_,"axG",@progbits,_ZN7rocprim17ROCPRIM_400000_NS6detail17trampoline_kernelINS0_14default_configENS1_38merge_sort_block_merge_config_selectorIlNS0_10empty_typeEEEZZNS1_27merge_sort_block_merge_implIS3_PlPS5_mZN2at6native12_GLOBAL__N_124unique_dim_cuda_templateIiEESt5tupleIJNSA_6TensorESF_SF_EERKSF_lbbbEUlllE_EE10hipError_tT0_T1_T2_jT3_P12ihipStream_tbPNSt15iterator_traitsISL_E10value_typeEPNSR_ISM_E10value_typeEPSN_NS1_7vsmem_tEENKUlT_SL_SM_SN_E_clIS8_S8_S9_S9_EESK_S10_SL_SM_SN_EUlS10_E_NS1_11comp_targetILNS1_3genE8ELNS1_11target_archE1030ELNS1_3gpuE2ELNS1_3repE0EEENS1_48merge_mergepath_partition_config_static_selectorELNS0_4arch9wavefront6targetE0EEEvSM_,comdat
	.globl	_ZN7rocprim17ROCPRIM_400000_NS6detail17trampoline_kernelINS0_14default_configENS1_38merge_sort_block_merge_config_selectorIlNS0_10empty_typeEEEZZNS1_27merge_sort_block_merge_implIS3_PlPS5_mZN2at6native12_GLOBAL__N_124unique_dim_cuda_templateIiEESt5tupleIJNSA_6TensorESF_SF_EERKSF_lbbbEUlllE_EE10hipError_tT0_T1_T2_jT3_P12ihipStream_tbPNSt15iterator_traitsISL_E10value_typeEPNSR_ISM_E10value_typeEPSN_NS1_7vsmem_tEENKUlT_SL_SM_SN_E_clIS8_S8_S9_S9_EESK_S10_SL_SM_SN_EUlS10_E_NS1_11comp_targetILNS1_3genE8ELNS1_11target_archE1030ELNS1_3gpuE2ELNS1_3repE0EEENS1_48merge_mergepath_partition_config_static_selectorELNS0_4arch9wavefront6targetE0EEEvSM_ ; -- Begin function _ZN7rocprim17ROCPRIM_400000_NS6detail17trampoline_kernelINS0_14default_configENS1_38merge_sort_block_merge_config_selectorIlNS0_10empty_typeEEEZZNS1_27merge_sort_block_merge_implIS3_PlPS5_mZN2at6native12_GLOBAL__N_124unique_dim_cuda_templateIiEESt5tupleIJNSA_6TensorESF_SF_EERKSF_lbbbEUlllE_EE10hipError_tT0_T1_T2_jT3_P12ihipStream_tbPNSt15iterator_traitsISL_E10value_typeEPNSR_ISM_E10value_typeEPSN_NS1_7vsmem_tEENKUlT_SL_SM_SN_E_clIS8_S8_S9_S9_EESK_S10_SL_SM_SN_EUlS10_E_NS1_11comp_targetILNS1_3genE8ELNS1_11target_archE1030ELNS1_3gpuE2ELNS1_3repE0EEENS1_48merge_mergepath_partition_config_static_selectorELNS0_4arch9wavefront6targetE0EEEvSM_
	.p2align	8
	.type	_ZN7rocprim17ROCPRIM_400000_NS6detail17trampoline_kernelINS0_14default_configENS1_38merge_sort_block_merge_config_selectorIlNS0_10empty_typeEEEZZNS1_27merge_sort_block_merge_implIS3_PlPS5_mZN2at6native12_GLOBAL__N_124unique_dim_cuda_templateIiEESt5tupleIJNSA_6TensorESF_SF_EERKSF_lbbbEUlllE_EE10hipError_tT0_T1_T2_jT3_P12ihipStream_tbPNSt15iterator_traitsISL_E10value_typeEPNSR_ISM_E10value_typeEPSN_NS1_7vsmem_tEENKUlT_SL_SM_SN_E_clIS8_S8_S9_S9_EESK_S10_SL_SM_SN_EUlS10_E_NS1_11comp_targetILNS1_3genE8ELNS1_11target_archE1030ELNS1_3gpuE2ELNS1_3repE0EEENS1_48merge_mergepath_partition_config_static_selectorELNS0_4arch9wavefront6targetE0EEEvSM_,@function
_ZN7rocprim17ROCPRIM_400000_NS6detail17trampoline_kernelINS0_14default_configENS1_38merge_sort_block_merge_config_selectorIlNS0_10empty_typeEEEZZNS1_27merge_sort_block_merge_implIS3_PlPS5_mZN2at6native12_GLOBAL__N_124unique_dim_cuda_templateIiEESt5tupleIJNSA_6TensorESF_SF_EERKSF_lbbbEUlllE_EE10hipError_tT0_T1_T2_jT3_P12ihipStream_tbPNSt15iterator_traitsISL_E10value_typeEPNSR_ISM_E10value_typeEPSN_NS1_7vsmem_tEENKUlT_SL_SM_SN_E_clIS8_S8_S9_S9_EESK_S10_SL_SM_SN_EUlS10_E_NS1_11comp_targetILNS1_3genE8ELNS1_11target_archE1030ELNS1_3gpuE2ELNS1_3repE0EEENS1_48merge_mergepath_partition_config_static_selectorELNS0_4arch9wavefront6targetE0EEEvSM_: ; @_ZN7rocprim17ROCPRIM_400000_NS6detail17trampoline_kernelINS0_14default_configENS1_38merge_sort_block_merge_config_selectorIlNS0_10empty_typeEEEZZNS1_27merge_sort_block_merge_implIS3_PlPS5_mZN2at6native12_GLOBAL__N_124unique_dim_cuda_templateIiEESt5tupleIJNSA_6TensorESF_SF_EERKSF_lbbbEUlllE_EE10hipError_tT0_T1_T2_jT3_P12ihipStream_tbPNSt15iterator_traitsISL_E10value_typeEPNSR_ISM_E10value_typeEPSN_NS1_7vsmem_tEENKUlT_SL_SM_SN_E_clIS8_S8_S9_S9_EESK_S10_SL_SM_SN_EUlS10_E_NS1_11comp_targetILNS1_3genE8ELNS1_11target_archE1030ELNS1_3gpuE2ELNS1_3repE0EEENS1_48merge_mergepath_partition_config_static_selectorELNS0_4arch9wavefront6targetE0EEEvSM_
; %bb.0:
	.section	.rodata,"a",@progbits
	.p2align	6, 0x0
	.amdhsa_kernel _ZN7rocprim17ROCPRIM_400000_NS6detail17trampoline_kernelINS0_14default_configENS1_38merge_sort_block_merge_config_selectorIlNS0_10empty_typeEEEZZNS1_27merge_sort_block_merge_implIS3_PlPS5_mZN2at6native12_GLOBAL__N_124unique_dim_cuda_templateIiEESt5tupleIJNSA_6TensorESF_SF_EERKSF_lbbbEUlllE_EE10hipError_tT0_T1_T2_jT3_P12ihipStream_tbPNSt15iterator_traitsISL_E10value_typeEPNSR_ISM_E10value_typeEPSN_NS1_7vsmem_tEENKUlT_SL_SM_SN_E_clIS8_S8_S9_S9_EESK_S10_SL_SM_SN_EUlS10_E_NS1_11comp_targetILNS1_3genE8ELNS1_11target_archE1030ELNS1_3gpuE2ELNS1_3repE0EEENS1_48merge_mergepath_partition_config_static_selectorELNS0_4arch9wavefront6targetE0EEEvSM_
		.amdhsa_group_segment_fixed_size 0
		.amdhsa_private_segment_fixed_size 0
		.amdhsa_kernarg_size 56
		.amdhsa_user_sgpr_count 15
		.amdhsa_user_sgpr_dispatch_ptr 0
		.amdhsa_user_sgpr_queue_ptr 0
		.amdhsa_user_sgpr_kernarg_segment_ptr 1
		.amdhsa_user_sgpr_dispatch_id 0
		.amdhsa_user_sgpr_private_segment_size 0
		.amdhsa_wavefront_size32 1
		.amdhsa_uses_dynamic_stack 0
		.amdhsa_enable_private_segment 0
		.amdhsa_system_sgpr_workgroup_id_x 1
		.amdhsa_system_sgpr_workgroup_id_y 0
		.amdhsa_system_sgpr_workgroup_id_z 0
		.amdhsa_system_sgpr_workgroup_info 0
		.amdhsa_system_vgpr_workitem_id 0
		.amdhsa_next_free_vgpr 1
		.amdhsa_next_free_sgpr 1
		.amdhsa_reserve_vcc 0
		.amdhsa_float_round_mode_32 0
		.amdhsa_float_round_mode_16_64 0
		.amdhsa_float_denorm_mode_32 3
		.amdhsa_float_denorm_mode_16_64 3
		.amdhsa_dx10_clamp 1
		.amdhsa_ieee_mode 1
		.amdhsa_fp16_overflow 0
		.amdhsa_workgroup_processor_mode 1
		.amdhsa_memory_ordered 1
		.amdhsa_forward_progress 0
		.amdhsa_shared_vgpr_count 0
		.amdhsa_exception_fp_ieee_invalid_op 0
		.amdhsa_exception_fp_denorm_src 0
		.amdhsa_exception_fp_ieee_div_zero 0
		.amdhsa_exception_fp_ieee_overflow 0
		.amdhsa_exception_fp_ieee_underflow 0
		.amdhsa_exception_fp_ieee_inexact 0
		.amdhsa_exception_int_div_zero 0
	.end_amdhsa_kernel
	.section	.text._ZN7rocprim17ROCPRIM_400000_NS6detail17trampoline_kernelINS0_14default_configENS1_38merge_sort_block_merge_config_selectorIlNS0_10empty_typeEEEZZNS1_27merge_sort_block_merge_implIS3_PlPS5_mZN2at6native12_GLOBAL__N_124unique_dim_cuda_templateIiEESt5tupleIJNSA_6TensorESF_SF_EERKSF_lbbbEUlllE_EE10hipError_tT0_T1_T2_jT3_P12ihipStream_tbPNSt15iterator_traitsISL_E10value_typeEPNSR_ISM_E10value_typeEPSN_NS1_7vsmem_tEENKUlT_SL_SM_SN_E_clIS8_S8_S9_S9_EESK_S10_SL_SM_SN_EUlS10_E_NS1_11comp_targetILNS1_3genE8ELNS1_11target_archE1030ELNS1_3gpuE2ELNS1_3repE0EEENS1_48merge_mergepath_partition_config_static_selectorELNS0_4arch9wavefront6targetE0EEEvSM_,"axG",@progbits,_ZN7rocprim17ROCPRIM_400000_NS6detail17trampoline_kernelINS0_14default_configENS1_38merge_sort_block_merge_config_selectorIlNS0_10empty_typeEEEZZNS1_27merge_sort_block_merge_implIS3_PlPS5_mZN2at6native12_GLOBAL__N_124unique_dim_cuda_templateIiEESt5tupleIJNSA_6TensorESF_SF_EERKSF_lbbbEUlllE_EE10hipError_tT0_T1_T2_jT3_P12ihipStream_tbPNSt15iterator_traitsISL_E10value_typeEPNSR_ISM_E10value_typeEPSN_NS1_7vsmem_tEENKUlT_SL_SM_SN_E_clIS8_S8_S9_S9_EESK_S10_SL_SM_SN_EUlS10_E_NS1_11comp_targetILNS1_3genE8ELNS1_11target_archE1030ELNS1_3gpuE2ELNS1_3repE0EEENS1_48merge_mergepath_partition_config_static_selectorELNS0_4arch9wavefront6targetE0EEEvSM_,comdat
.Lfunc_end399:
	.size	_ZN7rocprim17ROCPRIM_400000_NS6detail17trampoline_kernelINS0_14default_configENS1_38merge_sort_block_merge_config_selectorIlNS0_10empty_typeEEEZZNS1_27merge_sort_block_merge_implIS3_PlPS5_mZN2at6native12_GLOBAL__N_124unique_dim_cuda_templateIiEESt5tupleIJNSA_6TensorESF_SF_EERKSF_lbbbEUlllE_EE10hipError_tT0_T1_T2_jT3_P12ihipStream_tbPNSt15iterator_traitsISL_E10value_typeEPNSR_ISM_E10value_typeEPSN_NS1_7vsmem_tEENKUlT_SL_SM_SN_E_clIS8_S8_S9_S9_EESK_S10_SL_SM_SN_EUlS10_E_NS1_11comp_targetILNS1_3genE8ELNS1_11target_archE1030ELNS1_3gpuE2ELNS1_3repE0EEENS1_48merge_mergepath_partition_config_static_selectorELNS0_4arch9wavefront6targetE0EEEvSM_, .Lfunc_end399-_ZN7rocprim17ROCPRIM_400000_NS6detail17trampoline_kernelINS0_14default_configENS1_38merge_sort_block_merge_config_selectorIlNS0_10empty_typeEEEZZNS1_27merge_sort_block_merge_implIS3_PlPS5_mZN2at6native12_GLOBAL__N_124unique_dim_cuda_templateIiEESt5tupleIJNSA_6TensorESF_SF_EERKSF_lbbbEUlllE_EE10hipError_tT0_T1_T2_jT3_P12ihipStream_tbPNSt15iterator_traitsISL_E10value_typeEPNSR_ISM_E10value_typeEPSN_NS1_7vsmem_tEENKUlT_SL_SM_SN_E_clIS8_S8_S9_S9_EESK_S10_SL_SM_SN_EUlS10_E_NS1_11comp_targetILNS1_3genE8ELNS1_11target_archE1030ELNS1_3gpuE2ELNS1_3repE0EEENS1_48merge_mergepath_partition_config_static_selectorELNS0_4arch9wavefront6targetE0EEEvSM_
                                        ; -- End function
	.section	.AMDGPU.csdata,"",@progbits
; Kernel info:
; codeLenInByte = 0
; NumSgprs: 0
; NumVgprs: 0
; ScratchSize: 0
; MemoryBound: 0
; FloatMode: 240
; IeeeMode: 1
; LDSByteSize: 0 bytes/workgroup (compile time only)
; SGPRBlocks: 0
; VGPRBlocks: 0
; NumSGPRsForWavesPerEU: 1
; NumVGPRsForWavesPerEU: 1
; Occupancy: 16
; WaveLimiterHint : 0
; COMPUTE_PGM_RSRC2:SCRATCH_EN: 0
; COMPUTE_PGM_RSRC2:USER_SGPR: 15
; COMPUTE_PGM_RSRC2:TRAP_HANDLER: 0
; COMPUTE_PGM_RSRC2:TGID_X_EN: 1
; COMPUTE_PGM_RSRC2:TGID_Y_EN: 0
; COMPUTE_PGM_RSRC2:TGID_Z_EN: 0
; COMPUTE_PGM_RSRC2:TIDIG_COMP_CNT: 0
	.section	.text._ZN7rocprim17ROCPRIM_400000_NS6detail17trampoline_kernelINS0_14default_configENS1_38merge_sort_block_merge_config_selectorIlNS0_10empty_typeEEEZZNS1_27merge_sort_block_merge_implIS3_PlPS5_mZN2at6native12_GLOBAL__N_124unique_dim_cuda_templateIiEESt5tupleIJNSA_6TensorESF_SF_EERKSF_lbbbEUlllE_EE10hipError_tT0_T1_T2_jT3_P12ihipStream_tbPNSt15iterator_traitsISL_E10value_typeEPNSR_ISM_E10value_typeEPSN_NS1_7vsmem_tEENKUlT_SL_SM_SN_E_clIS8_S8_S9_S9_EESK_S10_SL_SM_SN_EUlS10_E0_NS1_11comp_targetILNS1_3genE0ELNS1_11target_archE4294967295ELNS1_3gpuE0ELNS1_3repE0EEENS1_38merge_mergepath_config_static_selectorELNS0_4arch9wavefront6targetE0EEEvSM_,"axG",@progbits,_ZN7rocprim17ROCPRIM_400000_NS6detail17trampoline_kernelINS0_14default_configENS1_38merge_sort_block_merge_config_selectorIlNS0_10empty_typeEEEZZNS1_27merge_sort_block_merge_implIS3_PlPS5_mZN2at6native12_GLOBAL__N_124unique_dim_cuda_templateIiEESt5tupleIJNSA_6TensorESF_SF_EERKSF_lbbbEUlllE_EE10hipError_tT0_T1_T2_jT3_P12ihipStream_tbPNSt15iterator_traitsISL_E10value_typeEPNSR_ISM_E10value_typeEPSN_NS1_7vsmem_tEENKUlT_SL_SM_SN_E_clIS8_S8_S9_S9_EESK_S10_SL_SM_SN_EUlS10_E0_NS1_11comp_targetILNS1_3genE0ELNS1_11target_archE4294967295ELNS1_3gpuE0ELNS1_3repE0EEENS1_38merge_mergepath_config_static_selectorELNS0_4arch9wavefront6targetE0EEEvSM_,comdat
	.globl	_ZN7rocprim17ROCPRIM_400000_NS6detail17trampoline_kernelINS0_14default_configENS1_38merge_sort_block_merge_config_selectorIlNS0_10empty_typeEEEZZNS1_27merge_sort_block_merge_implIS3_PlPS5_mZN2at6native12_GLOBAL__N_124unique_dim_cuda_templateIiEESt5tupleIJNSA_6TensorESF_SF_EERKSF_lbbbEUlllE_EE10hipError_tT0_T1_T2_jT3_P12ihipStream_tbPNSt15iterator_traitsISL_E10value_typeEPNSR_ISM_E10value_typeEPSN_NS1_7vsmem_tEENKUlT_SL_SM_SN_E_clIS8_S8_S9_S9_EESK_S10_SL_SM_SN_EUlS10_E0_NS1_11comp_targetILNS1_3genE0ELNS1_11target_archE4294967295ELNS1_3gpuE0ELNS1_3repE0EEENS1_38merge_mergepath_config_static_selectorELNS0_4arch9wavefront6targetE0EEEvSM_ ; -- Begin function _ZN7rocprim17ROCPRIM_400000_NS6detail17trampoline_kernelINS0_14default_configENS1_38merge_sort_block_merge_config_selectorIlNS0_10empty_typeEEEZZNS1_27merge_sort_block_merge_implIS3_PlPS5_mZN2at6native12_GLOBAL__N_124unique_dim_cuda_templateIiEESt5tupleIJNSA_6TensorESF_SF_EERKSF_lbbbEUlllE_EE10hipError_tT0_T1_T2_jT3_P12ihipStream_tbPNSt15iterator_traitsISL_E10value_typeEPNSR_ISM_E10value_typeEPSN_NS1_7vsmem_tEENKUlT_SL_SM_SN_E_clIS8_S8_S9_S9_EESK_S10_SL_SM_SN_EUlS10_E0_NS1_11comp_targetILNS1_3genE0ELNS1_11target_archE4294967295ELNS1_3gpuE0ELNS1_3repE0EEENS1_38merge_mergepath_config_static_selectorELNS0_4arch9wavefront6targetE0EEEvSM_
	.p2align	8
	.type	_ZN7rocprim17ROCPRIM_400000_NS6detail17trampoline_kernelINS0_14default_configENS1_38merge_sort_block_merge_config_selectorIlNS0_10empty_typeEEEZZNS1_27merge_sort_block_merge_implIS3_PlPS5_mZN2at6native12_GLOBAL__N_124unique_dim_cuda_templateIiEESt5tupleIJNSA_6TensorESF_SF_EERKSF_lbbbEUlllE_EE10hipError_tT0_T1_T2_jT3_P12ihipStream_tbPNSt15iterator_traitsISL_E10value_typeEPNSR_ISM_E10value_typeEPSN_NS1_7vsmem_tEENKUlT_SL_SM_SN_E_clIS8_S8_S9_S9_EESK_S10_SL_SM_SN_EUlS10_E0_NS1_11comp_targetILNS1_3genE0ELNS1_11target_archE4294967295ELNS1_3gpuE0ELNS1_3repE0EEENS1_38merge_mergepath_config_static_selectorELNS0_4arch9wavefront6targetE0EEEvSM_,@function
_ZN7rocprim17ROCPRIM_400000_NS6detail17trampoline_kernelINS0_14default_configENS1_38merge_sort_block_merge_config_selectorIlNS0_10empty_typeEEEZZNS1_27merge_sort_block_merge_implIS3_PlPS5_mZN2at6native12_GLOBAL__N_124unique_dim_cuda_templateIiEESt5tupleIJNSA_6TensorESF_SF_EERKSF_lbbbEUlllE_EE10hipError_tT0_T1_T2_jT3_P12ihipStream_tbPNSt15iterator_traitsISL_E10value_typeEPNSR_ISM_E10value_typeEPSN_NS1_7vsmem_tEENKUlT_SL_SM_SN_E_clIS8_S8_S9_S9_EESK_S10_SL_SM_SN_EUlS10_E0_NS1_11comp_targetILNS1_3genE0ELNS1_11target_archE4294967295ELNS1_3gpuE0ELNS1_3repE0EEENS1_38merge_mergepath_config_static_selectorELNS0_4arch9wavefront6targetE0EEEvSM_: ; @_ZN7rocprim17ROCPRIM_400000_NS6detail17trampoline_kernelINS0_14default_configENS1_38merge_sort_block_merge_config_selectorIlNS0_10empty_typeEEEZZNS1_27merge_sort_block_merge_implIS3_PlPS5_mZN2at6native12_GLOBAL__N_124unique_dim_cuda_templateIiEESt5tupleIJNSA_6TensorESF_SF_EERKSF_lbbbEUlllE_EE10hipError_tT0_T1_T2_jT3_P12ihipStream_tbPNSt15iterator_traitsISL_E10value_typeEPNSR_ISM_E10value_typeEPSN_NS1_7vsmem_tEENKUlT_SL_SM_SN_E_clIS8_S8_S9_S9_EESK_S10_SL_SM_SN_EUlS10_E0_NS1_11comp_targetILNS1_3genE0ELNS1_11target_archE4294967295ELNS1_3gpuE0ELNS1_3repE0EEENS1_38merge_mergepath_config_static_selectorELNS0_4arch9wavefront6targetE0EEEvSM_
; %bb.0:
	.section	.rodata,"a",@progbits
	.p2align	6, 0x0
	.amdhsa_kernel _ZN7rocprim17ROCPRIM_400000_NS6detail17trampoline_kernelINS0_14default_configENS1_38merge_sort_block_merge_config_selectorIlNS0_10empty_typeEEEZZNS1_27merge_sort_block_merge_implIS3_PlPS5_mZN2at6native12_GLOBAL__N_124unique_dim_cuda_templateIiEESt5tupleIJNSA_6TensorESF_SF_EERKSF_lbbbEUlllE_EE10hipError_tT0_T1_T2_jT3_P12ihipStream_tbPNSt15iterator_traitsISL_E10value_typeEPNSR_ISM_E10value_typeEPSN_NS1_7vsmem_tEENKUlT_SL_SM_SN_E_clIS8_S8_S9_S9_EESK_S10_SL_SM_SN_EUlS10_E0_NS1_11comp_targetILNS1_3genE0ELNS1_11target_archE4294967295ELNS1_3gpuE0ELNS1_3repE0EEENS1_38merge_mergepath_config_static_selectorELNS0_4arch9wavefront6targetE0EEEvSM_
		.amdhsa_group_segment_fixed_size 0
		.amdhsa_private_segment_fixed_size 0
		.amdhsa_kernarg_size 88
		.amdhsa_user_sgpr_count 15
		.amdhsa_user_sgpr_dispatch_ptr 0
		.amdhsa_user_sgpr_queue_ptr 0
		.amdhsa_user_sgpr_kernarg_segment_ptr 1
		.amdhsa_user_sgpr_dispatch_id 0
		.amdhsa_user_sgpr_private_segment_size 0
		.amdhsa_wavefront_size32 1
		.amdhsa_uses_dynamic_stack 0
		.amdhsa_enable_private_segment 0
		.amdhsa_system_sgpr_workgroup_id_x 1
		.amdhsa_system_sgpr_workgroup_id_y 0
		.amdhsa_system_sgpr_workgroup_id_z 0
		.amdhsa_system_sgpr_workgroup_info 0
		.amdhsa_system_vgpr_workitem_id 0
		.amdhsa_next_free_vgpr 1
		.amdhsa_next_free_sgpr 1
		.amdhsa_reserve_vcc 0
		.amdhsa_float_round_mode_32 0
		.amdhsa_float_round_mode_16_64 0
		.amdhsa_float_denorm_mode_32 3
		.amdhsa_float_denorm_mode_16_64 3
		.amdhsa_dx10_clamp 1
		.amdhsa_ieee_mode 1
		.amdhsa_fp16_overflow 0
		.amdhsa_workgroup_processor_mode 1
		.amdhsa_memory_ordered 1
		.amdhsa_forward_progress 0
		.amdhsa_shared_vgpr_count 0
		.amdhsa_exception_fp_ieee_invalid_op 0
		.amdhsa_exception_fp_denorm_src 0
		.amdhsa_exception_fp_ieee_div_zero 0
		.amdhsa_exception_fp_ieee_overflow 0
		.amdhsa_exception_fp_ieee_underflow 0
		.amdhsa_exception_fp_ieee_inexact 0
		.amdhsa_exception_int_div_zero 0
	.end_amdhsa_kernel
	.section	.text._ZN7rocprim17ROCPRIM_400000_NS6detail17trampoline_kernelINS0_14default_configENS1_38merge_sort_block_merge_config_selectorIlNS0_10empty_typeEEEZZNS1_27merge_sort_block_merge_implIS3_PlPS5_mZN2at6native12_GLOBAL__N_124unique_dim_cuda_templateIiEESt5tupleIJNSA_6TensorESF_SF_EERKSF_lbbbEUlllE_EE10hipError_tT0_T1_T2_jT3_P12ihipStream_tbPNSt15iterator_traitsISL_E10value_typeEPNSR_ISM_E10value_typeEPSN_NS1_7vsmem_tEENKUlT_SL_SM_SN_E_clIS8_S8_S9_S9_EESK_S10_SL_SM_SN_EUlS10_E0_NS1_11comp_targetILNS1_3genE0ELNS1_11target_archE4294967295ELNS1_3gpuE0ELNS1_3repE0EEENS1_38merge_mergepath_config_static_selectorELNS0_4arch9wavefront6targetE0EEEvSM_,"axG",@progbits,_ZN7rocprim17ROCPRIM_400000_NS6detail17trampoline_kernelINS0_14default_configENS1_38merge_sort_block_merge_config_selectorIlNS0_10empty_typeEEEZZNS1_27merge_sort_block_merge_implIS3_PlPS5_mZN2at6native12_GLOBAL__N_124unique_dim_cuda_templateIiEESt5tupleIJNSA_6TensorESF_SF_EERKSF_lbbbEUlllE_EE10hipError_tT0_T1_T2_jT3_P12ihipStream_tbPNSt15iterator_traitsISL_E10value_typeEPNSR_ISM_E10value_typeEPSN_NS1_7vsmem_tEENKUlT_SL_SM_SN_E_clIS8_S8_S9_S9_EESK_S10_SL_SM_SN_EUlS10_E0_NS1_11comp_targetILNS1_3genE0ELNS1_11target_archE4294967295ELNS1_3gpuE0ELNS1_3repE0EEENS1_38merge_mergepath_config_static_selectorELNS0_4arch9wavefront6targetE0EEEvSM_,comdat
.Lfunc_end400:
	.size	_ZN7rocprim17ROCPRIM_400000_NS6detail17trampoline_kernelINS0_14default_configENS1_38merge_sort_block_merge_config_selectorIlNS0_10empty_typeEEEZZNS1_27merge_sort_block_merge_implIS3_PlPS5_mZN2at6native12_GLOBAL__N_124unique_dim_cuda_templateIiEESt5tupleIJNSA_6TensorESF_SF_EERKSF_lbbbEUlllE_EE10hipError_tT0_T1_T2_jT3_P12ihipStream_tbPNSt15iterator_traitsISL_E10value_typeEPNSR_ISM_E10value_typeEPSN_NS1_7vsmem_tEENKUlT_SL_SM_SN_E_clIS8_S8_S9_S9_EESK_S10_SL_SM_SN_EUlS10_E0_NS1_11comp_targetILNS1_3genE0ELNS1_11target_archE4294967295ELNS1_3gpuE0ELNS1_3repE0EEENS1_38merge_mergepath_config_static_selectorELNS0_4arch9wavefront6targetE0EEEvSM_, .Lfunc_end400-_ZN7rocprim17ROCPRIM_400000_NS6detail17trampoline_kernelINS0_14default_configENS1_38merge_sort_block_merge_config_selectorIlNS0_10empty_typeEEEZZNS1_27merge_sort_block_merge_implIS3_PlPS5_mZN2at6native12_GLOBAL__N_124unique_dim_cuda_templateIiEESt5tupleIJNSA_6TensorESF_SF_EERKSF_lbbbEUlllE_EE10hipError_tT0_T1_T2_jT3_P12ihipStream_tbPNSt15iterator_traitsISL_E10value_typeEPNSR_ISM_E10value_typeEPSN_NS1_7vsmem_tEENKUlT_SL_SM_SN_E_clIS8_S8_S9_S9_EESK_S10_SL_SM_SN_EUlS10_E0_NS1_11comp_targetILNS1_3genE0ELNS1_11target_archE4294967295ELNS1_3gpuE0ELNS1_3repE0EEENS1_38merge_mergepath_config_static_selectorELNS0_4arch9wavefront6targetE0EEEvSM_
                                        ; -- End function
	.section	.AMDGPU.csdata,"",@progbits
; Kernel info:
; codeLenInByte = 0
; NumSgprs: 0
; NumVgprs: 0
; ScratchSize: 0
; MemoryBound: 0
; FloatMode: 240
; IeeeMode: 1
; LDSByteSize: 0 bytes/workgroup (compile time only)
; SGPRBlocks: 0
; VGPRBlocks: 0
; NumSGPRsForWavesPerEU: 1
; NumVGPRsForWavesPerEU: 1
; Occupancy: 16
; WaveLimiterHint : 0
; COMPUTE_PGM_RSRC2:SCRATCH_EN: 0
; COMPUTE_PGM_RSRC2:USER_SGPR: 15
; COMPUTE_PGM_RSRC2:TRAP_HANDLER: 0
; COMPUTE_PGM_RSRC2:TGID_X_EN: 1
; COMPUTE_PGM_RSRC2:TGID_Y_EN: 0
; COMPUTE_PGM_RSRC2:TGID_Z_EN: 0
; COMPUTE_PGM_RSRC2:TIDIG_COMP_CNT: 0
	.section	.text._ZN7rocprim17ROCPRIM_400000_NS6detail17trampoline_kernelINS0_14default_configENS1_38merge_sort_block_merge_config_selectorIlNS0_10empty_typeEEEZZNS1_27merge_sort_block_merge_implIS3_PlPS5_mZN2at6native12_GLOBAL__N_124unique_dim_cuda_templateIiEESt5tupleIJNSA_6TensorESF_SF_EERKSF_lbbbEUlllE_EE10hipError_tT0_T1_T2_jT3_P12ihipStream_tbPNSt15iterator_traitsISL_E10value_typeEPNSR_ISM_E10value_typeEPSN_NS1_7vsmem_tEENKUlT_SL_SM_SN_E_clIS8_S8_S9_S9_EESK_S10_SL_SM_SN_EUlS10_E0_NS1_11comp_targetILNS1_3genE10ELNS1_11target_archE1201ELNS1_3gpuE5ELNS1_3repE0EEENS1_38merge_mergepath_config_static_selectorELNS0_4arch9wavefront6targetE0EEEvSM_,"axG",@progbits,_ZN7rocprim17ROCPRIM_400000_NS6detail17trampoline_kernelINS0_14default_configENS1_38merge_sort_block_merge_config_selectorIlNS0_10empty_typeEEEZZNS1_27merge_sort_block_merge_implIS3_PlPS5_mZN2at6native12_GLOBAL__N_124unique_dim_cuda_templateIiEESt5tupleIJNSA_6TensorESF_SF_EERKSF_lbbbEUlllE_EE10hipError_tT0_T1_T2_jT3_P12ihipStream_tbPNSt15iterator_traitsISL_E10value_typeEPNSR_ISM_E10value_typeEPSN_NS1_7vsmem_tEENKUlT_SL_SM_SN_E_clIS8_S8_S9_S9_EESK_S10_SL_SM_SN_EUlS10_E0_NS1_11comp_targetILNS1_3genE10ELNS1_11target_archE1201ELNS1_3gpuE5ELNS1_3repE0EEENS1_38merge_mergepath_config_static_selectorELNS0_4arch9wavefront6targetE0EEEvSM_,comdat
	.globl	_ZN7rocprim17ROCPRIM_400000_NS6detail17trampoline_kernelINS0_14default_configENS1_38merge_sort_block_merge_config_selectorIlNS0_10empty_typeEEEZZNS1_27merge_sort_block_merge_implIS3_PlPS5_mZN2at6native12_GLOBAL__N_124unique_dim_cuda_templateIiEESt5tupleIJNSA_6TensorESF_SF_EERKSF_lbbbEUlllE_EE10hipError_tT0_T1_T2_jT3_P12ihipStream_tbPNSt15iterator_traitsISL_E10value_typeEPNSR_ISM_E10value_typeEPSN_NS1_7vsmem_tEENKUlT_SL_SM_SN_E_clIS8_S8_S9_S9_EESK_S10_SL_SM_SN_EUlS10_E0_NS1_11comp_targetILNS1_3genE10ELNS1_11target_archE1201ELNS1_3gpuE5ELNS1_3repE0EEENS1_38merge_mergepath_config_static_selectorELNS0_4arch9wavefront6targetE0EEEvSM_ ; -- Begin function _ZN7rocprim17ROCPRIM_400000_NS6detail17trampoline_kernelINS0_14default_configENS1_38merge_sort_block_merge_config_selectorIlNS0_10empty_typeEEEZZNS1_27merge_sort_block_merge_implIS3_PlPS5_mZN2at6native12_GLOBAL__N_124unique_dim_cuda_templateIiEESt5tupleIJNSA_6TensorESF_SF_EERKSF_lbbbEUlllE_EE10hipError_tT0_T1_T2_jT3_P12ihipStream_tbPNSt15iterator_traitsISL_E10value_typeEPNSR_ISM_E10value_typeEPSN_NS1_7vsmem_tEENKUlT_SL_SM_SN_E_clIS8_S8_S9_S9_EESK_S10_SL_SM_SN_EUlS10_E0_NS1_11comp_targetILNS1_3genE10ELNS1_11target_archE1201ELNS1_3gpuE5ELNS1_3repE0EEENS1_38merge_mergepath_config_static_selectorELNS0_4arch9wavefront6targetE0EEEvSM_
	.p2align	8
	.type	_ZN7rocprim17ROCPRIM_400000_NS6detail17trampoline_kernelINS0_14default_configENS1_38merge_sort_block_merge_config_selectorIlNS0_10empty_typeEEEZZNS1_27merge_sort_block_merge_implIS3_PlPS5_mZN2at6native12_GLOBAL__N_124unique_dim_cuda_templateIiEESt5tupleIJNSA_6TensorESF_SF_EERKSF_lbbbEUlllE_EE10hipError_tT0_T1_T2_jT3_P12ihipStream_tbPNSt15iterator_traitsISL_E10value_typeEPNSR_ISM_E10value_typeEPSN_NS1_7vsmem_tEENKUlT_SL_SM_SN_E_clIS8_S8_S9_S9_EESK_S10_SL_SM_SN_EUlS10_E0_NS1_11comp_targetILNS1_3genE10ELNS1_11target_archE1201ELNS1_3gpuE5ELNS1_3repE0EEENS1_38merge_mergepath_config_static_selectorELNS0_4arch9wavefront6targetE0EEEvSM_,@function
_ZN7rocprim17ROCPRIM_400000_NS6detail17trampoline_kernelINS0_14default_configENS1_38merge_sort_block_merge_config_selectorIlNS0_10empty_typeEEEZZNS1_27merge_sort_block_merge_implIS3_PlPS5_mZN2at6native12_GLOBAL__N_124unique_dim_cuda_templateIiEESt5tupleIJNSA_6TensorESF_SF_EERKSF_lbbbEUlllE_EE10hipError_tT0_T1_T2_jT3_P12ihipStream_tbPNSt15iterator_traitsISL_E10value_typeEPNSR_ISM_E10value_typeEPSN_NS1_7vsmem_tEENKUlT_SL_SM_SN_E_clIS8_S8_S9_S9_EESK_S10_SL_SM_SN_EUlS10_E0_NS1_11comp_targetILNS1_3genE10ELNS1_11target_archE1201ELNS1_3gpuE5ELNS1_3repE0EEENS1_38merge_mergepath_config_static_selectorELNS0_4arch9wavefront6targetE0EEEvSM_: ; @_ZN7rocprim17ROCPRIM_400000_NS6detail17trampoline_kernelINS0_14default_configENS1_38merge_sort_block_merge_config_selectorIlNS0_10empty_typeEEEZZNS1_27merge_sort_block_merge_implIS3_PlPS5_mZN2at6native12_GLOBAL__N_124unique_dim_cuda_templateIiEESt5tupleIJNSA_6TensorESF_SF_EERKSF_lbbbEUlllE_EE10hipError_tT0_T1_T2_jT3_P12ihipStream_tbPNSt15iterator_traitsISL_E10value_typeEPNSR_ISM_E10value_typeEPSN_NS1_7vsmem_tEENKUlT_SL_SM_SN_E_clIS8_S8_S9_S9_EESK_S10_SL_SM_SN_EUlS10_E0_NS1_11comp_targetILNS1_3genE10ELNS1_11target_archE1201ELNS1_3gpuE5ELNS1_3repE0EEENS1_38merge_mergepath_config_static_selectorELNS0_4arch9wavefront6targetE0EEEvSM_
; %bb.0:
	.section	.rodata,"a",@progbits
	.p2align	6, 0x0
	.amdhsa_kernel _ZN7rocprim17ROCPRIM_400000_NS6detail17trampoline_kernelINS0_14default_configENS1_38merge_sort_block_merge_config_selectorIlNS0_10empty_typeEEEZZNS1_27merge_sort_block_merge_implIS3_PlPS5_mZN2at6native12_GLOBAL__N_124unique_dim_cuda_templateIiEESt5tupleIJNSA_6TensorESF_SF_EERKSF_lbbbEUlllE_EE10hipError_tT0_T1_T2_jT3_P12ihipStream_tbPNSt15iterator_traitsISL_E10value_typeEPNSR_ISM_E10value_typeEPSN_NS1_7vsmem_tEENKUlT_SL_SM_SN_E_clIS8_S8_S9_S9_EESK_S10_SL_SM_SN_EUlS10_E0_NS1_11comp_targetILNS1_3genE10ELNS1_11target_archE1201ELNS1_3gpuE5ELNS1_3repE0EEENS1_38merge_mergepath_config_static_selectorELNS0_4arch9wavefront6targetE0EEEvSM_
		.amdhsa_group_segment_fixed_size 0
		.amdhsa_private_segment_fixed_size 0
		.amdhsa_kernarg_size 88
		.amdhsa_user_sgpr_count 15
		.amdhsa_user_sgpr_dispatch_ptr 0
		.amdhsa_user_sgpr_queue_ptr 0
		.amdhsa_user_sgpr_kernarg_segment_ptr 1
		.amdhsa_user_sgpr_dispatch_id 0
		.amdhsa_user_sgpr_private_segment_size 0
		.amdhsa_wavefront_size32 1
		.amdhsa_uses_dynamic_stack 0
		.amdhsa_enable_private_segment 0
		.amdhsa_system_sgpr_workgroup_id_x 1
		.amdhsa_system_sgpr_workgroup_id_y 0
		.amdhsa_system_sgpr_workgroup_id_z 0
		.amdhsa_system_sgpr_workgroup_info 0
		.amdhsa_system_vgpr_workitem_id 0
		.amdhsa_next_free_vgpr 1
		.amdhsa_next_free_sgpr 1
		.amdhsa_reserve_vcc 0
		.amdhsa_float_round_mode_32 0
		.amdhsa_float_round_mode_16_64 0
		.amdhsa_float_denorm_mode_32 3
		.amdhsa_float_denorm_mode_16_64 3
		.amdhsa_dx10_clamp 1
		.amdhsa_ieee_mode 1
		.amdhsa_fp16_overflow 0
		.amdhsa_workgroup_processor_mode 1
		.amdhsa_memory_ordered 1
		.amdhsa_forward_progress 0
		.amdhsa_shared_vgpr_count 0
		.amdhsa_exception_fp_ieee_invalid_op 0
		.amdhsa_exception_fp_denorm_src 0
		.amdhsa_exception_fp_ieee_div_zero 0
		.amdhsa_exception_fp_ieee_overflow 0
		.amdhsa_exception_fp_ieee_underflow 0
		.amdhsa_exception_fp_ieee_inexact 0
		.amdhsa_exception_int_div_zero 0
	.end_amdhsa_kernel
	.section	.text._ZN7rocprim17ROCPRIM_400000_NS6detail17trampoline_kernelINS0_14default_configENS1_38merge_sort_block_merge_config_selectorIlNS0_10empty_typeEEEZZNS1_27merge_sort_block_merge_implIS3_PlPS5_mZN2at6native12_GLOBAL__N_124unique_dim_cuda_templateIiEESt5tupleIJNSA_6TensorESF_SF_EERKSF_lbbbEUlllE_EE10hipError_tT0_T1_T2_jT3_P12ihipStream_tbPNSt15iterator_traitsISL_E10value_typeEPNSR_ISM_E10value_typeEPSN_NS1_7vsmem_tEENKUlT_SL_SM_SN_E_clIS8_S8_S9_S9_EESK_S10_SL_SM_SN_EUlS10_E0_NS1_11comp_targetILNS1_3genE10ELNS1_11target_archE1201ELNS1_3gpuE5ELNS1_3repE0EEENS1_38merge_mergepath_config_static_selectorELNS0_4arch9wavefront6targetE0EEEvSM_,"axG",@progbits,_ZN7rocprim17ROCPRIM_400000_NS6detail17trampoline_kernelINS0_14default_configENS1_38merge_sort_block_merge_config_selectorIlNS0_10empty_typeEEEZZNS1_27merge_sort_block_merge_implIS3_PlPS5_mZN2at6native12_GLOBAL__N_124unique_dim_cuda_templateIiEESt5tupleIJNSA_6TensorESF_SF_EERKSF_lbbbEUlllE_EE10hipError_tT0_T1_T2_jT3_P12ihipStream_tbPNSt15iterator_traitsISL_E10value_typeEPNSR_ISM_E10value_typeEPSN_NS1_7vsmem_tEENKUlT_SL_SM_SN_E_clIS8_S8_S9_S9_EESK_S10_SL_SM_SN_EUlS10_E0_NS1_11comp_targetILNS1_3genE10ELNS1_11target_archE1201ELNS1_3gpuE5ELNS1_3repE0EEENS1_38merge_mergepath_config_static_selectorELNS0_4arch9wavefront6targetE0EEEvSM_,comdat
.Lfunc_end401:
	.size	_ZN7rocprim17ROCPRIM_400000_NS6detail17trampoline_kernelINS0_14default_configENS1_38merge_sort_block_merge_config_selectorIlNS0_10empty_typeEEEZZNS1_27merge_sort_block_merge_implIS3_PlPS5_mZN2at6native12_GLOBAL__N_124unique_dim_cuda_templateIiEESt5tupleIJNSA_6TensorESF_SF_EERKSF_lbbbEUlllE_EE10hipError_tT0_T1_T2_jT3_P12ihipStream_tbPNSt15iterator_traitsISL_E10value_typeEPNSR_ISM_E10value_typeEPSN_NS1_7vsmem_tEENKUlT_SL_SM_SN_E_clIS8_S8_S9_S9_EESK_S10_SL_SM_SN_EUlS10_E0_NS1_11comp_targetILNS1_3genE10ELNS1_11target_archE1201ELNS1_3gpuE5ELNS1_3repE0EEENS1_38merge_mergepath_config_static_selectorELNS0_4arch9wavefront6targetE0EEEvSM_, .Lfunc_end401-_ZN7rocprim17ROCPRIM_400000_NS6detail17trampoline_kernelINS0_14default_configENS1_38merge_sort_block_merge_config_selectorIlNS0_10empty_typeEEEZZNS1_27merge_sort_block_merge_implIS3_PlPS5_mZN2at6native12_GLOBAL__N_124unique_dim_cuda_templateIiEESt5tupleIJNSA_6TensorESF_SF_EERKSF_lbbbEUlllE_EE10hipError_tT0_T1_T2_jT3_P12ihipStream_tbPNSt15iterator_traitsISL_E10value_typeEPNSR_ISM_E10value_typeEPSN_NS1_7vsmem_tEENKUlT_SL_SM_SN_E_clIS8_S8_S9_S9_EESK_S10_SL_SM_SN_EUlS10_E0_NS1_11comp_targetILNS1_3genE10ELNS1_11target_archE1201ELNS1_3gpuE5ELNS1_3repE0EEENS1_38merge_mergepath_config_static_selectorELNS0_4arch9wavefront6targetE0EEEvSM_
                                        ; -- End function
	.section	.AMDGPU.csdata,"",@progbits
; Kernel info:
; codeLenInByte = 0
; NumSgprs: 0
; NumVgprs: 0
; ScratchSize: 0
; MemoryBound: 0
; FloatMode: 240
; IeeeMode: 1
; LDSByteSize: 0 bytes/workgroup (compile time only)
; SGPRBlocks: 0
; VGPRBlocks: 0
; NumSGPRsForWavesPerEU: 1
; NumVGPRsForWavesPerEU: 1
; Occupancy: 16
; WaveLimiterHint : 0
; COMPUTE_PGM_RSRC2:SCRATCH_EN: 0
; COMPUTE_PGM_RSRC2:USER_SGPR: 15
; COMPUTE_PGM_RSRC2:TRAP_HANDLER: 0
; COMPUTE_PGM_RSRC2:TGID_X_EN: 1
; COMPUTE_PGM_RSRC2:TGID_Y_EN: 0
; COMPUTE_PGM_RSRC2:TGID_Z_EN: 0
; COMPUTE_PGM_RSRC2:TIDIG_COMP_CNT: 0
	.section	.text._ZN7rocprim17ROCPRIM_400000_NS6detail17trampoline_kernelINS0_14default_configENS1_38merge_sort_block_merge_config_selectorIlNS0_10empty_typeEEEZZNS1_27merge_sort_block_merge_implIS3_PlPS5_mZN2at6native12_GLOBAL__N_124unique_dim_cuda_templateIiEESt5tupleIJNSA_6TensorESF_SF_EERKSF_lbbbEUlllE_EE10hipError_tT0_T1_T2_jT3_P12ihipStream_tbPNSt15iterator_traitsISL_E10value_typeEPNSR_ISM_E10value_typeEPSN_NS1_7vsmem_tEENKUlT_SL_SM_SN_E_clIS8_S8_S9_S9_EESK_S10_SL_SM_SN_EUlS10_E0_NS1_11comp_targetILNS1_3genE5ELNS1_11target_archE942ELNS1_3gpuE9ELNS1_3repE0EEENS1_38merge_mergepath_config_static_selectorELNS0_4arch9wavefront6targetE0EEEvSM_,"axG",@progbits,_ZN7rocprim17ROCPRIM_400000_NS6detail17trampoline_kernelINS0_14default_configENS1_38merge_sort_block_merge_config_selectorIlNS0_10empty_typeEEEZZNS1_27merge_sort_block_merge_implIS3_PlPS5_mZN2at6native12_GLOBAL__N_124unique_dim_cuda_templateIiEESt5tupleIJNSA_6TensorESF_SF_EERKSF_lbbbEUlllE_EE10hipError_tT0_T1_T2_jT3_P12ihipStream_tbPNSt15iterator_traitsISL_E10value_typeEPNSR_ISM_E10value_typeEPSN_NS1_7vsmem_tEENKUlT_SL_SM_SN_E_clIS8_S8_S9_S9_EESK_S10_SL_SM_SN_EUlS10_E0_NS1_11comp_targetILNS1_3genE5ELNS1_11target_archE942ELNS1_3gpuE9ELNS1_3repE0EEENS1_38merge_mergepath_config_static_selectorELNS0_4arch9wavefront6targetE0EEEvSM_,comdat
	.globl	_ZN7rocprim17ROCPRIM_400000_NS6detail17trampoline_kernelINS0_14default_configENS1_38merge_sort_block_merge_config_selectorIlNS0_10empty_typeEEEZZNS1_27merge_sort_block_merge_implIS3_PlPS5_mZN2at6native12_GLOBAL__N_124unique_dim_cuda_templateIiEESt5tupleIJNSA_6TensorESF_SF_EERKSF_lbbbEUlllE_EE10hipError_tT0_T1_T2_jT3_P12ihipStream_tbPNSt15iterator_traitsISL_E10value_typeEPNSR_ISM_E10value_typeEPSN_NS1_7vsmem_tEENKUlT_SL_SM_SN_E_clIS8_S8_S9_S9_EESK_S10_SL_SM_SN_EUlS10_E0_NS1_11comp_targetILNS1_3genE5ELNS1_11target_archE942ELNS1_3gpuE9ELNS1_3repE0EEENS1_38merge_mergepath_config_static_selectorELNS0_4arch9wavefront6targetE0EEEvSM_ ; -- Begin function _ZN7rocprim17ROCPRIM_400000_NS6detail17trampoline_kernelINS0_14default_configENS1_38merge_sort_block_merge_config_selectorIlNS0_10empty_typeEEEZZNS1_27merge_sort_block_merge_implIS3_PlPS5_mZN2at6native12_GLOBAL__N_124unique_dim_cuda_templateIiEESt5tupleIJNSA_6TensorESF_SF_EERKSF_lbbbEUlllE_EE10hipError_tT0_T1_T2_jT3_P12ihipStream_tbPNSt15iterator_traitsISL_E10value_typeEPNSR_ISM_E10value_typeEPSN_NS1_7vsmem_tEENKUlT_SL_SM_SN_E_clIS8_S8_S9_S9_EESK_S10_SL_SM_SN_EUlS10_E0_NS1_11comp_targetILNS1_3genE5ELNS1_11target_archE942ELNS1_3gpuE9ELNS1_3repE0EEENS1_38merge_mergepath_config_static_selectorELNS0_4arch9wavefront6targetE0EEEvSM_
	.p2align	8
	.type	_ZN7rocprim17ROCPRIM_400000_NS6detail17trampoline_kernelINS0_14default_configENS1_38merge_sort_block_merge_config_selectorIlNS0_10empty_typeEEEZZNS1_27merge_sort_block_merge_implIS3_PlPS5_mZN2at6native12_GLOBAL__N_124unique_dim_cuda_templateIiEESt5tupleIJNSA_6TensorESF_SF_EERKSF_lbbbEUlllE_EE10hipError_tT0_T1_T2_jT3_P12ihipStream_tbPNSt15iterator_traitsISL_E10value_typeEPNSR_ISM_E10value_typeEPSN_NS1_7vsmem_tEENKUlT_SL_SM_SN_E_clIS8_S8_S9_S9_EESK_S10_SL_SM_SN_EUlS10_E0_NS1_11comp_targetILNS1_3genE5ELNS1_11target_archE942ELNS1_3gpuE9ELNS1_3repE0EEENS1_38merge_mergepath_config_static_selectorELNS0_4arch9wavefront6targetE0EEEvSM_,@function
_ZN7rocprim17ROCPRIM_400000_NS6detail17trampoline_kernelINS0_14default_configENS1_38merge_sort_block_merge_config_selectorIlNS0_10empty_typeEEEZZNS1_27merge_sort_block_merge_implIS3_PlPS5_mZN2at6native12_GLOBAL__N_124unique_dim_cuda_templateIiEESt5tupleIJNSA_6TensorESF_SF_EERKSF_lbbbEUlllE_EE10hipError_tT0_T1_T2_jT3_P12ihipStream_tbPNSt15iterator_traitsISL_E10value_typeEPNSR_ISM_E10value_typeEPSN_NS1_7vsmem_tEENKUlT_SL_SM_SN_E_clIS8_S8_S9_S9_EESK_S10_SL_SM_SN_EUlS10_E0_NS1_11comp_targetILNS1_3genE5ELNS1_11target_archE942ELNS1_3gpuE9ELNS1_3repE0EEENS1_38merge_mergepath_config_static_selectorELNS0_4arch9wavefront6targetE0EEEvSM_: ; @_ZN7rocprim17ROCPRIM_400000_NS6detail17trampoline_kernelINS0_14default_configENS1_38merge_sort_block_merge_config_selectorIlNS0_10empty_typeEEEZZNS1_27merge_sort_block_merge_implIS3_PlPS5_mZN2at6native12_GLOBAL__N_124unique_dim_cuda_templateIiEESt5tupleIJNSA_6TensorESF_SF_EERKSF_lbbbEUlllE_EE10hipError_tT0_T1_T2_jT3_P12ihipStream_tbPNSt15iterator_traitsISL_E10value_typeEPNSR_ISM_E10value_typeEPSN_NS1_7vsmem_tEENKUlT_SL_SM_SN_E_clIS8_S8_S9_S9_EESK_S10_SL_SM_SN_EUlS10_E0_NS1_11comp_targetILNS1_3genE5ELNS1_11target_archE942ELNS1_3gpuE9ELNS1_3repE0EEENS1_38merge_mergepath_config_static_selectorELNS0_4arch9wavefront6targetE0EEEvSM_
; %bb.0:
	.section	.rodata,"a",@progbits
	.p2align	6, 0x0
	.amdhsa_kernel _ZN7rocprim17ROCPRIM_400000_NS6detail17trampoline_kernelINS0_14default_configENS1_38merge_sort_block_merge_config_selectorIlNS0_10empty_typeEEEZZNS1_27merge_sort_block_merge_implIS3_PlPS5_mZN2at6native12_GLOBAL__N_124unique_dim_cuda_templateIiEESt5tupleIJNSA_6TensorESF_SF_EERKSF_lbbbEUlllE_EE10hipError_tT0_T1_T2_jT3_P12ihipStream_tbPNSt15iterator_traitsISL_E10value_typeEPNSR_ISM_E10value_typeEPSN_NS1_7vsmem_tEENKUlT_SL_SM_SN_E_clIS8_S8_S9_S9_EESK_S10_SL_SM_SN_EUlS10_E0_NS1_11comp_targetILNS1_3genE5ELNS1_11target_archE942ELNS1_3gpuE9ELNS1_3repE0EEENS1_38merge_mergepath_config_static_selectorELNS0_4arch9wavefront6targetE0EEEvSM_
		.amdhsa_group_segment_fixed_size 0
		.amdhsa_private_segment_fixed_size 0
		.amdhsa_kernarg_size 88
		.amdhsa_user_sgpr_count 15
		.amdhsa_user_sgpr_dispatch_ptr 0
		.amdhsa_user_sgpr_queue_ptr 0
		.amdhsa_user_sgpr_kernarg_segment_ptr 1
		.amdhsa_user_sgpr_dispatch_id 0
		.amdhsa_user_sgpr_private_segment_size 0
		.amdhsa_wavefront_size32 1
		.amdhsa_uses_dynamic_stack 0
		.amdhsa_enable_private_segment 0
		.amdhsa_system_sgpr_workgroup_id_x 1
		.amdhsa_system_sgpr_workgroup_id_y 0
		.amdhsa_system_sgpr_workgroup_id_z 0
		.amdhsa_system_sgpr_workgroup_info 0
		.amdhsa_system_vgpr_workitem_id 0
		.amdhsa_next_free_vgpr 1
		.amdhsa_next_free_sgpr 1
		.amdhsa_reserve_vcc 0
		.amdhsa_float_round_mode_32 0
		.amdhsa_float_round_mode_16_64 0
		.amdhsa_float_denorm_mode_32 3
		.amdhsa_float_denorm_mode_16_64 3
		.amdhsa_dx10_clamp 1
		.amdhsa_ieee_mode 1
		.amdhsa_fp16_overflow 0
		.amdhsa_workgroup_processor_mode 1
		.amdhsa_memory_ordered 1
		.amdhsa_forward_progress 0
		.amdhsa_shared_vgpr_count 0
		.amdhsa_exception_fp_ieee_invalid_op 0
		.amdhsa_exception_fp_denorm_src 0
		.amdhsa_exception_fp_ieee_div_zero 0
		.amdhsa_exception_fp_ieee_overflow 0
		.amdhsa_exception_fp_ieee_underflow 0
		.amdhsa_exception_fp_ieee_inexact 0
		.amdhsa_exception_int_div_zero 0
	.end_amdhsa_kernel
	.section	.text._ZN7rocprim17ROCPRIM_400000_NS6detail17trampoline_kernelINS0_14default_configENS1_38merge_sort_block_merge_config_selectorIlNS0_10empty_typeEEEZZNS1_27merge_sort_block_merge_implIS3_PlPS5_mZN2at6native12_GLOBAL__N_124unique_dim_cuda_templateIiEESt5tupleIJNSA_6TensorESF_SF_EERKSF_lbbbEUlllE_EE10hipError_tT0_T1_T2_jT3_P12ihipStream_tbPNSt15iterator_traitsISL_E10value_typeEPNSR_ISM_E10value_typeEPSN_NS1_7vsmem_tEENKUlT_SL_SM_SN_E_clIS8_S8_S9_S9_EESK_S10_SL_SM_SN_EUlS10_E0_NS1_11comp_targetILNS1_3genE5ELNS1_11target_archE942ELNS1_3gpuE9ELNS1_3repE0EEENS1_38merge_mergepath_config_static_selectorELNS0_4arch9wavefront6targetE0EEEvSM_,"axG",@progbits,_ZN7rocprim17ROCPRIM_400000_NS6detail17trampoline_kernelINS0_14default_configENS1_38merge_sort_block_merge_config_selectorIlNS0_10empty_typeEEEZZNS1_27merge_sort_block_merge_implIS3_PlPS5_mZN2at6native12_GLOBAL__N_124unique_dim_cuda_templateIiEESt5tupleIJNSA_6TensorESF_SF_EERKSF_lbbbEUlllE_EE10hipError_tT0_T1_T2_jT3_P12ihipStream_tbPNSt15iterator_traitsISL_E10value_typeEPNSR_ISM_E10value_typeEPSN_NS1_7vsmem_tEENKUlT_SL_SM_SN_E_clIS8_S8_S9_S9_EESK_S10_SL_SM_SN_EUlS10_E0_NS1_11comp_targetILNS1_3genE5ELNS1_11target_archE942ELNS1_3gpuE9ELNS1_3repE0EEENS1_38merge_mergepath_config_static_selectorELNS0_4arch9wavefront6targetE0EEEvSM_,comdat
.Lfunc_end402:
	.size	_ZN7rocprim17ROCPRIM_400000_NS6detail17trampoline_kernelINS0_14default_configENS1_38merge_sort_block_merge_config_selectorIlNS0_10empty_typeEEEZZNS1_27merge_sort_block_merge_implIS3_PlPS5_mZN2at6native12_GLOBAL__N_124unique_dim_cuda_templateIiEESt5tupleIJNSA_6TensorESF_SF_EERKSF_lbbbEUlllE_EE10hipError_tT0_T1_T2_jT3_P12ihipStream_tbPNSt15iterator_traitsISL_E10value_typeEPNSR_ISM_E10value_typeEPSN_NS1_7vsmem_tEENKUlT_SL_SM_SN_E_clIS8_S8_S9_S9_EESK_S10_SL_SM_SN_EUlS10_E0_NS1_11comp_targetILNS1_3genE5ELNS1_11target_archE942ELNS1_3gpuE9ELNS1_3repE0EEENS1_38merge_mergepath_config_static_selectorELNS0_4arch9wavefront6targetE0EEEvSM_, .Lfunc_end402-_ZN7rocprim17ROCPRIM_400000_NS6detail17trampoline_kernelINS0_14default_configENS1_38merge_sort_block_merge_config_selectorIlNS0_10empty_typeEEEZZNS1_27merge_sort_block_merge_implIS3_PlPS5_mZN2at6native12_GLOBAL__N_124unique_dim_cuda_templateIiEESt5tupleIJNSA_6TensorESF_SF_EERKSF_lbbbEUlllE_EE10hipError_tT0_T1_T2_jT3_P12ihipStream_tbPNSt15iterator_traitsISL_E10value_typeEPNSR_ISM_E10value_typeEPSN_NS1_7vsmem_tEENKUlT_SL_SM_SN_E_clIS8_S8_S9_S9_EESK_S10_SL_SM_SN_EUlS10_E0_NS1_11comp_targetILNS1_3genE5ELNS1_11target_archE942ELNS1_3gpuE9ELNS1_3repE0EEENS1_38merge_mergepath_config_static_selectorELNS0_4arch9wavefront6targetE0EEEvSM_
                                        ; -- End function
	.section	.AMDGPU.csdata,"",@progbits
; Kernel info:
; codeLenInByte = 0
; NumSgprs: 0
; NumVgprs: 0
; ScratchSize: 0
; MemoryBound: 0
; FloatMode: 240
; IeeeMode: 1
; LDSByteSize: 0 bytes/workgroup (compile time only)
; SGPRBlocks: 0
; VGPRBlocks: 0
; NumSGPRsForWavesPerEU: 1
; NumVGPRsForWavesPerEU: 1
; Occupancy: 16
; WaveLimiterHint : 0
; COMPUTE_PGM_RSRC2:SCRATCH_EN: 0
; COMPUTE_PGM_RSRC2:USER_SGPR: 15
; COMPUTE_PGM_RSRC2:TRAP_HANDLER: 0
; COMPUTE_PGM_RSRC2:TGID_X_EN: 1
; COMPUTE_PGM_RSRC2:TGID_Y_EN: 0
; COMPUTE_PGM_RSRC2:TGID_Z_EN: 0
; COMPUTE_PGM_RSRC2:TIDIG_COMP_CNT: 0
	.section	.text._ZN7rocprim17ROCPRIM_400000_NS6detail17trampoline_kernelINS0_14default_configENS1_38merge_sort_block_merge_config_selectorIlNS0_10empty_typeEEEZZNS1_27merge_sort_block_merge_implIS3_PlPS5_mZN2at6native12_GLOBAL__N_124unique_dim_cuda_templateIiEESt5tupleIJNSA_6TensorESF_SF_EERKSF_lbbbEUlllE_EE10hipError_tT0_T1_T2_jT3_P12ihipStream_tbPNSt15iterator_traitsISL_E10value_typeEPNSR_ISM_E10value_typeEPSN_NS1_7vsmem_tEENKUlT_SL_SM_SN_E_clIS8_S8_S9_S9_EESK_S10_SL_SM_SN_EUlS10_E0_NS1_11comp_targetILNS1_3genE4ELNS1_11target_archE910ELNS1_3gpuE8ELNS1_3repE0EEENS1_38merge_mergepath_config_static_selectorELNS0_4arch9wavefront6targetE0EEEvSM_,"axG",@progbits,_ZN7rocprim17ROCPRIM_400000_NS6detail17trampoline_kernelINS0_14default_configENS1_38merge_sort_block_merge_config_selectorIlNS0_10empty_typeEEEZZNS1_27merge_sort_block_merge_implIS3_PlPS5_mZN2at6native12_GLOBAL__N_124unique_dim_cuda_templateIiEESt5tupleIJNSA_6TensorESF_SF_EERKSF_lbbbEUlllE_EE10hipError_tT0_T1_T2_jT3_P12ihipStream_tbPNSt15iterator_traitsISL_E10value_typeEPNSR_ISM_E10value_typeEPSN_NS1_7vsmem_tEENKUlT_SL_SM_SN_E_clIS8_S8_S9_S9_EESK_S10_SL_SM_SN_EUlS10_E0_NS1_11comp_targetILNS1_3genE4ELNS1_11target_archE910ELNS1_3gpuE8ELNS1_3repE0EEENS1_38merge_mergepath_config_static_selectorELNS0_4arch9wavefront6targetE0EEEvSM_,comdat
	.globl	_ZN7rocprim17ROCPRIM_400000_NS6detail17trampoline_kernelINS0_14default_configENS1_38merge_sort_block_merge_config_selectorIlNS0_10empty_typeEEEZZNS1_27merge_sort_block_merge_implIS3_PlPS5_mZN2at6native12_GLOBAL__N_124unique_dim_cuda_templateIiEESt5tupleIJNSA_6TensorESF_SF_EERKSF_lbbbEUlllE_EE10hipError_tT0_T1_T2_jT3_P12ihipStream_tbPNSt15iterator_traitsISL_E10value_typeEPNSR_ISM_E10value_typeEPSN_NS1_7vsmem_tEENKUlT_SL_SM_SN_E_clIS8_S8_S9_S9_EESK_S10_SL_SM_SN_EUlS10_E0_NS1_11comp_targetILNS1_3genE4ELNS1_11target_archE910ELNS1_3gpuE8ELNS1_3repE0EEENS1_38merge_mergepath_config_static_selectorELNS0_4arch9wavefront6targetE0EEEvSM_ ; -- Begin function _ZN7rocprim17ROCPRIM_400000_NS6detail17trampoline_kernelINS0_14default_configENS1_38merge_sort_block_merge_config_selectorIlNS0_10empty_typeEEEZZNS1_27merge_sort_block_merge_implIS3_PlPS5_mZN2at6native12_GLOBAL__N_124unique_dim_cuda_templateIiEESt5tupleIJNSA_6TensorESF_SF_EERKSF_lbbbEUlllE_EE10hipError_tT0_T1_T2_jT3_P12ihipStream_tbPNSt15iterator_traitsISL_E10value_typeEPNSR_ISM_E10value_typeEPSN_NS1_7vsmem_tEENKUlT_SL_SM_SN_E_clIS8_S8_S9_S9_EESK_S10_SL_SM_SN_EUlS10_E0_NS1_11comp_targetILNS1_3genE4ELNS1_11target_archE910ELNS1_3gpuE8ELNS1_3repE0EEENS1_38merge_mergepath_config_static_selectorELNS0_4arch9wavefront6targetE0EEEvSM_
	.p2align	8
	.type	_ZN7rocprim17ROCPRIM_400000_NS6detail17trampoline_kernelINS0_14default_configENS1_38merge_sort_block_merge_config_selectorIlNS0_10empty_typeEEEZZNS1_27merge_sort_block_merge_implIS3_PlPS5_mZN2at6native12_GLOBAL__N_124unique_dim_cuda_templateIiEESt5tupleIJNSA_6TensorESF_SF_EERKSF_lbbbEUlllE_EE10hipError_tT0_T1_T2_jT3_P12ihipStream_tbPNSt15iterator_traitsISL_E10value_typeEPNSR_ISM_E10value_typeEPSN_NS1_7vsmem_tEENKUlT_SL_SM_SN_E_clIS8_S8_S9_S9_EESK_S10_SL_SM_SN_EUlS10_E0_NS1_11comp_targetILNS1_3genE4ELNS1_11target_archE910ELNS1_3gpuE8ELNS1_3repE0EEENS1_38merge_mergepath_config_static_selectorELNS0_4arch9wavefront6targetE0EEEvSM_,@function
_ZN7rocprim17ROCPRIM_400000_NS6detail17trampoline_kernelINS0_14default_configENS1_38merge_sort_block_merge_config_selectorIlNS0_10empty_typeEEEZZNS1_27merge_sort_block_merge_implIS3_PlPS5_mZN2at6native12_GLOBAL__N_124unique_dim_cuda_templateIiEESt5tupleIJNSA_6TensorESF_SF_EERKSF_lbbbEUlllE_EE10hipError_tT0_T1_T2_jT3_P12ihipStream_tbPNSt15iterator_traitsISL_E10value_typeEPNSR_ISM_E10value_typeEPSN_NS1_7vsmem_tEENKUlT_SL_SM_SN_E_clIS8_S8_S9_S9_EESK_S10_SL_SM_SN_EUlS10_E0_NS1_11comp_targetILNS1_3genE4ELNS1_11target_archE910ELNS1_3gpuE8ELNS1_3repE0EEENS1_38merge_mergepath_config_static_selectorELNS0_4arch9wavefront6targetE0EEEvSM_: ; @_ZN7rocprim17ROCPRIM_400000_NS6detail17trampoline_kernelINS0_14default_configENS1_38merge_sort_block_merge_config_selectorIlNS0_10empty_typeEEEZZNS1_27merge_sort_block_merge_implIS3_PlPS5_mZN2at6native12_GLOBAL__N_124unique_dim_cuda_templateIiEESt5tupleIJNSA_6TensorESF_SF_EERKSF_lbbbEUlllE_EE10hipError_tT0_T1_T2_jT3_P12ihipStream_tbPNSt15iterator_traitsISL_E10value_typeEPNSR_ISM_E10value_typeEPSN_NS1_7vsmem_tEENKUlT_SL_SM_SN_E_clIS8_S8_S9_S9_EESK_S10_SL_SM_SN_EUlS10_E0_NS1_11comp_targetILNS1_3genE4ELNS1_11target_archE910ELNS1_3gpuE8ELNS1_3repE0EEENS1_38merge_mergepath_config_static_selectorELNS0_4arch9wavefront6targetE0EEEvSM_
; %bb.0:
	.section	.rodata,"a",@progbits
	.p2align	6, 0x0
	.amdhsa_kernel _ZN7rocprim17ROCPRIM_400000_NS6detail17trampoline_kernelINS0_14default_configENS1_38merge_sort_block_merge_config_selectorIlNS0_10empty_typeEEEZZNS1_27merge_sort_block_merge_implIS3_PlPS5_mZN2at6native12_GLOBAL__N_124unique_dim_cuda_templateIiEESt5tupleIJNSA_6TensorESF_SF_EERKSF_lbbbEUlllE_EE10hipError_tT0_T1_T2_jT3_P12ihipStream_tbPNSt15iterator_traitsISL_E10value_typeEPNSR_ISM_E10value_typeEPSN_NS1_7vsmem_tEENKUlT_SL_SM_SN_E_clIS8_S8_S9_S9_EESK_S10_SL_SM_SN_EUlS10_E0_NS1_11comp_targetILNS1_3genE4ELNS1_11target_archE910ELNS1_3gpuE8ELNS1_3repE0EEENS1_38merge_mergepath_config_static_selectorELNS0_4arch9wavefront6targetE0EEEvSM_
		.amdhsa_group_segment_fixed_size 0
		.amdhsa_private_segment_fixed_size 0
		.amdhsa_kernarg_size 88
		.amdhsa_user_sgpr_count 15
		.amdhsa_user_sgpr_dispatch_ptr 0
		.amdhsa_user_sgpr_queue_ptr 0
		.amdhsa_user_sgpr_kernarg_segment_ptr 1
		.amdhsa_user_sgpr_dispatch_id 0
		.amdhsa_user_sgpr_private_segment_size 0
		.amdhsa_wavefront_size32 1
		.amdhsa_uses_dynamic_stack 0
		.amdhsa_enable_private_segment 0
		.amdhsa_system_sgpr_workgroup_id_x 1
		.amdhsa_system_sgpr_workgroup_id_y 0
		.amdhsa_system_sgpr_workgroup_id_z 0
		.amdhsa_system_sgpr_workgroup_info 0
		.amdhsa_system_vgpr_workitem_id 0
		.amdhsa_next_free_vgpr 1
		.amdhsa_next_free_sgpr 1
		.amdhsa_reserve_vcc 0
		.amdhsa_float_round_mode_32 0
		.amdhsa_float_round_mode_16_64 0
		.amdhsa_float_denorm_mode_32 3
		.amdhsa_float_denorm_mode_16_64 3
		.amdhsa_dx10_clamp 1
		.amdhsa_ieee_mode 1
		.amdhsa_fp16_overflow 0
		.amdhsa_workgroup_processor_mode 1
		.amdhsa_memory_ordered 1
		.amdhsa_forward_progress 0
		.amdhsa_shared_vgpr_count 0
		.amdhsa_exception_fp_ieee_invalid_op 0
		.amdhsa_exception_fp_denorm_src 0
		.amdhsa_exception_fp_ieee_div_zero 0
		.amdhsa_exception_fp_ieee_overflow 0
		.amdhsa_exception_fp_ieee_underflow 0
		.amdhsa_exception_fp_ieee_inexact 0
		.amdhsa_exception_int_div_zero 0
	.end_amdhsa_kernel
	.section	.text._ZN7rocprim17ROCPRIM_400000_NS6detail17trampoline_kernelINS0_14default_configENS1_38merge_sort_block_merge_config_selectorIlNS0_10empty_typeEEEZZNS1_27merge_sort_block_merge_implIS3_PlPS5_mZN2at6native12_GLOBAL__N_124unique_dim_cuda_templateIiEESt5tupleIJNSA_6TensorESF_SF_EERKSF_lbbbEUlllE_EE10hipError_tT0_T1_T2_jT3_P12ihipStream_tbPNSt15iterator_traitsISL_E10value_typeEPNSR_ISM_E10value_typeEPSN_NS1_7vsmem_tEENKUlT_SL_SM_SN_E_clIS8_S8_S9_S9_EESK_S10_SL_SM_SN_EUlS10_E0_NS1_11comp_targetILNS1_3genE4ELNS1_11target_archE910ELNS1_3gpuE8ELNS1_3repE0EEENS1_38merge_mergepath_config_static_selectorELNS0_4arch9wavefront6targetE0EEEvSM_,"axG",@progbits,_ZN7rocprim17ROCPRIM_400000_NS6detail17trampoline_kernelINS0_14default_configENS1_38merge_sort_block_merge_config_selectorIlNS0_10empty_typeEEEZZNS1_27merge_sort_block_merge_implIS3_PlPS5_mZN2at6native12_GLOBAL__N_124unique_dim_cuda_templateIiEESt5tupleIJNSA_6TensorESF_SF_EERKSF_lbbbEUlllE_EE10hipError_tT0_T1_T2_jT3_P12ihipStream_tbPNSt15iterator_traitsISL_E10value_typeEPNSR_ISM_E10value_typeEPSN_NS1_7vsmem_tEENKUlT_SL_SM_SN_E_clIS8_S8_S9_S9_EESK_S10_SL_SM_SN_EUlS10_E0_NS1_11comp_targetILNS1_3genE4ELNS1_11target_archE910ELNS1_3gpuE8ELNS1_3repE0EEENS1_38merge_mergepath_config_static_selectorELNS0_4arch9wavefront6targetE0EEEvSM_,comdat
.Lfunc_end403:
	.size	_ZN7rocprim17ROCPRIM_400000_NS6detail17trampoline_kernelINS0_14default_configENS1_38merge_sort_block_merge_config_selectorIlNS0_10empty_typeEEEZZNS1_27merge_sort_block_merge_implIS3_PlPS5_mZN2at6native12_GLOBAL__N_124unique_dim_cuda_templateIiEESt5tupleIJNSA_6TensorESF_SF_EERKSF_lbbbEUlllE_EE10hipError_tT0_T1_T2_jT3_P12ihipStream_tbPNSt15iterator_traitsISL_E10value_typeEPNSR_ISM_E10value_typeEPSN_NS1_7vsmem_tEENKUlT_SL_SM_SN_E_clIS8_S8_S9_S9_EESK_S10_SL_SM_SN_EUlS10_E0_NS1_11comp_targetILNS1_3genE4ELNS1_11target_archE910ELNS1_3gpuE8ELNS1_3repE0EEENS1_38merge_mergepath_config_static_selectorELNS0_4arch9wavefront6targetE0EEEvSM_, .Lfunc_end403-_ZN7rocprim17ROCPRIM_400000_NS6detail17trampoline_kernelINS0_14default_configENS1_38merge_sort_block_merge_config_selectorIlNS0_10empty_typeEEEZZNS1_27merge_sort_block_merge_implIS3_PlPS5_mZN2at6native12_GLOBAL__N_124unique_dim_cuda_templateIiEESt5tupleIJNSA_6TensorESF_SF_EERKSF_lbbbEUlllE_EE10hipError_tT0_T1_T2_jT3_P12ihipStream_tbPNSt15iterator_traitsISL_E10value_typeEPNSR_ISM_E10value_typeEPSN_NS1_7vsmem_tEENKUlT_SL_SM_SN_E_clIS8_S8_S9_S9_EESK_S10_SL_SM_SN_EUlS10_E0_NS1_11comp_targetILNS1_3genE4ELNS1_11target_archE910ELNS1_3gpuE8ELNS1_3repE0EEENS1_38merge_mergepath_config_static_selectorELNS0_4arch9wavefront6targetE0EEEvSM_
                                        ; -- End function
	.section	.AMDGPU.csdata,"",@progbits
; Kernel info:
; codeLenInByte = 0
; NumSgprs: 0
; NumVgprs: 0
; ScratchSize: 0
; MemoryBound: 0
; FloatMode: 240
; IeeeMode: 1
; LDSByteSize: 0 bytes/workgroup (compile time only)
; SGPRBlocks: 0
; VGPRBlocks: 0
; NumSGPRsForWavesPerEU: 1
; NumVGPRsForWavesPerEU: 1
; Occupancy: 16
; WaveLimiterHint : 0
; COMPUTE_PGM_RSRC2:SCRATCH_EN: 0
; COMPUTE_PGM_RSRC2:USER_SGPR: 15
; COMPUTE_PGM_RSRC2:TRAP_HANDLER: 0
; COMPUTE_PGM_RSRC2:TGID_X_EN: 1
; COMPUTE_PGM_RSRC2:TGID_Y_EN: 0
; COMPUTE_PGM_RSRC2:TGID_Z_EN: 0
; COMPUTE_PGM_RSRC2:TIDIG_COMP_CNT: 0
	.section	.text._ZN7rocprim17ROCPRIM_400000_NS6detail17trampoline_kernelINS0_14default_configENS1_38merge_sort_block_merge_config_selectorIlNS0_10empty_typeEEEZZNS1_27merge_sort_block_merge_implIS3_PlPS5_mZN2at6native12_GLOBAL__N_124unique_dim_cuda_templateIiEESt5tupleIJNSA_6TensorESF_SF_EERKSF_lbbbEUlllE_EE10hipError_tT0_T1_T2_jT3_P12ihipStream_tbPNSt15iterator_traitsISL_E10value_typeEPNSR_ISM_E10value_typeEPSN_NS1_7vsmem_tEENKUlT_SL_SM_SN_E_clIS8_S8_S9_S9_EESK_S10_SL_SM_SN_EUlS10_E0_NS1_11comp_targetILNS1_3genE3ELNS1_11target_archE908ELNS1_3gpuE7ELNS1_3repE0EEENS1_38merge_mergepath_config_static_selectorELNS0_4arch9wavefront6targetE0EEEvSM_,"axG",@progbits,_ZN7rocprim17ROCPRIM_400000_NS6detail17trampoline_kernelINS0_14default_configENS1_38merge_sort_block_merge_config_selectorIlNS0_10empty_typeEEEZZNS1_27merge_sort_block_merge_implIS3_PlPS5_mZN2at6native12_GLOBAL__N_124unique_dim_cuda_templateIiEESt5tupleIJNSA_6TensorESF_SF_EERKSF_lbbbEUlllE_EE10hipError_tT0_T1_T2_jT3_P12ihipStream_tbPNSt15iterator_traitsISL_E10value_typeEPNSR_ISM_E10value_typeEPSN_NS1_7vsmem_tEENKUlT_SL_SM_SN_E_clIS8_S8_S9_S9_EESK_S10_SL_SM_SN_EUlS10_E0_NS1_11comp_targetILNS1_3genE3ELNS1_11target_archE908ELNS1_3gpuE7ELNS1_3repE0EEENS1_38merge_mergepath_config_static_selectorELNS0_4arch9wavefront6targetE0EEEvSM_,comdat
	.globl	_ZN7rocprim17ROCPRIM_400000_NS6detail17trampoline_kernelINS0_14default_configENS1_38merge_sort_block_merge_config_selectorIlNS0_10empty_typeEEEZZNS1_27merge_sort_block_merge_implIS3_PlPS5_mZN2at6native12_GLOBAL__N_124unique_dim_cuda_templateIiEESt5tupleIJNSA_6TensorESF_SF_EERKSF_lbbbEUlllE_EE10hipError_tT0_T1_T2_jT3_P12ihipStream_tbPNSt15iterator_traitsISL_E10value_typeEPNSR_ISM_E10value_typeEPSN_NS1_7vsmem_tEENKUlT_SL_SM_SN_E_clIS8_S8_S9_S9_EESK_S10_SL_SM_SN_EUlS10_E0_NS1_11comp_targetILNS1_3genE3ELNS1_11target_archE908ELNS1_3gpuE7ELNS1_3repE0EEENS1_38merge_mergepath_config_static_selectorELNS0_4arch9wavefront6targetE0EEEvSM_ ; -- Begin function _ZN7rocprim17ROCPRIM_400000_NS6detail17trampoline_kernelINS0_14default_configENS1_38merge_sort_block_merge_config_selectorIlNS0_10empty_typeEEEZZNS1_27merge_sort_block_merge_implIS3_PlPS5_mZN2at6native12_GLOBAL__N_124unique_dim_cuda_templateIiEESt5tupleIJNSA_6TensorESF_SF_EERKSF_lbbbEUlllE_EE10hipError_tT0_T1_T2_jT3_P12ihipStream_tbPNSt15iterator_traitsISL_E10value_typeEPNSR_ISM_E10value_typeEPSN_NS1_7vsmem_tEENKUlT_SL_SM_SN_E_clIS8_S8_S9_S9_EESK_S10_SL_SM_SN_EUlS10_E0_NS1_11comp_targetILNS1_3genE3ELNS1_11target_archE908ELNS1_3gpuE7ELNS1_3repE0EEENS1_38merge_mergepath_config_static_selectorELNS0_4arch9wavefront6targetE0EEEvSM_
	.p2align	8
	.type	_ZN7rocprim17ROCPRIM_400000_NS6detail17trampoline_kernelINS0_14default_configENS1_38merge_sort_block_merge_config_selectorIlNS0_10empty_typeEEEZZNS1_27merge_sort_block_merge_implIS3_PlPS5_mZN2at6native12_GLOBAL__N_124unique_dim_cuda_templateIiEESt5tupleIJNSA_6TensorESF_SF_EERKSF_lbbbEUlllE_EE10hipError_tT0_T1_T2_jT3_P12ihipStream_tbPNSt15iterator_traitsISL_E10value_typeEPNSR_ISM_E10value_typeEPSN_NS1_7vsmem_tEENKUlT_SL_SM_SN_E_clIS8_S8_S9_S9_EESK_S10_SL_SM_SN_EUlS10_E0_NS1_11comp_targetILNS1_3genE3ELNS1_11target_archE908ELNS1_3gpuE7ELNS1_3repE0EEENS1_38merge_mergepath_config_static_selectorELNS0_4arch9wavefront6targetE0EEEvSM_,@function
_ZN7rocprim17ROCPRIM_400000_NS6detail17trampoline_kernelINS0_14default_configENS1_38merge_sort_block_merge_config_selectorIlNS0_10empty_typeEEEZZNS1_27merge_sort_block_merge_implIS3_PlPS5_mZN2at6native12_GLOBAL__N_124unique_dim_cuda_templateIiEESt5tupleIJNSA_6TensorESF_SF_EERKSF_lbbbEUlllE_EE10hipError_tT0_T1_T2_jT3_P12ihipStream_tbPNSt15iterator_traitsISL_E10value_typeEPNSR_ISM_E10value_typeEPSN_NS1_7vsmem_tEENKUlT_SL_SM_SN_E_clIS8_S8_S9_S9_EESK_S10_SL_SM_SN_EUlS10_E0_NS1_11comp_targetILNS1_3genE3ELNS1_11target_archE908ELNS1_3gpuE7ELNS1_3repE0EEENS1_38merge_mergepath_config_static_selectorELNS0_4arch9wavefront6targetE0EEEvSM_: ; @_ZN7rocprim17ROCPRIM_400000_NS6detail17trampoline_kernelINS0_14default_configENS1_38merge_sort_block_merge_config_selectorIlNS0_10empty_typeEEEZZNS1_27merge_sort_block_merge_implIS3_PlPS5_mZN2at6native12_GLOBAL__N_124unique_dim_cuda_templateIiEESt5tupleIJNSA_6TensorESF_SF_EERKSF_lbbbEUlllE_EE10hipError_tT0_T1_T2_jT3_P12ihipStream_tbPNSt15iterator_traitsISL_E10value_typeEPNSR_ISM_E10value_typeEPSN_NS1_7vsmem_tEENKUlT_SL_SM_SN_E_clIS8_S8_S9_S9_EESK_S10_SL_SM_SN_EUlS10_E0_NS1_11comp_targetILNS1_3genE3ELNS1_11target_archE908ELNS1_3gpuE7ELNS1_3repE0EEENS1_38merge_mergepath_config_static_selectorELNS0_4arch9wavefront6targetE0EEEvSM_
; %bb.0:
	.section	.rodata,"a",@progbits
	.p2align	6, 0x0
	.amdhsa_kernel _ZN7rocprim17ROCPRIM_400000_NS6detail17trampoline_kernelINS0_14default_configENS1_38merge_sort_block_merge_config_selectorIlNS0_10empty_typeEEEZZNS1_27merge_sort_block_merge_implIS3_PlPS5_mZN2at6native12_GLOBAL__N_124unique_dim_cuda_templateIiEESt5tupleIJNSA_6TensorESF_SF_EERKSF_lbbbEUlllE_EE10hipError_tT0_T1_T2_jT3_P12ihipStream_tbPNSt15iterator_traitsISL_E10value_typeEPNSR_ISM_E10value_typeEPSN_NS1_7vsmem_tEENKUlT_SL_SM_SN_E_clIS8_S8_S9_S9_EESK_S10_SL_SM_SN_EUlS10_E0_NS1_11comp_targetILNS1_3genE3ELNS1_11target_archE908ELNS1_3gpuE7ELNS1_3repE0EEENS1_38merge_mergepath_config_static_selectorELNS0_4arch9wavefront6targetE0EEEvSM_
		.amdhsa_group_segment_fixed_size 0
		.amdhsa_private_segment_fixed_size 0
		.amdhsa_kernarg_size 88
		.amdhsa_user_sgpr_count 15
		.amdhsa_user_sgpr_dispatch_ptr 0
		.amdhsa_user_sgpr_queue_ptr 0
		.amdhsa_user_sgpr_kernarg_segment_ptr 1
		.amdhsa_user_sgpr_dispatch_id 0
		.amdhsa_user_sgpr_private_segment_size 0
		.amdhsa_wavefront_size32 1
		.amdhsa_uses_dynamic_stack 0
		.amdhsa_enable_private_segment 0
		.amdhsa_system_sgpr_workgroup_id_x 1
		.amdhsa_system_sgpr_workgroup_id_y 0
		.amdhsa_system_sgpr_workgroup_id_z 0
		.amdhsa_system_sgpr_workgroup_info 0
		.amdhsa_system_vgpr_workitem_id 0
		.amdhsa_next_free_vgpr 1
		.amdhsa_next_free_sgpr 1
		.amdhsa_reserve_vcc 0
		.amdhsa_float_round_mode_32 0
		.amdhsa_float_round_mode_16_64 0
		.amdhsa_float_denorm_mode_32 3
		.amdhsa_float_denorm_mode_16_64 3
		.amdhsa_dx10_clamp 1
		.amdhsa_ieee_mode 1
		.amdhsa_fp16_overflow 0
		.amdhsa_workgroup_processor_mode 1
		.amdhsa_memory_ordered 1
		.amdhsa_forward_progress 0
		.amdhsa_shared_vgpr_count 0
		.amdhsa_exception_fp_ieee_invalid_op 0
		.amdhsa_exception_fp_denorm_src 0
		.amdhsa_exception_fp_ieee_div_zero 0
		.amdhsa_exception_fp_ieee_overflow 0
		.amdhsa_exception_fp_ieee_underflow 0
		.amdhsa_exception_fp_ieee_inexact 0
		.amdhsa_exception_int_div_zero 0
	.end_amdhsa_kernel
	.section	.text._ZN7rocprim17ROCPRIM_400000_NS6detail17trampoline_kernelINS0_14default_configENS1_38merge_sort_block_merge_config_selectorIlNS0_10empty_typeEEEZZNS1_27merge_sort_block_merge_implIS3_PlPS5_mZN2at6native12_GLOBAL__N_124unique_dim_cuda_templateIiEESt5tupleIJNSA_6TensorESF_SF_EERKSF_lbbbEUlllE_EE10hipError_tT0_T1_T2_jT3_P12ihipStream_tbPNSt15iterator_traitsISL_E10value_typeEPNSR_ISM_E10value_typeEPSN_NS1_7vsmem_tEENKUlT_SL_SM_SN_E_clIS8_S8_S9_S9_EESK_S10_SL_SM_SN_EUlS10_E0_NS1_11comp_targetILNS1_3genE3ELNS1_11target_archE908ELNS1_3gpuE7ELNS1_3repE0EEENS1_38merge_mergepath_config_static_selectorELNS0_4arch9wavefront6targetE0EEEvSM_,"axG",@progbits,_ZN7rocprim17ROCPRIM_400000_NS6detail17trampoline_kernelINS0_14default_configENS1_38merge_sort_block_merge_config_selectorIlNS0_10empty_typeEEEZZNS1_27merge_sort_block_merge_implIS3_PlPS5_mZN2at6native12_GLOBAL__N_124unique_dim_cuda_templateIiEESt5tupleIJNSA_6TensorESF_SF_EERKSF_lbbbEUlllE_EE10hipError_tT0_T1_T2_jT3_P12ihipStream_tbPNSt15iterator_traitsISL_E10value_typeEPNSR_ISM_E10value_typeEPSN_NS1_7vsmem_tEENKUlT_SL_SM_SN_E_clIS8_S8_S9_S9_EESK_S10_SL_SM_SN_EUlS10_E0_NS1_11comp_targetILNS1_3genE3ELNS1_11target_archE908ELNS1_3gpuE7ELNS1_3repE0EEENS1_38merge_mergepath_config_static_selectorELNS0_4arch9wavefront6targetE0EEEvSM_,comdat
.Lfunc_end404:
	.size	_ZN7rocprim17ROCPRIM_400000_NS6detail17trampoline_kernelINS0_14default_configENS1_38merge_sort_block_merge_config_selectorIlNS0_10empty_typeEEEZZNS1_27merge_sort_block_merge_implIS3_PlPS5_mZN2at6native12_GLOBAL__N_124unique_dim_cuda_templateIiEESt5tupleIJNSA_6TensorESF_SF_EERKSF_lbbbEUlllE_EE10hipError_tT0_T1_T2_jT3_P12ihipStream_tbPNSt15iterator_traitsISL_E10value_typeEPNSR_ISM_E10value_typeEPSN_NS1_7vsmem_tEENKUlT_SL_SM_SN_E_clIS8_S8_S9_S9_EESK_S10_SL_SM_SN_EUlS10_E0_NS1_11comp_targetILNS1_3genE3ELNS1_11target_archE908ELNS1_3gpuE7ELNS1_3repE0EEENS1_38merge_mergepath_config_static_selectorELNS0_4arch9wavefront6targetE0EEEvSM_, .Lfunc_end404-_ZN7rocprim17ROCPRIM_400000_NS6detail17trampoline_kernelINS0_14default_configENS1_38merge_sort_block_merge_config_selectorIlNS0_10empty_typeEEEZZNS1_27merge_sort_block_merge_implIS3_PlPS5_mZN2at6native12_GLOBAL__N_124unique_dim_cuda_templateIiEESt5tupleIJNSA_6TensorESF_SF_EERKSF_lbbbEUlllE_EE10hipError_tT0_T1_T2_jT3_P12ihipStream_tbPNSt15iterator_traitsISL_E10value_typeEPNSR_ISM_E10value_typeEPSN_NS1_7vsmem_tEENKUlT_SL_SM_SN_E_clIS8_S8_S9_S9_EESK_S10_SL_SM_SN_EUlS10_E0_NS1_11comp_targetILNS1_3genE3ELNS1_11target_archE908ELNS1_3gpuE7ELNS1_3repE0EEENS1_38merge_mergepath_config_static_selectorELNS0_4arch9wavefront6targetE0EEEvSM_
                                        ; -- End function
	.section	.AMDGPU.csdata,"",@progbits
; Kernel info:
; codeLenInByte = 0
; NumSgprs: 0
; NumVgprs: 0
; ScratchSize: 0
; MemoryBound: 0
; FloatMode: 240
; IeeeMode: 1
; LDSByteSize: 0 bytes/workgroup (compile time only)
; SGPRBlocks: 0
; VGPRBlocks: 0
; NumSGPRsForWavesPerEU: 1
; NumVGPRsForWavesPerEU: 1
; Occupancy: 16
; WaveLimiterHint : 0
; COMPUTE_PGM_RSRC2:SCRATCH_EN: 0
; COMPUTE_PGM_RSRC2:USER_SGPR: 15
; COMPUTE_PGM_RSRC2:TRAP_HANDLER: 0
; COMPUTE_PGM_RSRC2:TGID_X_EN: 1
; COMPUTE_PGM_RSRC2:TGID_Y_EN: 0
; COMPUTE_PGM_RSRC2:TGID_Z_EN: 0
; COMPUTE_PGM_RSRC2:TIDIG_COMP_CNT: 0
	.section	.text._ZN7rocprim17ROCPRIM_400000_NS6detail17trampoline_kernelINS0_14default_configENS1_38merge_sort_block_merge_config_selectorIlNS0_10empty_typeEEEZZNS1_27merge_sort_block_merge_implIS3_PlPS5_mZN2at6native12_GLOBAL__N_124unique_dim_cuda_templateIiEESt5tupleIJNSA_6TensorESF_SF_EERKSF_lbbbEUlllE_EE10hipError_tT0_T1_T2_jT3_P12ihipStream_tbPNSt15iterator_traitsISL_E10value_typeEPNSR_ISM_E10value_typeEPSN_NS1_7vsmem_tEENKUlT_SL_SM_SN_E_clIS8_S8_S9_S9_EESK_S10_SL_SM_SN_EUlS10_E0_NS1_11comp_targetILNS1_3genE2ELNS1_11target_archE906ELNS1_3gpuE6ELNS1_3repE0EEENS1_38merge_mergepath_config_static_selectorELNS0_4arch9wavefront6targetE0EEEvSM_,"axG",@progbits,_ZN7rocprim17ROCPRIM_400000_NS6detail17trampoline_kernelINS0_14default_configENS1_38merge_sort_block_merge_config_selectorIlNS0_10empty_typeEEEZZNS1_27merge_sort_block_merge_implIS3_PlPS5_mZN2at6native12_GLOBAL__N_124unique_dim_cuda_templateIiEESt5tupleIJNSA_6TensorESF_SF_EERKSF_lbbbEUlllE_EE10hipError_tT0_T1_T2_jT3_P12ihipStream_tbPNSt15iterator_traitsISL_E10value_typeEPNSR_ISM_E10value_typeEPSN_NS1_7vsmem_tEENKUlT_SL_SM_SN_E_clIS8_S8_S9_S9_EESK_S10_SL_SM_SN_EUlS10_E0_NS1_11comp_targetILNS1_3genE2ELNS1_11target_archE906ELNS1_3gpuE6ELNS1_3repE0EEENS1_38merge_mergepath_config_static_selectorELNS0_4arch9wavefront6targetE0EEEvSM_,comdat
	.globl	_ZN7rocprim17ROCPRIM_400000_NS6detail17trampoline_kernelINS0_14default_configENS1_38merge_sort_block_merge_config_selectorIlNS0_10empty_typeEEEZZNS1_27merge_sort_block_merge_implIS3_PlPS5_mZN2at6native12_GLOBAL__N_124unique_dim_cuda_templateIiEESt5tupleIJNSA_6TensorESF_SF_EERKSF_lbbbEUlllE_EE10hipError_tT0_T1_T2_jT3_P12ihipStream_tbPNSt15iterator_traitsISL_E10value_typeEPNSR_ISM_E10value_typeEPSN_NS1_7vsmem_tEENKUlT_SL_SM_SN_E_clIS8_S8_S9_S9_EESK_S10_SL_SM_SN_EUlS10_E0_NS1_11comp_targetILNS1_3genE2ELNS1_11target_archE906ELNS1_3gpuE6ELNS1_3repE0EEENS1_38merge_mergepath_config_static_selectorELNS0_4arch9wavefront6targetE0EEEvSM_ ; -- Begin function _ZN7rocprim17ROCPRIM_400000_NS6detail17trampoline_kernelINS0_14default_configENS1_38merge_sort_block_merge_config_selectorIlNS0_10empty_typeEEEZZNS1_27merge_sort_block_merge_implIS3_PlPS5_mZN2at6native12_GLOBAL__N_124unique_dim_cuda_templateIiEESt5tupleIJNSA_6TensorESF_SF_EERKSF_lbbbEUlllE_EE10hipError_tT0_T1_T2_jT3_P12ihipStream_tbPNSt15iterator_traitsISL_E10value_typeEPNSR_ISM_E10value_typeEPSN_NS1_7vsmem_tEENKUlT_SL_SM_SN_E_clIS8_S8_S9_S9_EESK_S10_SL_SM_SN_EUlS10_E0_NS1_11comp_targetILNS1_3genE2ELNS1_11target_archE906ELNS1_3gpuE6ELNS1_3repE0EEENS1_38merge_mergepath_config_static_selectorELNS0_4arch9wavefront6targetE0EEEvSM_
	.p2align	8
	.type	_ZN7rocprim17ROCPRIM_400000_NS6detail17trampoline_kernelINS0_14default_configENS1_38merge_sort_block_merge_config_selectorIlNS0_10empty_typeEEEZZNS1_27merge_sort_block_merge_implIS3_PlPS5_mZN2at6native12_GLOBAL__N_124unique_dim_cuda_templateIiEESt5tupleIJNSA_6TensorESF_SF_EERKSF_lbbbEUlllE_EE10hipError_tT0_T1_T2_jT3_P12ihipStream_tbPNSt15iterator_traitsISL_E10value_typeEPNSR_ISM_E10value_typeEPSN_NS1_7vsmem_tEENKUlT_SL_SM_SN_E_clIS8_S8_S9_S9_EESK_S10_SL_SM_SN_EUlS10_E0_NS1_11comp_targetILNS1_3genE2ELNS1_11target_archE906ELNS1_3gpuE6ELNS1_3repE0EEENS1_38merge_mergepath_config_static_selectorELNS0_4arch9wavefront6targetE0EEEvSM_,@function
_ZN7rocprim17ROCPRIM_400000_NS6detail17trampoline_kernelINS0_14default_configENS1_38merge_sort_block_merge_config_selectorIlNS0_10empty_typeEEEZZNS1_27merge_sort_block_merge_implIS3_PlPS5_mZN2at6native12_GLOBAL__N_124unique_dim_cuda_templateIiEESt5tupleIJNSA_6TensorESF_SF_EERKSF_lbbbEUlllE_EE10hipError_tT0_T1_T2_jT3_P12ihipStream_tbPNSt15iterator_traitsISL_E10value_typeEPNSR_ISM_E10value_typeEPSN_NS1_7vsmem_tEENKUlT_SL_SM_SN_E_clIS8_S8_S9_S9_EESK_S10_SL_SM_SN_EUlS10_E0_NS1_11comp_targetILNS1_3genE2ELNS1_11target_archE906ELNS1_3gpuE6ELNS1_3repE0EEENS1_38merge_mergepath_config_static_selectorELNS0_4arch9wavefront6targetE0EEEvSM_: ; @_ZN7rocprim17ROCPRIM_400000_NS6detail17trampoline_kernelINS0_14default_configENS1_38merge_sort_block_merge_config_selectorIlNS0_10empty_typeEEEZZNS1_27merge_sort_block_merge_implIS3_PlPS5_mZN2at6native12_GLOBAL__N_124unique_dim_cuda_templateIiEESt5tupleIJNSA_6TensorESF_SF_EERKSF_lbbbEUlllE_EE10hipError_tT0_T1_T2_jT3_P12ihipStream_tbPNSt15iterator_traitsISL_E10value_typeEPNSR_ISM_E10value_typeEPSN_NS1_7vsmem_tEENKUlT_SL_SM_SN_E_clIS8_S8_S9_S9_EESK_S10_SL_SM_SN_EUlS10_E0_NS1_11comp_targetILNS1_3genE2ELNS1_11target_archE906ELNS1_3gpuE6ELNS1_3repE0EEENS1_38merge_mergepath_config_static_selectorELNS0_4arch9wavefront6targetE0EEEvSM_
; %bb.0:
	.section	.rodata,"a",@progbits
	.p2align	6, 0x0
	.amdhsa_kernel _ZN7rocprim17ROCPRIM_400000_NS6detail17trampoline_kernelINS0_14default_configENS1_38merge_sort_block_merge_config_selectorIlNS0_10empty_typeEEEZZNS1_27merge_sort_block_merge_implIS3_PlPS5_mZN2at6native12_GLOBAL__N_124unique_dim_cuda_templateIiEESt5tupleIJNSA_6TensorESF_SF_EERKSF_lbbbEUlllE_EE10hipError_tT0_T1_T2_jT3_P12ihipStream_tbPNSt15iterator_traitsISL_E10value_typeEPNSR_ISM_E10value_typeEPSN_NS1_7vsmem_tEENKUlT_SL_SM_SN_E_clIS8_S8_S9_S9_EESK_S10_SL_SM_SN_EUlS10_E0_NS1_11comp_targetILNS1_3genE2ELNS1_11target_archE906ELNS1_3gpuE6ELNS1_3repE0EEENS1_38merge_mergepath_config_static_selectorELNS0_4arch9wavefront6targetE0EEEvSM_
		.amdhsa_group_segment_fixed_size 0
		.amdhsa_private_segment_fixed_size 0
		.amdhsa_kernarg_size 88
		.amdhsa_user_sgpr_count 15
		.amdhsa_user_sgpr_dispatch_ptr 0
		.amdhsa_user_sgpr_queue_ptr 0
		.amdhsa_user_sgpr_kernarg_segment_ptr 1
		.amdhsa_user_sgpr_dispatch_id 0
		.amdhsa_user_sgpr_private_segment_size 0
		.amdhsa_wavefront_size32 1
		.amdhsa_uses_dynamic_stack 0
		.amdhsa_enable_private_segment 0
		.amdhsa_system_sgpr_workgroup_id_x 1
		.amdhsa_system_sgpr_workgroup_id_y 0
		.amdhsa_system_sgpr_workgroup_id_z 0
		.amdhsa_system_sgpr_workgroup_info 0
		.amdhsa_system_vgpr_workitem_id 0
		.amdhsa_next_free_vgpr 1
		.amdhsa_next_free_sgpr 1
		.amdhsa_reserve_vcc 0
		.amdhsa_float_round_mode_32 0
		.amdhsa_float_round_mode_16_64 0
		.amdhsa_float_denorm_mode_32 3
		.amdhsa_float_denorm_mode_16_64 3
		.amdhsa_dx10_clamp 1
		.amdhsa_ieee_mode 1
		.amdhsa_fp16_overflow 0
		.amdhsa_workgroup_processor_mode 1
		.amdhsa_memory_ordered 1
		.amdhsa_forward_progress 0
		.amdhsa_shared_vgpr_count 0
		.amdhsa_exception_fp_ieee_invalid_op 0
		.amdhsa_exception_fp_denorm_src 0
		.amdhsa_exception_fp_ieee_div_zero 0
		.amdhsa_exception_fp_ieee_overflow 0
		.amdhsa_exception_fp_ieee_underflow 0
		.amdhsa_exception_fp_ieee_inexact 0
		.amdhsa_exception_int_div_zero 0
	.end_amdhsa_kernel
	.section	.text._ZN7rocprim17ROCPRIM_400000_NS6detail17trampoline_kernelINS0_14default_configENS1_38merge_sort_block_merge_config_selectorIlNS0_10empty_typeEEEZZNS1_27merge_sort_block_merge_implIS3_PlPS5_mZN2at6native12_GLOBAL__N_124unique_dim_cuda_templateIiEESt5tupleIJNSA_6TensorESF_SF_EERKSF_lbbbEUlllE_EE10hipError_tT0_T1_T2_jT3_P12ihipStream_tbPNSt15iterator_traitsISL_E10value_typeEPNSR_ISM_E10value_typeEPSN_NS1_7vsmem_tEENKUlT_SL_SM_SN_E_clIS8_S8_S9_S9_EESK_S10_SL_SM_SN_EUlS10_E0_NS1_11comp_targetILNS1_3genE2ELNS1_11target_archE906ELNS1_3gpuE6ELNS1_3repE0EEENS1_38merge_mergepath_config_static_selectorELNS0_4arch9wavefront6targetE0EEEvSM_,"axG",@progbits,_ZN7rocprim17ROCPRIM_400000_NS6detail17trampoline_kernelINS0_14default_configENS1_38merge_sort_block_merge_config_selectorIlNS0_10empty_typeEEEZZNS1_27merge_sort_block_merge_implIS3_PlPS5_mZN2at6native12_GLOBAL__N_124unique_dim_cuda_templateIiEESt5tupleIJNSA_6TensorESF_SF_EERKSF_lbbbEUlllE_EE10hipError_tT0_T1_T2_jT3_P12ihipStream_tbPNSt15iterator_traitsISL_E10value_typeEPNSR_ISM_E10value_typeEPSN_NS1_7vsmem_tEENKUlT_SL_SM_SN_E_clIS8_S8_S9_S9_EESK_S10_SL_SM_SN_EUlS10_E0_NS1_11comp_targetILNS1_3genE2ELNS1_11target_archE906ELNS1_3gpuE6ELNS1_3repE0EEENS1_38merge_mergepath_config_static_selectorELNS0_4arch9wavefront6targetE0EEEvSM_,comdat
.Lfunc_end405:
	.size	_ZN7rocprim17ROCPRIM_400000_NS6detail17trampoline_kernelINS0_14default_configENS1_38merge_sort_block_merge_config_selectorIlNS0_10empty_typeEEEZZNS1_27merge_sort_block_merge_implIS3_PlPS5_mZN2at6native12_GLOBAL__N_124unique_dim_cuda_templateIiEESt5tupleIJNSA_6TensorESF_SF_EERKSF_lbbbEUlllE_EE10hipError_tT0_T1_T2_jT3_P12ihipStream_tbPNSt15iterator_traitsISL_E10value_typeEPNSR_ISM_E10value_typeEPSN_NS1_7vsmem_tEENKUlT_SL_SM_SN_E_clIS8_S8_S9_S9_EESK_S10_SL_SM_SN_EUlS10_E0_NS1_11comp_targetILNS1_3genE2ELNS1_11target_archE906ELNS1_3gpuE6ELNS1_3repE0EEENS1_38merge_mergepath_config_static_selectorELNS0_4arch9wavefront6targetE0EEEvSM_, .Lfunc_end405-_ZN7rocprim17ROCPRIM_400000_NS6detail17trampoline_kernelINS0_14default_configENS1_38merge_sort_block_merge_config_selectorIlNS0_10empty_typeEEEZZNS1_27merge_sort_block_merge_implIS3_PlPS5_mZN2at6native12_GLOBAL__N_124unique_dim_cuda_templateIiEESt5tupleIJNSA_6TensorESF_SF_EERKSF_lbbbEUlllE_EE10hipError_tT0_T1_T2_jT3_P12ihipStream_tbPNSt15iterator_traitsISL_E10value_typeEPNSR_ISM_E10value_typeEPSN_NS1_7vsmem_tEENKUlT_SL_SM_SN_E_clIS8_S8_S9_S9_EESK_S10_SL_SM_SN_EUlS10_E0_NS1_11comp_targetILNS1_3genE2ELNS1_11target_archE906ELNS1_3gpuE6ELNS1_3repE0EEENS1_38merge_mergepath_config_static_selectorELNS0_4arch9wavefront6targetE0EEEvSM_
                                        ; -- End function
	.section	.AMDGPU.csdata,"",@progbits
; Kernel info:
; codeLenInByte = 0
; NumSgprs: 0
; NumVgprs: 0
; ScratchSize: 0
; MemoryBound: 0
; FloatMode: 240
; IeeeMode: 1
; LDSByteSize: 0 bytes/workgroup (compile time only)
; SGPRBlocks: 0
; VGPRBlocks: 0
; NumSGPRsForWavesPerEU: 1
; NumVGPRsForWavesPerEU: 1
; Occupancy: 16
; WaveLimiterHint : 0
; COMPUTE_PGM_RSRC2:SCRATCH_EN: 0
; COMPUTE_PGM_RSRC2:USER_SGPR: 15
; COMPUTE_PGM_RSRC2:TRAP_HANDLER: 0
; COMPUTE_PGM_RSRC2:TGID_X_EN: 1
; COMPUTE_PGM_RSRC2:TGID_Y_EN: 0
; COMPUTE_PGM_RSRC2:TGID_Z_EN: 0
; COMPUTE_PGM_RSRC2:TIDIG_COMP_CNT: 0
	.section	.text._ZN7rocprim17ROCPRIM_400000_NS6detail17trampoline_kernelINS0_14default_configENS1_38merge_sort_block_merge_config_selectorIlNS0_10empty_typeEEEZZNS1_27merge_sort_block_merge_implIS3_PlPS5_mZN2at6native12_GLOBAL__N_124unique_dim_cuda_templateIiEESt5tupleIJNSA_6TensorESF_SF_EERKSF_lbbbEUlllE_EE10hipError_tT0_T1_T2_jT3_P12ihipStream_tbPNSt15iterator_traitsISL_E10value_typeEPNSR_ISM_E10value_typeEPSN_NS1_7vsmem_tEENKUlT_SL_SM_SN_E_clIS8_S8_S9_S9_EESK_S10_SL_SM_SN_EUlS10_E0_NS1_11comp_targetILNS1_3genE9ELNS1_11target_archE1100ELNS1_3gpuE3ELNS1_3repE0EEENS1_38merge_mergepath_config_static_selectorELNS0_4arch9wavefront6targetE0EEEvSM_,"axG",@progbits,_ZN7rocprim17ROCPRIM_400000_NS6detail17trampoline_kernelINS0_14default_configENS1_38merge_sort_block_merge_config_selectorIlNS0_10empty_typeEEEZZNS1_27merge_sort_block_merge_implIS3_PlPS5_mZN2at6native12_GLOBAL__N_124unique_dim_cuda_templateIiEESt5tupleIJNSA_6TensorESF_SF_EERKSF_lbbbEUlllE_EE10hipError_tT0_T1_T2_jT3_P12ihipStream_tbPNSt15iterator_traitsISL_E10value_typeEPNSR_ISM_E10value_typeEPSN_NS1_7vsmem_tEENKUlT_SL_SM_SN_E_clIS8_S8_S9_S9_EESK_S10_SL_SM_SN_EUlS10_E0_NS1_11comp_targetILNS1_3genE9ELNS1_11target_archE1100ELNS1_3gpuE3ELNS1_3repE0EEENS1_38merge_mergepath_config_static_selectorELNS0_4arch9wavefront6targetE0EEEvSM_,comdat
	.globl	_ZN7rocprim17ROCPRIM_400000_NS6detail17trampoline_kernelINS0_14default_configENS1_38merge_sort_block_merge_config_selectorIlNS0_10empty_typeEEEZZNS1_27merge_sort_block_merge_implIS3_PlPS5_mZN2at6native12_GLOBAL__N_124unique_dim_cuda_templateIiEESt5tupleIJNSA_6TensorESF_SF_EERKSF_lbbbEUlllE_EE10hipError_tT0_T1_T2_jT3_P12ihipStream_tbPNSt15iterator_traitsISL_E10value_typeEPNSR_ISM_E10value_typeEPSN_NS1_7vsmem_tEENKUlT_SL_SM_SN_E_clIS8_S8_S9_S9_EESK_S10_SL_SM_SN_EUlS10_E0_NS1_11comp_targetILNS1_3genE9ELNS1_11target_archE1100ELNS1_3gpuE3ELNS1_3repE0EEENS1_38merge_mergepath_config_static_selectorELNS0_4arch9wavefront6targetE0EEEvSM_ ; -- Begin function _ZN7rocprim17ROCPRIM_400000_NS6detail17trampoline_kernelINS0_14default_configENS1_38merge_sort_block_merge_config_selectorIlNS0_10empty_typeEEEZZNS1_27merge_sort_block_merge_implIS3_PlPS5_mZN2at6native12_GLOBAL__N_124unique_dim_cuda_templateIiEESt5tupleIJNSA_6TensorESF_SF_EERKSF_lbbbEUlllE_EE10hipError_tT0_T1_T2_jT3_P12ihipStream_tbPNSt15iterator_traitsISL_E10value_typeEPNSR_ISM_E10value_typeEPSN_NS1_7vsmem_tEENKUlT_SL_SM_SN_E_clIS8_S8_S9_S9_EESK_S10_SL_SM_SN_EUlS10_E0_NS1_11comp_targetILNS1_3genE9ELNS1_11target_archE1100ELNS1_3gpuE3ELNS1_3repE0EEENS1_38merge_mergepath_config_static_selectorELNS0_4arch9wavefront6targetE0EEEvSM_
	.p2align	8
	.type	_ZN7rocprim17ROCPRIM_400000_NS6detail17trampoline_kernelINS0_14default_configENS1_38merge_sort_block_merge_config_selectorIlNS0_10empty_typeEEEZZNS1_27merge_sort_block_merge_implIS3_PlPS5_mZN2at6native12_GLOBAL__N_124unique_dim_cuda_templateIiEESt5tupleIJNSA_6TensorESF_SF_EERKSF_lbbbEUlllE_EE10hipError_tT0_T1_T2_jT3_P12ihipStream_tbPNSt15iterator_traitsISL_E10value_typeEPNSR_ISM_E10value_typeEPSN_NS1_7vsmem_tEENKUlT_SL_SM_SN_E_clIS8_S8_S9_S9_EESK_S10_SL_SM_SN_EUlS10_E0_NS1_11comp_targetILNS1_3genE9ELNS1_11target_archE1100ELNS1_3gpuE3ELNS1_3repE0EEENS1_38merge_mergepath_config_static_selectorELNS0_4arch9wavefront6targetE0EEEvSM_,@function
_ZN7rocprim17ROCPRIM_400000_NS6detail17trampoline_kernelINS0_14default_configENS1_38merge_sort_block_merge_config_selectorIlNS0_10empty_typeEEEZZNS1_27merge_sort_block_merge_implIS3_PlPS5_mZN2at6native12_GLOBAL__N_124unique_dim_cuda_templateIiEESt5tupleIJNSA_6TensorESF_SF_EERKSF_lbbbEUlllE_EE10hipError_tT0_T1_T2_jT3_P12ihipStream_tbPNSt15iterator_traitsISL_E10value_typeEPNSR_ISM_E10value_typeEPSN_NS1_7vsmem_tEENKUlT_SL_SM_SN_E_clIS8_S8_S9_S9_EESK_S10_SL_SM_SN_EUlS10_E0_NS1_11comp_targetILNS1_3genE9ELNS1_11target_archE1100ELNS1_3gpuE3ELNS1_3repE0EEENS1_38merge_mergepath_config_static_selectorELNS0_4arch9wavefront6targetE0EEEvSM_: ; @_ZN7rocprim17ROCPRIM_400000_NS6detail17trampoline_kernelINS0_14default_configENS1_38merge_sort_block_merge_config_selectorIlNS0_10empty_typeEEEZZNS1_27merge_sort_block_merge_implIS3_PlPS5_mZN2at6native12_GLOBAL__N_124unique_dim_cuda_templateIiEESt5tupleIJNSA_6TensorESF_SF_EERKSF_lbbbEUlllE_EE10hipError_tT0_T1_T2_jT3_P12ihipStream_tbPNSt15iterator_traitsISL_E10value_typeEPNSR_ISM_E10value_typeEPSN_NS1_7vsmem_tEENKUlT_SL_SM_SN_E_clIS8_S8_S9_S9_EESK_S10_SL_SM_SN_EUlS10_E0_NS1_11comp_targetILNS1_3genE9ELNS1_11target_archE1100ELNS1_3gpuE3ELNS1_3repE0EEENS1_38merge_mergepath_config_static_selectorELNS0_4arch9wavefront6targetE0EEEvSM_
; %bb.0:
	s_clause 0x1
	s_load_b64 s[24:25], s[0:1], 0x58
	s_load_b32 s3, s[0:1], 0x38
	s_add_u32 s22, s0, 0x58
	s_addc_u32 s23, s1, 0
	s_waitcnt lgkmcnt(0)
	s_mul_i32 s2, s25, s15
	s_delay_alu instid0(SALU_CYCLE_1) | instskip(NEXT) | instid1(SALU_CYCLE_1)
	s_add_i32 s2, s2, s14
	s_mul_i32 s2, s2, s24
	s_delay_alu instid0(SALU_CYCLE_1) | instskip(NEXT) | instid1(SALU_CYCLE_1)
	s_add_i32 s2, s2, s13
	s_cmp_ge_u32 s2, s3
	s_cbranch_scc1 .LBB406_53
; %bb.1:
	s_clause 0x1
	s_load_b128 s[4:7], s[0:1], 0x28
	s_load_b64 s[8:9], s[0:1], 0x50
	s_mov_b32 s3, 0
	s_delay_alu instid0(SALU_CYCLE_1)
	s_lshl_b64 s[10:11], s[2:3], 3
	s_waitcnt lgkmcnt(0)
	v_alignbit_b32 v1, s7, s6, 9
	s_add_u32 s8, s8, s10
	s_addc_u32 s9, s9, s11
	s_lshl_b64 s[20:21], s[2:3], 10
	s_load_b128 s[16:19], s[8:9], 0x0
	v_readfirstlane_b32 s10, v1
	s_mov_b32 s9, s3
	s_delay_alu instid0(VALU_DEP_1) | instskip(NEXT) | instid1(SALU_CYCLE_1)
	s_and_b32 s8, s10, -2
	s_sub_i32 s25, 0, s8
	s_delay_alu instid0(SALU_CYCLE_1) | instskip(NEXT) | instid1(SALU_CYCLE_1)
	s_and_b32 s8, s2, s25
	s_lshl_b64 s[14:15], s[8:9], 10
	s_delay_alu instid0(SALU_CYCLE_1)
	s_sub_u32 s12, s20, s14
	s_subb_u32 s30, s21, s15
	s_lshl_b64 s[26:27], s[8:9], 11
	s_load_b128 s[8:11], s[0:1], 0x8
	s_add_u32 s28, s26, s6
	s_addc_u32 s29, s27, s7
	s_add_u32 s12, s28, s12
	s_addc_u32 s26, s29, s30
	s_waitcnt lgkmcnt(0)
	s_sub_u32 s27, s12, s18
	s_subb_u32 s19, s26, s19
	s_add_u32 s30, s27, 0x400
	s_addc_u32 s31, s19, 0
	s_delay_alu instid0(SALU_CYCLE_1) | instskip(NEXT) | instid1(VALU_DEP_1)
	v_cmp_lt_u64_e64 s19, s[4:5], s[30:31]
	s_and_b32 s19, s19, exec_lo
	s_cselect_b32 s27, s4, s30
	s_or_b32 s19, s2, s25
	s_mov_b32 s25, -1
	s_cmp_lg_u32 s19, -1
	s_cbranch_scc1 .LBB406_3
; %bb.2:
	s_sub_u32 s14, s28, s14
	s_subb_u32 s15, s29, s15
	s_delay_alu instid0(SALU_CYCLE_1) | instskip(NEXT) | instid1(VALU_DEP_1)
	v_cmp_lt_u64_e64 s18, s[4:5], s[14:15]
	s_and_b32 s18, s18, exec_lo
	s_cselect_b32 s18, s4, s14
	s_add_u32 s6, s14, s6
	s_addc_u32 s7, s15, s7
	s_delay_alu instid0(SALU_CYCLE_1) | instskip(NEXT) | instid1(VALU_DEP_1)
	v_cmp_lt_u64_e64 s7, s[4:5], s[6:7]
	s_and_b32 s7, s7, exec_lo
	s_cselect_b32 s27, s4, s6
.LBB406_3:
	s_lshr_b64 s[28:29], s[4:5], 10
	v_mov_b32_e32 v2, 0
	s_cmp_lg_u64 s[28:29], s[2:3]
	v_lshlrev_b32_e32 v11, 3, v0
	s_cselect_b32 s19, -1, 0
	s_sub_u32 s6, s12, s16
	s_subb_u32 s7, s26, s17
	global_load_b32 v1, v2, s[22:23] offset:14
	v_cmp_lt_u64_e64 s12, s[4:5], s[6:7]
	s_delay_alu instid0(VALU_DEP_1)
	s_and_b32 s12, s12, exec_lo
	s_cselect_b32 s30, s4, s6
	s_cselect_b32 s31, s5, s7
	s_lshl_b64 s[14:15], s[16:17], 3
	s_sub_i32 s5, s18, s16
	s_sub_i32 s6, s27, s30
	s_add_u32 s12, s8, s14
	s_addc_u32 s14, s9, s15
	s_lshl_b64 s[16:17], s[30:31], 3
	s_delay_alu instid0(SALU_CYCLE_1) | instskip(SKIP_3) | instid1(SALU_CYCLE_1)
	s_add_u32 s7, s8, s16
	s_addc_u32 s9, s9, s17
	s_cmp_lt_u32 s13, s24
	s_cselect_b32 s8, 12, 18
	s_add_u32 s16, s22, s8
	s_addc_u32 s17, s23, 0
	s_cmp_eq_u64 s[28:29], s[2:3]
	global_load_u16 v3, v2, s[16:17]
	s_waitcnt vmcnt(1)
	v_lshrrev_b32_e32 v4, 16, v1
	v_and_b32_e32 v1, 0xffff, v1
	s_delay_alu instid0(VALU_DEP_1) | instskip(SKIP_1) | instid1(VALU_DEP_1)
	v_mul_lo_u32 v1, v1, v4
	s_waitcnt vmcnt(0)
	v_mul_lo_u32 v7, v1, v3
	s_cbranch_scc1 .LBB406_5
; %bb.4:
	v_subrev_nc_u32_e32 v1, s5, v0
	v_add_co_u32 v8, s2, s12, v11
	s_delay_alu instid0(VALU_DEP_1) | instskip(NEXT) | instid1(VALU_DEP_3)
	v_add_co_ci_u32_e64 v9, null, s14, 0, s2
	v_lshlrev_b64 v[3:4], 3, v[1:2]
	v_add_nc_u32_e32 v1, v7, v0
	s_add_i32 s8, s5, s6
	s_delay_alu instid0(VALU_DEP_1) | instskip(NEXT) | instid1(VALU_DEP_3)
	v_lshlrev_b64 v[5:6], 3, v[1:2]
	v_add_co_u32 v3, s2, s7, v3
	s_delay_alu instid0(VALU_DEP_1) | instskip(SKIP_1) | instid1(VALU_DEP_4)
	v_add_co_ci_u32_e64 v4, s2, s9, v4, s2
	v_cmp_gt_u32_e64 s2, s5, v0
	v_add_co_u32 v5, vcc_lo, s12, v5
	v_add_co_ci_u32_e32 v6, vcc_lo, s14, v6, vcc_lo
	v_cmp_gt_u32_e32 vcc_lo, s5, v1
	v_subrev_nc_u32_e32 v1, s5, v1
	s_delay_alu instid0(VALU_DEP_1) | instskip(NEXT) | instid1(VALU_DEP_1)
	v_lshlrev_b64 v[1:2], 3, v[1:2]
	v_add_co_u32 v10, s3, s7, v1
	s_delay_alu instid0(VALU_DEP_1) | instskip(SKIP_2) | instid1(VALU_DEP_3)
	v_add_co_ci_u32_e64 v12, s3, s9, v2, s3
	v_cndmask_b32_e64 v2, v4, v9, s2
	v_cndmask_b32_e64 v1, v3, v8, s2
	v_dual_cndmask_b32 v3, v10, v5 :: v_dual_cndmask_b32 v4, v12, v6
	global_load_b64 v[1:2], v[1:2], off
	global_load_b64 v[5:6], v[3:4], off
	s_cbranch_execz .LBB406_6
	s_branch .LBB406_11
.LBB406_5:
                                        ; implicit-def: $vgpr5_vgpr6
                                        ; implicit-def: $sgpr8
                                        ; implicit-def: $vgpr1_vgpr2_vgpr3_vgpr4
	s_and_not1_b32 vcc_lo, exec_lo, s25
	s_cbranch_vccnz .LBB406_11
.LBB406_6:
	s_add_i32 s8, s5, s6
	s_mov_b32 s2, exec_lo
                                        ; implicit-def: $vgpr1_vgpr2
	v_cmpx_gt_u32_e64 s8, v0
	s_cbranch_execz .LBB406_8
; %bb.7:
	s_waitcnt vmcnt(1)
	v_subrev_nc_u32_e32 v1, s5, v0
	v_add_co_u32 v3, s3, s12, v11
	v_mov_b32_e32 v2, 0
	v_add_co_ci_u32_e64 v4, null, s14, 0, s3
	s_delay_alu instid0(VALU_DEP_2) | instskip(NEXT) | instid1(VALU_DEP_1)
	v_lshlrev_b64 v[1:2], 3, v[1:2]
	v_add_co_u32 v1, vcc_lo, s7, v1
	s_delay_alu instid0(VALU_DEP_2) | instskip(SKIP_1) | instid1(VALU_DEP_2)
	v_add_co_ci_u32_e32 v2, vcc_lo, s9, v2, vcc_lo
	v_cmp_gt_u32_e32 vcc_lo, s5, v0
	v_dual_cndmask_b32 v1, v1, v3 :: v_dual_cndmask_b32 v2, v2, v4
	global_load_b64 v[1:2], v[1:2], off
.LBB406_8:
	s_or_b32 exec_lo, exec_lo, s2
	v_add_nc_u32_e32 v7, v7, v0
	s_mov_b32 s3, exec_lo
	s_delay_alu instid0(VALU_DEP_1)
	v_cmpx_gt_u32_e64 s8, v7
                                        ; implicit-def: $vgpr3_vgpr4_vgpr5_vgpr6
	s_cbranch_execz .LBB406_10
; %bb.9:
	v_mov_b32_e32 v8, 0
	s_delay_alu instid0(VALU_DEP_1) | instskip(SKIP_1) | instid1(VALU_DEP_1)
	v_lshlrev_b64 v[3:4], 3, v[7:8]
	s_waitcnt vmcnt(0)
	v_add_co_u32 v5, vcc_lo, s12, v3
	s_delay_alu instid0(VALU_DEP_2) | instskip(SKIP_2) | instid1(VALU_DEP_1)
	v_add_co_ci_u32_e32 v6, vcc_lo, s14, v4, vcc_lo
	v_cmp_gt_u32_e32 vcc_lo, s5, v7
	v_subrev_nc_u32_e32 v7, s5, v7
	v_lshlrev_b64 v[3:4], 3, v[7:8]
	s_delay_alu instid0(VALU_DEP_1) | instskip(NEXT) | instid1(VALU_DEP_1)
	v_add_co_u32 v3, s2, s7, v3
	v_add_co_ci_u32_e64 v4, s2, s9, v4, s2
	s_delay_alu instid0(VALU_DEP_1)
	v_dual_cndmask_b32 v3, v3, v5 :: v_dual_cndmask_b32 v4, v4, v6
	global_load_b64 v[5:6], v[3:4], off
.LBB406_10:
	s_or_b32 exec_lo, exec_lo, s3
.LBB406_11:
	s_load_b128 s[12:15], s[0:1], 0x40
	v_lshlrev_b32_e32 v12, 1, v0
	s_mov_b32 s1, exec_lo
	s_waitcnt vmcnt(0)
	ds_store_2addr_stride64_b64 v11, v[1:2], v[5:6] offset1:8
	s_waitcnt lgkmcnt(0)
	s_barrier
	v_min_u32_e32 v9, s8, v12
	buffer_gl0_inv
	v_sub_nc_u32_e64 v13, v9, s6 clamp
	v_min_u32_e32 v10, s5, v9
	s_delay_alu instid0(VALU_DEP_1)
	v_cmpx_lt_u32_e64 v13, v10
	s_cbranch_execz .LBB406_21
; %bb.12:
	v_lshlrev_b32_e32 v3, 3, v9
	v_cmp_gt_i64_e64 s9, s[12:13], 0
	s_lshl_b64 s[2:3], s[12:13], 2
	s_mov_b32 s16, 0
	s_delay_alu instid0(VALU_DEP_2)
	v_lshl_add_u32 v14, s5, 3, v3
	s_branch .LBB406_15
.LBB406_13:                             ;   in Loop: Header=BB406_15 Depth=1
	s_set_inst_prefetch_distance 0x2
	s_or_b32 exec_lo, exec_lo, s17
.LBB406_14:                             ;   in Loop: Header=BB406_15 Depth=1
	s_delay_alu instid0(VALU_DEP_1) | instskip(SKIP_1) | instid1(VALU_DEP_2)
	v_add_nc_u32_e32 v3, 1, v15
	v_cndmask_b32_e64 v10, v10, v15, s18
	v_cndmask_b32_e64 v13, v3, v13, s18
	s_delay_alu instid0(VALU_DEP_1) | instskip(SKIP_1) | instid1(SALU_CYCLE_1)
	v_cmp_ge_u32_e32 vcc_lo, v13, v10
	s_or_b32 s16, vcc_lo, s16
	s_and_not1_b32 exec_lo, exec_lo, s16
	s_cbranch_execz .LBB406_20
.LBB406_15:                             ; =>This Loop Header: Depth=1
                                        ;     Child Loop BB406_18 Depth 2
	v_add_nc_u32_e32 v3, v10, v13
	s_and_not1_b32 vcc_lo, exec_lo, s9
	s_mov_b32 s18, 0
	s_delay_alu instid0(VALU_DEP_1)
	v_lshrrev_b32_e32 v15, 1, v3
	s_cbranch_vccnz .LBB406_14
; %bb.16:                               ;   in Loop: Header=BB406_15 Depth=1
	s_delay_alu instid0(VALU_DEP_1) | instskip(SKIP_3) | instid1(VALU_DEP_2)
	v_not_b32_e32 v3, v15
	v_lshlrev_b32_e32 v4, 3, v15
	s_mov_b32 s17, 0
	s_mov_b64 s[6:7], s[12:13]
                                        ; implicit-def: $sgpr18
                                        ; implicit-def: $sgpr22
                                        ; implicit-def: $sgpr23
                                        ; implicit-def: $sgpr24
                                        ; implicit-def: $sgpr25
	v_lshl_add_u32 v3, v3, 3, v14
	ds_load_b64 v[7:8], v3
	ds_load_b64 v[16:17], v4
	s_waitcnt lgkmcnt(1)
	v_mul_lo_u32 v18, s2, v8
	v_mul_lo_u32 v19, s3, v7
	v_mad_u64_u32 v[3:4], null, s2, v7, s[14:15]
	s_waitcnt lgkmcnt(0)
	v_mul_lo_u32 v17, s2, v17
	v_mul_lo_u32 v20, s3, v16
	v_mad_u64_u32 v[7:8], null, s2, v16, s[14:15]
	s_delay_alu instid0(VALU_DEP_4) | instskip(NEXT) | instid1(VALU_DEP_2)
	v_add3_u32 v4, v19, v4, v18
	v_add3_u32 v8, v20, v8, v17
	s_set_inst_prefetch_distance 0x1
	s_branch .LBB406_18
	.p2align	6
.LBB406_17:                             ;   in Loop: Header=BB406_18 Depth=2
	s_or_b32 exec_lo, exec_lo, s0
	s_delay_alu instid0(SALU_CYCLE_1) | instskip(NEXT) | instid1(SALU_CYCLE_1)
	s_and_b32 s0, exec_lo, s22
	s_or_b32 s17, s0, s17
	s_and_not1_b32 s0, s25, exec_lo
	s_and_b32 s25, s23, exec_lo
	s_and_not1_b32 s18, s18, exec_lo
	s_and_b32 s26, s24, exec_lo
	s_or_b32 s25, s0, s25
	s_or_b32 s18, s18, s26
	s_and_not1_b32 exec_lo, exec_lo, s17
	s_cbranch_execz .LBB406_13
.LBB406_18:                             ;   Parent Loop BB406_15 Depth=1
                                        ; =>  This Inner Loop Header: Depth=2
	global_load_b32 v16, v[3:4], off
	global_load_b32 v17, v[7:8], off
	s_and_not1_b32 s24, s24, exec_lo
	s_and_not1_b32 s23, s23, exec_lo
	s_or_b32 s22, s22, exec_lo
	s_waitcnt vmcnt(0)
	v_cmp_le_i32_e32 vcc_lo, v16, v17
	v_cmp_lt_i32_e64 s0, v16, v17
	s_and_b32 s26, vcc_lo, s25
	s_delay_alu instid0(VALU_DEP_1) | instid1(SALU_CYCLE_1)
	s_or_b32 s26, s0, s26
	s_delay_alu instid0(SALU_CYCLE_1) | instskip(NEXT) | instid1(SALU_CYCLE_1)
	s_and_b32 s0, s26, exec_lo
	s_or_b32 s24, s24, s0
	s_mov_b32 s0, exec_lo
	v_cmpx_eq_u32_e64 v16, v17
	s_cbranch_execz .LBB406_17
; %bb.19:                               ;   in Loop: Header=BB406_18 Depth=2
	s_add_u32 s6, s6, -1
	s_addc_u32 s7, s7, -1
	v_add_co_u32 v3, vcc_lo, v3, 4
	v_add_co_ci_u32_e32 v4, vcc_lo, 0, v4, vcc_lo
	s_cmp_eq_u64 s[6:7], 0
	v_add_co_u32 v7, vcc_lo, v7, 4
	s_cselect_b32 s25, -1, 0
	v_add_co_ci_u32_e32 v8, vcc_lo, 0, v8, vcc_lo
	s_and_not1_b32 s23, s23, exec_lo
	s_and_b32 s26, s26, exec_lo
	s_and_not1_b32 s22, s22, exec_lo
	s_and_b32 s25, s25, exec_lo
	s_and_not1_b32 s24, s24, exec_lo
	s_or_b32 s23, s23, s26
	s_or_b32 s22, s22, s25
                                        ; implicit-def: $sgpr25
	s_branch .LBB406_17
.LBB406_20:
	s_or_b32 exec_lo, exec_lo, s16
.LBB406_21:
	s_delay_alu instid0(SALU_CYCLE_1) | instskip(SKIP_2) | instid1(VALU_DEP_2)
	s_or_b32 exec_lo, exec_lo, s1
	v_sub_nc_u32_e32 v3, v9, v13
	v_cmp_ge_u32_e32 vcc_lo, s5, v13
	v_add_nc_u32_e32 v14, s5, v3
	s_delay_alu instid0(VALU_DEP_1) | instskip(NEXT) | instid1(VALU_DEP_1)
	v_cmp_ge_u32_e64 s0, s8, v14
	s_or_b32 s0, vcc_lo, s0
	s_delay_alu instid0(SALU_CYCLE_1)
	s_and_saveexec_b32 s1, s0
	s_cbranch_execz .LBB406_45
; %bb.22:
	v_cmp_le_u32_e32 vcc_lo, s5, v13
	s_mov_b32 s2, exec_lo
                                        ; implicit-def: $vgpr3_vgpr4
	v_cmpx_gt_u32_e64 s5, v13
	s_cbranch_execz .LBB406_24
; %bb.23:
	v_lshlrev_b32_e32 v1, 3, v13
	ds_load_b64 v[3:4], v1
.LBB406_24:
	s_or_b32 exec_lo, exec_lo, s2
	v_cmp_le_u32_e64 s6, s8, v14
	s_mov_b32 s2, exec_lo
                                        ; implicit-def: $vgpr7_vgpr8
	v_cmpx_gt_u32_e64 s8, v14
	s_cbranch_execz .LBB406_26
; %bb.25:
	v_lshlrev_b32_e32 v1, 3, v14
	ds_load_b64 v[7:8], v1
.LBB406_26:
	s_or_b32 exec_lo, exec_lo, s2
	v_cmp_gt_i64_e64 s7, s[12:13], 0
	s_or_b32 s2, vcc_lo, s6
	s_mov_b32 s0, -1
	s_xor_b32 s2, s2, -1
	s_delay_alu instid0(SALU_CYCLE_1)
	s_and_saveexec_b32 s9, s2
	s_cbranch_execz .LBB406_34
; %bb.27:
	s_and_not1_b32 vcc_lo, exec_lo, s7
	s_cbranch_vccnz .LBB406_33
; %bb.28:
	s_waitcnt lgkmcnt(0)
	v_mul_lo_u32 v9, v8, s12
	v_mul_lo_u32 v10, v7, s13
	v_mad_u64_u32 v[1:2], null, v7, s12, 0
	v_mul_lo_u32 v15, v4, s12
	v_mul_lo_u32 v16, v3, s13
	v_mad_u64_u32 v[5:6], null, v3, s12, 0
	s_mov_b32 s16, 0
	s_mov_b64 s[2:3], s[12:13]
	s_delay_alu instid0(VALU_DEP_4) | instskip(NEXT) | instid1(VALU_DEP_2)
	v_add3_u32 v2, v2, v10, v9
                                        ; implicit-def: $sgpr17
                                        ; implicit-def: $sgpr18
                                        ; implicit-def: $sgpr22
                                        ; implicit-def: $sgpr23
                                        ; implicit-def: $sgpr24
	v_add3_u32 v6, v6, v16, v15
	s_delay_alu instid0(VALU_DEP_2) | instskip(NEXT) | instid1(VALU_DEP_2)
	v_lshlrev_b64 v[1:2], 2, v[1:2]
	v_lshlrev_b64 v[5:6], 2, v[5:6]
	s_delay_alu instid0(VALU_DEP_2) | instskip(NEXT) | instid1(VALU_DEP_3)
	v_add_co_u32 v1, vcc_lo, s14, v1
	v_add_co_ci_u32_e32 v2, vcc_lo, s15, v2, vcc_lo
	s_delay_alu instid0(VALU_DEP_3) | instskip(NEXT) | instid1(VALU_DEP_4)
	v_add_co_u32 v5, vcc_lo, s14, v5
	v_add_co_ci_u32_e32 v6, vcc_lo, s15, v6, vcc_lo
	s_set_inst_prefetch_distance 0x1
	s_branch .LBB406_30
	.p2align	6
.LBB406_29:                             ;   in Loop: Header=BB406_30 Depth=1
	s_or_b32 exec_lo, exec_lo, s0
	s_delay_alu instid0(SALU_CYCLE_1) | instskip(NEXT) | instid1(SALU_CYCLE_1)
	s_and_b32 s0, exec_lo, s18
	s_or_b32 s16, s0, s16
	s_and_not1_b32 s0, s24, exec_lo
	s_and_b32 s24, s23, exec_lo
	s_and_not1_b32 s17, s17, exec_lo
	s_and_b32 s25, s22, exec_lo
	s_or_b32 s24, s0, s24
	s_or_b32 s17, s17, s25
	s_and_not1_b32 exec_lo, exec_lo, s16
	s_cbranch_execz .LBB406_32
.LBB406_30:                             ; =>This Inner Loop Header: Depth=1
	global_load_b32 v9, v[1:2], off
	global_load_b32 v10, v[5:6], off
	s_and_not1_b32 s22, s22, exec_lo
	s_and_not1_b32 s23, s23, exec_lo
	s_or_b32 s18, s18, exec_lo
	s_waitcnt vmcnt(0)
	v_cmp_le_i32_e32 vcc_lo, v9, v10
	v_cmp_lt_i32_e64 s0, v9, v10
	s_and_b32 s25, vcc_lo, s24
	s_delay_alu instid0(VALU_DEP_1) | instid1(SALU_CYCLE_1)
	s_or_b32 s25, s0, s25
	s_delay_alu instid0(SALU_CYCLE_1) | instskip(NEXT) | instid1(SALU_CYCLE_1)
	s_and_b32 s0, s25, exec_lo
	s_or_b32 s22, s22, s0
	s_mov_b32 s0, exec_lo
	v_cmpx_eq_u32_e64 v9, v10
	s_cbranch_execz .LBB406_29
; %bb.31:                               ;   in Loop: Header=BB406_30 Depth=1
	s_add_u32 s2, s2, -1
	s_addc_u32 s3, s3, -1
	v_add_co_u32 v1, vcc_lo, v1, 4
	s_cmp_eq_u64 s[2:3], 0
	v_add_co_ci_u32_e32 v2, vcc_lo, 0, v2, vcc_lo
	v_add_co_u32 v5, vcc_lo, v5, 4
	s_cselect_b32 s24, -1, 0
	v_add_co_ci_u32_e32 v6, vcc_lo, 0, v6, vcc_lo
	s_and_not1_b32 s23, s23, exec_lo
	s_and_b32 s25, s25, exec_lo
	s_and_not1_b32 s18, s18, exec_lo
	s_and_b32 s24, s24, exec_lo
	s_or_b32 s23, s23, s25
	s_and_not1_b32 s22, s22, exec_lo
	s_or_b32 s18, s18, s24
                                        ; implicit-def: $sgpr24
	s_branch .LBB406_29
.LBB406_32:
	s_set_inst_prefetch_distance 0x2
	s_or_b32 exec_lo, exec_lo, s16
	s_xor_b32 s0, s17, -1
.LBB406_33:
	s_and_not1_b32 s2, s6, exec_lo
	s_and_b32 s0, s0, exec_lo
	s_delay_alu instid0(SALU_CYCLE_1)
	s_or_b32 s6, s2, s0
.LBB406_34:
	s_or_b32 exec_lo, exec_lo, s9
	v_mov_b32_e32 v1, s5
	v_cndmask_b32_e64 v2, v14, v13, s6
	s_mov_b32 s2, exec_lo
	s_delay_alu instid0(VALU_DEP_2) | instskip(NEXT) | instid1(VALU_DEP_2)
	v_cndmask_b32_e64 v1, s8, v1, s6
	v_add_nc_u32_e32 v15, 1, v2
	s_waitcnt lgkmcnt(0)
	v_cndmask_b32_e64 v2, v8, v4, s6
	s_delay_alu instid0(VALU_DEP_3) | instskip(NEXT) | instid1(VALU_DEP_3)
	v_add_nc_u32_e32 v1, -1, v1
	v_cndmask_b32_e64 v14, v15, v14, s6
	s_delay_alu instid0(VALU_DEP_2) | instskip(NEXT) | instid1(VALU_DEP_1)
	v_min_u32_e32 v1, v15, v1
	v_lshlrev_b32_e32 v1, 3, v1
	ds_load_b64 v[9:10], v1
	v_cndmask_b32_e64 v1, v7, v3, s6
	s_waitcnt lgkmcnt(0)
	v_cndmask_b32_e64 v6, v4, v10, s6
	v_cndmask_b32_e64 v5, v3, v9, s6
	v_cmpx_gt_u32_e64 s8, v14
	s_cbranch_execz .LBB406_44
; %bb.35:
	v_cndmask_b32_e64 v13, v13, v15, s6
	v_cndmask_b32_e64 v4, v10, v8, s6
	;; [unrolled: 1-line block ×3, first 2 shown]
	s_mov_b32 s3, exec_lo
	s_delay_alu instid0(VALU_DEP_3)
	v_cmpx_gt_u32_e64 s5, v13
	s_cbranch_execz .LBB406_43
; %bb.36:
	s_and_not1_b32 vcc_lo, exec_lo, s7
	s_cbranch_vccnz .LBB406_42
; %bb.37:
	v_mul_lo_u32 v13, v4, s12
	v_mul_lo_u32 v14, v3, s13
	v_mad_u64_u32 v[7:8], null, v3, s12, 0
	v_mul_lo_u32 v15, v6, s12
	v_mul_lo_u32 v16, v5, s13
	v_mad_u64_u32 v[9:10], null, v5, s12, 0
	s_mov_b32 s5, 0
                                        ; implicit-def: $sgpr6
                                        ; implicit-def: $sgpr7
                                        ; implicit-def: $sgpr8
                                        ; implicit-def: $sgpr9
	s_delay_alu instid0(VALU_DEP_4) | instskip(NEXT) | instid1(VALU_DEP_2)
	v_add3_u32 v8, v8, v14, v13
	v_add3_u32 v10, v10, v16, v15
	s_delay_alu instid0(VALU_DEP_2) | instskip(NEXT) | instid1(VALU_DEP_2)
	v_lshlrev_b64 v[7:8], 2, v[7:8]
	v_lshlrev_b64 v[9:10], 2, v[9:10]
	s_delay_alu instid0(VALU_DEP_2) | instskip(NEXT) | instid1(VALU_DEP_3)
	v_add_co_u32 v7, vcc_lo, s14, v7
	v_add_co_ci_u32_e32 v8, vcc_lo, s15, v8, vcc_lo
	s_delay_alu instid0(VALU_DEP_3) | instskip(NEXT) | instid1(VALU_DEP_4)
	v_add_co_u32 v9, vcc_lo, s14, v9
	v_add_co_ci_u32_e32 v10, vcc_lo, s15, v10, vcc_lo
                                        ; implicit-def: $sgpr14
	s_set_inst_prefetch_distance 0x1
	s_branch .LBB406_39
	.p2align	6
.LBB406_38:                             ;   in Loop: Header=BB406_39 Depth=1
	s_or_b32 exec_lo, exec_lo, s0
	s_delay_alu instid0(SALU_CYCLE_1) | instskip(NEXT) | instid1(SALU_CYCLE_1)
	s_and_b32 s0, exec_lo, s7
	s_or_b32 s5, s0, s5
	s_and_not1_b32 s0, s14, exec_lo
	s_and_b32 s14, s9, exec_lo
	s_and_not1_b32 s6, s6, exec_lo
	s_and_b32 s15, s8, exec_lo
	s_or_b32 s14, s0, s14
	s_or_b32 s6, s6, s15
	s_and_not1_b32 exec_lo, exec_lo, s5
	s_cbranch_execz .LBB406_41
.LBB406_39:                             ; =>This Inner Loop Header: Depth=1
	global_load_b32 v13, v[7:8], off
	global_load_b32 v14, v[9:10], off
	s_and_not1_b32 s8, s8, exec_lo
	s_and_not1_b32 s9, s9, exec_lo
	s_or_b32 s7, s7, exec_lo
	s_waitcnt vmcnt(0)
	v_cmp_le_i32_e32 vcc_lo, v13, v14
	v_cmp_lt_i32_e64 s0, v13, v14
	s_and_b32 s15, vcc_lo, s14
	s_delay_alu instid0(VALU_DEP_1) | instid1(SALU_CYCLE_1)
	s_or_b32 s15, s0, s15
	s_delay_alu instid0(SALU_CYCLE_1) | instskip(NEXT) | instid1(SALU_CYCLE_1)
	s_and_b32 s0, s15, exec_lo
	s_or_b32 s8, s8, s0
	s_mov_b32 s0, exec_lo
	v_cmpx_eq_u32_e64 v13, v14
	s_cbranch_execz .LBB406_38
; %bb.40:                               ;   in Loop: Header=BB406_39 Depth=1
	s_add_u32 s12, s12, -1
	s_addc_u32 s13, s13, -1
	v_add_co_u32 v7, vcc_lo, v7, 4
	s_cmp_eq_u64 s[12:13], 0
	v_add_co_ci_u32_e32 v8, vcc_lo, 0, v8, vcc_lo
	v_add_co_u32 v9, vcc_lo, v9, 4
	s_cselect_b32 s14, -1, 0
	v_add_co_ci_u32_e32 v10, vcc_lo, 0, v10, vcc_lo
	s_and_not1_b32 s9, s9, exec_lo
	s_and_b32 s15, s15, exec_lo
	s_and_not1_b32 s7, s7, exec_lo
	s_and_b32 s14, s14, exec_lo
	s_or_b32 s9, s9, s15
	s_and_not1_b32 s8, s8, exec_lo
	s_or_b32 s7, s7, s14
                                        ; implicit-def: $sgpr14
	s_branch .LBB406_38
.LBB406_41:
	s_set_inst_prefetch_distance 0x2
	s_or_b32 exec_lo, exec_lo, s5
	v_cndmask_b32_e64 v6, v6, v4, s6
	v_cndmask_b32_e64 v5, v5, v3, s6
.LBB406_42:
	s_delay_alu instid0(VALU_DEP_1)
	v_dual_mov_b32 v3, v5 :: v_dual_mov_b32 v4, v6
.LBB406_43:
	s_or_b32 exec_lo, exec_lo, s3
	s_delay_alu instid0(VALU_DEP_1)
	v_dual_mov_b32 v6, v4 :: v_dual_mov_b32 v5, v3
.LBB406_44:
	s_or_b32 exec_lo, exec_lo, s2
.LBB406_45:
	s_delay_alu instid0(SALU_CYCLE_1) | instskip(SKIP_4) | instid1(VALU_DEP_3)
	s_or_b32 exec_lo, exec_lo, s1
	v_lshrrev_b32_e32 v3, 1, v0
	v_or_b32_e32 v7, 0x200, v0
	v_lshrrev_b32_e32 v4, 2, v0
	s_lshl_b64 s[0:1], s[20:21], 3
	v_and_b32_e32 v3, 0xf8, v3
	s_delay_alu instid0(VALU_DEP_3) | instskip(NEXT) | instid1(VALU_DEP_3)
	v_lshrrev_b32_e32 v8, 2, v7
	v_and_b32_e32 v4, 0x78, v4
	s_add_u32 s0, s10, s0
	s_barrier
	v_lshl_add_u32 v3, v12, 3, v3
	v_and_b32_e32 v8, 0xf8, v8
	buffer_gl0_inv
	s_barrier
	buffer_gl0_inv
	s_addc_u32 s1, s11, s1
	ds_store_2addr_b64 v3, v[1:2], v[5:6] offset1:1
	v_add_co_u32 v1, s0, s0, v11
	v_add_nc_u32_e32 v5, v11, v4
	v_add_nc_u32_e32 v6, v11, v8
	v_add_co_ci_u32_e64 v2, null, s1, 0, s0
	s_and_b32 vcc_lo, exec_lo, s19
	s_mov_b32 s0, 0
	s_waitcnt lgkmcnt(0)
	s_cbranch_vccz .LBB406_47
; %bb.46:
	s_barrier
	buffer_gl0_inv
	ds_load_b64 v[8:9], v5
	ds_load_b64 v[3:4], v6 offset:4096
	s_mov_b32 s0, -1
	s_waitcnt lgkmcnt(1)
	global_store_b64 v[1:2], v[8:9], off
	s_cbranch_execz .LBB406_48
	s_branch .LBB406_51
.LBB406_47:
                                        ; implicit-def: $vgpr3_vgpr4
.LBB406_48:
	s_waitcnt lgkmcnt(0)
	s_waitcnt_vscnt null, 0x0
	s_barrier
	buffer_gl0_inv
	ds_load_b64 v[3:4], v6 offset:4096
	s_sub_i32 s0, s4, s20
	s_mov_b32 s1, exec_lo
	v_cmpx_gt_u32_e64 s0, v0
	s_cbranch_execz .LBB406_50
; %bb.49:
	ds_load_b64 v[5:6], v5
	s_waitcnt lgkmcnt(0)
	global_store_b64 v[1:2], v[5:6], off
.LBB406_50:
	s_or_b32 exec_lo, exec_lo, s1
	v_cmp_gt_u32_e64 s0, s0, v7
.LBB406_51:
	s_delay_alu instid0(VALU_DEP_1)
	s_and_saveexec_b32 s1, s0
	s_cbranch_execz .LBB406_53
; %bb.52:
	v_add_co_u32 v0, vcc_lo, 0x1000, v1
	v_add_co_ci_u32_e32 v1, vcc_lo, 0, v2, vcc_lo
	s_waitcnt lgkmcnt(0)
	global_store_b64 v[0:1], v[3:4], off
.LBB406_53:
	s_nop 0
	s_sendmsg sendmsg(MSG_DEALLOC_VGPRS)
	s_endpgm
	.section	.rodata,"a",@progbits
	.p2align	6, 0x0
	.amdhsa_kernel _ZN7rocprim17ROCPRIM_400000_NS6detail17trampoline_kernelINS0_14default_configENS1_38merge_sort_block_merge_config_selectorIlNS0_10empty_typeEEEZZNS1_27merge_sort_block_merge_implIS3_PlPS5_mZN2at6native12_GLOBAL__N_124unique_dim_cuda_templateIiEESt5tupleIJNSA_6TensorESF_SF_EERKSF_lbbbEUlllE_EE10hipError_tT0_T1_T2_jT3_P12ihipStream_tbPNSt15iterator_traitsISL_E10value_typeEPNSR_ISM_E10value_typeEPSN_NS1_7vsmem_tEENKUlT_SL_SM_SN_E_clIS8_S8_S9_S9_EESK_S10_SL_SM_SN_EUlS10_E0_NS1_11comp_targetILNS1_3genE9ELNS1_11target_archE1100ELNS1_3gpuE3ELNS1_3repE0EEENS1_38merge_mergepath_config_static_selectorELNS0_4arch9wavefront6targetE0EEEvSM_
		.amdhsa_group_segment_fixed_size 8448
		.amdhsa_private_segment_fixed_size 0
		.amdhsa_kernarg_size 344
		.amdhsa_user_sgpr_count 13
		.amdhsa_user_sgpr_dispatch_ptr 0
		.amdhsa_user_sgpr_queue_ptr 0
		.amdhsa_user_sgpr_kernarg_segment_ptr 1
		.amdhsa_user_sgpr_dispatch_id 0
		.amdhsa_user_sgpr_private_segment_size 0
		.amdhsa_wavefront_size32 1
		.amdhsa_uses_dynamic_stack 0
		.amdhsa_enable_private_segment 0
		.amdhsa_system_sgpr_workgroup_id_x 1
		.amdhsa_system_sgpr_workgroup_id_y 1
		.amdhsa_system_sgpr_workgroup_id_z 1
		.amdhsa_system_sgpr_workgroup_info 0
		.amdhsa_system_vgpr_workitem_id 0
		.amdhsa_next_free_vgpr 21
		.amdhsa_next_free_sgpr 32
		.amdhsa_reserve_vcc 1
		.amdhsa_float_round_mode_32 0
		.amdhsa_float_round_mode_16_64 0
		.amdhsa_float_denorm_mode_32 3
		.amdhsa_float_denorm_mode_16_64 3
		.amdhsa_dx10_clamp 1
		.amdhsa_ieee_mode 1
		.amdhsa_fp16_overflow 0
		.amdhsa_workgroup_processor_mode 1
		.amdhsa_memory_ordered 1
		.amdhsa_forward_progress 0
		.amdhsa_shared_vgpr_count 0
		.amdhsa_exception_fp_ieee_invalid_op 0
		.amdhsa_exception_fp_denorm_src 0
		.amdhsa_exception_fp_ieee_div_zero 0
		.amdhsa_exception_fp_ieee_overflow 0
		.amdhsa_exception_fp_ieee_underflow 0
		.amdhsa_exception_fp_ieee_inexact 0
		.amdhsa_exception_int_div_zero 0
	.end_amdhsa_kernel
	.section	.text._ZN7rocprim17ROCPRIM_400000_NS6detail17trampoline_kernelINS0_14default_configENS1_38merge_sort_block_merge_config_selectorIlNS0_10empty_typeEEEZZNS1_27merge_sort_block_merge_implIS3_PlPS5_mZN2at6native12_GLOBAL__N_124unique_dim_cuda_templateIiEESt5tupleIJNSA_6TensorESF_SF_EERKSF_lbbbEUlllE_EE10hipError_tT0_T1_T2_jT3_P12ihipStream_tbPNSt15iterator_traitsISL_E10value_typeEPNSR_ISM_E10value_typeEPSN_NS1_7vsmem_tEENKUlT_SL_SM_SN_E_clIS8_S8_S9_S9_EESK_S10_SL_SM_SN_EUlS10_E0_NS1_11comp_targetILNS1_3genE9ELNS1_11target_archE1100ELNS1_3gpuE3ELNS1_3repE0EEENS1_38merge_mergepath_config_static_selectorELNS0_4arch9wavefront6targetE0EEEvSM_,"axG",@progbits,_ZN7rocprim17ROCPRIM_400000_NS6detail17trampoline_kernelINS0_14default_configENS1_38merge_sort_block_merge_config_selectorIlNS0_10empty_typeEEEZZNS1_27merge_sort_block_merge_implIS3_PlPS5_mZN2at6native12_GLOBAL__N_124unique_dim_cuda_templateIiEESt5tupleIJNSA_6TensorESF_SF_EERKSF_lbbbEUlllE_EE10hipError_tT0_T1_T2_jT3_P12ihipStream_tbPNSt15iterator_traitsISL_E10value_typeEPNSR_ISM_E10value_typeEPSN_NS1_7vsmem_tEENKUlT_SL_SM_SN_E_clIS8_S8_S9_S9_EESK_S10_SL_SM_SN_EUlS10_E0_NS1_11comp_targetILNS1_3genE9ELNS1_11target_archE1100ELNS1_3gpuE3ELNS1_3repE0EEENS1_38merge_mergepath_config_static_selectorELNS0_4arch9wavefront6targetE0EEEvSM_,comdat
.Lfunc_end406:
	.size	_ZN7rocprim17ROCPRIM_400000_NS6detail17trampoline_kernelINS0_14default_configENS1_38merge_sort_block_merge_config_selectorIlNS0_10empty_typeEEEZZNS1_27merge_sort_block_merge_implIS3_PlPS5_mZN2at6native12_GLOBAL__N_124unique_dim_cuda_templateIiEESt5tupleIJNSA_6TensorESF_SF_EERKSF_lbbbEUlllE_EE10hipError_tT0_T1_T2_jT3_P12ihipStream_tbPNSt15iterator_traitsISL_E10value_typeEPNSR_ISM_E10value_typeEPSN_NS1_7vsmem_tEENKUlT_SL_SM_SN_E_clIS8_S8_S9_S9_EESK_S10_SL_SM_SN_EUlS10_E0_NS1_11comp_targetILNS1_3genE9ELNS1_11target_archE1100ELNS1_3gpuE3ELNS1_3repE0EEENS1_38merge_mergepath_config_static_selectorELNS0_4arch9wavefront6targetE0EEEvSM_, .Lfunc_end406-_ZN7rocprim17ROCPRIM_400000_NS6detail17trampoline_kernelINS0_14default_configENS1_38merge_sort_block_merge_config_selectorIlNS0_10empty_typeEEEZZNS1_27merge_sort_block_merge_implIS3_PlPS5_mZN2at6native12_GLOBAL__N_124unique_dim_cuda_templateIiEESt5tupleIJNSA_6TensorESF_SF_EERKSF_lbbbEUlllE_EE10hipError_tT0_T1_T2_jT3_P12ihipStream_tbPNSt15iterator_traitsISL_E10value_typeEPNSR_ISM_E10value_typeEPSN_NS1_7vsmem_tEENKUlT_SL_SM_SN_E_clIS8_S8_S9_S9_EESK_S10_SL_SM_SN_EUlS10_E0_NS1_11comp_targetILNS1_3genE9ELNS1_11target_archE1100ELNS1_3gpuE3ELNS1_3repE0EEENS1_38merge_mergepath_config_static_selectorELNS0_4arch9wavefront6targetE0EEEvSM_
                                        ; -- End function
	.section	.AMDGPU.csdata,"",@progbits
; Kernel info:
; codeLenInByte = 2856
; NumSgprs: 34
; NumVgprs: 21
; ScratchSize: 0
; MemoryBound: 0
; FloatMode: 240
; IeeeMode: 1
; LDSByteSize: 8448 bytes/workgroup (compile time only)
; SGPRBlocks: 4
; VGPRBlocks: 2
; NumSGPRsForWavesPerEU: 34
; NumVGPRsForWavesPerEU: 21
; Occupancy: 16
; WaveLimiterHint : 1
; COMPUTE_PGM_RSRC2:SCRATCH_EN: 0
; COMPUTE_PGM_RSRC2:USER_SGPR: 13
; COMPUTE_PGM_RSRC2:TRAP_HANDLER: 0
; COMPUTE_PGM_RSRC2:TGID_X_EN: 1
; COMPUTE_PGM_RSRC2:TGID_Y_EN: 1
; COMPUTE_PGM_RSRC2:TGID_Z_EN: 1
; COMPUTE_PGM_RSRC2:TIDIG_COMP_CNT: 0
	.section	.text._ZN7rocprim17ROCPRIM_400000_NS6detail17trampoline_kernelINS0_14default_configENS1_38merge_sort_block_merge_config_selectorIlNS0_10empty_typeEEEZZNS1_27merge_sort_block_merge_implIS3_PlPS5_mZN2at6native12_GLOBAL__N_124unique_dim_cuda_templateIiEESt5tupleIJNSA_6TensorESF_SF_EERKSF_lbbbEUlllE_EE10hipError_tT0_T1_T2_jT3_P12ihipStream_tbPNSt15iterator_traitsISL_E10value_typeEPNSR_ISM_E10value_typeEPSN_NS1_7vsmem_tEENKUlT_SL_SM_SN_E_clIS8_S8_S9_S9_EESK_S10_SL_SM_SN_EUlS10_E0_NS1_11comp_targetILNS1_3genE8ELNS1_11target_archE1030ELNS1_3gpuE2ELNS1_3repE0EEENS1_38merge_mergepath_config_static_selectorELNS0_4arch9wavefront6targetE0EEEvSM_,"axG",@progbits,_ZN7rocprim17ROCPRIM_400000_NS6detail17trampoline_kernelINS0_14default_configENS1_38merge_sort_block_merge_config_selectorIlNS0_10empty_typeEEEZZNS1_27merge_sort_block_merge_implIS3_PlPS5_mZN2at6native12_GLOBAL__N_124unique_dim_cuda_templateIiEESt5tupleIJNSA_6TensorESF_SF_EERKSF_lbbbEUlllE_EE10hipError_tT0_T1_T2_jT3_P12ihipStream_tbPNSt15iterator_traitsISL_E10value_typeEPNSR_ISM_E10value_typeEPSN_NS1_7vsmem_tEENKUlT_SL_SM_SN_E_clIS8_S8_S9_S9_EESK_S10_SL_SM_SN_EUlS10_E0_NS1_11comp_targetILNS1_3genE8ELNS1_11target_archE1030ELNS1_3gpuE2ELNS1_3repE0EEENS1_38merge_mergepath_config_static_selectorELNS0_4arch9wavefront6targetE0EEEvSM_,comdat
	.globl	_ZN7rocprim17ROCPRIM_400000_NS6detail17trampoline_kernelINS0_14default_configENS1_38merge_sort_block_merge_config_selectorIlNS0_10empty_typeEEEZZNS1_27merge_sort_block_merge_implIS3_PlPS5_mZN2at6native12_GLOBAL__N_124unique_dim_cuda_templateIiEESt5tupleIJNSA_6TensorESF_SF_EERKSF_lbbbEUlllE_EE10hipError_tT0_T1_T2_jT3_P12ihipStream_tbPNSt15iterator_traitsISL_E10value_typeEPNSR_ISM_E10value_typeEPSN_NS1_7vsmem_tEENKUlT_SL_SM_SN_E_clIS8_S8_S9_S9_EESK_S10_SL_SM_SN_EUlS10_E0_NS1_11comp_targetILNS1_3genE8ELNS1_11target_archE1030ELNS1_3gpuE2ELNS1_3repE0EEENS1_38merge_mergepath_config_static_selectorELNS0_4arch9wavefront6targetE0EEEvSM_ ; -- Begin function _ZN7rocprim17ROCPRIM_400000_NS6detail17trampoline_kernelINS0_14default_configENS1_38merge_sort_block_merge_config_selectorIlNS0_10empty_typeEEEZZNS1_27merge_sort_block_merge_implIS3_PlPS5_mZN2at6native12_GLOBAL__N_124unique_dim_cuda_templateIiEESt5tupleIJNSA_6TensorESF_SF_EERKSF_lbbbEUlllE_EE10hipError_tT0_T1_T2_jT3_P12ihipStream_tbPNSt15iterator_traitsISL_E10value_typeEPNSR_ISM_E10value_typeEPSN_NS1_7vsmem_tEENKUlT_SL_SM_SN_E_clIS8_S8_S9_S9_EESK_S10_SL_SM_SN_EUlS10_E0_NS1_11comp_targetILNS1_3genE8ELNS1_11target_archE1030ELNS1_3gpuE2ELNS1_3repE0EEENS1_38merge_mergepath_config_static_selectorELNS0_4arch9wavefront6targetE0EEEvSM_
	.p2align	8
	.type	_ZN7rocprim17ROCPRIM_400000_NS6detail17trampoline_kernelINS0_14default_configENS1_38merge_sort_block_merge_config_selectorIlNS0_10empty_typeEEEZZNS1_27merge_sort_block_merge_implIS3_PlPS5_mZN2at6native12_GLOBAL__N_124unique_dim_cuda_templateIiEESt5tupleIJNSA_6TensorESF_SF_EERKSF_lbbbEUlllE_EE10hipError_tT0_T1_T2_jT3_P12ihipStream_tbPNSt15iterator_traitsISL_E10value_typeEPNSR_ISM_E10value_typeEPSN_NS1_7vsmem_tEENKUlT_SL_SM_SN_E_clIS8_S8_S9_S9_EESK_S10_SL_SM_SN_EUlS10_E0_NS1_11comp_targetILNS1_3genE8ELNS1_11target_archE1030ELNS1_3gpuE2ELNS1_3repE0EEENS1_38merge_mergepath_config_static_selectorELNS0_4arch9wavefront6targetE0EEEvSM_,@function
_ZN7rocprim17ROCPRIM_400000_NS6detail17trampoline_kernelINS0_14default_configENS1_38merge_sort_block_merge_config_selectorIlNS0_10empty_typeEEEZZNS1_27merge_sort_block_merge_implIS3_PlPS5_mZN2at6native12_GLOBAL__N_124unique_dim_cuda_templateIiEESt5tupleIJNSA_6TensorESF_SF_EERKSF_lbbbEUlllE_EE10hipError_tT0_T1_T2_jT3_P12ihipStream_tbPNSt15iterator_traitsISL_E10value_typeEPNSR_ISM_E10value_typeEPSN_NS1_7vsmem_tEENKUlT_SL_SM_SN_E_clIS8_S8_S9_S9_EESK_S10_SL_SM_SN_EUlS10_E0_NS1_11comp_targetILNS1_3genE8ELNS1_11target_archE1030ELNS1_3gpuE2ELNS1_3repE0EEENS1_38merge_mergepath_config_static_selectorELNS0_4arch9wavefront6targetE0EEEvSM_: ; @_ZN7rocprim17ROCPRIM_400000_NS6detail17trampoline_kernelINS0_14default_configENS1_38merge_sort_block_merge_config_selectorIlNS0_10empty_typeEEEZZNS1_27merge_sort_block_merge_implIS3_PlPS5_mZN2at6native12_GLOBAL__N_124unique_dim_cuda_templateIiEESt5tupleIJNSA_6TensorESF_SF_EERKSF_lbbbEUlllE_EE10hipError_tT0_T1_T2_jT3_P12ihipStream_tbPNSt15iterator_traitsISL_E10value_typeEPNSR_ISM_E10value_typeEPSN_NS1_7vsmem_tEENKUlT_SL_SM_SN_E_clIS8_S8_S9_S9_EESK_S10_SL_SM_SN_EUlS10_E0_NS1_11comp_targetILNS1_3genE8ELNS1_11target_archE1030ELNS1_3gpuE2ELNS1_3repE0EEENS1_38merge_mergepath_config_static_selectorELNS0_4arch9wavefront6targetE0EEEvSM_
; %bb.0:
	.section	.rodata,"a",@progbits
	.p2align	6, 0x0
	.amdhsa_kernel _ZN7rocprim17ROCPRIM_400000_NS6detail17trampoline_kernelINS0_14default_configENS1_38merge_sort_block_merge_config_selectorIlNS0_10empty_typeEEEZZNS1_27merge_sort_block_merge_implIS3_PlPS5_mZN2at6native12_GLOBAL__N_124unique_dim_cuda_templateIiEESt5tupleIJNSA_6TensorESF_SF_EERKSF_lbbbEUlllE_EE10hipError_tT0_T1_T2_jT3_P12ihipStream_tbPNSt15iterator_traitsISL_E10value_typeEPNSR_ISM_E10value_typeEPSN_NS1_7vsmem_tEENKUlT_SL_SM_SN_E_clIS8_S8_S9_S9_EESK_S10_SL_SM_SN_EUlS10_E0_NS1_11comp_targetILNS1_3genE8ELNS1_11target_archE1030ELNS1_3gpuE2ELNS1_3repE0EEENS1_38merge_mergepath_config_static_selectorELNS0_4arch9wavefront6targetE0EEEvSM_
		.amdhsa_group_segment_fixed_size 0
		.amdhsa_private_segment_fixed_size 0
		.amdhsa_kernarg_size 88
		.amdhsa_user_sgpr_count 15
		.amdhsa_user_sgpr_dispatch_ptr 0
		.amdhsa_user_sgpr_queue_ptr 0
		.amdhsa_user_sgpr_kernarg_segment_ptr 1
		.amdhsa_user_sgpr_dispatch_id 0
		.amdhsa_user_sgpr_private_segment_size 0
		.amdhsa_wavefront_size32 1
		.amdhsa_uses_dynamic_stack 0
		.amdhsa_enable_private_segment 0
		.amdhsa_system_sgpr_workgroup_id_x 1
		.amdhsa_system_sgpr_workgroup_id_y 0
		.amdhsa_system_sgpr_workgroup_id_z 0
		.amdhsa_system_sgpr_workgroup_info 0
		.amdhsa_system_vgpr_workitem_id 0
		.amdhsa_next_free_vgpr 1
		.amdhsa_next_free_sgpr 1
		.amdhsa_reserve_vcc 0
		.amdhsa_float_round_mode_32 0
		.amdhsa_float_round_mode_16_64 0
		.amdhsa_float_denorm_mode_32 3
		.amdhsa_float_denorm_mode_16_64 3
		.amdhsa_dx10_clamp 1
		.amdhsa_ieee_mode 1
		.amdhsa_fp16_overflow 0
		.amdhsa_workgroup_processor_mode 1
		.amdhsa_memory_ordered 1
		.amdhsa_forward_progress 0
		.amdhsa_shared_vgpr_count 0
		.amdhsa_exception_fp_ieee_invalid_op 0
		.amdhsa_exception_fp_denorm_src 0
		.amdhsa_exception_fp_ieee_div_zero 0
		.amdhsa_exception_fp_ieee_overflow 0
		.amdhsa_exception_fp_ieee_underflow 0
		.amdhsa_exception_fp_ieee_inexact 0
		.amdhsa_exception_int_div_zero 0
	.end_amdhsa_kernel
	.section	.text._ZN7rocprim17ROCPRIM_400000_NS6detail17trampoline_kernelINS0_14default_configENS1_38merge_sort_block_merge_config_selectorIlNS0_10empty_typeEEEZZNS1_27merge_sort_block_merge_implIS3_PlPS5_mZN2at6native12_GLOBAL__N_124unique_dim_cuda_templateIiEESt5tupleIJNSA_6TensorESF_SF_EERKSF_lbbbEUlllE_EE10hipError_tT0_T1_T2_jT3_P12ihipStream_tbPNSt15iterator_traitsISL_E10value_typeEPNSR_ISM_E10value_typeEPSN_NS1_7vsmem_tEENKUlT_SL_SM_SN_E_clIS8_S8_S9_S9_EESK_S10_SL_SM_SN_EUlS10_E0_NS1_11comp_targetILNS1_3genE8ELNS1_11target_archE1030ELNS1_3gpuE2ELNS1_3repE0EEENS1_38merge_mergepath_config_static_selectorELNS0_4arch9wavefront6targetE0EEEvSM_,"axG",@progbits,_ZN7rocprim17ROCPRIM_400000_NS6detail17trampoline_kernelINS0_14default_configENS1_38merge_sort_block_merge_config_selectorIlNS0_10empty_typeEEEZZNS1_27merge_sort_block_merge_implIS3_PlPS5_mZN2at6native12_GLOBAL__N_124unique_dim_cuda_templateIiEESt5tupleIJNSA_6TensorESF_SF_EERKSF_lbbbEUlllE_EE10hipError_tT0_T1_T2_jT3_P12ihipStream_tbPNSt15iterator_traitsISL_E10value_typeEPNSR_ISM_E10value_typeEPSN_NS1_7vsmem_tEENKUlT_SL_SM_SN_E_clIS8_S8_S9_S9_EESK_S10_SL_SM_SN_EUlS10_E0_NS1_11comp_targetILNS1_3genE8ELNS1_11target_archE1030ELNS1_3gpuE2ELNS1_3repE0EEENS1_38merge_mergepath_config_static_selectorELNS0_4arch9wavefront6targetE0EEEvSM_,comdat
.Lfunc_end407:
	.size	_ZN7rocprim17ROCPRIM_400000_NS6detail17trampoline_kernelINS0_14default_configENS1_38merge_sort_block_merge_config_selectorIlNS0_10empty_typeEEEZZNS1_27merge_sort_block_merge_implIS3_PlPS5_mZN2at6native12_GLOBAL__N_124unique_dim_cuda_templateIiEESt5tupleIJNSA_6TensorESF_SF_EERKSF_lbbbEUlllE_EE10hipError_tT0_T1_T2_jT3_P12ihipStream_tbPNSt15iterator_traitsISL_E10value_typeEPNSR_ISM_E10value_typeEPSN_NS1_7vsmem_tEENKUlT_SL_SM_SN_E_clIS8_S8_S9_S9_EESK_S10_SL_SM_SN_EUlS10_E0_NS1_11comp_targetILNS1_3genE8ELNS1_11target_archE1030ELNS1_3gpuE2ELNS1_3repE0EEENS1_38merge_mergepath_config_static_selectorELNS0_4arch9wavefront6targetE0EEEvSM_, .Lfunc_end407-_ZN7rocprim17ROCPRIM_400000_NS6detail17trampoline_kernelINS0_14default_configENS1_38merge_sort_block_merge_config_selectorIlNS0_10empty_typeEEEZZNS1_27merge_sort_block_merge_implIS3_PlPS5_mZN2at6native12_GLOBAL__N_124unique_dim_cuda_templateIiEESt5tupleIJNSA_6TensorESF_SF_EERKSF_lbbbEUlllE_EE10hipError_tT0_T1_T2_jT3_P12ihipStream_tbPNSt15iterator_traitsISL_E10value_typeEPNSR_ISM_E10value_typeEPSN_NS1_7vsmem_tEENKUlT_SL_SM_SN_E_clIS8_S8_S9_S9_EESK_S10_SL_SM_SN_EUlS10_E0_NS1_11comp_targetILNS1_3genE8ELNS1_11target_archE1030ELNS1_3gpuE2ELNS1_3repE0EEENS1_38merge_mergepath_config_static_selectorELNS0_4arch9wavefront6targetE0EEEvSM_
                                        ; -- End function
	.section	.AMDGPU.csdata,"",@progbits
; Kernel info:
; codeLenInByte = 0
; NumSgprs: 0
; NumVgprs: 0
; ScratchSize: 0
; MemoryBound: 0
; FloatMode: 240
; IeeeMode: 1
; LDSByteSize: 0 bytes/workgroup (compile time only)
; SGPRBlocks: 0
; VGPRBlocks: 0
; NumSGPRsForWavesPerEU: 1
; NumVGPRsForWavesPerEU: 1
; Occupancy: 16
; WaveLimiterHint : 0
; COMPUTE_PGM_RSRC2:SCRATCH_EN: 0
; COMPUTE_PGM_RSRC2:USER_SGPR: 15
; COMPUTE_PGM_RSRC2:TRAP_HANDLER: 0
; COMPUTE_PGM_RSRC2:TGID_X_EN: 1
; COMPUTE_PGM_RSRC2:TGID_Y_EN: 0
; COMPUTE_PGM_RSRC2:TGID_Z_EN: 0
; COMPUTE_PGM_RSRC2:TIDIG_COMP_CNT: 0
	.section	.text._ZN7rocprim17ROCPRIM_400000_NS6detail17trampoline_kernelINS0_14default_configENS1_38merge_sort_block_merge_config_selectorIlNS0_10empty_typeEEEZZNS1_27merge_sort_block_merge_implIS3_PlPS5_mZN2at6native12_GLOBAL__N_124unique_dim_cuda_templateIiEESt5tupleIJNSA_6TensorESF_SF_EERKSF_lbbbEUlllE_EE10hipError_tT0_T1_T2_jT3_P12ihipStream_tbPNSt15iterator_traitsISL_E10value_typeEPNSR_ISM_E10value_typeEPSN_NS1_7vsmem_tEENKUlT_SL_SM_SN_E_clIS8_S8_S9_S9_EESK_S10_SL_SM_SN_EUlS10_E1_NS1_11comp_targetILNS1_3genE0ELNS1_11target_archE4294967295ELNS1_3gpuE0ELNS1_3repE0EEENS1_36merge_oddeven_config_static_selectorELNS0_4arch9wavefront6targetE0EEEvSM_,"axG",@progbits,_ZN7rocprim17ROCPRIM_400000_NS6detail17trampoline_kernelINS0_14default_configENS1_38merge_sort_block_merge_config_selectorIlNS0_10empty_typeEEEZZNS1_27merge_sort_block_merge_implIS3_PlPS5_mZN2at6native12_GLOBAL__N_124unique_dim_cuda_templateIiEESt5tupleIJNSA_6TensorESF_SF_EERKSF_lbbbEUlllE_EE10hipError_tT0_T1_T2_jT3_P12ihipStream_tbPNSt15iterator_traitsISL_E10value_typeEPNSR_ISM_E10value_typeEPSN_NS1_7vsmem_tEENKUlT_SL_SM_SN_E_clIS8_S8_S9_S9_EESK_S10_SL_SM_SN_EUlS10_E1_NS1_11comp_targetILNS1_3genE0ELNS1_11target_archE4294967295ELNS1_3gpuE0ELNS1_3repE0EEENS1_36merge_oddeven_config_static_selectorELNS0_4arch9wavefront6targetE0EEEvSM_,comdat
	.globl	_ZN7rocprim17ROCPRIM_400000_NS6detail17trampoline_kernelINS0_14default_configENS1_38merge_sort_block_merge_config_selectorIlNS0_10empty_typeEEEZZNS1_27merge_sort_block_merge_implIS3_PlPS5_mZN2at6native12_GLOBAL__N_124unique_dim_cuda_templateIiEESt5tupleIJNSA_6TensorESF_SF_EERKSF_lbbbEUlllE_EE10hipError_tT0_T1_T2_jT3_P12ihipStream_tbPNSt15iterator_traitsISL_E10value_typeEPNSR_ISM_E10value_typeEPSN_NS1_7vsmem_tEENKUlT_SL_SM_SN_E_clIS8_S8_S9_S9_EESK_S10_SL_SM_SN_EUlS10_E1_NS1_11comp_targetILNS1_3genE0ELNS1_11target_archE4294967295ELNS1_3gpuE0ELNS1_3repE0EEENS1_36merge_oddeven_config_static_selectorELNS0_4arch9wavefront6targetE0EEEvSM_ ; -- Begin function _ZN7rocprim17ROCPRIM_400000_NS6detail17trampoline_kernelINS0_14default_configENS1_38merge_sort_block_merge_config_selectorIlNS0_10empty_typeEEEZZNS1_27merge_sort_block_merge_implIS3_PlPS5_mZN2at6native12_GLOBAL__N_124unique_dim_cuda_templateIiEESt5tupleIJNSA_6TensorESF_SF_EERKSF_lbbbEUlllE_EE10hipError_tT0_T1_T2_jT3_P12ihipStream_tbPNSt15iterator_traitsISL_E10value_typeEPNSR_ISM_E10value_typeEPSN_NS1_7vsmem_tEENKUlT_SL_SM_SN_E_clIS8_S8_S9_S9_EESK_S10_SL_SM_SN_EUlS10_E1_NS1_11comp_targetILNS1_3genE0ELNS1_11target_archE4294967295ELNS1_3gpuE0ELNS1_3repE0EEENS1_36merge_oddeven_config_static_selectorELNS0_4arch9wavefront6targetE0EEEvSM_
	.p2align	8
	.type	_ZN7rocprim17ROCPRIM_400000_NS6detail17trampoline_kernelINS0_14default_configENS1_38merge_sort_block_merge_config_selectorIlNS0_10empty_typeEEEZZNS1_27merge_sort_block_merge_implIS3_PlPS5_mZN2at6native12_GLOBAL__N_124unique_dim_cuda_templateIiEESt5tupleIJNSA_6TensorESF_SF_EERKSF_lbbbEUlllE_EE10hipError_tT0_T1_T2_jT3_P12ihipStream_tbPNSt15iterator_traitsISL_E10value_typeEPNSR_ISM_E10value_typeEPSN_NS1_7vsmem_tEENKUlT_SL_SM_SN_E_clIS8_S8_S9_S9_EESK_S10_SL_SM_SN_EUlS10_E1_NS1_11comp_targetILNS1_3genE0ELNS1_11target_archE4294967295ELNS1_3gpuE0ELNS1_3repE0EEENS1_36merge_oddeven_config_static_selectorELNS0_4arch9wavefront6targetE0EEEvSM_,@function
_ZN7rocprim17ROCPRIM_400000_NS6detail17trampoline_kernelINS0_14default_configENS1_38merge_sort_block_merge_config_selectorIlNS0_10empty_typeEEEZZNS1_27merge_sort_block_merge_implIS3_PlPS5_mZN2at6native12_GLOBAL__N_124unique_dim_cuda_templateIiEESt5tupleIJNSA_6TensorESF_SF_EERKSF_lbbbEUlllE_EE10hipError_tT0_T1_T2_jT3_P12ihipStream_tbPNSt15iterator_traitsISL_E10value_typeEPNSR_ISM_E10value_typeEPSN_NS1_7vsmem_tEENKUlT_SL_SM_SN_E_clIS8_S8_S9_S9_EESK_S10_SL_SM_SN_EUlS10_E1_NS1_11comp_targetILNS1_3genE0ELNS1_11target_archE4294967295ELNS1_3gpuE0ELNS1_3repE0EEENS1_36merge_oddeven_config_static_selectorELNS0_4arch9wavefront6targetE0EEEvSM_: ; @_ZN7rocprim17ROCPRIM_400000_NS6detail17trampoline_kernelINS0_14default_configENS1_38merge_sort_block_merge_config_selectorIlNS0_10empty_typeEEEZZNS1_27merge_sort_block_merge_implIS3_PlPS5_mZN2at6native12_GLOBAL__N_124unique_dim_cuda_templateIiEESt5tupleIJNSA_6TensorESF_SF_EERKSF_lbbbEUlllE_EE10hipError_tT0_T1_T2_jT3_P12ihipStream_tbPNSt15iterator_traitsISL_E10value_typeEPNSR_ISM_E10value_typeEPSN_NS1_7vsmem_tEENKUlT_SL_SM_SN_E_clIS8_S8_S9_S9_EESK_S10_SL_SM_SN_EUlS10_E1_NS1_11comp_targetILNS1_3genE0ELNS1_11target_archE4294967295ELNS1_3gpuE0ELNS1_3repE0EEENS1_36merge_oddeven_config_static_selectorELNS0_4arch9wavefront6targetE0EEEvSM_
; %bb.0:
	.section	.rodata,"a",@progbits
	.p2align	6, 0x0
	.amdhsa_kernel _ZN7rocprim17ROCPRIM_400000_NS6detail17trampoline_kernelINS0_14default_configENS1_38merge_sort_block_merge_config_selectorIlNS0_10empty_typeEEEZZNS1_27merge_sort_block_merge_implIS3_PlPS5_mZN2at6native12_GLOBAL__N_124unique_dim_cuda_templateIiEESt5tupleIJNSA_6TensorESF_SF_EERKSF_lbbbEUlllE_EE10hipError_tT0_T1_T2_jT3_P12ihipStream_tbPNSt15iterator_traitsISL_E10value_typeEPNSR_ISM_E10value_typeEPSN_NS1_7vsmem_tEENKUlT_SL_SM_SN_E_clIS8_S8_S9_S9_EESK_S10_SL_SM_SN_EUlS10_E1_NS1_11comp_targetILNS1_3genE0ELNS1_11target_archE4294967295ELNS1_3gpuE0ELNS1_3repE0EEENS1_36merge_oddeven_config_static_selectorELNS0_4arch9wavefront6targetE0EEEvSM_
		.amdhsa_group_segment_fixed_size 0
		.amdhsa_private_segment_fixed_size 0
		.amdhsa_kernarg_size 64
		.amdhsa_user_sgpr_count 15
		.amdhsa_user_sgpr_dispatch_ptr 0
		.amdhsa_user_sgpr_queue_ptr 0
		.amdhsa_user_sgpr_kernarg_segment_ptr 1
		.amdhsa_user_sgpr_dispatch_id 0
		.amdhsa_user_sgpr_private_segment_size 0
		.amdhsa_wavefront_size32 1
		.amdhsa_uses_dynamic_stack 0
		.amdhsa_enable_private_segment 0
		.amdhsa_system_sgpr_workgroup_id_x 1
		.amdhsa_system_sgpr_workgroup_id_y 0
		.amdhsa_system_sgpr_workgroup_id_z 0
		.amdhsa_system_sgpr_workgroup_info 0
		.amdhsa_system_vgpr_workitem_id 0
		.amdhsa_next_free_vgpr 1
		.amdhsa_next_free_sgpr 1
		.amdhsa_reserve_vcc 0
		.amdhsa_float_round_mode_32 0
		.amdhsa_float_round_mode_16_64 0
		.amdhsa_float_denorm_mode_32 3
		.amdhsa_float_denorm_mode_16_64 3
		.amdhsa_dx10_clamp 1
		.amdhsa_ieee_mode 1
		.amdhsa_fp16_overflow 0
		.amdhsa_workgroup_processor_mode 1
		.amdhsa_memory_ordered 1
		.amdhsa_forward_progress 0
		.amdhsa_shared_vgpr_count 0
		.amdhsa_exception_fp_ieee_invalid_op 0
		.amdhsa_exception_fp_denorm_src 0
		.amdhsa_exception_fp_ieee_div_zero 0
		.amdhsa_exception_fp_ieee_overflow 0
		.amdhsa_exception_fp_ieee_underflow 0
		.amdhsa_exception_fp_ieee_inexact 0
		.amdhsa_exception_int_div_zero 0
	.end_amdhsa_kernel
	.section	.text._ZN7rocprim17ROCPRIM_400000_NS6detail17trampoline_kernelINS0_14default_configENS1_38merge_sort_block_merge_config_selectorIlNS0_10empty_typeEEEZZNS1_27merge_sort_block_merge_implIS3_PlPS5_mZN2at6native12_GLOBAL__N_124unique_dim_cuda_templateIiEESt5tupleIJNSA_6TensorESF_SF_EERKSF_lbbbEUlllE_EE10hipError_tT0_T1_T2_jT3_P12ihipStream_tbPNSt15iterator_traitsISL_E10value_typeEPNSR_ISM_E10value_typeEPSN_NS1_7vsmem_tEENKUlT_SL_SM_SN_E_clIS8_S8_S9_S9_EESK_S10_SL_SM_SN_EUlS10_E1_NS1_11comp_targetILNS1_3genE0ELNS1_11target_archE4294967295ELNS1_3gpuE0ELNS1_3repE0EEENS1_36merge_oddeven_config_static_selectorELNS0_4arch9wavefront6targetE0EEEvSM_,"axG",@progbits,_ZN7rocprim17ROCPRIM_400000_NS6detail17trampoline_kernelINS0_14default_configENS1_38merge_sort_block_merge_config_selectorIlNS0_10empty_typeEEEZZNS1_27merge_sort_block_merge_implIS3_PlPS5_mZN2at6native12_GLOBAL__N_124unique_dim_cuda_templateIiEESt5tupleIJNSA_6TensorESF_SF_EERKSF_lbbbEUlllE_EE10hipError_tT0_T1_T2_jT3_P12ihipStream_tbPNSt15iterator_traitsISL_E10value_typeEPNSR_ISM_E10value_typeEPSN_NS1_7vsmem_tEENKUlT_SL_SM_SN_E_clIS8_S8_S9_S9_EESK_S10_SL_SM_SN_EUlS10_E1_NS1_11comp_targetILNS1_3genE0ELNS1_11target_archE4294967295ELNS1_3gpuE0ELNS1_3repE0EEENS1_36merge_oddeven_config_static_selectorELNS0_4arch9wavefront6targetE0EEEvSM_,comdat
.Lfunc_end408:
	.size	_ZN7rocprim17ROCPRIM_400000_NS6detail17trampoline_kernelINS0_14default_configENS1_38merge_sort_block_merge_config_selectorIlNS0_10empty_typeEEEZZNS1_27merge_sort_block_merge_implIS3_PlPS5_mZN2at6native12_GLOBAL__N_124unique_dim_cuda_templateIiEESt5tupleIJNSA_6TensorESF_SF_EERKSF_lbbbEUlllE_EE10hipError_tT0_T1_T2_jT3_P12ihipStream_tbPNSt15iterator_traitsISL_E10value_typeEPNSR_ISM_E10value_typeEPSN_NS1_7vsmem_tEENKUlT_SL_SM_SN_E_clIS8_S8_S9_S9_EESK_S10_SL_SM_SN_EUlS10_E1_NS1_11comp_targetILNS1_3genE0ELNS1_11target_archE4294967295ELNS1_3gpuE0ELNS1_3repE0EEENS1_36merge_oddeven_config_static_selectorELNS0_4arch9wavefront6targetE0EEEvSM_, .Lfunc_end408-_ZN7rocprim17ROCPRIM_400000_NS6detail17trampoline_kernelINS0_14default_configENS1_38merge_sort_block_merge_config_selectorIlNS0_10empty_typeEEEZZNS1_27merge_sort_block_merge_implIS3_PlPS5_mZN2at6native12_GLOBAL__N_124unique_dim_cuda_templateIiEESt5tupleIJNSA_6TensorESF_SF_EERKSF_lbbbEUlllE_EE10hipError_tT0_T1_T2_jT3_P12ihipStream_tbPNSt15iterator_traitsISL_E10value_typeEPNSR_ISM_E10value_typeEPSN_NS1_7vsmem_tEENKUlT_SL_SM_SN_E_clIS8_S8_S9_S9_EESK_S10_SL_SM_SN_EUlS10_E1_NS1_11comp_targetILNS1_3genE0ELNS1_11target_archE4294967295ELNS1_3gpuE0ELNS1_3repE0EEENS1_36merge_oddeven_config_static_selectorELNS0_4arch9wavefront6targetE0EEEvSM_
                                        ; -- End function
	.section	.AMDGPU.csdata,"",@progbits
; Kernel info:
; codeLenInByte = 0
; NumSgprs: 0
; NumVgprs: 0
; ScratchSize: 0
; MemoryBound: 0
; FloatMode: 240
; IeeeMode: 1
; LDSByteSize: 0 bytes/workgroup (compile time only)
; SGPRBlocks: 0
; VGPRBlocks: 0
; NumSGPRsForWavesPerEU: 1
; NumVGPRsForWavesPerEU: 1
; Occupancy: 16
; WaveLimiterHint : 0
; COMPUTE_PGM_RSRC2:SCRATCH_EN: 0
; COMPUTE_PGM_RSRC2:USER_SGPR: 15
; COMPUTE_PGM_RSRC2:TRAP_HANDLER: 0
; COMPUTE_PGM_RSRC2:TGID_X_EN: 1
; COMPUTE_PGM_RSRC2:TGID_Y_EN: 0
; COMPUTE_PGM_RSRC2:TGID_Z_EN: 0
; COMPUTE_PGM_RSRC2:TIDIG_COMP_CNT: 0
	.section	.text._ZN7rocprim17ROCPRIM_400000_NS6detail17trampoline_kernelINS0_14default_configENS1_38merge_sort_block_merge_config_selectorIlNS0_10empty_typeEEEZZNS1_27merge_sort_block_merge_implIS3_PlPS5_mZN2at6native12_GLOBAL__N_124unique_dim_cuda_templateIiEESt5tupleIJNSA_6TensorESF_SF_EERKSF_lbbbEUlllE_EE10hipError_tT0_T1_T2_jT3_P12ihipStream_tbPNSt15iterator_traitsISL_E10value_typeEPNSR_ISM_E10value_typeEPSN_NS1_7vsmem_tEENKUlT_SL_SM_SN_E_clIS8_S8_S9_S9_EESK_S10_SL_SM_SN_EUlS10_E1_NS1_11comp_targetILNS1_3genE10ELNS1_11target_archE1201ELNS1_3gpuE5ELNS1_3repE0EEENS1_36merge_oddeven_config_static_selectorELNS0_4arch9wavefront6targetE0EEEvSM_,"axG",@progbits,_ZN7rocprim17ROCPRIM_400000_NS6detail17trampoline_kernelINS0_14default_configENS1_38merge_sort_block_merge_config_selectorIlNS0_10empty_typeEEEZZNS1_27merge_sort_block_merge_implIS3_PlPS5_mZN2at6native12_GLOBAL__N_124unique_dim_cuda_templateIiEESt5tupleIJNSA_6TensorESF_SF_EERKSF_lbbbEUlllE_EE10hipError_tT0_T1_T2_jT3_P12ihipStream_tbPNSt15iterator_traitsISL_E10value_typeEPNSR_ISM_E10value_typeEPSN_NS1_7vsmem_tEENKUlT_SL_SM_SN_E_clIS8_S8_S9_S9_EESK_S10_SL_SM_SN_EUlS10_E1_NS1_11comp_targetILNS1_3genE10ELNS1_11target_archE1201ELNS1_3gpuE5ELNS1_3repE0EEENS1_36merge_oddeven_config_static_selectorELNS0_4arch9wavefront6targetE0EEEvSM_,comdat
	.globl	_ZN7rocprim17ROCPRIM_400000_NS6detail17trampoline_kernelINS0_14default_configENS1_38merge_sort_block_merge_config_selectorIlNS0_10empty_typeEEEZZNS1_27merge_sort_block_merge_implIS3_PlPS5_mZN2at6native12_GLOBAL__N_124unique_dim_cuda_templateIiEESt5tupleIJNSA_6TensorESF_SF_EERKSF_lbbbEUlllE_EE10hipError_tT0_T1_T2_jT3_P12ihipStream_tbPNSt15iterator_traitsISL_E10value_typeEPNSR_ISM_E10value_typeEPSN_NS1_7vsmem_tEENKUlT_SL_SM_SN_E_clIS8_S8_S9_S9_EESK_S10_SL_SM_SN_EUlS10_E1_NS1_11comp_targetILNS1_3genE10ELNS1_11target_archE1201ELNS1_3gpuE5ELNS1_3repE0EEENS1_36merge_oddeven_config_static_selectorELNS0_4arch9wavefront6targetE0EEEvSM_ ; -- Begin function _ZN7rocprim17ROCPRIM_400000_NS6detail17trampoline_kernelINS0_14default_configENS1_38merge_sort_block_merge_config_selectorIlNS0_10empty_typeEEEZZNS1_27merge_sort_block_merge_implIS3_PlPS5_mZN2at6native12_GLOBAL__N_124unique_dim_cuda_templateIiEESt5tupleIJNSA_6TensorESF_SF_EERKSF_lbbbEUlllE_EE10hipError_tT0_T1_T2_jT3_P12ihipStream_tbPNSt15iterator_traitsISL_E10value_typeEPNSR_ISM_E10value_typeEPSN_NS1_7vsmem_tEENKUlT_SL_SM_SN_E_clIS8_S8_S9_S9_EESK_S10_SL_SM_SN_EUlS10_E1_NS1_11comp_targetILNS1_3genE10ELNS1_11target_archE1201ELNS1_3gpuE5ELNS1_3repE0EEENS1_36merge_oddeven_config_static_selectorELNS0_4arch9wavefront6targetE0EEEvSM_
	.p2align	8
	.type	_ZN7rocprim17ROCPRIM_400000_NS6detail17trampoline_kernelINS0_14default_configENS1_38merge_sort_block_merge_config_selectorIlNS0_10empty_typeEEEZZNS1_27merge_sort_block_merge_implIS3_PlPS5_mZN2at6native12_GLOBAL__N_124unique_dim_cuda_templateIiEESt5tupleIJNSA_6TensorESF_SF_EERKSF_lbbbEUlllE_EE10hipError_tT0_T1_T2_jT3_P12ihipStream_tbPNSt15iterator_traitsISL_E10value_typeEPNSR_ISM_E10value_typeEPSN_NS1_7vsmem_tEENKUlT_SL_SM_SN_E_clIS8_S8_S9_S9_EESK_S10_SL_SM_SN_EUlS10_E1_NS1_11comp_targetILNS1_3genE10ELNS1_11target_archE1201ELNS1_3gpuE5ELNS1_3repE0EEENS1_36merge_oddeven_config_static_selectorELNS0_4arch9wavefront6targetE0EEEvSM_,@function
_ZN7rocprim17ROCPRIM_400000_NS6detail17trampoline_kernelINS0_14default_configENS1_38merge_sort_block_merge_config_selectorIlNS0_10empty_typeEEEZZNS1_27merge_sort_block_merge_implIS3_PlPS5_mZN2at6native12_GLOBAL__N_124unique_dim_cuda_templateIiEESt5tupleIJNSA_6TensorESF_SF_EERKSF_lbbbEUlllE_EE10hipError_tT0_T1_T2_jT3_P12ihipStream_tbPNSt15iterator_traitsISL_E10value_typeEPNSR_ISM_E10value_typeEPSN_NS1_7vsmem_tEENKUlT_SL_SM_SN_E_clIS8_S8_S9_S9_EESK_S10_SL_SM_SN_EUlS10_E1_NS1_11comp_targetILNS1_3genE10ELNS1_11target_archE1201ELNS1_3gpuE5ELNS1_3repE0EEENS1_36merge_oddeven_config_static_selectorELNS0_4arch9wavefront6targetE0EEEvSM_: ; @_ZN7rocprim17ROCPRIM_400000_NS6detail17trampoline_kernelINS0_14default_configENS1_38merge_sort_block_merge_config_selectorIlNS0_10empty_typeEEEZZNS1_27merge_sort_block_merge_implIS3_PlPS5_mZN2at6native12_GLOBAL__N_124unique_dim_cuda_templateIiEESt5tupleIJNSA_6TensorESF_SF_EERKSF_lbbbEUlllE_EE10hipError_tT0_T1_T2_jT3_P12ihipStream_tbPNSt15iterator_traitsISL_E10value_typeEPNSR_ISM_E10value_typeEPSN_NS1_7vsmem_tEENKUlT_SL_SM_SN_E_clIS8_S8_S9_S9_EESK_S10_SL_SM_SN_EUlS10_E1_NS1_11comp_targetILNS1_3genE10ELNS1_11target_archE1201ELNS1_3gpuE5ELNS1_3repE0EEENS1_36merge_oddeven_config_static_selectorELNS0_4arch9wavefront6targetE0EEEvSM_
; %bb.0:
	.section	.rodata,"a",@progbits
	.p2align	6, 0x0
	.amdhsa_kernel _ZN7rocprim17ROCPRIM_400000_NS6detail17trampoline_kernelINS0_14default_configENS1_38merge_sort_block_merge_config_selectorIlNS0_10empty_typeEEEZZNS1_27merge_sort_block_merge_implIS3_PlPS5_mZN2at6native12_GLOBAL__N_124unique_dim_cuda_templateIiEESt5tupleIJNSA_6TensorESF_SF_EERKSF_lbbbEUlllE_EE10hipError_tT0_T1_T2_jT3_P12ihipStream_tbPNSt15iterator_traitsISL_E10value_typeEPNSR_ISM_E10value_typeEPSN_NS1_7vsmem_tEENKUlT_SL_SM_SN_E_clIS8_S8_S9_S9_EESK_S10_SL_SM_SN_EUlS10_E1_NS1_11comp_targetILNS1_3genE10ELNS1_11target_archE1201ELNS1_3gpuE5ELNS1_3repE0EEENS1_36merge_oddeven_config_static_selectorELNS0_4arch9wavefront6targetE0EEEvSM_
		.amdhsa_group_segment_fixed_size 0
		.amdhsa_private_segment_fixed_size 0
		.amdhsa_kernarg_size 64
		.amdhsa_user_sgpr_count 15
		.amdhsa_user_sgpr_dispatch_ptr 0
		.amdhsa_user_sgpr_queue_ptr 0
		.amdhsa_user_sgpr_kernarg_segment_ptr 1
		.amdhsa_user_sgpr_dispatch_id 0
		.amdhsa_user_sgpr_private_segment_size 0
		.amdhsa_wavefront_size32 1
		.amdhsa_uses_dynamic_stack 0
		.amdhsa_enable_private_segment 0
		.amdhsa_system_sgpr_workgroup_id_x 1
		.amdhsa_system_sgpr_workgroup_id_y 0
		.amdhsa_system_sgpr_workgroup_id_z 0
		.amdhsa_system_sgpr_workgroup_info 0
		.amdhsa_system_vgpr_workitem_id 0
		.amdhsa_next_free_vgpr 1
		.amdhsa_next_free_sgpr 1
		.amdhsa_reserve_vcc 0
		.amdhsa_float_round_mode_32 0
		.amdhsa_float_round_mode_16_64 0
		.amdhsa_float_denorm_mode_32 3
		.amdhsa_float_denorm_mode_16_64 3
		.amdhsa_dx10_clamp 1
		.amdhsa_ieee_mode 1
		.amdhsa_fp16_overflow 0
		.amdhsa_workgroup_processor_mode 1
		.amdhsa_memory_ordered 1
		.amdhsa_forward_progress 0
		.amdhsa_shared_vgpr_count 0
		.amdhsa_exception_fp_ieee_invalid_op 0
		.amdhsa_exception_fp_denorm_src 0
		.amdhsa_exception_fp_ieee_div_zero 0
		.amdhsa_exception_fp_ieee_overflow 0
		.amdhsa_exception_fp_ieee_underflow 0
		.amdhsa_exception_fp_ieee_inexact 0
		.amdhsa_exception_int_div_zero 0
	.end_amdhsa_kernel
	.section	.text._ZN7rocprim17ROCPRIM_400000_NS6detail17trampoline_kernelINS0_14default_configENS1_38merge_sort_block_merge_config_selectorIlNS0_10empty_typeEEEZZNS1_27merge_sort_block_merge_implIS3_PlPS5_mZN2at6native12_GLOBAL__N_124unique_dim_cuda_templateIiEESt5tupleIJNSA_6TensorESF_SF_EERKSF_lbbbEUlllE_EE10hipError_tT0_T1_T2_jT3_P12ihipStream_tbPNSt15iterator_traitsISL_E10value_typeEPNSR_ISM_E10value_typeEPSN_NS1_7vsmem_tEENKUlT_SL_SM_SN_E_clIS8_S8_S9_S9_EESK_S10_SL_SM_SN_EUlS10_E1_NS1_11comp_targetILNS1_3genE10ELNS1_11target_archE1201ELNS1_3gpuE5ELNS1_3repE0EEENS1_36merge_oddeven_config_static_selectorELNS0_4arch9wavefront6targetE0EEEvSM_,"axG",@progbits,_ZN7rocprim17ROCPRIM_400000_NS6detail17trampoline_kernelINS0_14default_configENS1_38merge_sort_block_merge_config_selectorIlNS0_10empty_typeEEEZZNS1_27merge_sort_block_merge_implIS3_PlPS5_mZN2at6native12_GLOBAL__N_124unique_dim_cuda_templateIiEESt5tupleIJNSA_6TensorESF_SF_EERKSF_lbbbEUlllE_EE10hipError_tT0_T1_T2_jT3_P12ihipStream_tbPNSt15iterator_traitsISL_E10value_typeEPNSR_ISM_E10value_typeEPSN_NS1_7vsmem_tEENKUlT_SL_SM_SN_E_clIS8_S8_S9_S9_EESK_S10_SL_SM_SN_EUlS10_E1_NS1_11comp_targetILNS1_3genE10ELNS1_11target_archE1201ELNS1_3gpuE5ELNS1_3repE0EEENS1_36merge_oddeven_config_static_selectorELNS0_4arch9wavefront6targetE0EEEvSM_,comdat
.Lfunc_end409:
	.size	_ZN7rocprim17ROCPRIM_400000_NS6detail17trampoline_kernelINS0_14default_configENS1_38merge_sort_block_merge_config_selectorIlNS0_10empty_typeEEEZZNS1_27merge_sort_block_merge_implIS3_PlPS5_mZN2at6native12_GLOBAL__N_124unique_dim_cuda_templateIiEESt5tupleIJNSA_6TensorESF_SF_EERKSF_lbbbEUlllE_EE10hipError_tT0_T1_T2_jT3_P12ihipStream_tbPNSt15iterator_traitsISL_E10value_typeEPNSR_ISM_E10value_typeEPSN_NS1_7vsmem_tEENKUlT_SL_SM_SN_E_clIS8_S8_S9_S9_EESK_S10_SL_SM_SN_EUlS10_E1_NS1_11comp_targetILNS1_3genE10ELNS1_11target_archE1201ELNS1_3gpuE5ELNS1_3repE0EEENS1_36merge_oddeven_config_static_selectorELNS0_4arch9wavefront6targetE0EEEvSM_, .Lfunc_end409-_ZN7rocprim17ROCPRIM_400000_NS6detail17trampoline_kernelINS0_14default_configENS1_38merge_sort_block_merge_config_selectorIlNS0_10empty_typeEEEZZNS1_27merge_sort_block_merge_implIS3_PlPS5_mZN2at6native12_GLOBAL__N_124unique_dim_cuda_templateIiEESt5tupleIJNSA_6TensorESF_SF_EERKSF_lbbbEUlllE_EE10hipError_tT0_T1_T2_jT3_P12ihipStream_tbPNSt15iterator_traitsISL_E10value_typeEPNSR_ISM_E10value_typeEPSN_NS1_7vsmem_tEENKUlT_SL_SM_SN_E_clIS8_S8_S9_S9_EESK_S10_SL_SM_SN_EUlS10_E1_NS1_11comp_targetILNS1_3genE10ELNS1_11target_archE1201ELNS1_3gpuE5ELNS1_3repE0EEENS1_36merge_oddeven_config_static_selectorELNS0_4arch9wavefront6targetE0EEEvSM_
                                        ; -- End function
	.section	.AMDGPU.csdata,"",@progbits
; Kernel info:
; codeLenInByte = 0
; NumSgprs: 0
; NumVgprs: 0
; ScratchSize: 0
; MemoryBound: 0
; FloatMode: 240
; IeeeMode: 1
; LDSByteSize: 0 bytes/workgroup (compile time only)
; SGPRBlocks: 0
; VGPRBlocks: 0
; NumSGPRsForWavesPerEU: 1
; NumVGPRsForWavesPerEU: 1
; Occupancy: 16
; WaveLimiterHint : 0
; COMPUTE_PGM_RSRC2:SCRATCH_EN: 0
; COMPUTE_PGM_RSRC2:USER_SGPR: 15
; COMPUTE_PGM_RSRC2:TRAP_HANDLER: 0
; COMPUTE_PGM_RSRC2:TGID_X_EN: 1
; COMPUTE_PGM_RSRC2:TGID_Y_EN: 0
; COMPUTE_PGM_RSRC2:TGID_Z_EN: 0
; COMPUTE_PGM_RSRC2:TIDIG_COMP_CNT: 0
	.section	.text._ZN7rocprim17ROCPRIM_400000_NS6detail17trampoline_kernelINS0_14default_configENS1_38merge_sort_block_merge_config_selectorIlNS0_10empty_typeEEEZZNS1_27merge_sort_block_merge_implIS3_PlPS5_mZN2at6native12_GLOBAL__N_124unique_dim_cuda_templateIiEESt5tupleIJNSA_6TensorESF_SF_EERKSF_lbbbEUlllE_EE10hipError_tT0_T1_T2_jT3_P12ihipStream_tbPNSt15iterator_traitsISL_E10value_typeEPNSR_ISM_E10value_typeEPSN_NS1_7vsmem_tEENKUlT_SL_SM_SN_E_clIS8_S8_S9_S9_EESK_S10_SL_SM_SN_EUlS10_E1_NS1_11comp_targetILNS1_3genE5ELNS1_11target_archE942ELNS1_3gpuE9ELNS1_3repE0EEENS1_36merge_oddeven_config_static_selectorELNS0_4arch9wavefront6targetE0EEEvSM_,"axG",@progbits,_ZN7rocprim17ROCPRIM_400000_NS6detail17trampoline_kernelINS0_14default_configENS1_38merge_sort_block_merge_config_selectorIlNS0_10empty_typeEEEZZNS1_27merge_sort_block_merge_implIS3_PlPS5_mZN2at6native12_GLOBAL__N_124unique_dim_cuda_templateIiEESt5tupleIJNSA_6TensorESF_SF_EERKSF_lbbbEUlllE_EE10hipError_tT0_T1_T2_jT3_P12ihipStream_tbPNSt15iterator_traitsISL_E10value_typeEPNSR_ISM_E10value_typeEPSN_NS1_7vsmem_tEENKUlT_SL_SM_SN_E_clIS8_S8_S9_S9_EESK_S10_SL_SM_SN_EUlS10_E1_NS1_11comp_targetILNS1_3genE5ELNS1_11target_archE942ELNS1_3gpuE9ELNS1_3repE0EEENS1_36merge_oddeven_config_static_selectorELNS0_4arch9wavefront6targetE0EEEvSM_,comdat
	.globl	_ZN7rocprim17ROCPRIM_400000_NS6detail17trampoline_kernelINS0_14default_configENS1_38merge_sort_block_merge_config_selectorIlNS0_10empty_typeEEEZZNS1_27merge_sort_block_merge_implIS3_PlPS5_mZN2at6native12_GLOBAL__N_124unique_dim_cuda_templateIiEESt5tupleIJNSA_6TensorESF_SF_EERKSF_lbbbEUlllE_EE10hipError_tT0_T1_T2_jT3_P12ihipStream_tbPNSt15iterator_traitsISL_E10value_typeEPNSR_ISM_E10value_typeEPSN_NS1_7vsmem_tEENKUlT_SL_SM_SN_E_clIS8_S8_S9_S9_EESK_S10_SL_SM_SN_EUlS10_E1_NS1_11comp_targetILNS1_3genE5ELNS1_11target_archE942ELNS1_3gpuE9ELNS1_3repE0EEENS1_36merge_oddeven_config_static_selectorELNS0_4arch9wavefront6targetE0EEEvSM_ ; -- Begin function _ZN7rocprim17ROCPRIM_400000_NS6detail17trampoline_kernelINS0_14default_configENS1_38merge_sort_block_merge_config_selectorIlNS0_10empty_typeEEEZZNS1_27merge_sort_block_merge_implIS3_PlPS5_mZN2at6native12_GLOBAL__N_124unique_dim_cuda_templateIiEESt5tupleIJNSA_6TensorESF_SF_EERKSF_lbbbEUlllE_EE10hipError_tT0_T1_T2_jT3_P12ihipStream_tbPNSt15iterator_traitsISL_E10value_typeEPNSR_ISM_E10value_typeEPSN_NS1_7vsmem_tEENKUlT_SL_SM_SN_E_clIS8_S8_S9_S9_EESK_S10_SL_SM_SN_EUlS10_E1_NS1_11comp_targetILNS1_3genE5ELNS1_11target_archE942ELNS1_3gpuE9ELNS1_3repE0EEENS1_36merge_oddeven_config_static_selectorELNS0_4arch9wavefront6targetE0EEEvSM_
	.p2align	8
	.type	_ZN7rocprim17ROCPRIM_400000_NS6detail17trampoline_kernelINS0_14default_configENS1_38merge_sort_block_merge_config_selectorIlNS0_10empty_typeEEEZZNS1_27merge_sort_block_merge_implIS3_PlPS5_mZN2at6native12_GLOBAL__N_124unique_dim_cuda_templateIiEESt5tupleIJNSA_6TensorESF_SF_EERKSF_lbbbEUlllE_EE10hipError_tT0_T1_T2_jT3_P12ihipStream_tbPNSt15iterator_traitsISL_E10value_typeEPNSR_ISM_E10value_typeEPSN_NS1_7vsmem_tEENKUlT_SL_SM_SN_E_clIS8_S8_S9_S9_EESK_S10_SL_SM_SN_EUlS10_E1_NS1_11comp_targetILNS1_3genE5ELNS1_11target_archE942ELNS1_3gpuE9ELNS1_3repE0EEENS1_36merge_oddeven_config_static_selectorELNS0_4arch9wavefront6targetE0EEEvSM_,@function
_ZN7rocprim17ROCPRIM_400000_NS6detail17trampoline_kernelINS0_14default_configENS1_38merge_sort_block_merge_config_selectorIlNS0_10empty_typeEEEZZNS1_27merge_sort_block_merge_implIS3_PlPS5_mZN2at6native12_GLOBAL__N_124unique_dim_cuda_templateIiEESt5tupleIJNSA_6TensorESF_SF_EERKSF_lbbbEUlllE_EE10hipError_tT0_T1_T2_jT3_P12ihipStream_tbPNSt15iterator_traitsISL_E10value_typeEPNSR_ISM_E10value_typeEPSN_NS1_7vsmem_tEENKUlT_SL_SM_SN_E_clIS8_S8_S9_S9_EESK_S10_SL_SM_SN_EUlS10_E1_NS1_11comp_targetILNS1_3genE5ELNS1_11target_archE942ELNS1_3gpuE9ELNS1_3repE0EEENS1_36merge_oddeven_config_static_selectorELNS0_4arch9wavefront6targetE0EEEvSM_: ; @_ZN7rocprim17ROCPRIM_400000_NS6detail17trampoline_kernelINS0_14default_configENS1_38merge_sort_block_merge_config_selectorIlNS0_10empty_typeEEEZZNS1_27merge_sort_block_merge_implIS3_PlPS5_mZN2at6native12_GLOBAL__N_124unique_dim_cuda_templateIiEESt5tupleIJNSA_6TensorESF_SF_EERKSF_lbbbEUlllE_EE10hipError_tT0_T1_T2_jT3_P12ihipStream_tbPNSt15iterator_traitsISL_E10value_typeEPNSR_ISM_E10value_typeEPSN_NS1_7vsmem_tEENKUlT_SL_SM_SN_E_clIS8_S8_S9_S9_EESK_S10_SL_SM_SN_EUlS10_E1_NS1_11comp_targetILNS1_3genE5ELNS1_11target_archE942ELNS1_3gpuE9ELNS1_3repE0EEENS1_36merge_oddeven_config_static_selectorELNS0_4arch9wavefront6targetE0EEEvSM_
; %bb.0:
	.section	.rodata,"a",@progbits
	.p2align	6, 0x0
	.amdhsa_kernel _ZN7rocprim17ROCPRIM_400000_NS6detail17trampoline_kernelINS0_14default_configENS1_38merge_sort_block_merge_config_selectorIlNS0_10empty_typeEEEZZNS1_27merge_sort_block_merge_implIS3_PlPS5_mZN2at6native12_GLOBAL__N_124unique_dim_cuda_templateIiEESt5tupleIJNSA_6TensorESF_SF_EERKSF_lbbbEUlllE_EE10hipError_tT0_T1_T2_jT3_P12ihipStream_tbPNSt15iterator_traitsISL_E10value_typeEPNSR_ISM_E10value_typeEPSN_NS1_7vsmem_tEENKUlT_SL_SM_SN_E_clIS8_S8_S9_S9_EESK_S10_SL_SM_SN_EUlS10_E1_NS1_11comp_targetILNS1_3genE5ELNS1_11target_archE942ELNS1_3gpuE9ELNS1_3repE0EEENS1_36merge_oddeven_config_static_selectorELNS0_4arch9wavefront6targetE0EEEvSM_
		.amdhsa_group_segment_fixed_size 0
		.amdhsa_private_segment_fixed_size 0
		.amdhsa_kernarg_size 64
		.amdhsa_user_sgpr_count 15
		.amdhsa_user_sgpr_dispatch_ptr 0
		.amdhsa_user_sgpr_queue_ptr 0
		.amdhsa_user_sgpr_kernarg_segment_ptr 1
		.amdhsa_user_sgpr_dispatch_id 0
		.amdhsa_user_sgpr_private_segment_size 0
		.amdhsa_wavefront_size32 1
		.amdhsa_uses_dynamic_stack 0
		.amdhsa_enable_private_segment 0
		.amdhsa_system_sgpr_workgroup_id_x 1
		.amdhsa_system_sgpr_workgroup_id_y 0
		.amdhsa_system_sgpr_workgroup_id_z 0
		.amdhsa_system_sgpr_workgroup_info 0
		.amdhsa_system_vgpr_workitem_id 0
		.amdhsa_next_free_vgpr 1
		.amdhsa_next_free_sgpr 1
		.amdhsa_reserve_vcc 0
		.amdhsa_float_round_mode_32 0
		.amdhsa_float_round_mode_16_64 0
		.amdhsa_float_denorm_mode_32 3
		.amdhsa_float_denorm_mode_16_64 3
		.amdhsa_dx10_clamp 1
		.amdhsa_ieee_mode 1
		.amdhsa_fp16_overflow 0
		.amdhsa_workgroup_processor_mode 1
		.amdhsa_memory_ordered 1
		.amdhsa_forward_progress 0
		.amdhsa_shared_vgpr_count 0
		.amdhsa_exception_fp_ieee_invalid_op 0
		.amdhsa_exception_fp_denorm_src 0
		.amdhsa_exception_fp_ieee_div_zero 0
		.amdhsa_exception_fp_ieee_overflow 0
		.amdhsa_exception_fp_ieee_underflow 0
		.amdhsa_exception_fp_ieee_inexact 0
		.amdhsa_exception_int_div_zero 0
	.end_amdhsa_kernel
	.section	.text._ZN7rocprim17ROCPRIM_400000_NS6detail17trampoline_kernelINS0_14default_configENS1_38merge_sort_block_merge_config_selectorIlNS0_10empty_typeEEEZZNS1_27merge_sort_block_merge_implIS3_PlPS5_mZN2at6native12_GLOBAL__N_124unique_dim_cuda_templateIiEESt5tupleIJNSA_6TensorESF_SF_EERKSF_lbbbEUlllE_EE10hipError_tT0_T1_T2_jT3_P12ihipStream_tbPNSt15iterator_traitsISL_E10value_typeEPNSR_ISM_E10value_typeEPSN_NS1_7vsmem_tEENKUlT_SL_SM_SN_E_clIS8_S8_S9_S9_EESK_S10_SL_SM_SN_EUlS10_E1_NS1_11comp_targetILNS1_3genE5ELNS1_11target_archE942ELNS1_3gpuE9ELNS1_3repE0EEENS1_36merge_oddeven_config_static_selectorELNS0_4arch9wavefront6targetE0EEEvSM_,"axG",@progbits,_ZN7rocprim17ROCPRIM_400000_NS6detail17trampoline_kernelINS0_14default_configENS1_38merge_sort_block_merge_config_selectorIlNS0_10empty_typeEEEZZNS1_27merge_sort_block_merge_implIS3_PlPS5_mZN2at6native12_GLOBAL__N_124unique_dim_cuda_templateIiEESt5tupleIJNSA_6TensorESF_SF_EERKSF_lbbbEUlllE_EE10hipError_tT0_T1_T2_jT3_P12ihipStream_tbPNSt15iterator_traitsISL_E10value_typeEPNSR_ISM_E10value_typeEPSN_NS1_7vsmem_tEENKUlT_SL_SM_SN_E_clIS8_S8_S9_S9_EESK_S10_SL_SM_SN_EUlS10_E1_NS1_11comp_targetILNS1_3genE5ELNS1_11target_archE942ELNS1_3gpuE9ELNS1_3repE0EEENS1_36merge_oddeven_config_static_selectorELNS0_4arch9wavefront6targetE0EEEvSM_,comdat
.Lfunc_end410:
	.size	_ZN7rocprim17ROCPRIM_400000_NS6detail17trampoline_kernelINS0_14default_configENS1_38merge_sort_block_merge_config_selectorIlNS0_10empty_typeEEEZZNS1_27merge_sort_block_merge_implIS3_PlPS5_mZN2at6native12_GLOBAL__N_124unique_dim_cuda_templateIiEESt5tupleIJNSA_6TensorESF_SF_EERKSF_lbbbEUlllE_EE10hipError_tT0_T1_T2_jT3_P12ihipStream_tbPNSt15iterator_traitsISL_E10value_typeEPNSR_ISM_E10value_typeEPSN_NS1_7vsmem_tEENKUlT_SL_SM_SN_E_clIS8_S8_S9_S9_EESK_S10_SL_SM_SN_EUlS10_E1_NS1_11comp_targetILNS1_3genE5ELNS1_11target_archE942ELNS1_3gpuE9ELNS1_3repE0EEENS1_36merge_oddeven_config_static_selectorELNS0_4arch9wavefront6targetE0EEEvSM_, .Lfunc_end410-_ZN7rocprim17ROCPRIM_400000_NS6detail17trampoline_kernelINS0_14default_configENS1_38merge_sort_block_merge_config_selectorIlNS0_10empty_typeEEEZZNS1_27merge_sort_block_merge_implIS3_PlPS5_mZN2at6native12_GLOBAL__N_124unique_dim_cuda_templateIiEESt5tupleIJNSA_6TensorESF_SF_EERKSF_lbbbEUlllE_EE10hipError_tT0_T1_T2_jT3_P12ihipStream_tbPNSt15iterator_traitsISL_E10value_typeEPNSR_ISM_E10value_typeEPSN_NS1_7vsmem_tEENKUlT_SL_SM_SN_E_clIS8_S8_S9_S9_EESK_S10_SL_SM_SN_EUlS10_E1_NS1_11comp_targetILNS1_3genE5ELNS1_11target_archE942ELNS1_3gpuE9ELNS1_3repE0EEENS1_36merge_oddeven_config_static_selectorELNS0_4arch9wavefront6targetE0EEEvSM_
                                        ; -- End function
	.section	.AMDGPU.csdata,"",@progbits
; Kernel info:
; codeLenInByte = 0
; NumSgprs: 0
; NumVgprs: 0
; ScratchSize: 0
; MemoryBound: 0
; FloatMode: 240
; IeeeMode: 1
; LDSByteSize: 0 bytes/workgroup (compile time only)
; SGPRBlocks: 0
; VGPRBlocks: 0
; NumSGPRsForWavesPerEU: 1
; NumVGPRsForWavesPerEU: 1
; Occupancy: 16
; WaveLimiterHint : 0
; COMPUTE_PGM_RSRC2:SCRATCH_EN: 0
; COMPUTE_PGM_RSRC2:USER_SGPR: 15
; COMPUTE_PGM_RSRC2:TRAP_HANDLER: 0
; COMPUTE_PGM_RSRC2:TGID_X_EN: 1
; COMPUTE_PGM_RSRC2:TGID_Y_EN: 0
; COMPUTE_PGM_RSRC2:TGID_Z_EN: 0
; COMPUTE_PGM_RSRC2:TIDIG_COMP_CNT: 0
	.section	.text._ZN7rocprim17ROCPRIM_400000_NS6detail17trampoline_kernelINS0_14default_configENS1_38merge_sort_block_merge_config_selectorIlNS0_10empty_typeEEEZZNS1_27merge_sort_block_merge_implIS3_PlPS5_mZN2at6native12_GLOBAL__N_124unique_dim_cuda_templateIiEESt5tupleIJNSA_6TensorESF_SF_EERKSF_lbbbEUlllE_EE10hipError_tT0_T1_T2_jT3_P12ihipStream_tbPNSt15iterator_traitsISL_E10value_typeEPNSR_ISM_E10value_typeEPSN_NS1_7vsmem_tEENKUlT_SL_SM_SN_E_clIS8_S8_S9_S9_EESK_S10_SL_SM_SN_EUlS10_E1_NS1_11comp_targetILNS1_3genE4ELNS1_11target_archE910ELNS1_3gpuE8ELNS1_3repE0EEENS1_36merge_oddeven_config_static_selectorELNS0_4arch9wavefront6targetE0EEEvSM_,"axG",@progbits,_ZN7rocprim17ROCPRIM_400000_NS6detail17trampoline_kernelINS0_14default_configENS1_38merge_sort_block_merge_config_selectorIlNS0_10empty_typeEEEZZNS1_27merge_sort_block_merge_implIS3_PlPS5_mZN2at6native12_GLOBAL__N_124unique_dim_cuda_templateIiEESt5tupleIJNSA_6TensorESF_SF_EERKSF_lbbbEUlllE_EE10hipError_tT0_T1_T2_jT3_P12ihipStream_tbPNSt15iterator_traitsISL_E10value_typeEPNSR_ISM_E10value_typeEPSN_NS1_7vsmem_tEENKUlT_SL_SM_SN_E_clIS8_S8_S9_S9_EESK_S10_SL_SM_SN_EUlS10_E1_NS1_11comp_targetILNS1_3genE4ELNS1_11target_archE910ELNS1_3gpuE8ELNS1_3repE0EEENS1_36merge_oddeven_config_static_selectorELNS0_4arch9wavefront6targetE0EEEvSM_,comdat
	.globl	_ZN7rocprim17ROCPRIM_400000_NS6detail17trampoline_kernelINS0_14default_configENS1_38merge_sort_block_merge_config_selectorIlNS0_10empty_typeEEEZZNS1_27merge_sort_block_merge_implIS3_PlPS5_mZN2at6native12_GLOBAL__N_124unique_dim_cuda_templateIiEESt5tupleIJNSA_6TensorESF_SF_EERKSF_lbbbEUlllE_EE10hipError_tT0_T1_T2_jT3_P12ihipStream_tbPNSt15iterator_traitsISL_E10value_typeEPNSR_ISM_E10value_typeEPSN_NS1_7vsmem_tEENKUlT_SL_SM_SN_E_clIS8_S8_S9_S9_EESK_S10_SL_SM_SN_EUlS10_E1_NS1_11comp_targetILNS1_3genE4ELNS1_11target_archE910ELNS1_3gpuE8ELNS1_3repE0EEENS1_36merge_oddeven_config_static_selectorELNS0_4arch9wavefront6targetE0EEEvSM_ ; -- Begin function _ZN7rocprim17ROCPRIM_400000_NS6detail17trampoline_kernelINS0_14default_configENS1_38merge_sort_block_merge_config_selectorIlNS0_10empty_typeEEEZZNS1_27merge_sort_block_merge_implIS3_PlPS5_mZN2at6native12_GLOBAL__N_124unique_dim_cuda_templateIiEESt5tupleIJNSA_6TensorESF_SF_EERKSF_lbbbEUlllE_EE10hipError_tT0_T1_T2_jT3_P12ihipStream_tbPNSt15iterator_traitsISL_E10value_typeEPNSR_ISM_E10value_typeEPSN_NS1_7vsmem_tEENKUlT_SL_SM_SN_E_clIS8_S8_S9_S9_EESK_S10_SL_SM_SN_EUlS10_E1_NS1_11comp_targetILNS1_3genE4ELNS1_11target_archE910ELNS1_3gpuE8ELNS1_3repE0EEENS1_36merge_oddeven_config_static_selectorELNS0_4arch9wavefront6targetE0EEEvSM_
	.p2align	8
	.type	_ZN7rocprim17ROCPRIM_400000_NS6detail17trampoline_kernelINS0_14default_configENS1_38merge_sort_block_merge_config_selectorIlNS0_10empty_typeEEEZZNS1_27merge_sort_block_merge_implIS3_PlPS5_mZN2at6native12_GLOBAL__N_124unique_dim_cuda_templateIiEESt5tupleIJNSA_6TensorESF_SF_EERKSF_lbbbEUlllE_EE10hipError_tT0_T1_T2_jT3_P12ihipStream_tbPNSt15iterator_traitsISL_E10value_typeEPNSR_ISM_E10value_typeEPSN_NS1_7vsmem_tEENKUlT_SL_SM_SN_E_clIS8_S8_S9_S9_EESK_S10_SL_SM_SN_EUlS10_E1_NS1_11comp_targetILNS1_3genE4ELNS1_11target_archE910ELNS1_3gpuE8ELNS1_3repE0EEENS1_36merge_oddeven_config_static_selectorELNS0_4arch9wavefront6targetE0EEEvSM_,@function
_ZN7rocprim17ROCPRIM_400000_NS6detail17trampoline_kernelINS0_14default_configENS1_38merge_sort_block_merge_config_selectorIlNS0_10empty_typeEEEZZNS1_27merge_sort_block_merge_implIS3_PlPS5_mZN2at6native12_GLOBAL__N_124unique_dim_cuda_templateIiEESt5tupleIJNSA_6TensorESF_SF_EERKSF_lbbbEUlllE_EE10hipError_tT0_T1_T2_jT3_P12ihipStream_tbPNSt15iterator_traitsISL_E10value_typeEPNSR_ISM_E10value_typeEPSN_NS1_7vsmem_tEENKUlT_SL_SM_SN_E_clIS8_S8_S9_S9_EESK_S10_SL_SM_SN_EUlS10_E1_NS1_11comp_targetILNS1_3genE4ELNS1_11target_archE910ELNS1_3gpuE8ELNS1_3repE0EEENS1_36merge_oddeven_config_static_selectorELNS0_4arch9wavefront6targetE0EEEvSM_: ; @_ZN7rocprim17ROCPRIM_400000_NS6detail17trampoline_kernelINS0_14default_configENS1_38merge_sort_block_merge_config_selectorIlNS0_10empty_typeEEEZZNS1_27merge_sort_block_merge_implIS3_PlPS5_mZN2at6native12_GLOBAL__N_124unique_dim_cuda_templateIiEESt5tupleIJNSA_6TensorESF_SF_EERKSF_lbbbEUlllE_EE10hipError_tT0_T1_T2_jT3_P12ihipStream_tbPNSt15iterator_traitsISL_E10value_typeEPNSR_ISM_E10value_typeEPSN_NS1_7vsmem_tEENKUlT_SL_SM_SN_E_clIS8_S8_S9_S9_EESK_S10_SL_SM_SN_EUlS10_E1_NS1_11comp_targetILNS1_3genE4ELNS1_11target_archE910ELNS1_3gpuE8ELNS1_3repE0EEENS1_36merge_oddeven_config_static_selectorELNS0_4arch9wavefront6targetE0EEEvSM_
; %bb.0:
	.section	.rodata,"a",@progbits
	.p2align	6, 0x0
	.amdhsa_kernel _ZN7rocprim17ROCPRIM_400000_NS6detail17trampoline_kernelINS0_14default_configENS1_38merge_sort_block_merge_config_selectorIlNS0_10empty_typeEEEZZNS1_27merge_sort_block_merge_implIS3_PlPS5_mZN2at6native12_GLOBAL__N_124unique_dim_cuda_templateIiEESt5tupleIJNSA_6TensorESF_SF_EERKSF_lbbbEUlllE_EE10hipError_tT0_T1_T2_jT3_P12ihipStream_tbPNSt15iterator_traitsISL_E10value_typeEPNSR_ISM_E10value_typeEPSN_NS1_7vsmem_tEENKUlT_SL_SM_SN_E_clIS8_S8_S9_S9_EESK_S10_SL_SM_SN_EUlS10_E1_NS1_11comp_targetILNS1_3genE4ELNS1_11target_archE910ELNS1_3gpuE8ELNS1_3repE0EEENS1_36merge_oddeven_config_static_selectorELNS0_4arch9wavefront6targetE0EEEvSM_
		.amdhsa_group_segment_fixed_size 0
		.amdhsa_private_segment_fixed_size 0
		.amdhsa_kernarg_size 64
		.amdhsa_user_sgpr_count 15
		.amdhsa_user_sgpr_dispatch_ptr 0
		.amdhsa_user_sgpr_queue_ptr 0
		.amdhsa_user_sgpr_kernarg_segment_ptr 1
		.amdhsa_user_sgpr_dispatch_id 0
		.amdhsa_user_sgpr_private_segment_size 0
		.amdhsa_wavefront_size32 1
		.amdhsa_uses_dynamic_stack 0
		.amdhsa_enable_private_segment 0
		.amdhsa_system_sgpr_workgroup_id_x 1
		.amdhsa_system_sgpr_workgroup_id_y 0
		.amdhsa_system_sgpr_workgroup_id_z 0
		.amdhsa_system_sgpr_workgroup_info 0
		.amdhsa_system_vgpr_workitem_id 0
		.amdhsa_next_free_vgpr 1
		.amdhsa_next_free_sgpr 1
		.amdhsa_reserve_vcc 0
		.amdhsa_float_round_mode_32 0
		.amdhsa_float_round_mode_16_64 0
		.amdhsa_float_denorm_mode_32 3
		.amdhsa_float_denorm_mode_16_64 3
		.amdhsa_dx10_clamp 1
		.amdhsa_ieee_mode 1
		.amdhsa_fp16_overflow 0
		.amdhsa_workgroup_processor_mode 1
		.amdhsa_memory_ordered 1
		.amdhsa_forward_progress 0
		.amdhsa_shared_vgpr_count 0
		.amdhsa_exception_fp_ieee_invalid_op 0
		.amdhsa_exception_fp_denorm_src 0
		.amdhsa_exception_fp_ieee_div_zero 0
		.amdhsa_exception_fp_ieee_overflow 0
		.amdhsa_exception_fp_ieee_underflow 0
		.amdhsa_exception_fp_ieee_inexact 0
		.amdhsa_exception_int_div_zero 0
	.end_amdhsa_kernel
	.section	.text._ZN7rocprim17ROCPRIM_400000_NS6detail17trampoline_kernelINS0_14default_configENS1_38merge_sort_block_merge_config_selectorIlNS0_10empty_typeEEEZZNS1_27merge_sort_block_merge_implIS3_PlPS5_mZN2at6native12_GLOBAL__N_124unique_dim_cuda_templateIiEESt5tupleIJNSA_6TensorESF_SF_EERKSF_lbbbEUlllE_EE10hipError_tT0_T1_T2_jT3_P12ihipStream_tbPNSt15iterator_traitsISL_E10value_typeEPNSR_ISM_E10value_typeEPSN_NS1_7vsmem_tEENKUlT_SL_SM_SN_E_clIS8_S8_S9_S9_EESK_S10_SL_SM_SN_EUlS10_E1_NS1_11comp_targetILNS1_3genE4ELNS1_11target_archE910ELNS1_3gpuE8ELNS1_3repE0EEENS1_36merge_oddeven_config_static_selectorELNS0_4arch9wavefront6targetE0EEEvSM_,"axG",@progbits,_ZN7rocprim17ROCPRIM_400000_NS6detail17trampoline_kernelINS0_14default_configENS1_38merge_sort_block_merge_config_selectorIlNS0_10empty_typeEEEZZNS1_27merge_sort_block_merge_implIS3_PlPS5_mZN2at6native12_GLOBAL__N_124unique_dim_cuda_templateIiEESt5tupleIJNSA_6TensorESF_SF_EERKSF_lbbbEUlllE_EE10hipError_tT0_T1_T2_jT3_P12ihipStream_tbPNSt15iterator_traitsISL_E10value_typeEPNSR_ISM_E10value_typeEPSN_NS1_7vsmem_tEENKUlT_SL_SM_SN_E_clIS8_S8_S9_S9_EESK_S10_SL_SM_SN_EUlS10_E1_NS1_11comp_targetILNS1_3genE4ELNS1_11target_archE910ELNS1_3gpuE8ELNS1_3repE0EEENS1_36merge_oddeven_config_static_selectorELNS0_4arch9wavefront6targetE0EEEvSM_,comdat
.Lfunc_end411:
	.size	_ZN7rocprim17ROCPRIM_400000_NS6detail17trampoline_kernelINS0_14default_configENS1_38merge_sort_block_merge_config_selectorIlNS0_10empty_typeEEEZZNS1_27merge_sort_block_merge_implIS3_PlPS5_mZN2at6native12_GLOBAL__N_124unique_dim_cuda_templateIiEESt5tupleIJNSA_6TensorESF_SF_EERKSF_lbbbEUlllE_EE10hipError_tT0_T1_T2_jT3_P12ihipStream_tbPNSt15iterator_traitsISL_E10value_typeEPNSR_ISM_E10value_typeEPSN_NS1_7vsmem_tEENKUlT_SL_SM_SN_E_clIS8_S8_S9_S9_EESK_S10_SL_SM_SN_EUlS10_E1_NS1_11comp_targetILNS1_3genE4ELNS1_11target_archE910ELNS1_3gpuE8ELNS1_3repE0EEENS1_36merge_oddeven_config_static_selectorELNS0_4arch9wavefront6targetE0EEEvSM_, .Lfunc_end411-_ZN7rocprim17ROCPRIM_400000_NS6detail17trampoline_kernelINS0_14default_configENS1_38merge_sort_block_merge_config_selectorIlNS0_10empty_typeEEEZZNS1_27merge_sort_block_merge_implIS3_PlPS5_mZN2at6native12_GLOBAL__N_124unique_dim_cuda_templateIiEESt5tupleIJNSA_6TensorESF_SF_EERKSF_lbbbEUlllE_EE10hipError_tT0_T1_T2_jT3_P12ihipStream_tbPNSt15iterator_traitsISL_E10value_typeEPNSR_ISM_E10value_typeEPSN_NS1_7vsmem_tEENKUlT_SL_SM_SN_E_clIS8_S8_S9_S9_EESK_S10_SL_SM_SN_EUlS10_E1_NS1_11comp_targetILNS1_3genE4ELNS1_11target_archE910ELNS1_3gpuE8ELNS1_3repE0EEENS1_36merge_oddeven_config_static_selectorELNS0_4arch9wavefront6targetE0EEEvSM_
                                        ; -- End function
	.section	.AMDGPU.csdata,"",@progbits
; Kernel info:
; codeLenInByte = 0
; NumSgprs: 0
; NumVgprs: 0
; ScratchSize: 0
; MemoryBound: 0
; FloatMode: 240
; IeeeMode: 1
; LDSByteSize: 0 bytes/workgroup (compile time only)
; SGPRBlocks: 0
; VGPRBlocks: 0
; NumSGPRsForWavesPerEU: 1
; NumVGPRsForWavesPerEU: 1
; Occupancy: 16
; WaveLimiterHint : 0
; COMPUTE_PGM_RSRC2:SCRATCH_EN: 0
; COMPUTE_PGM_RSRC2:USER_SGPR: 15
; COMPUTE_PGM_RSRC2:TRAP_HANDLER: 0
; COMPUTE_PGM_RSRC2:TGID_X_EN: 1
; COMPUTE_PGM_RSRC2:TGID_Y_EN: 0
; COMPUTE_PGM_RSRC2:TGID_Z_EN: 0
; COMPUTE_PGM_RSRC2:TIDIG_COMP_CNT: 0
	.section	.text._ZN7rocprim17ROCPRIM_400000_NS6detail17trampoline_kernelINS0_14default_configENS1_38merge_sort_block_merge_config_selectorIlNS0_10empty_typeEEEZZNS1_27merge_sort_block_merge_implIS3_PlPS5_mZN2at6native12_GLOBAL__N_124unique_dim_cuda_templateIiEESt5tupleIJNSA_6TensorESF_SF_EERKSF_lbbbEUlllE_EE10hipError_tT0_T1_T2_jT3_P12ihipStream_tbPNSt15iterator_traitsISL_E10value_typeEPNSR_ISM_E10value_typeEPSN_NS1_7vsmem_tEENKUlT_SL_SM_SN_E_clIS8_S8_S9_S9_EESK_S10_SL_SM_SN_EUlS10_E1_NS1_11comp_targetILNS1_3genE3ELNS1_11target_archE908ELNS1_3gpuE7ELNS1_3repE0EEENS1_36merge_oddeven_config_static_selectorELNS0_4arch9wavefront6targetE0EEEvSM_,"axG",@progbits,_ZN7rocprim17ROCPRIM_400000_NS6detail17trampoline_kernelINS0_14default_configENS1_38merge_sort_block_merge_config_selectorIlNS0_10empty_typeEEEZZNS1_27merge_sort_block_merge_implIS3_PlPS5_mZN2at6native12_GLOBAL__N_124unique_dim_cuda_templateIiEESt5tupleIJNSA_6TensorESF_SF_EERKSF_lbbbEUlllE_EE10hipError_tT0_T1_T2_jT3_P12ihipStream_tbPNSt15iterator_traitsISL_E10value_typeEPNSR_ISM_E10value_typeEPSN_NS1_7vsmem_tEENKUlT_SL_SM_SN_E_clIS8_S8_S9_S9_EESK_S10_SL_SM_SN_EUlS10_E1_NS1_11comp_targetILNS1_3genE3ELNS1_11target_archE908ELNS1_3gpuE7ELNS1_3repE0EEENS1_36merge_oddeven_config_static_selectorELNS0_4arch9wavefront6targetE0EEEvSM_,comdat
	.globl	_ZN7rocprim17ROCPRIM_400000_NS6detail17trampoline_kernelINS0_14default_configENS1_38merge_sort_block_merge_config_selectorIlNS0_10empty_typeEEEZZNS1_27merge_sort_block_merge_implIS3_PlPS5_mZN2at6native12_GLOBAL__N_124unique_dim_cuda_templateIiEESt5tupleIJNSA_6TensorESF_SF_EERKSF_lbbbEUlllE_EE10hipError_tT0_T1_T2_jT3_P12ihipStream_tbPNSt15iterator_traitsISL_E10value_typeEPNSR_ISM_E10value_typeEPSN_NS1_7vsmem_tEENKUlT_SL_SM_SN_E_clIS8_S8_S9_S9_EESK_S10_SL_SM_SN_EUlS10_E1_NS1_11comp_targetILNS1_3genE3ELNS1_11target_archE908ELNS1_3gpuE7ELNS1_3repE0EEENS1_36merge_oddeven_config_static_selectorELNS0_4arch9wavefront6targetE0EEEvSM_ ; -- Begin function _ZN7rocprim17ROCPRIM_400000_NS6detail17trampoline_kernelINS0_14default_configENS1_38merge_sort_block_merge_config_selectorIlNS0_10empty_typeEEEZZNS1_27merge_sort_block_merge_implIS3_PlPS5_mZN2at6native12_GLOBAL__N_124unique_dim_cuda_templateIiEESt5tupleIJNSA_6TensorESF_SF_EERKSF_lbbbEUlllE_EE10hipError_tT0_T1_T2_jT3_P12ihipStream_tbPNSt15iterator_traitsISL_E10value_typeEPNSR_ISM_E10value_typeEPSN_NS1_7vsmem_tEENKUlT_SL_SM_SN_E_clIS8_S8_S9_S9_EESK_S10_SL_SM_SN_EUlS10_E1_NS1_11comp_targetILNS1_3genE3ELNS1_11target_archE908ELNS1_3gpuE7ELNS1_3repE0EEENS1_36merge_oddeven_config_static_selectorELNS0_4arch9wavefront6targetE0EEEvSM_
	.p2align	8
	.type	_ZN7rocprim17ROCPRIM_400000_NS6detail17trampoline_kernelINS0_14default_configENS1_38merge_sort_block_merge_config_selectorIlNS0_10empty_typeEEEZZNS1_27merge_sort_block_merge_implIS3_PlPS5_mZN2at6native12_GLOBAL__N_124unique_dim_cuda_templateIiEESt5tupleIJNSA_6TensorESF_SF_EERKSF_lbbbEUlllE_EE10hipError_tT0_T1_T2_jT3_P12ihipStream_tbPNSt15iterator_traitsISL_E10value_typeEPNSR_ISM_E10value_typeEPSN_NS1_7vsmem_tEENKUlT_SL_SM_SN_E_clIS8_S8_S9_S9_EESK_S10_SL_SM_SN_EUlS10_E1_NS1_11comp_targetILNS1_3genE3ELNS1_11target_archE908ELNS1_3gpuE7ELNS1_3repE0EEENS1_36merge_oddeven_config_static_selectorELNS0_4arch9wavefront6targetE0EEEvSM_,@function
_ZN7rocprim17ROCPRIM_400000_NS6detail17trampoline_kernelINS0_14default_configENS1_38merge_sort_block_merge_config_selectorIlNS0_10empty_typeEEEZZNS1_27merge_sort_block_merge_implIS3_PlPS5_mZN2at6native12_GLOBAL__N_124unique_dim_cuda_templateIiEESt5tupleIJNSA_6TensorESF_SF_EERKSF_lbbbEUlllE_EE10hipError_tT0_T1_T2_jT3_P12ihipStream_tbPNSt15iterator_traitsISL_E10value_typeEPNSR_ISM_E10value_typeEPSN_NS1_7vsmem_tEENKUlT_SL_SM_SN_E_clIS8_S8_S9_S9_EESK_S10_SL_SM_SN_EUlS10_E1_NS1_11comp_targetILNS1_3genE3ELNS1_11target_archE908ELNS1_3gpuE7ELNS1_3repE0EEENS1_36merge_oddeven_config_static_selectorELNS0_4arch9wavefront6targetE0EEEvSM_: ; @_ZN7rocprim17ROCPRIM_400000_NS6detail17trampoline_kernelINS0_14default_configENS1_38merge_sort_block_merge_config_selectorIlNS0_10empty_typeEEEZZNS1_27merge_sort_block_merge_implIS3_PlPS5_mZN2at6native12_GLOBAL__N_124unique_dim_cuda_templateIiEESt5tupleIJNSA_6TensorESF_SF_EERKSF_lbbbEUlllE_EE10hipError_tT0_T1_T2_jT3_P12ihipStream_tbPNSt15iterator_traitsISL_E10value_typeEPNSR_ISM_E10value_typeEPSN_NS1_7vsmem_tEENKUlT_SL_SM_SN_E_clIS8_S8_S9_S9_EESK_S10_SL_SM_SN_EUlS10_E1_NS1_11comp_targetILNS1_3genE3ELNS1_11target_archE908ELNS1_3gpuE7ELNS1_3repE0EEENS1_36merge_oddeven_config_static_selectorELNS0_4arch9wavefront6targetE0EEEvSM_
; %bb.0:
	.section	.rodata,"a",@progbits
	.p2align	6, 0x0
	.amdhsa_kernel _ZN7rocprim17ROCPRIM_400000_NS6detail17trampoline_kernelINS0_14default_configENS1_38merge_sort_block_merge_config_selectorIlNS0_10empty_typeEEEZZNS1_27merge_sort_block_merge_implIS3_PlPS5_mZN2at6native12_GLOBAL__N_124unique_dim_cuda_templateIiEESt5tupleIJNSA_6TensorESF_SF_EERKSF_lbbbEUlllE_EE10hipError_tT0_T1_T2_jT3_P12ihipStream_tbPNSt15iterator_traitsISL_E10value_typeEPNSR_ISM_E10value_typeEPSN_NS1_7vsmem_tEENKUlT_SL_SM_SN_E_clIS8_S8_S9_S9_EESK_S10_SL_SM_SN_EUlS10_E1_NS1_11comp_targetILNS1_3genE3ELNS1_11target_archE908ELNS1_3gpuE7ELNS1_3repE0EEENS1_36merge_oddeven_config_static_selectorELNS0_4arch9wavefront6targetE0EEEvSM_
		.amdhsa_group_segment_fixed_size 0
		.amdhsa_private_segment_fixed_size 0
		.amdhsa_kernarg_size 64
		.amdhsa_user_sgpr_count 15
		.amdhsa_user_sgpr_dispatch_ptr 0
		.amdhsa_user_sgpr_queue_ptr 0
		.amdhsa_user_sgpr_kernarg_segment_ptr 1
		.amdhsa_user_sgpr_dispatch_id 0
		.amdhsa_user_sgpr_private_segment_size 0
		.amdhsa_wavefront_size32 1
		.amdhsa_uses_dynamic_stack 0
		.amdhsa_enable_private_segment 0
		.amdhsa_system_sgpr_workgroup_id_x 1
		.amdhsa_system_sgpr_workgroup_id_y 0
		.amdhsa_system_sgpr_workgroup_id_z 0
		.amdhsa_system_sgpr_workgroup_info 0
		.amdhsa_system_vgpr_workitem_id 0
		.amdhsa_next_free_vgpr 1
		.amdhsa_next_free_sgpr 1
		.amdhsa_reserve_vcc 0
		.amdhsa_float_round_mode_32 0
		.amdhsa_float_round_mode_16_64 0
		.amdhsa_float_denorm_mode_32 3
		.amdhsa_float_denorm_mode_16_64 3
		.amdhsa_dx10_clamp 1
		.amdhsa_ieee_mode 1
		.amdhsa_fp16_overflow 0
		.amdhsa_workgroup_processor_mode 1
		.amdhsa_memory_ordered 1
		.amdhsa_forward_progress 0
		.amdhsa_shared_vgpr_count 0
		.amdhsa_exception_fp_ieee_invalid_op 0
		.amdhsa_exception_fp_denorm_src 0
		.amdhsa_exception_fp_ieee_div_zero 0
		.amdhsa_exception_fp_ieee_overflow 0
		.amdhsa_exception_fp_ieee_underflow 0
		.amdhsa_exception_fp_ieee_inexact 0
		.amdhsa_exception_int_div_zero 0
	.end_amdhsa_kernel
	.section	.text._ZN7rocprim17ROCPRIM_400000_NS6detail17trampoline_kernelINS0_14default_configENS1_38merge_sort_block_merge_config_selectorIlNS0_10empty_typeEEEZZNS1_27merge_sort_block_merge_implIS3_PlPS5_mZN2at6native12_GLOBAL__N_124unique_dim_cuda_templateIiEESt5tupleIJNSA_6TensorESF_SF_EERKSF_lbbbEUlllE_EE10hipError_tT0_T1_T2_jT3_P12ihipStream_tbPNSt15iterator_traitsISL_E10value_typeEPNSR_ISM_E10value_typeEPSN_NS1_7vsmem_tEENKUlT_SL_SM_SN_E_clIS8_S8_S9_S9_EESK_S10_SL_SM_SN_EUlS10_E1_NS1_11comp_targetILNS1_3genE3ELNS1_11target_archE908ELNS1_3gpuE7ELNS1_3repE0EEENS1_36merge_oddeven_config_static_selectorELNS0_4arch9wavefront6targetE0EEEvSM_,"axG",@progbits,_ZN7rocprim17ROCPRIM_400000_NS6detail17trampoline_kernelINS0_14default_configENS1_38merge_sort_block_merge_config_selectorIlNS0_10empty_typeEEEZZNS1_27merge_sort_block_merge_implIS3_PlPS5_mZN2at6native12_GLOBAL__N_124unique_dim_cuda_templateIiEESt5tupleIJNSA_6TensorESF_SF_EERKSF_lbbbEUlllE_EE10hipError_tT0_T1_T2_jT3_P12ihipStream_tbPNSt15iterator_traitsISL_E10value_typeEPNSR_ISM_E10value_typeEPSN_NS1_7vsmem_tEENKUlT_SL_SM_SN_E_clIS8_S8_S9_S9_EESK_S10_SL_SM_SN_EUlS10_E1_NS1_11comp_targetILNS1_3genE3ELNS1_11target_archE908ELNS1_3gpuE7ELNS1_3repE0EEENS1_36merge_oddeven_config_static_selectorELNS0_4arch9wavefront6targetE0EEEvSM_,comdat
.Lfunc_end412:
	.size	_ZN7rocprim17ROCPRIM_400000_NS6detail17trampoline_kernelINS0_14default_configENS1_38merge_sort_block_merge_config_selectorIlNS0_10empty_typeEEEZZNS1_27merge_sort_block_merge_implIS3_PlPS5_mZN2at6native12_GLOBAL__N_124unique_dim_cuda_templateIiEESt5tupleIJNSA_6TensorESF_SF_EERKSF_lbbbEUlllE_EE10hipError_tT0_T1_T2_jT3_P12ihipStream_tbPNSt15iterator_traitsISL_E10value_typeEPNSR_ISM_E10value_typeEPSN_NS1_7vsmem_tEENKUlT_SL_SM_SN_E_clIS8_S8_S9_S9_EESK_S10_SL_SM_SN_EUlS10_E1_NS1_11comp_targetILNS1_3genE3ELNS1_11target_archE908ELNS1_3gpuE7ELNS1_3repE0EEENS1_36merge_oddeven_config_static_selectorELNS0_4arch9wavefront6targetE0EEEvSM_, .Lfunc_end412-_ZN7rocprim17ROCPRIM_400000_NS6detail17trampoline_kernelINS0_14default_configENS1_38merge_sort_block_merge_config_selectorIlNS0_10empty_typeEEEZZNS1_27merge_sort_block_merge_implIS3_PlPS5_mZN2at6native12_GLOBAL__N_124unique_dim_cuda_templateIiEESt5tupleIJNSA_6TensorESF_SF_EERKSF_lbbbEUlllE_EE10hipError_tT0_T1_T2_jT3_P12ihipStream_tbPNSt15iterator_traitsISL_E10value_typeEPNSR_ISM_E10value_typeEPSN_NS1_7vsmem_tEENKUlT_SL_SM_SN_E_clIS8_S8_S9_S9_EESK_S10_SL_SM_SN_EUlS10_E1_NS1_11comp_targetILNS1_3genE3ELNS1_11target_archE908ELNS1_3gpuE7ELNS1_3repE0EEENS1_36merge_oddeven_config_static_selectorELNS0_4arch9wavefront6targetE0EEEvSM_
                                        ; -- End function
	.section	.AMDGPU.csdata,"",@progbits
; Kernel info:
; codeLenInByte = 0
; NumSgprs: 0
; NumVgprs: 0
; ScratchSize: 0
; MemoryBound: 0
; FloatMode: 240
; IeeeMode: 1
; LDSByteSize: 0 bytes/workgroup (compile time only)
; SGPRBlocks: 0
; VGPRBlocks: 0
; NumSGPRsForWavesPerEU: 1
; NumVGPRsForWavesPerEU: 1
; Occupancy: 16
; WaveLimiterHint : 0
; COMPUTE_PGM_RSRC2:SCRATCH_EN: 0
; COMPUTE_PGM_RSRC2:USER_SGPR: 15
; COMPUTE_PGM_RSRC2:TRAP_HANDLER: 0
; COMPUTE_PGM_RSRC2:TGID_X_EN: 1
; COMPUTE_PGM_RSRC2:TGID_Y_EN: 0
; COMPUTE_PGM_RSRC2:TGID_Z_EN: 0
; COMPUTE_PGM_RSRC2:TIDIG_COMP_CNT: 0
	.section	.text._ZN7rocprim17ROCPRIM_400000_NS6detail17trampoline_kernelINS0_14default_configENS1_38merge_sort_block_merge_config_selectorIlNS0_10empty_typeEEEZZNS1_27merge_sort_block_merge_implIS3_PlPS5_mZN2at6native12_GLOBAL__N_124unique_dim_cuda_templateIiEESt5tupleIJNSA_6TensorESF_SF_EERKSF_lbbbEUlllE_EE10hipError_tT0_T1_T2_jT3_P12ihipStream_tbPNSt15iterator_traitsISL_E10value_typeEPNSR_ISM_E10value_typeEPSN_NS1_7vsmem_tEENKUlT_SL_SM_SN_E_clIS8_S8_S9_S9_EESK_S10_SL_SM_SN_EUlS10_E1_NS1_11comp_targetILNS1_3genE2ELNS1_11target_archE906ELNS1_3gpuE6ELNS1_3repE0EEENS1_36merge_oddeven_config_static_selectorELNS0_4arch9wavefront6targetE0EEEvSM_,"axG",@progbits,_ZN7rocprim17ROCPRIM_400000_NS6detail17trampoline_kernelINS0_14default_configENS1_38merge_sort_block_merge_config_selectorIlNS0_10empty_typeEEEZZNS1_27merge_sort_block_merge_implIS3_PlPS5_mZN2at6native12_GLOBAL__N_124unique_dim_cuda_templateIiEESt5tupleIJNSA_6TensorESF_SF_EERKSF_lbbbEUlllE_EE10hipError_tT0_T1_T2_jT3_P12ihipStream_tbPNSt15iterator_traitsISL_E10value_typeEPNSR_ISM_E10value_typeEPSN_NS1_7vsmem_tEENKUlT_SL_SM_SN_E_clIS8_S8_S9_S9_EESK_S10_SL_SM_SN_EUlS10_E1_NS1_11comp_targetILNS1_3genE2ELNS1_11target_archE906ELNS1_3gpuE6ELNS1_3repE0EEENS1_36merge_oddeven_config_static_selectorELNS0_4arch9wavefront6targetE0EEEvSM_,comdat
	.globl	_ZN7rocprim17ROCPRIM_400000_NS6detail17trampoline_kernelINS0_14default_configENS1_38merge_sort_block_merge_config_selectorIlNS0_10empty_typeEEEZZNS1_27merge_sort_block_merge_implIS3_PlPS5_mZN2at6native12_GLOBAL__N_124unique_dim_cuda_templateIiEESt5tupleIJNSA_6TensorESF_SF_EERKSF_lbbbEUlllE_EE10hipError_tT0_T1_T2_jT3_P12ihipStream_tbPNSt15iterator_traitsISL_E10value_typeEPNSR_ISM_E10value_typeEPSN_NS1_7vsmem_tEENKUlT_SL_SM_SN_E_clIS8_S8_S9_S9_EESK_S10_SL_SM_SN_EUlS10_E1_NS1_11comp_targetILNS1_3genE2ELNS1_11target_archE906ELNS1_3gpuE6ELNS1_3repE0EEENS1_36merge_oddeven_config_static_selectorELNS0_4arch9wavefront6targetE0EEEvSM_ ; -- Begin function _ZN7rocprim17ROCPRIM_400000_NS6detail17trampoline_kernelINS0_14default_configENS1_38merge_sort_block_merge_config_selectorIlNS0_10empty_typeEEEZZNS1_27merge_sort_block_merge_implIS3_PlPS5_mZN2at6native12_GLOBAL__N_124unique_dim_cuda_templateIiEESt5tupleIJNSA_6TensorESF_SF_EERKSF_lbbbEUlllE_EE10hipError_tT0_T1_T2_jT3_P12ihipStream_tbPNSt15iterator_traitsISL_E10value_typeEPNSR_ISM_E10value_typeEPSN_NS1_7vsmem_tEENKUlT_SL_SM_SN_E_clIS8_S8_S9_S9_EESK_S10_SL_SM_SN_EUlS10_E1_NS1_11comp_targetILNS1_3genE2ELNS1_11target_archE906ELNS1_3gpuE6ELNS1_3repE0EEENS1_36merge_oddeven_config_static_selectorELNS0_4arch9wavefront6targetE0EEEvSM_
	.p2align	8
	.type	_ZN7rocprim17ROCPRIM_400000_NS6detail17trampoline_kernelINS0_14default_configENS1_38merge_sort_block_merge_config_selectorIlNS0_10empty_typeEEEZZNS1_27merge_sort_block_merge_implIS3_PlPS5_mZN2at6native12_GLOBAL__N_124unique_dim_cuda_templateIiEESt5tupleIJNSA_6TensorESF_SF_EERKSF_lbbbEUlllE_EE10hipError_tT0_T1_T2_jT3_P12ihipStream_tbPNSt15iterator_traitsISL_E10value_typeEPNSR_ISM_E10value_typeEPSN_NS1_7vsmem_tEENKUlT_SL_SM_SN_E_clIS8_S8_S9_S9_EESK_S10_SL_SM_SN_EUlS10_E1_NS1_11comp_targetILNS1_3genE2ELNS1_11target_archE906ELNS1_3gpuE6ELNS1_3repE0EEENS1_36merge_oddeven_config_static_selectorELNS0_4arch9wavefront6targetE0EEEvSM_,@function
_ZN7rocprim17ROCPRIM_400000_NS6detail17trampoline_kernelINS0_14default_configENS1_38merge_sort_block_merge_config_selectorIlNS0_10empty_typeEEEZZNS1_27merge_sort_block_merge_implIS3_PlPS5_mZN2at6native12_GLOBAL__N_124unique_dim_cuda_templateIiEESt5tupleIJNSA_6TensorESF_SF_EERKSF_lbbbEUlllE_EE10hipError_tT0_T1_T2_jT3_P12ihipStream_tbPNSt15iterator_traitsISL_E10value_typeEPNSR_ISM_E10value_typeEPSN_NS1_7vsmem_tEENKUlT_SL_SM_SN_E_clIS8_S8_S9_S9_EESK_S10_SL_SM_SN_EUlS10_E1_NS1_11comp_targetILNS1_3genE2ELNS1_11target_archE906ELNS1_3gpuE6ELNS1_3repE0EEENS1_36merge_oddeven_config_static_selectorELNS0_4arch9wavefront6targetE0EEEvSM_: ; @_ZN7rocprim17ROCPRIM_400000_NS6detail17trampoline_kernelINS0_14default_configENS1_38merge_sort_block_merge_config_selectorIlNS0_10empty_typeEEEZZNS1_27merge_sort_block_merge_implIS3_PlPS5_mZN2at6native12_GLOBAL__N_124unique_dim_cuda_templateIiEESt5tupleIJNSA_6TensorESF_SF_EERKSF_lbbbEUlllE_EE10hipError_tT0_T1_T2_jT3_P12ihipStream_tbPNSt15iterator_traitsISL_E10value_typeEPNSR_ISM_E10value_typeEPSN_NS1_7vsmem_tEENKUlT_SL_SM_SN_E_clIS8_S8_S9_S9_EESK_S10_SL_SM_SN_EUlS10_E1_NS1_11comp_targetILNS1_3genE2ELNS1_11target_archE906ELNS1_3gpuE6ELNS1_3repE0EEENS1_36merge_oddeven_config_static_selectorELNS0_4arch9wavefront6targetE0EEEvSM_
; %bb.0:
	.section	.rodata,"a",@progbits
	.p2align	6, 0x0
	.amdhsa_kernel _ZN7rocprim17ROCPRIM_400000_NS6detail17trampoline_kernelINS0_14default_configENS1_38merge_sort_block_merge_config_selectorIlNS0_10empty_typeEEEZZNS1_27merge_sort_block_merge_implIS3_PlPS5_mZN2at6native12_GLOBAL__N_124unique_dim_cuda_templateIiEESt5tupleIJNSA_6TensorESF_SF_EERKSF_lbbbEUlllE_EE10hipError_tT0_T1_T2_jT3_P12ihipStream_tbPNSt15iterator_traitsISL_E10value_typeEPNSR_ISM_E10value_typeEPSN_NS1_7vsmem_tEENKUlT_SL_SM_SN_E_clIS8_S8_S9_S9_EESK_S10_SL_SM_SN_EUlS10_E1_NS1_11comp_targetILNS1_3genE2ELNS1_11target_archE906ELNS1_3gpuE6ELNS1_3repE0EEENS1_36merge_oddeven_config_static_selectorELNS0_4arch9wavefront6targetE0EEEvSM_
		.amdhsa_group_segment_fixed_size 0
		.amdhsa_private_segment_fixed_size 0
		.amdhsa_kernarg_size 64
		.amdhsa_user_sgpr_count 15
		.amdhsa_user_sgpr_dispatch_ptr 0
		.amdhsa_user_sgpr_queue_ptr 0
		.amdhsa_user_sgpr_kernarg_segment_ptr 1
		.amdhsa_user_sgpr_dispatch_id 0
		.amdhsa_user_sgpr_private_segment_size 0
		.amdhsa_wavefront_size32 1
		.amdhsa_uses_dynamic_stack 0
		.amdhsa_enable_private_segment 0
		.amdhsa_system_sgpr_workgroup_id_x 1
		.amdhsa_system_sgpr_workgroup_id_y 0
		.amdhsa_system_sgpr_workgroup_id_z 0
		.amdhsa_system_sgpr_workgroup_info 0
		.amdhsa_system_vgpr_workitem_id 0
		.amdhsa_next_free_vgpr 1
		.amdhsa_next_free_sgpr 1
		.amdhsa_reserve_vcc 0
		.amdhsa_float_round_mode_32 0
		.amdhsa_float_round_mode_16_64 0
		.amdhsa_float_denorm_mode_32 3
		.amdhsa_float_denorm_mode_16_64 3
		.amdhsa_dx10_clamp 1
		.amdhsa_ieee_mode 1
		.amdhsa_fp16_overflow 0
		.amdhsa_workgroup_processor_mode 1
		.amdhsa_memory_ordered 1
		.amdhsa_forward_progress 0
		.amdhsa_shared_vgpr_count 0
		.amdhsa_exception_fp_ieee_invalid_op 0
		.amdhsa_exception_fp_denorm_src 0
		.amdhsa_exception_fp_ieee_div_zero 0
		.amdhsa_exception_fp_ieee_overflow 0
		.amdhsa_exception_fp_ieee_underflow 0
		.amdhsa_exception_fp_ieee_inexact 0
		.amdhsa_exception_int_div_zero 0
	.end_amdhsa_kernel
	.section	.text._ZN7rocprim17ROCPRIM_400000_NS6detail17trampoline_kernelINS0_14default_configENS1_38merge_sort_block_merge_config_selectorIlNS0_10empty_typeEEEZZNS1_27merge_sort_block_merge_implIS3_PlPS5_mZN2at6native12_GLOBAL__N_124unique_dim_cuda_templateIiEESt5tupleIJNSA_6TensorESF_SF_EERKSF_lbbbEUlllE_EE10hipError_tT0_T1_T2_jT3_P12ihipStream_tbPNSt15iterator_traitsISL_E10value_typeEPNSR_ISM_E10value_typeEPSN_NS1_7vsmem_tEENKUlT_SL_SM_SN_E_clIS8_S8_S9_S9_EESK_S10_SL_SM_SN_EUlS10_E1_NS1_11comp_targetILNS1_3genE2ELNS1_11target_archE906ELNS1_3gpuE6ELNS1_3repE0EEENS1_36merge_oddeven_config_static_selectorELNS0_4arch9wavefront6targetE0EEEvSM_,"axG",@progbits,_ZN7rocprim17ROCPRIM_400000_NS6detail17trampoline_kernelINS0_14default_configENS1_38merge_sort_block_merge_config_selectorIlNS0_10empty_typeEEEZZNS1_27merge_sort_block_merge_implIS3_PlPS5_mZN2at6native12_GLOBAL__N_124unique_dim_cuda_templateIiEESt5tupleIJNSA_6TensorESF_SF_EERKSF_lbbbEUlllE_EE10hipError_tT0_T1_T2_jT3_P12ihipStream_tbPNSt15iterator_traitsISL_E10value_typeEPNSR_ISM_E10value_typeEPSN_NS1_7vsmem_tEENKUlT_SL_SM_SN_E_clIS8_S8_S9_S9_EESK_S10_SL_SM_SN_EUlS10_E1_NS1_11comp_targetILNS1_3genE2ELNS1_11target_archE906ELNS1_3gpuE6ELNS1_3repE0EEENS1_36merge_oddeven_config_static_selectorELNS0_4arch9wavefront6targetE0EEEvSM_,comdat
.Lfunc_end413:
	.size	_ZN7rocprim17ROCPRIM_400000_NS6detail17trampoline_kernelINS0_14default_configENS1_38merge_sort_block_merge_config_selectorIlNS0_10empty_typeEEEZZNS1_27merge_sort_block_merge_implIS3_PlPS5_mZN2at6native12_GLOBAL__N_124unique_dim_cuda_templateIiEESt5tupleIJNSA_6TensorESF_SF_EERKSF_lbbbEUlllE_EE10hipError_tT0_T1_T2_jT3_P12ihipStream_tbPNSt15iterator_traitsISL_E10value_typeEPNSR_ISM_E10value_typeEPSN_NS1_7vsmem_tEENKUlT_SL_SM_SN_E_clIS8_S8_S9_S9_EESK_S10_SL_SM_SN_EUlS10_E1_NS1_11comp_targetILNS1_3genE2ELNS1_11target_archE906ELNS1_3gpuE6ELNS1_3repE0EEENS1_36merge_oddeven_config_static_selectorELNS0_4arch9wavefront6targetE0EEEvSM_, .Lfunc_end413-_ZN7rocprim17ROCPRIM_400000_NS6detail17trampoline_kernelINS0_14default_configENS1_38merge_sort_block_merge_config_selectorIlNS0_10empty_typeEEEZZNS1_27merge_sort_block_merge_implIS3_PlPS5_mZN2at6native12_GLOBAL__N_124unique_dim_cuda_templateIiEESt5tupleIJNSA_6TensorESF_SF_EERKSF_lbbbEUlllE_EE10hipError_tT0_T1_T2_jT3_P12ihipStream_tbPNSt15iterator_traitsISL_E10value_typeEPNSR_ISM_E10value_typeEPSN_NS1_7vsmem_tEENKUlT_SL_SM_SN_E_clIS8_S8_S9_S9_EESK_S10_SL_SM_SN_EUlS10_E1_NS1_11comp_targetILNS1_3genE2ELNS1_11target_archE906ELNS1_3gpuE6ELNS1_3repE0EEENS1_36merge_oddeven_config_static_selectorELNS0_4arch9wavefront6targetE0EEEvSM_
                                        ; -- End function
	.section	.AMDGPU.csdata,"",@progbits
; Kernel info:
; codeLenInByte = 0
; NumSgprs: 0
; NumVgprs: 0
; ScratchSize: 0
; MemoryBound: 0
; FloatMode: 240
; IeeeMode: 1
; LDSByteSize: 0 bytes/workgroup (compile time only)
; SGPRBlocks: 0
; VGPRBlocks: 0
; NumSGPRsForWavesPerEU: 1
; NumVGPRsForWavesPerEU: 1
; Occupancy: 16
; WaveLimiterHint : 0
; COMPUTE_PGM_RSRC2:SCRATCH_EN: 0
; COMPUTE_PGM_RSRC2:USER_SGPR: 15
; COMPUTE_PGM_RSRC2:TRAP_HANDLER: 0
; COMPUTE_PGM_RSRC2:TGID_X_EN: 1
; COMPUTE_PGM_RSRC2:TGID_Y_EN: 0
; COMPUTE_PGM_RSRC2:TGID_Z_EN: 0
; COMPUTE_PGM_RSRC2:TIDIG_COMP_CNT: 0
	.section	.text._ZN7rocprim17ROCPRIM_400000_NS6detail17trampoline_kernelINS0_14default_configENS1_38merge_sort_block_merge_config_selectorIlNS0_10empty_typeEEEZZNS1_27merge_sort_block_merge_implIS3_PlPS5_mZN2at6native12_GLOBAL__N_124unique_dim_cuda_templateIiEESt5tupleIJNSA_6TensorESF_SF_EERKSF_lbbbEUlllE_EE10hipError_tT0_T1_T2_jT3_P12ihipStream_tbPNSt15iterator_traitsISL_E10value_typeEPNSR_ISM_E10value_typeEPSN_NS1_7vsmem_tEENKUlT_SL_SM_SN_E_clIS8_S8_S9_S9_EESK_S10_SL_SM_SN_EUlS10_E1_NS1_11comp_targetILNS1_3genE9ELNS1_11target_archE1100ELNS1_3gpuE3ELNS1_3repE0EEENS1_36merge_oddeven_config_static_selectorELNS0_4arch9wavefront6targetE0EEEvSM_,"axG",@progbits,_ZN7rocprim17ROCPRIM_400000_NS6detail17trampoline_kernelINS0_14default_configENS1_38merge_sort_block_merge_config_selectorIlNS0_10empty_typeEEEZZNS1_27merge_sort_block_merge_implIS3_PlPS5_mZN2at6native12_GLOBAL__N_124unique_dim_cuda_templateIiEESt5tupleIJNSA_6TensorESF_SF_EERKSF_lbbbEUlllE_EE10hipError_tT0_T1_T2_jT3_P12ihipStream_tbPNSt15iterator_traitsISL_E10value_typeEPNSR_ISM_E10value_typeEPSN_NS1_7vsmem_tEENKUlT_SL_SM_SN_E_clIS8_S8_S9_S9_EESK_S10_SL_SM_SN_EUlS10_E1_NS1_11comp_targetILNS1_3genE9ELNS1_11target_archE1100ELNS1_3gpuE3ELNS1_3repE0EEENS1_36merge_oddeven_config_static_selectorELNS0_4arch9wavefront6targetE0EEEvSM_,comdat
	.globl	_ZN7rocprim17ROCPRIM_400000_NS6detail17trampoline_kernelINS0_14default_configENS1_38merge_sort_block_merge_config_selectorIlNS0_10empty_typeEEEZZNS1_27merge_sort_block_merge_implIS3_PlPS5_mZN2at6native12_GLOBAL__N_124unique_dim_cuda_templateIiEESt5tupleIJNSA_6TensorESF_SF_EERKSF_lbbbEUlllE_EE10hipError_tT0_T1_T2_jT3_P12ihipStream_tbPNSt15iterator_traitsISL_E10value_typeEPNSR_ISM_E10value_typeEPSN_NS1_7vsmem_tEENKUlT_SL_SM_SN_E_clIS8_S8_S9_S9_EESK_S10_SL_SM_SN_EUlS10_E1_NS1_11comp_targetILNS1_3genE9ELNS1_11target_archE1100ELNS1_3gpuE3ELNS1_3repE0EEENS1_36merge_oddeven_config_static_selectorELNS0_4arch9wavefront6targetE0EEEvSM_ ; -- Begin function _ZN7rocprim17ROCPRIM_400000_NS6detail17trampoline_kernelINS0_14default_configENS1_38merge_sort_block_merge_config_selectorIlNS0_10empty_typeEEEZZNS1_27merge_sort_block_merge_implIS3_PlPS5_mZN2at6native12_GLOBAL__N_124unique_dim_cuda_templateIiEESt5tupleIJNSA_6TensorESF_SF_EERKSF_lbbbEUlllE_EE10hipError_tT0_T1_T2_jT3_P12ihipStream_tbPNSt15iterator_traitsISL_E10value_typeEPNSR_ISM_E10value_typeEPSN_NS1_7vsmem_tEENKUlT_SL_SM_SN_E_clIS8_S8_S9_S9_EESK_S10_SL_SM_SN_EUlS10_E1_NS1_11comp_targetILNS1_3genE9ELNS1_11target_archE1100ELNS1_3gpuE3ELNS1_3repE0EEENS1_36merge_oddeven_config_static_selectorELNS0_4arch9wavefront6targetE0EEEvSM_
	.p2align	8
	.type	_ZN7rocprim17ROCPRIM_400000_NS6detail17trampoline_kernelINS0_14default_configENS1_38merge_sort_block_merge_config_selectorIlNS0_10empty_typeEEEZZNS1_27merge_sort_block_merge_implIS3_PlPS5_mZN2at6native12_GLOBAL__N_124unique_dim_cuda_templateIiEESt5tupleIJNSA_6TensorESF_SF_EERKSF_lbbbEUlllE_EE10hipError_tT0_T1_T2_jT3_P12ihipStream_tbPNSt15iterator_traitsISL_E10value_typeEPNSR_ISM_E10value_typeEPSN_NS1_7vsmem_tEENKUlT_SL_SM_SN_E_clIS8_S8_S9_S9_EESK_S10_SL_SM_SN_EUlS10_E1_NS1_11comp_targetILNS1_3genE9ELNS1_11target_archE1100ELNS1_3gpuE3ELNS1_3repE0EEENS1_36merge_oddeven_config_static_selectorELNS0_4arch9wavefront6targetE0EEEvSM_,@function
_ZN7rocprim17ROCPRIM_400000_NS6detail17trampoline_kernelINS0_14default_configENS1_38merge_sort_block_merge_config_selectorIlNS0_10empty_typeEEEZZNS1_27merge_sort_block_merge_implIS3_PlPS5_mZN2at6native12_GLOBAL__N_124unique_dim_cuda_templateIiEESt5tupleIJNSA_6TensorESF_SF_EERKSF_lbbbEUlllE_EE10hipError_tT0_T1_T2_jT3_P12ihipStream_tbPNSt15iterator_traitsISL_E10value_typeEPNSR_ISM_E10value_typeEPSN_NS1_7vsmem_tEENKUlT_SL_SM_SN_E_clIS8_S8_S9_S9_EESK_S10_SL_SM_SN_EUlS10_E1_NS1_11comp_targetILNS1_3genE9ELNS1_11target_archE1100ELNS1_3gpuE3ELNS1_3repE0EEENS1_36merge_oddeven_config_static_selectorELNS0_4arch9wavefront6targetE0EEEvSM_: ; @_ZN7rocprim17ROCPRIM_400000_NS6detail17trampoline_kernelINS0_14default_configENS1_38merge_sort_block_merge_config_selectorIlNS0_10empty_typeEEEZZNS1_27merge_sort_block_merge_implIS3_PlPS5_mZN2at6native12_GLOBAL__N_124unique_dim_cuda_templateIiEESt5tupleIJNSA_6TensorESF_SF_EERKSF_lbbbEUlllE_EE10hipError_tT0_T1_T2_jT3_P12ihipStream_tbPNSt15iterator_traitsISL_E10value_typeEPNSR_ISM_E10value_typeEPSN_NS1_7vsmem_tEENKUlT_SL_SM_SN_E_clIS8_S8_S9_S9_EESK_S10_SL_SM_SN_EUlS10_E1_NS1_11comp_targetILNS1_3genE9ELNS1_11target_archE1100ELNS1_3gpuE3ELNS1_3repE0EEENS1_36merge_oddeven_config_static_selectorELNS0_4arch9wavefront6targetE0EEEvSM_
; %bb.0:
	s_load_b32 s3, s[0:1], 0x20
	s_waitcnt lgkmcnt(0)
	s_lshr_b32 s2, s3, 8
	s_delay_alu instid0(SALU_CYCLE_1) | instskip(SKIP_4) | instid1(SALU_CYCLE_1)
	s_cmp_lg_u32 s15, s2
	s_cselect_b32 s8, -1, 0
	s_cmp_eq_u32 s15, s2
	s_cselect_b32 s14, -1, 0
	s_lshl_b32 s12, s15, 8
	s_sub_i32 s2, s3, s12
	s_delay_alu instid0(SALU_CYCLE_1) | instskip(NEXT) | instid1(VALU_DEP_1)
	v_cmp_gt_u32_e64 s2, s2, v0
	s_or_b32 s4, s8, s2
	s_delay_alu instid0(SALU_CYCLE_1)
	s_and_saveexec_b32 s5, s4
	s_cbranch_execz .LBB414_54
; %bb.1:
	s_clause 0x1
	s_load_b128 s[4:7], s[0:1], 0x0
	s_load_b32 s18, s[0:1], 0x28
	s_mov_b32 s13, 0
	v_lshlrev_b32_e32 v1, 3, v0
	s_lshl_b64 s[10:11], s[12:13], 3
	s_waitcnt lgkmcnt(0)
	s_add_u32 s10, s4, s10
	s_addc_u32 s11, s5, s11
	s_lshr_b32 s9, s18, 8
	global_load_b64 v[1:2], v1, s[10:11]
	s_sub_i32 s10, 0, s9
	s_delay_alu instid0(SALU_CYCLE_1) | instskip(NEXT) | instid1(SALU_CYCLE_1)
	s_and_b32 s10, s15, s10
	s_and_b32 s9, s10, s9
	s_delay_alu instid0(SALU_CYCLE_1)
	s_cmp_lg_u32 s9, 0
	s_cselect_b32 s16, -1, 0
	s_lshl_b32 s15, s10, 8
	s_sub_i32 s10, 0, s18
	s_cmp_eq_u32 s9, 0
	s_cselect_b32 s17, s18, s10
	s_delay_alu instid0(SALU_CYCLE_1) | instskip(NEXT) | instid1(SALU_CYCLE_1)
	s_add_i32 s17, s17, s15
	s_cmp_lt_u32 s17, s3
	s_cbranch_scc1 .LBB414_3
; %bb.2:
	v_add_nc_u32_e32 v3, s12, v0
	s_delay_alu instid0(VALU_DEP_1) | instskip(SKIP_1) | instid1(SALU_CYCLE_1)
	v_cmp_gt_u32_e32 vcc_lo, s3, v3
	s_or_b32 s9, vcc_lo, s8
	s_and_b32 s13, s9, exec_lo
	s_cbranch_execz .LBB414_4
	s_branch .LBB414_52
.LBB414_3:
                                        ; implicit-def: $vgpr3
.LBB414_4:
	s_load_b128 s[8:11], s[0:1], 0x30
	v_add_nc_u32_e32 v0, s12, v0
	s_min_u32 s1, s17, s3
	s_and_b32 vcc_lo, exec_lo, s14
	s_add_i32 s0, s15, s1
	s_add_i32 s12, s1, s18
	v_subrev_nc_u32_e32 v0, s0, v0
	s_min_u32 s0, s15, s1
	s_min_u32 s12, s12, s3
	s_delay_alu instid0(VALU_DEP_1)
	v_add_nc_u32_e32 v0, s0, v0
	s_cbranch_vccz .LBB414_26
; %bb.5:
                                        ; implicit-def: $vgpr3
	s_and_saveexec_b32 s18, s2
	s_cbranch_execz .LBB414_29
; %bb.6:
	v_mov_b32_e32 v13, s1
	s_cmp_ge_u32 s17, s12
	s_cbranch_scc1 .LBB414_28
; %bb.7:
	s_waitcnt vmcnt(0) lgkmcnt(0)
	v_mul_lo_u32 v5, v2, s8
	v_mul_lo_u32 v6, v1, s9
	v_mad_u64_u32 v[3:4], null, v1, s8, 0
	v_cmp_gt_i64_e64 s19, s[8:9], 0
	v_dual_mov_b32 v14, s12 :: v_dual_mov_b32 v13, s1
	s_lshl_b64 s[2:3], s[8:9], 2
	s_mov_b32 s20, 0
	s_delay_alu instid0(VALU_DEP_3) | instskip(NEXT) | instid1(VALU_DEP_1)
	v_add3_u32 v4, v4, v6, v5
	v_lshlrev_b64 v[5:6], 2, v[3:4]
	v_mov_b32_e32 v4, 0
	s_delay_alu instid0(VALU_DEP_2) | instskip(NEXT) | instid1(VALU_DEP_3)
	v_add_co_u32 v5, vcc_lo, s10, v5
	v_add_co_ci_u32_e32 v6, vcc_lo, s11, v6, vcc_lo
	s_branch .LBB414_10
.LBB414_8:                              ;   in Loop: Header=BB414_10 Depth=1
	s_set_inst_prefetch_distance 0x2
	s_or_b32 exec_lo, exec_lo, s22
.LBB414_9:                              ;   in Loop: Header=BB414_10 Depth=1
	s_waitcnt vmcnt(0)
	v_add_nc_u32_e32 v7, 1, v3
	v_cndmask_b32_e64 v14, v3, v14, s21
	s_delay_alu instid0(VALU_DEP_2) | instskip(NEXT) | instid1(VALU_DEP_1)
	v_cndmask_b32_e64 v13, v13, v7, s21
	v_cmp_ge_u32_e32 vcc_lo, v13, v14
	s_or_b32 s20, vcc_lo, s20
	s_delay_alu instid0(SALU_CYCLE_1)
	s_and_not1_b32 exec_lo, exec_lo, s20
	s_cbranch_execz .LBB414_27
.LBB414_10:                             ; =>This Loop Header: Depth=1
                                        ;     Child Loop BB414_14 Depth 2
                                        ;     Child Loop BB414_23 Depth 2
	v_add_nc_u32_e32 v3, v13, v14
	s_mov_b32 s0, -1
                                        ; implicit-def: $sgpr21
	s_delay_alu instid0(VALU_DEP_1) | instskip(NEXT) | instid1(VALU_DEP_1)
	v_lshrrev_b32_e32 v3, 1, v3
	v_lshlrev_b64 v[7:8], 3, v[3:4]
	s_delay_alu instid0(VALU_DEP_1) | instskip(NEXT) | instid1(VALU_DEP_2)
	v_add_co_u32 v7, vcc_lo, s4, v7
	v_add_co_ci_u32_e32 v8, vcc_lo, s5, v8, vcc_lo
	s_and_not1_b32 vcc_lo, exec_lo, s16
	global_load_b64 v[7:8], v[7:8], off
	s_cbranch_vccnz .LBB414_19
; %bb.11:                               ;   in Loop: Header=BB414_10 Depth=1
	s_and_not1_b32 vcc_lo, exec_lo, s19
	s_cbranch_vccnz .LBB414_17
; %bb.12:                               ;   in Loop: Header=BB414_10 Depth=1
	s_waitcnt vmcnt(0)
	v_mad_u64_u32 v[9:10], null, s2, v7, s[10:11]
	v_mul_lo_u32 v11, s2, v8
	v_mul_lo_u32 v12, s3, v7
	s_mov_b32 s22, 0
	s_mov_b64 s[14:15], s[8:9]
                                        ; implicit-def: $sgpr21
                                        ; implicit-def: $sgpr23
                                        ; implicit-def: $sgpr24
                                        ; implicit-def: $sgpr25
                                        ; implicit-def: $sgpr26
	s_delay_alu instid0(VALU_DEP_1)
	v_add3_u32 v10, v12, v10, v11
	v_dual_mov_b32 v12, v6 :: v_dual_mov_b32 v11, v5
	s_set_inst_prefetch_distance 0x1
	s_branch .LBB414_14
	.p2align	6
.LBB414_13:                             ;   in Loop: Header=BB414_14 Depth=2
	s_or_b32 exec_lo, exec_lo, s0
	s_delay_alu instid0(SALU_CYCLE_1) | instskip(NEXT) | instid1(SALU_CYCLE_1)
	s_and_b32 s0, exec_lo, s23
	s_or_b32 s22, s0, s22
	s_and_not1_b32 s0, s26, exec_lo
	s_and_b32 s26, s24, exec_lo
	s_and_not1_b32 s21, s21, exec_lo
	s_and_b32 s27, s25, exec_lo
	s_or_b32 s26, s0, s26
	s_or_b32 s21, s21, s27
	s_and_not1_b32 exec_lo, exec_lo, s22
	s_cbranch_execz .LBB414_16
.LBB414_14:                             ;   Parent Loop BB414_10 Depth=1
                                        ; =>  This Inner Loop Header: Depth=2
	global_load_b32 v15, v[11:12], off
	global_load_b32 v16, v[9:10], off
	s_and_not1_b32 s25, s25, exec_lo
	s_and_not1_b32 s24, s24, exec_lo
	s_or_b32 s23, s23, exec_lo
	s_waitcnt vmcnt(0)
	v_cmp_le_i32_e32 vcc_lo, v15, v16
	v_cmp_lt_i32_e64 s0, v15, v16
	s_and_b32 s27, vcc_lo, s26
	s_delay_alu instid0(VALU_DEP_1) | instid1(SALU_CYCLE_1)
	s_or_b32 s27, s0, s27
	s_delay_alu instid0(SALU_CYCLE_1) | instskip(NEXT) | instid1(SALU_CYCLE_1)
	s_and_b32 s0, s27, exec_lo
	s_or_b32 s25, s25, s0
	s_mov_b32 s0, exec_lo
	v_cmpx_eq_u32_e64 v15, v16
	s_cbranch_execz .LBB414_13
; %bb.15:                               ;   in Loop: Header=BB414_14 Depth=2
	s_add_u32 s14, s14, -1
	s_addc_u32 s15, s15, -1
	v_add_co_u32 v11, vcc_lo, v11, 4
	s_cmp_eq_u64 s[14:15], 0
	v_add_co_ci_u32_e32 v12, vcc_lo, 0, v12, vcc_lo
	s_cselect_b32 s26, -1, 0
	v_add_co_u32 v9, vcc_lo, v9, 4
	s_and_not1_b32 s24, s24, exec_lo
	s_and_b32 s27, s27, exec_lo
	s_and_not1_b32 s23, s23, exec_lo
	s_and_b32 s26, s26, exec_lo
	v_add_co_ci_u32_e32 v10, vcc_lo, 0, v10, vcc_lo
	s_and_not1_b32 s25, s25, exec_lo
	s_or_b32 s24, s24, s27
	s_or_b32 s23, s23, s26
                                        ; implicit-def: $sgpr26
	s_branch .LBB414_13
.LBB414_16:                             ;   in Loop: Header=BB414_10 Depth=1
	s_set_inst_prefetch_distance 0x2
	s_or_b32 exec_lo, exec_lo, s22
	s_branch .LBB414_18
.LBB414_17:                             ;   in Loop: Header=BB414_10 Depth=1
	s_mov_b32 s21, 0
.LBB414_18:                             ;   in Loop: Header=BB414_10 Depth=1
	s_delay_alu instid0(SALU_CYCLE_1)
	s_xor_b32 s21, s21, -1
	s_mov_b32 s0, 0
.LBB414_19:                             ;   in Loop: Header=BB414_10 Depth=1
	s_delay_alu instid0(SALU_CYCLE_1)
	s_and_b32 vcc_lo, exec_lo, s0
	s_cbranch_vccz .LBB414_9
; %bb.20:                               ;   in Loop: Header=BB414_10 Depth=1
	s_and_not1_b32 vcc_lo, exec_lo, s19
	s_cbranch_vccnz .LBB414_25
; %bb.21:                               ;   in Loop: Header=BB414_10 Depth=1
	s_waitcnt vmcnt(0)
	v_mad_u64_u32 v[9:10], null, s2, v7, s[10:11]
	v_mul_lo_u32 v8, s2, v8
	v_mul_lo_u32 v7, s3, v7
	s_mov_b32 s22, 0
	s_mov_b64 s[14:15], s[8:9]
                                        ; implicit-def: $sgpr21
                                        ; implicit-def: $sgpr23
                                        ; implicit-def: $sgpr24
                                        ; implicit-def: $sgpr25
                                        ; implicit-def: $sgpr26
	s_delay_alu instid0(VALU_DEP_1)
	v_add3_u32 v10, v7, v10, v8
	v_dual_mov_b32 v8, v6 :: v_dual_mov_b32 v7, v5
	s_set_inst_prefetch_distance 0x1
	s_branch .LBB414_23
	.p2align	6
.LBB414_22:                             ;   in Loop: Header=BB414_23 Depth=2
	s_or_b32 exec_lo, exec_lo, s0
	s_delay_alu instid0(SALU_CYCLE_1) | instskip(NEXT) | instid1(SALU_CYCLE_1)
	s_and_b32 s0, exec_lo, s23
	s_or_b32 s22, s0, s22
	s_and_not1_b32 s0, s26, exec_lo
	s_and_b32 s26, s24, exec_lo
	s_and_not1_b32 s21, s21, exec_lo
	s_and_b32 s27, s25, exec_lo
	s_or_b32 s26, s0, s26
	s_or_b32 s21, s21, s27
	s_and_not1_b32 exec_lo, exec_lo, s22
	s_cbranch_execz .LBB414_8
.LBB414_23:                             ;   Parent Loop BB414_10 Depth=1
                                        ; =>  This Inner Loop Header: Depth=2
	global_load_b32 v11, v[9:10], off
	global_load_b32 v12, v[7:8], off
	s_and_not1_b32 s25, s25, exec_lo
	s_and_not1_b32 s24, s24, exec_lo
	s_or_b32 s23, s23, exec_lo
	s_waitcnt vmcnt(0)
	v_cmp_le_i32_e32 vcc_lo, v11, v12
	v_cmp_lt_i32_e64 s0, v11, v12
	s_and_b32 s27, vcc_lo, s26
	s_delay_alu instid0(VALU_DEP_1) | instid1(SALU_CYCLE_1)
	s_or_b32 s27, s0, s27
	s_delay_alu instid0(SALU_CYCLE_1) | instskip(NEXT) | instid1(SALU_CYCLE_1)
	s_and_b32 s0, s27, exec_lo
	s_or_b32 s25, s25, s0
	s_mov_b32 s0, exec_lo
	v_cmpx_eq_u32_e64 v11, v12
	s_cbranch_execz .LBB414_22
; %bb.24:                               ;   in Loop: Header=BB414_23 Depth=2
	s_add_u32 s14, s14, -1
	s_addc_u32 s15, s15, -1
	v_add_co_u32 v9, vcc_lo, v9, 4
	s_cmp_eq_u64 s[14:15], 0
	v_add_co_ci_u32_e32 v10, vcc_lo, 0, v10, vcc_lo
	s_cselect_b32 s26, -1, 0
	v_add_co_u32 v7, vcc_lo, v7, 4
	s_and_not1_b32 s24, s24, exec_lo
	s_and_b32 s27, s27, exec_lo
	s_and_not1_b32 s23, s23, exec_lo
	s_and_b32 s26, s26, exec_lo
	v_add_co_ci_u32_e32 v8, vcc_lo, 0, v8, vcc_lo
	s_and_not1_b32 s25, s25, exec_lo
	s_or_b32 s24, s24, s27
	s_or_b32 s23, s23, s26
                                        ; implicit-def: $sgpr26
	s_branch .LBB414_22
.LBB414_25:                             ;   in Loop: Header=BB414_10 Depth=1
	s_mov_b32 s21, 0
	s_branch .LBB414_9
.LBB414_26:
                                        ; implicit-def: $vgpr3
	s_cbranch_execnz .LBB414_30
	s_branch .LBB414_52
.LBB414_27:
	s_or_b32 exec_lo, exec_lo, s20
.LBB414_28:
	s_delay_alu instid0(VALU_DEP_1)
	v_add_nc_u32_e32 v3, v13, v0
	s_or_b32 s13, s13, exec_lo
.LBB414_29:
	s_or_b32 exec_lo, exec_lo, s18
	s_branch .LBB414_52
.LBB414_30:
	v_mov_b32_e32 v13, s1
	s_cmp_ge_u32 s17, s12
	s_cbranch_scc1 .LBB414_51
; %bb.31:
	s_waitcnt vmcnt(0) lgkmcnt(0)
	v_mul_lo_u32 v5, v2, s8
	v_mul_lo_u32 v6, v1, s9
	v_mad_u64_u32 v[3:4], null, v1, s8, 0
	v_dual_mov_b32 v14, s12 :: v_dual_mov_b32 v13, s1
	v_cmp_gt_i64_e64 s1, s[8:9], 0
	s_lshl_b64 s[2:3], s[8:9], 2
	s_mov_b32 s14, 0
	s_delay_alu instid0(VALU_DEP_3) | instskip(NEXT) | instid1(VALU_DEP_2)
	v_add3_u32 v4, v4, v6, v5
	v_cndmask_b32_e64 v15, 0, 1, s1
	s_delay_alu instid0(VALU_DEP_2) | instskip(SKIP_1) | instid1(VALU_DEP_2)
	v_lshlrev_b64 v[5:6], 2, v[3:4]
	v_mov_b32_e32 v4, 0
	v_add_co_u32 v5, vcc_lo, s10, v5
	s_delay_alu instid0(VALU_DEP_3)
	v_add_co_ci_u32_e32 v6, vcc_lo, s11, v6, vcc_lo
	s_branch .LBB414_34
.LBB414_32:                             ;   in Loop: Header=BB414_34 Depth=1
	s_set_inst_prefetch_distance 0x2
	s_or_b32 exec_lo, exec_lo, s17
.LBB414_33:                             ;   in Loop: Header=BB414_34 Depth=1
	s_waitcnt vmcnt(0)
	v_add_nc_u32_e32 v7, 1, v3
	v_cndmask_b32_e64 v14, v3, v14, s15
	s_delay_alu instid0(VALU_DEP_2) | instskip(NEXT) | instid1(VALU_DEP_1)
	v_cndmask_b32_e64 v13, v13, v7, s15
	v_cmp_ge_u32_e32 vcc_lo, v13, v14
	s_or_b32 s14, vcc_lo, s14
	s_delay_alu instid0(SALU_CYCLE_1)
	s_and_not1_b32 exec_lo, exec_lo, s14
	s_cbranch_execz .LBB414_50
.LBB414_34:                             ; =>This Loop Header: Depth=1
                                        ;     Child Loop BB414_38 Depth 2
                                        ;     Child Loop BB414_47 Depth 2
	v_add_nc_u32_e32 v3, v13, v14
	v_cmp_ne_u32_e64 s0, 1, v15
	s_mov_b32 s12, -1
                                        ; implicit-def: $sgpr15
	s_delay_alu instid0(VALU_DEP_2) | instskip(NEXT) | instid1(VALU_DEP_1)
	v_lshrrev_b32_e32 v3, 1, v3
	v_lshlrev_b64 v[7:8], 3, v[3:4]
	s_delay_alu instid0(VALU_DEP_1) | instskip(NEXT) | instid1(VALU_DEP_2)
	v_add_co_u32 v7, vcc_lo, s4, v7
	v_add_co_ci_u32_e32 v8, vcc_lo, s5, v8, vcc_lo
	s_and_not1_b32 vcc_lo, exec_lo, s16
	global_load_b64 v[7:8], v[7:8], off
	s_cbranch_vccnz .LBB414_43
; %bb.35:                               ;   in Loop: Header=BB414_34 Depth=1
	s_and_b32 vcc_lo, exec_lo, s0
	s_cbranch_vccnz .LBB414_41
; %bb.36:                               ;   in Loop: Header=BB414_34 Depth=1
	s_waitcnt vmcnt(0)
	v_mad_u64_u32 v[9:10], null, s2, v7, s[10:11]
	v_mul_lo_u32 v11, s2, v8
	v_mul_lo_u32 v12, s3, v7
	s_mov_b32 s17, 0
	s_mov_b64 s[12:13], s[8:9]
                                        ; implicit-def: $sgpr15
                                        ; implicit-def: $sgpr18
                                        ; implicit-def: $sgpr19
                                        ; implicit-def: $sgpr20
                                        ; implicit-def: $sgpr21
	s_delay_alu instid0(VALU_DEP_1)
	v_add3_u32 v10, v12, v10, v11
	v_dual_mov_b32 v12, v6 :: v_dual_mov_b32 v11, v5
	s_set_inst_prefetch_distance 0x1
	s_branch .LBB414_38
	.p2align	6
.LBB414_37:                             ;   in Loop: Header=BB414_38 Depth=2
	s_or_b32 exec_lo, exec_lo, s0
	s_delay_alu instid0(SALU_CYCLE_1) | instskip(NEXT) | instid1(SALU_CYCLE_1)
	s_and_b32 s0, exec_lo, s18
	s_or_b32 s17, s0, s17
	s_and_not1_b32 s0, s21, exec_lo
	s_and_b32 s21, s19, exec_lo
	s_and_not1_b32 s15, s15, exec_lo
	s_and_b32 s22, s20, exec_lo
	s_or_b32 s21, s0, s21
	s_or_b32 s15, s15, s22
	s_and_not1_b32 exec_lo, exec_lo, s17
	s_cbranch_execz .LBB414_40
.LBB414_38:                             ;   Parent Loop BB414_34 Depth=1
                                        ; =>  This Inner Loop Header: Depth=2
	global_load_b32 v16, v[11:12], off
	global_load_b32 v17, v[9:10], off
	s_and_not1_b32 s20, s20, exec_lo
	s_and_not1_b32 s19, s19, exec_lo
	s_or_b32 s18, s18, exec_lo
	s_waitcnt vmcnt(0)
	v_cmp_le_i32_e32 vcc_lo, v16, v17
	v_cmp_lt_i32_e64 s0, v16, v17
	s_and_b32 s22, vcc_lo, s21
	s_delay_alu instid0(VALU_DEP_1) | instid1(SALU_CYCLE_1)
	s_or_b32 s22, s0, s22
	s_delay_alu instid0(SALU_CYCLE_1) | instskip(NEXT) | instid1(SALU_CYCLE_1)
	s_and_b32 s0, s22, exec_lo
	s_or_b32 s20, s20, s0
	s_mov_b32 s0, exec_lo
	v_cmpx_eq_u32_e64 v16, v17
	s_cbranch_execz .LBB414_37
; %bb.39:                               ;   in Loop: Header=BB414_38 Depth=2
	s_add_u32 s12, s12, -1
	s_addc_u32 s13, s13, -1
	v_add_co_u32 v11, vcc_lo, v11, 4
	s_cmp_eq_u64 s[12:13], 0
	v_add_co_ci_u32_e32 v12, vcc_lo, 0, v12, vcc_lo
	s_cselect_b32 s21, -1, 0
	v_add_co_u32 v9, vcc_lo, v9, 4
	s_and_not1_b32 s19, s19, exec_lo
	s_and_b32 s22, s22, exec_lo
	s_and_not1_b32 s18, s18, exec_lo
	s_and_b32 s21, s21, exec_lo
	v_add_co_ci_u32_e32 v10, vcc_lo, 0, v10, vcc_lo
	s_and_not1_b32 s20, s20, exec_lo
	s_or_b32 s19, s19, s22
	s_or_b32 s18, s18, s21
                                        ; implicit-def: $sgpr21
	s_branch .LBB414_37
.LBB414_40:                             ;   in Loop: Header=BB414_34 Depth=1
	s_set_inst_prefetch_distance 0x2
	s_or_b32 exec_lo, exec_lo, s17
	s_branch .LBB414_42
.LBB414_41:                             ;   in Loop: Header=BB414_34 Depth=1
	s_mov_b32 s15, 0
.LBB414_42:                             ;   in Loop: Header=BB414_34 Depth=1
	s_delay_alu instid0(SALU_CYCLE_1)
	s_xor_b32 s15, s15, -1
	s_mov_b32 s12, 0
.LBB414_43:                             ;   in Loop: Header=BB414_34 Depth=1
	s_delay_alu instid0(SALU_CYCLE_1)
	s_and_b32 vcc_lo, exec_lo, s12
	s_cbranch_vccz .LBB414_33
; %bb.44:                               ;   in Loop: Header=BB414_34 Depth=1
	s_and_not1_b32 vcc_lo, exec_lo, s1
	s_cbranch_vccnz .LBB414_49
; %bb.45:                               ;   in Loop: Header=BB414_34 Depth=1
	s_waitcnt vmcnt(0)
	v_mad_u64_u32 v[9:10], null, s2, v7, s[10:11]
	v_mul_lo_u32 v8, s2, v8
	v_mul_lo_u32 v7, s3, v7
	s_mov_b32 s17, 0
	s_mov_b64 s[12:13], s[8:9]
                                        ; implicit-def: $sgpr15
                                        ; implicit-def: $sgpr18
                                        ; implicit-def: $sgpr19
                                        ; implicit-def: $sgpr20
                                        ; implicit-def: $sgpr21
	s_delay_alu instid0(VALU_DEP_1)
	v_add3_u32 v10, v7, v10, v8
	v_dual_mov_b32 v8, v6 :: v_dual_mov_b32 v7, v5
	s_set_inst_prefetch_distance 0x1
	s_branch .LBB414_47
	.p2align	6
.LBB414_46:                             ;   in Loop: Header=BB414_47 Depth=2
	s_or_b32 exec_lo, exec_lo, s0
	s_delay_alu instid0(SALU_CYCLE_1) | instskip(NEXT) | instid1(SALU_CYCLE_1)
	s_and_b32 s0, exec_lo, s18
	s_or_b32 s17, s0, s17
	s_and_not1_b32 s0, s21, exec_lo
	s_and_b32 s21, s19, exec_lo
	s_and_not1_b32 s15, s15, exec_lo
	s_and_b32 s22, s20, exec_lo
	s_or_b32 s21, s0, s21
	s_or_b32 s15, s15, s22
	s_and_not1_b32 exec_lo, exec_lo, s17
	s_cbranch_execz .LBB414_32
.LBB414_47:                             ;   Parent Loop BB414_34 Depth=1
                                        ; =>  This Inner Loop Header: Depth=2
	global_load_b32 v11, v[9:10], off
	global_load_b32 v12, v[7:8], off
	s_and_not1_b32 s20, s20, exec_lo
	s_and_not1_b32 s19, s19, exec_lo
	s_or_b32 s18, s18, exec_lo
	s_waitcnt vmcnt(0)
	v_cmp_le_i32_e32 vcc_lo, v11, v12
	v_cmp_lt_i32_e64 s0, v11, v12
	s_and_b32 s22, vcc_lo, s21
	s_delay_alu instid0(VALU_DEP_1) | instid1(SALU_CYCLE_1)
	s_or_b32 s22, s0, s22
	s_delay_alu instid0(SALU_CYCLE_1) | instskip(NEXT) | instid1(SALU_CYCLE_1)
	s_and_b32 s0, s22, exec_lo
	s_or_b32 s20, s20, s0
	s_mov_b32 s0, exec_lo
	v_cmpx_eq_u32_e64 v11, v12
	s_cbranch_execz .LBB414_46
; %bb.48:                               ;   in Loop: Header=BB414_47 Depth=2
	s_add_u32 s12, s12, -1
	s_addc_u32 s13, s13, -1
	v_add_co_u32 v9, vcc_lo, v9, 4
	s_cmp_eq_u64 s[12:13], 0
	v_add_co_ci_u32_e32 v10, vcc_lo, 0, v10, vcc_lo
	s_cselect_b32 s21, -1, 0
	v_add_co_u32 v7, vcc_lo, v7, 4
	s_and_not1_b32 s19, s19, exec_lo
	s_and_b32 s22, s22, exec_lo
	s_and_not1_b32 s18, s18, exec_lo
	s_and_b32 s21, s21, exec_lo
	v_add_co_ci_u32_e32 v8, vcc_lo, 0, v8, vcc_lo
	s_and_not1_b32 s20, s20, exec_lo
	s_or_b32 s19, s19, s22
	s_or_b32 s18, s18, s21
                                        ; implicit-def: $sgpr21
	s_branch .LBB414_46
.LBB414_49:                             ;   in Loop: Header=BB414_34 Depth=1
	s_mov_b32 s15, 0
	s_branch .LBB414_33
.LBB414_50:
	s_or_b32 exec_lo, exec_lo, s14
.LBB414_51:
	s_delay_alu instid0(VALU_DEP_1)
	v_add_nc_u32_e32 v3, v13, v0
	s_mov_b32 s13, -1
.LBB414_52:
	s_delay_alu instid0(SALU_CYCLE_1)
	s_and_b32 exec_lo, exec_lo, s13
	s_cbranch_execz .LBB414_54
; %bb.53:
	v_mov_b32_e32 v4, 0
	s_delay_alu instid0(VALU_DEP_1) | instskip(NEXT) | instid1(VALU_DEP_1)
	v_lshlrev_b64 v[3:4], 3, v[3:4]
	v_add_co_u32 v3, vcc_lo, s6, v3
	s_delay_alu instid0(VALU_DEP_2)
	v_add_co_ci_u32_e32 v4, vcc_lo, s7, v4, vcc_lo
	s_waitcnt vmcnt(0)
	global_store_b64 v[3:4], v[1:2], off
.LBB414_54:
	s_nop 0
	s_sendmsg sendmsg(MSG_DEALLOC_VGPRS)
	s_endpgm
	.section	.rodata,"a",@progbits
	.p2align	6, 0x0
	.amdhsa_kernel _ZN7rocprim17ROCPRIM_400000_NS6detail17trampoline_kernelINS0_14default_configENS1_38merge_sort_block_merge_config_selectorIlNS0_10empty_typeEEEZZNS1_27merge_sort_block_merge_implIS3_PlPS5_mZN2at6native12_GLOBAL__N_124unique_dim_cuda_templateIiEESt5tupleIJNSA_6TensorESF_SF_EERKSF_lbbbEUlllE_EE10hipError_tT0_T1_T2_jT3_P12ihipStream_tbPNSt15iterator_traitsISL_E10value_typeEPNSR_ISM_E10value_typeEPSN_NS1_7vsmem_tEENKUlT_SL_SM_SN_E_clIS8_S8_S9_S9_EESK_S10_SL_SM_SN_EUlS10_E1_NS1_11comp_targetILNS1_3genE9ELNS1_11target_archE1100ELNS1_3gpuE3ELNS1_3repE0EEENS1_36merge_oddeven_config_static_selectorELNS0_4arch9wavefront6targetE0EEEvSM_
		.amdhsa_group_segment_fixed_size 0
		.amdhsa_private_segment_fixed_size 0
		.amdhsa_kernarg_size 64
		.amdhsa_user_sgpr_count 15
		.amdhsa_user_sgpr_dispatch_ptr 0
		.amdhsa_user_sgpr_queue_ptr 0
		.amdhsa_user_sgpr_kernarg_segment_ptr 1
		.amdhsa_user_sgpr_dispatch_id 0
		.amdhsa_user_sgpr_private_segment_size 0
		.amdhsa_wavefront_size32 1
		.amdhsa_uses_dynamic_stack 0
		.amdhsa_enable_private_segment 0
		.amdhsa_system_sgpr_workgroup_id_x 1
		.amdhsa_system_sgpr_workgroup_id_y 0
		.amdhsa_system_sgpr_workgroup_id_z 0
		.amdhsa_system_sgpr_workgroup_info 0
		.amdhsa_system_vgpr_workitem_id 0
		.amdhsa_next_free_vgpr 18
		.amdhsa_next_free_sgpr 28
		.amdhsa_reserve_vcc 1
		.amdhsa_float_round_mode_32 0
		.amdhsa_float_round_mode_16_64 0
		.amdhsa_float_denorm_mode_32 3
		.amdhsa_float_denorm_mode_16_64 3
		.amdhsa_dx10_clamp 1
		.amdhsa_ieee_mode 1
		.amdhsa_fp16_overflow 0
		.amdhsa_workgroup_processor_mode 1
		.amdhsa_memory_ordered 1
		.amdhsa_forward_progress 0
		.amdhsa_shared_vgpr_count 0
		.amdhsa_exception_fp_ieee_invalid_op 0
		.amdhsa_exception_fp_denorm_src 0
		.amdhsa_exception_fp_ieee_div_zero 0
		.amdhsa_exception_fp_ieee_overflow 0
		.amdhsa_exception_fp_ieee_underflow 0
		.amdhsa_exception_fp_ieee_inexact 0
		.amdhsa_exception_int_div_zero 0
	.end_amdhsa_kernel
	.section	.text._ZN7rocprim17ROCPRIM_400000_NS6detail17trampoline_kernelINS0_14default_configENS1_38merge_sort_block_merge_config_selectorIlNS0_10empty_typeEEEZZNS1_27merge_sort_block_merge_implIS3_PlPS5_mZN2at6native12_GLOBAL__N_124unique_dim_cuda_templateIiEESt5tupleIJNSA_6TensorESF_SF_EERKSF_lbbbEUlllE_EE10hipError_tT0_T1_T2_jT3_P12ihipStream_tbPNSt15iterator_traitsISL_E10value_typeEPNSR_ISM_E10value_typeEPSN_NS1_7vsmem_tEENKUlT_SL_SM_SN_E_clIS8_S8_S9_S9_EESK_S10_SL_SM_SN_EUlS10_E1_NS1_11comp_targetILNS1_3genE9ELNS1_11target_archE1100ELNS1_3gpuE3ELNS1_3repE0EEENS1_36merge_oddeven_config_static_selectorELNS0_4arch9wavefront6targetE0EEEvSM_,"axG",@progbits,_ZN7rocprim17ROCPRIM_400000_NS6detail17trampoline_kernelINS0_14default_configENS1_38merge_sort_block_merge_config_selectorIlNS0_10empty_typeEEEZZNS1_27merge_sort_block_merge_implIS3_PlPS5_mZN2at6native12_GLOBAL__N_124unique_dim_cuda_templateIiEESt5tupleIJNSA_6TensorESF_SF_EERKSF_lbbbEUlllE_EE10hipError_tT0_T1_T2_jT3_P12ihipStream_tbPNSt15iterator_traitsISL_E10value_typeEPNSR_ISM_E10value_typeEPSN_NS1_7vsmem_tEENKUlT_SL_SM_SN_E_clIS8_S8_S9_S9_EESK_S10_SL_SM_SN_EUlS10_E1_NS1_11comp_targetILNS1_3genE9ELNS1_11target_archE1100ELNS1_3gpuE3ELNS1_3repE0EEENS1_36merge_oddeven_config_static_selectorELNS0_4arch9wavefront6targetE0EEEvSM_,comdat
.Lfunc_end414:
	.size	_ZN7rocprim17ROCPRIM_400000_NS6detail17trampoline_kernelINS0_14default_configENS1_38merge_sort_block_merge_config_selectorIlNS0_10empty_typeEEEZZNS1_27merge_sort_block_merge_implIS3_PlPS5_mZN2at6native12_GLOBAL__N_124unique_dim_cuda_templateIiEESt5tupleIJNSA_6TensorESF_SF_EERKSF_lbbbEUlllE_EE10hipError_tT0_T1_T2_jT3_P12ihipStream_tbPNSt15iterator_traitsISL_E10value_typeEPNSR_ISM_E10value_typeEPSN_NS1_7vsmem_tEENKUlT_SL_SM_SN_E_clIS8_S8_S9_S9_EESK_S10_SL_SM_SN_EUlS10_E1_NS1_11comp_targetILNS1_3genE9ELNS1_11target_archE1100ELNS1_3gpuE3ELNS1_3repE0EEENS1_36merge_oddeven_config_static_selectorELNS0_4arch9wavefront6targetE0EEEvSM_, .Lfunc_end414-_ZN7rocprim17ROCPRIM_400000_NS6detail17trampoline_kernelINS0_14default_configENS1_38merge_sort_block_merge_config_selectorIlNS0_10empty_typeEEEZZNS1_27merge_sort_block_merge_implIS3_PlPS5_mZN2at6native12_GLOBAL__N_124unique_dim_cuda_templateIiEESt5tupleIJNSA_6TensorESF_SF_EERKSF_lbbbEUlllE_EE10hipError_tT0_T1_T2_jT3_P12ihipStream_tbPNSt15iterator_traitsISL_E10value_typeEPNSR_ISM_E10value_typeEPSN_NS1_7vsmem_tEENKUlT_SL_SM_SN_E_clIS8_S8_S9_S9_EESK_S10_SL_SM_SN_EUlS10_E1_NS1_11comp_targetILNS1_3genE9ELNS1_11target_archE1100ELNS1_3gpuE3ELNS1_3repE0EEENS1_36merge_oddeven_config_static_selectorELNS0_4arch9wavefront6targetE0EEEvSM_
                                        ; -- End function
	.section	.AMDGPU.csdata,"",@progbits
; Kernel info:
; codeLenInByte = 2052
; NumSgprs: 30
; NumVgprs: 18
; ScratchSize: 0
; MemoryBound: 0
; FloatMode: 240
; IeeeMode: 1
; LDSByteSize: 0 bytes/workgroup (compile time only)
; SGPRBlocks: 3
; VGPRBlocks: 2
; NumSGPRsForWavesPerEU: 30
; NumVGPRsForWavesPerEU: 18
; Occupancy: 16
; WaveLimiterHint : 0
; COMPUTE_PGM_RSRC2:SCRATCH_EN: 0
; COMPUTE_PGM_RSRC2:USER_SGPR: 15
; COMPUTE_PGM_RSRC2:TRAP_HANDLER: 0
; COMPUTE_PGM_RSRC2:TGID_X_EN: 1
; COMPUTE_PGM_RSRC2:TGID_Y_EN: 0
; COMPUTE_PGM_RSRC2:TGID_Z_EN: 0
; COMPUTE_PGM_RSRC2:TIDIG_COMP_CNT: 0
	.section	.text._ZN7rocprim17ROCPRIM_400000_NS6detail17trampoline_kernelINS0_14default_configENS1_38merge_sort_block_merge_config_selectorIlNS0_10empty_typeEEEZZNS1_27merge_sort_block_merge_implIS3_PlPS5_mZN2at6native12_GLOBAL__N_124unique_dim_cuda_templateIiEESt5tupleIJNSA_6TensorESF_SF_EERKSF_lbbbEUlllE_EE10hipError_tT0_T1_T2_jT3_P12ihipStream_tbPNSt15iterator_traitsISL_E10value_typeEPNSR_ISM_E10value_typeEPSN_NS1_7vsmem_tEENKUlT_SL_SM_SN_E_clIS8_S8_S9_S9_EESK_S10_SL_SM_SN_EUlS10_E1_NS1_11comp_targetILNS1_3genE8ELNS1_11target_archE1030ELNS1_3gpuE2ELNS1_3repE0EEENS1_36merge_oddeven_config_static_selectorELNS0_4arch9wavefront6targetE0EEEvSM_,"axG",@progbits,_ZN7rocprim17ROCPRIM_400000_NS6detail17trampoline_kernelINS0_14default_configENS1_38merge_sort_block_merge_config_selectorIlNS0_10empty_typeEEEZZNS1_27merge_sort_block_merge_implIS3_PlPS5_mZN2at6native12_GLOBAL__N_124unique_dim_cuda_templateIiEESt5tupleIJNSA_6TensorESF_SF_EERKSF_lbbbEUlllE_EE10hipError_tT0_T1_T2_jT3_P12ihipStream_tbPNSt15iterator_traitsISL_E10value_typeEPNSR_ISM_E10value_typeEPSN_NS1_7vsmem_tEENKUlT_SL_SM_SN_E_clIS8_S8_S9_S9_EESK_S10_SL_SM_SN_EUlS10_E1_NS1_11comp_targetILNS1_3genE8ELNS1_11target_archE1030ELNS1_3gpuE2ELNS1_3repE0EEENS1_36merge_oddeven_config_static_selectorELNS0_4arch9wavefront6targetE0EEEvSM_,comdat
	.globl	_ZN7rocprim17ROCPRIM_400000_NS6detail17trampoline_kernelINS0_14default_configENS1_38merge_sort_block_merge_config_selectorIlNS0_10empty_typeEEEZZNS1_27merge_sort_block_merge_implIS3_PlPS5_mZN2at6native12_GLOBAL__N_124unique_dim_cuda_templateIiEESt5tupleIJNSA_6TensorESF_SF_EERKSF_lbbbEUlllE_EE10hipError_tT0_T1_T2_jT3_P12ihipStream_tbPNSt15iterator_traitsISL_E10value_typeEPNSR_ISM_E10value_typeEPSN_NS1_7vsmem_tEENKUlT_SL_SM_SN_E_clIS8_S8_S9_S9_EESK_S10_SL_SM_SN_EUlS10_E1_NS1_11comp_targetILNS1_3genE8ELNS1_11target_archE1030ELNS1_3gpuE2ELNS1_3repE0EEENS1_36merge_oddeven_config_static_selectorELNS0_4arch9wavefront6targetE0EEEvSM_ ; -- Begin function _ZN7rocprim17ROCPRIM_400000_NS6detail17trampoline_kernelINS0_14default_configENS1_38merge_sort_block_merge_config_selectorIlNS0_10empty_typeEEEZZNS1_27merge_sort_block_merge_implIS3_PlPS5_mZN2at6native12_GLOBAL__N_124unique_dim_cuda_templateIiEESt5tupleIJNSA_6TensorESF_SF_EERKSF_lbbbEUlllE_EE10hipError_tT0_T1_T2_jT3_P12ihipStream_tbPNSt15iterator_traitsISL_E10value_typeEPNSR_ISM_E10value_typeEPSN_NS1_7vsmem_tEENKUlT_SL_SM_SN_E_clIS8_S8_S9_S9_EESK_S10_SL_SM_SN_EUlS10_E1_NS1_11comp_targetILNS1_3genE8ELNS1_11target_archE1030ELNS1_3gpuE2ELNS1_3repE0EEENS1_36merge_oddeven_config_static_selectorELNS0_4arch9wavefront6targetE0EEEvSM_
	.p2align	8
	.type	_ZN7rocprim17ROCPRIM_400000_NS6detail17trampoline_kernelINS0_14default_configENS1_38merge_sort_block_merge_config_selectorIlNS0_10empty_typeEEEZZNS1_27merge_sort_block_merge_implIS3_PlPS5_mZN2at6native12_GLOBAL__N_124unique_dim_cuda_templateIiEESt5tupleIJNSA_6TensorESF_SF_EERKSF_lbbbEUlllE_EE10hipError_tT0_T1_T2_jT3_P12ihipStream_tbPNSt15iterator_traitsISL_E10value_typeEPNSR_ISM_E10value_typeEPSN_NS1_7vsmem_tEENKUlT_SL_SM_SN_E_clIS8_S8_S9_S9_EESK_S10_SL_SM_SN_EUlS10_E1_NS1_11comp_targetILNS1_3genE8ELNS1_11target_archE1030ELNS1_3gpuE2ELNS1_3repE0EEENS1_36merge_oddeven_config_static_selectorELNS0_4arch9wavefront6targetE0EEEvSM_,@function
_ZN7rocprim17ROCPRIM_400000_NS6detail17trampoline_kernelINS0_14default_configENS1_38merge_sort_block_merge_config_selectorIlNS0_10empty_typeEEEZZNS1_27merge_sort_block_merge_implIS3_PlPS5_mZN2at6native12_GLOBAL__N_124unique_dim_cuda_templateIiEESt5tupleIJNSA_6TensorESF_SF_EERKSF_lbbbEUlllE_EE10hipError_tT0_T1_T2_jT3_P12ihipStream_tbPNSt15iterator_traitsISL_E10value_typeEPNSR_ISM_E10value_typeEPSN_NS1_7vsmem_tEENKUlT_SL_SM_SN_E_clIS8_S8_S9_S9_EESK_S10_SL_SM_SN_EUlS10_E1_NS1_11comp_targetILNS1_3genE8ELNS1_11target_archE1030ELNS1_3gpuE2ELNS1_3repE0EEENS1_36merge_oddeven_config_static_selectorELNS0_4arch9wavefront6targetE0EEEvSM_: ; @_ZN7rocprim17ROCPRIM_400000_NS6detail17trampoline_kernelINS0_14default_configENS1_38merge_sort_block_merge_config_selectorIlNS0_10empty_typeEEEZZNS1_27merge_sort_block_merge_implIS3_PlPS5_mZN2at6native12_GLOBAL__N_124unique_dim_cuda_templateIiEESt5tupleIJNSA_6TensorESF_SF_EERKSF_lbbbEUlllE_EE10hipError_tT0_T1_T2_jT3_P12ihipStream_tbPNSt15iterator_traitsISL_E10value_typeEPNSR_ISM_E10value_typeEPSN_NS1_7vsmem_tEENKUlT_SL_SM_SN_E_clIS8_S8_S9_S9_EESK_S10_SL_SM_SN_EUlS10_E1_NS1_11comp_targetILNS1_3genE8ELNS1_11target_archE1030ELNS1_3gpuE2ELNS1_3repE0EEENS1_36merge_oddeven_config_static_selectorELNS0_4arch9wavefront6targetE0EEEvSM_
; %bb.0:
	.section	.rodata,"a",@progbits
	.p2align	6, 0x0
	.amdhsa_kernel _ZN7rocprim17ROCPRIM_400000_NS6detail17trampoline_kernelINS0_14default_configENS1_38merge_sort_block_merge_config_selectorIlNS0_10empty_typeEEEZZNS1_27merge_sort_block_merge_implIS3_PlPS5_mZN2at6native12_GLOBAL__N_124unique_dim_cuda_templateIiEESt5tupleIJNSA_6TensorESF_SF_EERKSF_lbbbEUlllE_EE10hipError_tT0_T1_T2_jT3_P12ihipStream_tbPNSt15iterator_traitsISL_E10value_typeEPNSR_ISM_E10value_typeEPSN_NS1_7vsmem_tEENKUlT_SL_SM_SN_E_clIS8_S8_S9_S9_EESK_S10_SL_SM_SN_EUlS10_E1_NS1_11comp_targetILNS1_3genE8ELNS1_11target_archE1030ELNS1_3gpuE2ELNS1_3repE0EEENS1_36merge_oddeven_config_static_selectorELNS0_4arch9wavefront6targetE0EEEvSM_
		.amdhsa_group_segment_fixed_size 0
		.amdhsa_private_segment_fixed_size 0
		.amdhsa_kernarg_size 64
		.amdhsa_user_sgpr_count 15
		.amdhsa_user_sgpr_dispatch_ptr 0
		.amdhsa_user_sgpr_queue_ptr 0
		.amdhsa_user_sgpr_kernarg_segment_ptr 1
		.amdhsa_user_sgpr_dispatch_id 0
		.amdhsa_user_sgpr_private_segment_size 0
		.amdhsa_wavefront_size32 1
		.amdhsa_uses_dynamic_stack 0
		.amdhsa_enable_private_segment 0
		.amdhsa_system_sgpr_workgroup_id_x 1
		.amdhsa_system_sgpr_workgroup_id_y 0
		.amdhsa_system_sgpr_workgroup_id_z 0
		.amdhsa_system_sgpr_workgroup_info 0
		.amdhsa_system_vgpr_workitem_id 0
		.amdhsa_next_free_vgpr 1
		.amdhsa_next_free_sgpr 1
		.amdhsa_reserve_vcc 0
		.amdhsa_float_round_mode_32 0
		.amdhsa_float_round_mode_16_64 0
		.amdhsa_float_denorm_mode_32 3
		.amdhsa_float_denorm_mode_16_64 3
		.amdhsa_dx10_clamp 1
		.amdhsa_ieee_mode 1
		.amdhsa_fp16_overflow 0
		.amdhsa_workgroup_processor_mode 1
		.amdhsa_memory_ordered 1
		.amdhsa_forward_progress 0
		.amdhsa_shared_vgpr_count 0
		.amdhsa_exception_fp_ieee_invalid_op 0
		.amdhsa_exception_fp_denorm_src 0
		.amdhsa_exception_fp_ieee_div_zero 0
		.amdhsa_exception_fp_ieee_overflow 0
		.amdhsa_exception_fp_ieee_underflow 0
		.amdhsa_exception_fp_ieee_inexact 0
		.amdhsa_exception_int_div_zero 0
	.end_amdhsa_kernel
	.section	.text._ZN7rocprim17ROCPRIM_400000_NS6detail17trampoline_kernelINS0_14default_configENS1_38merge_sort_block_merge_config_selectorIlNS0_10empty_typeEEEZZNS1_27merge_sort_block_merge_implIS3_PlPS5_mZN2at6native12_GLOBAL__N_124unique_dim_cuda_templateIiEESt5tupleIJNSA_6TensorESF_SF_EERKSF_lbbbEUlllE_EE10hipError_tT0_T1_T2_jT3_P12ihipStream_tbPNSt15iterator_traitsISL_E10value_typeEPNSR_ISM_E10value_typeEPSN_NS1_7vsmem_tEENKUlT_SL_SM_SN_E_clIS8_S8_S9_S9_EESK_S10_SL_SM_SN_EUlS10_E1_NS1_11comp_targetILNS1_3genE8ELNS1_11target_archE1030ELNS1_3gpuE2ELNS1_3repE0EEENS1_36merge_oddeven_config_static_selectorELNS0_4arch9wavefront6targetE0EEEvSM_,"axG",@progbits,_ZN7rocprim17ROCPRIM_400000_NS6detail17trampoline_kernelINS0_14default_configENS1_38merge_sort_block_merge_config_selectorIlNS0_10empty_typeEEEZZNS1_27merge_sort_block_merge_implIS3_PlPS5_mZN2at6native12_GLOBAL__N_124unique_dim_cuda_templateIiEESt5tupleIJNSA_6TensorESF_SF_EERKSF_lbbbEUlllE_EE10hipError_tT0_T1_T2_jT3_P12ihipStream_tbPNSt15iterator_traitsISL_E10value_typeEPNSR_ISM_E10value_typeEPSN_NS1_7vsmem_tEENKUlT_SL_SM_SN_E_clIS8_S8_S9_S9_EESK_S10_SL_SM_SN_EUlS10_E1_NS1_11comp_targetILNS1_3genE8ELNS1_11target_archE1030ELNS1_3gpuE2ELNS1_3repE0EEENS1_36merge_oddeven_config_static_selectorELNS0_4arch9wavefront6targetE0EEEvSM_,comdat
.Lfunc_end415:
	.size	_ZN7rocprim17ROCPRIM_400000_NS6detail17trampoline_kernelINS0_14default_configENS1_38merge_sort_block_merge_config_selectorIlNS0_10empty_typeEEEZZNS1_27merge_sort_block_merge_implIS3_PlPS5_mZN2at6native12_GLOBAL__N_124unique_dim_cuda_templateIiEESt5tupleIJNSA_6TensorESF_SF_EERKSF_lbbbEUlllE_EE10hipError_tT0_T1_T2_jT3_P12ihipStream_tbPNSt15iterator_traitsISL_E10value_typeEPNSR_ISM_E10value_typeEPSN_NS1_7vsmem_tEENKUlT_SL_SM_SN_E_clIS8_S8_S9_S9_EESK_S10_SL_SM_SN_EUlS10_E1_NS1_11comp_targetILNS1_3genE8ELNS1_11target_archE1030ELNS1_3gpuE2ELNS1_3repE0EEENS1_36merge_oddeven_config_static_selectorELNS0_4arch9wavefront6targetE0EEEvSM_, .Lfunc_end415-_ZN7rocprim17ROCPRIM_400000_NS6detail17trampoline_kernelINS0_14default_configENS1_38merge_sort_block_merge_config_selectorIlNS0_10empty_typeEEEZZNS1_27merge_sort_block_merge_implIS3_PlPS5_mZN2at6native12_GLOBAL__N_124unique_dim_cuda_templateIiEESt5tupleIJNSA_6TensorESF_SF_EERKSF_lbbbEUlllE_EE10hipError_tT0_T1_T2_jT3_P12ihipStream_tbPNSt15iterator_traitsISL_E10value_typeEPNSR_ISM_E10value_typeEPSN_NS1_7vsmem_tEENKUlT_SL_SM_SN_E_clIS8_S8_S9_S9_EESK_S10_SL_SM_SN_EUlS10_E1_NS1_11comp_targetILNS1_3genE8ELNS1_11target_archE1030ELNS1_3gpuE2ELNS1_3repE0EEENS1_36merge_oddeven_config_static_selectorELNS0_4arch9wavefront6targetE0EEEvSM_
                                        ; -- End function
	.section	.AMDGPU.csdata,"",@progbits
; Kernel info:
; codeLenInByte = 0
; NumSgprs: 0
; NumVgprs: 0
; ScratchSize: 0
; MemoryBound: 0
; FloatMode: 240
; IeeeMode: 1
; LDSByteSize: 0 bytes/workgroup (compile time only)
; SGPRBlocks: 0
; VGPRBlocks: 0
; NumSGPRsForWavesPerEU: 1
; NumVGPRsForWavesPerEU: 1
; Occupancy: 16
; WaveLimiterHint : 0
; COMPUTE_PGM_RSRC2:SCRATCH_EN: 0
; COMPUTE_PGM_RSRC2:USER_SGPR: 15
; COMPUTE_PGM_RSRC2:TRAP_HANDLER: 0
; COMPUTE_PGM_RSRC2:TGID_X_EN: 1
; COMPUTE_PGM_RSRC2:TGID_Y_EN: 0
; COMPUTE_PGM_RSRC2:TGID_Z_EN: 0
; COMPUTE_PGM_RSRC2:TIDIG_COMP_CNT: 0
	.section	.text._ZN7rocprim17ROCPRIM_400000_NS6detail17trampoline_kernelINS0_14default_configENS1_35adjacent_difference_config_selectorILb0ElEEZNS1_24adjacent_difference_implIS3_Lb0ELb0EPlS7_ZN2at6native12_GLOBAL__N_124unique_dim_cuda_templateIiEESt5tupleIJNS8_6TensorESD_SD_EERKSD_lbbbEUlllE1_EE10hipError_tPvRmT2_T3_mT4_P12ihipStream_tbEUlT_E_NS1_11comp_targetILNS1_3genE0ELNS1_11target_archE4294967295ELNS1_3gpuE0ELNS1_3repE0EEENS1_30default_config_static_selectorELNS0_4arch9wavefront6targetE0EEEvT1_,"axG",@progbits,_ZN7rocprim17ROCPRIM_400000_NS6detail17trampoline_kernelINS0_14default_configENS1_35adjacent_difference_config_selectorILb0ElEEZNS1_24adjacent_difference_implIS3_Lb0ELb0EPlS7_ZN2at6native12_GLOBAL__N_124unique_dim_cuda_templateIiEESt5tupleIJNS8_6TensorESD_SD_EERKSD_lbbbEUlllE1_EE10hipError_tPvRmT2_T3_mT4_P12ihipStream_tbEUlT_E_NS1_11comp_targetILNS1_3genE0ELNS1_11target_archE4294967295ELNS1_3gpuE0ELNS1_3repE0EEENS1_30default_config_static_selectorELNS0_4arch9wavefront6targetE0EEEvT1_,comdat
	.globl	_ZN7rocprim17ROCPRIM_400000_NS6detail17trampoline_kernelINS0_14default_configENS1_35adjacent_difference_config_selectorILb0ElEEZNS1_24adjacent_difference_implIS3_Lb0ELb0EPlS7_ZN2at6native12_GLOBAL__N_124unique_dim_cuda_templateIiEESt5tupleIJNS8_6TensorESD_SD_EERKSD_lbbbEUlllE1_EE10hipError_tPvRmT2_T3_mT4_P12ihipStream_tbEUlT_E_NS1_11comp_targetILNS1_3genE0ELNS1_11target_archE4294967295ELNS1_3gpuE0ELNS1_3repE0EEENS1_30default_config_static_selectorELNS0_4arch9wavefront6targetE0EEEvT1_ ; -- Begin function _ZN7rocprim17ROCPRIM_400000_NS6detail17trampoline_kernelINS0_14default_configENS1_35adjacent_difference_config_selectorILb0ElEEZNS1_24adjacent_difference_implIS3_Lb0ELb0EPlS7_ZN2at6native12_GLOBAL__N_124unique_dim_cuda_templateIiEESt5tupleIJNS8_6TensorESD_SD_EERKSD_lbbbEUlllE1_EE10hipError_tPvRmT2_T3_mT4_P12ihipStream_tbEUlT_E_NS1_11comp_targetILNS1_3genE0ELNS1_11target_archE4294967295ELNS1_3gpuE0ELNS1_3repE0EEENS1_30default_config_static_selectorELNS0_4arch9wavefront6targetE0EEEvT1_
	.p2align	8
	.type	_ZN7rocprim17ROCPRIM_400000_NS6detail17trampoline_kernelINS0_14default_configENS1_35adjacent_difference_config_selectorILb0ElEEZNS1_24adjacent_difference_implIS3_Lb0ELb0EPlS7_ZN2at6native12_GLOBAL__N_124unique_dim_cuda_templateIiEESt5tupleIJNS8_6TensorESD_SD_EERKSD_lbbbEUlllE1_EE10hipError_tPvRmT2_T3_mT4_P12ihipStream_tbEUlT_E_NS1_11comp_targetILNS1_3genE0ELNS1_11target_archE4294967295ELNS1_3gpuE0ELNS1_3repE0EEENS1_30default_config_static_selectorELNS0_4arch9wavefront6targetE0EEEvT1_,@function
_ZN7rocprim17ROCPRIM_400000_NS6detail17trampoline_kernelINS0_14default_configENS1_35adjacent_difference_config_selectorILb0ElEEZNS1_24adjacent_difference_implIS3_Lb0ELb0EPlS7_ZN2at6native12_GLOBAL__N_124unique_dim_cuda_templateIiEESt5tupleIJNS8_6TensorESD_SD_EERKSD_lbbbEUlllE1_EE10hipError_tPvRmT2_T3_mT4_P12ihipStream_tbEUlT_E_NS1_11comp_targetILNS1_3genE0ELNS1_11target_archE4294967295ELNS1_3gpuE0ELNS1_3repE0EEENS1_30default_config_static_selectorELNS0_4arch9wavefront6targetE0EEEvT1_: ; @_ZN7rocprim17ROCPRIM_400000_NS6detail17trampoline_kernelINS0_14default_configENS1_35adjacent_difference_config_selectorILb0ElEEZNS1_24adjacent_difference_implIS3_Lb0ELb0EPlS7_ZN2at6native12_GLOBAL__N_124unique_dim_cuda_templateIiEESt5tupleIJNS8_6TensorESD_SD_EERKSD_lbbbEUlllE1_EE10hipError_tPvRmT2_T3_mT4_P12ihipStream_tbEUlT_E_NS1_11comp_targetILNS1_3genE0ELNS1_11target_archE4294967295ELNS1_3gpuE0ELNS1_3repE0EEENS1_30default_config_static_selectorELNS0_4arch9wavefront6targetE0EEEvT1_
; %bb.0:
	.section	.rodata,"a",@progbits
	.p2align	6, 0x0
	.amdhsa_kernel _ZN7rocprim17ROCPRIM_400000_NS6detail17trampoline_kernelINS0_14default_configENS1_35adjacent_difference_config_selectorILb0ElEEZNS1_24adjacent_difference_implIS3_Lb0ELb0EPlS7_ZN2at6native12_GLOBAL__N_124unique_dim_cuda_templateIiEESt5tupleIJNS8_6TensorESD_SD_EERKSD_lbbbEUlllE1_EE10hipError_tPvRmT2_T3_mT4_P12ihipStream_tbEUlT_E_NS1_11comp_targetILNS1_3genE0ELNS1_11target_archE4294967295ELNS1_3gpuE0ELNS1_3repE0EEENS1_30default_config_static_selectorELNS0_4arch9wavefront6targetE0EEEvT1_
		.amdhsa_group_segment_fixed_size 0
		.amdhsa_private_segment_fixed_size 0
		.amdhsa_kernarg_size 64
		.amdhsa_user_sgpr_count 15
		.amdhsa_user_sgpr_dispatch_ptr 0
		.amdhsa_user_sgpr_queue_ptr 0
		.amdhsa_user_sgpr_kernarg_segment_ptr 1
		.amdhsa_user_sgpr_dispatch_id 0
		.amdhsa_user_sgpr_private_segment_size 0
		.amdhsa_wavefront_size32 1
		.amdhsa_uses_dynamic_stack 0
		.amdhsa_enable_private_segment 0
		.amdhsa_system_sgpr_workgroup_id_x 1
		.amdhsa_system_sgpr_workgroup_id_y 0
		.amdhsa_system_sgpr_workgroup_id_z 0
		.amdhsa_system_sgpr_workgroup_info 0
		.amdhsa_system_vgpr_workitem_id 0
		.amdhsa_next_free_vgpr 1
		.amdhsa_next_free_sgpr 1
		.amdhsa_reserve_vcc 0
		.amdhsa_float_round_mode_32 0
		.amdhsa_float_round_mode_16_64 0
		.amdhsa_float_denorm_mode_32 3
		.amdhsa_float_denorm_mode_16_64 3
		.amdhsa_dx10_clamp 1
		.amdhsa_ieee_mode 1
		.amdhsa_fp16_overflow 0
		.amdhsa_workgroup_processor_mode 1
		.amdhsa_memory_ordered 1
		.amdhsa_forward_progress 0
		.amdhsa_shared_vgpr_count 0
		.amdhsa_exception_fp_ieee_invalid_op 0
		.amdhsa_exception_fp_denorm_src 0
		.amdhsa_exception_fp_ieee_div_zero 0
		.amdhsa_exception_fp_ieee_overflow 0
		.amdhsa_exception_fp_ieee_underflow 0
		.amdhsa_exception_fp_ieee_inexact 0
		.amdhsa_exception_int_div_zero 0
	.end_amdhsa_kernel
	.section	.text._ZN7rocprim17ROCPRIM_400000_NS6detail17trampoline_kernelINS0_14default_configENS1_35adjacent_difference_config_selectorILb0ElEEZNS1_24adjacent_difference_implIS3_Lb0ELb0EPlS7_ZN2at6native12_GLOBAL__N_124unique_dim_cuda_templateIiEESt5tupleIJNS8_6TensorESD_SD_EERKSD_lbbbEUlllE1_EE10hipError_tPvRmT2_T3_mT4_P12ihipStream_tbEUlT_E_NS1_11comp_targetILNS1_3genE0ELNS1_11target_archE4294967295ELNS1_3gpuE0ELNS1_3repE0EEENS1_30default_config_static_selectorELNS0_4arch9wavefront6targetE0EEEvT1_,"axG",@progbits,_ZN7rocprim17ROCPRIM_400000_NS6detail17trampoline_kernelINS0_14default_configENS1_35adjacent_difference_config_selectorILb0ElEEZNS1_24adjacent_difference_implIS3_Lb0ELb0EPlS7_ZN2at6native12_GLOBAL__N_124unique_dim_cuda_templateIiEESt5tupleIJNS8_6TensorESD_SD_EERKSD_lbbbEUlllE1_EE10hipError_tPvRmT2_T3_mT4_P12ihipStream_tbEUlT_E_NS1_11comp_targetILNS1_3genE0ELNS1_11target_archE4294967295ELNS1_3gpuE0ELNS1_3repE0EEENS1_30default_config_static_selectorELNS0_4arch9wavefront6targetE0EEEvT1_,comdat
.Lfunc_end416:
	.size	_ZN7rocprim17ROCPRIM_400000_NS6detail17trampoline_kernelINS0_14default_configENS1_35adjacent_difference_config_selectorILb0ElEEZNS1_24adjacent_difference_implIS3_Lb0ELb0EPlS7_ZN2at6native12_GLOBAL__N_124unique_dim_cuda_templateIiEESt5tupleIJNS8_6TensorESD_SD_EERKSD_lbbbEUlllE1_EE10hipError_tPvRmT2_T3_mT4_P12ihipStream_tbEUlT_E_NS1_11comp_targetILNS1_3genE0ELNS1_11target_archE4294967295ELNS1_3gpuE0ELNS1_3repE0EEENS1_30default_config_static_selectorELNS0_4arch9wavefront6targetE0EEEvT1_, .Lfunc_end416-_ZN7rocprim17ROCPRIM_400000_NS6detail17trampoline_kernelINS0_14default_configENS1_35adjacent_difference_config_selectorILb0ElEEZNS1_24adjacent_difference_implIS3_Lb0ELb0EPlS7_ZN2at6native12_GLOBAL__N_124unique_dim_cuda_templateIiEESt5tupleIJNS8_6TensorESD_SD_EERKSD_lbbbEUlllE1_EE10hipError_tPvRmT2_T3_mT4_P12ihipStream_tbEUlT_E_NS1_11comp_targetILNS1_3genE0ELNS1_11target_archE4294967295ELNS1_3gpuE0ELNS1_3repE0EEENS1_30default_config_static_selectorELNS0_4arch9wavefront6targetE0EEEvT1_
                                        ; -- End function
	.section	.AMDGPU.csdata,"",@progbits
; Kernel info:
; codeLenInByte = 0
; NumSgprs: 0
; NumVgprs: 0
; ScratchSize: 0
; MemoryBound: 0
; FloatMode: 240
; IeeeMode: 1
; LDSByteSize: 0 bytes/workgroup (compile time only)
; SGPRBlocks: 0
; VGPRBlocks: 0
; NumSGPRsForWavesPerEU: 1
; NumVGPRsForWavesPerEU: 1
; Occupancy: 16
; WaveLimiterHint : 0
; COMPUTE_PGM_RSRC2:SCRATCH_EN: 0
; COMPUTE_PGM_RSRC2:USER_SGPR: 15
; COMPUTE_PGM_RSRC2:TRAP_HANDLER: 0
; COMPUTE_PGM_RSRC2:TGID_X_EN: 1
; COMPUTE_PGM_RSRC2:TGID_Y_EN: 0
; COMPUTE_PGM_RSRC2:TGID_Z_EN: 0
; COMPUTE_PGM_RSRC2:TIDIG_COMP_CNT: 0
	.section	.text._ZN7rocprim17ROCPRIM_400000_NS6detail17trampoline_kernelINS0_14default_configENS1_35adjacent_difference_config_selectorILb0ElEEZNS1_24adjacent_difference_implIS3_Lb0ELb0EPlS7_ZN2at6native12_GLOBAL__N_124unique_dim_cuda_templateIiEESt5tupleIJNS8_6TensorESD_SD_EERKSD_lbbbEUlllE1_EE10hipError_tPvRmT2_T3_mT4_P12ihipStream_tbEUlT_E_NS1_11comp_targetILNS1_3genE10ELNS1_11target_archE1201ELNS1_3gpuE5ELNS1_3repE0EEENS1_30default_config_static_selectorELNS0_4arch9wavefront6targetE0EEEvT1_,"axG",@progbits,_ZN7rocprim17ROCPRIM_400000_NS6detail17trampoline_kernelINS0_14default_configENS1_35adjacent_difference_config_selectorILb0ElEEZNS1_24adjacent_difference_implIS3_Lb0ELb0EPlS7_ZN2at6native12_GLOBAL__N_124unique_dim_cuda_templateIiEESt5tupleIJNS8_6TensorESD_SD_EERKSD_lbbbEUlllE1_EE10hipError_tPvRmT2_T3_mT4_P12ihipStream_tbEUlT_E_NS1_11comp_targetILNS1_3genE10ELNS1_11target_archE1201ELNS1_3gpuE5ELNS1_3repE0EEENS1_30default_config_static_selectorELNS0_4arch9wavefront6targetE0EEEvT1_,comdat
	.globl	_ZN7rocprim17ROCPRIM_400000_NS6detail17trampoline_kernelINS0_14default_configENS1_35adjacent_difference_config_selectorILb0ElEEZNS1_24adjacent_difference_implIS3_Lb0ELb0EPlS7_ZN2at6native12_GLOBAL__N_124unique_dim_cuda_templateIiEESt5tupleIJNS8_6TensorESD_SD_EERKSD_lbbbEUlllE1_EE10hipError_tPvRmT2_T3_mT4_P12ihipStream_tbEUlT_E_NS1_11comp_targetILNS1_3genE10ELNS1_11target_archE1201ELNS1_3gpuE5ELNS1_3repE0EEENS1_30default_config_static_selectorELNS0_4arch9wavefront6targetE0EEEvT1_ ; -- Begin function _ZN7rocprim17ROCPRIM_400000_NS6detail17trampoline_kernelINS0_14default_configENS1_35adjacent_difference_config_selectorILb0ElEEZNS1_24adjacent_difference_implIS3_Lb0ELb0EPlS7_ZN2at6native12_GLOBAL__N_124unique_dim_cuda_templateIiEESt5tupleIJNS8_6TensorESD_SD_EERKSD_lbbbEUlllE1_EE10hipError_tPvRmT2_T3_mT4_P12ihipStream_tbEUlT_E_NS1_11comp_targetILNS1_3genE10ELNS1_11target_archE1201ELNS1_3gpuE5ELNS1_3repE0EEENS1_30default_config_static_selectorELNS0_4arch9wavefront6targetE0EEEvT1_
	.p2align	8
	.type	_ZN7rocprim17ROCPRIM_400000_NS6detail17trampoline_kernelINS0_14default_configENS1_35adjacent_difference_config_selectorILb0ElEEZNS1_24adjacent_difference_implIS3_Lb0ELb0EPlS7_ZN2at6native12_GLOBAL__N_124unique_dim_cuda_templateIiEESt5tupleIJNS8_6TensorESD_SD_EERKSD_lbbbEUlllE1_EE10hipError_tPvRmT2_T3_mT4_P12ihipStream_tbEUlT_E_NS1_11comp_targetILNS1_3genE10ELNS1_11target_archE1201ELNS1_3gpuE5ELNS1_3repE0EEENS1_30default_config_static_selectorELNS0_4arch9wavefront6targetE0EEEvT1_,@function
_ZN7rocprim17ROCPRIM_400000_NS6detail17trampoline_kernelINS0_14default_configENS1_35adjacent_difference_config_selectorILb0ElEEZNS1_24adjacent_difference_implIS3_Lb0ELb0EPlS7_ZN2at6native12_GLOBAL__N_124unique_dim_cuda_templateIiEESt5tupleIJNS8_6TensorESD_SD_EERKSD_lbbbEUlllE1_EE10hipError_tPvRmT2_T3_mT4_P12ihipStream_tbEUlT_E_NS1_11comp_targetILNS1_3genE10ELNS1_11target_archE1201ELNS1_3gpuE5ELNS1_3repE0EEENS1_30default_config_static_selectorELNS0_4arch9wavefront6targetE0EEEvT1_: ; @_ZN7rocprim17ROCPRIM_400000_NS6detail17trampoline_kernelINS0_14default_configENS1_35adjacent_difference_config_selectorILb0ElEEZNS1_24adjacent_difference_implIS3_Lb0ELb0EPlS7_ZN2at6native12_GLOBAL__N_124unique_dim_cuda_templateIiEESt5tupleIJNS8_6TensorESD_SD_EERKSD_lbbbEUlllE1_EE10hipError_tPvRmT2_T3_mT4_P12ihipStream_tbEUlT_E_NS1_11comp_targetILNS1_3genE10ELNS1_11target_archE1201ELNS1_3gpuE5ELNS1_3repE0EEENS1_30default_config_static_selectorELNS0_4arch9wavefront6targetE0EEEvT1_
; %bb.0:
	.section	.rodata,"a",@progbits
	.p2align	6, 0x0
	.amdhsa_kernel _ZN7rocprim17ROCPRIM_400000_NS6detail17trampoline_kernelINS0_14default_configENS1_35adjacent_difference_config_selectorILb0ElEEZNS1_24adjacent_difference_implIS3_Lb0ELb0EPlS7_ZN2at6native12_GLOBAL__N_124unique_dim_cuda_templateIiEESt5tupleIJNS8_6TensorESD_SD_EERKSD_lbbbEUlllE1_EE10hipError_tPvRmT2_T3_mT4_P12ihipStream_tbEUlT_E_NS1_11comp_targetILNS1_3genE10ELNS1_11target_archE1201ELNS1_3gpuE5ELNS1_3repE0EEENS1_30default_config_static_selectorELNS0_4arch9wavefront6targetE0EEEvT1_
		.amdhsa_group_segment_fixed_size 0
		.amdhsa_private_segment_fixed_size 0
		.amdhsa_kernarg_size 64
		.amdhsa_user_sgpr_count 15
		.amdhsa_user_sgpr_dispatch_ptr 0
		.amdhsa_user_sgpr_queue_ptr 0
		.amdhsa_user_sgpr_kernarg_segment_ptr 1
		.amdhsa_user_sgpr_dispatch_id 0
		.amdhsa_user_sgpr_private_segment_size 0
		.amdhsa_wavefront_size32 1
		.amdhsa_uses_dynamic_stack 0
		.amdhsa_enable_private_segment 0
		.amdhsa_system_sgpr_workgroup_id_x 1
		.amdhsa_system_sgpr_workgroup_id_y 0
		.amdhsa_system_sgpr_workgroup_id_z 0
		.amdhsa_system_sgpr_workgroup_info 0
		.amdhsa_system_vgpr_workitem_id 0
		.amdhsa_next_free_vgpr 1
		.amdhsa_next_free_sgpr 1
		.amdhsa_reserve_vcc 0
		.amdhsa_float_round_mode_32 0
		.amdhsa_float_round_mode_16_64 0
		.amdhsa_float_denorm_mode_32 3
		.amdhsa_float_denorm_mode_16_64 3
		.amdhsa_dx10_clamp 1
		.amdhsa_ieee_mode 1
		.amdhsa_fp16_overflow 0
		.amdhsa_workgroup_processor_mode 1
		.amdhsa_memory_ordered 1
		.amdhsa_forward_progress 0
		.amdhsa_shared_vgpr_count 0
		.amdhsa_exception_fp_ieee_invalid_op 0
		.amdhsa_exception_fp_denorm_src 0
		.amdhsa_exception_fp_ieee_div_zero 0
		.amdhsa_exception_fp_ieee_overflow 0
		.amdhsa_exception_fp_ieee_underflow 0
		.amdhsa_exception_fp_ieee_inexact 0
		.amdhsa_exception_int_div_zero 0
	.end_amdhsa_kernel
	.section	.text._ZN7rocprim17ROCPRIM_400000_NS6detail17trampoline_kernelINS0_14default_configENS1_35adjacent_difference_config_selectorILb0ElEEZNS1_24adjacent_difference_implIS3_Lb0ELb0EPlS7_ZN2at6native12_GLOBAL__N_124unique_dim_cuda_templateIiEESt5tupleIJNS8_6TensorESD_SD_EERKSD_lbbbEUlllE1_EE10hipError_tPvRmT2_T3_mT4_P12ihipStream_tbEUlT_E_NS1_11comp_targetILNS1_3genE10ELNS1_11target_archE1201ELNS1_3gpuE5ELNS1_3repE0EEENS1_30default_config_static_selectorELNS0_4arch9wavefront6targetE0EEEvT1_,"axG",@progbits,_ZN7rocprim17ROCPRIM_400000_NS6detail17trampoline_kernelINS0_14default_configENS1_35adjacent_difference_config_selectorILb0ElEEZNS1_24adjacent_difference_implIS3_Lb0ELb0EPlS7_ZN2at6native12_GLOBAL__N_124unique_dim_cuda_templateIiEESt5tupleIJNS8_6TensorESD_SD_EERKSD_lbbbEUlllE1_EE10hipError_tPvRmT2_T3_mT4_P12ihipStream_tbEUlT_E_NS1_11comp_targetILNS1_3genE10ELNS1_11target_archE1201ELNS1_3gpuE5ELNS1_3repE0EEENS1_30default_config_static_selectorELNS0_4arch9wavefront6targetE0EEEvT1_,comdat
.Lfunc_end417:
	.size	_ZN7rocprim17ROCPRIM_400000_NS6detail17trampoline_kernelINS0_14default_configENS1_35adjacent_difference_config_selectorILb0ElEEZNS1_24adjacent_difference_implIS3_Lb0ELb0EPlS7_ZN2at6native12_GLOBAL__N_124unique_dim_cuda_templateIiEESt5tupleIJNS8_6TensorESD_SD_EERKSD_lbbbEUlllE1_EE10hipError_tPvRmT2_T3_mT4_P12ihipStream_tbEUlT_E_NS1_11comp_targetILNS1_3genE10ELNS1_11target_archE1201ELNS1_3gpuE5ELNS1_3repE0EEENS1_30default_config_static_selectorELNS0_4arch9wavefront6targetE0EEEvT1_, .Lfunc_end417-_ZN7rocprim17ROCPRIM_400000_NS6detail17trampoline_kernelINS0_14default_configENS1_35adjacent_difference_config_selectorILb0ElEEZNS1_24adjacent_difference_implIS3_Lb0ELb0EPlS7_ZN2at6native12_GLOBAL__N_124unique_dim_cuda_templateIiEESt5tupleIJNS8_6TensorESD_SD_EERKSD_lbbbEUlllE1_EE10hipError_tPvRmT2_T3_mT4_P12ihipStream_tbEUlT_E_NS1_11comp_targetILNS1_3genE10ELNS1_11target_archE1201ELNS1_3gpuE5ELNS1_3repE0EEENS1_30default_config_static_selectorELNS0_4arch9wavefront6targetE0EEEvT1_
                                        ; -- End function
	.section	.AMDGPU.csdata,"",@progbits
; Kernel info:
; codeLenInByte = 0
; NumSgprs: 0
; NumVgprs: 0
; ScratchSize: 0
; MemoryBound: 0
; FloatMode: 240
; IeeeMode: 1
; LDSByteSize: 0 bytes/workgroup (compile time only)
; SGPRBlocks: 0
; VGPRBlocks: 0
; NumSGPRsForWavesPerEU: 1
; NumVGPRsForWavesPerEU: 1
; Occupancy: 16
; WaveLimiterHint : 0
; COMPUTE_PGM_RSRC2:SCRATCH_EN: 0
; COMPUTE_PGM_RSRC2:USER_SGPR: 15
; COMPUTE_PGM_RSRC2:TRAP_HANDLER: 0
; COMPUTE_PGM_RSRC2:TGID_X_EN: 1
; COMPUTE_PGM_RSRC2:TGID_Y_EN: 0
; COMPUTE_PGM_RSRC2:TGID_Z_EN: 0
; COMPUTE_PGM_RSRC2:TIDIG_COMP_CNT: 0
	.section	.text._ZN7rocprim17ROCPRIM_400000_NS6detail17trampoline_kernelINS0_14default_configENS1_35adjacent_difference_config_selectorILb0ElEEZNS1_24adjacent_difference_implIS3_Lb0ELb0EPlS7_ZN2at6native12_GLOBAL__N_124unique_dim_cuda_templateIiEESt5tupleIJNS8_6TensorESD_SD_EERKSD_lbbbEUlllE1_EE10hipError_tPvRmT2_T3_mT4_P12ihipStream_tbEUlT_E_NS1_11comp_targetILNS1_3genE5ELNS1_11target_archE942ELNS1_3gpuE9ELNS1_3repE0EEENS1_30default_config_static_selectorELNS0_4arch9wavefront6targetE0EEEvT1_,"axG",@progbits,_ZN7rocprim17ROCPRIM_400000_NS6detail17trampoline_kernelINS0_14default_configENS1_35adjacent_difference_config_selectorILb0ElEEZNS1_24adjacent_difference_implIS3_Lb0ELb0EPlS7_ZN2at6native12_GLOBAL__N_124unique_dim_cuda_templateIiEESt5tupleIJNS8_6TensorESD_SD_EERKSD_lbbbEUlllE1_EE10hipError_tPvRmT2_T3_mT4_P12ihipStream_tbEUlT_E_NS1_11comp_targetILNS1_3genE5ELNS1_11target_archE942ELNS1_3gpuE9ELNS1_3repE0EEENS1_30default_config_static_selectorELNS0_4arch9wavefront6targetE0EEEvT1_,comdat
	.globl	_ZN7rocprim17ROCPRIM_400000_NS6detail17trampoline_kernelINS0_14default_configENS1_35adjacent_difference_config_selectorILb0ElEEZNS1_24adjacent_difference_implIS3_Lb0ELb0EPlS7_ZN2at6native12_GLOBAL__N_124unique_dim_cuda_templateIiEESt5tupleIJNS8_6TensorESD_SD_EERKSD_lbbbEUlllE1_EE10hipError_tPvRmT2_T3_mT4_P12ihipStream_tbEUlT_E_NS1_11comp_targetILNS1_3genE5ELNS1_11target_archE942ELNS1_3gpuE9ELNS1_3repE0EEENS1_30default_config_static_selectorELNS0_4arch9wavefront6targetE0EEEvT1_ ; -- Begin function _ZN7rocprim17ROCPRIM_400000_NS6detail17trampoline_kernelINS0_14default_configENS1_35adjacent_difference_config_selectorILb0ElEEZNS1_24adjacent_difference_implIS3_Lb0ELb0EPlS7_ZN2at6native12_GLOBAL__N_124unique_dim_cuda_templateIiEESt5tupleIJNS8_6TensorESD_SD_EERKSD_lbbbEUlllE1_EE10hipError_tPvRmT2_T3_mT4_P12ihipStream_tbEUlT_E_NS1_11comp_targetILNS1_3genE5ELNS1_11target_archE942ELNS1_3gpuE9ELNS1_3repE0EEENS1_30default_config_static_selectorELNS0_4arch9wavefront6targetE0EEEvT1_
	.p2align	8
	.type	_ZN7rocprim17ROCPRIM_400000_NS6detail17trampoline_kernelINS0_14default_configENS1_35adjacent_difference_config_selectorILb0ElEEZNS1_24adjacent_difference_implIS3_Lb0ELb0EPlS7_ZN2at6native12_GLOBAL__N_124unique_dim_cuda_templateIiEESt5tupleIJNS8_6TensorESD_SD_EERKSD_lbbbEUlllE1_EE10hipError_tPvRmT2_T3_mT4_P12ihipStream_tbEUlT_E_NS1_11comp_targetILNS1_3genE5ELNS1_11target_archE942ELNS1_3gpuE9ELNS1_3repE0EEENS1_30default_config_static_selectorELNS0_4arch9wavefront6targetE0EEEvT1_,@function
_ZN7rocprim17ROCPRIM_400000_NS6detail17trampoline_kernelINS0_14default_configENS1_35adjacent_difference_config_selectorILb0ElEEZNS1_24adjacent_difference_implIS3_Lb0ELb0EPlS7_ZN2at6native12_GLOBAL__N_124unique_dim_cuda_templateIiEESt5tupleIJNS8_6TensorESD_SD_EERKSD_lbbbEUlllE1_EE10hipError_tPvRmT2_T3_mT4_P12ihipStream_tbEUlT_E_NS1_11comp_targetILNS1_3genE5ELNS1_11target_archE942ELNS1_3gpuE9ELNS1_3repE0EEENS1_30default_config_static_selectorELNS0_4arch9wavefront6targetE0EEEvT1_: ; @_ZN7rocprim17ROCPRIM_400000_NS6detail17trampoline_kernelINS0_14default_configENS1_35adjacent_difference_config_selectorILb0ElEEZNS1_24adjacent_difference_implIS3_Lb0ELb0EPlS7_ZN2at6native12_GLOBAL__N_124unique_dim_cuda_templateIiEESt5tupleIJNS8_6TensorESD_SD_EERKSD_lbbbEUlllE1_EE10hipError_tPvRmT2_T3_mT4_P12ihipStream_tbEUlT_E_NS1_11comp_targetILNS1_3genE5ELNS1_11target_archE942ELNS1_3gpuE9ELNS1_3repE0EEENS1_30default_config_static_selectorELNS0_4arch9wavefront6targetE0EEEvT1_
; %bb.0:
	.section	.rodata,"a",@progbits
	.p2align	6, 0x0
	.amdhsa_kernel _ZN7rocprim17ROCPRIM_400000_NS6detail17trampoline_kernelINS0_14default_configENS1_35adjacent_difference_config_selectorILb0ElEEZNS1_24adjacent_difference_implIS3_Lb0ELb0EPlS7_ZN2at6native12_GLOBAL__N_124unique_dim_cuda_templateIiEESt5tupleIJNS8_6TensorESD_SD_EERKSD_lbbbEUlllE1_EE10hipError_tPvRmT2_T3_mT4_P12ihipStream_tbEUlT_E_NS1_11comp_targetILNS1_3genE5ELNS1_11target_archE942ELNS1_3gpuE9ELNS1_3repE0EEENS1_30default_config_static_selectorELNS0_4arch9wavefront6targetE0EEEvT1_
		.amdhsa_group_segment_fixed_size 0
		.amdhsa_private_segment_fixed_size 0
		.amdhsa_kernarg_size 64
		.amdhsa_user_sgpr_count 15
		.amdhsa_user_sgpr_dispatch_ptr 0
		.amdhsa_user_sgpr_queue_ptr 0
		.amdhsa_user_sgpr_kernarg_segment_ptr 1
		.amdhsa_user_sgpr_dispatch_id 0
		.amdhsa_user_sgpr_private_segment_size 0
		.amdhsa_wavefront_size32 1
		.amdhsa_uses_dynamic_stack 0
		.amdhsa_enable_private_segment 0
		.amdhsa_system_sgpr_workgroup_id_x 1
		.amdhsa_system_sgpr_workgroup_id_y 0
		.amdhsa_system_sgpr_workgroup_id_z 0
		.amdhsa_system_sgpr_workgroup_info 0
		.amdhsa_system_vgpr_workitem_id 0
		.amdhsa_next_free_vgpr 1
		.amdhsa_next_free_sgpr 1
		.amdhsa_reserve_vcc 0
		.amdhsa_float_round_mode_32 0
		.amdhsa_float_round_mode_16_64 0
		.amdhsa_float_denorm_mode_32 3
		.amdhsa_float_denorm_mode_16_64 3
		.amdhsa_dx10_clamp 1
		.amdhsa_ieee_mode 1
		.amdhsa_fp16_overflow 0
		.amdhsa_workgroup_processor_mode 1
		.amdhsa_memory_ordered 1
		.amdhsa_forward_progress 0
		.amdhsa_shared_vgpr_count 0
		.amdhsa_exception_fp_ieee_invalid_op 0
		.amdhsa_exception_fp_denorm_src 0
		.amdhsa_exception_fp_ieee_div_zero 0
		.amdhsa_exception_fp_ieee_overflow 0
		.amdhsa_exception_fp_ieee_underflow 0
		.amdhsa_exception_fp_ieee_inexact 0
		.amdhsa_exception_int_div_zero 0
	.end_amdhsa_kernel
	.section	.text._ZN7rocprim17ROCPRIM_400000_NS6detail17trampoline_kernelINS0_14default_configENS1_35adjacent_difference_config_selectorILb0ElEEZNS1_24adjacent_difference_implIS3_Lb0ELb0EPlS7_ZN2at6native12_GLOBAL__N_124unique_dim_cuda_templateIiEESt5tupleIJNS8_6TensorESD_SD_EERKSD_lbbbEUlllE1_EE10hipError_tPvRmT2_T3_mT4_P12ihipStream_tbEUlT_E_NS1_11comp_targetILNS1_3genE5ELNS1_11target_archE942ELNS1_3gpuE9ELNS1_3repE0EEENS1_30default_config_static_selectorELNS0_4arch9wavefront6targetE0EEEvT1_,"axG",@progbits,_ZN7rocprim17ROCPRIM_400000_NS6detail17trampoline_kernelINS0_14default_configENS1_35adjacent_difference_config_selectorILb0ElEEZNS1_24adjacent_difference_implIS3_Lb0ELb0EPlS7_ZN2at6native12_GLOBAL__N_124unique_dim_cuda_templateIiEESt5tupleIJNS8_6TensorESD_SD_EERKSD_lbbbEUlllE1_EE10hipError_tPvRmT2_T3_mT4_P12ihipStream_tbEUlT_E_NS1_11comp_targetILNS1_3genE5ELNS1_11target_archE942ELNS1_3gpuE9ELNS1_3repE0EEENS1_30default_config_static_selectorELNS0_4arch9wavefront6targetE0EEEvT1_,comdat
.Lfunc_end418:
	.size	_ZN7rocprim17ROCPRIM_400000_NS6detail17trampoline_kernelINS0_14default_configENS1_35adjacent_difference_config_selectorILb0ElEEZNS1_24adjacent_difference_implIS3_Lb0ELb0EPlS7_ZN2at6native12_GLOBAL__N_124unique_dim_cuda_templateIiEESt5tupleIJNS8_6TensorESD_SD_EERKSD_lbbbEUlllE1_EE10hipError_tPvRmT2_T3_mT4_P12ihipStream_tbEUlT_E_NS1_11comp_targetILNS1_3genE5ELNS1_11target_archE942ELNS1_3gpuE9ELNS1_3repE0EEENS1_30default_config_static_selectorELNS0_4arch9wavefront6targetE0EEEvT1_, .Lfunc_end418-_ZN7rocprim17ROCPRIM_400000_NS6detail17trampoline_kernelINS0_14default_configENS1_35adjacent_difference_config_selectorILb0ElEEZNS1_24adjacent_difference_implIS3_Lb0ELb0EPlS7_ZN2at6native12_GLOBAL__N_124unique_dim_cuda_templateIiEESt5tupleIJNS8_6TensorESD_SD_EERKSD_lbbbEUlllE1_EE10hipError_tPvRmT2_T3_mT4_P12ihipStream_tbEUlT_E_NS1_11comp_targetILNS1_3genE5ELNS1_11target_archE942ELNS1_3gpuE9ELNS1_3repE0EEENS1_30default_config_static_selectorELNS0_4arch9wavefront6targetE0EEEvT1_
                                        ; -- End function
	.section	.AMDGPU.csdata,"",@progbits
; Kernel info:
; codeLenInByte = 0
; NumSgprs: 0
; NumVgprs: 0
; ScratchSize: 0
; MemoryBound: 0
; FloatMode: 240
; IeeeMode: 1
; LDSByteSize: 0 bytes/workgroup (compile time only)
; SGPRBlocks: 0
; VGPRBlocks: 0
; NumSGPRsForWavesPerEU: 1
; NumVGPRsForWavesPerEU: 1
; Occupancy: 16
; WaveLimiterHint : 0
; COMPUTE_PGM_RSRC2:SCRATCH_EN: 0
; COMPUTE_PGM_RSRC2:USER_SGPR: 15
; COMPUTE_PGM_RSRC2:TRAP_HANDLER: 0
; COMPUTE_PGM_RSRC2:TGID_X_EN: 1
; COMPUTE_PGM_RSRC2:TGID_Y_EN: 0
; COMPUTE_PGM_RSRC2:TGID_Z_EN: 0
; COMPUTE_PGM_RSRC2:TIDIG_COMP_CNT: 0
	.section	.text._ZN7rocprim17ROCPRIM_400000_NS6detail17trampoline_kernelINS0_14default_configENS1_35adjacent_difference_config_selectorILb0ElEEZNS1_24adjacent_difference_implIS3_Lb0ELb0EPlS7_ZN2at6native12_GLOBAL__N_124unique_dim_cuda_templateIiEESt5tupleIJNS8_6TensorESD_SD_EERKSD_lbbbEUlllE1_EE10hipError_tPvRmT2_T3_mT4_P12ihipStream_tbEUlT_E_NS1_11comp_targetILNS1_3genE4ELNS1_11target_archE910ELNS1_3gpuE8ELNS1_3repE0EEENS1_30default_config_static_selectorELNS0_4arch9wavefront6targetE0EEEvT1_,"axG",@progbits,_ZN7rocprim17ROCPRIM_400000_NS6detail17trampoline_kernelINS0_14default_configENS1_35adjacent_difference_config_selectorILb0ElEEZNS1_24adjacent_difference_implIS3_Lb0ELb0EPlS7_ZN2at6native12_GLOBAL__N_124unique_dim_cuda_templateIiEESt5tupleIJNS8_6TensorESD_SD_EERKSD_lbbbEUlllE1_EE10hipError_tPvRmT2_T3_mT4_P12ihipStream_tbEUlT_E_NS1_11comp_targetILNS1_3genE4ELNS1_11target_archE910ELNS1_3gpuE8ELNS1_3repE0EEENS1_30default_config_static_selectorELNS0_4arch9wavefront6targetE0EEEvT1_,comdat
	.globl	_ZN7rocprim17ROCPRIM_400000_NS6detail17trampoline_kernelINS0_14default_configENS1_35adjacent_difference_config_selectorILb0ElEEZNS1_24adjacent_difference_implIS3_Lb0ELb0EPlS7_ZN2at6native12_GLOBAL__N_124unique_dim_cuda_templateIiEESt5tupleIJNS8_6TensorESD_SD_EERKSD_lbbbEUlllE1_EE10hipError_tPvRmT2_T3_mT4_P12ihipStream_tbEUlT_E_NS1_11comp_targetILNS1_3genE4ELNS1_11target_archE910ELNS1_3gpuE8ELNS1_3repE0EEENS1_30default_config_static_selectorELNS0_4arch9wavefront6targetE0EEEvT1_ ; -- Begin function _ZN7rocprim17ROCPRIM_400000_NS6detail17trampoline_kernelINS0_14default_configENS1_35adjacent_difference_config_selectorILb0ElEEZNS1_24adjacent_difference_implIS3_Lb0ELb0EPlS7_ZN2at6native12_GLOBAL__N_124unique_dim_cuda_templateIiEESt5tupleIJNS8_6TensorESD_SD_EERKSD_lbbbEUlllE1_EE10hipError_tPvRmT2_T3_mT4_P12ihipStream_tbEUlT_E_NS1_11comp_targetILNS1_3genE4ELNS1_11target_archE910ELNS1_3gpuE8ELNS1_3repE0EEENS1_30default_config_static_selectorELNS0_4arch9wavefront6targetE0EEEvT1_
	.p2align	8
	.type	_ZN7rocprim17ROCPRIM_400000_NS6detail17trampoline_kernelINS0_14default_configENS1_35adjacent_difference_config_selectorILb0ElEEZNS1_24adjacent_difference_implIS3_Lb0ELb0EPlS7_ZN2at6native12_GLOBAL__N_124unique_dim_cuda_templateIiEESt5tupleIJNS8_6TensorESD_SD_EERKSD_lbbbEUlllE1_EE10hipError_tPvRmT2_T3_mT4_P12ihipStream_tbEUlT_E_NS1_11comp_targetILNS1_3genE4ELNS1_11target_archE910ELNS1_3gpuE8ELNS1_3repE0EEENS1_30default_config_static_selectorELNS0_4arch9wavefront6targetE0EEEvT1_,@function
_ZN7rocprim17ROCPRIM_400000_NS6detail17trampoline_kernelINS0_14default_configENS1_35adjacent_difference_config_selectorILb0ElEEZNS1_24adjacent_difference_implIS3_Lb0ELb0EPlS7_ZN2at6native12_GLOBAL__N_124unique_dim_cuda_templateIiEESt5tupleIJNS8_6TensorESD_SD_EERKSD_lbbbEUlllE1_EE10hipError_tPvRmT2_T3_mT4_P12ihipStream_tbEUlT_E_NS1_11comp_targetILNS1_3genE4ELNS1_11target_archE910ELNS1_3gpuE8ELNS1_3repE0EEENS1_30default_config_static_selectorELNS0_4arch9wavefront6targetE0EEEvT1_: ; @_ZN7rocprim17ROCPRIM_400000_NS6detail17trampoline_kernelINS0_14default_configENS1_35adjacent_difference_config_selectorILb0ElEEZNS1_24adjacent_difference_implIS3_Lb0ELb0EPlS7_ZN2at6native12_GLOBAL__N_124unique_dim_cuda_templateIiEESt5tupleIJNS8_6TensorESD_SD_EERKSD_lbbbEUlllE1_EE10hipError_tPvRmT2_T3_mT4_P12ihipStream_tbEUlT_E_NS1_11comp_targetILNS1_3genE4ELNS1_11target_archE910ELNS1_3gpuE8ELNS1_3repE0EEENS1_30default_config_static_selectorELNS0_4arch9wavefront6targetE0EEEvT1_
; %bb.0:
	.section	.rodata,"a",@progbits
	.p2align	6, 0x0
	.amdhsa_kernel _ZN7rocprim17ROCPRIM_400000_NS6detail17trampoline_kernelINS0_14default_configENS1_35adjacent_difference_config_selectorILb0ElEEZNS1_24adjacent_difference_implIS3_Lb0ELb0EPlS7_ZN2at6native12_GLOBAL__N_124unique_dim_cuda_templateIiEESt5tupleIJNS8_6TensorESD_SD_EERKSD_lbbbEUlllE1_EE10hipError_tPvRmT2_T3_mT4_P12ihipStream_tbEUlT_E_NS1_11comp_targetILNS1_3genE4ELNS1_11target_archE910ELNS1_3gpuE8ELNS1_3repE0EEENS1_30default_config_static_selectorELNS0_4arch9wavefront6targetE0EEEvT1_
		.amdhsa_group_segment_fixed_size 0
		.amdhsa_private_segment_fixed_size 0
		.amdhsa_kernarg_size 64
		.amdhsa_user_sgpr_count 15
		.amdhsa_user_sgpr_dispatch_ptr 0
		.amdhsa_user_sgpr_queue_ptr 0
		.amdhsa_user_sgpr_kernarg_segment_ptr 1
		.amdhsa_user_sgpr_dispatch_id 0
		.amdhsa_user_sgpr_private_segment_size 0
		.amdhsa_wavefront_size32 1
		.amdhsa_uses_dynamic_stack 0
		.amdhsa_enable_private_segment 0
		.amdhsa_system_sgpr_workgroup_id_x 1
		.amdhsa_system_sgpr_workgroup_id_y 0
		.amdhsa_system_sgpr_workgroup_id_z 0
		.amdhsa_system_sgpr_workgroup_info 0
		.amdhsa_system_vgpr_workitem_id 0
		.amdhsa_next_free_vgpr 1
		.amdhsa_next_free_sgpr 1
		.amdhsa_reserve_vcc 0
		.amdhsa_float_round_mode_32 0
		.amdhsa_float_round_mode_16_64 0
		.amdhsa_float_denorm_mode_32 3
		.amdhsa_float_denorm_mode_16_64 3
		.amdhsa_dx10_clamp 1
		.amdhsa_ieee_mode 1
		.amdhsa_fp16_overflow 0
		.amdhsa_workgroup_processor_mode 1
		.amdhsa_memory_ordered 1
		.amdhsa_forward_progress 0
		.amdhsa_shared_vgpr_count 0
		.amdhsa_exception_fp_ieee_invalid_op 0
		.amdhsa_exception_fp_denorm_src 0
		.amdhsa_exception_fp_ieee_div_zero 0
		.amdhsa_exception_fp_ieee_overflow 0
		.amdhsa_exception_fp_ieee_underflow 0
		.amdhsa_exception_fp_ieee_inexact 0
		.amdhsa_exception_int_div_zero 0
	.end_amdhsa_kernel
	.section	.text._ZN7rocprim17ROCPRIM_400000_NS6detail17trampoline_kernelINS0_14default_configENS1_35adjacent_difference_config_selectorILb0ElEEZNS1_24adjacent_difference_implIS3_Lb0ELb0EPlS7_ZN2at6native12_GLOBAL__N_124unique_dim_cuda_templateIiEESt5tupleIJNS8_6TensorESD_SD_EERKSD_lbbbEUlllE1_EE10hipError_tPvRmT2_T3_mT4_P12ihipStream_tbEUlT_E_NS1_11comp_targetILNS1_3genE4ELNS1_11target_archE910ELNS1_3gpuE8ELNS1_3repE0EEENS1_30default_config_static_selectorELNS0_4arch9wavefront6targetE0EEEvT1_,"axG",@progbits,_ZN7rocprim17ROCPRIM_400000_NS6detail17trampoline_kernelINS0_14default_configENS1_35adjacent_difference_config_selectorILb0ElEEZNS1_24adjacent_difference_implIS3_Lb0ELb0EPlS7_ZN2at6native12_GLOBAL__N_124unique_dim_cuda_templateIiEESt5tupleIJNS8_6TensorESD_SD_EERKSD_lbbbEUlllE1_EE10hipError_tPvRmT2_T3_mT4_P12ihipStream_tbEUlT_E_NS1_11comp_targetILNS1_3genE4ELNS1_11target_archE910ELNS1_3gpuE8ELNS1_3repE0EEENS1_30default_config_static_selectorELNS0_4arch9wavefront6targetE0EEEvT1_,comdat
.Lfunc_end419:
	.size	_ZN7rocprim17ROCPRIM_400000_NS6detail17trampoline_kernelINS0_14default_configENS1_35adjacent_difference_config_selectorILb0ElEEZNS1_24adjacent_difference_implIS3_Lb0ELb0EPlS7_ZN2at6native12_GLOBAL__N_124unique_dim_cuda_templateIiEESt5tupleIJNS8_6TensorESD_SD_EERKSD_lbbbEUlllE1_EE10hipError_tPvRmT2_T3_mT4_P12ihipStream_tbEUlT_E_NS1_11comp_targetILNS1_3genE4ELNS1_11target_archE910ELNS1_3gpuE8ELNS1_3repE0EEENS1_30default_config_static_selectorELNS0_4arch9wavefront6targetE0EEEvT1_, .Lfunc_end419-_ZN7rocprim17ROCPRIM_400000_NS6detail17trampoline_kernelINS0_14default_configENS1_35adjacent_difference_config_selectorILb0ElEEZNS1_24adjacent_difference_implIS3_Lb0ELb0EPlS7_ZN2at6native12_GLOBAL__N_124unique_dim_cuda_templateIiEESt5tupleIJNS8_6TensorESD_SD_EERKSD_lbbbEUlllE1_EE10hipError_tPvRmT2_T3_mT4_P12ihipStream_tbEUlT_E_NS1_11comp_targetILNS1_3genE4ELNS1_11target_archE910ELNS1_3gpuE8ELNS1_3repE0EEENS1_30default_config_static_selectorELNS0_4arch9wavefront6targetE0EEEvT1_
                                        ; -- End function
	.section	.AMDGPU.csdata,"",@progbits
; Kernel info:
; codeLenInByte = 0
; NumSgprs: 0
; NumVgprs: 0
; ScratchSize: 0
; MemoryBound: 0
; FloatMode: 240
; IeeeMode: 1
; LDSByteSize: 0 bytes/workgroup (compile time only)
; SGPRBlocks: 0
; VGPRBlocks: 0
; NumSGPRsForWavesPerEU: 1
; NumVGPRsForWavesPerEU: 1
; Occupancy: 16
; WaveLimiterHint : 0
; COMPUTE_PGM_RSRC2:SCRATCH_EN: 0
; COMPUTE_PGM_RSRC2:USER_SGPR: 15
; COMPUTE_PGM_RSRC2:TRAP_HANDLER: 0
; COMPUTE_PGM_RSRC2:TGID_X_EN: 1
; COMPUTE_PGM_RSRC2:TGID_Y_EN: 0
; COMPUTE_PGM_RSRC2:TGID_Z_EN: 0
; COMPUTE_PGM_RSRC2:TIDIG_COMP_CNT: 0
	.section	.text._ZN7rocprim17ROCPRIM_400000_NS6detail17trampoline_kernelINS0_14default_configENS1_35adjacent_difference_config_selectorILb0ElEEZNS1_24adjacent_difference_implIS3_Lb0ELb0EPlS7_ZN2at6native12_GLOBAL__N_124unique_dim_cuda_templateIiEESt5tupleIJNS8_6TensorESD_SD_EERKSD_lbbbEUlllE1_EE10hipError_tPvRmT2_T3_mT4_P12ihipStream_tbEUlT_E_NS1_11comp_targetILNS1_3genE3ELNS1_11target_archE908ELNS1_3gpuE7ELNS1_3repE0EEENS1_30default_config_static_selectorELNS0_4arch9wavefront6targetE0EEEvT1_,"axG",@progbits,_ZN7rocprim17ROCPRIM_400000_NS6detail17trampoline_kernelINS0_14default_configENS1_35adjacent_difference_config_selectorILb0ElEEZNS1_24adjacent_difference_implIS3_Lb0ELb0EPlS7_ZN2at6native12_GLOBAL__N_124unique_dim_cuda_templateIiEESt5tupleIJNS8_6TensorESD_SD_EERKSD_lbbbEUlllE1_EE10hipError_tPvRmT2_T3_mT4_P12ihipStream_tbEUlT_E_NS1_11comp_targetILNS1_3genE3ELNS1_11target_archE908ELNS1_3gpuE7ELNS1_3repE0EEENS1_30default_config_static_selectorELNS0_4arch9wavefront6targetE0EEEvT1_,comdat
	.globl	_ZN7rocprim17ROCPRIM_400000_NS6detail17trampoline_kernelINS0_14default_configENS1_35adjacent_difference_config_selectorILb0ElEEZNS1_24adjacent_difference_implIS3_Lb0ELb0EPlS7_ZN2at6native12_GLOBAL__N_124unique_dim_cuda_templateIiEESt5tupleIJNS8_6TensorESD_SD_EERKSD_lbbbEUlllE1_EE10hipError_tPvRmT2_T3_mT4_P12ihipStream_tbEUlT_E_NS1_11comp_targetILNS1_3genE3ELNS1_11target_archE908ELNS1_3gpuE7ELNS1_3repE0EEENS1_30default_config_static_selectorELNS0_4arch9wavefront6targetE0EEEvT1_ ; -- Begin function _ZN7rocprim17ROCPRIM_400000_NS6detail17trampoline_kernelINS0_14default_configENS1_35adjacent_difference_config_selectorILb0ElEEZNS1_24adjacent_difference_implIS3_Lb0ELb0EPlS7_ZN2at6native12_GLOBAL__N_124unique_dim_cuda_templateIiEESt5tupleIJNS8_6TensorESD_SD_EERKSD_lbbbEUlllE1_EE10hipError_tPvRmT2_T3_mT4_P12ihipStream_tbEUlT_E_NS1_11comp_targetILNS1_3genE3ELNS1_11target_archE908ELNS1_3gpuE7ELNS1_3repE0EEENS1_30default_config_static_selectorELNS0_4arch9wavefront6targetE0EEEvT1_
	.p2align	8
	.type	_ZN7rocprim17ROCPRIM_400000_NS6detail17trampoline_kernelINS0_14default_configENS1_35adjacent_difference_config_selectorILb0ElEEZNS1_24adjacent_difference_implIS3_Lb0ELb0EPlS7_ZN2at6native12_GLOBAL__N_124unique_dim_cuda_templateIiEESt5tupleIJNS8_6TensorESD_SD_EERKSD_lbbbEUlllE1_EE10hipError_tPvRmT2_T3_mT4_P12ihipStream_tbEUlT_E_NS1_11comp_targetILNS1_3genE3ELNS1_11target_archE908ELNS1_3gpuE7ELNS1_3repE0EEENS1_30default_config_static_selectorELNS0_4arch9wavefront6targetE0EEEvT1_,@function
_ZN7rocprim17ROCPRIM_400000_NS6detail17trampoline_kernelINS0_14default_configENS1_35adjacent_difference_config_selectorILb0ElEEZNS1_24adjacent_difference_implIS3_Lb0ELb0EPlS7_ZN2at6native12_GLOBAL__N_124unique_dim_cuda_templateIiEESt5tupleIJNS8_6TensorESD_SD_EERKSD_lbbbEUlllE1_EE10hipError_tPvRmT2_T3_mT4_P12ihipStream_tbEUlT_E_NS1_11comp_targetILNS1_3genE3ELNS1_11target_archE908ELNS1_3gpuE7ELNS1_3repE0EEENS1_30default_config_static_selectorELNS0_4arch9wavefront6targetE0EEEvT1_: ; @_ZN7rocprim17ROCPRIM_400000_NS6detail17trampoline_kernelINS0_14default_configENS1_35adjacent_difference_config_selectorILb0ElEEZNS1_24adjacent_difference_implIS3_Lb0ELb0EPlS7_ZN2at6native12_GLOBAL__N_124unique_dim_cuda_templateIiEESt5tupleIJNS8_6TensorESD_SD_EERKSD_lbbbEUlllE1_EE10hipError_tPvRmT2_T3_mT4_P12ihipStream_tbEUlT_E_NS1_11comp_targetILNS1_3genE3ELNS1_11target_archE908ELNS1_3gpuE7ELNS1_3repE0EEENS1_30default_config_static_selectorELNS0_4arch9wavefront6targetE0EEEvT1_
; %bb.0:
	.section	.rodata,"a",@progbits
	.p2align	6, 0x0
	.amdhsa_kernel _ZN7rocprim17ROCPRIM_400000_NS6detail17trampoline_kernelINS0_14default_configENS1_35adjacent_difference_config_selectorILb0ElEEZNS1_24adjacent_difference_implIS3_Lb0ELb0EPlS7_ZN2at6native12_GLOBAL__N_124unique_dim_cuda_templateIiEESt5tupleIJNS8_6TensorESD_SD_EERKSD_lbbbEUlllE1_EE10hipError_tPvRmT2_T3_mT4_P12ihipStream_tbEUlT_E_NS1_11comp_targetILNS1_3genE3ELNS1_11target_archE908ELNS1_3gpuE7ELNS1_3repE0EEENS1_30default_config_static_selectorELNS0_4arch9wavefront6targetE0EEEvT1_
		.amdhsa_group_segment_fixed_size 0
		.amdhsa_private_segment_fixed_size 0
		.amdhsa_kernarg_size 64
		.amdhsa_user_sgpr_count 15
		.amdhsa_user_sgpr_dispatch_ptr 0
		.amdhsa_user_sgpr_queue_ptr 0
		.amdhsa_user_sgpr_kernarg_segment_ptr 1
		.amdhsa_user_sgpr_dispatch_id 0
		.amdhsa_user_sgpr_private_segment_size 0
		.amdhsa_wavefront_size32 1
		.amdhsa_uses_dynamic_stack 0
		.amdhsa_enable_private_segment 0
		.amdhsa_system_sgpr_workgroup_id_x 1
		.amdhsa_system_sgpr_workgroup_id_y 0
		.amdhsa_system_sgpr_workgroup_id_z 0
		.amdhsa_system_sgpr_workgroup_info 0
		.amdhsa_system_vgpr_workitem_id 0
		.amdhsa_next_free_vgpr 1
		.amdhsa_next_free_sgpr 1
		.amdhsa_reserve_vcc 0
		.amdhsa_float_round_mode_32 0
		.amdhsa_float_round_mode_16_64 0
		.amdhsa_float_denorm_mode_32 3
		.amdhsa_float_denorm_mode_16_64 3
		.amdhsa_dx10_clamp 1
		.amdhsa_ieee_mode 1
		.amdhsa_fp16_overflow 0
		.amdhsa_workgroup_processor_mode 1
		.amdhsa_memory_ordered 1
		.amdhsa_forward_progress 0
		.amdhsa_shared_vgpr_count 0
		.amdhsa_exception_fp_ieee_invalid_op 0
		.amdhsa_exception_fp_denorm_src 0
		.amdhsa_exception_fp_ieee_div_zero 0
		.amdhsa_exception_fp_ieee_overflow 0
		.amdhsa_exception_fp_ieee_underflow 0
		.amdhsa_exception_fp_ieee_inexact 0
		.amdhsa_exception_int_div_zero 0
	.end_amdhsa_kernel
	.section	.text._ZN7rocprim17ROCPRIM_400000_NS6detail17trampoline_kernelINS0_14default_configENS1_35adjacent_difference_config_selectorILb0ElEEZNS1_24adjacent_difference_implIS3_Lb0ELb0EPlS7_ZN2at6native12_GLOBAL__N_124unique_dim_cuda_templateIiEESt5tupleIJNS8_6TensorESD_SD_EERKSD_lbbbEUlllE1_EE10hipError_tPvRmT2_T3_mT4_P12ihipStream_tbEUlT_E_NS1_11comp_targetILNS1_3genE3ELNS1_11target_archE908ELNS1_3gpuE7ELNS1_3repE0EEENS1_30default_config_static_selectorELNS0_4arch9wavefront6targetE0EEEvT1_,"axG",@progbits,_ZN7rocprim17ROCPRIM_400000_NS6detail17trampoline_kernelINS0_14default_configENS1_35adjacent_difference_config_selectorILb0ElEEZNS1_24adjacent_difference_implIS3_Lb0ELb0EPlS7_ZN2at6native12_GLOBAL__N_124unique_dim_cuda_templateIiEESt5tupleIJNS8_6TensorESD_SD_EERKSD_lbbbEUlllE1_EE10hipError_tPvRmT2_T3_mT4_P12ihipStream_tbEUlT_E_NS1_11comp_targetILNS1_3genE3ELNS1_11target_archE908ELNS1_3gpuE7ELNS1_3repE0EEENS1_30default_config_static_selectorELNS0_4arch9wavefront6targetE0EEEvT1_,comdat
.Lfunc_end420:
	.size	_ZN7rocprim17ROCPRIM_400000_NS6detail17trampoline_kernelINS0_14default_configENS1_35adjacent_difference_config_selectorILb0ElEEZNS1_24adjacent_difference_implIS3_Lb0ELb0EPlS7_ZN2at6native12_GLOBAL__N_124unique_dim_cuda_templateIiEESt5tupleIJNS8_6TensorESD_SD_EERKSD_lbbbEUlllE1_EE10hipError_tPvRmT2_T3_mT4_P12ihipStream_tbEUlT_E_NS1_11comp_targetILNS1_3genE3ELNS1_11target_archE908ELNS1_3gpuE7ELNS1_3repE0EEENS1_30default_config_static_selectorELNS0_4arch9wavefront6targetE0EEEvT1_, .Lfunc_end420-_ZN7rocprim17ROCPRIM_400000_NS6detail17trampoline_kernelINS0_14default_configENS1_35adjacent_difference_config_selectorILb0ElEEZNS1_24adjacent_difference_implIS3_Lb0ELb0EPlS7_ZN2at6native12_GLOBAL__N_124unique_dim_cuda_templateIiEESt5tupleIJNS8_6TensorESD_SD_EERKSD_lbbbEUlllE1_EE10hipError_tPvRmT2_T3_mT4_P12ihipStream_tbEUlT_E_NS1_11comp_targetILNS1_3genE3ELNS1_11target_archE908ELNS1_3gpuE7ELNS1_3repE0EEENS1_30default_config_static_selectorELNS0_4arch9wavefront6targetE0EEEvT1_
                                        ; -- End function
	.section	.AMDGPU.csdata,"",@progbits
; Kernel info:
; codeLenInByte = 0
; NumSgprs: 0
; NumVgprs: 0
; ScratchSize: 0
; MemoryBound: 0
; FloatMode: 240
; IeeeMode: 1
; LDSByteSize: 0 bytes/workgroup (compile time only)
; SGPRBlocks: 0
; VGPRBlocks: 0
; NumSGPRsForWavesPerEU: 1
; NumVGPRsForWavesPerEU: 1
; Occupancy: 16
; WaveLimiterHint : 0
; COMPUTE_PGM_RSRC2:SCRATCH_EN: 0
; COMPUTE_PGM_RSRC2:USER_SGPR: 15
; COMPUTE_PGM_RSRC2:TRAP_HANDLER: 0
; COMPUTE_PGM_RSRC2:TGID_X_EN: 1
; COMPUTE_PGM_RSRC2:TGID_Y_EN: 0
; COMPUTE_PGM_RSRC2:TGID_Z_EN: 0
; COMPUTE_PGM_RSRC2:TIDIG_COMP_CNT: 0
	.section	.text._ZN7rocprim17ROCPRIM_400000_NS6detail17trampoline_kernelINS0_14default_configENS1_35adjacent_difference_config_selectorILb0ElEEZNS1_24adjacent_difference_implIS3_Lb0ELb0EPlS7_ZN2at6native12_GLOBAL__N_124unique_dim_cuda_templateIiEESt5tupleIJNS8_6TensorESD_SD_EERKSD_lbbbEUlllE1_EE10hipError_tPvRmT2_T3_mT4_P12ihipStream_tbEUlT_E_NS1_11comp_targetILNS1_3genE2ELNS1_11target_archE906ELNS1_3gpuE6ELNS1_3repE0EEENS1_30default_config_static_selectorELNS0_4arch9wavefront6targetE0EEEvT1_,"axG",@progbits,_ZN7rocprim17ROCPRIM_400000_NS6detail17trampoline_kernelINS0_14default_configENS1_35adjacent_difference_config_selectorILb0ElEEZNS1_24adjacent_difference_implIS3_Lb0ELb0EPlS7_ZN2at6native12_GLOBAL__N_124unique_dim_cuda_templateIiEESt5tupleIJNS8_6TensorESD_SD_EERKSD_lbbbEUlllE1_EE10hipError_tPvRmT2_T3_mT4_P12ihipStream_tbEUlT_E_NS1_11comp_targetILNS1_3genE2ELNS1_11target_archE906ELNS1_3gpuE6ELNS1_3repE0EEENS1_30default_config_static_selectorELNS0_4arch9wavefront6targetE0EEEvT1_,comdat
	.globl	_ZN7rocprim17ROCPRIM_400000_NS6detail17trampoline_kernelINS0_14default_configENS1_35adjacent_difference_config_selectorILb0ElEEZNS1_24adjacent_difference_implIS3_Lb0ELb0EPlS7_ZN2at6native12_GLOBAL__N_124unique_dim_cuda_templateIiEESt5tupleIJNS8_6TensorESD_SD_EERKSD_lbbbEUlllE1_EE10hipError_tPvRmT2_T3_mT4_P12ihipStream_tbEUlT_E_NS1_11comp_targetILNS1_3genE2ELNS1_11target_archE906ELNS1_3gpuE6ELNS1_3repE0EEENS1_30default_config_static_selectorELNS0_4arch9wavefront6targetE0EEEvT1_ ; -- Begin function _ZN7rocprim17ROCPRIM_400000_NS6detail17trampoline_kernelINS0_14default_configENS1_35adjacent_difference_config_selectorILb0ElEEZNS1_24adjacent_difference_implIS3_Lb0ELb0EPlS7_ZN2at6native12_GLOBAL__N_124unique_dim_cuda_templateIiEESt5tupleIJNS8_6TensorESD_SD_EERKSD_lbbbEUlllE1_EE10hipError_tPvRmT2_T3_mT4_P12ihipStream_tbEUlT_E_NS1_11comp_targetILNS1_3genE2ELNS1_11target_archE906ELNS1_3gpuE6ELNS1_3repE0EEENS1_30default_config_static_selectorELNS0_4arch9wavefront6targetE0EEEvT1_
	.p2align	8
	.type	_ZN7rocprim17ROCPRIM_400000_NS6detail17trampoline_kernelINS0_14default_configENS1_35adjacent_difference_config_selectorILb0ElEEZNS1_24adjacent_difference_implIS3_Lb0ELb0EPlS7_ZN2at6native12_GLOBAL__N_124unique_dim_cuda_templateIiEESt5tupleIJNS8_6TensorESD_SD_EERKSD_lbbbEUlllE1_EE10hipError_tPvRmT2_T3_mT4_P12ihipStream_tbEUlT_E_NS1_11comp_targetILNS1_3genE2ELNS1_11target_archE906ELNS1_3gpuE6ELNS1_3repE0EEENS1_30default_config_static_selectorELNS0_4arch9wavefront6targetE0EEEvT1_,@function
_ZN7rocprim17ROCPRIM_400000_NS6detail17trampoline_kernelINS0_14default_configENS1_35adjacent_difference_config_selectorILb0ElEEZNS1_24adjacent_difference_implIS3_Lb0ELb0EPlS7_ZN2at6native12_GLOBAL__N_124unique_dim_cuda_templateIiEESt5tupleIJNS8_6TensorESD_SD_EERKSD_lbbbEUlllE1_EE10hipError_tPvRmT2_T3_mT4_P12ihipStream_tbEUlT_E_NS1_11comp_targetILNS1_3genE2ELNS1_11target_archE906ELNS1_3gpuE6ELNS1_3repE0EEENS1_30default_config_static_selectorELNS0_4arch9wavefront6targetE0EEEvT1_: ; @_ZN7rocprim17ROCPRIM_400000_NS6detail17trampoline_kernelINS0_14default_configENS1_35adjacent_difference_config_selectorILb0ElEEZNS1_24adjacent_difference_implIS3_Lb0ELb0EPlS7_ZN2at6native12_GLOBAL__N_124unique_dim_cuda_templateIiEESt5tupleIJNS8_6TensorESD_SD_EERKSD_lbbbEUlllE1_EE10hipError_tPvRmT2_T3_mT4_P12ihipStream_tbEUlT_E_NS1_11comp_targetILNS1_3genE2ELNS1_11target_archE906ELNS1_3gpuE6ELNS1_3repE0EEENS1_30default_config_static_selectorELNS0_4arch9wavefront6targetE0EEEvT1_
; %bb.0:
	.section	.rodata,"a",@progbits
	.p2align	6, 0x0
	.amdhsa_kernel _ZN7rocprim17ROCPRIM_400000_NS6detail17trampoline_kernelINS0_14default_configENS1_35adjacent_difference_config_selectorILb0ElEEZNS1_24adjacent_difference_implIS3_Lb0ELb0EPlS7_ZN2at6native12_GLOBAL__N_124unique_dim_cuda_templateIiEESt5tupleIJNS8_6TensorESD_SD_EERKSD_lbbbEUlllE1_EE10hipError_tPvRmT2_T3_mT4_P12ihipStream_tbEUlT_E_NS1_11comp_targetILNS1_3genE2ELNS1_11target_archE906ELNS1_3gpuE6ELNS1_3repE0EEENS1_30default_config_static_selectorELNS0_4arch9wavefront6targetE0EEEvT1_
		.amdhsa_group_segment_fixed_size 0
		.amdhsa_private_segment_fixed_size 0
		.amdhsa_kernarg_size 64
		.amdhsa_user_sgpr_count 15
		.amdhsa_user_sgpr_dispatch_ptr 0
		.amdhsa_user_sgpr_queue_ptr 0
		.amdhsa_user_sgpr_kernarg_segment_ptr 1
		.amdhsa_user_sgpr_dispatch_id 0
		.amdhsa_user_sgpr_private_segment_size 0
		.amdhsa_wavefront_size32 1
		.amdhsa_uses_dynamic_stack 0
		.amdhsa_enable_private_segment 0
		.amdhsa_system_sgpr_workgroup_id_x 1
		.amdhsa_system_sgpr_workgroup_id_y 0
		.amdhsa_system_sgpr_workgroup_id_z 0
		.amdhsa_system_sgpr_workgroup_info 0
		.amdhsa_system_vgpr_workitem_id 0
		.amdhsa_next_free_vgpr 1
		.amdhsa_next_free_sgpr 1
		.amdhsa_reserve_vcc 0
		.amdhsa_float_round_mode_32 0
		.amdhsa_float_round_mode_16_64 0
		.amdhsa_float_denorm_mode_32 3
		.amdhsa_float_denorm_mode_16_64 3
		.amdhsa_dx10_clamp 1
		.amdhsa_ieee_mode 1
		.amdhsa_fp16_overflow 0
		.amdhsa_workgroup_processor_mode 1
		.amdhsa_memory_ordered 1
		.amdhsa_forward_progress 0
		.amdhsa_shared_vgpr_count 0
		.amdhsa_exception_fp_ieee_invalid_op 0
		.amdhsa_exception_fp_denorm_src 0
		.amdhsa_exception_fp_ieee_div_zero 0
		.amdhsa_exception_fp_ieee_overflow 0
		.amdhsa_exception_fp_ieee_underflow 0
		.amdhsa_exception_fp_ieee_inexact 0
		.amdhsa_exception_int_div_zero 0
	.end_amdhsa_kernel
	.section	.text._ZN7rocprim17ROCPRIM_400000_NS6detail17trampoline_kernelINS0_14default_configENS1_35adjacent_difference_config_selectorILb0ElEEZNS1_24adjacent_difference_implIS3_Lb0ELb0EPlS7_ZN2at6native12_GLOBAL__N_124unique_dim_cuda_templateIiEESt5tupleIJNS8_6TensorESD_SD_EERKSD_lbbbEUlllE1_EE10hipError_tPvRmT2_T3_mT4_P12ihipStream_tbEUlT_E_NS1_11comp_targetILNS1_3genE2ELNS1_11target_archE906ELNS1_3gpuE6ELNS1_3repE0EEENS1_30default_config_static_selectorELNS0_4arch9wavefront6targetE0EEEvT1_,"axG",@progbits,_ZN7rocprim17ROCPRIM_400000_NS6detail17trampoline_kernelINS0_14default_configENS1_35adjacent_difference_config_selectorILb0ElEEZNS1_24adjacent_difference_implIS3_Lb0ELb0EPlS7_ZN2at6native12_GLOBAL__N_124unique_dim_cuda_templateIiEESt5tupleIJNS8_6TensorESD_SD_EERKSD_lbbbEUlllE1_EE10hipError_tPvRmT2_T3_mT4_P12ihipStream_tbEUlT_E_NS1_11comp_targetILNS1_3genE2ELNS1_11target_archE906ELNS1_3gpuE6ELNS1_3repE0EEENS1_30default_config_static_selectorELNS0_4arch9wavefront6targetE0EEEvT1_,comdat
.Lfunc_end421:
	.size	_ZN7rocprim17ROCPRIM_400000_NS6detail17trampoline_kernelINS0_14default_configENS1_35adjacent_difference_config_selectorILb0ElEEZNS1_24adjacent_difference_implIS3_Lb0ELb0EPlS7_ZN2at6native12_GLOBAL__N_124unique_dim_cuda_templateIiEESt5tupleIJNS8_6TensorESD_SD_EERKSD_lbbbEUlllE1_EE10hipError_tPvRmT2_T3_mT4_P12ihipStream_tbEUlT_E_NS1_11comp_targetILNS1_3genE2ELNS1_11target_archE906ELNS1_3gpuE6ELNS1_3repE0EEENS1_30default_config_static_selectorELNS0_4arch9wavefront6targetE0EEEvT1_, .Lfunc_end421-_ZN7rocprim17ROCPRIM_400000_NS6detail17trampoline_kernelINS0_14default_configENS1_35adjacent_difference_config_selectorILb0ElEEZNS1_24adjacent_difference_implIS3_Lb0ELb0EPlS7_ZN2at6native12_GLOBAL__N_124unique_dim_cuda_templateIiEESt5tupleIJNS8_6TensorESD_SD_EERKSD_lbbbEUlllE1_EE10hipError_tPvRmT2_T3_mT4_P12ihipStream_tbEUlT_E_NS1_11comp_targetILNS1_3genE2ELNS1_11target_archE906ELNS1_3gpuE6ELNS1_3repE0EEENS1_30default_config_static_selectorELNS0_4arch9wavefront6targetE0EEEvT1_
                                        ; -- End function
	.section	.AMDGPU.csdata,"",@progbits
; Kernel info:
; codeLenInByte = 0
; NumSgprs: 0
; NumVgprs: 0
; ScratchSize: 0
; MemoryBound: 0
; FloatMode: 240
; IeeeMode: 1
; LDSByteSize: 0 bytes/workgroup (compile time only)
; SGPRBlocks: 0
; VGPRBlocks: 0
; NumSGPRsForWavesPerEU: 1
; NumVGPRsForWavesPerEU: 1
; Occupancy: 16
; WaveLimiterHint : 0
; COMPUTE_PGM_RSRC2:SCRATCH_EN: 0
; COMPUTE_PGM_RSRC2:USER_SGPR: 15
; COMPUTE_PGM_RSRC2:TRAP_HANDLER: 0
; COMPUTE_PGM_RSRC2:TGID_X_EN: 1
; COMPUTE_PGM_RSRC2:TGID_Y_EN: 0
; COMPUTE_PGM_RSRC2:TGID_Z_EN: 0
; COMPUTE_PGM_RSRC2:TIDIG_COMP_CNT: 0
	.section	.text._ZN7rocprim17ROCPRIM_400000_NS6detail17trampoline_kernelINS0_14default_configENS1_35adjacent_difference_config_selectorILb0ElEEZNS1_24adjacent_difference_implIS3_Lb0ELb0EPlS7_ZN2at6native12_GLOBAL__N_124unique_dim_cuda_templateIiEESt5tupleIJNS8_6TensorESD_SD_EERKSD_lbbbEUlllE1_EE10hipError_tPvRmT2_T3_mT4_P12ihipStream_tbEUlT_E_NS1_11comp_targetILNS1_3genE9ELNS1_11target_archE1100ELNS1_3gpuE3ELNS1_3repE0EEENS1_30default_config_static_selectorELNS0_4arch9wavefront6targetE0EEEvT1_,"axG",@progbits,_ZN7rocprim17ROCPRIM_400000_NS6detail17trampoline_kernelINS0_14default_configENS1_35adjacent_difference_config_selectorILb0ElEEZNS1_24adjacent_difference_implIS3_Lb0ELb0EPlS7_ZN2at6native12_GLOBAL__N_124unique_dim_cuda_templateIiEESt5tupleIJNS8_6TensorESD_SD_EERKSD_lbbbEUlllE1_EE10hipError_tPvRmT2_T3_mT4_P12ihipStream_tbEUlT_E_NS1_11comp_targetILNS1_3genE9ELNS1_11target_archE1100ELNS1_3gpuE3ELNS1_3repE0EEENS1_30default_config_static_selectorELNS0_4arch9wavefront6targetE0EEEvT1_,comdat
	.globl	_ZN7rocprim17ROCPRIM_400000_NS6detail17trampoline_kernelINS0_14default_configENS1_35adjacent_difference_config_selectorILb0ElEEZNS1_24adjacent_difference_implIS3_Lb0ELb0EPlS7_ZN2at6native12_GLOBAL__N_124unique_dim_cuda_templateIiEESt5tupleIJNS8_6TensorESD_SD_EERKSD_lbbbEUlllE1_EE10hipError_tPvRmT2_T3_mT4_P12ihipStream_tbEUlT_E_NS1_11comp_targetILNS1_3genE9ELNS1_11target_archE1100ELNS1_3gpuE3ELNS1_3repE0EEENS1_30default_config_static_selectorELNS0_4arch9wavefront6targetE0EEEvT1_ ; -- Begin function _ZN7rocprim17ROCPRIM_400000_NS6detail17trampoline_kernelINS0_14default_configENS1_35adjacent_difference_config_selectorILb0ElEEZNS1_24adjacent_difference_implIS3_Lb0ELb0EPlS7_ZN2at6native12_GLOBAL__N_124unique_dim_cuda_templateIiEESt5tupleIJNS8_6TensorESD_SD_EERKSD_lbbbEUlllE1_EE10hipError_tPvRmT2_T3_mT4_P12ihipStream_tbEUlT_E_NS1_11comp_targetILNS1_3genE9ELNS1_11target_archE1100ELNS1_3gpuE3ELNS1_3repE0EEENS1_30default_config_static_selectorELNS0_4arch9wavefront6targetE0EEEvT1_
	.p2align	8
	.type	_ZN7rocprim17ROCPRIM_400000_NS6detail17trampoline_kernelINS0_14default_configENS1_35adjacent_difference_config_selectorILb0ElEEZNS1_24adjacent_difference_implIS3_Lb0ELb0EPlS7_ZN2at6native12_GLOBAL__N_124unique_dim_cuda_templateIiEESt5tupleIJNS8_6TensorESD_SD_EERKSD_lbbbEUlllE1_EE10hipError_tPvRmT2_T3_mT4_P12ihipStream_tbEUlT_E_NS1_11comp_targetILNS1_3genE9ELNS1_11target_archE1100ELNS1_3gpuE3ELNS1_3repE0EEENS1_30default_config_static_selectorELNS0_4arch9wavefront6targetE0EEEvT1_,@function
_ZN7rocprim17ROCPRIM_400000_NS6detail17trampoline_kernelINS0_14default_configENS1_35adjacent_difference_config_selectorILb0ElEEZNS1_24adjacent_difference_implIS3_Lb0ELb0EPlS7_ZN2at6native12_GLOBAL__N_124unique_dim_cuda_templateIiEESt5tupleIJNS8_6TensorESD_SD_EERKSD_lbbbEUlllE1_EE10hipError_tPvRmT2_T3_mT4_P12ihipStream_tbEUlT_E_NS1_11comp_targetILNS1_3genE9ELNS1_11target_archE1100ELNS1_3gpuE3ELNS1_3repE0EEENS1_30default_config_static_selectorELNS0_4arch9wavefront6targetE0EEEvT1_: ; @_ZN7rocprim17ROCPRIM_400000_NS6detail17trampoline_kernelINS0_14default_configENS1_35adjacent_difference_config_selectorILb0ElEEZNS1_24adjacent_difference_implIS3_Lb0ELb0EPlS7_ZN2at6native12_GLOBAL__N_124unique_dim_cuda_templateIiEESt5tupleIJNS8_6TensorESD_SD_EERKSD_lbbbEUlllE1_EE10hipError_tPvRmT2_T3_mT4_P12ihipStream_tbEUlT_E_NS1_11comp_targetILNS1_3genE9ELNS1_11target_archE1100ELNS1_3gpuE3ELNS1_3repE0EEENS1_30default_config_static_selectorELNS0_4arch9wavefront6targetE0EEEvT1_
; %bb.0:
	s_clause 0x1
	s_load_b256 s[4:11], s[0:1], 0x0
	s_load_b64 s[18:19], s[0:1], 0x38
	s_mov_b32 s17, 0
	s_waitcnt lgkmcnt(0)
	s_lshl_b64 s[12:13], s[6:7], 3
	s_delay_alu instid0(SALU_CYCLE_1)
	s_add_u32 s20, s4, s12
	s_addc_u32 s21, s5, s13
	s_load_b128 s[4:7], s[0:1], 0x20
	s_and_b32 s16, s10, 0x1ff
	s_lshl_b32 s2, s15, 9
	s_lshr_b64 s[22:23], s[10:11], 9
	s_cmp_lg_u64 s[16:17], 0
	s_cselect_b32 s3, -1, 0
	s_delay_alu instid0(SALU_CYCLE_1) | instskip(NEXT) | instid1(VALU_DEP_1)
	v_cndmask_b32_e64 v1, 0, 1, s3
	v_readfirstlane_b32 s3, v1
	s_delay_alu instid0(VALU_DEP_1)
	s_add_u32 s16, s22, s3
	s_addc_u32 s17, s23, 0
	s_add_u32 s18, s18, s15
	s_addc_u32 s19, s19, 0
	s_add_u32 s14, s16, -1
	s_addc_u32 s15, s17, -1
	s_delay_alu instid0(SALU_CYCLE_1) | instskip(NEXT) | instid1(VALU_DEP_1)
	v_cmp_ge_u64_e64 s1, s[18:19], s[14:15]
	s_and_b32 vcc_lo, exec_lo, s1
	s_cbranch_vccz .LBB422_4
; %bb.1:
	s_lshl_b32 s0, s14, 9
                                        ; implicit-def: $vgpr1_vgpr2
	s_delay_alu instid0(SALU_CYCLE_1) | instskip(NEXT) | instid1(SALU_CYCLE_1)
	s_sub_i32 s0, s10, s0
	v_cmp_gt_u32_e32 vcc_lo, s0, v0
	s_and_saveexec_b32 s0, vcc_lo
	s_cbranch_execz .LBB422_3
; %bb.2:
	s_mov_b32 s3, 0
	v_lshlrev_b32_e32 v1, 3, v0
	s_lshl_b64 s[22:23], s[2:3], 3
	s_delay_alu instid0(SALU_CYCLE_1)
	s_add_u32 s22, s20, s22
	s_addc_u32 s23, s21, s23
	global_load_b64 v[1:2], v1, s[22:23]
.LBB422_3:
	s_or_b32 exec_lo, exec_lo, s0
	v_lshlrev_b32_e32 v3, 3, v0
	s_waitcnt vmcnt(0)
	ds_store_b64 v3, v[1:2]
	s_waitcnt lgkmcnt(0)
	s_barrier
	v_lshlrev_b32_e32 v9, 3, v0
	s_branch .LBB422_6
.LBB422_4:
                                        ; implicit-def: $vgpr3
	v_lshlrev_b32_e32 v9, 3, v0
	s_cbranch_execz .LBB422_6
; %bb.5:
	s_mov_b32 s3, 0
	s_delay_alu instid0(VALU_DEP_1) | instskip(SKIP_1) | instid1(SALU_CYCLE_1)
	v_mov_b32_e32 v3, v9
	s_lshl_b64 s[22:23], s[2:3], 3
	s_add_u32 s22, s20, s22
	s_addc_u32 s23, s21, s23
	global_load_b64 v[1:2], v9, s[22:23]
	s_waitcnt vmcnt(0)
	ds_store_b64 v9, v[1:2]
	s_waitcnt lgkmcnt(0)
	s_barrier
.LBB422_6:
	s_waitcnt lgkmcnt(0)
	buffer_gl0_inv
	ds_load_b64 v[1:2], v3
	s_cmp_eq_u64 s[18:19], 0
	s_waitcnt lgkmcnt(0)
	s_barrier
	buffer_gl0_inv
	s_cbranch_scc1 .LBB422_17
; %bb.7:
	s_mov_b32 s3, 0
	s_delay_alu instid0(SALU_CYCLE_1) | instskip(NEXT) | instid1(SALU_CYCLE_1)
	s_lshl_b64 s[22:23], s[2:3], 3
	s_add_u32 s0, s20, s22
	s_addc_u32 s11, s21, s23
	s_add_u32 s20, s0, -8
	s_addc_u32 s21, s11, -1
	s_cmp_lg_u64 s[18:19], s[14:15]
	s_load_b64 s[20:21], s[20:21], 0x0
	s_cbranch_scc0 .LBB422_18
; %bb.8:
	s_waitcnt lgkmcnt(0)
	v_dual_mov_b32 v3, s20 :: v_dual_mov_b32 v4, s21
	s_mov_b32 s0, 0
	s_mov_b32 s3, exec_lo
	ds_store_b64 v9, v[1:2]
	s_waitcnt lgkmcnt(0)
	s_barrier
	buffer_gl0_inv
	v_cmpx_ne_u32_e32 0, v0
	s_cbranch_execz .LBB422_10
; %bb.9:
	v_add_nc_u32_e32 v3, -8, v9
	ds_load_b64 v[3:4], v3
.LBB422_10:
	s_or_b32 exec_lo, exec_lo, s3
	v_cmp_lt_i64_e64 s3, s[4:5], 1
	s_delay_alu instid0(VALU_DEP_1)
	s_and_b32 vcc_lo, exec_lo, s3
	s_cbranch_vccnz .LBB422_21
; %bb.11:
	v_mul_lo_u32 v10, v2, s4
	v_mul_lo_u32 v11, v1, s5
	v_mad_u64_u32 v[5:6], null, v1, s4, 0
	s_waitcnt lgkmcnt(0)
	v_mul_lo_u32 v4, v4, s4
	v_mul_lo_u32 v12, v3, s5
	v_mad_u64_u32 v[7:8], null, v3, s4, 0
	s_mov_b32 s0, -1
	s_mov_b32 s3, exec_lo
	s_delay_alu instid0(VALU_DEP_4) | instskip(NEXT) | instid1(VALU_DEP_2)
	v_add3_u32 v6, v6, v11, v10
	v_add3_u32 v8, v8, v12, v4
	s_delay_alu instid0(VALU_DEP_2) | instskip(NEXT) | instid1(VALU_DEP_2)
	v_lshlrev_b64 v[3:4], 2, v[5:6]
	v_lshlrev_b64 v[7:8], 2, v[7:8]
	s_delay_alu instid0(VALU_DEP_2) | instskip(NEXT) | instid1(VALU_DEP_3)
	v_add_co_u32 v5, vcc_lo, s6, v3
	v_add_co_ci_u32_e32 v6, vcc_lo, s7, v4, vcc_lo
	s_delay_alu instid0(VALU_DEP_3) | instskip(NEXT) | instid1(VALU_DEP_4)
	v_add_co_u32 v3, vcc_lo, s6, v7
	v_add_co_ci_u32_e32 v4, vcc_lo, s7, v8, vcc_lo
	s_clause 0x1
	global_load_b32 v7, v[5:6], off
	global_load_b32 v8, v[3:4], off
	s_waitcnt vmcnt(0)
	v_cmpx_eq_u32_e64 v7, v8
	s_cbranch_execz .LBB422_20
; %bb.12:
	v_add_co_u32 v3, vcc_lo, v3, 4
	v_add_co_ci_u32_e32 v4, vcc_lo, 0, v4, vcc_lo
	v_add_co_u32 v5, vcc_lo, v5, 4
	v_add_co_ci_u32_e32 v6, vcc_lo, 0, v6, vcc_lo
	s_add_u32 s22, s4, -1
	s_addc_u32 s23, s5, -1
	s_mov_b64 s[24:25], 0
	s_mov_b32 s11, 0
                                        ; implicit-def: $sgpr15
	s_set_inst_prefetch_distance 0x1
	s_branch .LBB422_15
	.p2align	6
.LBB422_13:                             ;   in Loop: Header=BB422_15 Depth=1
	global_load_b32 v7, v[5:6], off
	global_load_b32 v8, v[3:4], off
	v_add_co_u32 v3, vcc_lo, v3, 4
	v_add_co_ci_u32_e32 v4, vcc_lo, 0, v4, vcc_lo
	v_add_co_u32 v5, s0, v5, 4
	s_delay_alu instid0(VALU_DEP_1)
	v_add_co_ci_u32_e64 v6, s0, 0, v6, s0
	s_add_u32 s24, s24, 1
	s_addc_u32 s25, s25, 0
	s_and_not1_b32 s0, s15, exec_lo
	s_waitcnt vmcnt(0)
	v_cmp_ne_u32_e32 vcc_lo, v7, v8
	s_and_b32 s15, vcc_lo, exec_lo
	s_delay_alu instid0(SALU_CYCLE_1)
	s_or_b32 s15, s0, s15
.LBB422_14:                             ;   in Loop: Header=BB422_15 Depth=1
	v_dual_mov_b32 v7, s24 :: v_dual_mov_b32 v8, s25
	s_and_b32 s0, exec_lo, s15
	s_delay_alu instid0(SALU_CYCLE_1) | instskip(NEXT) | instid1(SALU_CYCLE_1)
	s_or_b32 s11, s0, s11
	s_and_not1_b32 exec_lo, exec_lo, s11
	s_cbranch_execz .LBB422_19
.LBB422_15:                             ; =>This Inner Loop Header: Depth=1
	s_or_b32 s15, s15, exec_lo
	s_cmp_eq_u64 s[22:23], s[24:25]
	s_cbranch_scc0 .LBB422_13
; %bb.16:                               ;   in Loop: Header=BB422_15 Depth=1
	s_mov_b64 s[24:25], s[4:5]
                                        ; implicit-def: $vgpr3_vgpr4
                                        ; implicit-def: $vgpr5_vgpr6
	s_branch .LBB422_14
.LBB422_17:
	s_mov_b32 s3, 0
                                        ; implicit-def: $sgpr0
	s_cbranch_execnz .LBB422_38
	s_branch .LBB422_65
.LBB422_18:
                                        ; implicit-def: $sgpr0
	s_cbranch_execnz .LBB422_22
	s_branch .LBB422_37
.LBB422_19:
	s_set_inst_prefetch_distance 0x2
	s_or_b32 exec_lo, exec_lo, s11
	v_cmp_gt_i64_e32 vcc_lo, s[4:5], v[7:8]
	s_or_not1_b32 s0, vcc_lo, exec_lo
.LBB422_20:
	s_or_b32 exec_lo, exec_lo, s3
.LBB422_21:
	s_mov_b32 s3, -1
	s_branch .LBB422_37
.LBB422_22:
	s_waitcnt lgkmcnt(0)
	v_dual_mov_b32 v3, s20 :: v_dual_mov_b32 v4, s21
	s_mov_b32 s0, exec_lo
	ds_store_b64 v9, v[1:2]
	s_waitcnt lgkmcnt(0)
	s_barrier
	buffer_gl0_inv
	v_cmpx_ne_u32_e32 0, v0
	s_cbranch_execz .LBB422_24
; %bb.23:
	v_add_nc_u32_e32 v3, -8, v9
	ds_load_b64 v[3:4], v3
.LBB422_24:
	s_or_b32 exec_lo, exec_lo, s0
	s_lshl_b32 s0, s18, 9
	s_delay_alu instid0(SALU_CYCLE_1) | instskip(NEXT) | instid1(SALU_CYCLE_1)
	s_sub_i32 s0, s10, s0
	v_cmp_gt_u32_e32 vcc_lo, s0, v0
                                        ; implicit-def: $sgpr0
	s_and_saveexec_b32 s11, vcc_lo
	s_cbranch_execz .LBB422_36
; %bb.25:
	v_cmp_lt_i64_e64 s0, s[4:5], 1
	s_delay_alu instid0(VALU_DEP_1)
	s_and_b32 vcc_lo, exec_lo, s0
	s_cbranch_vccnz .LBB422_32
; %bb.26:
	v_mul_lo_u32 v10, v2, s4
	v_mul_lo_u32 v11, v1, s5
	v_mad_u64_u32 v[5:6], null, v1, s4, 0
	s_waitcnt lgkmcnt(0)
	v_mul_lo_u32 v4, v4, s4
	v_mul_lo_u32 v12, v3, s5
	v_mad_u64_u32 v[7:8], null, v3, s4, 0
	s_mov_b32 s0, -1
	s_mov_b32 s15, exec_lo
	s_delay_alu instid0(VALU_DEP_4) | instskip(NEXT) | instid1(VALU_DEP_2)
	v_add3_u32 v6, v6, v11, v10
	v_add3_u32 v8, v8, v12, v4
	s_delay_alu instid0(VALU_DEP_2) | instskip(NEXT) | instid1(VALU_DEP_2)
	v_lshlrev_b64 v[3:4], 2, v[5:6]
	v_lshlrev_b64 v[7:8], 2, v[7:8]
	s_delay_alu instid0(VALU_DEP_2) | instskip(NEXT) | instid1(VALU_DEP_3)
	v_add_co_u32 v5, vcc_lo, s6, v3
	v_add_co_ci_u32_e32 v6, vcc_lo, s7, v4, vcc_lo
	s_delay_alu instid0(VALU_DEP_3) | instskip(NEXT) | instid1(VALU_DEP_4)
	v_add_co_u32 v3, vcc_lo, s6, v7
	v_add_co_ci_u32_e32 v4, vcc_lo, s7, v8, vcc_lo
	s_clause 0x1
	global_load_b32 v7, v[5:6], off
	global_load_b32 v8, v[3:4], off
	s_waitcnt vmcnt(0)
	v_cmpx_eq_u32_e64 v7, v8
	s_cbranch_execz .LBB422_34
; %bb.27:
	v_add_co_u32 v3, vcc_lo, v3, 4
	v_add_co_ci_u32_e32 v4, vcc_lo, 0, v4, vcc_lo
	v_add_co_u32 v5, vcc_lo, v5, 4
	v_add_co_ci_u32_e32 v6, vcc_lo, 0, v6, vcc_lo
	s_add_u32 s18, s4, -1
	s_addc_u32 s19, s5, -1
	s_mov_b64 s[20:21], 0
	s_mov_b32 s22, 0
                                        ; implicit-def: $sgpr23
	s_set_inst_prefetch_distance 0x1
	s_branch .LBB422_30
	.p2align	6
.LBB422_28:                             ;   in Loop: Header=BB422_30 Depth=1
	global_load_b32 v7, v[5:6], off
	global_load_b32 v8, v[3:4], off
	v_add_co_u32 v3, vcc_lo, v3, 4
	v_add_co_ci_u32_e32 v4, vcc_lo, 0, v4, vcc_lo
	v_add_co_u32 v5, s0, v5, 4
	s_delay_alu instid0(VALU_DEP_1)
	v_add_co_ci_u32_e64 v6, s0, 0, v6, s0
	s_add_u32 s20, s20, 1
	s_addc_u32 s21, s21, 0
	s_and_not1_b32 s0, s23, exec_lo
	s_waitcnt vmcnt(0)
	v_cmp_ne_u32_e32 vcc_lo, v7, v8
	s_and_b32 s23, vcc_lo, exec_lo
	s_delay_alu instid0(SALU_CYCLE_1)
	s_or_b32 s23, s0, s23
.LBB422_29:                             ;   in Loop: Header=BB422_30 Depth=1
	v_dual_mov_b32 v7, s20 :: v_dual_mov_b32 v8, s21
	s_and_b32 s0, exec_lo, s23
	s_delay_alu instid0(SALU_CYCLE_1) | instskip(NEXT) | instid1(SALU_CYCLE_1)
	s_or_b32 s22, s0, s22
	s_and_not1_b32 exec_lo, exec_lo, s22
	s_cbranch_execz .LBB422_33
.LBB422_30:                             ; =>This Inner Loop Header: Depth=1
	s_or_b32 s23, s23, exec_lo
	s_cmp_eq_u64 s[18:19], s[20:21]
	s_cbranch_scc0 .LBB422_28
; %bb.31:                               ;   in Loop: Header=BB422_30 Depth=1
	s_mov_b64 s[20:21], s[4:5]
                                        ; implicit-def: $vgpr3_vgpr4
                                        ; implicit-def: $vgpr5_vgpr6
	s_branch .LBB422_29
.LBB422_32:
	s_mov_b32 s0, 0
	s_branch .LBB422_35
.LBB422_33:
	s_set_inst_prefetch_distance 0x2
	s_or_b32 exec_lo, exec_lo, s22
	v_cmp_gt_i64_e32 vcc_lo, s[4:5], v[7:8]
	s_or_not1_b32 s0, vcc_lo, exec_lo
.LBB422_34:
	s_or_b32 exec_lo, exec_lo, s15
.LBB422_35:
	s_delay_alu instid0(SALU_CYCLE_1)
	s_and_b32 s0, s0, exec_lo
	s_or_b32 s3, s3, exec_lo
.LBB422_36:
	s_or_b32 exec_lo, exec_lo, s11
.LBB422_37:
	s_branch .LBB422_65
.LBB422_38:
	s_cmp_lg_u64 s[16:17], 1
	s_cbranch_scc0 .LBB422_47
; %bb.39:
	s_mov_b32 s11, 0
	s_mov_b32 s15, exec_lo
	ds_store_b64 v9, v[1:2]
	s_waitcnt lgkmcnt(0)
	s_barrier
	buffer_gl0_inv
                                        ; implicit-def: $sgpr0
	v_cmpx_ne_u32_e32 0, v0
	s_cbranch_execz .LBB422_48
; %bb.40:
	v_cmp_lt_i64_e64 s0, s[4:5], 1
	s_delay_alu instid0(VALU_DEP_1)
	s_and_b32 vcc_lo, exec_lo, s0
	s_cbranch_vccnz .LBB422_49
; %bb.41:
	v_add_nc_u32_e32 v3, -8, v9
	v_mul_lo_u32 v10, v2, s4
	v_mul_lo_u32 v11, v1, s5
	v_mad_u64_u32 v[5:6], null, v1, s4, 0
	ds_load_b64 v[3:4], v3
	s_mov_b32 s0, -1
	s_mov_b32 s20, exec_lo
	v_add3_u32 v6, v6, v11, v10
	s_waitcnt lgkmcnt(0)
	v_mul_lo_u32 v4, v4, s4
	v_mul_lo_u32 v12, v3, s5
	v_mad_u64_u32 v[7:8], null, v3, s4, 0
	s_delay_alu instid0(VALU_DEP_1) | instskip(SKIP_1) | instid1(VALU_DEP_2)
	v_add3_u32 v8, v8, v12, v4
	v_lshlrev_b64 v[3:4], 2, v[5:6]
	v_lshlrev_b64 v[7:8], 2, v[7:8]
	s_delay_alu instid0(VALU_DEP_2) | instskip(NEXT) | instid1(VALU_DEP_3)
	v_add_co_u32 v5, vcc_lo, s6, v3
	v_add_co_ci_u32_e32 v6, vcc_lo, s7, v4, vcc_lo
	s_delay_alu instid0(VALU_DEP_3) | instskip(NEXT) | instid1(VALU_DEP_4)
	v_add_co_u32 v3, vcc_lo, s6, v7
	v_add_co_ci_u32_e32 v4, vcc_lo, s7, v8, vcc_lo
	s_clause 0x1
	global_load_b32 v7, v[5:6], off
	global_load_b32 v8, v[3:4], off
	s_waitcnt vmcnt(0)
	v_cmpx_eq_u32_e64 v7, v8
	s_cbranch_execz .LBB422_51
; %bb.42:
	v_add_co_u32 v3, vcc_lo, v3, 4
	v_add_co_ci_u32_e32 v4, vcc_lo, 0, v4, vcc_lo
	v_add_co_u32 v5, vcc_lo, v5, 4
	v_add_co_ci_u32_e32 v6, vcc_lo, 0, v6, vcc_lo
	s_add_u32 s16, s4, -1
	s_addc_u32 s17, s5, -1
	s_mov_b64 s[18:19], 0
	s_mov_b32 s21, 0
                                        ; implicit-def: $sgpr22
	s_set_inst_prefetch_distance 0x1
	s_branch .LBB422_45
	.p2align	6
.LBB422_43:                             ;   in Loop: Header=BB422_45 Depth=1
	global_load_b32 v7, v[5:6], off
	global_load_b32 v8, v[3:4], off
	v_add_co_u32 v3, vcc_lo, v3, 4
	v_add_co_ci_u32_e32 v4, vcc_lo, 0, v4, vcc_lo
	v_add_co_u32 v5, s0, v5, 4
	s_delay_alu instid0(VALU_DEP_1)
	v_add_co_ci_u32_e64 v6, s0, 0, v6, s0
	s_add_u32 s18, s18, 1
	s_addc_u32 s19, s19, 0
	s_and_not1_b32 s0, s22, exec_lo
	s_waitcnt vmcnt(0)
	v_cmp_ne_u32_e32 vcc_lo, v7, v8
	s_and_b32 s22, vcc_lo, exec_lo
	s_delay_alu instid0(SALU_CYCLE_1)
	s_or_b32 s22, s0, s22
.LBB422_44:                             ;   in Loop: Header=BB422_45 Depth=1
	v_dual_mov_b32 v7, s18 :: v_dual_mov_b32 v8, s19
	s_and_b32 s0, exec_lo, s22
	s_delay_alu instid0(SALU_CYCLE_1) | instskip(NEXT) | instid1(SALU_CYCLE_1)
	s_or_b32 s21, s0, s21
	s_and_not1_b32 exec_lo, exec_lo, s21
	s_cbranch_execz .LBB422_50
.LBB422_45:                             ; =>This Inner Loop Header: Depth=1
	s_or_b32 s22, s22, exec_lo
	s_cmp_eq_u64 s[16:17], s[18:19]
	s_cbranch_scc0 .LBB422_43
; %bb.46:                               ;   in Loop: Header=BB422_45 Depth=1
	s_mov_b64 s[18:19], s[4:5]
                                        ; implicit-def: $vgpr3_vgpr4
                                        ; implicit-def: $vgpr5_vgpr6
	s_branch .LBB422_44
.LBB422_47:
                                        ; implicit-def: $sgpr0
	s_cbranch_execnz .LBB422_53
	s_branch .LBB422_65
.LBB422_48:
	s_or_b32 exec_lo, exec_lo, s15
	s_delay_alu instid0(SALU_CYCLE_1)
	s_and_b32 vcc_lo, exec_lo, s11
	s_cbranch_vccnz .LBB422_53
	s_branch .LBB422_65
.LBB422_49:
	s_mov_b32 s0, 0
	s_branch .LBB422_52
.LBB422_50:
	s_set_inst_prefetch_distance 0x2
	s_or_b32 exec_lo, exec_lo, s21
	v_cmp_gt_i64_e32 vcc_lo, s[4:5], v[7:8]
	s_or_not1_b32 s0, vcc_lo, exec_lo
.LBB422_51:
	s_or_b32 exec_lo, exec_lo, s20
.LBB422_52:
	s_delay_alu instid0(SALU_CYCLE_1) | instskip(SKIP_2) | instid1(SALU_CYCLE_1)
	s_and_b32 s0, s0, exec_lo
	s_or_b32 s3, s3, exec_lo
	s_or_b32 exec_lo, exec_lo, s15
	s_and_b32 vcc_lo, exec_lo, s11
	s_cbranch_vccz .LBB422_65
.LBB422_53:
	v_cmp_ne_u32_e32 vcc_lo, 0, v0
	v_cmp_gt_u32_e64 s0, s10, v0
	s_mov_b32 s16, 0
	ds_store_b64 v9, v[1:2]
	s_waitcnt lgkmcnt(0)
	s_barrier
	s_and_b32 s15, vcc_lo, s0
	buffer_gl0_inv
                                        ; implicit-def: $sgpr0
	s_and_saveexec_b32 s11, s15
	s_cbranch_execz .LBB422_64
; %bb.54:
	v_cmp_lt_i64_e64 s0, s[4:5], 1
	s_delay_alu instid0(VALU_DEP_1)
	s_and_b32 vcc_lo, exec_lo, s0
	s_cbranch_vccnz .LBB422_63
; %bb.55:
	v_add_nc_u32_e32 v3, -8, v9
	v_mul_lo_u32 v7, v2, s4
	v_mul_lo_u32 v8, v1, s5
	v_mad_u64_u32 v[5:6], null, v1, s4, 0
	ds_load_b64 v[3:4], v3
	s_mov_b32 s16, -1
	s_mov_b32 s15, exec_lo
	v_add3_u32 v6, v6, v8, v7
	s_waitcnt lgkmcnt(0)
	v_mul_lo_u32 v4, v4, s4
	v_mul_lo_u32 v10, v3, s5
	v_mad_u64_u32 v[1:2], null, v3, s4, 0
	s_delay_alu instid0(VALU_DEP_1) | instskip(SKIP_1) | instid1(VALU_DEP_2)
	v_add3_u32 v2, v2, v10, v4
	v_lshlrev_b64 v[3:4], 2, v[5:6]
	v_lshlrev_b64 v[1:2], 2, v[1:2]
	s_delay_alu instid0(VALU_DEP_2) | instskip(NEXT) | instid1(VALU_DEP_3)
	v_add_co_u32 v3, vcc_lo, s6, v3
	v_add_co_ci_u32_e32 v4, vcc_lo, s7, v4, vcc_lo
	s_delay_alu instid0(VALU_DEP_3) | instskip(NEXT) | instid1(VALU_DEP_4)
	v_add_co_u32 v1, vcc_lo, s6, v1
	v_add_co_ci_u32_e32 v2, vcc_lo, s7, v2, vcc_lo
	s_clause 0x1
	global_load_b32 v5, v[3:4], off
	global_load_b32 v6, v[1:2], off
	s_waitcnt vmcnt(0)
	v_cmpx_eq_u32_e64 v5, v6
	s_cbranch_execz .LBB422_62
; %bb.56:
	v_add_co_u32 v1, vcc_lo, v1, 4
	v_add_co_ci_u32_e32 v2, vcc_lo, 0, v2, vcc_lo
	v_add_co_u32 v3, vcc_lo, v3, 4
	v_add_co_ci_u32_e32 v4, vcc_lo, 0, v4, vcc_lo
	s_add_u32 s6, s4, -1
	s_addc_u32 s7, s5, -1
	s_mov_b64 s[16:17], 0
	s_mov_b32 s18, 0
                                        ; implicit-def: $sgpr19
	s_set_inst_prefetch_distance 0x1
	s_branch .LBB422_59
	.p2align	6
.LBB422_57:                             ;   in Loop: Header=BB422_59 Depth=1
	global_load_b32 v5, v[3:4], off
	global_load_b32 v6, v[1:2], off
	v_add_co_u32 v1, vcc_lo, v1, 4
	v_add_co_ci_u32_e32 v2, vcc_lo, 0, v2, vcc_lo
	v_add_co_u32 v3, s0, v3, 4
	s_delay_alu instid0(VALU_DEP_1)
	v_add_co_ci_u32_e64 v4, s0, 0, v4, s0
	s_add_u32 s16, s16, 1
	s_addc_u32 s17, s17, 0
	s_and_not1_b32 s0, s19, exec_lo
	s_waitcnt vmcnt(0)
	v_cmp_ne_u32_e32 vcc_lo, v5, v6
	s_and_b32 s19, vcc_lo, exec_lo
	s_delay_alu instid0(SALU_CYCLE_1)
	s_or_b32 s19, s0, s19
.LBB422_58:                             ;   in Loop: Header=BB422_59 Depth=1
	v_dual_mov_b32 v5, s16 :: v_dual_mov_b32 v6, s17
	s_and_b32 s0, exec_lo, s19
	s_delay_alu instid0(SALU_CYCLE_1) | instskip(NEXT) | instid1(SALU_CYCLE_1)
	s_or_b32 s18, s0, s18
	s_and_not1_b32 exec_lo, exec_lo, s18
	s_cbranch_execz .LBB422_61
.LBB422_59:                             ; =>This Inner Loop Header: Depth=1
	s_or_b32 s19, s19, exec_lo
	s_cmp_eq_u64 s[6:7], s[16:17]
	s_cbranch_scc0 .LBB422_57
; %bb.60:                               ;   in Loop: Header=BB422_59 Depth=1
	s_mov_b64 s[16:17], s[4:5]
                                        ; implicit-def: $vgpr1_vgpr2
                                        ; implicit-def: $vgpr3_vgpr4
	s_branch .LBB422_58
.LBB422_61:
	s_set_inst_prefetch_distance 0x2
	s_or_b32 exec_lo, exec_lo, s18
	v_cmp_gt_i64_e32 vcc_lo, s[4:5], v[5:6]
	s_or_not1_b32 s16, vcc_lo, exec_lo
.LBB422_62:
	s_or_b32 exec_lo, exec_lo, s15
.LBB422_63:
	s_delay_alu instid0(SALU_CYCLE_1)
	s_and_b32 s0, s16, exec_lo
	s_or_b32 s3, s3, exec_lo
                                        ; implicit-def: $vgpr1_vgpr2
.LBB422_64:
	s_or_b32 exec_lo, exec_lo, s11
.LBB422_65:
	s_and_saveexec_b32 s4, s3
; %bb.66:
	s_mov_b32 s3, 0
	v_cndmask_b32_e64 v1, 0, 1, s0
	v_mov_b32_e32 v2, s3
; %bb.67:
	s_or_b32 exec_lo, exec_lo, s4
	s_add_u32 s0, s8, s12
	s_addc_u32 s4, s9, s13
	s_and_b32 vcc_lo, exec_lo, s1
	s_mov_b32 s1, -1
	s_waitcnt lgkmcnt(0)
	s_barrier
	buffer_gl0_inv
	s_cbranch_vccnz .LBB422_70
; %bb.68:
	s_and_not1_b32 vcc_lo, exec_lo, s1
	s_cbranch_vccz .LBB422_73
.LBB422_69:
	s_nop 0
	s_sendmsg sendmsg(MSG_DEALLOC_VGPRS)
	s_endpgm
.LBB422_70:
	s_lshl_b32 s1, s14, 9
	ds_store_b64 v9, v[1:2]
	s_sub_i32 s1, s10, s1
	s_waitcnt lgkmcnt(0)
	v_cmp_gt_u32_e32 vcc_lo, s1, v0
	s_barrier
	buffer_gl0_inv
	s_and_saveexec_b32 s1, vcc_lo
	s_cbranch_execz .LBB422_72
; %bb.71:
	ds_load_b64 v[3:4], v9
	s_mov_b32 s3, 0
	s_delay_alu instid0(SALU_CYCLE_1) | instskip(NEXT) | instid1(SALU_CYCLE_1)
	s_lshl_b64 s[6:7], s[2:3], 3
	s_add_u32 s6, s0, s6
	s_addc_u32 s7, s4, s7
	s_waitcnt lgkmcnt(0)
	global_store_b64 v9, v[3:4], s[6:7]
.LBB422_72:
	s_or_b32 exec_lo, exec_lo, s1
	s_cbranch_execnz .LBB422_69
.LBB422_73:
	ds_store_b64 v9, v[1:2]
	s_waitcnt lgkmcnt(0)
	s_waitcnt_vscnt null, 0x0
	s_barrier
	buffer_gl0_inv
	ds_load_b64 v[0:1], v9
	s_mov_b32 s3, 0
	s_delay_alu instid0(SALU_CYCLE_1) | instskip(NEXT) | instid1(SALU_CYCLE_1)
	s_lshl_b64 s[2:3], s[2:3], 3
	s_add_u32 s0, s0, s2
	s_addc_u32 s1, s4, s3
	s_waitcnt lgkmcnt(0)
	global_store_b64 v9, v[0:1], s[0:1]
	s_nop 0
	s_sendmsg sendmsg(MSG_DEALLOC_VGPRS)
	s_endpgm
	.section	.rodata,"a",@progbits
	.p2align	6, 0x0
	.amdhsa_kernel _ZN7rocprim17ROCPRIM_400000_NS6detail17trampoline_kernelINS0_14default_configENS1_35adjacent_difference_config_selectorILb0ElEEZNS1_24adjacent_difference_implIS3_Lb0ELb0EPlS7_ZN2at6native12_GLOBAL__N_124unique_dim_cuda_templateIiEESt5tupleIJNS8_6TensorESD_SD_EERKSD_lbbbEUlllE1_EE10hipError_tPvRmT2_T3_mT4_P12ihipStream_tbEUlT_E_NS1_11comp_targetILNS1_3genE9ELNS1_11target_archE1100ELNS1_3gpuE3ELNS1_3repE0EEENS1_30default_config_static_selectorELNS0_4arch9wavefront6targetE0EEEvT1_
		.amdhsa_group_segment_fixed_size 8192
		.amdhsa_private_segment_fixed_size 0
		.amdhsa_kernarg_size 64
		.amdhsa_user_sgpr_count 15
		.amdhsa_user_sgpr_dispatch_ptr 0
		.amdhsa_user_sgpr_queue_ptr 0
		.amdhsa_user_sgpr_kernarg_segment_ptr 1
		.amdhsa_user_sgpr_dispatch_id 0
		.amdhsa_user_sgpr_private_segment_size 0
		.amdhsa_wavefront_size32 1
		.amdhsa_uses_dynamic_stack 0
		.amdhsa_enable_private_segment 0
		.amdhsa_system_sgpr_workgroup_id_x 1
		.amdhsa_system_sgpr_workgroup_id_y 0
		.amdhsa_system_sgpr_workgroup_id_z 0
		.amdhsa_system_sgpr_workgroup_info 0
		.amdhsa_system_vgpr_workitem_id 0
		.amdhsa_next_free_vgpr 13
		.amdhsa_next_free_sgpr 26
		.amdhsa_reserve_vcc 1
		.amdhsa_float_round_mode_32 0
		.amdhsa_float_round_mode_16_64 0
		.amdhsa_float_denorm_mode_32 3
		.amdhsa_float_denorm_mode_16_64 3
		.amdhsa_dx10_clamp 1
		.amdhsa_ieee_mode 1
		.amdhsa_fp16_overflow 0
		.amdhsa_workgroup_processor_mode 1
		.amdhsa_memory_ordered 1
		.amdhsa_forward_progress 0
		.amdhsa_shared_vgpr_count 0
		.amdhsa_exception_fp_ieee_invalid_op 0
		.amdhsa_exception_fp_denorm_src 0
		.amdhsa_exception_fp_ieee_div_zero 0
		.amdhsa_exception_fp_ieee_overflow 0
		.amdhsa_exception_fp_ieee_underflow 0
		.amdhsa_exception_fp_ieee_inexact 0
		.amdhsa_exception_int_div_zero 0
	.end_amdhsa_kernel
	.section	.text._ZN7rocprim17ROCPRIM_400000_NS6detail17trampoline_kernelINS0_14default_configENS1_35adjacent_difference_config_selectorILb0ElEEZNS1_24adjacent_difference_implIS3_Lb0ELb0EPlS7_ZN2at6native12_GLOBAL__N_124unique_dim_cuda_templateIiEESt5tupleIJNS8_6TensorESD_SD_EERKSD_lbbbEUlllE1_EE10hipError_tPvRmT2_T3_mT4_P12ihipStream_tbEUlT_E_NS1_11comp_targetILNS1_3genE9ELNS1_11target_archE1100ELNS1_3gpuE3ELNS1_3repE0EEENS1_30default_config_static_selectorELNS0_4arch9wavefront6targetE0EEEvT1_,"axG",@progbits,_ZN7rocprim17ROCPRIM_400000_NS6detail17trampoline_kernelINS0_14default_configENS1_35adjacent_difference_config_selectorILb0ElEEZNS1_24adjacent_difference_implIS3_Lb0ELb0EPlS7_ZN2at6native12_GLOBAL__N_124unique_dim_cuda_templateIiEESt5tupleIJNS8_6TensorESD_SD_EERKSD_lbbbEUlllE1_EE10hipError_tPvRmT2_T3_mT4_P12ihipStream_tbEUlT_E_NS1_11comp_targetILNS1_3genE9ELNS1_11target_archE1100ELNS1_3gpuE3ELNS1_3repE0EEENS1_30default_config_static_selectorELNS0_4arch9wavefront6targetE0EEEvT1_,comdat
.Lfunc_end422:
	.size	_ZN7rocprim17ROCPRIM_400000_NS6detail17trampoline_kernelINS0_14default_configENS1_35adjacent_difference_config_selectorILb0ElEEZNS1_24adjacent_difference_implIS3_Lb0ELb0EPlS7_ZN2at6native12_GLOBAL__N_124unique_dim_cuda_templateIiEESt5tupleIJNS8_6TensorESD_SD_EERKSD_lbbbEUlllE1_EE10hipError_tPvRmT2_T3_mT4_P12ihipStream_tbEUlT_E_NS1_11comp_targetILNS1_3genE9ELNS1_11target_archE1100ELNS1_3gpuE3ELNS1_3repE0EEENS1_30default_config_static_selectorELNS0_4arch9wavefront6targetE0EEEvT1_, .Lfunc_end422-_ZN7rocprim17ROCPRIM_400000_NS6detail17trampoline_kernelINS0_14default_configENS1_35adjacent_difference_config_selectorILb0ElEEZNS1_24adjacent_difference_implIS3_Lb0ELb0EPlS7_ZN2at6native12_GLOBAL__N_124unique_dim_cuda_templateIiEESt5tupleIJNS8_6TensorESD_SD_EERKSD_lbbbEUlllE1_EE10hipError_tPvRmT2_T3_mT4_P12ihipStream_tbEUlT_E_NS1_11comp_targetILNS1_3genE9ELNS1_11target_archE1100ELNS1_3gpuE3ELNS1_3repE0EEENS1_30default_config_static_selectorELNS0_4arch9wavefront6targetE0EEEvT1_
                                        ; -- End function
	.section	.AMDGPU.csdata,"",@progbits
; Kernel info:
; codeLenInByte = 2572
; NumSgprs: 28
; NumVgprs: 13
; ScratchSize: 0
; MemoryBound: 0
; FloatMode: 240
; IeeeMode: 1
; LDSByteSize: 8192 bytes/workgroup (compile time only)
; SGPRBlocks: 3
; VGPRBlocks: 1
; NumSGPRsForWavesPerEU: 28
; NumVGPRsForWavesPerEU: 13
; Occupancy: 16
; WaveLimiterHint : 0
; COMPUTE_PGM_RSRC2:SCRATCH_EN: 0
; COMPUTE_PGM_RSRC2:USER_SGPR: 15
; COMPUTE_PGM_RSRC2:TRAP_HANDLER: 0
; COMPUTE_PGM_RSRC2:TGID_X_EN: 1
; COMPUTE_PGM_RSRC2:TGID_Y_EN: 0
; COMPUTE_PGM_RSRC2:TGID_Z_EN: 0
; COMPUTE_PGM_RSRC2:TIDIG_COMP_CNT: 0
	.section	.text._ZN7rocprim17ROCPRIM_400000_NS6detail17trampoline_kernelINS0_14default_configENS1_35adjacent_difference_config_selectorILb0ElEEZNS1_24adjacent_difference_implIS3_Lb0ELb0EPlS7_ZN2at6native12_GLOBAL__N_124unique_dim_cuda_templateIiEESt5tupleIJNS8_6TensorESD_SD_EERKSD_lbbbEUlllE1_EE10hipError_tPvRmT2_T3_mT4_P12ihipStream_tbEUlT_E_NS1_11comp_targetILNS1_3genE8ELNS1_11target_archE1030ELNS1_3gpuE2ELNS1_3repE0EEENS1_30default_config_static_selectorELNS0_4arch9wavefront6targetE0EEEvT1_,"axG",@progbits,_ZN7rocprim17ROCPRIM_400000_NS6detail17trampoline_kernelINS0_14default_configENS1_35adjacent_difference_config_selectorILb0ElEEZNS1_24adjacent_difference_implIS3_Lb0ELb0EPlS7_ZN2at6native12_GLOBAL__N_124unique_dim_cuda_templateIiEESt5tupleIJNS8_6TensorESD_SD_EERKSD_lbbbEUlllE1_EE10hipError_tPvRmT2_T3_mT4_P12ihipStream_tbEUlT_E_NS1_11comp_targetILNS1_3genE8ELNS1_11target_archE1030ELNS1_3gpuE2ELNS1_3repE0EEENS1_30default_config_static_selectorELNS0_4arch9wavefront6targetE0EEEvT1_,comdat
	.globl	_ZN7rocprim17ROCPRIM_400000_NS6detail17trampoline_kernelINS0_14default_configENS1_35adjacent_difference_config_selectorILb0ElEEZNS1_24adjacent_difference_implIS3_Lb0ELb0EPlS7_ZN2at6native12_GLOBAL__N_124unique_dim_cuda_templateIiEESt5tupleIJNS8_6TensorESD_SD_EERKSD_lbbbEUlllE1_EE10hipError_tPvRmT2_T3_mT4_P12ihipStream_tbEUlT_E_NS1_11comp_targetILNS1_3genE8ELNS1_11target_archE1030ELNS1_3gpuE2ELNS1_3repE0EEENS1_30default_config_static_selectorELNS0_4arch9wavefront6targetE0EEEvT1_ ; -- Begin function _ZN7rocprim17ROCPRIM_400000_NS6detail17trampoline_kernelINS0_14default_configENS1_35adjacent_difference_config_selectorILb0ElEEZNS1_24adjacent_difference_implIS3_Lb0ELb0EPlS7_ZN2at6native12_GLOBAL__N_124unique_dim_cuda_templateIiEESt5tupleIJNS8_6TensorESD_SD_EERKSD_lbbbEUlllE1_EE10hipError_tPvRmT2_T3_mT4_P12ihipStream_tbEUlT_E_NS1_11comp_targetILNS1_3genE8ELNS1_11target_archE1030ELNS1_3gpuE2ELNS1_3repE0EEENS1_30default_config_static_selectorELNS0_4arch9wavefront6targetE0EEEvT1_
	.p2align	8
	.type	_ZN7rocprim17ROCPRIM_400000_NS6detail17trampoline_kernelINS0_14default_configENS1_35adjacent_difference_config_selectorILb0ElEEZNS1_24adjacent_difference_implIS3_Lb0ELb0EPlS7_ZN2at6native12_GLOBAL__N_124unique_dim_cuda_templateIiEESt5tupleIJNS8_6TensorESD_SD_EERKSD_lbbbEUlllE1_EE10hipError_tPvRmT2_T3_mT4_P12ihipStream_tbEUlT_E_NS1_11comp_targetILNS1_3genE8ELNS1_11target_archE1030ELNS1_3gpuE2ELNS1_3repE0EEENS1_30default_config_static_selectorELNS0_4arch9wavefront6targetE0EEEvT1_,@function
_ZN7rocprim17ROCPRIM_400000_NS6detail17trampoline_kernelINS0_14default_configENS1_35adjacent_difference_config_selectorILb0ElEEZNS1_24adjacent_difference_implIS3_Lb0ELb0EPlS7_ZN2at6native12_GLOBAL__N_124unique_dim_cuda_templateIiEESt5tupleIJNS8_6TensorESD_SD_EERKSD_lbbbEUlllE1_EE10hipError_tPvRmT2_T3_mT4_P12ihipStream_tbEUlT_E_NS1_11comp_targetILNS1_3genE8ELNS1_11target_archE1030ELNS1_3gpuE2ELNS1_3repE0EEENS1_30default_config_static_selectorELNS0_4arch9wavefront6targetE0EEEvT1_: ; @_ZN7rocprim17ROCPRIM_400000_NS6detail17trampoline_kernelINS0_14default_configENS1_35adjacent_difference_config_selectorILb0ElEEZNS1_24adjacent_difference_implIS3_Lb0ELb0EPlS7_ZN2at6native12_GLOBAL__N_124unique_dim_cuda_templateIiEESt5tupleIJNS8_6TensorESD_SD_EERKSD_lbbbEUlllE1_EE10hipError_tPvRmT2_T3_mT4_P12ihipStream_tbEUlT_E_NS1_11comp_targetILNS1_3genE8ELNS1_11target_archE1030ELNS1_3gpuE2ELNS1_3repE0EEENS1_30default_config_static_selectorELNS0_4arch9wavefront6targetE0EEEvT1_
; %bb.0:
	.section	.rodata,"a",@progbits
	.p2align	6, 0x0
	.amdhsa_kernel _ZN7rocprim17ROCPRIM_400000_NS6detail17trampoline_kernelINS0_14default_configENS1_35adjacent_difference_config_selectorILb0ElEEZNS1_24adjacent_difference_implIS3_Lb0ELb0EPlS7_ZN2at6native12_GLOBAL__N_124unique_dim_cuda_templateIiEESt5tupleIJNS8_6TensorESD_SD_EERKSD_lbbbEUlllE1_EE10hipError_tPvRmT2_T3_mT4_P12ihipStream_tbEUlT_E_NS1_11comp_targetILNS1_3genE8ELNS1_11target_archE1030ELNS1_3gpuE2ELNS1_3repE0EEENS1_30default_config_static_selectorELNS0_4arch9wavefront6targetE0EEEvT1_
		.amdhsa_group_segment_fixed_size 0
		.amdhsa_private_segment_fixed_size 0
		.amdhsa_kernarg_size 64
		.amdhsa_user_sgpr_count 15
		.amdhsa_user_sgpr_dispatch_ptr 0
		.amdhsa_user_sgpr_queue_ptr 0
		.amdhsa_user_sgpr_kernarg_segment_ptr 1
		.amdhsa_user_sgpr_dispatch_id 0
		.amdhsa_user_sgpr_private_segment_size 0
		.amdhsa_wavefront_size32 1
		.amdhsa_uses_dynamic_stack 0
		.amdhsa_enable_private_segment 0
		.amdhsa_system_sgpr_workgroup_id_x 1
		.amdhsa_system_sgpr_workgroup_id_y 0
		.amdhsa_system_sgpr_workgroup_id_z 0
		.amdhsa_system_sgpr_workgroup_info 0
		.amdhsa_system_vgpr_workitem_id 0
		.amdhsa_next_free_vgpr 1
		.amdhsa_next_free_sgpr 1
		.amdhsa_reserve_vcc 0
		.amdhsa_float_round_mode_32 0
		.amdhsa_float_round_mode_16_64 0
		.amdhsa_float_denorm_mode_32 3
		.amdhsa_float_denorm_mode_16_64 3
		.amdhsa_dx10_clamp 1
		.amdhsa_ieee_mode 1
		.amdhsa_fp16_overflow 0
		.amdhsa_workgroup_processor_mode 1
		.amdhsa_memory_ordered 1
		.amdhsa_forward_progress 0
		.amdhsa_shared_vgpr_count 0
		.amdhsa_exception_fp_ieee_invalid_op 0
		.amdhsa_exception_fp_denorm_src 0
		.amdhsa_exception_fp_ieee_div_zero 0
		.amdhsa_exception_fp_ieee_overflow 0
		.amdhsa_exception_fp_ieee_underflow 0
		.amdhsa_exception_fp_ieee_inexact 0
		.amdhsa_exception_int_div_zero 0
	.end_amdhsa_kernel
	.section	.text._ZN7rocprim17ROCPRIM_400000_NS6detail17trampoline_kernelINS0_14default_configENS1_35adjacent_difference_config_selectorILb0ElEEZNS1_24adjacent_difference_implIS3_Lb0ELb0EPlS7_ZN2at6native12_GLOBAL__N_124unique_dim_cuda_templateIiEESt5tupleIJNS8_6TensorESD_SD_EERKSD_lbbbEUlllE1_EE10hipError_tPvRmT2_T3_mT4_P12ihipStream_tbEUlT_E_NS1_11comp_targetILNS1_3genE8ELNS1_11target_archE1030ELNS1_3gpuE2ELNS1_3repE0EEENS1_30default_config_static_selectorELNS0_4arch9wavefront6targetE0EEEvT1_,"axG",@progbits,_ZN7rocprim17ROCPRIM_400000_NS6detail17trampoline_kernelINS0_14default_configENS1_35adjacent_difference_config_selectorILb0ElEEZNS1_24adjacent_difference_implIS3_Lb0ELb0EPlS7_ZN2at6native12_GLOBAL__N_124unique_dim_cuda_templateIiEESt5tupleIJNS8_6TensorESD_SD_EERKSD_lbbbEUlllE1_EE10hipError_tPvRmT2_T3_mT4_P12ihipStream_tbEUlT_E_NS1_11comp_targetILNS1_3genE8ELNS1_11target_archE1030ELNS1_3gpuE2ELNS1_3repE0EEENS1_30default_config_static_selectorELNS0_4arch9wavefront6targetE0EEEvT1_,comdat
.Lfunc_end423:
	.size	_ZN7rocprim17ROCPRIM_400000_NS6detail17trampoline_kernelINS0_14default_configENS1_35adjacent_difference_config_selectorILb0ElEEZNS1_24adjacent_difference_implIS3_Lb0ELb0EPlS7_ZN2at6native12_GLOBAL__N_124unique_dim_cuda_templateIiEESt5tupleIJNS8_6TensorESD_SD_EERKSD_lbbbEUlllE1_EE10hipError_tPvRmT2_T3_mT4_P12ihipStream_tbEUlT_E_NS1_11comp_targetILNS1_3genE8ELNS1_11target_archE1030ELNS1_3gpuE2ELNS1_3repE0EEENS1_30default_config_static_selectorELNS0_4arch9wavefront6targetE0EEEvT1_, .Lfunc_end423-_ZN7rocprim17ROCPRIM_400000_NS6detail17trampoline_kernelINS0_14default_configENS1_35adjacent_difference_config_selectorILb0ElEEZNS1_24adjacent_difference_implIS3_Lb0ELb0EPlS7_ZN2at6native12_GLOBAL__N_124unique_dim_cuda_templateIiEESt5tupleIJNS8_6TensorESD_SD_EERKSD_lbbbEUlllE1_EE10hipError_tPvRmT2_T3_mT4_P12ihipStream_tbEUlT_E_NS1_11comp_targetILNS1_3genE8ELNS1_11target_archE1030ELNS1_3gpuE2ELNS1_3repE0EEENS1_30default_config_static_selectorELNS0_4arch9wavefront6targetE0EEEvT1_
                                        ; -- End function
	.section	.AMDGPU.csdata,"",@progbits
; Kernel info:
; codeLenInByte = 0
; NumSgprs: 0
; NumVgprs: 0
; ScratchSize: 0
; MemoryBound: 0
; FloatMode: 240
; IeeeMode: 1
; LDSByteSize: 0 bytes/workgroup (compile time only)
; SGPRBlocks: 0
; VGPRBlocks: 0
; NumSGPRsForWavesPerEU: 1
; NumVGPRsForWavesPerEU: 1
; Occupancy: 16
; WaveLimiterHint : 0
; COMPUTE_PGM_RSRC2:SCRATCH_EN: 0
; COMPUTE_PGM_RSRC2:USER_SGPR: 15
; COMPUTE_PGM_RSRC2:TRAP_HANDLER: 0
; COMPUTE_PGM_RSRC2:TGID_X_EN: 1
; COMPUTE_PGM_RSRC2:TGID_Y_EN: 0
; COMPUTE_PGM_RSRC2:TGID_Z_EN: 0
; COMPUTE_PGM_RSRC2:TIDIG_COMP_CNT: 0
	.section	.text._ZN7rocprim17ROCPRIM_400000_NS6detail17trampoline_kernelINS0_14default_configENS1_25transform_config_selectorIlLb0EEEZNS1_14transform_implILb0ES3_S5_NS0_18transform_iteratorINS0_17counting_iteratorImlEEZNS1_24adjacent_difference_implIS3_Lb1ELb0EPlSB_ZN2at6native12_GLOBAL__N_124unique_dim_cuda_templateIiEESt5tupleIJNSC_6TensorESH_SH_EERKSH_lbbbEUlllE1_EE10hipError_tPvRmT2_T3_mT4_P12ihipStream_tbEUlmE_lEESB_NS0_8identityIvEEEESM_SP_SQ_mSR_ST_bEUlT_E_NS1_11comp_targetILNS1_3genE0ELNS1_11target_archE4294967295ELNS1_3gpuE0ELNS1_3repE0EEENS1_30default_config_static_selectorELNS0_4arch9wavefront6targetE0EEEvT1_,"axG",@progbits,_ZN7rocprim17ROCPRIM_400000_NS6detail17trampoline_kernelINS0_14default_configENS1_25transform_config_selectorIlLb0EEEZNS1_14transform_implILb0ES3_S5_NS0_18transform_iteratorINS0_17counting_iteratorImlEEZNS1_24adjacent_difference_implIS3_Lb1ELb0EPlSB_ZN2at6native12_GLOBAL__N_124unique_dim_cuda_templateIiEESt5tupleIJNSC_6TensorESH_SH_EERKSH_lbbbEUlllE1_EE10hipError_tPvRmT2_T3_mT4_P12ihipStream_tbEUlmE_lEESB_NS0_8identityIvEEEESM_SP_SQ_mSR_ST_bEUlT_E_NS1_11comp_targetILNS1_3genE0ELNS1_11target_archE4294967295ELNS1_3gpuE0ELNS1_3repE0EEENS1_30default_config_static_selectorELNS0_4arch9wavefront6targetE0EEEvT1_,comdat
	.globl	_ZN7rocprim17ROCPRIM_400000_NS6detail17trampoline_kernelINS0_14default_configENS1_25transform_config_selectorIlLb0EEEZNS1_14transform_implILb0ES3_S5_NS0_18transform_iteratorINS0_17counting_iteratorImlEEZNS1_24adjacent_difference_implIS3_Lb1ELb0EPlSB_ZN2at6native12_GLOBAL__N_124unique_dim_cuda_templateIiEESt5tupleIJNSC_6TensorESH_SH_EERKSH_lbbbEUlllE1_EE10hipError_tPvRmT2_T3_mT4_P12ihipStream_tbEUlmE_lEESB_NS0_8identityIvEEEESM_SP_SQ_mSR_ST_bEUlT_E_NS1_11comp_targetILNS1_3genE0ELNS1_11target_archE4294967295ELNS1_3gpuE0ELNS1_3repE0EEENS1_30default_config_static_selectorELNS0_4arch9wavefront6targetE0EEEvT1_ ; -- Begin function _ZN7rocprim17ROCPRIM_400000_NS6detail17trampoline_kernelINS0_14default_configENS1_25transform_config_selectorIlLb0EEEZNS1_14transform_implILb0ES3_S5_NS0_18transform_iteratorINS0_17counting_iteratorImlEEZNS1_24adjacent_difference_implIS3_Lb1ELb0EPlSB_ZN2at6native12_GLOBAL__N_124unique_dim_cuda_templateIiEESt5tupleIJNSC_6TensorESH_SH_EERKSH_lbbbEUlllE1_EE10hipError_tPvRmT2_T3_mT4_P12ihipStream_tbEUlmE_lEESB_NS0_8identityIvEEEESM_SP_SQ_mSR_ST_bEUlT_E_NS1_11comp_targetILNS1_3genE0ELNS1_11target_archE4294967295ELNS1_3gpuE0ELNS1_3repE0EEENS1_30default_config_static_selectorELNS0_4arch9wavefront6targetE0EEEvT1_
	.p2align	8
	.type	_ZN7rocprim17ROCPRIM_400000_NS6detail17trampoline_kernelINS0_14default_configENS1_25transform_config_selectorIlLb0EEEZNS1_14transform_implILb0ES3_S5_NS0_18transform_iteratorINS0_17counting_iteratorImlEEZNS1_24adjacent_difference_implIS3_Lb1ELb0EPlSB_ZN2at6native12_GLOBAL__N_124unique_dim_cuda_templateIiEESt5tupleIJNSC_6TensorESH_SH_EERKSH_lbbbEUlllE1_EE10hipError_tPvRmT2_T3_mT4_P12ihipStream_tbEUlmE_lEESB_NS0_8identityIvEEEESM_SP_SQ_mSR_ST_bEUlT_E_NS1_11comp_targetILNS1_3genE0ELNS1_11target_archE4294967295ELNS1_3gpuE0ELNS1_3repE0EEENS1_30default_config_static_selectorELNS0_4arch9wavefront6targetE0EEEvT1_,@function
_ZN7rocprim17ROCPRIM_400000_NS6detail17trampoline_kernelINS0_14default_configENS1_25transform_config_selectorIlLb0EEEZNS1_14transform_implILb0ES3_S5_NS0_18transform_iteratorINS0_17counting_iteratorImlEEZNS1_24adjacent_difference_implIS3_Lb1ELb0EPlSB_ZN2at6native12_GLOBAL__N_124unique_dim_cuda_templateIiEESt5tupleIJNSC_6TensorESH_SH_EERKSH_lbbbEUlllE1_EE10hipError_tPvRmT2_T3_mT4_P12ihipStream_tbEUlmE_lEESB_NS0_8identityIvEEEESM_SP_SQ_mSR_ST_bEUlT_E_NS1_11comp_targetILNS1_3genE0ELNS1_11target_archE4294967295ELNS1_3gpuE0ELNS1_3repE0EEENS1_30default_config_static_selectorELNS0_4arch9wavefront6targetE0EEEvT1_: ; @_ZN7rocprim17ROCPRIM_400000_NS6detail17trampoline_kernelINS0_14default_configENS1_25transform_config_selectorIlLb0EEEZNS1_14transform_implILb0ES3_S5_NS0_18transform_iteratorINS0_17counting_iteratorImlEEZNS1_24adjacent_difference_implIS3_Lb1ELb0EPlSB_ZN2at6native12_GLOBAL__N_124unique_dim_cuda_templateIiEESt5tupleIJNSC_6TensorESH_SH_EERKSH_lbbbEUlllE1_EE10hipError_tPvRmT2_T3_mT4_P12ihipStream_tbEUlmE_lEESB_NS0_8identityIvEEEESM_SP_SQ_mSR_ST_bEUlT_E_NS1_11comp_targetILNS1_3genE0ELNS1_11target_archE4294967295ELNS1_3gpuE0ELNS1_3repE0EEENS1_30default_config_static_selectorELNS0_4arch9wavefront6targetE0EEEvT1_
; %bb.0:
	.section	.rodata,"a",@progbits
	.p2align	6, 0x0
	.amdhsa_kernel _ZN7rocprim17ROCPRIM_400000_NS6detail17trampoline_kernelINS0_14default_configENS1_25transform_config_selectorIlLb0EEEZNS1_14transform_implILb0ES3_S5_NS0_18transform_iteratorINS0_17counting_iteratorImlEEZNS1_24adjacent_difference_implIS3_Lb1ELb0EPlSB_ZN2at6native12_GLOBAL__N_124unique_dim_cuda_templateIiEESt5tupleIJNSC_6TensorESH_SH_EERKSH_lbbbEUlllE1_EE10hipError_tPvRmT2_T3_mT4_P12ihipStream_tbEUlmE_lEESB_NS0_8identityIvEEEESM_SP_SQ_mSR_ST_bEUlT_E_NS1_11comp_targetILNS1_3genE0ELNS1_11target_archE4294967295ELNS1_3gpuE0ELNS1_3repE0EEENS1_30default_config_static_selectorELNS0_4arch9wavefront6targetE0EEEvT1_
		.amdhsa_group_segment_fixed_size 0
		.amdhsa_private_segment_fixed_size 0
		.amdhsa_kernarg_size 56
		.amdhsa_user_sgpr_count 15
		.amdhsa_user_sgpr_dispatch_ptr 0
		.amdhsa_user_sgpr_queue_ptr 0
		.amdhsa_user_sgpr_kernarg_segment_ptr 1
		.amdhsa_user_sgpr_dispatch_id 0
		.amdhsa_user_sgpr_private_segment_size 0
		.amdhsa_wavefront_size32 1
		.amdhsa_uses_dynamic_stack 0
		.amdhsa_enable_private_segment 0
		.amdhsa_system_sgpr_workgroup_id_x 1
		.amdhsa_system_sgpr_workgroup_id_y 0
		.amdhsa_system_sgpr_workgroup_id_z 0
		.amdhsa_system_sgpr_workgroup_info 0
		.amdhsa_system_vgpr_workitem_id 0
		.amdhsa_next_free_vgpr 1
		.amdhsa_next_free_sgpr 1
		.amdhsa_reserve_vcc 0
		.amdhsa_float_round_mode_32 0
		.amdhsa_float_round_mode_16_64 0
		.amdhsa_float_denorm_mode_32 3
		.amdhsa_float_denorm_mode_16_64 3
		.amdhsa_dx10_clamp 1
		.amdhsa_ieee_mode 1
		.amdhsa_fp16_overflow 0
		.amdhsa_workgroup_processor_mode 1
		.amdhsa_memory_ordered 1
		.amdhsa_forward_progress 0
		.amdhsa_shared_vgpr_count 0
		.amdhsa_exception_fp_ieee_invalid_op 0
		.amdhsa_exception_fp_denorm_src 0
		.amdhsa_exception_fp_ieee_div_zero 0
		.amdhsa_exception_fp_ieee_overflow 0
		.amdhsa_exception_fp_ieee_underflow 0
		.amdhsa_exception_fp_ieee_inexact 0
		.amdhsa_exception_int_div_zero 0
	.end_amdhsa_kernel
	.section	.text._ZN7rocprim17ROCPRIM_400000_NS6detail17trampoline_kernelINS0_14default_configENS1_25transform_config_selectorIlLb0EEEZNS1_14transform_implILb0ES3_S5_NS0_18transform_iteratorINS0_17counting_iteratorImlEEZNS1_24adjacent_difference_implIS3_Lb1ELb0EPlSB_ZN2at6native12_GLOBAL__N_124unique_dim_cuda_templateIiEESt5tupleIJNSC_6TensorESH_SH_EERKSH_lbbbEUlllE1_EE10hipError_tPvRmT2_T3_mT4_P12ihipStream_tbEUlmE_lEESB_NS0_8identityIvEEEESM_SP_SQ_mSR_ST_bEUlT_E_NS1_11comp_targetILNS1_3genE0ELNS1_11target_archE4294967295ELNS1_3gpuE0ELNS1_3repE0EEENS1_30default_config_static_selectorELNS0_4arch9wavefront6targetE0EEEvT1_,"axG",@progbits,_ZN7rocprim17ROCPRIM_400000_NS6detail17trampoline_kernelINS0_14default_configENS1_25transform_config_selectorIlLb0EEEZNS1_14transform_implILb0ES3_S5_NS0_18transform_iteratorINS0_17counting_iteratorImlEEZNS1_24adjacent_difference_implIS3_Lb1ELb0EPlSB_ZN2at6native12_GLOBAL__N_124unique_dim_cuda_templateIiEESt5tupleIJNSC_6TensorESH_SH_EERKSH_lbbbEUlllE1_EE10hipError_tPvRmT2_T3_mT4_P12ihipStream_tbEUlmE_lEESB_NS0_8identityIvEEEESM_SP_SQ_mSR_ST_bEUlT_E_NS1_11comp_targetILNS1_3genE0ELNS1_11target_archE4294967295ELNS1_3gpuE0ELNS1_3repE0EEENS1_30default_config_static_selectorELNS0_4arch9wavefront6targetE0EEEvT1_,comdat
.Lfunc_end424:
	.size	_ZN7rocprim17ROCPRIM_400000_NS6detail17trampoline_kernelINS0_14default_configENS1_25transform_config_selectorIlLb0EEEZNS1_14transform_implILb0ES3_S5_NS0_18transform_iteratorINS0_17counting_iteratorImlEEZNS1_24adjacent_difference_implIS3_Lb1ELb0EPlSB_ZN2at6native12_GLOBAL__N_124unique_dim_cuda_templateIiEESt5tupleIJNSC_6TensorESH_SH_EERKSH_lbbbEUlllE1_EE10hipError_tPvRmT2_T3_mT4_P12ihipStream_tbEUlmE_lEESB_NS0_8identityIvEEEESM_SP_SQ_mSR_ST_bEUlT_E_NS1_11comp_targetILNS1_3genE0ELNS1_11target_archE4294967295ELNS1_3gpuE0ELNS1_3repE0EEENS1_30default_config_static_selectorELNS0_4arch9wavefront6targetE0EEEvT1_, .Lfunc_end424-_ZN7rocprim17ROCPRIM_400000_NS6detail17trampoline_kernelINS0_14default_configENS1_25transform_config_selectorIlLb0EEEZNS1_14transform_implILb0ES3_S5_NS0_18transform_iteratorINS0_17counting_iteratorImlEEZNS1_24adjacent_difference_implIS3_Lb1ELb0EPlSB_ZN2at6native12_GLOBAL__N_124unique_dim_cuda_templateIiEESt5tupleIJNSC_6TensorESH_SH_EERKSH_lbbbEUlllE1_EE10hipError_tPvRmT2_T3_mT4_P12ihipStream_tbEUlmE_lEESB_NS0_8identityIvEEEESM_SP_SQ_mSR_ST_bEUlT_E_NS1_11comp_targetILNS1_3genE0ELNS1_11target_archE4294967295ELNS1_3gpuE0ELNS1_3repE0EEENS1_30default_config_static_selectorELNS0_4arch9wavefront6targetE0EEEvT1_
                                        ; -- End function
	.section	.AMDGPU.csdata,"",@progbits
; Kernel info:
; codeLenInByte = 0
; NumSgprs: 0
; NumVgprs: 0
; ScratchSize: 0
; MemoryBound: 0
; FloatMode: 240
; IeeeMode: 1
; LDSByteSize: 0 bytes/workgroup (compile time only)
; SGPRBlocks: 0
; VGPRBlocks: 0
; NumSGPRsForWavesPerEU: 1
; NumVGPRsForWavesPerEU: 1
; Occupancy: 16
; WaveLimiterHint : 0
; COMPUTE_PGM_RSRC2:SCRATCH_EN: 0
; COMPUTE_PGM_RSRC2:USER_SGPR: 15
; COMPUTE_PGM_RSRC2:TRAP_HANDLER: 0
; COMPUTE_PGM_RSRC2:TGID_X_EN: 1
; COMPUTE_PGM_RSRC2:TGID_Y_EN: 0
; COMPUTE_PGM_RSRC2:TGID_Z_EN: 0
; COMPUTE_PGM_RSRC2:TIDIG_COMP_CNT: 0
	.section	.text._ZN7rocprim17ROCPRIM_400000_NS6detail17trampoline_kernelINS0_14default_configENS1_25transform_config_selectorIlLb0EEEZNS1_14transform_implILb0ES3_S5_NS0_18transform_iteratorINS0_17counting_iteratorImlEEZNS1_24adjacent_difference_implIS3_Lb1ELb0EPlSB_ZN2at6native12_GLOBAL__N_124unique_dim_cuda_templateIiEESt5tupleIJNSC_6TensorESH_SH_EERKSH_lbbbEUlllE1_EE10hipError_tPvRmT2_T3_mT4_P12ihipStream_tbEUlmE_lEESB_NS0_8identityIvEEEESM_SP_SQ_mSR_ST_bEUlT_E_NS1_11comp_targetILNS1_3genE5ELNS1_11target_archE942ELNS1_3gpuE9ELNS1_3repE0EEENS1_30default_config_static_selectorELNS0_4arch9wavefront6targetE0EEEvT1_,"axG",@progbits,_ZN7rocprim17ROCPRIM_400000_NS6detail17trampoline_kernelINS0_14default_configENS1_25transform_config_selectorIlLb0EEEZNS1_14transform_implILb0ES3_S5_NS0_18transform_iteratorINS0_17counting_iteratorImlEEZNS1_24adjacent_difference_implIS3_Lb1ELb0EPlSB_ZN2at6native12_GLOBAL__N_124unique_dim_cuda_templateIiEESt5tupleIJNSC_6TensorESH_SH_EERKSH_lbbbEUlllE1_EE10hipError_tPvRmT2_T3_mT4_P12ihipStream_tbEUlmE_lEESB_NS0_8identityIvEEEESM_SP_SQ_mSR_ST_bEUlT_E_NS1_11comp_targetILNS1_3genE5ELNS1_11target_archE942ELNS1_3gpuE9ELNS1_3repE0EEENS1_30default_config_static_selectorELNS0_4arch9wavefront6targetE0EEEvT1_,comdat
	.globl	_ZN7rocprim17ROCPRIM_400000_NS6detail17trampoline_kernelINS0_14default_configENS1_25transform_config_selectorIlLb0EEEZNS1_14transform_implILb0ES3_S5_NS0_18transform_iteratorINS0_17counting_iteratorImlEEZNS1_24adjacent_difference_implIS3_Lb1ELb0EPlSB_ZN2at6native12_GLOBAL__N_124unique_dim_cuda_templateIiEESt5tupleIJNSC_6TensorESH_SH_EERKSH_lbbbEUlllE1_EE10hipError_tPvRmT2_T3_mT4_P12ihipStream_tbEUlmE_lEESB_NS0_8identityIvEEEESM_SP_SQ_mSR_ST_bEUlT_E_NS1_11comp_targetILNS1_3genE5ELNS1_11target_archE942ELNS1_3gpuE9ELNS1_3repE0EEENS1_30default_config_static_selectorELNS0_4arch9wavefront6targetE0EEEvT1_ ; -- Begin function _ZN7rocprim17ROCPRIM_400000_NS6detail17trampoline_kernelINS0_14default_configENS1_25transform_config_selectorIlLb0EEEZNS1_14transform_implILb0ES3_S5_NS0_18transform_iteratorINS0_17counting_iteratorImlEEZNS1_24adjacent_difference_implIS3_Lb1ELb0EPlSB_ZN2at6native12_GLOBAL__N_124unique_dim_cuda_templateIiEESt5tupleIJNSC_6TensorESH_SH_EERKSH_lbbbEUlllE1_EE10hipError_tPvRmT2_T3_mT4_P12ihipStream_tbEUlmE_lEESB_NS0_8identityIvEEEESM_SP_SQ_mSR_ST_bEUlT_E_NS1_11comp_targetILNS1_3genE5ELNS1_11target_archE942ELNS1_3gpuE9ELNS1_3repE0EEENS1_30default_config_static_selectorELNS0_4arch9wavefront6targetE0EEEvT1_
	.p2align	8
	.type	_ZN7rocprim17ROCPRIM_400000_NS6detail17trampoline_kernelINS0_14default_configENS1_25transform_config_selectorIlLb0EEEZNS1_14transform_implILb0ES3_S5_NS0_18transform_iteratorINS0_17counting_iteratorImlEEZNS1_24adjacent_difference_implIS3_Lb1ELb0EPlSB_ZN2at6native12_GLOBAL__N_124unique_dim_cuda_templateIiEESt5tupleIJNSC_6TensorESH_SH_EERKSH_lbbbEUlllE1_EE10hipError_tPvRmT2_T3_mT4_P12ihipStream_tbEUlmE_lEESB_NS0_8identityIvEEEESM_SP_SQ_mSR_ST_bEUlT_E_NS1_11comp_targetILNS1_3genE5ELNS1_11target_archE942ELNS1_3gpuE9ELNS1_3repE0EEENS1_30default_config_static_selectorELNS0_4arch9wavefront6targetE0EEEvT1_,@function
_ZN7rocprim17ROCPRIM_400000_NS6detail17trampoline_kernelINS0_14default_configENS1_25transform_config_selectorIlLb0EEEZNS1_14transform_implILb0ES3_S5_NS0_18transform_iteratorINS0_17counting_iteratorImlEEZNS1_24adjacent_difference_implIS3_Lb1ELb0EPlSB_ZN2at6native12_GLOBAL__N_124unique_dim_cuda_templateIiEESt5tupleIJNSC_6TensorESH_SH_EERKSH_lbbbEUlllE1_EE10hipError_tPvRmT2_T3_mT4_P12ihipStream_tbEUlmE_lEESB_NS0_8identityIvEEEESM_SP_SQ_mSR_ST_bEUlT_E_NS1_11comp_targetILNS1_3genE5ELNS1_11target_archE942ELNS1_3gpuE9ELNS1_3repE0EEENS1_30default_config_static_selectorELNS0_4arch9wavefront6targetE0EEEvT1_: ; @_ZN7rocprim17ROCPRIM_400000_NS6detail17trampoline_kernelINS0_14default_configENS1_25transform_config_selectorIlLb0EEEZNS1_14transform_implILb0ES3_S5_NS0_18transform_iteratorINS0_17counting_iteratorImlEEZNS1_24adjacent_difference_implIS3_Lb1ELb0EPlSB_ZN2at6native12_GLOBAL__N_124unique_dim_cuda_templateIiEESt5tupleIJNSC_6TensorESH_SH_EERKSH_lbbbEUlllE1_EE10hipError_tPvRmT2_T3_mT4_P12ihipStream_tbEUlmE_lEESB_NS0_8identityIvEEEESM_SP_SQ_mSR_ST_bEUlT_E_NS1_11comp_targetILNS1_3genE5ELNS1_11target_archE942ELNS1_3gpuE9ELNS1_3repE0EEENS1_30default_config_static_selectorELNS0_4arch9wavefront6targetE0EEEvT1_
; %bb.0:
	.section	.rodata,"a",@progbits
	.p2align	6, 0x0
	.amdhsa_kernel _ZN7rocprim17ROCPRIM_400000_NS6detail17trampoline_kernelINS0_14default_configENS1_25transform_config_selectorIlLb0EEEZNS1_14transform_implILb0ES3_S5_NS0_18transform_iteratorINS0_17counting_iteratorImlEEZNS1_24adjacent_difference_implIS3_Lb1ELb0EPlSB_ZN2at6native12_GLOBAL__N_124unique_dim_cuda_templateIiEESt5tupleIJNSC_6TensorESH_SH_EERKSH_lbbbEUlllE1_EE10hipError_tPvRmT2_T3_mT4_P12ihipStream_tbEUlmE_lEESB_NS0_8identityIvEEEESM_SP_SQ_mSR_ST_bEUlT_E_NS1_11comp_targetILNS1_3genE5ELNS1_11target_archE942ELNS1_3gpuE9ELNS1_3repE0EEENS1_30default_config_static_selectorELNS0_4arch9wavefront6targetE0EEEvT1_
		.amdhsa_group_segment_fixed_size 0
		.amdhsa_private_segment_fixed_size 0
		.amdhsa_kernarg_size 56
		.amdhsa_user_sgpr_count 15
		.amdhsa_user_sgpr_dispatch_ptr 0
		.amdhsa_user_sgpr_queue_ptr 0
		.amdhsa_user_sgpr_kernarg_segment_ptr 1
		.amdhsa_user_sgpr_dispatch_id 0
		.amdhsa_user_sgpr_private_segment_size 0
		.amdhsa_wavefront_size32 1
		.amdhsa_uses_dynamic_stack 0
		.amdhsa_enable_private_segment 0
		.amdhsa_system_sgpr_workgroup_id_x 1
		.amdhsa_system_sgpr_workgroup_id_y 0
		.amdhsa_system_sgpr_workgroup_id_z 0
		.amdhsa_system_sgpr_workgroup_info 0
		.amdhsa_system_vgpr_workitem_id 0
		.amdhsa_next_free_vgpr 1
		.amdhsa_next_free_sgpr 1
		.amdhsa_reserve_vcc 0
		.amdhsa_float_round_mode_32 0
		.amdhsa_float_round_mode_16_64 0
		.amdhsa_float_denorm_mode_32 3
		.amdhsa_float_denorm_mode_16_64 3
		.amdhsa_dx10_clamp 1
		.amdhsa_ieee_mode 1
		.amdhsa_fp16_overflow 0
		.amdhsa_workgroup_processor_mode 1
		.amdhsa_memory_ordered 1
		.amdhsa_forward_progress 0
		.amdhsa_shared_vgpr_count 0
		.amdhsa_exception_fp_ieee_invalid_op 0
		.amdhsa_exception_fp_denorm_src 0
		.amdhsa_exception_fp_ieee_div_zero 0
		.amdhsa_exception_fp_ieee_overflow 0
		.amdhsa_exception_fp_ieee_underflow 0
		.amdhsa_exception_fp_ieee_inexact 0
		.amdhsa_exception_int_div_zero 0
	.end_amdhsa_kernel
	.section	.text._ZN7rocprim17ROCPRIM_400000_NS6detail17trampoline_kernelINS0_14default_configENS1_25transform_config_selectorIlLb0EEEZNS1_14transform_implILb0ES3_S5_NS0_18transform_iteratorINS0_17counting_iteratorImlEEZNS1_24adjacent_difference_implIS3_Lb1ELb0EPlSB_ZN2at6native12_GLOBAL__N_124unique_dim_cuda_templateIiEESt5tupleIJNSC_6TensorESH_SH_EERKSH_lbbbEUlllE1_EE10hipError_tPvRmT2_T3_mT4_P12ihipStream_tbEUlmE_lEESB_NS0_8identityIvEEEESM_SP_SQ_mSR_ST_bEUlT_E_NS1_11comp_targetILNS1_3genE5ELNS1_11target_archE942ELNS1_3gpuE9ELNS1_3repE0EEENS1_30default_config_static_selectorELNS0_4arch9wavefront6targetE0EEEvT1_,"axG",@progbits,_ZN7rocprim17ROCPRIM_400000_NS6detail17trampoline_kernelINS0_14default_configENS1_25transform_config_selectorIlLb0EEEZNS1_14transform_implILb0ES3_S5_NS0_18transform_iteratorINS0_17counting_iteratorImlEEZNS1_24adjacent_difference_implIS3_Lb1ELb0EPlSB_ZN2at6native12_GLOBAL__N_124unique_dim_cuda_templateIiEESt5tupleIJNSC_6TensorESH_SH_EERKSH_lbbbEUlllE1_EE10hipError_tPvRmT2_T3_mT4_P12ihipStream_tbEUlmE_lEESB_NS0_8identityIvEEEESM_SP_SQ_mSR_ST_bEUlT_E_NS1_11comp_targetILNS1_3genE5ELNS1_11target_archE942ELNS1_3gpuE9ELNS1_3repE0EEENS1_30default_config_static_selectorELNS0_4arch9wavefront6targetE0EEEvT1_,comdat
.Lfunc_end425:
	.size	_ZN7rocprim17ROCPRIM_400000_NS6detail17trampoline_kernelINS0_14default_configENS1_25transform_config_selectorIlLb0EEEZNS1_14transform_implILb0ES3_S5_NS0_18transform_iteratorINS0_17counting_iteratorImlEEZNS1_24adjacent_difference_implIS3_Lb1ELb0EPlSB_ZN2at6native12_GLOBAL__N_124unique_dim_cuda_templateIiEESt5tupleIJNSC_6TensorESH_SH_EERKSH_lbbbEUlllE1_EE10hipError_tPvRmT2_T3_mT4_P12ihipStream_tbEUlmE_lEESB_NS0_8identityIvEEEESM_SP_SQ_mSR_ST_bEUlT_E_NS1_11comp_targetILNS1_3genE5ELNS1_11target_archE942ELNS1_3gpuE9ELNS1_3repE0EEENS1_30default_config_static_selectorELNS0_4arch9wavefront6targetE0EEEvT1_, .Lfunc_end425-_ZN7rocprim17ROCPRIM_400000_NS6detail17trampoline_kernelINS0_14default_configENS1_25transform_config_selectorIlLb0EEEZNS1_14transform_implILb0ES3_S5_NS0_18transform_iteratorINS0_17counting_iteratorImlEEZNS1_24adjacent_difference_implIS3_Lb1ELb0EPlSB_ZN2at6native12_GLOBAL__N_124unique_dim_cuda_templateIiEESt5tupleIJNSC_6TensorESH_SH_EERKSH_lbbbEUlllE1_EE10hipError_tPvRmT2_T3_mT4_P12ihipStream_tbEUlmE_lEESB_NS0_8identityIvEEEESM_SP_SQ_mSR_ST_bEUlT_E_NS1_11comp_targetILNS1_3genE5ELNS1_11target_archE942ELNS1_3gpuE9ELNS1_3repE0EEENS1_30default_config_static_selectorELNS0_4arch9wavefront6targetE0EEEvT1_
                                        ; -- End function
	.section	.AMDGPU.csdata,"",@progbits
; Kernel info:
; codeLenInByte = 0
; NumSgprs: 0
; NumVgprs: 0
; ScratchSize: 0
; MemoryBound: 0
; FloatMode: 240
; IeeeMode: 1
; LDSByteSize: 0 bytes/workgroup (compile time only)
; SGPRBlocks: 0
; VGPRBlocks: 0
; NumSGPRsForWavesPerEU: 1
; NumVGPRsForWavesPerEU: 1
; Occupancy: 16
; WaveLimiterHint : 0
; COMPUTE_PGM_RSRC2:SCRATCH_EN: 0
; COMPUTE_PGM_RSRC2:USER_SGPR: 15
; COMPUTE_PGM_RSRC2:TRAP_HANDLER: 0
; COMPUTE_PGM_RSRC2:TGID_X_EN: 1
; COMPUTE_PGM_RSRC2:TGID_Y_EN: 0
; COMPUTE_PGM_RSRC2:TGID_Z_EN: 0
; COMPUTE_PGM_RSRC2:TIDIG_COMP_CNT: 0
	.section	.text._ZN7rocprim17ROCPRIM_400000_NS6detail17trampoline_kernelINS0_14default_configENS1_25transform_config_selectorIlLb0EEEZNS1_14transform_implILb0ES3_S5_NS0_18transform_iteratorINS0_17counting_iteratorImlEEZNS1_24adjacent_difference_implIS3_Lb1ELb0EPlSB_ZN2at6native12_GLOBAL__N_124unique_dim_cuda_templateIiEESt5tupleIJNSC_6TensorESH_SH_EERKSH_lbbbEUlllE1_EE10hipError_tPvRmT2_T3_mT4_P12ihipStream_tbEUlmE_lEESB_NS0_8identityIvEEEESM_SP_SQ_mSR_ST_bEUlT_E_NS1_11comp_targetILNS1_3genE4ELNS1_11target_archE910ELNS1_3gpuE8ELNS1_3repE0EEENS1_30default_config_static_selectorELNS0_4arch9wavefront6targetE0EEEvT1_,"axG",@progbits,_ZN7rocprim17ROCPRIM_400000_NS6detail17trampoline_kernelINS0_14default_configENS1_25transform_config_selectorIlLb0EEEZNS1_14transform_implILb0ES3_S5_NS0_18transform_iteratorINS0_17counting_iteratorImlEEZNS1_24adjacent_difference_implIS3_Lb1ELb0EPlSB_ZN2at6native12_GLOBAL__N_124unique_dim_cuda_templateIiEESt5tupleIJNSC_6TensorESH_SH_EERKSH_lbbbEUlllE1_EE10hipError_tPvRmT2_T3_mT4_P12ihipStream_tbEUlmE_lEESB_NS0_8identityIvEEEESM_SP_SQ_mSR_ST_bEUlT_E_NS1_11comp_targetILNS1_3genE4ELNS1_11target_archE910ELNS1_3gpuE8ELNS1_3repE0EEENS1_30default_config_static_selectorELNS0_4arch9wavefront6targetE0EEEvT1_,comdat
	.globl	_ZN7rocprim17ROCPRIM_400000_NS6detail17trampoline_kernelINS0_14default_configENS1_25transform_config_selectorIlLb0EEEZNS1_14transform_implILb0ES3_S5_NS0_18transform_iteratorINS0_17counting_iteratorImlEEZNS1_24adjacent_difference_implIS3_Lb1ELb0EPlSB_ZN2at6native12_GLOBAL__N_124unique_dim_cuda_templateIiEESt5tupleIJNSC_6TensorESH_SH_EERKSH_lbbbEUlllE1_EE10hipError_tPvRmT2_T3_mT4_P12ihipStream_tbEUlmE_lEESB_NS0_8identityIvEEEESM_SP_SQ_mSR_ST_bEUlT_E_NS1_11comp_targetILNS1_3genE4ELNS1_11target_archE910ELNS1_3gpuE8ELNS1_3repE0EEENS1_30default_config_static_selectorELNS0_4arch9wavefront6targetE0EEEvT1_ ; -- Begin function _ZN7rocprim17ROCPRIM_400000_NS6detail17trampoline_kernelINS0_14default_configENS1_25transform_config_selectorIlLb0EEEZNS1_14transform_implILb0ES3_S5_NS0_18transform_iteratorINS0_17counting_iteratorImlEEZNS1_24adjacent_difference_implIS3_Lb1ELb0EPlSB_ZN2at6native12_GLOBAL__N_124unique_dim_cuda_templateIiEESt5tupleIJNSC_6TensorESH_SH_EERKSH_lbbbEUlllE1_EE10hipError_tPvRmT2_T3_mT4_P12ihipStream_tbEUlmE_lEESB_NS0_8identityIvEEEESM_SP_SQ_mSR_ST_bEUlT_E_NS1_11comp_targetILNS1_3genE4ELNS1_11target_archE910ELNS1_3gpuE8ELNS1_3repE0EEENS1_30default_config_static_selectorELNS0_4arch9wavefront6targetE0EEEvT1_
	.p2align	8
	.type	_ZN7rocprim17ROCPRIM_400000_NS6detail17trampoline_kernelINS0_14default_configENS1_25transform_config_selectorIlLb0EEEZNS1_14transform_implILb0ES3_S5_NS0_18transform_iteratorINS0_17counting_iteratorImlEEZNS1_24adjacent_difference_implIS3_Lb1ELb0EPlSB_ZN2at6native12_GLOBAL__N_124unique_dim_cuda_templateIiEESt5tupleIJNSC_6TensorESH_SH_EERKSH_lbbbEUlllE1_EE10hipError_tPvRmT2_T3_mT4_P12ihipStream_tbEUlmE_lEESB_NS0_8identityIvEEEESM_SP_SQ_mSR_ST_bEUlT_E_NS1_11comp_targetILNS1_3genE4ELNS1_11target_archE910ELNS1_3gpuE8ELNS1_3repE0EEENS1_30default_config_static_selectorELNS0_4arch9wavefront6targetE0EEEvT1_,@function
_ZN7rocprim17ROCPRIM_400000_NS6detail17trampoline_kernelINS0_14default_configENS1_25transform_config_selectorIlLb0EEEZNS1_14transform_implILb0ES3_S5_NS0_18transform_iteratorINS0_17counting_iteratorImlEEZNS1_24adjacent_difference_implIS3_Lb1ELb0EPlSB_ZN2at6native12_GLOBAL__N_124unique_dim_cuda_templateIiEESt5tupleIJNSC_6TensorESH_SH_EERKSH_lbbbEUlllE1_EE10hipError_tPvRmT2_T3_mT4_P12ihipStream_tbEUlmE_lEESB_NS0_8identityIvEEEESM_SP_SQ_mSR_ST_bEUlT_E_NS1_11comp_targetILNS1_3genE4ELNS1_11target_archE910ELNS1_3gpuE8ELNS1_3repE0EEENS1_30default_config_static_selectorELNS0_4arch9wavefront6targetE0EEEvT1_: ; @_ZN7rocprim17ROCPRIM_400000_NS6detail17trampoline_kernelINS0_14default_configENS1_25transform_config_selectorIlLb0EEEZNS1_14transform_implILb0ES3_S5_NS0_18transform_iteratorINS0_17counting_iteratorImlEEZNS1_24adjacent_difference_implIS3_Lb1ELb0EPlSB_ZN2at6native12_GLOBAL__N_124unique_dim_cuda_templateIiEESt5tupleIJNSC_6TensorESH_SH_EERKSH_lbbbEUlllE1_EE10hipError_tPvRmT2_T3_mT4_P12ihipStream_tbEUlmE_lEESB_NS0_8identityIvEEEESM_SP_SQ_mSR_ST_bEUlT_E_NS1_11comp_targetILNS1_3genE4ELNS1_11target_archE910ELNS1_3gpuE8ELNS1_3repE0EEENS1_30default_config_static_selectorELNS0_4arch9wavefront6targetE0EEEvT1_
; %bb.0:
	.section	.rodata,"a",@progbits
	.p2align	6, 0x0
	.amdhsa_kernel _ZN7rocprim17ROCPRIM_400000_NS6detail17trampoline_kernelINS0_14default_configENS1_25transform_config_selectorIlLb0EEEZNS1_14transform_implILb0ES3_S5_NS0_18transform_iteratorINS0_17counting_iteratorImlEEZNS1_24adjacent_difference_implIS3_Lb1ELb0EPlSB_ZN2at6native12_GLOBAL__N_124unique_dim_cuda_templateIiEESt5tupleIJNSC_6TensorESH_SH_EERKSH_lbbbEUlllE1_EE10hipError_tPvRmT2_T3_mT4_P12ihipStream_tbEUlmE_lEESB_NS0_8identityIvEEEESM_SP_SQ_mSR_ST_bEUlT_E_NS1_11comp_targetILNS1_3genE4ELNS1_11target_archE910ELNS1_3gpuE8ELNS1_3repE0EEENS1_30default_config_static_selectorELNS0_4arch9wavefront6targetE0EEEvT1_
		.amdhsa_group_segment_fixed_size 0
		.amdhsa_private_segment_fixed_size 0
		.amdhsa_kernarg_size 56
		.amdhsa_user_sgpr_count 15
		.amdhsa_user_sgpr_dispatch_ptr 0
		.amdhsa_user_sgpr_queue_ptr 0
		.amdhsa_user_sgpr_kernarg_segment_ptr 1
		.amdhsa_user_sgpr_dispatch_id 0
		.amdhsa_user_sgpr_private_segment_size 0
		.amdhsa_wavefront_size32 1
		.amdhsa_uses_dynamic_stack 0
		.amdhsa_enable_private_segment 0
		.amdhsa_system_sgpr_workgroup_id_x 1
		.amdhsa_system_sgpr_workgroup_id_y 0
		.amdhsa_system_sgpr_workgroup_id_z 0
		.amdhsa_system_sgpr_workgroup_info 0
		.amdhsa_system_vgpr_workitem_id 0
		.amdhsa_next_free_vgpr 1
		.amdhsa_next_free_sgpr 1
		.amdhsa_reserve_vcc 0
		.amdhsa_float_round_mode_32 0
		.amdhsa_float_round_mode_16_64 0
		.amdhsa_float_denorm_mode_32 3
		.amdhsa_float_denorm_mode_16_64 3
		.amdhsa_dx10_clamp 1
		.amdhsa_ieee_mode 1
		.amdhsa_fp16_overflow 0
		.amdhsa_workgroup_processor_mode 1
		.amdhsa_memory_ordered 1
		.amdhsa_forward_progress 0
		.amdhsa_shared_vgpr_count 0
		.amdhsa_exception_fp_ieee_invalid_op 0
		.amdhsa_exception_fp_denorm_src 0
		.amdhsa_exception_fp_ieee_div_zero 0
		.amdhsa_exception_fp_ieee_overflow 0
		.amdhsa_exception_fp_ieee_underflow 0
		.amdhsa_exception_fp_ieee_inexact 0
		.amdhsa_exception_int_div_zero 0
	.end_amdhsa_kernel
	.section	.text._ZN7rocprim17ROCPRIM_400000_NS6detail17trampoline_kernelINS0_14default_configENS1_25transform_config_selectorIlLb0EEEZNS1_14transform_implILb0ES3_S5_NS0_18transform_iteratorINS0_17counting_iteratorImlEEZNS1_24adjacent_difference_implIS3_Lb1ELb0EPlSB_ZN2at6native12_GLOBAL__N_124unique_dim_cuda_templateIiEESt5tupleIJNSC_6TensorESH_SH_EERKSH_lbbbEUlllE1_EE10hipError_tPvRmT2_T3_mT4_P12ihipStream_tbEUlmE_lEESB_NS0_8identityIvEEEESM_SP_SQ_mSR_ST_bEUlT_E_NS1_11comp_targetILNS1_3genE4ELNS1_11target_archE910ELNS1_3gpuE8ELNS1_3repE0EEENS1_30default_config_static_selectorELNS0_4arch9wavefront6targetE0EEEvT1_,"axG",@progbits,_ZN7rocprim17ROCPRIM_400000_NS6detail17trampoline_kernelINS0_14default_configENS1_25transform_config_selectorIlLb0EEEZNS1_14transform_implILb0ES3_S5_NS0_18transform_iteratorINS0_17counting_iteratorImlEEZNS1_24adjacent_difference_implIS3_Lb1ELb0EPlSB_ZN2at6native12_GLOBAL__N_124unique_dim_cuda_templateIiEESt5tupleIJNSC_6TensorESH_SH_EERKSH_lbbbEUlllE1_EE10hipError_tPvRmT2_T3_mT4_P12ihipStream_tbEUlmE_lEESB_NS0_8identityIvEEEESM_SP_SQ_mSR_ST_bEUlT_E_NS1_11comp_targetILNS1_3genE4ELNS1_11target_archE910ELNS1_3gpuE8ELNS1_3repE0EEENS1_30default_config_static_selectorELNS0_4arch9wavefront6targetE0EEEvT1_,comdat
.Lfunc_end426:
	.size	_ZN7rocprim17ROCPRIM_400000_NS6detail17trampoline_kernelINS0_14default_configENS1_25transform_config_selectorIlLb0EEEZNS1_14transform_implILb0ES3_S5_NS0_18transform_iteratorINS0_17counting_iteratorImlEEZNS1_24adjacent_difference_implIS3_Lb1ELb0EPlSB_ZN2at6native12_GLOBAL__N_124unique_dim_cuda_templateIiEESt5tupleIJNSC_6TensorESH_SH_EERKSH_lbbbEUlllE1_EE10hipError_tPvRmT2_T3_mT4_P12ihipStream_tbEUlmE_lEESB_NS0_8identityIvEEEESM_SP_SQ_mSR_ST_bEUlT_E_NS1_11comp_targetILNS1_3genE4ELNS1_11target_archE910ELNS1_3gpuE8ELNS1_3repE0EEENS1_30default_config_static_selectorELNS0_4arch9wavefront6targetE0EEEvT1_, .Lfunc_end426-_ZN7rocprim17ROCPRIM_400000_NS6detail17trampoline_kernelINS0_14default_configENS1_25transform_config_selectorIlLb0EEEZNS1_14transform_implILb0ES3_S5_NS0_18transform_iteratorINS0_17counting_iteratorImlEEZNS1_24adjacent_difference_implIS3_Lb1ELb0EPlSB_ZN2at6native12_GLOBAL__N_124unique_dim_cuda_templateIiEESt5tupleIJNSC_6TensorESH_SH_EERKSH_lbbbEUlllE1_EE10hipError_tPvRmT2_T3_mT4_P12ihipStream_tbEUlmE_lEESB_NS0_8identityIvEEEESM_SP_SQ_mSR_ST_bEUlT_E_NS1_11comp_targetILNS1_3genE4ELNS1_11target_archE910ELNS1_3gpuE8ELNS1_3repE0EEENS1_30default_config_static_selectorELNS0_4arch9wavefront6targetE0EEEvT1_
                                        ; -- End function
	.section	.AMDGPU.csdata,"",@progbits
; Kernel info:
; codeLenInByte = 0
; NumSgprs: 0
; NumVgprs: 0
; ScratchSize: 0
; MemoryBound: 0
; FloatMode: 240
; IeeeMode: 1
; LDSByteSize: 0 bytes/workgroup (compile time only)
; SGPRBlocks: 0
; VGPRBlocks: 0
; NumSGPRsForWavesPerEU: 1
; NumVGPRsForWavesPerEU: 1
; Occupancy: 16
; WaveLimiterHint : 0
; COMPUTE_PGM_RSRC2:SCRATCH_EN: 0
; COMPUTE_PGM_RSRC2:USER_SGPR: 15
; COMPUTE_PGM_RSRC2:TRAP_HANDLER: 0
; COMPUTE_PGM_RSRC2:TGID_X_EN: 1
; COMPUTE_PGM_RSRC2:TGID_Y_EN: 0
; COMPUTE_PGM_RSRC2:TGID_Z_EN: 0
; COMPUTE_PGM_RSRC2:TIDIG_COMP_CNT: 0
	.section	.text._ZN7rocprim17ROCPRIM_400000_NS6detail17trampoline_kernelINS0_14default_configENS1_25transform_config_selectorIlLb0EEEZNS1_14transform_implILb0ES3_S5_NS0_18transform_iteratorINS0_17counting_iteratorImlEEZNS1_24adjacent_difference_implIS3_Lb1ELb0EPlSB_ZN2at6native12_GLOBAL__N_124unique_dim_cuda_templateIiEESt5tupleIJNSC_6TensorESH_SH_EERKSH_lbbbEUlllE1_EE10hipError_tPvRmT2_T3_mT4_P12ihipStream_tbEUlmE_lEESB_NS0_8identityIvEEEESM_SP_SQ_mSR_ST_bEUlT_E_NS1_11comp_targetILNS1_3genE3ELNS1_11target_archE908ELNS1_3gpuE7ELNS1_3repE0EEENS1_30default_config_static_selectorELNS0_4arch9wavefront6targetE0EEEvT1_,"axG",@progbits,_ZN7rocprim17ROCPRIM_400000_NS6detail17trampoline_kernelINS0_14default_configENS1_25transform_config_selectorIlLb0EEEZNS1_14transform_implILb0ES3_S5_NS0_18transform_iteratorINS0_17counting_iteratorImlEEZNS1_24adjacent_difference_implIS3_Lb1ELb0EPlSB_ZN2at6native12_GLOBAL__N_124unique_dim_cuda_templateIiEESt5tupleIJNSC_6TensorESH_SH_EERKSH_lbbbEUlllE1_EE10hipError_tPvRmT2_T3_mT4_P12ihipStream_tbEUlmE_lEESB_NS0_8identityIvEEEESM_SP_SQ_mSR_ST_bEUlT_E_NS1_11comp_targetILNS1_3genE3ELNS1_11target_archE908ELNS1_3gpuE7ELNS1_3repE0EEENS1_30default_config_static_selectorELNS0_4arch9wavefront6targetE0EEEvT1_,comdat
	.globl	_ZN7rocprim17ROCPRIM_400000_NS6detail17trampoline_kernelINS0_14default_configENS1_25transform_config_selectorIlLb0EEEZNS1_14transform_implILb0ES3_S5_NS0_18transform_iteratorINS0_17counting_iteratorImlEEZNS1_24adjacent_difference_implIS3_Lb1ELb0EPlSB_ZN2at6native12_GLOBAL__N_124unique_dim_cuda_templateIiEESt5tupleIJNSC_6TensorESH_SH_EERKSH_lbbbEUlllE1_EE10hipError_tPvRmT2_T3_mT4_P12ihipStream_tbEUlmE_lEESB_NS0_8identityIvEEEESM_SP_SQ_mSR_ST_bEUlT_E_NS1_11comp_targetILNS1_3genE3ELNS1_11target_archE908ELNS1_3gpuE7ELNS1_3repE0EEENS1_30default_config_static_selectorELNS0_4arch9wavefront6targetE0EEEvT1_ ; -- Begin function _ZN7rocprim17ROCPRIM_400000_NS6detail17trampoline_kernelINS0_14default_configENS1_25transform_config_selectorIlLb0EEEZNS1_14transform_implILb0ES3_S5_NS0_18transform_iteratorINS0_17counting_iteratorImlEEZNS1_24adjacent_difference_implIS3_Lb1ELb0EPlSB_ZN2at6native12_GLOBAL__N_124unique_dim_cuda_templateIiEESt5tupleIJNSC_6TensorESH_SH_EERKSH_lbbbEUlllE1_EE10hipError_tPvRmT2_T3_mT4_P12ihipStream_tbEUlmE_lEESB_NS0_8identityIvEEEESM_SP_SQ_mSR_ST_bEUlT_E_NS1_11comp_targetILNS1_3genE3ELNS1_11target_archE908ELNS1_3gpuE7ELNS1_3repE0EEENS1_30default_config_static_selectorELNS0_4arch9wavefront6targetE0EEEvT1_
	.p2align	8
	.type	_ZN7rocprim17ROCPRIM_400000_NS6detail17trampoline_kernelINS0_14default_configENS1_25transform_config_selectorIlLb0EEEZNS1_14transform_implILb0ES3_S5_NS0_18transform_iteratorINS0_17counting_iteratorImlEEZNS1_24adjacent_difference_implIS3_Lb1ELb0EPlSB_ZN2at6native12_GLOBAL__N_124unique_dim_cuda_templateIiEESt5tupleIJNSC_6TensorESH_SH_EERKSH_lbbbEUlllE1_EE10hipError_tPvRmT2_T3_mT4_P12ihipStream_tbEUlmE_lEESB_NS0_8identityIvEEEESM_SP_SQ_mSR_ST_bEUlT_E_NS1_11comp_targetILNS1_3genE3ELNS1_11target_archE908ELNS1_3gpuE7ELNS1_3repE0EEENS1_30default_config_static_selectorELNS0_4arch9wavefront6targetE0EEEvT1_,@function
_ZN7rocprim17ROCPRIM_400000_NS6detail17trampoline_kernelINS0_14default_configENS1_25transform_config_selectorIlLb0EEEZNS1_14transform_implILb0ES3_S5_NS0_18transform_iteratorINS0_17counting_iteratorImlEEZNS1_24adjacent_difference_implIS3_Lb1ELb0EPlSB_ZN2at6native12_GLOBAL__N_124unique_dim_cuda_templateIiEESt5tupleIJNSC_6TensorESH_SH_EERKSH_lbbbEUlllE1_EE10hipError_tPvRmT2_T3_mT4_P12ihipStream_tbEUlmE_lEESB_NS0_8identityIvEEEESM_SP_SQ_mSR_ST_bEUlT_E_NS1_11comp_targetILNS1_3genE3ELNS1_11target_archE908ELNS1_3gpuE7ELNS1_3repE0EEENS1_30default_config_static_selectorELNS0_4arch9wavefront6targetE0EEEvT1_: ; @_ZN7rocprim17ROCPRIM_400000_NS6detail17trampoline_kernelINS0_14default_configENS1_25transform_config_selectorIlLb0EEEZNS1_14transform_implILb0ES3_S5_NS0_18transform_iteratorINS0_17counting_iteratorImlEEZNS1_24adjacent_difference_implIS3_Lb1ELb0EPlSB_ZN2at6native12_GLOBAL__N_124unique_dim_cuda_templateIiEESt5tupleIJNSC_6TensorESH_SH_EERKSH_lbbbEUlllE1_EE10hipError_tPvRmT2_T3_mT4_P12ihipStream_tbEUlmE_lEESB_NS0_8identityIvEEEESM_SP_SQ_mSR_ST_bEUlT_E_NS1_11comp_targetILNS1_3genE3ELNS1_11target_archE908ELNS1_3gpuE7ELNS1_3repE0EEENS1_30default_config_static_selectorELNS0_4arch9wavefront6targetE0EEEvT1_
; %bb.0:
	.section	.rodata,"a",@progbits
	.p2align	6, 0x0
	.amdhsa_kernel _ZN7rocprim17ROCPRIM_400000_NS6detail17trampoline_kernelINS0_14default_configENS1_25transform_config_selectorIlLb0EEEZNS1_14transform_implILb0ES3_S5_NS0_18transform_iteratorINS0_17counting_iteratorImlEEZNS1_24adjacent_difference_implIS3_Lb1ELb0EPlSB_ZN2at6native12_GLOBAL__N_124unique_dim_cuda_templateIiEESt5tupleIJNSC_6TensorESH_SH_EERKSH_lbbbEUlllE1_EE10hipError_tPvRmT2_T3_mT4_P12ihipStream_tbEUlmE_lEESB_NS0_8identityIvEEEESM_SP_SQ_mSR_ST_bEUlT_E_NS1_11comp_targetILNS1_3genE3ELNS1_11target_archE908ELNS1_3gpuE7ELNS1_3repE0EEENS1_30default_config_static_selectorELNS0_4arch9wavefront6targetE0EEEvT1_
		.amdhsa_group_segment_fixed_size 0
		.amdhsa_private_segment_fixed_size 0
		.amdhsa_kernarg_size 56
		.amdhsa_user_sgpr_count 15
		.amdhsa_user_sgpr_dispatch_ptr 0
		.amdhsa_user_sgpr_queue_ptr 0
		.amdhsa_user_sgpr_kernarg_segment_ptr 1
		.amdhsa_user_sgpr_dispatch_id 0
		.amdhsa_user_sgpr_private_segment_size 0
		.amdhsa_wavefront_size32 1
		.amdhsa_uses_dynamic_stack 0
		.amdhsa_enable_private_segment 0
		.amdhsa_system_sgpr_workgroup_id_x 1
		.amdhsa_system_sgpr_workgroup_id_y 0
		.amdhsa_system_sgpr_workgroup_id_z 0
		.amdhsa_system_sgpr_workgroup_info 0
		.amdhsa_system_vgpr_workitem_id 0
		.amdhsa_next_free_vgpr 1
		.amdhsa_next_free_sgpr 1
		.amdhsa_reserve_vcc 0
		.amdhsa_float_round_mode_32 0
		.amdhsa_float_round_mode_16_64 0
		.amdhsa_float_denorm_mode_32 3
		.amdhsa_float_denorm_mode_16_64 3
		.amdhsa_dx10_clamp 1
		.amdhsa_ieee_mode 1
		.amdhsa_fp16_overflow 0
		.amdhsa_workgroup_processor_mode 1
		.amdhsa_memory_ordered 1
		.amdhsa_forward_progress 0
		.amdhsa_shared_vgpr_count 0
		.amdhsa_exception_fp_ieee_invalid_op 0
		.amdhsa_exception_fp_denorm_src 0
		.amdhsa_exception_fp_ieee_div_zero 0
		.amdhsa_exception_fp_ieee_overflow 0
		.amdhsa_exception_fp_ieee_underflow 0
		.amdhsa_exception_fp_ieee_inexact 0
		.amdhsa_exception_int_div_zero 0
	.end_amdhsa_kernel
	.section	.text._ZN7rocprim17ROCPRIM_400000_NS6detail17trampoline_kernelINS0_14default_configENS1_25transform_config_selectorIlLb0EEEZNS1_14transform_implILb0ES3_S5_NS0_18transform_iteratorINS0_17counting_iteratorImlEEZNS1_24adjacent_difference_implIS3_Lb1ELb0EPlSB_ZN2at6native12_GLOBAL__N_124unique_dim_cuda_templateIiEESt5tupleIJNSC_6TensorESH_SH_EERKSH_lbbbEUlllE1_EE10hipError_tPvRmT2_T3_mT4_P12ihipStream_tbEUlmE_lEESB_NS0_8identityIvEEEESM_SP_SQ_mSR_ST_bEUlT_E_NS1_11comp_targetILNS1_3genE3ELNS1_11target_archE908ELNS1_3gpuE7ELNS1_3repE0EEENS1_30default_config_static_selectorELNS0_4arch9wavefront6targetE0EEEvT1_,"axG",@progbits,_ZN7rocprim17ROCPRIM_400000_NS6detail17trampoline_kernelINS0_14default_configENS1_25transform_config_selectorIlLb0EEEZNS1_14transform_implILb0ES3_S5_NS0_18transform_iteratorINS0_17counting_iteratorImlEEZNS1_24adjacent_difference_implIS3_Lb1ELb0EPlSB_ZN2at6native12_GLOBAL__N_124unique_dim_cuda_templateIiEESt5tupleIJNSC_6TensorESH_SH_EERKSH_lbbbEUlllE1_EE10hipError_tPvRmT2_T3_mT4_P12ihipStream_tbEUlmE_lEESB_NS0_8identityIvEEEESM_SP_SQ_mSR_ST_bEUlT_E_NS1_11comp_targetILNS1_3genE3ELNS1_11target_archE908ELNS1_3gpuE7ELNS1_3repE0EEENS1_30default_config_static_selectorELNS0_4arch9wavefront6targetE0EEEvT1_,comdat
.Lfunc_end427:
	.size	_ZN7rocprim17ROCPRIM_400000_NS6detail17trampoline_kernelINS0_14default_configENS1_25transform_config_selectorIlLb0EEEZNS1_14transform_implILb0ES3_S5_NS0_18transform_iteratorINS0_17counting_iteratorImlEEZNS1_24adjacent_difference_implIS3_Lb1ELb0EPlSB_ZN2at6native12_GLOBAL__N_124unique_dim_cuda_templateIiEESt5tupleIJNSC_6TensorESH_SH_EERKSH_lbbbEUlllE1_EE10hipError_tPvRmT2_T3_mT4_P12ihipStream_tbEUlmE_lEESB_NS0_8identityIvEEEESM_SP_SQ_mSR_ST_bEUlT_E_NS1_11comp_targetILNS1_3genE3ELNS1_11target_archE908ELNS1_3gpuE7ELNS1_3repE0EEENS1_30default_config_static_selectorELNS0_4arch9wavefront6targetE0EEEvT1_, .Lfunc_end427-_ZN7rocprim17ROCPRIM_400000_NS6detail17trampoline_kernelINS0_14default_configENS1_25transform_config_selectorIlLb0EEEZNS1_14transform_implILb0ES3_S5_NS0_18transform_iteratorINS0_17counting_iteratorImlEEZNS1_24adjacent_difference_implIS3_Lb1ELb0EPlSB_ZN2at6native12_GLOBAL__N_124unique_dim_cuda_templateIiEESt5tupleIJNSC_6TensorESH_SH_EERKSH_lbbbEUlllE1_EE10hipError_tPvRmT2_T3_mT4_P12ihipStream_tbEUlmE_lEESB_NS0_8identityIvEEEESM_SP_SQ_mSR_ST_bEUlT_E_NS1_11comp_targetILNS1_3genE3ELNS1_11target_archE908ELNS1_3gpuE7ELNS1_3repE0EEENS1_30default_config_static_selectorELNS0_4arch9wavefront6targetE0EEEvT1_
                                        ; -- End function
	.section	.AMDGPU.csdata,"",@progbits
; Kernel info:
; codeLenInByte = 0
; NumSgprs: 0
; NumVgprs: 0
; ScratchSize: 0
; MemoryBound: 0
; FloatMode: 240
; IeeeMode: 1
; LDSByteSize: 0 bytes/workgroup (compile time only)
; SGPRBlocks: 0
; VGPRBlocks: 0
; NumSGPRsForWavesPerEU: 1
; NumVGPRsForWavesPerEU: 1
; Occupancy: 16
; WaveLimiterHint : 0
; COMPUTE_PGM_RSRC2:SCRATCH_EN: 0
; COMPUTE_PGM_RSRC2:USER_SGPR: 15
; COMPUTE_PGM_RSRC2:TRAP_HANDLER: 0
; COMPUTE_PGM_RSRC2:TGID_X_EN: 1
; COMPUTE_PGM_RSRC2:TGID_Y_EN: 0
; COMPUTE_PGM_RSRC2:TGID_Z_EN: 0
; COMPUTE_PGM_RSRC2:TIDIG_COMP_CNT: 0
	.section	.text._ZN7rocprim17ROCPRIM_400000_NS6detail17trampoline_kernelINS0_14default_configENS1_25transform_config_selectorIlLb0EEEZNS1_14transform_implILb0ES3_S5_NS0_18transform_iteratorINS0_17counting_iteratorImlEEZNS1_24adjacent_difference_implIS3_Lb1ELb0EPlSB_ZN2at6native12_GLOBAL__N_124unique_dim_cuda_templateIiEESt5tupleIJNSC_6TensorESH_SH_EERKSH_lbbbEUlllE1_EE10hipError_tPvRmT2_T3_mT4_P12ihipStream_tbEUlmE_lEESB_NS0_8identityIvEEEESM_SP_SQ_mSR_ST_bEUlT_E_NS1_11comp_targetILNS1_3genE2ELNS1_11target_archE906ELNS1_3gpuE6ELNS1_3repE0EEENS1_30default_config_static_selectorELNS0_4arch9wavefront6targetE0EEEvT1_,"axG",@progbits,_ZN7rocprim17ROCPRIM_400000_NS6detail17trampoline_kernelINS0_14default_configENS1_25transform_config_selectorIlLb0EEEZNS1_14transform_implILb0ES3_S5_NS0_18transform_iteratorINS0_17counting_iteratorImlEEZNS1_24adjacent_difference_implIS3_Lb1ELb0EPlSB_ZN2at6native12_GLOBAL__N_124unique_dim_cuda_templateIiEESt5tupleIJNSC_6TensorESH_SH_EERKSH_lbbbEUlllE1_EE10hipError_tPvRmT2_T3_mT4_P12ihipStream_tbEUlmE_lEESB_NS0_8identityIvEEEESM_SP_SQ_mSR_ST_bEUlT_E_NS1_11comp_targetILNS1_3genE2ELNS1_11target_archE906ELNS1_3gpuE6ELNS1_3repE0EEENS1_30default_config_static_selectorELNS0_4arch9wavefront6targetE0EEEvT1_,comdat
	.globl	_ZN7rocprim17ROCPRIM_400000_NS6detail17trampoline_kernelINS0_14default_configENS1_25transform_config_selectorIlLb0EEEZNS1_14transform_implILb0ES3_S5_NS0_18transform_iteratorINS0_17counting_iteratorImlEEZNS1_24adjacent_difference_implIS3_Lb1ELb0EPlSB_ZN2at6native12_GLOBAL__N_124unique_dim_cuda_templateIiEESt5tupleIJNSC_6TensorESH_SH_EERKSH_lbbbEUlllE1_EE10hipError_tPvRmT2_T3_mT4_P12ihipStream_tbEUlmE_lEESB_NS0_8identityIvEEEESM_SP_SQ_mSR_ST_bEUlT_E_NS1_11comp_targetILNS1_3genE2ELNS1_11target_archE906ELNS1_3gpuE6ELNS1_3repE0EEENS1_30default_config_static_selectorELNS0_4arch9wavefront6targetE0EEEvT1_ ; -- Begin function _ZN7rocprim17ROCPRIM_400000_NS6detail17trampoline_kernelINS0_14default_configENS1_25transform_config_selectorIlLb0EEEZNS1_14transform_implILb0ES3_S5_NS0_18transform_iteratorINS0_17counting_iteratorImlEEZNS1_24adjacent_difference_implIS3_Lb1ELb0EPlSB_ZN2at6native12_GLOBAL__N_124unique_dim_cuda_templateIiEESt5tupleIJNSC_6TensorESH_SH_EERKSH_lbbbEUlllE1_EE10hipError_tPvRmT2_T3_mT4_P12ihipStream_tbEUlmE_lEESB_NS0_8identityIvEEEESM_SP_SQ_mSR_ST_bEUlT_E_NS1_11comp_targetILNS1_3genE2ELNS1_11target_archE906ELNS1_3gpuE6ELNS1_3repE0EEENS1_30default_config_static_selectorELNS0_4arch9wavefront6targetE0EEEvT1_
	.p2align	8
	.type	_ZN7rocprim17ROCPRIM_400000_NS6detail17trampoline_kernelINS0_14default_configENS1_25transform_config_selectorIlLb0EEEZNS1_14transform_implILb0ES3_S5_NS0_18transform_iteratorINS0_17counting_iteratorImlEEZNS1_24adjacent_difference_implIS3_Lb1ELb0EPlSB_ZN2at6native12_GLOBAL__N_124unique_dim_cuda_templateIiEESt5tupleIJNSC_6TensorESH_SH_EERKSH_lbbbEUlllE1_EE10hipError_tPvRmT2_T3_mT4_P12ihipStream_tbEUlmE_lEESB_NS0_8identityIvEEEESM_SP_SQ_mSR_ST_bEUlT_E_NS1_11comp_targetILNS1_3genE2ELNS1_11target_archE906ELNS1_3gpuE6ELNS1_3repE0EEENS1_30default_config_static_selectorELNS0_4arch9wavefront6targetE0EEEvT1_,@function
_ZN7rocprim17ROCPRIM_400000_NS6detail17trampoline_kernelINS0_14default_configENS1_25transform_config_selectorIlLb0EEEZNS1_14transform_implILb0ES3_S5_NS0_18transform_iteratorINS0_17counting_iteratorImlEEZNS1_24adjacent_difference_implIS3_Lb1ELb0EPlSB_ZN2at6native12_GLOBAL__N_124unique_dim_cuda_templateIiEESt5tupleIJNSC_6TensorESH_SH_EERKSH_lbbbEUlllE1_EE10hipError_tPvRmT2_T3_mT4_P12ihipStream_tbEUlmE_lEESB_NS0_8identityIvEEEESM_SP_SQ_mSR_ST_bEUlT_E_NS1_11comp_targetILNS1_3genE2ELNS1_11target_archE906ELNS1_3gpuE6ELNS1_3repE0EEENS1_30default_config_static_selectorELNS0_4arch9wavefront6targetE0EEEvT1_: ; @_ZN7rocprim17ROCPRIM_400000_NS6detail17trampoline_kernelINS0_14default_configENS1_25transform_config_selectorIlLb0EEEZNS1_14transform_implILb0ES3_S5_NS0_18transform_iteratorINS0_17counting_iteratorImlEEZNS1_24adjacent_difference_implIS3_Lb1ELb0EPlSB_ZN2at6native12_GLOBAL__N_124unique_dim_cuda_templateIiEESt5tupleIJNSC_6TensorESH_SH_EERKSH_lbbbEUlllE1_EE10hipError_tPvRmT2_T3_mT4_P12ihipStream_tbEUlmE_lEESB_NS0_8identityIvEEEESM_SP_SQ_mSR_ST_bEUlT_E_NS1_11comp_targetILNS1_3genE2ELNS1_11target_archE906ELNS1_3gpuE6ELNS1_3repE0EEENS1_30default_config_static_selectorELNS0_4arch9wavefront6targetE0EEEvT1_
; %bb.0:
	.section	.rodata,"a",@progbits
	.p2align	6, 0x0
	.amdhsa_kernel _ZN7rocprim17ROCPRIM_400000_NS6detail17trampoline_kernelINS0_14default_configENS1_25transform_config_selectorIlLb0EEEZNS1_14transform_implILb0ES3_S5_NS0_18transform_iteratorINS0_17counting_iteratorImlEEZNS1_24adjacent_difference_implIS3_Lb1ELb0EPlSB_ZN2at6native12_GLOBAL__N_124unique_dim_cuda_templateIiEESt5tupleIJNSC_6TensorESH_SH_EERKSH_lbbbEUlllE1_EE10hipError_tPvRmT2_T3_mT4_P12ihipStream_tbEUlmE_lEESB_NS0_8identityIvEEEESM_SP_SQ_mSR_ST_bEUlT_E_NS1_11comp_targetILNS1_3genE2ELNS1_11target_archE906ELNS1_3gpuE6ELNS1_3repE0EEENS1_30default_config_static_selectorELNS0_4arch9wavefront6targetE0EEEvT1_
		.amdhsa_group_segment_fixed_size 0
		.amdhsa_private_segment_fixed_size 0
		.amdhsa_kernarg_size 56
		.amdhsa_user_sgpr_count 15
		.amdhsa_user_sgpr_dispatch_ptr 0
		.amdhsa_user_sgpr_queue_ptr 0
		.amdhsa_user_sgpr_kernarg_segment_ptr 1
		.amdhsa_user_sgpr_dispatch_id 0
		.amdhsa_user_sgpr_private_segment_size 0
		.amdhsa_wavefront_size32 1
		.amdhsa_uses_dynamic_stack 0
		.amdhsa_enable_private_segment 0
		.amdhsa_system_sgpr_workgroup_id_x 1
		.amdhsa_system_sgpr_workgroup_id_y 0
		.amdhsa_system_sgpr_workgroup_id_z 0
		.amdhsa_system_sgpr_workgroup_info 0
		.amdhsa_system_vgpr_workitem_id 0
		.amdhsa_next_free_vgpr 1
		.amdhsa_next_free_sgpr 1
		.amdhsa_reserve_vcc 0
		.amdhsa_float_round_mode_32 0
		.amdhsa_float_round_mode_16_64 0
		.amdhsa_float_denorm_mode_32 3
		.amdhsa_float_denorm_mode_16_64 3
		.amdhsa_dx10_clamp 1
		.amdhsa_ieee_mode 1
		.amdhsa_fp16_overflow 0
		.amdhsa_workgroup_processor_mode 1
		.amdhsa_memory_ordered 1
		.amdhsa_forward_progress 0
		.amdhsa_shared_vgpr_count 0
		.amdhsa_exception_fp_ieee_invalid_op 0
		.amdhsa_exception_fp_denorm_src 0
		.amdhsa_exception_fp_ieee_div_zero 0
		.amdhsa_exception_fp_ieee_overflow 0
		.amdhsa_exception_fp_ieee_underflow 0
		.amdhsa_exception_fp_ieee_inexact 0
		.amdhsa_exception_int_div_zero 0
	.end_amdhsa_kernel
	.section	.text._ZN7rocprim17ROCPRIM_400000_NS6detail17trampoline_kernelINS0_14default_configENS1_25transform_config_selectorIlLb0EEEZNS1_14transform_implILb0ES3_S5_NS0_18transform_iteratorINS0_17counting_iteratorImlEEZNS1_24adjacent_difference_implIS3_Lb1ELb0EPlSB_ZN2at6native12_GLOBAL__N_124unique_dim_cuda_templateIiEESt5tupleIJNSC_6TensorESH_SH_EERKSH_lbbbEUlllE1_EE10hipError_tPvRmT2_T3_mT4_P12ihipStream_tbEUlmE_lEESB_NS0_8identityIvEEEESM_SP_SQ_mSR_ST_bEUlT_E_NS1_11comp_targetILNS1_3genE2ELNS1_11target_archE906ELNS1_3gpuE6ELNS1_3repE0EEENS1_30default_config_static_selectorELNS0_4arch9wavefront6targetE0EEEvT1_,"axG",@progbits,_ZN7rocprim17ROCPRIM_400000_NS6detail17trampoline_kernelINS0_14default_configENS1_25transform_config_selectorIlLb0EEEZNS1_14transform_implILb0ES3_S5_NS0_18transform_iteratorINS0_17counting_iteratorImlEEZNS1_24adjacent_difference_implIS3_Lb1ELb0EPlSB_ZN2at6native12_GLOBAL__N_124unique_dim_cuda_templateIiEESt5tupleIJNSC_6TensorESH_SH_EERKSH_lbbbEUlllE1_EE10hipError_tPvRmT2_T3_mT4_P12ihipStream_tbEUlmE_lEESB_NS0_8identityIvEEEESM_SP_SQ_mSR_ST_bEUlT_E_NS1_11comp_targetILNS1_3genE2ELNS1_11target_archE906ELNS1_3gpuE6ELNS1_3repE0EEENS1_30default_config_static_selectorELNS0_4arch9wavefront6targetE0EEEvT1_,comdat
.Lfunc_end428:
	.size	_ZN7rocprim17ROCPRIM_400000_NS6detail17trampoline_kernelINS0_14default_configENS1_25transform_config_selectorIlLb0EEEZNS1_14transform_implILb0ES3_S5_NS0_18transform_iteratorINS0_17counting_iteratorImlEEZNS1_24adjacent_difference_implIS3_Lb1ELb0EPlSB_ZN2at6native12_GLOBAL__N_124unique_dim_cuda_templateIiEESt5tupleIJNSC_6TensorESH_SH_EERKSH_lbbbEUlllE1_EE10hipError_tPvRmT2_T3_mT4_P12ihipStream_tbEUlmE_lEESB_NS0_8identityIvEEEESM_SP_SQ_mSR_ST_bEUlT_E_NS1_11comp_targetILNS1_3genE2ELNS1_11target_archE906ELNS1_3gpuE6ELNS1_3repE0EEENS1_30default_config_static_selectorELNS0_4arch9wavefront6targetE0EEEvT1_, .Lfunc_end428-_ZN7rocprim17ROCPRIM_400000_NS6detail17trampoline_kernelINS0_14default_configENS1_25transform_config_selectorIlLb0EEEZNS1_14transform_implILb0ES3_S5_NS0_18transform_iteratorINS0_17counting_iteratorImlEEZNS1_24adjacent_difference_implIS3_Lb1ELb0EPlSB_ZN2at6native12_GLOBAL__N_124unique_dim_cuda_templateIiEESt5tupleIJNSC_6TensorESH_SH_EERKSH_lbbbEUlllE1_EE10hipError_tPvRmT2_T3_mT4_P12ihipStream_tbEUlmE_lEESB_NS0_8identityIvEEEESM_SP_SQ_mSR_ST_bEUlT_E_NS1_11comp_targetILNS1_3genE2ELNS1_11target_archE906ELNS1_3gpuE6ELNS1_3repE0EEENS1_30default_config_static_selectorELNS0_4arch9wavefront6targetE0EEEvT1_
                                        ; -- End function
	.section	.AMDGPU.csdata,"",@progbits
; Kernel info:
; codeLenInByte = 0
; NumSgprs: 0
; NumVgprs: 0
; ScratchSize: 0
; MemoryBound: 0
; FloatMode: 240
; IeeeMode: 1
; LDSByteSize: 0 bytes/workgroup (compile time only)
; SGPRBlocks: 0
; VGPRBlocks: 0
; NumSGPRsForWavesPerEU: 1
; NumVGPRsForWavesPerEU: 1
; Occupancy: 16
; WaveLimiterHint : 0
; COMPUTE_PGM_RSRC2:SCRATCH_EN: 0
; COMPUTE_PGM_RSRC2:USER_SGPR: 15
; COMPUTE_PGM_RSRC2:TRAP_HANDLER: 0
; COMPUTE_PGM_RSRC2:TGID_X_EN: 1
; COMPUTE_PGM_RSRC2:TGID_Y_EN: 0
; COMPUTE_PGM_RSRC2:TGID_Z_EN: 0
; COMPUTE_PGM_RSRC2:TIDIG_COMP_CNT: 0
	.section	.text._ZN7rocprim17ROCPRIM_400000_NS6detail17trampoline_kernelINS0_14default_configENS1_25transform_config_selectorIlLb0EEEZNS1_14transform_implILb0ES3_S5_NS0_18transform_iteratorINS0_17counting_iteratorImlEEZNS1_24adjacent_difference_implIS3_Lb1ELb0EPlSB_ZN2at6native12_GLOBAL__N_124unique_dim_cuda_templateIiEESt5tupleIJNSC_6TensorESH_SH_EERKSH_lbbbEUlllE1_EE10hipError_tPvRmT2_T3_mT4_P12ihipStream_tbEUlmE_lEESB_NS0_8identityIvEEEESM_SP_SQ_mSR_ST_bEUlT_E_NS1_11comp_targetILNS1_3genE10ELNS1_11target_archE1201ELNS1_3gpuE5ELNS1_3repE0EEENS1_30default_config_static_selectorELNS0_4arch9wavefront6targetE0EEEvT1_,"axG",@progbits,_ZN7rocprim17ROCPRIM_400000_NS6detail17trampoline_kernelINS0_14default_configENS1_25transform_config_selectorIlLb0EEEZNS1_14transform_implILb0ES3_S5_NS0_18transform_iteratorINS0_17counting_iteratorImlEEZNS1_24adjacent_difference_implIS3_Lb1ELb0EPlSB_ZN2at6native12_GLOBAL__N_124unique_dim_cuda_templateIiEESt5tupleIJNSC_6TensorESH_SH_EERKSH_lbbbEUlllE1_EE10hipError_tPvRmT2_T3_mT4_P12ihipStream_tbEUlmE_lEESB_NS0_8identityIvEEEESM_SP_SQ_mSR_ST_bEUlT_E_NS1_11comp_targetILNS1_3genE10ELNS1_11target_archE1201ELNS1_3gpuE5ELNS1_3repE0EEENS1_30default_config_static_selectorELNS0_4arch9wavefront6targetE0EEEvT1_,comdat
	.globl	_ZN7rocprim17ROCPRIM_400000_NS6detail17trampoline_kernelINS0_14default_configENS1_25transform_config_selectorIlLb0EEEZNS1_14transform_implILb0ES3_S5_NS0_18transform_iteratorINS0_17counting_iteratorImlEEZNS1_24adjacent_difference_implIS3_Lb1ELb0EPlSB_ZN2at6native12_GLOBAL__N_124unique_dim_cuda_templateIiEESt5tupleIJNSC_6TensorESH_SH_EERKSH_lbbbEUlllE1_EE10hipError_tPvRmT2_T3_mT4_P12ihipStream_tbEUlmE_lEESB_NS0_8identityIvEEEESM_SP_SQ_mSR_ST_bEUlT_E_NS1_11comp_targetILNS1_3genE10ELNS1_11target_archE1201ELNS1_3gpuE5ELNS1_3repE0EEENS1_30default_config_static_selectorELNS0_4arch9wavefront6targetE0EEEvT1_ ; -- Begin function _ZN7rocprim17ROCPRIM_400000_NS6detail17trampoline_kernelINS0_14default_configENS1_25transform_config_selectorIlLb0EEEZNS1_14transform_implILb0ES3_S5_NS0_18transform_iteratorINS0_17counting_iteratorImlEEZNS1_24adjacent_difference_implIS3_Lb1ELb0EPlSB_ZN2at6native12_GLOBAL__N_124unique_dim_cuda_templateIiEESt5tupleIJNSC_6TensorESH_SH_EERKSH_lbbbEUlllE1_EE10hipError_tPvRmT2_T3_mT4_P12ihipStream_tbEUlmE_lEESB_NS0_8identityIvEEEESM_SP_SQ_mSR_ST_bEUlT_E_NS1_11comp_targetILNS1_3genE10ELNS1_11target_archE1201ELNS1_3gpuE5ELNS1_3repE0EEENS1_30default_config_static_selectorELNS0_4arch9wavefront6targetE0EEEvT1_
	.p2align	8
	.type	_ZN7rocprim17ROCPRIM_400000_NS6detail17trampoline_kernelINS0_14default_configENS1_25transform_config_selectorIlLb0EEEZNS1_14transform_implILb0ES3_S5_NS0_18transform_iteratorINS0_17counting_iteratorImlEEZNS1_24adjacent_difference_implIS3_Lb1ELb0EPlSB_ZN2at6native12_GLOBAL__N_124unique_dim_cuda_templateIiEESt5tupleIJNSC_6TensorESH_SH_EERKSH_lbbbEUlllE1_EE10hipError_tPvRmT2_T3_mT4_P12ihipStream_tbEUlmE_lEESB_NS0_8identityIvEEEESM_SP_SQ_mSR_ST_bEUlT_E_NS1_11comp_targetILNS1_3genE10ELNS1_11target_archE1201ELNS1_3gpuE5ELNS1_3repE0EEENS1_30default_config_static_selectorELNS0_4arch9wavefront6targetE0EEEvT1_,@function
_ZN7rocprim17ROCPRIM_400000_NS6detail17trampoline_kernelINS0_14default_configENS1_25transform_config_selectorIlLb0EEEZNS1_14transform_implILb0ES3_S5_NS0_18transform_iteratorINS0_17counting_iteratorImlEEZNS1_24adjacent_difference_implIS3_Lb1ELb0EPlSB_ZN2at6native12_GLOBAL__N_124unique_dim_cuda_templateIiEESt5tupleIJNSC_6TensorESH_SH_EERKSH_lbbbEUlllE1_EE10hipError_tPvRmT2_T3_mT4_P12ihipStream_tbEUlmE_lEESB_NS0_8identityIvEEEESM_SP_SQ_mSR_ST_bEUlT_E_NS1_11comp_targetILNS1_3genE10ELNS1_11target_archE1201ELNS1_3gpuE5ELNS1_3repE0EEENS1_30default_config_static_selectorELNS0_4arch9wavefront6targetE0EEEvT1_: ; @_ZN7rocprim17ROCPRIM_400000_NS6detail17trampoline_kernelINS0_14default_configENS1_25transform_config_selectorIlLb0EEEZNS1_14transform_implILb0ES3_S5_NS0_18transform_iteratorINS0_17counting_iteratorImlEEZNS1_24adjacent_difference_implIS3_Lb1ELb0EPlSB_ZN2at6native12_GLOBAL__N_124unique_dim_cuda_templateIiEESt5tupleIJNSC_6TensorESH_SH_EERKSH_lbbbEUlllE1_EE10hipError_tPvRmT2_T3_mT4_P12ihipStream_tbEUlmE_lEESB_NS0_8identityIvEEEESM_SP_SQ_mSR_ST_bEUlT_E_NS1_11comp_targetILNS1_3genE10ELNS1_11target_archE1201ELNS1_3gpuE5ELNS1_3repE0EEENS1_30default_config_static_selectorELNS0_4arch9wavefront6targetE0EEEvT1_
; %bb.0:
	.section	.rodata,"a",@progbits
	.p2align	6, 0x0
	.amdhsa_kernel _ZN7rocprim17ROCPRIM_400000_NS6detail17trampoline_kernelINS0_14default_configENS1_25transform_config_selectorIlLb0EEEZNS1_14transform_implILb0ES3_S5_NS0_18transform_iteratorINS0_17counting_iteratorImlEEZNS1_24adjacent_difference_implIS3_Lb1ELb0EPlSB_ZN2at6native12_GLOBAL__N_124unique_dim_cuda_templateIiEESt5tupleIJNSC_6TensorESH_SH_EERKSH_lbbbEUlllE1_EE10hipError_tPvRmT2_T3_mT4_P12ihipStream_tbEUlmE_lEESB_NS0_8identityIvEEEESM_SP_SQ_mSR_ST_bEUlT_E_NS1_11comp_targetILNS1_3genE10ELNS1_11target_archE1201ELNS1_3gpuE5ELNS1_3repE0EEENS1_30default_config_static_selectorELNS0_4arch9wavefront6targetE0EEEvT1_
		.amdhsa_group_segment_fixed_size 0
		.amdhsa_private_segment_fixed_size 0
		.amdhsa_kernarg_size 56
		.amdhsa_user_sgpr_count 15
		.amdhsa_user_sgpr_dispatch_ptr 0
		.amdhsa_user_sgpr_queue_ptr 0
		.amdhsa_user_sgpr_kernarg_segment_ptr 1
		.amdhsa_user_sgpr_dispatch_id 0
		.amdhsa_user_sgpr_private_segment_size 0
		.amdhsa_wavefront_size32 1
		.amdhsa_uses_dynamic_stack 0
		.amdhsa_enable_private_segment 0
		.amdhsa_system_sgpr_workgroup_id_x 1
		.amdhsa_system_sgpr_workgroup_id_y 0
		.amdhsa_system_sgpr_workgroup_id_z 0
		.amdhsa_system_sgpr_workgroup_info 0
		.amdhsa_system_vgpr_workitem_id 0
		.amdhsa_next_free_vgpr 1
		.amdhsa_next_free_sgpr 1
		.amdhsa_reserve_vcc 0
		.amdhsa_float_round_mode_32 0
		.amdhsa_float_round_mode_16_64 0
		.amdhsa_float_denorm_mode_32 3
		.amdhsa_float_denorm_mode_16_64 3
		.amdhsa_dx10_clamp 1
		.amdhsa_ieee_mode 1
		.amdhsa_fp16_overflow 0
		.amdhsa_workgroup_processor_mode 1
		.amdhsa_memory_ordered 1
		.amdhsa_forward_progress 0
		.amdhsa_shared_vgpr_count 0
		.amdhsa_exception_fp_ieee_invalid_op 0
		.amdhsa_exception_fp_denorm_src 0
		.amdhsa_exception_fp_ieee_div_zero 0
		.amdhsa_exception_fp_ieee_overflow 0
		.amdhsa_exception_fp_ieee_underflow 0
		.amdhsa_exception_fp_ieee_inexact 0
		.amdhsa_exception_int_div_zero 0
	.end_amdhsa_kernel
	.section	.text._ZN7rocprim17ROCPRIM_400000_NS6detail17trampoline_kernelINS0_14default_configENS1_25transform_config_selectorIlLb0EEEZNS1_14transform_implILb0ES3_S5_NS0_18transform_iteratorINS0_17counting_iteratorImlEEZNS1_24adjacent_difference_implIS3_Lb1ELb0EPlSB_ZN2at6native12_GLOBAL__N_124unique_dim_cuda_templateIiEESt5tupleIJNSC_6TensorESH_SH_EERKSH_lbbbEUlllE1_EE10hipError_tPvRmT2_T3_mT4_P12ihipStream_tbEUlmE_lEESB_NS0_8identityIvEEEESM_SP_SQ_mSR_ST_bEUlT_E_NS1_11comp_targetILNS1_3genE10ELNS1_11target_archE1201ELNS1_3gpuE5ELNS1_3repE0EEENS1_30default_config_static_selectorELNS0_4arch9wavefront6targetE0EEEvT1_,"axG",@progbits,_ZN7rocprim17ROCPRIM_400000_NS6detail17trampoline_kernelINS0_14default_configENS1_25transform_config_selectorIlLb0EEEZNS1_14transform_implILb0ES3_S5_NS0_18transform_iteratorINS0_17counting_iteratorImlEEZNS1_24adjacent_difference_implIS3_Lb1ELb0EPlSB_ZN2at6native12_GLOBAL__N_124unique_dim_cuda_templateIiEESt5tupleIJNSC_6TensorESH_SH_EERKSH_lbbbEUlllE1_EE10hipError_tPvRmT2_T3_mT4_P12ihipStream_tbEUlmE_lEESB_NS0_8identityIvEEEESM_SP_SQ_mSR_ST_bEUlT_E_NS1_11comp_targetILNS1_3genE10ELNS1_11target_archE1201ELNS1_3gpuE5ELNS1_3repE0EEENS1_30default_config_static_selectorELNS0_4arch9wavefront6targetE0EEEvT1_,comdat
.Lfunc_end429:
	.size	_ZN7rocprim17ROCPRIM_400000_NS6detail17trampoline_kernelINS0_14default_configENS1_25transform_config_selectorIlLb0EEEZNS1_14transform_implILb0ES3_S5_NS0_18transform_iteratorINS0_17counting_iteratorImlEEZNS1_24adjacent_difference_implIS3_Lb1ELb0EPlSB_ZN2at6native12_GLOBAL__N_124unique_dim_cuda_templateIiEESt5tupleIJNSC_6TensorESH_SH_EERKSH_lbbbEUlllE1_EE10hipError_tPvRmT2_T3_mT4_P12ihipStream_tbEUlmE_lEESB_NS0_8identityIvEEEESM_SP_SQ_mSR_ST_bEUlT_E_NS1_11comp_targetILNS1_3genE10ELNS1_11target_archE1201ELNS1_3gpuE5ELNS1_3repE0EEENS1_30default_config_static_selectorELNS0_4arch9wavefront6targetE0EEEvT1_, .Lfunc_end429-_ZN7rocprim17ROCPRIM_400000_NS6detail17trampoline_kernelINS0_14default_configENS1_25transform_config_selectorIlLb0EEEZNS1_14transform_implILb0ES3_S5_NS0_18transform_iteratorINS0_17counting_iteratorImlEEZNS1_24adjacent_difference_implIS3_Lb1ELb0EPlSB_ZN2at6native12_GLOBAL__N_124unique_dim_cuda_templateIiEESt5tupleIJNSC_6TensorESH_SH_EERKSH_lbbbEUlllE1_EE10hipError_tPvRmT2_T3_mT4_P12ihipStream_tbEUlmE_lEESB_NS0_8identityIvEEEESM_SP_SQ_mSR_ST_bEUlT_E_NS1_11comp_targetILNS1_3genE10ELNS1_11target_archE1201ELNS1_3gpuE5ELNS1_3repE0EEENS1_30default_config_static_selectorELNS0_4arch9wavefront6targetE0EEEvT1_
                                        ; -- End function
	.section	.AMDGPU.csdata,"",@progbits
; Kernel info:
; codeLenInByte = 0
; NumSgprs: 0
; NumVgprs: 0
; ScratchSize: 0
; MemoryBound: 0
; FloatMode: 240
; IeeeMode: 1
; LDSByteSize: 0 bytes/workgroup (compile time only)
; SGPRBlocks: 0
; VGPRBlocks: 0
; NumSGPRsForWavesPerEU: 1
; NumVGPRsForWavesPerEU: 1
; Occupancy: 16
; WaveLimiterHint : 0
; COMPUTE_PGM_RSRC2:SCRATCH_EN: 0
; COMPUTE_PGM_RSRC2:USER_SGPR: 15
; COMPUTE_PGM_RSRC2:TRAP_HANDLER: 0
; COMPUTE_PGM_RSRC2:TGID_X_EN: 1
; COMPUTE_PGM_RSRC2:TGID_Y_EN: 0
; COMPUTE_PGM_RSRC2:TGID_Z_EN: 0
; COMPUTE_PGM_RSRC2:TIDIG_COMP_CNT: 0
	.section	.text._ZN7rocprim17ROCPRIM_400000_NS6detail17trampoline_kernelINS0_14default_configENS1_25transform_config_selectorIlLb0EEEZNS1_14transform_implILb0ES3_S5_NS0_18transform_iteratorINS0_17counting_iteratorImlEEZNS1_24adjacent_difference_implIS3_Lb1ELb0EPlSB_ZN2at6native12_GLOBAL__N_124unique_dim_cuda_templateIiEESt5tupleIJNSC_6TensorESH_SH_EERKSH_lbbbEUlllE1_EE10hipError_tPvRmT2_T3_mT4_P12ihipStream_tbEUlmE_lEESB_NS0_8identityIvEEEESM_SP_SQ_mSR_ST_bEUlT_E_NS1_11comp_targetILNS1_3genE10ELNS1_11target_archE1200ELNS1_3gpuE4ELNS1_3repE0EEENS1_30default_config_static_selectorELNS0_4arch9wavefront6targetE0EEEvT1_,"axG",@progbits,_ZN7rocprim17ROCPRIM_400000_NS6detail17trampoline_kernelINS0_14default_configENS1_25transform_config_selectorIlLb0EEEZNS1_14transform_implILb0ES3_S5_NS0_18transform_iteratorINS0_17counting_iteratorImlEEZNS1_24adjacent_difference_implIS3_Lb1ELb0EPlSB_ZN2at6native12_GLOBAL__N_124unique_dim_cuda_templateIiEESt5tupleIJNSC_6TensorESH_SH_EERKSH_lbbbEUlllE1_EE10hipError_tPvRmT2_T3_mT4_P12ihipStream_tbEUlmE_lEESB_NS0_8identityIvEEEESM_SP_SQ_mSR_ST_bEUlT_E_NS1_11comp_targetILNS1_3genE10ELNS1_11target_archE1200ELNS1_3gpuE4ELNS1_3repE0EEENS1_30default_config_static_selectorELNS0_4arch9wavefront6targetE0EEEvT1_,comdat
	.globl	_ZN7rocprim17ROCPRIM_400000_NS6detail17trampoline_kernelINS0_14default_configENS1_25transform_config_selectorIlLb0EEEZNS1_14transform_implILb0ES3_S5_NS0_18transform_iteratorINS0_17counting_iteratorImlEEZNS1_24adjacent_difference_implIS3_Lb1ELb0EPlSB_ZN2at6native12_GLOBAL__N_124unique_dim_cuda_templateIiEESt5tupleIJNSC_6TensorESH_SH_EERKSH_lbbbEUlllE1_EE10hipError_tPvRmT2_T3_mT4_P12ihipStream_tbEUlmE_lEESB_NS0_8identityIvEEEESM_SP_SQ_mSR_ST_bEUlT_E_NS1_11comp_targetILNS1_3genE10ELNS1_11target_archE1200ELNS1_3gpuE4ELNS1_3repE0EEENS1_30default_config_static_selectorELNS0_4arch9wavefront6targetE0EEEvT1_ ; -- Begin function _ZN7rocprim17ROCPRIM_400000_NS6detail17trampoline_kernelINS0_14default_configENS1_25transform_config_selectorIlLb0EEEZNS1_14transform_implILb0ES3_S5_NS0_18transform_iteratorINS0_17counting_iteratorImlEEZNS1_24adjacent_difference_implIS3_Lb1ELb0EPlSB_ZN2at6native12_GLOBAL__N_124unique_dim_cuda_templateIiEESt5tupleIJNSC_6TensorESH_SH_EERKSH_lbbbEUlllE1_EE10hipError_tPvRmT2_T3_mT4_P12ihipStream_tbEUlmE_lEESB_NS0_8identityIvEEEESM_SP_SQ_mSR_ST_bEUlT_E_NS1_11comp_targetILNS1_3genE10ELNS1_11target_archE1200ELNS1_3gpuE4ELNS1_3repE0EEENS1_30default_config_static_selectorELNS0_4arch9wavefront6targetE0EEEvT1_
	.p2align	8
	.type	_ZN7rocprim17ROCPRIM_400000_NS6detail17trampoline_kernelINS0_14default_configENS1_25transform_config_selectorIlLb0EEEZNS1_14transform_implILb0ES3_S5_NS0_18transform_iteratorINS0_17counting_iteratorImlEEZNS1_24adjacent_difference_implIS3_Lb1ELb0EPlSB_ZN2at6native12_GLOBAL__N_124unique_dim_cuda_templateIiEESt5tupleIJNSC_6TensorESH_SH_EERKSH_lbbbEUlllE1_EE10hipError_tPvRmT2_T3_mT4_P12ihipStream_tbEUlmE_lEESB_NS0_8identityIvEEEESM_SP_SQ_mSR_ST_bEUlT_E_NS1_11comp_targetILNS1_3genE10ELNS1_11target_archE1200ELNS1_3gpuE4ELNS1_3repE0EEENS1_30default_config_static_selectorELNS0_4arch9wavefront6targetE0EEEvT1_,@function
_ZN7rocprim17ROCPRIM_400000_NS6detail17trampoline_kernelINS0_14default_configENS1_25transform_config_selectorIlLb0EEEZNS1_14transform_implILb0ES3_S5_NS0_18transform_iteratorINS0_17counting_iteratorImlEEZNS1_24adjacent_difference_implIS3_Lb1ELb0EPlSB_ZN2at6native12_GLOBAL__N_124unique_dim_cuda_templateIiEESt5tupleIJNSC_6TensorESH_SH_EERKSH_lbbbEUlllE1_EE10hipError_tPvRmT2_T3_mT4_P12ihipStream_tbEUlmE_lEESB_NS0_8identityIvEEEESM_SP_SQ_mSR_ST_bEUlT_E_NS1_11comp_targetILNS1_3genE10ELNS1_11target_archE1200ELNS1_3gpuE4ELNS1_3repE0EEENS1_30default_config_static_selectorELNS0_4arch9wavefront6targetE0EEEvT1_: ; @_ZN7rocprim17ROCPRIM_400000_NS6detail17trampoline_kernelINS0_14default_configENS1_25transform_config_selectorIlLb0EEEZNS1_14transform_implILb0ES3_S5_NS0_18transform_iteratorINS0_17counting_iteratorImlEEZNS1_24adjacent_difference_implIS3_Lb1ELb0EPlSB_ZN2at6native12_GLOBAL__N_124unique_dim_cuda_templateIiEESt5tupleIJNSC_6TensorESH_SH_EERKSH_lbbbEUlllE1_EE10hipError_tPvRmT2_T3_mT4_P12ihipStream_tbEUlmE_lEESB_NS0_8identityIvEEEESM_SP_SQ_mSR_ST_bEUlT_E_NS1_11comp_targetILNS1_3genE10ELNS1_11target_archE1200ELNS1_3gpuE4ELNS1_3repE0EEENS1_30default_config_static_selectorELNS0_4arch9wavefront6targetE0EEEvT1_
; %bb.0:
	.section	.rodata,"a",@progbits
	.p2align	6, 0x0
	.amdhsa_kernel _ZN7rocprim17ROCPRIM_400000_NS6detail17trampoline_kernelINS0_14default_configENS1_25transform_config_selectorIlLb0EEEZNS1_14transform_implILb0ES3_S5_NS0_18transform_iteratorINS0_17counting_iteratorImlEEZNS1_24adjacent_difference_implIS3_Lb1ELb0EPlSB_ZN2at6native12_GLOBAL__N_124unique_dim_cuda_templateIiEESt5tupleIJNSC_6TensorESH_SH_EERKSH_lbbbEUlllE1_EE10hipError_tPvRmT2_T3_mT4_P12ihipStream_tbEUlmE_lEESB_NS0_8identityIvEEEESM_SP_SQ_mSR_ST_bEUlT_E_NS1_11comp_targetILNS1_3genE10ELNS1_11target_archE1200ELNS1_3gpuE4ELNS1_3repE0EEENS1_30default_config_static_selectorELNS0_4arch9wavefront6targetE0EEEvT1_
		.amdhsa_group_segment_fixed_size 0
		.amdhsa_private_segment_fixed_size 0
		.amdhsa_kernarg_size 56
		.amdhsa_user_sgpr_count 15
		.amdhsa_user_sgpr_dispatch_ptr 0
		.amdhsa_user_sgpr_queue_ptr 0
		.amdhsa_user_sgpr_kernarg_segment_ptr 1
		.amdhsa_user_sgpr_dispatch_id 0
		.amdhsa_user_sgpr_private_segment_size 0
		.amdhsa_wavefront_size32 1
		.amdhsa_uses_dynamic_stack 0
		.amdhsa_enable_private_segment 0
		.amdhsa_system_sgpr_workgroup_id_x 1
		.amdhsa_system_sgpr_workgroup_id_y 0
		.amdhsa_system_sgpr_workgroup_id_z 0
		.amdhsa_system_sgpr_workgroup_info 0
		.amdhsa_system_vgpr_workitem_id 0
		.amdhsa_next_free_vgpr 1
		.amdhsa_next_free_sgpr 1
		.amdhsa_reserve_vcc 0
		.amdhsa_float_round_mode_32 0
		.amdhsa_float_round_mode_16_64 0
		.amdhsa_float_denorm_mode_32 3
		.amdhsa_float_denorm_mode_16_64 3
		.amdhsa_dx10_clamp 1
		.amdhsa_ieee_mode 1
		.amdhsa_fp16_overflow 0
		.amdhsa_workgroup_processor_mode 1
		.amdhsa_memory_ordered 1
		.amdhsa_forward_progress 0
		.amdhsa_shared_vgpr_count 0
		.amdhsa_exception_fp_ieee_invalid_op 0
		.amdhsa_exception_fp_denorm_src 0
		.amdhsa_exception_fp_ieee_div_zero 0
		.amdhsa_exception_fp_ieee_overflow 0
		.amdhsa_exception_fp_ieee_underflow 0
		.amdhsa_exception_fp_ieee_inexact 0
		.amdhsa_exception_int_div_zero 0
	.end_amdhsa_kernel
	.section	.text._ZN7rocprim17ROCPRIM_400000_NS6detail17trampoline_kernelINS0_14default_configENS1_25transform_config_selectorIlLb0EEEZNS1_14transform_implILb0ES3_S5_NS0_18transform_iteratorINS0_17counting_iteratorImlEEZNS1_24adjacent_difference_implIS3_Lb1ELb0EPlSB_ZN2at6native12_GLOBAL__N_124unique_dim_cuda_templateIiEESt5tupleIJNSC_6TensorESH_SH_EERKSH_lbbbEUlllE1_EE10hipError_tPvRmT2_T3_mT4_P12ihipStream_tbEUlmE_lEESB_NS0_8identityIvEEEESM_SP_SQ_mSR_ST_bEUlT_E_NS1_11comp_targetILNS1_3genE10ELNS1_11target_archE1200ELNS1_3gpuE4ELNS1_3repE0EEENS1_30default_config_static_selectorELNS0_4arch9wavefront6targetE0EEEvT1_,"axG",@progbits,_ZN7rocprim17ROCPRIM_400000_NS6detail17trampoline_kernelINS0_14default_configENS1_25transform_config_selectorIlLb0EEEZNS1_14transform_implILb0ES3_S5_NS0_18transform_iteratorINS0_17counting_iteratorImlEEZNS1_24adjacent_difference_implIS3_Lb1ELb0EPlSB_ZN2at6native12_GLOBAL__N_124unique_dim_cuda_templateIiEESt5tupleIJNSC_6TensorESH_SH_EERKSH_lbbbEUlllE1_EE10hipError_tPvRmT2_T3_mT4_P12ihipStream_tbEUlmE_lEESB_NS0_8identityIvEEEESM_SP_SQ_mSR_ST_bEUlT_E_NS1_11comp_targetILNS1_3genE10ELNS1_11target_archE1200ELNS1_3gpuE4ELNS1_3repE0EEENS1_30default_config_static_selectorELNS0_4arch9wavefront6targetE0EEEvT1_,comdat
.Lfunc_end430:
	.size	_ZN7rocprim17ROCPRIM_400000_NS6detail17trampoline_kernelINS0_14default_configENS1_25transform_config_selectorIlLb0EEEZNS1_14transform_implILb0ES3_S5_NS0_18transform_iteratorINS0_17counting_iteratorImlEEZNS1_24adjacent_difference_implIS3_Lb1ELb0EPlSB_ZN2at6native12_GLOBAL__N_124unique_dim_cuda_templateIiEESt5tupleIJNSC_6TensorESH_SH_EERKSH_lbbbEUlllE1_EE10hipError_tPvRmT2_T3_mT4_P12ihipStream_tbEUlmE_lEESB_NS0_8identityIvEEEESM_SP_SQ_mSR_ST_bEUlT_E_NS1_11comp_targetILNS1_3genE10ELNS1_11target_archE1200ELNS1_3gpuE4ELNS1_3repE0EEENS1_30default_config_static_selectorELNS0_4arch9wavefront6targetE0EEEvT1_, .Lfunc_end430-_ZN7rocprim17ROCPRIM_400000_NS6detail17trampoline_kernelINS0_14default_configENS1_25transform_config_selectorIlLb0EEEZNS1_14transform_implILb0ES3_S5_NS0_18transform_iteratorINS0_17counting_iteratorImlEEZNS1_24adjacent_difference_implIS3_Lb1ELb0EPlSB_ZN2at6native12_GLOBAL__N_124unique_dim_cuda_templateIiEESt5tupleIJNSC_6TensorESH_SH_EERKSH_lbbbEUlllE1_EE10hipError_tPvRmT2_T3_mT4_P12ihipStream_tbEUlmE_lEESB_NS0_8identityIvEEEESM_SP_SQ_mSR_ST_bEUlT_E_NS1_11comp_targetILNS1_3genE10ELNS1_11target_archE1200ELNS1_3gpuE4ELNS1_3repE0EEENS1_30default_config_static_selectorELNS0_4arch9wavefront6targetE0EEEvT1_
                                        ; -- End function
	.section	.AMDGPU.csdata,"",@progbits
; Kernel info:
; codeLenInByte = 0
; NumSgprs: 0
; NumVgprs: 0
; ScratchSize: 0
; MemoryBound: 0
; FloatMode: 240
; IeeeMode: 1
; LDSByteSize: 0 bytes/workgroup (compile time only)
; SGPRBlocks: 0
; VGPRBlocks: 0
; NumSGPRsForWavesPerEU: 1
; NumVGPRsForWavesPerEU: 1
; Occupancy: 16
; WaveLimiterHint : 0
; COMPUTE_PGM_RSRC2:SCRATCH_EN: 0
; COMPUTE_PGM_RSRC2:USER_SGPR: 15
; COMPUTE_PGM_RSRC2:TRAP_HANDLER: 0
; COMPUTE_PGM_RSRC2:TGID_X_EN: 1
; COMPUTE_PGM_RSRC2:TGID_Y_EN: 0
; COMPUTE_PGM_RSRC2:TGID_Z_EN: 0
; COMPUTE_PGM_RSRC2:TIDIG_COMP_CNT: 0
	.section	.text._ZN7rocprim17ROCPRIM_400000_NS6detail17trampoline_kernelINS0_14default_configENS1_25transform_config_selectorIlLb0EEEZNS1_14transform_implILb0ES3_S5_NS0_18transform_iteratorINS0_17counting_iteratorImlEEZNS1_24adjacent_difference_implIS3_Lb1ELb0EPlSB_ZN2at6native12_GLOBAL__N_124unique_dim_cuda_templateIiEESt5tupleIJNSC_6TensorESH_SH_EERKSH_lbbbEUlllE1_EE10hipError_tPvRmT2_T3_mT4_P12ihipStream_tbEUlmE_lEESB_NS0_8identityIvEEEESM_SP_SQ_mSR_ST_bEUlT_E_NS1_11comp_targetILNS1_3genE9ELNS1_11target_archE1100ELNS1_3gpuE3ELNS1_3repE0EEENS1_30default_config_static_selectorELNS0_4arch9wavefront6targetE0EEEvT1_,"axG",@progbits,_ZN7rocprim17ROCPRIM_400000_NS6detail17trampoline_kernelINS0_14default_configENS1_25transform_config_selectorIlLb0EEEZNS1_14transform_implILb0ES3_S5_NS0_18transform_iteratorINS0_17counting_iteratorImlEEZNS1_24adjacent_difference_implIS3_Lb1ELb0EPlSB_ZN2at6native12_GLOBAL__N_124unique_dim_cuda_templateIiEESt5tupleIJNSC_6TensorESH_SH_EERKSH_lbbbEUlllE1_EE10hipError_tPvRmT2_T3_mT4_P12ihipStream_tbEUlmE_lEESB_NS0_8identityIvEEEESM_SP_SQ_mSR_ST_bEUlT_E_NS1_11comp_targetILNS1_3genE9ELNS1_11target_archE1100ELNS1_3gpuE3ELNS1_3repE0EEENS1_30default_config_static_selectorELNS0_4arch9wavefront6targetE0EEEvT1_,comdat
	.globl	_ZN7rocprim17ROCPRIM_400000_NS6detail17trampoline_kernelINS0_14default_configENS1_25transform_config_selectorIlLb0EEEZNS1_14transform_implILb0ES3_S5_NS0_18transform_iteratorINS0_17counting_iteratorImlEEZNS1_24adjacent_difference_implIS3_Lb1ELb0EPlSB_ZN2at6native12_GLOBAL__N_124unique_dim_cuda_templateIiEESt5tupleIJNSC_6TensorESH_SH_EERKSH_lbbbEUlllE1_EE10hipError_tPvRmT2_T3_mT4_P12ihipStream_tbEUlmE_lEESB_NS0_8identityIvEEEESM_SP_SQ_mSR_ST_bEUlT_E_NS1_11comp_targetILNS1_3genE9ELNS1_11target_archE1100ELNS1_3gpuE3ELNS1_3repE0EEENS1_30default_config_static_selectorELNS0_4arch9wavefront6targetE0EEEvT1_ ; -- Begin function _ZN7rocprim17ROCPRIM_400000_NS6detail17trampoline_kernelINS0_14default_configENS1_25transform_config_selectorIlLb0EEEZNS1_14transform_implILb0ES3_S5_NS0_18transform_iteratorINS0_17counting_iteratorImlEEZNS1_24adjacent_difference_implIS3_Lb1ELb0EPlSB_ZN2at6native12_GLOBAL__N_124unique_dim_cuda_templateIiEESt5tupleIJNSC_6TensorESH_SH_EERKSH_lbbbEUlllE1_EE10hipError_tPvRmT2_T3_mT4_P12ihipStream_tbEUlmE_lEESB_NS0_8identityIvEEEESM_SP_SQ_mSR_ST_bEUlT_E_NS1_11comp_targetILNS1_3genE9ELNS1_11target_archE1100ELNS1_3gpuE3ELNS1_3repE0EEENS1_30default_config_static_selectorELNS0_4arch9wavefront6targetE0EEEvT1_
	.p2align	8
	.type	_ZN7rocprim17ROCPRIM_400000_NS6detail17trampoline_kernelINS0_14default_configENS1_25transform_config_selectorIlLb0EEEZNS1_14transform_implILb0ES3_S5_NS0_18transform_iteratorINS0_17counting_iteratorImlEEZNS1_24adjacent_difference_implIS3_Lb1ELb0EPlSB_ZN2at6native12_GLOBAL__N_124unique_dim_cuda_templateIiEESt5tupleIJNSC_6TensorESH_SH_EERKSH_lbbbEUlllE1_EE10hipError_tPvRmT2_T3_mT4_P12ihipStream_tbEUlmE_lEESB_NS0_8identityIvEEEESM_SP_SQ_mSR_ST_bEUlT_E_NS1_11comp_targetILNS1_3genE9ELNS1_11target_archE1100ELNS1_3gpuE3ELNS1_3repE0EEENS1_30default_config_static_selectorELNS0_4arch9wavefront6targetE0EEEvT1_,@function
_ZN7rocprim17ROCPRIM_400000_NS6detail17trampoline_kernelINS0_14default_configENS1_25transform_config_selectorIlLb0EEEZNS1_14transform_implILb0ES3_S5_NS0_18transform_iteratorINS0_17counting_iteratorImlEEZNS1_24adjacent_difference_implIS3_Lb1ELb0EPlSB_ZN2at6native12_GLOBAL__N_124unique_dim_cuda_templateIiEESt5tupleIJNSC_6TensorESH_SH_EERKSH_lbbbEUlllE1_EE10hipError_tPvRmT2_T3_mT4_P12ihipStream_tbEUlmE_lEESB_NS0_8identityIvEEEESM_SP_SQ_mSR_ST_bEUlT_E_NS1_11comp_targetILNS1_3genE9ELNS1_11target_archE1100ELNS1_3gpuE3ELNS1_3repE0EEENS1_30default_config_static_selectorELNS0_4arch9wavefront6targetE0EEEvT1_: ; @_ZN7rocprim17ROCPRIM_400000_NS6detail17trampoline_kernelINS0_14default_configENS1_25transform_config_selectorIlLb0EEEZNS1_14transform_implILb0ES3_S5_NS0_18transform_iteratorINS0_17counting_iteratorImlEEZNS1_24adjacent_difference_implIS3_Lb1ELb0EPlSB_ZN2at6native12_GLOBAL__N_124unique_dim_cuda_templateIiEESt5tupleIJNSC_6TensorESH_SH_EERKSH_lbbbEUlllE1_EE10hipError_tPvRmT2_T3_mT4_P12ihipStream_tbEUlmE_lEESB_NS0_8identityIvEEEESM_SP_SQ_mSR_ST_bEUlT_E_NS1_11comp_targetILNS1_3genE9ELNS1_11target_archE1100ELNS1_3gpuE3ELNS1_3repE0EEENS1_30default_config_static_selectorELNS0_4arch9wavefront6targetE0EEEvT1_
; %bb.0:
	s_clause 0x4
	s_load_b128 s[4:7], s[0:1], 0x0
	s_load_b64 s[2:3], s[0:1], 0x18
	s_load_b64 s[12:13], s[0:1], 0x28
	s_load_b32 s11, s[0:1], 0x38
	s_load_b32 s8, s[0:1], 0x10
	s_waitcnt lgkmcnt(0)
	s_add_u32 s9, s2, s4
	s_addc_u32 s10, s3, s5
	s_lshl_b64 s[2:3], s[2:3], 3
	s_delay_alu instid0(SALU_CYCLE_1)
	s_add_u32 s4, s12, s2
	s_addc_u32 s5, s13, s3
	s_add_i32 s11, s11, -1
	s_lshl_b32 s2, s15, 9
	s_mov_b32 s3, 0
	s_cmp_lg_u32 s15, s11
	s_mov_b32 s11, -1
	s_cbranch_scc0 .LBB431_2
; %bb.1:
	s_add_u32 s11, s9, s2
	s_addc_u32 s12, s10, 0
	v_add_co_u32 v3, s11, s11, v0
	s_delay_alu instid0(VALU_DEP_1) | instskip(SKIP_1) | instid1(VALU_DEP_2)
	v_add_co_ci_u32_e64 v5, null, s12, 0, s11
	s_lshl_b64 s[12:13], s[2:3], 3
	v_mad_u64_u32 v[1:2], null, v3, s8, 0
	s_add_u32 s12, s4, s12
	s_addc_u32 s13, s5, s13
	s_mov_b32 s11, s3
	s_delay_alu instid0(VALU_DEP_1) | instskip(NEXT) | instid1(VALU_DEP_1)
	v_mad_u64_u32 v[3:4], null, v5, s8, v[2:3]
	v_dual_mov_b32 v2, v3 :: v_dual_lshlrev_b32 v3, 3, v0
	s_delay_alu instid0(VALU_DEP_1) | instskip(NEXT) | instid1(VALU_DEP_1)
	v_lshlrev_b64 v[1:2], 3, v[1:2]
	v_add_co_u32 v1, vcc_lo, s6, v1
	s_delay_alu instid0(VALU_DEP_2)
	v_add_co_ci_u32_e32 v2, vcc_lo, s7, v2, vcc_lo
	global_load_b64 v[1:2], v[1:2], off
	s_waitcnt vmcnt(0)
	global_store_b64 v3, v[1:2], s[12:13]
.LBB431_2:
	s_and_not1_b32 vcc_lo, exec_lo, s11
	s_cbranch_vccnz .LBB431_7
; %bb.3:
	s_load_b32 s0, s[0:1], 0x20
                                        ; implicit-def: $vgpr1_vgpr2
	s_waitcnt lgkmcnt(0)
	s_sub_i32 s0, s0, s2
	s_delay_alu instid0(SALU_CYCLE_1)
	v_cmp_gt_u32_e32 vcc_lo, s0, v0
	s_and_saveexec_b32 s1, vcc_lo
	s_cbranch_execz .LBB431_5
; %bb.4:
	s_add_u32 s0, s9, s2
	s_addc_u32 s9, s10, 0
	v_add_co_u32 v3, s0, s0, v0
	s_delay_alu instid0(VALU_DEP_1) | instskip(NEXT) | instid1(VALU_DEP_2)
	v_add_co_ci_u32_e64 v5, null, s9, 0, s0
	v_mad_u64_u32 v[1:2], null, v3, s8, 0
	s_delay_alu instid0(VALU_DEP_1) | instskip(NEXT) | instid1(VALU_DEP_1)
	v_mad_u64_u32 v[3:4], null, v5, s8, v[2:3]
	v_mov_b32_e32 v2, v3
	s_delay_alu instid0(VALU_DEP_1) | instskip(NEXT) | instid1(VALU_DEP_1)
	v_lshlrev_b64 v[1:2], 3, v[1:2]
	v_add_co_u32 v1, s0, s6, v1
	s_delay_alu instid0(VALU_DEP_1)
	v_add_co_ci_u32_e64 v2, s0, s7, v2, s0
	global_load_b64 v[1:2], v[1:2], off
.LBB431_5:
	s_or_b32 exec_lo, exec_lo, s1
	s_and_saveexec_b32 s0, vcc_lo
	s_cbranch_execz .LBB431_7
; %bb.6:
	s_lshl_b64 s[0:1], s[2:3], 3
	v_lshlrev_b32_e32 v0, 3, v0
	s_add_u32 s0, s4, s0
	s_addc_u32 s1, s5, s1
	s_waitcnt vmcnt(0)
	global_store_b64 v0, v[1:2], s[0:1]
.LBB431_7:
	s_nop 0
	s_sendmsg sendmsg(MSG_DEALLOC_VGPRS)
	s_endpgm
	.section	.rodata,"a",@progbits
	.p2align	6, 0x0
	.amdhsa_kernel _ZN7rocprim17ROCPRIM_400000_NS6detail17trampoline_kernelINS0_14default_configENS1_25transform_config_selectorIlLb0EEEZNS1_14transform_implILb0ES3_S5_NS0_18transform_iteratorINS0_17counting_iteratorImlEEZNS1_24adjacent_difference_implIS3_Lb1ELb0EPlSB_ZN2at6native12_GLOBAL__N_124unique_dim_cuda_templateIiEESt5tupleIJNSC_6TensorESH_SH_EERKSH_lbbbEUlllE1_EE10hipError_tPvRmT2_T3_mT4_P12ihipStream_tbEUlmE_lEESB_NS0_8identityIvEEEESM_SP_SQ_mSR_ST_bEUlT_E_NS1_11comp_targetILNS1_3genE9ELNS1_11target_archE1100ELNS1_3gpuE3ELNS1_3repE0EEENS1_30default_config_static_selectorELNS0_4arch9wavefront6targetE0EEEvT1_
		.amdhsa_group_segment_fixed_size 0
		.amdhsa_private_segment_fixed_size 0
		.amdhsa_kernarg_size 312
		.amdhsa_user_sgpr_count 15
		.amdhsa_user_sgpr_dispatch_ptr 0
		.amdhsa_user_sgpr_queue_ptr 0
		.amdhsa_user_sgpr_kernarg_segment_ptr 1
		.amdhsa_user_sgpr_dispatch_id 0
		.amdhsa_user_sgpr_private_segment_size 0
		.amdhsa_wavefront_size32 1
		.amdhsa_uses_dynamic_stack 0
		.amdhsa_enable_private_segment 0
		.amdhsa_system_sgpr_workgroup_id_x 1
		.amdhsa_system_sgpr_workgroup_id_y 0
		.amdhsa_system_sgpr_workgroup_id_z 0
		.amdhsa_system_sgpr_workgroup_info 0
		.amdhsa_system_vgpr_workitem_id 0
		.amdhsa_next_free_vgpr 6
		.amdhsa_next_free_sgpr 16
		.amdhsa_reserve_vcc 1
		.amdhsa_float_round_mode_32 0
		.amdhsa_float_round_mode_16_64 0
		.amdhsa_float_denorm_mode_32 3
		.amdhsa_float_denorm_mode_16_64 3
		.amdhsa_dx10_clamp 1
		.amdhsa_ieee_mode 1
		.amdhsa_fp16_overflow 0
		.amdhsa_workgroup_processor_mode 1
		.amdhsa_memory_ordered 1
		.amdhsa_forward_progress 0
		.amdhsa_shared_vgpr_count 0
		.amdhsa_exception_fp_ieee_invalid_op 0
		.amdhsa_exception_fp_denorm_src 0
		.amdhsa_exception_fp_ieee_div_zero 0
		.amdhsa_exception_fp_ieee_overflow 0
		.amdhsa_exception_fp_ieee_underflow 0
		.amdhsa_exception_fp_ieee_inexact 0
		.amdhsa_exception_int_div_zero 0
	.end_amdhsa_kernel
	.section	.text._ZN7rocprim17ROCPRIM_400000_NS6detail17trampoline_kernelINS0_14default_configENS1_25transform_config_selectorIlLb0EEEZNS1_14transform_implILb0ES3_S5_NS0_18transform_iteratorINS0_17counting_iteratorImlEEZNS1_24adjacent_difference_implIS3_Lb1ELb0EPlSB_ZN2at6native12_GLOBAL__N_124unique_dim_cuda_templateIiEESt5tupleIJNSC_6TensorESH_SH_EERKSH_lbbbEUlllE1_EE10hipError_tPvRmT2_T3_mT4_P12ihipStream_tbEUlmE_lEESB_NS0_8identityIvEEEESM_SP_SQ_mSR_ST_bEUlT_E_NS1_11comp_targetILNS1_3genE9ELNS1_11target_archE1100ELNS1_3gpuE3ELNS1_3repE0EEENS1_30default_config_static_selectorELNS0_4arch9wavefront6targetE0EEEvT1_,"axG",@progbits,_ZN7rocprim17ROCPRIM_400000_NS6detail17trampoline_kernelINS0_14default_configENS1_25transform_config_selectorIlLb0EEEZNS1_14transform_implILb0ES3_S5_NS0_18transform_iteratorINS0_17counting_iteratorImlEEZNS1_24adjacent_difference_implIS3_Lb1ELb0EPlSB_ZN2at6native12_GLOBAL__N_124unique_dim_cuda_templateIiEESt5tupleIJNSC_6TensorESH_SH_EERKSH_lbbbEUlllE1_EE10hipError_tPvRmT2_T3_mT4_P12ihipStream_tbEUlmE_lEESB_NS0_8identityIvEEEESM_SP_SQ_mSR_ST_bEUlT_E_NS1_11comp_targetILNS1_3genE9ELNS1_11target_archE1100ELNS1_3gpuE3ELNS1_3repE0EEENS1_30default_config_static_selectorELNS0_4arch9wavefront6targetE0EEEvT1_,comdat
.Lfunc_end431:
	.size	_ZN7rocprim17ROCPRIM_400000_NS6detail17trampoline_kernelINS0_14default_configENS1_25transform_config_selectorIlLb0EEEZNS1_14transform_implILb0ES3_S5_NS0_18transform_iteratorINS0_17counting_iteratorImlEEZNS1_24adjacent_difference_implIS3_Lb1ELb0EPlSB_ZN2at6native12_GLOBAL__N_124unique_dim_cuda_templateIiEESt5tupleIJNSC_6TensorESH_SH_EERKSH_lbbbEUlllE1_EE10hipError_tPvRmT2_T3_mT4_P12ihipStream_tbEUlmE_lEESB_NS0_8identityIvEEEESM_SP_SQ_mSR_ST_bEUlT_E_NS1_11comp_targetILNS1_3genE9ELNS1_11target_archE1100ELNS1_3gpuE3ELNS1_3repE0EEENS1_30default_config_static_selectorELNS0_4arch9wavefront6targetE0EEEvT1_, .Lfunc_end431-_ZN7rocprim17ROCPRIM_400000_NS6detail17trampoline_kernelINS0_14default_configENS1_25transform_config_selectorIlLb0EEEZNS1_14transform_implILb0ES3_S5_NS0_18transform_iteratorINS0_17counting_iteratorImlEEZNS1_24adjacent_difference_implIS3_Lb1ELb0EPlSB_ZN2at6native12_GLOBAL__N_124unique_dim_cuda_templateIiEESt5tupleIJNSC_6TensorESH_SH_EERKSH_lbbbEUlllE1_EE10hipError_tPvRmT2_T3_mT4_P12ihipStream_tbEUlmE_lEESB_NS0_8identityIvEEEESM_SP_SQ_mSR_ST_bEUlT_E_NS1_11comp_targetILNS1_3genE9ELNS1_11target_archE1100ELNS1_3gpuE3ELNS1_3repE0EEENS1_30default_config_static_selectorELNS0_4arch9wavefront6targetE0EEEvT1_
                                        ; -- End function
	.section	.AMDGPU.csdata,"",@progbits
; Kernel info:
; codeLenInByte = 400
; NumSgprs: 18
; NumVgprs: 6
; ScratchSize: 0
; MemoryBound: 0
; FloatMode: 240
; IeeeMode: 1
; LDSByteSize: 0 bytes/workgroup (compile time only)
; SGPRBlocks: 2
; VGPRBlocks: 0
; NumSGPRsForWavesPerEU: 18
; NumVGPRsForWavesPerEU: 6
; Occupancy: 16
; WaveLimiterHint : 0
; COMPUTE_PGM_RSRC2:SCRATCH_EN: 0
; COMPUTE_PGM_RSRC2:USER_SGPR: 15
; COMPUTE_PGM_RSRC2:TRAP_HANDLER: 0
; COMPUTE_PGM_RSRC2:TGID_X_EN: 1
; COMPUTE_PGM_RSRC2:TGID_Y_EN: 0
; COMPUTE_PGM_RSRC2:TGID_Z_EN: 0
; COMPUTE_PGM_RSRC2:TIDIG_COMP_CNT: 0
	.section	.text._ZN7rocprim17ROCPRIM_400000_NS6detail17trampoline_kernelINS0_14default_configENS1_25transform_config_selectorIlLb0EEEZNS1_14transform_implILb0ES3_S5_NS0_18transform_iteratorINS0_17counting_iteratorImlEEZNS1_24adjacent_difference_implIS3_Lb1ELb0EPlSB_ZN2at6native12_GLOBAL__N_124unique_dim_cuda_templateIiEESt5tupleIJNSC_6TensorESH_SH_EERKSH_lbbbEUlllE1_EE10hipError_tPvRmT2_T3_mT4_P12ihipStream_tbEUlmE_lEESB_NS0_8identityIvEEEESM_SP_SQ_mSR_ST_bEUlT_E_NS1_11comp_targetILNS1_3genE8ELNS1_11target_archE1030ELNS1_3gpuE2ELNS1_3repE0EEENS1_30default_config_static_selectorELNS0_4arch9wavefront6targetE0EEEvT1_,"axG",@progbits,_ZN7rocprim17ROCPRIM_400000_NS6detail17trampoline_kernelINS0_14default_configENS1_25transform_config_selectorIlLb0EEEZNS1_14transform_implILb0ES3_S5_NS0_18transform_iteratorINS0_17counting_iteratorImlEEZNS1_24adjacent_difference_implIS3_Lb1ELb0EPlSB_ZN2at6native12_GLOBAL__N_124unique_dim_cuda_templateIiEESt5tupleIJNSC_6TensorESH_SH_EERKSH_lbbbEUlllE1_EE10hipError_tPvRmT2_T3_mT4_P12ihipStream_tbEUlmE_lEESB_NS0_8identityIvEEEESM_SP_SQ_mSR_ST_bEUlT_E_NS1_11comp_targetILNS1_3genE8ELNS1_11target_archE1030ELNS1_3gpuE2ELNS1_3repE0EEENS1_30default_config_static_selectorELNS0_4arch9wavefront6targetE0EEEvT1_,comdat
	.globl	_ZN7rocprim17ROCPRIM_400000_NS6detail17trampoline_kernelINS0_14default_configENS1_25transform_config_selectorIlLb0EEEZNS1_14transform_implILb0ES3_S5_NS0_18transform_iteratorINS0_17counting_iteratorImlEEZNS1_24adjacent_difference_implIS3_Lb1ELb0EPlSB_ZN2at6native12_GLOBAL__N_124unique_dim_cuda_templateIiEESt5tupleIJNSC_6TensorESH_SH_EERKSH_lbbbEUlllE1_EE10hipError_tPvRmT2_T3_mT4_P12ihipStream_tbEUlmE_lEESB_NS0_8identityIvEEEESM_SP_SQ_mSR_ST_bEUlT_E_NS1_11comp_targetILNS1_3genE8ELNS1_11target_archE1030ELNS1_3gpuE2ELNS1_3repE0EEENS1_30default_config_static_selectorELNS0_4arch9wavefront6targetE0EEEvT1_ ; -- Begin function _ZN7rocprim17ROCPRIM_400000_NS6detail17trampoline_kernelINS0_14default_configENS1_25transform_config_selectorIlLb0EEEZNS1_14transform_implILb0ES3_S5_NS0_18transform_iteratorINS0_17counting_iteratorImlEEZNS1_24adjacent_difference_implIS3_Lb1ELb0EPlSB_ZN2at6native12_GLOBAL__N_124unique_dim_cuda_templateIiEESt5tupleIJNSC_6TensorESH_SH_EERKSH_lbbbEUlllE1_EE10hipError_tPvRmT2_T3_mT4_P12ihipStream_tbEUlmE_lEESB_NS0_8identityIvEEEESM_SP_SQ_mSR_ST_bEUlT_E_NS1_11comp_targetILNS1_3genE8ELNS1_11target_archE1030ELNS1_3gpuE2ELNS1_3repE0EEENS1_30default_config_static_selectorELNS0_4arch9wavefront6targetE0EEEvT1_
	.p2align	8
	.type	_ZN7rocprim17ROCPRIM_400000_NS6detail17trampoline_kernelINS0_14default_configENS1_25transform_config_selectorIlLb0EEEZNS1_14transform_implILb0ES3_S5_NS0_18transform_iteratorINS0_17counting_iteratorImlEEZNS1_24adjacent_difference_implIS3_Lb1ELb0EPlSB_ZN2at6native12_GLOBAL__N_124unique_dim_cuda_templateIiEESt5tupleIJNSC_6TensorESH_SH_EERKSH_lbbbEUlllE1_EE10hipError_tPvRmT2_T3_mT4_P12ihipStream_tbEUlmE_lEESB_NS0_8identityIvEEEESM_SP_SQ_mSR_ST_bEUlT_E_NS1_11comp_targetILNS1_3genE8ELNS1_11target_archE1030ELNS1_3gpuE2ELNS1_3repE0EEENS1_30default_config_static_selectorELNS0_4arch9wavefront6targetE0EEEvT1_,@function
_ZN7rocprim17ROCPRIM_400000_NS6detail17trampoline_kernelINS0_14default_configENS1_25transform_config_selectorIlLb0EEEZNS1_14transform_implILb0ES3_S5_NS0_18transform_iteratorINS0_17counting_iteratorImlEEZNS1_24adjacent_difference_implIS3_Lb1ELb0EPlSB_ZN2at6native12_GLOBAL__N_124unique_dim_cuda_templateIiEESt5tupleIJNSC_6TensorESH_SH_EERKSH_lbbbEUlllE1_EE10hipError_tPvRmT2_T3_mT4_P12ihipStream_tbEUlmE_lEESB_NS0_8identityIvEEEESM_SP_SQ_mSR_ST_bEUlT_E_NS1_11comp_targetILNS1_3genE8ELNS1_11target_archE1030ELNS1_3gpuE2ELNS1_3repE0EEENS1_30default_config_static_selectorELNS0_4arch9wavefront6targetE0EEEvT1_: ; @_ZN7rocprim17ROCPRIM_400000_NS6detail17trampoline_kernelINS0_14default_configENS1_25transform_config_selectorIlLb0EEEZNS1_14transform_implILb0ES3_S5_NS0_18transform_iteratorINS0_17counting_iteratorImlEEZNS1_24adjacent_difference_implIS3_Lb1ELb0EPlSB_ZN2at6native12_GLOBAL__N_124unique_dim_cuda_templateIiEESt5tupleIJNSC_6TensorESH_SH_EERKSH_lbbbEUlllE1_EE10hipError_tPvRmT2_T3_mT4_P12ihipStream_tbEUlmE_lEESB_NS0_8identityIvEEEESM_SP_SQ_mSR_ST_bEUlT_E_NS1_11comp_targetILNS1_3genE8ELNS1_11target_archE1030ELNS1_3gpuE2ELNS1_3repE0EEENS1_30default_config_static_selectorELNS0_4arch9wavefront6targetE0EEEvT1_
; %bb.0:
	.section	.rodata,"a",@progbits
	.p2align	6, 0x0
	.amdhsa_kernel _ZN7rocprim17ROCPRIM_400000_NS6detail17trampoline_kernelINS0_14default_configENS1_25transform_config_selectorIlLb0EEEZNS1_14transform_implILb0ES3_S5_NS0_18transform_iteratorINS0_17counting_iteratorImlEEZNS1_24adjacent_difference_implIS3_Lb1ELb0EPlSB_ZN2at6native12_GLOBAL__N_124unique_dim_cuda_templateIiEESt5tupleIJNSC_6TensorESH_SH_EERKSH_lbbbEUlllE1_EE10hipError_tPvRmT2_T3_mT4_P12ihipStream_tbEUlmE_lEESB_NS0_8identityIvEEEESM_SP_SQ_mSR_ST_bEUlT_E_NS1_11comp_targetILNS1_3genE8ELNS1_11target_archE1030ELNS1_3gpuE2ELNS1_3repE0EEENS1_30default_config_static_selectorELNS0_4arch9wavefront6targetE0EEEvT1_
		.amdhsa_group_segment_fixed_size 0
		.amdhsa_private_segment_fixed_size 0
		.amdhsa_kernarg_size 56
		.amdhsa_user_sgpr_count 15
		.amdhsa_user_sgpr_dispatch_ptr 0
		.amdhsa_user_sgpr_queue_ptr 0
		.amdhsa_user_sgpr_kernarg_segment_ptr 1
		.amdhsa_user_sgpr_dispatch_id 0
		.amdhsa_user_sgpr_private_segment_size 0
		.amdhsa_wavefront_size32 1
		.amdhsa_uses_dynamic_stack 0
		.amdhsa_enable_private_segment 0
		.amdhsa_system_sgpr_workgroup_id_x 1
		.amdhsa_system_sgpr_workgroup_id_y 0
		.amdhsa_system_sgpr_workgroup_id_z 0
		.amdhsa_system_sgpr_workgroup_info 0
		.amdhsa_system_vgpr_workitem_id 0
		.amdhsa_next_free_vgpr 1
		.amdhsa_next_free_sgpr 1
		.amdhsa_reserve_vcc 0
		.amdhsa_float_round_mode_32 0
		.amdhsa_float_round_mode_16_64 0
		.amdhsa_float_denorm_mode_32 3
		.amdhsa_float_denorm_mode_16_64 3
		.amdhsa_dx10_clamp 1
		.amdhsa_ieee_mode 1
		.amdhsa_fp16_overflow 0
		.amdhsa_workgroup_processor_mode 1
		.amdhsa_memory_ordered 1
		.amdhsa_forward_progress 0
		.amdhsa_shared_vgpr_count 0
		.amdhsa_exception_fp_ieee_invalid_op 0
		.amdhsa_exception_fp_denorm_src 0
		.amdhsa_exception_fp_ieee_div_zero 0
		.amdhsa_exception_fp_ieee_overflow 0
		.amdhsa_exception_fp_ieee_underflow 0
		.amdhsa_exception_fp_ieee_inexact 0
		.amdhsa_exception_int_div_zero 0
	.end_amdhsa_kernel
	.section	.text._ZN7rocprim17ROCPRIM_400000_NS6detail17trampoline_kernelINS0_14default_configENS1_25transform_config_selectorIlLb0EEEZNS1_14transform_implILb0ES3_S5_NS0_18transform_iteratorINS0_17counting_iteratorImlEEZNS1_24adjacent_difference_implIS3_Lb1ELb0EPlSB_ZN2at6native12_GLOBAL__N_124unique_dim_cuda_templateIiEESt5tupleIJNSC_6TensorESH_SH_EERKSH_lbbbEUlllE1_EE10hipError_tPvRmT2_T3_mT4_P12ihipStream_tbEUlmE_lEESB_NS0_8identityIvEEEESM_SP_SQ_mSR_ST_bEUlT_E_NS1_11comp_targetILNS1_3genE8ELNS1_11target_archE1030ELNS1_3gpuE2ELNS1_3repE0EEENS1_30default_config_static_selectorELNS0_4arch9wavefront6targetE0EEEvT1_,"axG",@progbits,_ZN7rocprim17ROCPRIM_400000_NS6detail17trampoline_kernelINS0_14default_configENS1_25transform_config_selectorIlLb0EEEZNS1_14transform_implILb0ES3_S5_NS0_18transform_iteratorINS0_17counting_iteratorImlEEZNS1_24adjacent_difference_implIS3_Lb1ELb0EPlSB_ZN2at6native12_GLOBAL__N_124unique_dim_cuda_templateIiEESt5tupleIJNSC_6TensorESH_SH_EERKSH_lbbbEUlllE1_EE10hipError_tPvRmT2_T3_mT4_P12ihipStream_tbEUlmE_lEESB_NS0_8identityIvEEEESM_SP_SQ_mSR_ST_bEUlT_E_NS1_11comp_targetILNS1_3genE8ELNS1_11target_archE1030ELNS1_3gpuE2ELNS1_3repE0EEENS1_30default_config_static_selectorELNS0_4arch9wavefront6targetE0EEEvT1_,comdat
.Lfunc_end432:
	.size	_ZN7rocprim17ROCPRIM_400000_NS6detail17trampoline_kernelINS0_14default_configENS1_25transform_config_selectorIlLb0EEEZNS1_14transform_implILb0ES3_S5_NS0_18transform_iteratorINS0_17counting_iteratorImlEEZNS1_24adjacent_difference_implIS3_Lb1ELb0EPlSB_ZN2at6native12_GLOBAL__N_124unique_dim_cuda_templateIiEESt5tupleIJNSC_6TensorESH_SH_EERKSH_lbbbEUlllE1_EE10hipError_tPvRmT2_T3_mT4_P12ihipStream_tbEUlmE_lEESB_NS0_8identityIvEEEESM_SP_SQ_mSR_ST_bEUlT_E_NS1_11comp_targetILNS1_3genE8ELNS1_11target_archE1030ELNS1_3gpuE2ELNS1_3repE0EEENS1_30default_config_static_selectorELNS0_4arch9wavefront6targetE0EEEvT1_, .Lfunc_end432-_ZN7rocprim17ROCPRIM_400000_NS6detail17trampoline_kernelINS0_14default_configENS1_25transform_config_selectorIlLb0EEEZNS1_14transform_implILb0ES3_S5_NS0_18transform_iteratorINS0_17counting_iteratorImlEEZNS1_24adjacent_difference_implIS3_Lb1ELb0EPlSB_ZN2at6native12_GLOBAL__N_124unique_dim_cuda_templateIiEESt5tupleIJNSC_6TensorESH_SH_EERKSH_lbbbEUlllE1_EE10hipError_tPvRmT2_T3_mT4_P12ihipStream_tbEUlmE_lEESB_NS0_8identityIvEEEESM_SP_SQ_mSR_ST_bEUlT_E_NS1_11comp_targetILNS1_3genE8ELNS1_11target_archE1030ELNS1_3gpuE2ELNS1_3repE0EEENS1_30default_config_static_selectorELNS0_4arch9wavefront6targetE0EEEvT1_
                                        ; -- End function
	.section	.AMDGPU.csdata,"",@progbits
; Kernel info:
; codeLenInByte = 0
; NumSgprs: 0
; NumVgprs: 0
; ScratchSize: 0
; MemoryBound: 0
; FloatMode: 240
; IeeeMode: 1
; LDSByteSize: 0 bytes/workgroup (compile time only)
; SGPRBlocks: 0
; VGPRBlocks: 0
; NumSGPRsForWavesPerEU: 1
; NumVGPRsForWavesPerEU: 1
; Occupancy: 16
; WaveLimiterHint : 0
; COMPUTE_PGM_RSRC2:SCRATCH_EN: 0
; COMPUTE_PGM_RSRC2:USER_SGPR: 15
; COMPUTE_PGM_RSRC2:TRAP_HANDLER: 0
; COMPUTE_PGM_RSRC2:TGID_X_EN: 1
; COMPUTE_PGM_RSRC2:TGID_Y_EN: 0
; COMPUTE_PGM_RSRC2:TGID_Z_EN: 0
; COMPUTE_PGM_RSRC2:TIDIG_COMP_CNT: 0
	.section	.text._ZN7rocprim17ROCPRIM_400000_NS6detail17trampoline_kernelINS0_14default_configENS1_35adjacent_difference_config_selectorILb1ElEEZNS1_24adjacent_difference_implIS3_Lb1ELb0EPlS7_ZN2at6native12_GLOBAL__N_124unique_dim_cuda_templateIiEESt5tupleIJNS8_6TensorESD_SD_EERKSD_lbbbEUlllE1_EE10hipError_tPvRmT2_T3_mT4_P12ihipStream_tbEUlT_E_NS1_11comp_targetILNS1_3genE0ELNS1_11target_archE4294967295ELNS1_3gpuE0ELNS1_3repE0EEENS1_30default_config_static_selectorELNS0_4arch9wavefront6targetE0EEEvT1_,"axG",@progbits,_ZN7rocprim17ROCPRIM_400000_NS6detail17trampoline_kernelINS0_14default_configENS1_35adjacent_difference_config_selectorILb1ElEEZNS1_24adjacent_difference_implIS3_Lb1ELb0EPlS7_ZN2at6native12_GLOBAL__N_124unique_dim_cuda_templateIiEESt5tupleIJNS8_6TensorESD_SD_EERKSD_lbbbEUlllE1_EE10hipError_tPvRmT2_T3_mT4_P12ihipStream_tbEUlT_E_NS1_11comp_targetILNS1_3genE0ELNS1_11target_archE4294967295ELNS1_3gpuE0ELNS1_3repE0EEENS1_30default_config_static_selectorELNS0_4arch9wavefront6targetE0EEEvT1_,comdat
	.globl	_ZN7rocprim17ROCPRIM_400000_NS6detail17trampoline_kernelINS0_14default_configENS1_35adjacent_difference_config_selectorILb1ElEEZNS1_24adjacent_difference_implIS3_Lb1ELb0EPlS7_ZN2at6native12_GLOBAL__N_124unique_dim_cuda_templateIiEESt5tupleIJNS8_6TensorESD_SD_EERKSD_lbbbEUlllE1_EE10hipError_tPvRmT2_T3_mT4_P12ihipStream_tbEUlT_E_NS1_11comp_targetILNS1_3genE0ELNS1_11target_archE4294967295ELNS1_3gpuE0ELNS1_3repE0EEENS1_30default_config_static_selectorELNS0_4arch9wavefront6targetE0EEEvT1_ ; -- Begin function _ZN7rocprim17ROCPRIM_400000_NS6detail17trampoline_kernelINS0_14default_configENS1_35adjacent_difference_config_selectorILb1ElEEZNS1_24adjacent_difference_implIS3_Lb1ELb0EPlS7_ZN2at6native12_GLOBAL__N_124unique_dim_cuda_templateIiEESt5tupleIJNS8_6TensorESD_SD_EERKSD_lbbbEUlllE1_EE10hipError_tPvRmT2_T3_mT4_P12ihipStream_tbEUlT_E_NS1_11comp_targetILNS1_3genE0ELNS1_11target_archE4294967295ELNS1_3gpuE0ELNS1_3repE0EEENS1_30default_config_static_selectorELNS0_4arch9wavefront6targetE0EEEvT1_
	.p2align	8
	.type	_ZN7rocprim17ROCPRIM_400000_NS6detail17trampoline_kernelINS0_14default_configENS1_35adjacent_difference_config_selectorILb1ElEEZNS1_24adjacent_difference_implIS3_Lb1ELb0EPlS7_ZN2at6native12_GLOBAL__N_124unique_dim_cuda_templateIiEESt5tupleIJNS8_6TensorESD_SD_EERKSD_lbbbEUlllE1_EE10hipError_tPvRmT2_T3_mT4_P12ihipStream_tbEUlT_E_NS1_11comp_targetILNS1_3genE0ELNS1_11target_archE4294967295ELNS1_3gpuE0ELNS1_3repE0EEENS1_30default_config_static_selectorELNS0_4arch9wavefront6targetE0EEEvT1_,@function
_ZN7rocprim17ROCPRIM_400000_NS6detail17trampoline_kernelINS0_14default_configENS1_35adjacent_difference_config_selectorILb1ElEEZNS1_24adjacent_difference_implIS3_Lb1ELb0EPlS7_ZN2at6native12_GLOBAL__N_124unique_dim_cuda_templateIiEESt5tupleIJNS8_6TensorESD_SD_EERKSD_lbbbEUlllE1_EE10hipError_tPvRmT2_T3_mT4_P12ihipStream_tbEUlT_E_NS1_11comp_targetILNS1_3genE0ELNS1_11target_archE4294967295ELNS1_3gpuE0ELNS1_3repE0EEENS1_30default_config_static_selectorELNS0_4arch9wavefront6targetE0EEEvT1_: ; @_ZN7rocprim17ROCPRIM_400000_NS6detail17trampoline_kernelINS0_14default_configENS1_35adjacent_difference_config_selectorILb1ElEEZNS1_24adjacent_difference_implIS3_Lb1ELb0EPlS7_ZN2at6native12_GLOBAL__N_124unique_dim_cuda_templateIiEESt5tupleIJNS8_6TensorESD_SD_EERKSD_lbbbEUlllE1_EE10hipError_tPvRmT2_T3_mT4_P12ihipStream_tbEUlT_E_NS1_11comp_targetILNS1_3genE0ELNS1_11target_archE4294967295ELNS1_3gpuE0ELNS1_3repE0EEENS1_30default_config_static_selectorELNS0_4arch9wavefront6targetE0EEEvT1_
; %bb.0:
	.section	.rodata,"a",@progbits
	.p2align	6, 0x0
	.amdhsa_kernel _ZN7rocprim17ROCPRIM_400000_NS6detail17trampoline_kernelINS0_14default_configENS1_35adjacent_difference_config_selectorILb1ElEEZNS1_24adjacent_difference_implIS3_Lb1ELb0EPlS7_ZN2at6native12_GLOBAL__N_124unique_dim_cuda_templateIiEESt5tupleIJNS8_6TensorESD_SD_EERKSD_lbbbEUlllE1_EE10hipError_tPvRmT2_T3_mT4_P12ihipStream_tbEUlT_E_NS1_11comp_targetILNS1_3genE0ELNS1_11target_archE4294967295ELNS1_3gpuE0ELNS1_3repE0EEENS1_30default_config_static_selectorELNS0_4arch9wavefront6targetE0EEEvT1_
		.amdhsa_group_segment_fixed_size 0
		.amdhsa_private_segment_fixed_size 0
		.amdhsa_kernarg_size 64
		.amdhsa_user_sgpr_count 15
		.amdhsa_user_sgpr_dispatch_ptr 0
		.amdhsa_user_sgpr_queue_ptr 0
		.amdhsa_user_sgpr_kernarg_segment_ptr 1
		.amdhsa_user_sgpr_dispatch_id 0
		.amdhsa_user_sgpr_private_segment_size 0
		.amdhsa_wavefront_size32 1
		.amdhsa_uses_dynamic_stack 0
		.amdhsa_enable_private_segment 0
		.amdhsa_system_sgpr_workgroup_id_x 1
		.amdhsa_system_sgpr_workgroup_id_y 0
		.amdhsa_system_sgpr_workgroup_id_z 0
		.amdhsa_system_sgpr_workgroup_info 0
		.amdhsa_system_vgpr_workitem_id 0
		.amdhsa_next_free_vgpr 1
		.amdhsa_next_free_sgpr 1
		.amdhsa_reserve_vcc 0
		.amdhsa_float_round_mode_32 0
		.amdhsa_float_round_mode_16_64 0
		.amdhsa_float_denorm_mode_32 3
		.amdhsa_float_denorm_mode_16_64 3
		.amdhsa_dx10_clamp 1
		.amdhsa_ieee_mode 1
		.amdhsa_fp16_overflow 0
		.amdhsa_workgroup_processor_mode 1
		.amdhsa_memory_ordered 1
		.amdhsa_forward_progress 0
		.amdhsa_shared_vgpr_count 0
		.amdhsa_exception_fp_ieee_invalid_op 0
		.amdhsa_exception_fp_denorm_src 0
		.amdhsa_exception_fp_ieee_div_zero 0
		.amdhsa_exception_fp_ieee_overflow 0
		.amdhsa_exception_fp_ieee_underflow 0
		.amdhsa_exception_fp_ieee_inexact 0
		.amdhsa_exception_int_div_zero 0
	.end_amdhsa_kernel
	.section	.text._ZN7rocprim17ROCPRIM_400000_NS6detail17trampoline_kernelINS0_14default_configENS1_35adjacent_difference_config_selectorILb1ElEEZNS1_24adjacent_difference_implIS3_Lb1ELb0EPlS7_ZN2at6native12_GLOBAL__N_124unique_dim_cuda_templateIiEESt5tupleIJNS8_6TensorESD_SD_EERKSD_lbbbEUlllE1_EE10hipError_tPvRmT2_T3_mT4_P12ihipStream_tbEUlT_E_NS1_11comp_targetILNS1_3genE0ELNS1_11target_archE4294967295ELNS1_3gpuE0ELNS1_3repE0EEENS1_30default_config_static_selectorELNS0_4arch9wavefront6targetE0EEEvT1_,"axG",@progbits,_ZN7rocprim17ROCPRIM_400000_NS6detail17trampoline_kernelINS0_14default_configENS1_35adjacent_difference_config_selectorILb1ElEEZNS1_24adjacent_difference_implIS3_Lb1ELb0EPlS7_ZN2at6native12_GLOBAL__N_124unique_dim_cuda_templateIiEESt5tupleIJNS8_6TensorESD_SD_EERKSD_lbbbEUlllE1_EE10hipError_tPvRmT2_T3_mT4_P12ihipStream_tbEUlT_E_NS1_11comp_targetILNS1_3genE0ELNS1_11target_archE4294967295ELNS1_3gpuE0ELNS1_3repE0EEENS1_30default_config_static_selectorELNS0_4arch9wavefront6targetE0EEEvT1_,comdat
.Lfunc_end433:
	.size	_ZN7rocprim17ROCPRIM_400000_NS6detail17trampoline_kernelINS0_14default_configENS1_35adjacent_difference_config_selectorILb1ElEEZNS1_24adjacent_difference_implIS3_Lb1ELb0EPlS7_ZN2at6native12_GLOBAL__N_124unique_dim_cuda_templateIiEESt5tupleIJNS8_6TensorESD_SD_EERKSD_lbbbEUlllE1_EE10hipError_tPvRmT2_T3_mT4_P12ihipStream_tbEUlT_E_NS1_11comp_targetILNS1_3genE0ELNS1_11target_archE4294967295ELNS1_3gpuE0ELNS1_3repE0EEENS1_30default_config_static_selectorELNS0_4arch9wavefront6targetE0EEEvT1_, .Lfunc_end433-_ZN7rocprim17ROCPRIM_400000_NS6detail17trampoline_kernelINS0_14default_configENS1_35adjacent_difference_config_selectorILb1ElEEZNS1_24adjacent_difference_implIS3_Lb1ELb0EPlS7_ZN2at6native12_GLOBAL__N_124unique_dim_cuda_templateIiEESt5tupleIJNS8_6TensorESD_SD_EERKSD_lbbbEUlllE1_EE10hipError_tPvRmT2_T3_mT4_P12ihipStream_tbEUlT_E_NS1_11comp_targetILNS1_3genE0ELNS1_11target_archE4294967295ELNS1_3gpuE0ELNS1_3repE0EEENS1_30default_config_static_selectorELNS0_4arch9wavefront6targetE0EEEvT1_
                                        ; -- End function
	.section	.AMDGPU.csdata,"",@progbits
; Kernel info:
; codeLenInByte = 0
; NumSgprs: 0
; NumVgprs: 0
; ScratchSize: 0
; MemoryBound: 0
; FloatMode: 240
; IeeeMode: 1
; LDSByteSize: 0 bytes/workgroup (compile time only)
; SGPRBlocks: 0
; VGPRBlocks: 0
; NumSGPRsForWavesPerEU: 1
; NumVGPRsForWavesPerEU: 1
; Occupancy: 16
; WaveLimiterHint : 0
; COMPUTE_PGM_RSRC2:SCRATCH_EN: 0
; COMPUTE_PGM_RSRC2:USER_SGPR: 15
; COMPUTE_PGM_RSRC2:TRAP_HANDLER: 0
; COMPUTE_PGM_RSRC2:TGID_X_EN: 1
; COMPUTE_PGM_RSRC2:TGID_Y_EN: 0
; COMPUTE_PGM_RSRC2:TGID_Z_EN: 0
; COMPUTE_PGM_RSRC2:TIDIG_COMP_CNT: 0
	.section	.text._ZN7rocprim17ROCPRIM_400000_NS6detail17trampoline_kernelINS0_14default_configENS1_35adjacent_difference_config_selectorILb1ElEEZNS1_24adjacent_difference_implIS3_Lb1ELb0EPlS7_ZN2at6native12_GLOBAL__N_124unique_dim_cuda_templateIiEESt5tupleIJNS8_6TensorESD_SD_EERKSD_lbbbEUlllE1_EE10hipError_tPvRmT2_T3_mT4_P12ihipStream_tbEUlT_E_NS1_11comp_targetILNS1_3genE10ELNS1_11target_archE1201ELNS1_3gpuE5ELNS1_3repE0EEENS1_30default_config_static_selectorELNS0_4arch9wavefront6targetE0EEEvT1_,"axG",@progbits,_ZN7rocprim17ROCPRIM_400000_NS6detail17trampoline_kernelINS0_14default_configENS1_35adjacent_difference_config_selectorILb1ElEEZNS1_24adjacent_difference_implIS3_Lb1ELb0EPlS7_ZN2at6native12_GLOBAL__N_124unique_dim_cuda_templateIiEESt5tupleIJNS8_6TensorESD_SD_EERKSD_lbbbEUlllE1_EE10hipError_tPvRmT2_T3_mT4_P12ihipStream_tbEUlT_E_NS1_11comp_targetILNS1_3genE10ELNS1_11target_archE1201ELNS1_3gpuE5ELNS1_3repE0EEENS1_30default_config_static_selectorELNS0_4arch9wavefront6targetE0EEEvT1_,comdat
	.globl	_ZN7rocprim17ROCPRIM_400000_NS6detail17trampoline_kernelINS0_14default_configENS1_35adjacent_difference_config_selectorILb1ElEEZNS1_24adjacent_difference_implIS3_Lb1ELb0EPlS7_ZN2at6native12_GLOBAL__N_124unique_dim_cuda_templateIiEESt5tupleIJNS8_6TensorESD_SD_EERKSD_lbbbEUlllE1_EE10hipError_tPvRmT2_T3_mT4_P12ihipStream_tbEUlT_E_NS1_11comp_targetILNS1_3genE10ELNS1_11target_archE1201ELNS1_3gpuE5ELNS1_3repE0EEENS1_30default_config_static_selectorELNS0_4arch9wavefront6targetE0EEEvT1_ ; -- Begin function _ZN7rocprim17ROCPRIM_400000_NS6detail17trampoline_kernelINS0_14default_configENS1_35adjacent_difference_config_selectorILb1ElEEZNS1_24adjacent_difference_implIS3_Lb1ELb0EPlS7_ZN2at6native12_GLOBAL__N_124unique_dim_cuda_templateIiEESt5tupleIJNS8_6TensorESD_SD_EERKSD_lbbbEUlllE1_EE10hipError_tPvRmT2_T3_mT4_P12ihipStream_tbEUlT_E_NS1_11comp_targetILNS1_3genE10ELNS1_11target_archE1201ELNS1_3gpuE5ELNS1_3repE0EEENS1_30default_config_static_selectorELNS0_4arch9wavefront6targetE0EEEvT1_
	.p2align	8
	.type	_ZN7rocprim17ROCPRIM_400000_NS6detail17trampoline_kernelINS0_14default_configENS1_35adjacent_difference_config_selectorILb1ElEEZNS1_24adjacent_difference_implIS3_Lb1ELb0EPlS7_ZN2at6native12_GLOBAL__N_124unique_dim_cuda_templateIiEESt5tupleIJNS8_6TensorESD_SD_EERKSD_lbbbEUlllE1_EE10hipError_tPvRmT2_T3_mT4_P12ihipStream_tbEUlT_E_NS1_11comp_targetILNS1_3genE10ELNS1_11target_archE1201ELNS1_3gpuE5ELNS1_3repE0EEENS1_30default_config_static_selectorELNS0_4arch9wavefront6targetE0EEEvT1_,@function
_ZN7rocprim17ROCPRIM_400000_NS6detail17trampoline_kernelINS0_14default_configENS1_35adjacent_difference_config_selectorILb1ElEEZNS1_24adjacent_difference_implIS3_Lb1ELb0EPlS7_ZN2at6native12_GLOBAL__N_124unique_dim_cuda_templateIiEESt5tupleIJNS8_6TensorESD_SD_EERKSD_lbbbEUlllE1_EE10hipError_tPvRmT2_T3_mT4_P12ihipStream_tbEUlT_E_NS1_11comp_targetILNS1_3genE10ELNS1_11target_archE1201ELNS1_3gpuE5ELNS1_3repE0EEENS1_30default_config_static_selectorELNS0_4arch9wavefront6targetE0EEEvT1_: ; @_ZN7rocprim17ROCPRIM_400000_NS6detail17trampoline_kernelINS0_14default_configENS1_35adjacent_difference_config_selectorILb1ElEEZNS1_24adjacent_difference_implIS3_Lb1ELb0EPlS7_ZN2at6native12_GLOBAL__N_124unique_dim_cuda_templateIiEESt5tupleIJNS8_6TensorESD_SD_EERKSD_lbbbEUlllE1_EE10hipError_tPvRmT2_T3_mT4_P12ihipStream_tbEUlT_E_NS1_11comp_targetILNS1_3genE10ELNS1_11target_archE1201ELNS1_3gpuE5ELNS1_3repE0EEENS1_30default_config_static_selectorELNS0_4arch9wavefront6targetE0EEEvT1_
; %bb.0:
	.section	.rodata,"a",@progbits
	.p2align	6, 0x0
	.amdhsa_kernel _ZN7rocprim17ROCPRIM_400000_NS6detail17trampoline_kernelINS0_14default_configENS1_35adjacent_difference_config_selectorILb1ElEEZNS1_24adjacent_difference_implIS3_Lb1ELb0EPlS7_ZN2at6native12_GLOBAL__N_124unique_dim_cuda_templateIiEESt5tupleIJNS8_6TensorESD_SD_EERKSD_lbbbEUlllE1_EE10hipError_tPvRmT2_T3_mT4_P12ihipStream_tbEUlT_E_NS1_11comp_targetILNS1_3genE10ELNS1_11target_archE1201ELNS1_3gpuE5ELNS1_3repE0EEENS1_30default_config_static_selectorELNS0_4arch9wavefront6targetE0EEEvT1_
		.amdhsa_group_segment_fixed_size 0
		.amdhsa_private_segment_fixed_size 0
		.amdhsa_kernarg_size 64
		.amdhsa_user_sgpr_count 15
		.amdhsa_user_sgpr_dispatch_ptr 0
		.amdhsa_user_sgpr_queue_ptr 0
		.amdhsa_user_sgpr_kernarg_segment_ptr 1
		.amdhsa_user_sgpr_dispatch_id 0
		.amdhsa_user_sgpr_private_segment_size 0
		.amdhsa_wavefront_size32 1
		.amdhsa_uses_dynamic_stack 0
		.amdhsa_enable_private_segment 0
		.amdhsa_system_sgpr_workgroup_id_x 1
		.amdhsa_system_sgpr_workgroup_id_y 0
		.amdhsa_system_sgpr_workgroup_id_z 0
		.amdhsa_system_sgpr_workgroup_info 0
		.amdhsa_system_vgpr_workitem_id 0
		.amdhsa_next_free_vgpr 1
		.amdhsa_next_free_sgpr 1
		.amdhsa_reserve_vcc 0
		.amdhsa_float_round_mode_32 0
		.amdhsa_float_round_mode_16_64 0
		.amdhsa_float_denorm_mode_32 3
		.amdhsa_float_denorm_mode_16_64 3
		.amdhsa_dx10_clamp 1
		.amdhsa_ieee_mode 1
		.amdhsa_fp16_overflow 0
		.amdhsa_workgroup_processor_mode 1
		.amdhsa_memory_ordered 1
		.amdhsa_forward_progress 0
		.amdhsa_shared_vgpr_count 0
		.amdhsa_exception_fp_ieee_invalid_op 0
		.amdhsa_exception_fp_denorm_src 0
		.amdhsa_exception_fp_ieee_div_zero 0
		.amdhsa_exception_fp_ieee_overflow 0
		.amdhsa_exception_fp_ieee_underflow 0
		.amdhsa_exception_fp_ieee_inexact 0
		.amdhsa_exception_int_div_zero 0
	.end_amdhsa_kernel
	.section	.text._ZN7rocprim17ROCPRIM_400000_NS6detail17trampoline_kernelINS0_14default_configENS1_35adjacent_difference_config_selectorILb1ElEEZNS1_24adjacent_difference_implIS3_Lb1ELb0EPlS7_ZN2at6native12_GLOBAL__N_124unique_dim_cuda_templateIiEESt5tupleIJNS8_6TensorESD_SD_EERKSD_lbbbEUlllE1_EE10hipError_tPvRmT2_T3_mT4_P12ihipStream_tbEUlT_E_NS1_11comp_targetILNS1_3genE10ELNS1_11target_archE1201ELNS1_3gpuE5ELNS1_3repE0EEENS1_30default_config_static_selectorELNS0_4arch9wavefront6targetE0EEEvT1_,"axG",@progbits,_ZN7rocprim17ROCPRIM_400000_NS6detail17trampoline_kernelINS0_14default_configENS1_35adjacent_difference_config_selectorILb1ElEEZNS1_24adjacent_difference_implIS3_Lb1ELb0EPlS7_ZN2at6native12_GLOBAL__N_124unique_dim_cuda_templateIiEESt5tupleIJNS8_6TensorESD_SD_EERKSD_lbbbEUlllE1_EE10hipError_tPvRmT2_T3_mT4_P12ihipStream_tbEUlT_E_NS1_11comp_targetILNS1_3genE10ELNS1_11target_archE1201ELNS1_3gpuE5ELNS1_3repE0EEENS1_30default_config_static_selectorELNS0_4arch9wavefront6targetE0EEEvT1_,comdat
.Lfunc_end434:
	.size	_ZN7rocprim17ROCPRIM_400000_NS6detail17trampoline_kernelINS0_14default_configENS1_35adjacent_difference_config_selectorILb1ElEEZNS1_24adjacent_difference_implIS3_Lb1ELb0EPlS7_ZN2at6native12_GLOBAL__N_124unique_dim_cuda_templateIiEESt5tupleIJNS8_6TensorESD_SD_EERKSD_lbbbEUlllE1_EE10hipError_tPvRmT2_T3_mT4_P12ihipStream_tbEUlT_E_NS1_11comp_targetILNS1_3genE10ELNS1_11target_archE1201ELNS1_3gpuE5ELNS1_3repE0EEENS1_30default_config_static_selectorELNS0_4arch9wavefront6targetE0EEEvT1_, .Lfunc_end434-_ZN7rocprim17ROCPRIM_400000_NS6detail17trampoline_kernelINS0_14default_configENS1_35adjacent_difference_config_selectorILb1ElEEZNS1_24adjacent_difference_implIS3_Lb1ELb0EPlS7_ZN2at6native12_GLOBAL__N_124unique_dim_cuda_templateIiEESt5tupleIJNS8_6TensorESD_SD_EERKSD_lbbbEUlllE1_EE10hipError_tPvRmT2_T3_mT4_P12ihipStream_tbEUlT_E_NS1_11comp_targetILNS1_3genE10ELNS1_11target_archE1201ELNS1_3gpuE5ELNS1_3repE0EEENS1_30default_config_static_selectorELNS0_4arch9wavefront6targetE0EEEvT1_
                                        ; -- End function
	.section	.AMDGPU.csdata,"",@progbits
; Kernel info:
; codeLenInByte = 0
; NumSgprs: 0
; NumVgprs: 0
; ScratchSize: 0
; MemoryBound: 0
; FloatMode: 240
; IeeeMode: 1
; LDSByteSize: 0 bytes/workgroup (compile time only)
; SGPRBlocks: 0
; VGPRBlocks: 0
; NumSGPRsForWavesPerEU: 1
; NumVGPRsForWavesPerEU: 1
; Occupancy: 16
; WaveLimiterHint : 0
; COMPUTE_PGM_RSRC2:SCRATCH_EN: 0
; COMPUTE_PGM_RSRC2:USER_SGPR: 15
; COMPUTE_PGM_RSRC2:TRAP_HANDLER: 0
; COMPUTE_PGM_RSRC2:TGID_X_EN: 1
; COMPUTE_PGM_RSRC2:TGID_Y_EN: 0
; COMPUTE_PGM_RSRC2:TGID_Z_EN: 0
; COMPUTE_PGM_RSRC2:TIDIG_COMP_CNT: 0
	.section	.text._ZN7rocprim17ROCPRIM_400000_NS6detail17trampoline_kernelINS0_14default_configENS1_35adjacent_difference_config_selectorILb1ElEEZNS1_24adjacent_difference_implIS3_Lb1ELb0EPlS7_ZN2at6native12_GLOBAL__N_124unique_dim_cuda_templateIiEESt5tupleIJNS8_6TensorESD_SD_EERKSD_lbbbEUlllE1_EE10hipError_tPvRmT2_T3_mT4_P12ihipStream_tbEUlT_E_NS1_11comp_targetILNS1_3genE5ELNS1_11target_archE942ELNS1_3gpuE9ELNS1_3repE0EEENS1_30default_config_static_selectorELNS0_4arch9wavefront6targetE0EEEvT1_,"axG",@progbits,_ZN7rocprim17ROCPRIM_400000_NS6detail17trampoline_kernelINS0_14default_configENS1_35adjacent_difference_config_selectorILb1ElEEZNS1_24adjacent_difference_implIS3_Lb1ELb0EPlS7_ZN2at6native12_GLOBAL__N_124unique_dim_cuda_templateIiEESt5tupleIJNS8_6TensorESD_SD_EERKSD_lbbbEUlllE1_EE10hipError_tPvRmT2_T3_mT4_P12ihipStream_tbEUlT_E_NS1_11comp_targetILNS1_3genE5ELNS1_11target_archE942ELNS1_3gpuE9ELNS1_3repE0EEENS1_30default_config_static_selectorELNS0_4arch9wavefront6targetE0EEEvT1_,comdat
	.globl	_ZN7rocprim17ROCPRIM_400000_NS6detail17trampoline_kernelINS0_14default_configENS1_35adjacent_difference_config_selectorILb1ElEEZNS1_24adjacent_difference_implIS3_Lb1ELb0EPlS7_ZN2at6native12_GLOBAL__N_124unique_dim_cuda_templateIiEESt5tupleIJNS8_6TensorESD_SD_EERKSD_lbbbEUlllE1_EE10hipError_tPvRmT2_T3_mT4_P12ihipStream_tbEUlT_E_NS1_11comp_targetILNS1_3genE5ELNS1_11target_archE942ELNS1_3gpuE9ELNS1_3repE0EEENS1_30default_config_static_selectorELNS0_4arch9wavefront6targetE0EEEvT1_ ; -- Begin function _ZN7rocprim17ROCPRIM_400000_NS6detail17trampoline_kernelINS0_14default_configENS1_35adjacent_difference_config_selectorILb1ElEEZNS1_24adjacent_difference_implIS3_Lb1ELb0EPlS7_ZN2at6native12_GLOBAL__N_124unique_dim_cuda_templateIiEESt5tupleIJNS8_6TensorESD_SD_EERKSD_lbbbEUlllE1_EE10hipError_tPvRmT2_T3_mT4_P12ihipStream_tbEUlT_E_NS1_11comp_targetILNS1_3genE5ELNS1_11target_archE942ELNS1_3gpuE9ELNS1_3repE0EEENS1_30default_config_static_selectorELNS0_4arch9wavefront6targetE0EEEvT1_
	.p2align	8
	.type	_ZN7rocprim17ROCPRIM_400000_NS6detail17trampoline_kernelINS0_14default_configENS1_35adjacent_difference_config_selectorILb1ElEEZNS1_24adjacent_difference_implIS3_Lb1ELb0EPlS7_ZN2at6native12_GLOBAL__N_124unique_dim_cuda_templateIiEESt5tupleIJNS8_6TensorESD_SD_EERKSD_lbbbEUlllE1_EE10hipError_tPvRmT2_T3_mT4_P12ihipStream_tbEUlT_E_NS1_11comp_targetILNS1_3genE5ELNS1_11target_archE942ELNS1_3gpuE9ELNS1_3repE0EEENS1_30default_config_static_selectorELNS0_4arch9wavefront6targetE0EEEvT1_,@function
_ZN7rocprim17ROCPRIM_400000_NS6detail17trampoline_kernelINS0_14default_configENS1_35adjacent_difference_config_selectorILb1ElEEZNS1_24adjacent_difference_implIS3_Lb1ELb0EPlS7_ZN2at6native12_GLOBAL__N_124unique_dim_cuda_templateIiEESt5tupleIJNS8_6TensorESD_SD_EERKSD_lbbbEUlllE1_EE10hipError_tPvRmT2_T3_mT4_P12ihipStream_tbEUlT_E_NS1_11comp_targetILNS1_3genE5ELNS1_11target_archE942ELNS1_3gpuE9ELNS1_3repE0EEENS1_30default_config_static_selectorELNS0_4arch9wavefront6targetE0EEEvT1_: ; @_ZN7rocprim17ROCPRIM_400000_NS6detail17trampoline_kernelINS0_14default_configENS1_35adjacent_difference_config_selectorILb1ElEEZNS1_24adjacent_difference_implIS3_Lb1ELb0EPlS7_ZN2at6native12_GLOBAL__N_124unique_dim_cuda_templateIiEESt5tupleIJNS8_6TensorESD_SD_EERKSD_lbbbEUlllE1_EE10hipError_tPvRmT2_T3_mT4_P12ihipStream_tbEUlT_E_NS1_11comp_targetILNS1_3genE5ELNS1_11target_archE942ELNS1_3gpuE9ELNS1_3repE0EEENS1_30default_config_static_selectorELNS0_4arch9wavefront6targetE0EEEvT1_
; %bb.0:
	.section	.rodata,"a",@progbits
	.p2align	6, 0x0
	.amdhsa_kernel _ZN7rocprim17ROCPRIM_400000_NS6detail17trampoline_kernelINS0_14default_configENS1_35adjacent_difference_config_selectorILb1ElEEZNS1_24adjacent_difference_implIS3_Lb1ELb0EPlS7_ZN2at6native12_GLOBAL__N_124unique_dim_cuda_templateIiEESt5tupleIJNS8_6TensorESD_SD_EERKSD_lbbbEUlllE1_EE10hipError_tPvRmT2_T3_mT4_P12ihipStream_tbEUlT_E_NS1_11comp_targetILNS1_3genE5ELNS1_11target_archE942ELNS1_3gpuE9ELNS1_3repE0EEENS1_30default_config_static_selectorELNS0_4arch9wavefront6targetE0EEEvT1_
		.amdhsa_group_segment_fixed_size 0
		.amdhsa_private_segment_fixed_size 0
		.amdhsa_kernarg_size 64
		.amdhsa_user_sgpr_count 15
		.amdhsa_user_sgpr_dispatch_ptr 0
		.amdhsa_user_sgpr_queue_ptr 0
		.amdhsa_user_sgpr_kernarg_segment_ptr 1
		.amdhsa_user_sgpr_dispatch_id 0
		.amdhsa_user_sgpr_private_segment_size 0
		.amdhsa_wavefront_size32 1
		.amdhsa_uses_dynamic_stack 0
		.amdhsa_enable_private_segment 0
		.amdhsa_system_sgpr_workgroup_id_x 1
		.amdhsa_system_sgpr_workgroup_id_y 0
		.amdhsa_system_sgpr_workgroup_id_z 0
		.amdhsa_system_sgpr_workgroup_info 0
		.amdhsa_system_vgpr_workitem_id 0
		.amdhsa_next_free_vgpr 1
		.amdhsa_next_free_sgpr 1
		.amdhsa_reserve_vcc 0
		.amdhsa_float_round_mode_32 0
		.amdhsa_float_round_mode_16_64 0
		.amdhsa_float_denorm_mode_32 3
		.amdhsa_float_denorm_mode_16_64 3
		.amdhsa_dx10_clamp 1
		.amdhsa_ieee_mode 1
		.amdhsa_fp16_overflow 0
		.amdhsa_workgroup_processor_mode 1
		.amdhsa_memory_ordered 1
		.amdhsa_forward_progress 0
		.amdhsa_shared_vgpr_count 0
		.amdhsa_exception_fp_ieee_invalid_op 0
		.amdhsa_exception_fp_denorm_src 0
		.amdhsa_exception_fp_ieee_div_zero 0
		.amdhsa_exception_fp_ieee_overflow 0
		.amdhsa_exception_fp_ieee_underflow 0
		.amdhsa_exception_fp_ieee_inexact 0
		.amdhsa_exception_int_div_zero 0
	.end_amdhsa_kernel
	.section	.text._ZN7rocprim17ROCPRIM_400000_NS6detail17trampoline_kernelINS0_14default_configENS1_35adjacent_difference_config_selectorILb1ElEEZNS1_24adjacent_difference_implIS3_Lb1ELb0EPlS7_ZN2at6native12_GLOBAL__N_124unique_dim_cuda_templateIiEESt5tupleIJNS8_6TensorESD_SD_EERKSD_lbbbEUlllE1_EE10hipError_tPvRmT2_T3_mT4_P12ihipStream_tbEUlT_E_NS1_11comp_targetILNS1_3genE5ELNS1_11target_archE942ELNS1_3gpuE9ELNS1_3repE0EEENS1_30default_config_static_selectorELNS0_4arch9wavefront6targetE0EEEvT1_,"axG",@progbits,_ZN7rocprim17ROCPRIM_400000_NS6detail17trampoline_kernelINS0_14default_configENS1_35adjacent_difference_config_selectorILb1ElEEZNS1_24adjacent_difference_implIS3_Lb1ELb0EPlS7_ZN2at6native12_GLOBAL__N_124unique_dim_cuda_templateIiEESt5tupleIJNS8_6TensorESD_SD_EERKSD_lbbbEUlllE1_EE10hipError_tPvRmT2_T3_mT4_P12ihipStream_tbEUlT_E_NS1_11comp_targetILNS1_3genE5ELNS1_11target_archE942ELNS1_3gpuE9ELNS1_3repE0EEENS1_30default_config_static_selectorELNS0_4arch9wavefront6targetE0EEEvT1_,comdat
.Lfunc_end435:
	.size	_ZN7rocprim17ROCPRIM_400000_NS6detail17trampoline_kernelINS0_14default_configENS1_35adjacent_difference_config_selectorILb1ElEEZNS1_24adjacent_difference_implIS3_Lb1ELb0EPlS7_ZN2at6native12_GLOBAL__N_124unique_dim_cuda_templateIiEESt5tupleIJNS8_6TensorESD_SD_EERKSD_lbbbEUlllE1_EE10hipError_tPvRmT2_T3_mT4_P12ihipStream_tbEUlT_E_NS1_11comp_targetILNS1_3genE5ELNS1_11target_archE942ELNS1_3gpuE9ELNS1_3repE0EEENS1_30default_config_static_selectorELNS0_4arch9wavefront6targetE0EEEvT1_, .Lfunc_end435-_ZN7rocprim17ROCPRIM_400000_NS6detail17trampoline_kernelINS0_14default_configENS1_35adjacent_difference_config_selectorILb1ElEEZNS1_24adjacent_difference_implIS3_Lb1ELb0EPlS7_ZN2at6native12_GLOBAL__N_124unique_dim_cuda_templateIiEESt5tupleIJNS8_6TensorESD_SD_EERKSD_lbbbEUlllE1_EE10hipError_tPvRmT2_T3_mT4_P12ihipStream_tbEUlT_E_NS1_11comp_targetILNS1_3genE5ELNS1_11target_archE942ELNS1_3gpuE9ELNS1_3repE0EEENS1_30default_config_static_selectorELNS0_4arch9wavefront6targetE0EEEvT1_
                                        ; -- End function
	.section	.AMDGPU.csdata,"",@progbits
; Kernel info:
; codeLenInByte = 0
; NumSgprs: 0
; NumVgprs: 0
; ScratchSize: 0
; MemoryBound: 0
; FloatMode: 240
; IeeeMode: 1
; LDSByteSize: 0 bytes/workgroup (compile time only)
; SGPRBlocks: 0
; VGPRBlocks: 0
; NumSGPRsForWavesPerEU: 1
; NumVGPRsForWavesPerEU: 1
; Occupancy: 16
; WaveLimiterHint : 0
; COMPUTE_PGM_RSRC2:SCRATCH_EN: 0
; COMPUTE_PGM_RSRC2:USER_SGPR: 15
; COMPUTE_PGM_RSRC2:TRAP_HANDLER: 0
; COMPUTE_PGM_RSRC2:TGID_X_EN: 1
; COMPUTE_PGM_RSRC2:TGID_Y_EN: 0
; COMPUTE_PGM_RSRC2:TGID_Z_EN: 0
; COMPUTE_PGM_RSRC2:TIDIG_COMP_CNT: 0
	.section	.text._ZN7rocprim17ROCPRIM_400000_NS6detail17trampoline_kernelINS0_14default_configENS1_35adjacent_difference_config_selectorILb1ElEEZNS1_24adjacent_difference_implIS3_Lb1ELb0EPlS7_ZN2at6native12_GLOBAL__N_124unique_dim_cuda_templateIiEESt5tupleIJNS8_6TensorESD_SD_EERKSD_lbbbEUlllE1_EE10hipError_tPvRmT2_T3_mT4_P12ihipStream_tbEUlT_E_NS1_11comp_targetILNS1_3genE4ELNS1_11target_archE910ELNS1_3gpuE8ELNS1_3repE0EEENS1_30default_config_static_selectorELNS0_4arch9wavefront6targetE0EEEvT1_,"axG",@progbits,_ZN7rocprim17ROCPRIM_400000_NS6detail17trampoline_kernelINS0_14default_configENS1_35adjacent_difference_config_selectorILb1ElEEZNS1_24adjacent_difference_implIS3_Lb1ELb0EPlS7_ZN2at6native12_GLOBAL__N_124unique_dim_cuda_templateIiEESt5tupleIJNS8_6TensorESD_SD_EERKSD_lbbbEUlllE1_EE10hipError_tPvRmT2_T3_mT4_P12ihipStream_tbEUlT_E_NS1_11comp_targetILNS1_3genE4ELNS1_11target_archE910ELNS1_3gpuE8ELNS1_3repE0EEENS1_30default_config_static_selectorELNS0_4arch9wavefront6targetE0EEEvT1_,comdat
	.globl	_ZN7rocprim17ROCPRIM_400000_NS6detail17trampoline_kernelINS0_14default_configENS1_35adjacent_difference_config_selectorILb1ElEEZNS1_24adjacent_difference_implIS3_Lb1ELb0EPlS7_ZN2at6native12_GLOBAL__N_124unique_dim_cuda_templateIiEESt5tupleIJNS8_6TensorESD_SD_EERKSD_lbbbEUlllE1_EE10hipError_tPvRmT2_T3_mT4_P12ihipStream_tbEUlT_E_NS1_11comp_targetILNS1_3genE4ELNS1_11target_archE910ELNS1_3gpuE8ELNS1_3repE0EEENS1_30default_config_static_selectorELNS0_4arch9wavefront6targetE0EEEvT1_ ; -- Begin function _ZN7rocprim17ROCPRIM_400000_NS6detail17trampoline_kernelINS0_14default_configENS1_35adjacent_difference_config_selectorILb1ElEEZNS1_24adjacent_difference_implIS3_Lb1ELb0EPlS7_ZN2at6native12_GLOBAL__N_124unique_dim_cuda_templateIiEESt5tupleIJNS8_6TensorESD_SD_EERKSD_lbbbEUlllE1_EE10hipError_tPvRmT2_T3_mT4_P12ihipStream_tbEUlT_E_NS1_11comp_targetILNS1_3genE4ELNS1_11target_archE910ELNS1_3gpuE8ELNS1_3repE0EEENS1_30default_config_static_selectorELNS0_4arch9wavefront6targetE0EEEvT1_
	.p2align	8
	.type	_ZN7rocprim17ROCPRIM_400000_NS6detail17trampoline_kernelINS0_14default_configENS1_35adjacent_difference_config_selectorILb1ElEEZNS1_24adjacent_difference_implIS3_Lb1ELb0EPlS7_ZN2at6native12_GLOBAL__N_124unique_dim_cuda_templateIiEESt5tupleIJNS8_6TensorESD_SD_EERKSD_lbbbEUlllE1_EE10hipError_tPvRmT2_T3_mT4_P12ihipStream_tbEUlT_E_NS1_11comp_targetILNS1_3genE4ELNS1_11target_archE910ELNS1_3gpuE8ELNS1_3repE0EEENS1_30default_config_static_selectorELNS0_4arch9wavefront6targetE0EEEvT1_,@function
_ZN7rocprim17ROCPRIM_400000_NS6detail17trampoline_kernelINS0_14default_configENS1_35adjacent_difference_config_selectorILb1ElEEZNS1_24adjacent_difference_implIS3_Lb1ELb0EPlS7_ZN2at6native12_GLOBAL__N_124unique_dim_cuda_templateIiEESt5tupleIJNS8_6TensorESD_SD_EERKSD_lbbbEUlllE1_EE10hipError_tPvRmT2_T3_mT4_P12ihipStream_tbEUlT_E_NS1_11comp_targetILNS1_3genE4ELNS1_11target_archE910ELNS1_3gpuE8ELNS1_3repE0EEENS1_30default_config_static_selectorELNS0_4arch9wavefront6targetE0EEEvT1_: ; @_ZN7rocprim17ROCPRIM_400000_NS6detail17trampoline_kernelINS0_14default_configENS1_35adjacent_difference_config_selectorILb1ElEEZNS1_24adjacent_difference_implIS3_Lb1ELb0EPlS7_ZN2at6native12_GLOBAL__N_124unique_dim_cuda_templateIiEESt5tupleIJNS8_6TensorESD_SD_EERKSD_lbbbEUlllE1_EE10hipError_tPvRmT2_T3_mT4_P12ihipStream_tbEUlT_E_NS1_11comp_targetILNS1_3genE4ELNS1_11target_archE910ELNS1_3gpuE8ELNS1_3repE0EEENS1_30default_config_static_selectorELNS0_4arch9wavefront6targetE0EEEvT1_
; %bb.0:
	.section	.rodata,"a",@progbits
	.p2align	6, 0x0
	.amdhsa_kernel _ZN7rocprim17ROCPRIM_400000_NS6detail17trampoline_kernelINS0_14default_configENS1_35adjacent_difference_config_selectorILb1ElEEZNS1_24adjacent_difference_implIS3_Lb1ELb0EPlS7_ZN2at6native12_GLOBAL__N_124unique_dim_cuda_templateIiEESt5tupleIJNS8_6TensorESD_SD_EERKSD_lbbbEUlllE1_EE10hipError_tPvRmT2_T3_mT4_P12ihipStream_tbEUlT_E_NS1_11comp_targetILNS1_3genE4ELNS1_11target_archE910ELNS1_3gpuE8ELNS1_3repE0EEENS1_30default_config_static_selectorELNS0_4arch9wavefront6targetE0EEEvT1_
		.amdhsa_group_segment_fixed_size 0
		.amdhsa_private_segment_fixed_size 0
		.amdhsa_kernarg_size 64
		.amdhsa_user_sgpr_count 15
		.amdhsa_user_sgpr_dispatch_ptr 0
		.amdhsa_user_sgpr_queue_ptr 0
		.amdhsa_user_sgpr_kernarg_segment_ptr 1
		.amdhsa_user_sgpr_dispatch_id 0
		.amdhsa_user_sgpr_private_segment_size 0
		.amdhsa_wavefront_size32 1
		.amdhsa_uses_dynamic_stack 0
		.amdhsa_enable_private_segment 0
		.amdhsa_system_sgpr_workgroup_id_x 1
		.amdhsa_system_sgpr_workgroup_id_y 0
		.amdhsa_system_sgpr_workgroup_id_z 0
		.amdhsa_system_sgpr_workgroup_info 0
		.amdhsa_system_vgpr_workitem_id 0
		.amdhsa_next_free_vgpr 1
		.amdhsa_next_free_sgpr 1
		.amdhsa_reserve_vcc 0
		.amdhsa_float_round_mode_32 0
		.amdhsa_float_round_mode_16_64 0
		.amdhsa_float_denorm_mode_32 3
		.amdhsa_float_denorm_mode_16_64 3
		.amdhsa_dx10_clamp 1
		.amdhsa_ieee_mode 1
		.amdhsa_fp16_overflow 0
		.amdhsa_workgroup_processor_mode 1
		.amdhsa_memory_ordered 1
		.amdhsa_forward_progress 0
		.amdhsa_shared_vgpr_count 0
		.amdhsa_exception_fp_ieee_invalid_op 0
		.amdhsa_exception_fp_denorm_src 0
		.amdhsa_exception_fp_ieee_div_zero 0
		.amdhsa_exception_fp_ieee_overflow 0
		.amdhsa_exception_fp_ieee_underflow 0
		.amdhsa_exception_fp_ieee_inexact 0
		.amdhsa_exception_int_div_zero 0
	.end_amdhsa_kernel
	.section	.text._ZN7rocprim17ROCPRIM_400000_NS6detail17trampoline_kernelINS0_14default_configENS1_35adjacent_difference_config_selectorILb1ElEEZNS1_24adjacent_difference_implIS3_Lb1ELb0EPlS7_ZN2at6native12_GLOBAL__N_124unique_dim_cuda_templateIiEESt5tupleIJNS8_6TensorESD_SD_EERKSD_lbbbEUlllE1_EE10hipError_tPvRmT2_T3_mT4_P12ihipStream_tbEUlT_E_NS1_11comp_targetILNS1_3genE4ELNS1_11target_archE910ELNS1_3gpuE8ELNS1_3repE0EEENS1_30default_config_static_selectorELNS0_4arch9wavefront6targetE0EEEvT1_,"axG",@progbits,_ZN7rocprim17ROCPRIM_400000_NS6detail17trampoline_kernelINS0_14default_configENS1_35adjacent_difference_config_selectorILb1ElEEZNS1_24adjacent_difference_implIS3_Lb1ELb0EPlS7_ZN2at6native12_GLOBAL__N_124unique_dim_cuda_templateIiEESt5tupleIJNS8_6TensorESD_SD_EERKSD_lbbbEUlllE1_EE10hipError_tPvRmT2_T3_mT4_P12ihipStream_tbEUlT_E_NS1_11comp_targetILNS1_3genE4ELNS1_11target_archE910ELNS1_3gpuE8ELNS1_3repE0EEENS1_30default_config_static_selectorELNS0_4arch9wavefront6targetE0EEEvT1_,comdat
.Lfunc_end436:
	.size	_ZN7rocprim17ROCPRIM_400000_NS6detail17trampoline_kernelINS0_14default_configENS1_35adjacent_difference_config_selectorILb1ElEEZNS1_24adjacent_difference_implIS3_Lb1ELb0EPlS7_ZN2at6native12_GLOBAL__N_124unique_dim_cuda_templateIiEESt5tupleIJNS8_6TensorESD_SD_EERKSD_lbbbEUlllE1_EE10hipError_tPvRmT2_T3_mT4_P12ihipStream_tbEUlT_E_NS1_11comp_targetILNS1_3genE4ELNS1_11target_archE910ELNS1_3gpuE8ELNS1_3repE0EEENS1_30default_config_static_selectorELNS0_4arch9wavefront6targetE0EEEvT1_, .Lfunc_end436-_ZN7rocprim17ROCPRIM_400000_NS6detail17trampoline_kernelINS0_14default_configENS1_35adjacent_difference_config_selectorILb1ElEEZNS1_24adjacent_difference_implIS3_Lb1ELb0EPlS7_ZN2at6native12_GLOBAL__N_124unique_dim_cuda_templateIiEESt5tupleIJNS8_6TensorESD_SD_EERKSD_lbbbEUlllE1_EE10hipError_tPvRmT2_T3_mT4_P12ihipStream_tbEUlT_E_NS1_11comp_targetILNS1_3genE4ELNS1_11target_archE910ELNS1_3gpuE8ELNS1_3repE0EEENS1_30default_config_static_selectorELNS0_4arch9wavefront6targetE0EEEvT1_
                                        ; -- End function
	.section	.AMDGPU.csdata,"",@progbits
; Kernel info:
; codeLenInByte = 0
; NumSgprs: 0
; NumVgprs: 0
; ScratchSize: 0
; MemoryBound: 0
; FloatMode: 240
; IeeeMode: 1
; LDSByteSize: 0 bytes/workgroup (compile time only)
; SGPRBlocks: 0
; VGPRBlocks: 0
; NumSGPRsForWavesPerEU: 1
; NumVGPRsForWavesPerEU: 1
; Occupancy: 16
; WaveLimiterHint : 0
; COMPUTE_PGM_RSRC2:SCRATCH_EN: 0
; COMPUTE_PGM_RSRC2:USER_SGPR: 15
; COMPUTE_PGM_RSRC2:TRAP_HANDLER: 0
; COMPUTE_PGM_RSRC2:TGID_X_EN: 1
; COMPUTE_PGM_RSRC2:TGID_Y_EN: 0
; COMPUTE_PGM_RSRC2:TGID_Z_EN: 0
; COMPUTE_PGM_RSRC2:TIDIG_COMP_CNT: 0
	.section	.text._ZN7rocprim17ROCPRIM_400000_NS6detail17trampoline_kernelINS0_14default_configENS1_35adjacent_difference_config_selectorILb1ElEEZNS1_24adjacent_difference_implIS3_Lb1ELb0EPlS7_ZN2at6native12_GLOBAL__N_124unique_dim_cuda_templateIiEESt5tupleIJNS8_6TensorESD_SD_EERKSD_lbbbEUlllE1_EE10hipError_tPvRmT2_T3_mT4_P12ihipStream_tbEUlT_E_NS1_11comp_targetILNS1_3genE3ELNS1_11target_archE908ELNS1_3gpuE7ELNS1_3repE0EEENS1_30default_config_static_selectorELNS0_4arch9wavefront6targetE0EEEvT1_,"axG",@progbits,_ZN7rocprim17ROCPRIM_400000_NS6detail17trampoline_kernelINS0_14default_configENS1_35adjacent_difference_config_selectorILb1ElEEZNS1_24adjacent_difference_implIS3_Lb1ELb0EPlS7_ZN2at6native12_GLOBAL__N_124unique_dim_cuda_templateIiEESt5tupleIJNS8_6TensorESD_SD_EERKSD_lbbbEUlllE1_EE10hipError_tPvRmT2_T3_mT4_P12ihipStream_tbEUlT_E_NS1_11comp_targetILNS1_3genE3ELNS1_11target_archE908ELNS1_3gpuE7ELNS1_3repE0EEENS1_30default_config_static_selectorELNS0_4arch9wavefront6targetE0EEEvT1_,comdat
	.globl	_ZN7rocprim17ROCPRIM_400000_NS6detail17trampoline_kernelINS0_14default_configENS1_35adjacent_difference_config_selectorILb1ElEEZNS1_24adjacent_difference_implIS3_Lb1ELb0EPlS7_ZN2at6native12_GLOBAL__N_124unique_dim_cuda_templateIiEESt5tupleIJNS8_6TensorESD_SD_EERKSD_lbbbEUlllE1_EE10hipError_tPvRmT2_T3_mT4_P12ihipStream_tbEUlT_E_NS1_11comp_targetILNS1_3genE3ELNS1_11target_archE908ELNS1_3gpuE7ELNS1_3repE0EEENS1_30default_config_static_selectorELNS0_4arch9wavefront6targetE0EEEvT1_ ; -- Begin function _ZN7rocprim17ROCPRIM_400000_NS6detail17trampoline_kernelINS0_14default_configENS1_35adjacent_difference_config_selectorILb1ElEEZNS1_24adjacent_difference_implIS3_Lb1ELb0EPlS7_ZN2at6native12_GLOBAL__N_124unique_dim_cuda_templateIiEESt5tupleIJNS8_6TensorESD_SD_EERKSD_lbbbEUlllE1_EE10hipError_tPvRmT2_T3_mT4_P12ihipStream_tbEUlT_E_NS1_11comp_targetILNS1_3genE3ELNS1_11target_archE908ELNS1_3gpuE7ELNS1_3repE0EEENS1_30default_config_static_selectorELNS0_4arch9wavefront6targetE0EEEvT1_
	.p2align	8
	.type	_ZN7rocprim17ROCPRIM_400000_NS6detail17trampoline_kernelINS0_14default_configENS1_35adjacent_difference_config_selectorILb1ElEEZNS1_24adjacent_difference_implIS3_Lb1ELb0EPlS7_ZN2at6native12_GLOBAL__N_124unique_dim_cuda_templateIiEESt5tupleIJNS8_6TensorESD_SD_EERKSD_lbbbEUlllE1_EE10hipError_tPvRmT2_T3_mT4_P12ihipStream_tbEUlT_E_NS1_11comp_targetILNS1_3genE3ELNS1_11target_archE908ELNS1_3gpuE7ELNS1_3repE0EEENS1_30default_config_static_selectorELNS0_4arch9wavefront6targetE0EEEvT1_,@function
_ZN7rocprim17ROCPRIM_400000_NS6detail17trampoline_kernelINS0_14default_configENS1_35adjacent_difference_config_selectorILb1ElEEZNS1_24adjacent_difference_implIS3_Lb1ELb0EPlS7_ZN2at6native12_GLOBAL__N_124unique_dim_cuda_templateIiEESt5tupleIJNS8_6TensorESD_SD_EERKSD_lbbbEUlllE1_EE10hipError_tPvRmT2_T3_mT4_P12ihipStream_tbEUlT_E_NS1_11comp_targetILNS1_3genE3ELNS1_11target_archE908ELNS1_3gpuE7ELNS1_3repE0EEENS1_30default_config_static_selectorELNS0_4arch9wavefront6targetE0EEEvT1_: ; @_ZN7rocprim17ROCPRIM_400000_NS6detail17trampoline_kernelINS0_14default_configENS1_35adjacent_difference_config_selectorILb1ElEEZNS1_24adjacent_difference_implIS3_Lb1ELb0EPlS7_ZN2at6native12_GLOBAL__N_124unique_dim_cuda_templateIiEESt5tupleIJNS8_6TensorESD_SD_EERKSD_lbbbEUlllE1_EE10hipError_tPvRmT2_T3_mT4_P12ihipStream_tbEUlT_E_NS1_11comp_targetILNS1_3genE3ELNS1_11target_archE908ELNS1_3gpuE7ELNS1_3repE0EEENS1_30default_config_static_selectorELNS0_4arch9wavefront6targetE0EEEvT1_
; %bb.0:
	.section	.rodata,"a",@progbits
	.p2align	6, 0x0
	.amdhsa_kernel _ZN7rocprim17ROCPRIM_400000_NS6detail17trampoline_kernelINS0_14default_configENS1_35adjacent_difference_config_selectorILb1ElEEZNS1_24adjacent_difference_implIS3_Lb1ELb0EPlS7_ZN2at6native12_GLOBAL__N_124unique_dim_cuda_templateIiEESt5tupleIJNS8_6TensorESD_SD_EERKSD_lbbbEUlllE1_EE10hipError_tPvRmT2_T3_mT4_P12ihipStream_tbEUlT_E_NS1_11comp_targetILNS1_3genE3ELNS1_11target_archE908ELNS1_3gpuE7ELNS1_3repE0EEENS1_30default_config_static_selectorELNS0_4arch9wavefront6targetE0EEEvT1_
		.amdhsa_group_segment_fixed_size 0
		.amdhsa_private_segment_fixed_size 0
		.amdhsa_kernarg_size 64
		.amdhsa_user_sgpr_count 15
		.amdhsa_user_sgpr_dispatch_ptr 0
		.amdhsa_user_sgpr_queue_ptr 0
		.amdhsa_user_sgpr_kernarg_segment_ptr 1
		.amdhsa_user_sgpr_dispatch_id 0
		.amdhsa_user_sgpr_private_segment_size 0
		.amdhsa_wavefront_size32 1
		.amdhsa_uses_dynamic_stack 0
		.amdhsa_enable_private_segment 0
		.amdhsa_system_sgpr_workgroup_id_x 1
		.amdhsa_system_sgpr_workgroup_id_y 0
		.amdhsa_system_sgpr_workgroup_id_z 0
		.amdhsa_system_sgpr_workgroup_info 0
		.amdhsa_system_vgpr_workitem_id 0
		.amdhsa_next_free_vgpr 1
		.amdhsa_next_free_sgpr 1
		.amdhsa_reserve_vcc 0
		.amdhsa_float_round_mode_32 0
		.amdhsa_float_round_mode_16_64 0
		.amdhsa_float_denorm_mode_32 3
		.amdhsa_float_denorm_mode_16_64 3
		.amdhsa_dx10_clamp 1
		.amdhsa_ieee_mode 1
		.amdhsa_fp16_overflow 0
		.amdhsa_workgroup_processor_mode 1
		.amdhsa_memory_ordered 1
		.amdhsa_forward_progress 0
		.amdhsa_shared_vgpr_count 0
		.amdhsa_exception_fp_ieee_invalid_op 0
		.amdhsa_exception_fp_denorm_src 0
		.amdhsa_exception_fp_ieee_div_zero 0
		.amdhsa_exception_fp_ieee_overflow 0
		.amdhsa_exception_fp_ieee_underflow 0
		.amdhsa_exception_fp_ieee_inexact 0
		.amdhsa_exception_int_div_zero 0
	.end_amdhsa_kernel
	.section	.text._ZN7rocprim17ROCPRIM_400000_NS6detail17trampoline_kernelINS0_14default_configENS1_35adjacent_difference_config_selectorILb1ElEEZNS1_24adjacent_difference_implIS3_Lb1ELb0EPlS7_ZN2at6native12_GLOBAL__N_124unique_dim_cuda_templateIiEESt5tupleIJNS8_6TensorESD_SD_EERKSD_lbbbEUlllE1_EE10hipError_tPvRmT2_T3_mT4_P12ihipStream_tbEUlT_E_NS1_11comp_targetILNS1_3genE3ELNS1_11target_archE908ELNS1_3gpuE7ELNS1_3repE0EEENS1_30default_config_static_selectorELNS0_4arch9wavefront6targetE0EEEvT1_,"axG",@progbits,_ZN7rocprim17ROCPRIM_400000_NS6detail17trampoline_kernelINS0_14default_configENS1_35adjacent_difference_config_selectorILb1ElEEZNS1_24adjacent_difference_implIS3_Lb1ELb0EPlS7_ZN2at6native12_GLOBAL__N_124unique_dim_cuda_templateIiEESt5tupleIJNS8_6TensorESD_SD_EERKSD_lbbbEUlllE1_EE10hipError_tPvRmT2_T3_mT4_P12ihipStream_tbEUlT_E_NS1_11comp_targetILNS1_3genE3ELNS1_11target_archE908ELNS1_3gpuE7ELNS1_3repE0EEENS1_30default_config_static_selectorELNS0_4arch9wavefront6targetE0EEEvT1_,comdat
.Lfunc_end437:
	.size	_ZN7rocprim17ROCPRIM_400000_NS6detail17trampoline_kernelINS0_14default_configENS1_35adjacent_difference_config_selectorILb1ElEEZNS1_24adjacent_difference_implIS3_Lb1ELb0EPlS7_ZN2at6native12_GLOBAL__N_124unique_dim_cuda_templateIiEESt5tupleIJNS8_6TensorESD_SD_EERKSD_lbbbEUlllE1_EE10hipError_tPvRmT2_T3_mT4_P12ihipStream_tbEUlT_E_NS1_11comp_targetILNS1_3genE3ELNS1_11target_archE908ELNS1_3gpuE7ELNS1_3repE0EEENS1_30default_config_static_selectorELNS0_4arch9wavefront6targetE0EEEvT1_, .Lfunc_end437-_ZN7rocprim17ROCPRIM_400000_NS6detail17trampoline_kernelINS0_14default_configENS1_35adjacent_difference_config_selectorILb1ElEEZNS1_24adjacent_difference_implIS3_Lb1ELb0EPlS7_ZN2at6native12_GLOBAL__N_124unique_dim_cuda_templateIiEESt5tupleIJNS8_6TensorESD_SD_EERKSD_lbbbEUlllE1_EE10hipError_tPvRmT2_T3_mT4_P12ihipStream_tbEUlT_E_NS1_11comp_targetILNS1_3genE3ELNS1_11target_archE908ELNS1_3gpuE7ELNS1_3repE0EEENS1_30default_config_static_selectorELNS0_4arch9wavefront6targetE0EEEvT1_
                                        ; -- End function
	.section	.AMDGPU.csdata,"",@progbits
; Kernel info:
; codeLenInByte = 0
; NumSgprs: 0
; NumVgprs: 0
; ScratchSize: 0
; MemoryBound: 0
; FloatMode: 240
; IeeeMode: 1
; LDSByteSize: 0 bytes/workgroup (compile time only)
; SGPRBlocks: 0
; VGPRBlocks: 0
; NumSGPRsForWavesPerEU: 1
; NumVGPRsForWavesPerEU: 1
; Occupancy: 16
; WaveLimiterHint : 0
; COMPUTE_PGM_RSRC2:SCRATCH_EN: 0
; COMPUTE_PGM_RSRC2:USER_SGPR: 15
; COMPUTE_PGM_RSRC2:TRAP_HANDLER: 0
; COMPUTE_PGM_RSRC2:TGID_X_EN: 1
; COMPUTE_PGM_RSRC2:TGID_Y_EN: 0
; COMPUTE_PGM_RSRC2:TGID_Z_EN: 0
; COMPUTE_PGM_RSRC2:TIDIG_COMP_CNT: 0
	.section	.text._ZN7rocprim17ROCPRIM_400000_NS6detail17trampoline_kernelINS0_14default_configENS1_35adjacent_difference_config_selectorILb1ElEEZNS1_24adjacent_difference_implIS3_Lb1ELb0EPlS7_ZN2at6native12_GLOBAL__N_124unique_dim_cuda_templateIiEESt5tupleIJNS8_6TensorESD_SD_EERKSD_lbbbEUlllE1_EE10hipError_tPvRmT2_T3_mT4_P12ihipStream_tbEUlT_E_NS1_11comp_targetILNS1_3genE2ELNS1_11target_archE906ELNS1_3gpuE6ELNS1_3repE0EEENS1_30default_config_static_selectorELNS0_4arch9wavefront6targetE0EEEvT1_,"axG",@progbits,_ZN7rocprim17ROCPRIM_400000_NS6detail17trampoline_kernelINS0_14default_configENS1_35adjacent_difference_config_selectorILb1ElEEZNS1_24adjacent_difference_implIS3_Lb1ELb0EPlS7_ZN2at6native12_GLOBAL__N_124unique_dim_cuda_templateIiEESt5tupleIJNS8_6TensorESD_SD_EERKSD_lbbbEUlllE1_EE10hipError_tPvRmT2_T3_mT4_P12ihipStream_tbEUlT_E_NS1_11comp_targetILNS1_3genE2ELNS1_11target_archE906ELNS1_3gpuE6ELNS1_3repE0EEENS1_30default_config_static_selectorELNS0_4arch9wavefront6targetE0EEEvT1_,comdat
	.globl	_ZN7rocprim17ROCPRIM_400000_NS6detail17trampoline_kernelINS0_14default_configENS1_35adjacent_difference_config_selectorILb1ElEEZNS1_24adjacent_difference_implIS3_Lb1ELb0EPlS7_ZN2at6native12_GLOBAL__N_124unique_dim_cuda_templateIiEESt5tupleIJNS8_6TensorESD_SD_EERKSD_lbbbEUlllE1_EE10hipError_tPvRmT2_T3_mT4_P12ihipStream_tbEUlT_E_NS1_11comp_targetILNS1_3genE2ELNS1_11target_archE906ELNS1_3gpuE6ELNS1_3repE0EEENS1_30default_config_static_selectorELNS0_4arch9wavefront6targetE0EEEvT1_ ; -- Begin function _ZN7rocprim17ROCPRIM_400000_NS6detail17trampoline_kernelINS0_14default_configENS1_35adjacent_difference_config_selectorILb1ElEEZNS1_24adjacent_difference_implIS3_Lb1ELb0EPlS7_ZN2at6native12_GLOBAL__N_124unique_dim_cuda_templateIiEESt5tupleIJNS8_6TensorESD_SD_EERKSD_lbbbEUlllE1_EE10hipError_tPvRmT2_T3_mT4_P12ihipStream_tbEUlT_E_NS1_11comp_targetILNS1_3genE2ELNS1_11target_archE906ELNS1_3gpuE6ELNS1_3repE0EEENS1_30default_config_static_selectorELNS0_4arch9wavefront6targetE0EEEvT1_
	.p2align	8
	.type	_ZN7rocprim17ROCPRIM_400000_NS6detail17trampoline_kernelINS0_14default_configENS1_35adjacent_difference_config_selectorILb1ElEEZNS1_24adjacent_difference_implIS3_Lb1ELb0EPlS7_ZN2at6native12_GLOBAL__N_124unique_dim_cuda_templateIiEESt5tupleIJNS8_6TensorESD_SD_EERKSD_lbbbEUlllE1_EE10hipError_tPvRmT2_T3_mT4_P12ihipStream_tbEUlT_E_NS1_11comp_targetILNS1_3genE2ELNS1_11target_archE906ELNS1_3gpuE6ELNS1_3repE0EEENS1_30default_config_static_selectorELNS0_4arch9wavefront6targetE0EEEvT1_,@function
_ZN7rocprim17ROCPRIM_400000_NS6detail17trampoline_kernelINS0_14default_configENS1_35adjacent_difference_config_selectorILb1ElEEZNS1_24adjacent_difference_implIS3_Lb1ELb0EPlS7_ZN2at6native12_GLOBAL__N_124unique_dim_cuda_templateIiEESt5tupleIJNS8_6TensorESD_SD_EERKSD_lbbbEUlllE1_EE10hipError_tPvRmT2_T3_mT4_P12ihipStream_tbEUlT_E_NS1_11comp_targetILNS1_3genE2ELNS1_11target_archE906ELNS1_3gpuE6ELNS1_3repE0EEENS1_30default_config_static_selectorELNS0_4arch9wavefront6targetE0EEEvT1_: ; @_ZN7rocprim17ROCPRIM_400000_NS6detail17trampoline_kernelINS0_14default_configENS1_35adjacent_difference_config_selectorILb1ElEEZNS1_24adjacent_difference_implIS3_Lb1ELb0EPlS7_ZN2at6native12_GLOBAL__N_124unique_dim_cuda_templateIiEESt5tupleIJNS8_6TensorESD_SD_EERKSD_lbbbEUlllE1_EE10hipError_tPvRmT2_T3_mT4_P12ihipStream_tbEUlT_E_NS1_11comp_targetILNS1_3genE2ELNS1_11target_archE906ELNS1_3gpuE6ELNS1_3repE0EEENS1_30default_config_static_selectorELNS0_4arch9wavefront6targetE0EEEvT1_
; %bb.0:
	.section	.rodata,"a",@progbits
	.p2align	6, 0x0
	.amdhsa_kernel _ZN7rocprim17ROCPRIM_400000_NS6detail17trampoline_kernelINS0_14default_configENS1_35adjacent_difference_config_selectorILb1ElEEZNS1_24adjacent_difference_implIS3_Lb1ELb0EPlS7_ZN2at6native12_GLOBAL__N_124unique_dim_cuda_templateIiEESt5tupleIJNS8_6TensorESD_SD_EERKSD_lbbbEUlllE1_EE10hipError_tPvRmT2_T3_mT4_P12ihipStream_tbEUlT_E_NS1_11comp_targetILNS1_3genE2ELNS1_11target_archE906ELNS1_3gpuE6ELNS1_3repE0EEENS1_30default_config_static_selectorELNS0_4arch9wavefront6targetE0EEEvT1_
		.amdhsa_group_segment_fixed_size 0
		.amdhsa_private_segment_fixed_size 0
		.amdhsa_kernarg_size 64
		.amdhsa_user_sgpr_count 15
		.amdhsa_user_sgpr_dispatch_ptr 0
		.amdhsa_user_sgpr_queue_ptr 0
		.amdhsa_user_sgpr_kernarg_segment_ptr 1
		.amdhsa_user_sgpr_dispatch_id 0
		.amdhsa_user_sgpr_private_segment_size 0
		.amdhsa_wavefront_size32 1
		.amdhsa_uses_dynamic_stack 0
		.amdhsa_enable_private_segment 0
		.amdhsa_system_sgpr_workgroup_id_x 1
		.amdhsa_system_sgpr_workgroup_id_y 0
		.amdhsa_system_sgpr_workgroup_id_z 0
		.amdhsa_system_sgpr_workgroup_info 0
		.amdhsa_system_vgpr_workitem_id 0
		.amdhsa_next_free_vgpr 1
		.amdhsa_next_free_sgpr 1
		.amdhsa_reserve_vcc 0
		.amdhsa_float_round_mode_32 0
		.amdhsa_float_round_mode_16_64 0
		.amdhsa_float_denorm_mode_32 3
		.amdhsa_float_denorm_mode_16_64 3
		.amdhsa_dx10_clamp 1
		.amdhsa_ieee_mode 1
		.amdhsa_fp16_overflow 0
		.amdhsa_workgroup_processor_mode 1
		.amdhsa_memory_ordered 1
		.amdhsa_forward_progress 0
		.amdhsa_shared_vgpr_count 0
		.amdhsa_exception_fp_ieee_invalid_op 0
		.amdhsa_exception_fp_denorm_src 0
		.amdhsa_exception_fp_ieee_div_zero 0
		.amdhsa_exception_fp_ieee_overflow 0
		.amdhsa_exception_fp_ieee_underflow 0
		.amdhsa_exception_fp_ieee_inexact 0
		.amdhsa_exception_int_div_zero 0
	.end_amdhsa_kernel
	.section	.text._ZN7rocprim17ROCPRIM_400000_NS6detail17trampoline_kernelINS0_14default_configENS1_35adjacent_difference_config_selectorILb1ElEEZNS1_24adjacent_difference_implIS3_Lb1ELb0EPlS7_ZN2at6native12_GLOBAL__N_124unique_dim_cuda_templateIiEESt5tupleIJNS8_6TensorESD_SD_EERKSD_lbbbEUlllE1_EE10hipError_tPvRmT2_T3_mT4_P12ihipStream_tbEUlT_E_NS1_11comp_targetILNS1_3genE2ELNS1_11target_archE906ELNS1_3gpuE6ELNS1_3repE0EEENS1_30default_config_static_selectorELNS0_4arch9wavefront6targetE0EEEvT1_,"axG",@progbits,_ZN7rocprim17ROCPRIM_400000_NS6detail17trampoline_kernelINS0_14default_configENS1_35adjacent_difference_config_selectorILb1ElEEZNS1_24adjacent_difference_implIS3_Lb1ELb0EPlS7_ZN2at6native12_GLOBAL__N_124unique_dim_cuda_templateIiEESt5tupleIJNS8_6TensorESD_SD_EERKSD_lbbbEUlllE1_EE10hipError_tPvRmT2_T3_mT4_P12ihipStream_tbEUlT_E_NS1_11comp_targetILNS1_3genE2ELNS1_11target_archE906ELNS1_3gpuE6ELNS1_3repE0EEENS1_30default_config_static_selectorELNS0_4arch9wavefront6targetE0EEEvT1_,comdat
.Lfunc_end438:
	.size	_ZN7rocprim17ROCPRIM_400000_NS6detail17trampoline_kernelINS0_14default_configENS1_35adjacent_difference_config_selectorILb1ElEEZNS1_24adjacent_difference_implIS3_Lb1ELb0EPlS7_ZN2at6native12_GLOBAL__N_124unique_dim_cuda_templateIiEESt5tupleIJNS8_6TensorESD_SD_EERKSD_lbbbEUlllE1_EE10hipError_tPvRmT2_T3_mT4_P12ihipStream_tbEUlT_E_NS1_11comp_targetILNS1_3genE2ELNS1_11target_archE906ELNS1_3gpuE6ELNS1_3repE0EEENS1_30default_config_static_selectorELNS0_4arch9wavefront6targetE0EEEvT1_, .Lfunc_end438-_ZN7rocprim17ROCPRIM_400000_NS6detail17trampoline_kernelINS0_14default_configENS1_35adjacent_difference_config_selectorILb1ElEEZNS1_24adjacent_difference_implIS3_Lb1ELb0EPlS7_ZN2at6native12_GLOBAL__N_124unique_dim_cuda_templateIiEESt5tupleIJNS8_6TensorESD_SD_EERKSD_lbbbEUlllE1_EE10hipError_tPvRmT2_T3_mT4_P12ihipStream_tbEUlT_E_NS1_11comp_targetILNS1_3genE2ELNS1_11target_archE906ELNS1_3gpuE6ELNS1_3repE0EEENS1_30default_config_static_selectorELNS0_4arch9wavefront6targetE0EEEvT1_
                                        ; -- End function
	.section	.AMDGPU.csdata,"",@progbits
; Kernel info:
; codeLenInByte = 0
; NumSgprs: 0
; NumVgprs: 0
; ScratchSize: 0
; MemoryBound: 0
; FloatMode: 240
; IeeeMode: 1
; LDSByteSize: 0 bytes/workgroup (compile time only)
; SGPRBlocks: 0
; VGPRBlocks: 0
; NumSGPRsForWavesPerEU: 1
; NumVGPRsForWavesPerEU: 1
; Occupancy: 16
; WaveLimiterHint : 0
; COMPUTE_PGM_RSRC2:SCRATCH_EN: 0
; COMPUTE_PGM_RSRC2:USER_SGPR: 15
; COMPUTE_PGM_RSRC2:TRAP_HANDLER: 0
; COMPUTE_PGM_RSRC2:TGID_X_EN: 1
; COMPUTE_PGM_RSRC2:TGID_Y_EN: 0
; COMPUTE_PGM_RSRC2:TGID_Z_EN: 0
; COMPUTE_PGM_RSRC2:TIDIG_COMP_CNT: 0
	.section	.text._ZN7rocprim17ROCPRIM_400000_NS6detail17trampoline_kernelINS0_14default_configENS1_35adjacent_difference_config_selectorILb1ElEEZNS1_24adjacent_difference_implIS3_Lb1ELb0EPlS7_ZN2at6native12_GLOBAL__N_124unique_dim_cuda_templateIiEESt5tupleIJNS8_6TensorESD_SD_EERKSD_lbbbEUlllE1_EE10hipError_tPvRmT2_T3_mT4_P12ihipStream_tbEUlT_E_NS1_11comp_targetILNS1_3genE9ELNS1_11target_archE1100ELNS1_3gpuE3ELNS1_3repE0EEENS1_30default_config_static_selectorELNS0_4arch9wavefront6targetE0EEEvT1_,"axG",@progbits,_ZN7rocprim17ROCPRIM_400000_NS6detail17trampoline_kernelINS0_14default_configENS1_35adjacent_difference_config_selectorILb1ElEEZNS1_24adjacent_difference_implIS3_Lb1ELb0EPlS7_ZN2at6native12_GLOBAL__N_124unique_dim_cuda_templateIiEESt5tupleIJNS8_6TensorESD_SD_EERKSD_lbbbEUlllE1_EE10hipError_tPvRmT2_T3_mT4_P12ihipStream_tbEUlT_E_NS1_11comp_targetILNS1_3genE9ELNS1_11target_archE1100ELNS1_3gpuE3ELNS1_3repE0EEENS1_30default_config_static_selectorELNS0_4arch9wavefront6targetE0EEEvT1_,comdat
	.globl	_ZN7rocprim17ROCPRIM_400000_NS6detail17trampoline_kernelINS0_14default_configENS1_35adjacent_difference_config_selectorILb1ElEEZNS1_24adjacent_difference_implIS3_Lb1ELb0EPlS7_ZN2at6native12_GLOBAL__N_124unique_dim_cuda_templateIiEESt5tupleIJNS8_6TensorESD_SD_EERKSD_lbbbEUlllE1_EE10hipError_tPvRmT2_T3_mT4_P12ihipStream_tbEUlT_E_NS1_11comp_targetILNS1_3genE9ELNS1_11target_archE1100ELNS1_3gpuE3ELNS1_3repE0EEENS1_30default_config_static_selectorELNS0_4arch9wavefront6targetE0EEEvT1_ ; -- Begin function _ZN7rocprim17ROCPRIM_400000_NS6detail17trampoline_kernelINS0_14default_configENS1_35adjacent_difference_config_selectorILb1ElEEZNS1_24adjacent_difference_implIS3_Lb1ELb0EPlS7_ZN2at6native12_GLOBAL__N_124unique_dim_cuda_templateIiEESt5tupleIJNS8_6TensorESD_SD_EERKSD_lbbbEUlllE1_EE10hipError_tPvRmT2_T3_mT4_P12ihipStream_tbEUlT_E_NS1_11comp_targetILNS1_3genE9ELNS1_11target_archE1100ELNS1_3gpuE3ELNS1_3repE0EEENS1_30default_config_static_selectorELNS0_4arch9wavefront6targetE0EEEvT1_
	.p2align	8
	.type	_ZN7rocprim17ROCPRIM_400000_NS6detail17trampoline_kernelINS0_14default_configENS1_35adjacent_difference_config_selectorILb1ElEEZNS1_24adjacent_difference_implIS3_Lb1ELb0EPlS7_ZN2at6native12_GLOBAL__N_124unique_dim_cuda_templateIiEESt5tupleIJNS8_6TensorESD_SD_EERKSD_lbbbEUlllE1_EE10hipError_tPvRmT2_T3_mT4_P12ihipStream_tbEUlT_E_NS1_11comp_targetILNS1_3genE9ELNS1_11target_archE1100ELNS1_3gpuE3ELNS1_3repE0EEENS1_30default_config_static_selectorELNS0_4arch9wavefront6targetE0EEEvT1_,@function
_ZN7rocprim17ROCPRIM_400000_NS6detail17trampoline_kernelINS0_14default_configENS1_35adjacent_difference_config_selectorILb1ElEEZNS1_24adjacent_difference_implIS3_Lb1ELb0EPlS7_ZN2at6native12_GLOBAL__N_124unique_dim_cuda_templateIiEESt5tupleIJNS8_6TensorESD_SD_EERKSD_lbbbEUlllE1_EE10hipError_tPvRmT2_T3_mT4_P12ihipStream_tbEUlT_E_NS1_11comp_targetILNS1_3genE9ELNS1_11target_archE1100ELNS1_3gpuE3ELNS1_3repE0EEENS1_30default_config_static_selectorELNS0_4arch9wavefront6targetE0EEEvT1_: ; @_ZN7rocprim17ROCPRIM_400000_NS6detail17trampoline_kernelINS0_14default_configENS1_35adjacent_difference_config_selectorILb1ElEEZNS1_24adjacent_difference_implIS3_Lb1ELb0EPlS7_ZN2at6native12_GLOBAL__N_124unique_dim_cuda_templateIiEESt5tupleIJNS8_6TensorESD_SD_EERKSD_lbbbEUlllE1_EE10hipError_tPvRmT2_T3_mT4_P12ihipStream_tbEUlT_E_NS1_11comp_targetILNS1_3genE9ELNS1_11target_archE1100ELNS1_3gpuE3ELNS1_3repE0EEENS1_30default_config_static_selectorELNS0_4arch9wavefront6targetE0EEEvT1_
; %bb.0:
	s_mov_b32 s22, s15
	s_load_b512 s[0:15], s[0:1], 0x0
	s_waitcnt lgkmcnt(0)
	s_lshl_b64 s[16:17], s[2:3], 3
	s_mov_b32 s2, 0x411a7a30
	s_add_u32 s27, s0, s16
	s_addc_u32 s28, s1, s17
	s_add_u32 s0, 0x76, s2
	s_addc_u32 s1, 0, 0
	v_add_co_u32 v1, s0, 0x20000000, s0
	s_delay_alu instid0(VALU_DEP_1) | instskip(SKIP_1) | instid1(VALU_DEP_1)
	s_cmp_lg_u32 s0, 0
	s_addc_u32 s1, s1, 0x11a7b9
	v_readfirstlane_b32 s0, v1
	s_mul_i32 s2, s1, 0xfffff180
	s_delay_alu instid0(VALU_DEP_1)
	s_mul_hi_u32 s3, s0, 0xfffff180
	s_mul_i32 s18, s0, 0xfffff180
	s_sub_i32 s3, s3, s0
	s_mul_hi_u32 s19, s0, s18
	s_add_i32 s3, s3, s2
	s_mul_hi_u32 s20, s1, s18
	s_mul_i32 s2, s1, s18
	s_mul_hi_u32 s18, s0, s3
	s_mul_i32 s0, s0, s3
	s_mul_hi_u32 s21, s1, s3
	s_add_u32 s0, s19, s0
	s_addc_u32 s18, 0, s18
	s_add_u32 s0, s0, s2
	s_mul_i32 s3, s1, s3
	s_addc_u32 s0, s18, s20
	s_addc_u32 s2, s21, 0
	s_add_u32 s0, s0, s3
	s_addc_u32 s2, 0, s2
	v_add_co_u32 v1, s0, v1, s0
	s_delay_alu instid0(VALU_DEP_1) | instskip(SKIP_1) | instid1(VALU_DEP_1)
	s_cmp_lg_u32 s0, 0
	s_addc_u32 s0, s1, s2
	v_readfirstlane_b32 s1, v1
	s_mul_i32 s3, s6, s0
	s_mul_hi_u32 s2, s6, s0
	s_mul_hi_u32 s18, s7, s0
	s_mul_i32 s0, s7, s0
	s_mul_hi_u32 s19, s6, s1
	s_mul_hi_u32 s20, s7, s1
	s_mul_i32 s1, s7, s1
	s_add_u32 s3, s19, s3
	s_addc_u32 s2, 0, s2
	s_add_u32 s1, s3, s1
	s_addc_u32 s1, s2, s20
	s_addc_u32 s2, s18, 0
	s_add_u32 s0, s1, s0
	s_addc_u32 s1, 0, s2
	s_mul_i32 s3, s0, 0xe80
	s_add_u32 s2, s0, 1
	v_sub_co_u32 v1, s3, s6, s3
	s_mul_hi_u32 s18, s0, 0xe80
	s_addc_u32 s19, s1, 0
	s_mul_i32 s20, s1, 0xe80
	s_delay_alu instid0(VALU_DEP_1)
	v_subrev_co_u32 v2, s21, 0xe80, v1
	s_add_u32 s23, s0, 2
	s_addc_u32 s24, s1, 0
	s_add_i32 s18, s18, s20
	s_cmp_lg_u32 s3, 0
	v_readfirstlane_b32 s3, v2
	s_subb_u32 s18, s7, s18
	s_cmp_lg_u32 s21, 0
	s_subb_u32 s20, s18, 0
	s_delay_alu instid0(VALU_DEP_1) | instskip(SKIP_4) | instid1(SALU_CYCLE_1)
	s_cmpk_gt_u32 s3, 0xe7f
	s_cselect_b32 s3, -1, 0
	s_cmp_eq_u32 s20, 0
	v_readfirstlane_b32 s20, v1
	s_cselect_b32 s3, s3, -1
	s_cmp_lg_u32 s3, 0
	s_cselect_b32 s2, s23, s2
	s_cselect_b32 s3, s24, s19
	s_cmpk_gt_u32 s20, 0xe7f
	s_mov_b32 s23, 0
	s_cselect_b32 s19, -1, 0
	s_cmp_eq_u32 s18, 0
	s_cselect_b32 s18, s19, -1
	s_delay_alu instid0(SALU_CYCLE_1)
	s_cmp_lg_u32 s18, 0
	s_cselect_b32 s3, s3, s1
	s_cselect_b32 s2, s2, s0
	s_mul_i32 s0, s3, 0xe80
	s_mul_hi_u32 s1, s2, 0xe80
	s_mul_i32 s18, s2, 0xe80
	s_add_i32 s1, s1, s0
	s_sub_u32 s0, s6, s18
	s_subb_u32 s1, s7, s1
	s_delay_alu instid0(SALU_CYCLE_1) | instskip(SKIP_1) | instid1(SALU_CYCLE_1)
	s_cmp_lg_u64 s[0:1], 0
	s_cselect_b32 s0, -1, 0
	v_cndmask_b32_e64 v1, 0, 1, s0
	s_delay_alu instid0(VALU_DEP_1) | instskip(NEXT) | instid1(VALU_DEP_1)
	v_readfirstlane_b32 s0, v1
	s_add_u32 s18, s2, s0
	s_addc_u32 s19, s3, 0
	s_add_u32 s20, s14, s22
	s_addc_u32 s21, s15, 0
	s_add_u32 s0, s18, -1
	s_addc_u32 s1, s19, -1
	s_mul_i32 s2, s22, 0xe80
	v_cmp_ge_u64_e64 s26, s[20:21], s[0:1]
	s_mov_b32 s3, -1
	s_mul_i32 s7, s0, 0xfffff180
	s_delay_alu instid0(VALU_DEP_1)
	s_and_b32 vcc_lo, exec_lo, s26
	s_cbranch_vccz .LBB439_60
; %bb.1:
	s_mov_b32 s3, s23
	s_add_i32 s29, s7, s6
	s_lshl_b64 s[24:25], s[2:3], 3
	s_mov_b32 s3, exec_lo
	s_add_u32 s24, s27, s24
	s_addc_u32 s25, s28, s25
                                        ; implicit-def: $vgpr1_vgpr2
	v_cmpx_gt_u32_e64 s29, v0
	s_cbranch_execz .LBB439_3
; %bb.2:
	v_lshlrev_b32_e32 v1, 3, v0
	global_load_b64 v[1:2], v1, s[24:25]
.LBB439_3:
	s_or_b32 exec_lo, exec_lo, s3
	v_or_b32_e32 v3, 0x80, v0
	s_delay_alu instid0(VALU_DEP_1)
	v_cmp_gt_u32_e32 vcc_lo, s29, v3
                                        ; implicit-def: $vgpr3_vgpr4
	s_and_saveexec_b32 s3, vcc_lo
	s_cbranch_execz .LBB439_5
; %bb.4:
	v_lshlrev_b32_e32 v3, 3, v0
	global_load_b64 v[3:4], v3, s[24:25] offset:1024
.LBB439_5:
	s_or_b32 exec_lo, exec_lo, s3
	v_or_b32_e32 v5, 0x100, v0
	s_delay_alu instid0(VALU_DEP_1)
	v_cmp_gt_u32_e32 vcc_lo, s29, v5
                                        ; implicit-def: $vgpr5_vgpr6
	s_and_saveexec_b32 s3, vcc_lo
	s_cbranch_execz .LBB439_7
; %bb.6:
	v_lshlrev_b32_e32 v5, 3, v0
	global_load_b64 v[5:6], v5, s[24:25] offset:2048
.LBB439_7:
	s_or_b32 exec_lo, exec_lo, s3
	v_or_b32_e32 v7, 0x180, v0
	s_delay_alu instid0(VALU_DEP_1)
	v_cmp_gt_u32_e32 vcc_lo, s29, v7
                                        ; implicit-def: $vgpr7_vgpr8
	s_and_saveexec_b32 s3, vcc_lo
	s_cbranch_execz .LBB439_9
; %bb.8:
	v_lshlrev_b32_e32 v7, 3, v0
	global_load_b64 v[7:8], v7, s[24:25] offset:3072
.LBB439_9:
	s_or_b32 exec_lo, exec_lo, s3
	v_or_b32_e32 v11, 0x200, v0
	s_mov_b32 s3, exec_lo
                                        ; implicit-def: $vgpr9_vgpr10
	s_delay_alu instid0(VALU_DEP_1)
	v_cmpx_gt_u32_e64 s29, v11
	s_cbranch_execz .LBB439_11
; %bb.10:
	v_lshlrev_b32_e32 v9, 3, v11
	global_load_b64 v[9:10], v9, s[24:25]
.LBB439_11:
	s_or_b32 exec_lo, exec_lo, s3
	v_or_b32_e32 v13, 0x280, v0
	s_mov_b32 s3, exec_lo
                                        ; implicit-def: $vgpr11_vgpr12
	s_delay_alu instid0(VALU_DEP_1)
	v_cmpx_gt_u32_e64 s29, v13
	s_cbranch_execz .LBB439_13
; %bb.12:
	v_lshlrev_b32_e32 v11, 3, v13
	global_load_b64 v[11:12], v11, s[24:25]
.LBB439_13:
	s_or_b32 exec_lo, exec_lo, s3
	v_or_b32_e32 v15, 0x300, v0
	s_mov_b32 s3, exec_lo
                                        ; implicit-def: $vgpr13_vgpr14
	s_delay_alu instid0(VALU_DEP_1)
	v_cmpx_gt_u32_e64 s29, v15
	s_cbranch_execz .LBB439_15
; %bb.14:
	v_lshlrev_b32_e32 v13, 3, v15
	global_load_b64 v[13:14], v13, s[24:25]
.LBB439_15:
	s_or_b32 exec_lo, exec_lo, s3
	v_or_b32_e32 v17, 0x380, v0
	s_mov_b32 s3, exec_lo
                                        ; implicit-def: $vgpr15_vgpr16
	s_delay_alu instid0(VALU_DEP_1)
	v_cmpx_gt_u32_e64 s29, v17
	s_cbranch_execz .LBB439_17
; %bb.16:
	v_lshlrev_b32_e32 v15, 3, v17
	global_load_b64 v[15:16], v15, s[24:25]
.LBB439_17:
	s_or_b32 exec_lo, exec_lo, s3
	v_or_b32_e32 v19, 0x400, v0
	s_mov_b32 s3, exec_lo
                                        ; implicit-def: $vgpr17_vgpr18
	s_delay_alu instid0(VALU_DEP_1)
	v_cmpx_gt_u32_e64 s29, v19
	s_cbranch_execz .LBB439_19
; %bb.18:
	v_lshlrev_b32_e32 v17, 3, v19
	global_load_b64 v[17:18], v17, s[24:25]
.LBB439_19:
	s_or_b32 exec_lo, exec_lo, s3
	v_or_b32_e32 v21, 0x480, v0
	s_mov_b32 s3, exec_lo
                                        ; implicit-def: $vgpr19_vgpr20
	s_delay_alu instid0(VALU_DEP_1)
	v_cmpx_gt_u32_e64 s29, v21
	s_cbranch_execz .LBB439_21
; %bb.20:
	v_lshlrev_b32_e32 v19, 3, v21
	global_load_b64 v[19:20], v19, s[24:25]
.LBB439_21:
	s_or_b32 exec_lo, exec_lo, s3
	v_or_b32_e32 v23, 0x500, v0
	s_mov_b32 s3, exec_lo
                                        ; implicit-def: $vgpr21_vgpr22
	s_delay_alu instid0(VALU_DEP_1)
	v_cmpx_gt_u32_e64 s29, v23
	s_cbranch_execz .LBB439_23
; %bb.22:
	v_lshlrev_b32_e32 v21, 3, v23
	global_load_b64 v[21:22], v21, s[24:25]
.LBB439_23:
	s_or_b32 exec_lo, exec_lo, s3
	v_or_b32_e32 v25, 0x580, v0
	s_mov_b32 s3, exec_lo
                                        ; implicit-def: $vgpr23_vgpr24
	s_delay_alu instid0(VALU_DEP_1)
	v_cmpx_gt_u32_e64 s29, v25
	s_cbranch_execz .LBB439_25
; %bb.24:
	v_lshlrev_b32_e32 v23, 3, v25
	global_load_b64 v[23:24], v23, s[24:25]
.LBB439_25:
	s_or_b32 exec_lo, exec_lo, s3
	v_or_b32_e32 v27, 0x600, v0
	s_mov_b32 s3, exec_lo
                                        ; implicit-def: $vgpr25_vgpr26
	s_delay_alu instid0(VALU_DEP_1)
	v_cmpx_gt_u32_e64 s29, v27
	s_cbranch_execz .LBB439_27
; %bb.26:
	v_lshlrev_b32_e32 v25, 3, v27
	global_load_b64 v[25:26], v25, s[24:25]
.LBB439_27:
	s_or_b32 exec_lo, exec_lo, s3
	v_or_b32_e32 v29, 0x680, v0
	s_mov_b32 s3, exec_lo
                                        ; implicit-def: $vgpr27_vgpr28
	s_delay_alu instid0(VALU_DEP_1)
	v_cmpx_gt_u32_e64 s29, v29
	s_cbranch_execz .LBB439_29
; %bb.28:
	v_lshlrev_b32_e32 v27, 3, v29
	global_load_b64 v[27:28], v27, s[24:25]
.LBB439_29:
	s_or_b32 exec_lo, exec_lo, s3
	v_or_b32_e32 v31, 0x700, v0
	s_mov_b32 s3, exec_lo
                                        ; implicit-def: $vgpr29_vgpr30
	s_delay_alu instid0(VALU_DEP_1)
	v_cmpx_gt_u32_e64 s29, v31
	s_cbranch_execz .LBB439_31
; %bb.30:
	v_lshlrev_b32_e32 v29, 3, v31
	global_load_b64 v[29:30], v29, s[24:25]
.LBB439_31:
	s_or_b32 exec_lo, exec_lo, s3
	v_or_b32_e32 v33, 0x780, v0
	s_mov_b32 s3, exec_lo
                                        ; implicit-def: $vgpr31_vgpr32
	s_delay_alu instid0(VALU_DEP_1)
	v_cmpx_gt_u32_e64 s29, v33
	s_cbranch_execz .LBB439_33
; %bb.32:
	v_lshlrev_b32_e32 v31, 3, v33
	global_load_b64 v[31:32], v31, s[24:25]
.LBB439_33:
	s_or_b32 exec_lo, exec_lo, s3
	v_or_b32_e32 v35, 0x800, v0
	s_mov_b32 s3, exec_lo
                                        ; implicit-def: $vgpr33_vgpr34
	s_delay_alu instid0(VALU_DEP_1)
	v_cmpx_gt_u32_e64 s29, v35
	s_cbranch_execz .LBB439_35
; %bb.34:
	v_lshlrev_b32_e32 v33, 3, v35
	global_load_b64 v[33:34], v33, s[24:25]
.LBB439_35:
	s_or_b32 exec_lo, exec_lo, s3
	v_or_b32_e32 v37, 0x880, v0
	s_mov_b32 s3, exec_lo
                                        ; implicit-def: $vgpr35_vgpr36
	s_delay_alu instid0(VALU_DEP_1)
	v_cmpx_gt_u32_e64 s29, v37
	s_cbranch_execz .LBB439_37
; %bb.36:
	v_lshlrev_b32_e32 v35, 3, v37
	global_load_b64 v[35:36], v35, s[24:25]
.LBB439_37:
	s_or_b32 exec_lo, exec_lo, s3
	v_or_b32_e32 v39, 0x900, v0
	s_mov_b32 s3, exec_lo
                                        ; implicit-def: $vgpr37_vgpr38
	s_delay_alu instid0(VALU_DEP_1)
	v_cmpx_gt_u32_e64 s29, v39
	s_cbranch_execz .LBB439_39
; %bb.38:
	v_lshlrev_b32_e32 v37, 3, v39
	global_load_b64 v[37:38], v37, s[24:25]
.LBB439_39:
	s_or_b32 exec_lo, exec_lo, s3
	v_or_b32_e32 v41, 0x980, v0
	s_mov_b32 s3, exec_lo
                                        ; implicit-def: $vgpr39_vgpr40
	s_delay_alu instid0(VALU_DEP_1)
	v_cmpx_gt_u32_e64 s29, v41
	s_cbranch_execz .LBB439_41
; %bb.40:
	v_lshlrev_b32_e32 v39, 3, v41
	global_load_b64 v[39:40], v39, s[24:25]
.LBB439_41:
	s_or_b32 exec_lo, exec_lo, s3
	v_or_b32_e32 v43, 0xa00, v0
	s_mov_b32 s3, exec_lo
                                        ; implicit-def: $vgpr41_vgpr42
	s_delay_alu instid0(VALU_DEP_1)
	v_cmpx_gt_u32_e64 s29, v43
	s_cbranch_execz .LBB439_43
; %bb.42:
	v_lshlrev_b32_e32 v41, 3, v43
	global_load_b64 v[41:42], v41, s[24:25]
.LBB439_43:
	s_or_b32 exec_lo, exec_lo, s3
	v_or_b32_e32 v45, 0xa80, v0
	s_mov_b32 s3, exec_lo
                                        ; implicit-def: $vgpr43_vgpr44
	s_delay_alu instid0(VALU_DEP_1)
	v_cmpx_gt_u32_e64 s29, v45
	s_cbranch_execz .LBB439_45
; %bb.44:
	v_lshlrev_b32_e32 v43, 3, v45
	global_load_b64 v[43:44], v43, s[24:25]
.LBB439_45:
	s_or_b32 exec_lo, exec_lo, s3
	v_or_b32_e32 v47, 0xb00, v0
	s_mov_b32 s3, exec_lo
                                        ; implicit-def: $vgpr45_vgpr46
	s_delay_alu instid0(VALU_DEP_1)
	v_cmpx_gt_u32_e64 s29, v47
	s_cbranch_execz .LBB439_47
; %bb.46:
	v_lshlrev_b32_e32 v45, 3, v47
	global_load_b64 v[45:46], v45, s[24:25]
.LBB439_47:
	s_or_b32 exec_lo, exec_lo, s3
	v_or_b32_e32 v49, 0xb80, v0
	s_mov_b32 s3, exec_lo
                                        ; implicit-def: $vgpr47_vgpr48
	s_delay_alu instid0(VALU_DEP_1)
	v_cmpx_gt_u32_e64 s29, v49
	s_cbranch_execz .LBB439_49
; %bb.48:
	v_lshlrev_b32_e32 v47, 3, v49
	global_load_b64 v[47:48], v47, s[24:25]
.LBB439_49:
	s_or_b32 exec_lo, exec_lo, s3
	v_or_b32_e32 v51, 0xc00, v0
	s_mov_b32 s3, exec_lo
                                        ; implicit-def: $vgpr49_vgpr50
	s_delay_alu instid0(VALU_DEP_1)
	v_cmpx_gt_u32_e64 s29, v51
	s_cbranch_execz .LBB439_51
; %bb.50:
	v_lshlrev_b32_e32 v49, 3, v51
	global_load_b64 v[49:50], v49, s[24:25]
.LBB439_51:
	s_or_b32 exec_lo, exec_lo, s3
	v_or_b32_e32 v53, 0xc80, v0
	s_mov_b32 s3, exec_lo
                                        ; implicit-def: $vgpr51_vgpr52
	s_delay_alu instid0(VALU_DEP_1)
	v_cmpx_gt_u32_e64 s29, v53
	s_cbranch_execz .LBB439_53
; %bb.52:
	v_lshlrev_b32_e32 v51, 3, v53
	global_load_b64 v[51:52], v51, s[24:25]
.LBB439_53:
	s_or_b32 exec_lo, exec_lo, s3
	v_or_b32_e32 v55, 0xd00, v0
	s_mov_b32 s3, exec_lo
                                        ; implicit-def: $vgpr53_vgpr54
	s_delay_alu instid0(VALU_DEP_1)
	v_cmpx_gt_u32_e64 s29, v55
	s_cbranch_execz .LBB439_55
; %bb.54:
	v_lshlrev_b32_e32 v53, 3, v55
	global_load_b64 v[53:54], v53, s[24:25]
.LBB439_55:
	s_or_b32 exec_lo, exec_lo, s3
	v_or_b32_e32 v57, 0xd80, v0
	s_mov_b32 s3, exec_lo
                                        ; implicit-def: $vgpr55_vgpr56
	s_delay_alu instid0(VALU_DEP_1)
	v_cmpx_gt_u32_e64 s29, v57
	s_cbranch_execz .LBB439_57
; %bb.56:
	v_lshlrev_b32_e32 v55, 3, v57
	global_load_b64 v[55:56], v55, s[24:25]
.LBB439_57:
	s_or_b32 exec_lo, exec_lo, s3
	v_or_b32_e32 v59, 0xe00, v0
	s_mov_b32 s3, exec_lo
                                        ; implicit-def: $vgpr57_vgpr58
	s_delay_alu instid0(VALU_DEP_1)
	v_cmpx_gt_u32_e64 s29, v59
	s_cbranch_execz .LBB439_59
; %bb.58:
	v_lshlrev_b32_e32 v57, 3, v59
	global_load_b64 v[57:58], v57, s[24:25]
.LBB439_59:
	s_or_b32 exec_lo, exec_lo, s3
	v_lshlrev_b32_e32 v59, 3, v0
	s_mov_b32 s3, 0
	s_waitcnt vmcnt(0)
	ds_store_2addr_stride64_b64 v59, v[1:2], v[3:4] offset1:2
	ds_store_2addr_stride64_b64 v59, v[5:6], v[7:8] offset0:4 offset1:6
	ds_store_2addr_stride64_b64 v59, v[9:10], v[11:12] offset0:8 offset1:10
	;; [unrolled: 1-line block ×13, first 2 shown]
	ds_store_b64 v59, v[57:58] offset:28672
	s_waitcnt lgkmcnt(0)
	s_barrier
.LBB439_60:
	v_lshlrev_b32_e32 v195, 3, v0
	s_and_b32 vcc_lo, exec_lo, s3
	s_cbranch_vccz .LBB439_62
; %bb.61:
	s_mov_b32 s3, 0
	s_delay_alu instid0(SALU_CYCLE_1) | instskip(NEXT) | instid1(SALU_CYCLE_1)
	s_lshl_b64 s[24:25], s[2:3], 3
	s_add_u32 s24, s27, s24
	s_addc_u32 s25, s28, s25
	v_add_co_u32 v49, s3, s24, v195
	s_delay_alu instid0(VALU_DEP_1)
	v_add_co_ci_u32_e64 v50, null, s25, 0, s3
	s_clause 0x3
	global_load_b64 v[1:2], v195, s[24:25]
	global_load_b64 v[3:4], v195, s[24:25] offset:1024
	global_load_b64 v[5:6], v195, s[24:25] offset:2048
	;; [unrolled: 1-line block ×3, first 2 shown]
	v_add_co_u32 v9, vcc_lo, 0x1000, v49
	v_add_co_ci_u32_e32 v10, vcc_lo, 0, v50, vcc_lo
	v_add_co_u32 v11, vcc_lo, v49, 0x2000
	v_add_co_ci_u32_e32 v12, vcc_lo, 0, v50, vcc_lo
	;; [unrolled: 2-line block ×10, first 2 shown]
	s_clause 0x18
	global_load_b64 v[15:16], v[11:12], off offset:-4096
	global_load_b64 v[17:18], v[9:10], off offset:1024
	global_load_b64 v[19:20], v[9:10], off offset:2048
	;; [unrolled: 1-line block ×12, first 2 shown]
	global_load_b64 v[11:12], v[11:12], off
	global_load_b64 v[43:44], v[25:26], off offset:-4096
	global_load_b64 v[25:26], v[25:26], off
	global_load_b64 v[45:46], v[39:40], off offset:-4096
	global_load_b64 v[39:40], v[39:40], off
	global_load_b64 v[51:52], v[41:42], off offset:1024
	global_load_b64 v[53:54], v[41:42], off offset:2048
	;; [unrolled: 1-line block ×6, first 2 shown]
	global_load_b64 v[49:50], v[49:50], off
	s_waitcnt vmcnt(27)
	ds_store_2addr_stride64_b64 v195, v[1:2], v[3:4] offset1:2
	s_waitcnt vmcnt(25)
	ds_store_2addr_stride64_b64 v195, v[5:6], v[7:8] offset0:4 offset1:6
	s_waitcnt vmcnt(23)
	ds_store_2addr_stride64_b64 v195, v[15:16], v[17:18] offset0:8 offset1:10
	;; [unrolled: 2-line block ×4, first 2 shown]
	ds_store_2addr_stride64_b64 v195, v[29:30], v[13:14] offset0:20 offset1:22
	s_waitcnt vmcnt(10)
	ds_store_2addr_stride64_b64 v195, v[43:44], v[31:32] offset0:24 offset1:26
	ds_store_2addr_stride64_b64 v195, v[33:34], v[23:24] offset0:28 offset1:30
	s_waitcnt vmcnt(9)
	ds_store_2addr_stride64_b64 v195, v[25:26], v[35:36] offset0:32 offset1:34
	;; [unrolled: 3-line block ×3, first 2 shown]
	s_waitcnt vmcnt(4)
	ds_store_2addr_stride64_b64 v195, v[53:54], v[41:42] offset0:44 offset1:46
	s_waitcnt vmcnt(3)
	ds_store_2addr_stride64_b64 v195, v[39:40], v[55:56] offset0:48 offset1:50
	;; [unrolled: 2-line block ×3, first 2 shown]
	s_waitcnt vmcnt(0)
	ds_store_b64 v195, v[49:50] offset:28672
	s_waitcnt lgkmcnt(0)
	s_barrier
.LBB439_62:
	v_mul_u32_u24_e32 v1, 29, v0
	buffer_gl0_inv
	s_cmp_eq_u64 s[20:21], 0
	v_lshlrev_b32_e32 v53, 3, v1
	ds_load_b64 v[109:110], v53 offset:224
	ds_load_2addr_b64 v[5:8], v53 offset0:26 offset1:27
	ds_load_2addr_b64 v[9:12], v53 offset0:24 offset1:25
	ds_load_2addr_b64 v[1:4], v53 offset1:1
	ds_load_2addr_b64 v[13:16], v53 offset0:2 offset1:3
	ds_load_2addr_b64 v[17:20], v53 offset0:4 offset1:5
	;; [unrolled: 1-line block ×11, first 2 shown]
	s_waitcnt lgkmcnt(0)
	s_barrier
	buffer_gl0_inv
	s_cbranch_scc1 .LBB439_71
; %bb.63:
	s_lshl_b64 s[14:15], s[14:15], 3
	s_delay_alu instid0(SALU_CYCLE_1) | instskip(SKIP_2) | instid1(SALU_CYCLE_1)
	s_add_u32 s3, s12, s14
	s_addc_u32 s14, s13, s15
	s_lshl_b64 s[12:13], s[22:23], 3
	s_add_u32 s3, s3, s12
	s_addc_u32 s13, s14, s13
	s_add_u32 s12, s3, -8
	s_addc_u32 s13, s13, -1
	s_cmp_lg_u64 s[20:21], s[0:1]
	s_load_b64 s[12:13], s[12:13], 0x0
	s_cbranch_scc0 .LBB439_72
; %bb.64:
	v_mul_lo_u32 v59, v8, s8
	v_mul_lo_u32 v60, v7, s9
	v_mad_u64_u32 v[57:58], null, v7, s8, 0
	v_mov_b32_e32 v113, 0
	v_mov_b32_e32 v114, 0
	v_cmp_lt_i64_e64 s0, s[8:9], 1
	v_cmp_gt_i64_e64 s1, s[8:9], 0
	s_delay_alu instid0(VALU_DEP_4) | instskip(SKIP_4) | instid1(VALU_DEP_1)
	v_mov_b32_e32 v111, v113
	ds_store_b64 v195, v[109:110]
	v_mov_b32_e32 v112, v114
	v_add3_u32 v58, v58, v60, v59
	s_and_b32 vcc_lo, exec_lo, s0
	v_lshlrev_b64 v[57:58], 2, v[57:58]
	s_cbranch_vccnz .LBB439_76
; %bb.65:
	v_mul_lo_u32 v61, v110, s8
	v_mul_lo_u32 v62, v109, s9
	v_mad_u64_u32 v[59:60], null, v109, s8, 0
	v_mov_b32_e32 v111, 1
	v_mov_b32_e32 v112, 0
	s_mov_b32 s3, exec_lo
	s_delay_alu instid0(VALU_DEP_3) | instskip(NEXT) | instid1(VALU_DEP_1)
	v_add3_u32 v60, v60, v62, v61
	v_lshlrev_b64 v[59:60], 2, v[59:60]
	s_delay_alu instid0(VALU_DEP_1) | instskip(NEXT) | instid1(VALU_DEP_2)
	v_add_co_u32 v61, vcc_lo, s10, v59
	v_add_co_ci_u32_e32 v62, vcc_lo, s11, v60, vcc_lo
	v_add_co_u32 v59, vcc_lo, s10, v57
	v_add_co_ci_u32_e32 v60, vcc_lo, s11, v58, vcc_lo
	s_clause 0x1
	global_load_b32 v63, v[61:62], off
	global_load_b32 v64, v[59:60], off
	s_waitcnt vmcnt(0)
	v_cmpx_eq_u32_e64 v63, v64
	s_cbranch_execz .LBB439_75
; %bb.66:
	v_add_co_u32 v59, vcc_lo, v59, 4
	v_add_co_ci_u32_e32 v60, vcc_lo, 0, v60, vcc_lo
	v_add_co_u32 v61, vcc_lo, v61, 4
	v_add_co_ci_u32_e32 v62, vcc_lo, 0, v62, vcc_lo
	s_add_u32 s14, s8, -1
	s_addc_u32 s15, s9, -1
	s_mov_b64 s[22:23], 0
	s_mov_b32 s21, 0
                                        ; implicit-def: $sgpr24
	s_set_inst_prefetch_distance 0x1
	s_branch .LBB439_69
	.p2align	6
.LBB439_67:                             ;   in Loop: Header=BB439_69 Depth=1
	global_load_b32 v63, v[61:62], off
	global_load_b32 v64, v[59:60], off
	v_add_co_u32 v59, vcc_lo, v59, 4
	v_add_co_ci_u32_e32 v60, vcc_lo, 0, v60, vcc_lo
	v_add_co_u32 v61, s0, v61, 4
	s_delay_alu instid0(VALU_DEP_1)
	v_add_co_ci_u32_e64 v62, s0, 0, v62, s0
	s_add_u32 s22, s22, 1
	s_addc_u32 s23, s23, 0
	s_and_not1_b32 s0, s24, exec_lo
	s_waitcnt vmcnt(0)
	v_cmp_ne_u32_e32 vcc_lo, v63, v64
	s_and_b32 s24, vcc_lo, exec_lo
	s_delay_alu instid0(SALU_CYCLE_1)
	s_or_b32 s24, s0, s24
.LBB439_68:                             ;   in Loop: Header=BB439_69 Depth=1
	v_dual_mov_b32 v64, s23 :: v_dual_mov_b32 v63, s22
	s_and_b32 s0, exec_lo, s24
	s_delay_alu instid0(SALU_CYCLE_1) | instskip(NEXT) | instid1(SALU_CYCLE_1)
	s_or_b32 s21, s0, s21
	s_and_not1_b32 exec_lo, exec_lo, s21
	s_cbranch_execz .LBB439_74
.LBB439_69:                             ; =>This Inner Loop Header: Depth=1
	s_or_b32 s24, s24, exec_lo
	s_cmp_eq_u64 s[14:15], s[22:23]
	s_cbranch_scc0 .LBB439_67
; %bb.70:                               ;   in Loop: Header=BB439_69 Depth=1
	s_mov_b64 s[22:23], s[8:9]
                                        ; implicit-def: $vgpr59_vgpr60
                                        ; implicit-def: $vgpr61_vgpr62
	s_branch .LBB439_68
.LBB439_71:
	s_mov_b32 s1, 0
                                        ; implicit-def: $sgpr0
                                        ; implicit-def: $vgpr165_vgpr166
                                        ; implicit-def: $vgpr163_vgpr164
                                        ; implicit-def: $vgpr161_vgpr162
                                        ; implicit-def: $vgpr159_vgpr160
                                        ; implicit-def: $vgpr157_vgpr158
                                        ; implicit-def: $vgpr155_vgpr156
                                        ; implicit-def: $vgpr153_vgpr154
                                        ; implicit-def: $vgpr151_vgpr152
                                        ; implicit-def: $vgpr149_vgpr150
                                        ; implicit-def: $vgpr147_vgpr148
                                        ; implicit-def: $vgpr145_vgpr146
                                        ; implicit-def: $vgpr143_vgpr144
                                        ; implicit-def: $vgpr141_vgpr142
                                        ; implicit-def: $vgpr139_vgpr140
                                        ; implicit-def: $vgpr137_vgpr138
                                        ; implicit-def: $vgpr135_vgpr136
                                        ; implicit-def: $vgpr133_vgpr134
                                        ; implicit-def: $vgpr131_vgpr132
                                        ; implicit-def: $vgpr129_vgpr130
                                        ; implicit-def: $vgpr127_vgpr128
                                        ; implicit-def: $vgpr125_vgpr126
                                        ; implicit-def: $vgpr123_vgpr124
                                        ; implicit-def: $vgpr121_vgpr122
                                        ; implicit-def: $vgpr119_vgpr120
                                        ; implicit-def: $vgpr117_vgpr118
                                        ; implicit-def: $vgpr113_vgpr114
                                        ; implicit-def: $vgpr115_vgpr116
                                        ; implicit-def: $vgpr111_vgpr112
                                        ; implicit-def: $vgpr181_vgpr182
                                        ; implicit-def: $vgpr167_vgpr168
                                        ; implicit-def: $vgpr169_vgpr170
                                        ; implicit-def: $vgpr171_vgpr172
                                        ; implicit-def: $vgpr173_vgpr174
                                        ; implicit-def: $vgpr175_vgpr176
                                        ; implicit-def: $vgpr177_vgpr178
                                        ; implicit-def: $vgpr179_vgpr180
                                        ; implicit-def: $vgpr183_vgpr184
                                        ; implicit-def: $vgpr185_vgpr186
                                        ; implicit-def: $vgpr187_vgpr188
                                        ; implicit-def: $vgpr189_vgpr190
                                        ; implicit-def: $vgpr191_vgpr192
                                        ; implicit-def: $vgpr193_vgpr194
                                        ; implicit-def: $vgpr57_vgpr58_vgpr59_vgpr60
                                        ; implicit-def: $vgpr61_vgpr62_vgpr63_vgpr64
                                        ; implicit-def: $vgpr65_vgpr66_vgpr67_vgpr68
                                        ; implicit-def: $vgpr69_vgpr70_vgpr71_vgpr72
                                        ; implicit-def: $vgpr73_vgpr74_vgpr75_vgpr76
                                        ; implicit-def: $vgpr77_vgpr78_vgpr79_vgpr80
                                        ; implicit-def: $vgpr81_vgpr82_vgpr83_vgpr84
                                        ; implicit-def: $vgpr85_vgpr86_vgpr87_vgpr88
                                        ; implicit-def: $vgpr89_vgpr90_vgpr91_vgpr92
                                        ; implicit-def: $vgpr93_vgpr94_vgpr95_vgpr96
                                        ; implicit-def: $vgpr97_vgpr98_vgpr99_vgpr100
                                        ; implicit-def: $vgpr101_vgpr102_vgpr103_vgpr104
                                        ; implicit-def: $vgpr105_vgpr106_vgpr107_vgpr108
	s_cbranch_execnz .LBB439_655
	s_branch .LBB439_1243
.LBB439_72:
	s_mov_b32 s1, 0
                                        ; implicit-def: $sgpr0
                                        ; implicit-def: $vgpr165_vgpr166
                                        ; implicit-def: $vgpr163_vgpr164
                                        ; implicit-def: $vgpr161_vgpr162
                                        ; implicit-def: $vgpr159_vgpr160
                                        ; implicit-def: $vgpr157_vgpr158
                                        ; implicit-def: $vgpr155_vgpr156
                                        ; implicit-def: $vgpr153_vgpr154
                                        ; implicit-def: $vgpr151_vgpr152
                                        ; implicit-def: $vgpr149_vgpr150
                                        ; implicit-def: $vgpr147_vgpr148
                                        ; implicit-def: $vgpr145_vgpr146
                                        ; implicit-def: $vgpr143_vgpr144
                                        ; implicit-def: $vgpr141_vgpr142
                                        ; implicit-def: $vgpr139_vgpr140
                                        ; implicit-def: $vgpr137_vgpr138
                                        ; implicit-def: $vgpr135_vgpr136
                                        ; implicit-def: $vgpr133_vgpr134
                                        ; implicit-def: $vgpr131_vgpr132
                                        ; implicit-def: $vgpr129_vgpr130
                                        ; implicit-def: $vgpr127_vgpr128
                                        ; implicit-def: $vgpr125_vgpr126
                                        ; implicit-def: $vgpr123_vgpr124
                                        ; implicit-def: $vgpr121_vgpr122
                                        ; implicit-def: $vgpr119_vgpr120
                                        ; implicit-def: $vgpr117_vgpr118
                                        ; implicit-def: $vgpr113_vgpr114
                                        ; implicit-def: $vgpr115_vgpr116
                                        ; implicit-def: $vgpr111_vgpr112
	s_cbranch_execnz .LBB439_332
.LBB439_73:
                                        ; implicit-def: $vgpr181_vgpr182
                                        ; implicit-def: $vgpr167_vgpr168
                                        ; implicit-def: $vgpr169_vgpr170
                                        ; implicit-def: $vgpr171_vgpr172
                                        ; implicit-def: $vgpr173_vgpr174
                                        ; implicit-def: $vgpr175_vgpr176
                                        ; implicit-def: $vgpr177_vgpr178
                                        ; implicit-def: $vgpr179_vgpr180
                                        ; implicit-def: $vgpr183_vgpr184
                                        ; implicit-def: $vgpr185_vgpr186
                                        ; implicit-def: $vgpr187_vgpr188
                                        ; implicit-def: $vgpr189_vgpr190
                                        ; implicit-def: $vgpr191_vgpr192
                                        ; implicit-def: $vgpr193_vgpr194
                                        ; implicit-def: $vgpr57_vgpr58_vgpr59_vgpr60
                                        ; implicit-def: $vgpr61_vgpr62_vgpr63_vgpr64
                                        ; implicit-def: $vgpr65_vgpr66_vgpr67_vgpr68
                                        ; implicit-def: $vgpr69_vgpr70_vgpr71_vgpr72
                                        ; implicit-def: $vgpr73_vgpr74_vgpr75_vgpr76
                                        ; implicit-def: $vgpr77_vgpr78_vgpr79_vgpr80
                                        ; implicit-def: $vgpr81_vgpr82_vgpr83_vgpr84
                                        ; implicit-def: $vgpr85_vgpr86_vgpr87_vgpr88
                                        ; implicit-def: $vgpr89_vgpr90_vgpr91_vgpr92
                                        ; implicit-def: $vgpr93_vgpr94_vgpr95_vgpr96
                                        ; implicit-def: $vgpr97_vgpr98_vgpr99_vgpr100
                                        ; implicit-def: $vgpr101_vgpr102_vgpr103_vgpr104
                                        ; implicit-def: $vgpr105_vgpr106_vgpr107_vgpr108
	s_branch .LBB439_1243
.LBB439_74:
	s_set_inst_prefetch_distance 0x2
	s_or_b32 exec_lo, exec_lo, s21
	v_cmp_gt_i64_e32 vcc_lo, s[8:9], v[63:64]
	s_mov_b32 s0, 0
	s_delay_alu instid0(SALU_CYCLE_1)
	v_mov_b32_e32 v112, s0
	v_cndmask_b32_e64 v111, 0, 1, vcc_lo
.LBB439_75:
	s_or_b32 exec_lo, exec_lo, s3
.LBB439_76:
	v_mul_lo_u32 v61, v6, s8
	v_mul_lo_u32 v62, v5, s9
	v_mad_u64_u32 v[59:60], null, v5, s8, 0
	v_cndmask_b32_e64 v65, 0, 1, s1
	v_dual_mov_b32 v116, v114 :: v_dual_mov_b32 v115, v113
	s_and_not1_b32 vcc_lo, exec_lo, s1
	s_delay_alu instid0(VALU_DEP_3) | instskip(NEXT) | instid1(VALU_DEP_1)
	v_add3_u32 v60, v60, v62, v61
	v_lshlrev_b64 v[59:60], 2, v[59:60]
	s_cbranch_vccnz .LBB439_85
; %bb.77:
	v_add_co_u32 v61, vcc_lo, s10, v57
	v_add_co_ci_u32_e32 v62, vcc_lo, s11, v58, vcc_lo
	s_delay_alu instid0(VALU_DEP_3) | instskip(NEXT) | instid1(VALU_DEP_4)
	v_add_co_u32 v57, vcc_lo, s10, v59
	v_add_co_ci_u32_e32 v58, vcc_lo, s11, v60, vcc_lo
	v_mov_b32_e32 v115, 1
	s_clause 0x1
	global_load_b32 v63, v[61:62], off
	global_load_b32 v64, v[57:58], off
	v_mov_b32_e32 v116, 0
	s_mov_b32 s1, exec_lo
	s_waitcnt vmcnt(0)
	v_cmpx_eq_u32_e64 v63, v64
	s_cbranch_execz .LBB439_84
; %bb.78:
	v_add_co_u32 v57, vcc_lo, v57, 4
	v_add_co_ci_u32_e32 v58, vcc_lo, 0, v58, vcc_lo
	v_add_co_u32 v61, vcc_lo, v61, 4
	v_add_co_ci_u32_e32 v62, vcc_lo, 0, v62, vcc_lo
	s_add_u32 s14, s8, -1
	s_addc_u32 s15, s9, -1
	s_mov_b64 s[22:23], 0
	s_mov_b32 s3, 0
                                        ; implicit-def: $sgpr21
	s_set_inst_prefetch_distance 0x1
	s_branch .LBB439_81
	.p2align	6
.LBB439_79:                             ;   in Loop: Header=BB439_81 Depth=1
	global_load_b32 v63, v[61:62], off
	global_load_b32 v64, v[57:58], off
	v_add_co_u32 v57, vcc_lo, v57, 4
	v_add_co_ci_u32_e32 v58, vcc_lo, 0, v58, vcc_lo
	v_add_co_u32 v61, s0, v61, 4
	s_delay_alu instid0(VALU_DEP_1)
	v_add_co_ci_u32_e64 v62, s0, 0, v62, s0
	s_add_u32 s22, s22, 1
	s_addc_u32 s23, s23, 0
	s_and_not1_b32 s0, s21, exec_lo
	s_waitcnt vmcnt(0)
	v_cmp_ne_u32_e32 vcc_lo, v63, v64
	s_and_b32 s21, vcc_lo, exec_lo
	s_delay_alu instid0(SALU_CYCLE_1)
	s_or_b32 s21, s0, s21
.LBB439_80:                             ;   in Loop: Header=BB439_81 Depth=1
	v_dual_mov_b32 v64, s23 :: v_dual_mov_b32 v63, s22
	s_and_b32 s0, exec_lo, s21
	s_delay_alu instid0(SALU_CYCLE_1) | instskip(NEXT) | instid1(SALU_CYCLE_1)
	s_or_b32 s3, s0, s3
	s_and_not1_b32 exec_lo, exec_lo, s3
	s_cbranch_execz .LBB439_83
.LBB439_81:                             ; =>This Inner Loop Header: Depth=1
	s_or_b32 s21, s21, exec_lo
	s_cmp_eq_u64 s[14:15], s[22:23]
	s_cbranch_scc0 .LBB439_79
; %bb.82:                               ;   in Loop: Header=BB439_81 Depth=1
	s_mov_b64 s[22:23], s[8:9]
                                        ; implicit-def: $vgpr57_vgpr58
                                        ; implicit-def: $vgpr61_vgpr62
	s_branch .LBB439_80
.LBB439_83:
	s_set_inst_prefetch_distance 0x2
	s_or_b32 exec_lo, exec_lo, s3
	v_cmp_gt_i64_e32 vcc_lo, s[8:9], v[63:64]
	s_mov_b32 s0, 0
	s_delay_alu instid0(SALU_CYCLE_1)
	v_mov_b32_e32 v116, s0
	v_cndmask_b32_e64 v115, 0, 1, vcc_lo
.LBB439_84:
	s_or_b32 exec_lo, exec_lo, s1
.LBB439_85:
	v_mul_lo_u32 v61, v12, s8
	v_mul_lo_u32 v62, v11, s9
	v_mad_u64_u32 v[57:58], null, v11, s8, 0
	v_cmp_ne_u32_e32 vcc_lo, 1, v65
	s_delay_alu instid0(VALU_DEP_2) | instskip(NEXT) | instid1(VALU_DEP_1)
	v_add3_u32 v58, v58, v62, v61
	v_lshlrev_b64 v[57:58], 2, v[57:58]
	s_cbranch_vccnz .LBB439_94
; %bb.86:
	v_add_co_u32 v61, vcc_lo, s10, v59
	v_add_co_ci_u32_e32 v62, vcc_lo, s11, v60, vcc_lo
	s_delay_alu instid0(VALU_DEP_3) | instskip(NEXT) | instid1(VALU_DEP_4)
	v_add_co_u32 v59, vcc_lo, s10, v57
	v_add_co_ci_u32_e32 v60, vcc_lo, s11, v58, vcc_lo
	v_mov_b32_e32 v113, 1
	s_clause 0x1
	global_load_b32 v63, v[61:62], off
	global_load_b32 v64, v[59:60], off
	v_mov_b32_e32 v114, 0
	s_mov_b32 s1, exec_lo
	s_waitcnt vmcnt(0)
	v_cmpx_eq_u32_e64 v63, v64
	s_cbranch_execz .LBB439_93
; %bb.87:
	v_add_co_u32 v59, vcc_lo, v59, 4
	v_add_co_ci_u32_e32 v60, vcc_lo, 0, v60, vcc_lo
	v_add_co_u32 v61, vcc_lo, v61, 4
	v_add_co_ci_u32_e32 v62, vcc_lo, 0, v62, vcc_lo
	s_add_u32 s14, s8, -1
	s_addc_u32 s15, s9, -1
	s_mov_b64 s[22:23], 0
	s_mov_b32 s3, 0
                                        ; implicit-def: $sgpr21
	s_set_inst_prefetch_distance 0x1
	s_branch .LBB439_90
	.p2align	6
.LBB439_88:                             ;   in Loop: Header=BB439_90 Depth=1
	global_load_b32 v63, v[61:62], off
	global_load_b32 v64, v[59:60], off
	v_add_co_u32 v59, vcc_lo, v59, 4
	v_add_co_ci_u32_e32 v60, vcc_lo, 0, v60, vcc_lo
	v_add_co_u32 v61, s0, v61, 4
	s_delay_alu instid0(VALU_DEP_1)
	v_add_co_ci_u32_e64 v62, s0, 0, v62, s0
	s_add_u32 s22, s22, 1
	s_addc_u32 s23, s23, 0
	s_and_not1_b32 s0, s21, exec_lo
	s_waitcnt vmcnt(0)
	v_cmp_ne_u32_e32 vcc_lo, v63, v64
	s_and_b32 s21, vcc_lo, exec_lo
	s_delay_alu instid0(SALU_CYCLE_1)
	s_or_b32 s21, s0, s21
.LBB439_89:                             ;   in Loop: Header=BB439_90 Depth=1
	v_dual_mov_b32 v64, s23 :: v_dual_mov_b32 v63, s22
	s_and_b32 s0, exec_lo, s21
	s_delay_alu instid0(SALU_CYCLE_1) | instskip(NEXT) | instid1(SALU_CYCLE_1)
	s_or_b32 s3, s0, s3
	s_and_not1_b32 exec_lo, exec_lo, s3
	s_cbranch_execz .LBB439_92
.LBB439_90:                             ; =>This Inner Loop Header: Depth=1
	s_or_b32 s21, s21, exec_lo
	s_cmp_eq_u64 s[14:15], s[22:23]
	s_cbranch_scc0 .LBB439_88
; %bb.91:                               ;   in Loop: Header=BB439_90 Depth=1
	s_mov_b64 s[22:23], s[8:9]
                                        ; implicit-def: $vgpr59_vgpr60
                                        ; implicit-def: $vgpr61_vgpr62
	s_branch .LBB439_89
.LBB439_92:
	s_set_inst_prefetch_distance 0x2
	s_or_b32 exec_lo, exec_lo, s3
	v_cmp_gt_i64_e32 vcc_lo, s[8:9], v[63:64]
	s_mov_b32 s0, 0
	s_delay_alu instid0(SALU_CYCLE_1)
	v_mov_b32_e32 v114, s0
	v_cndmask_b32_e64 v113, 0, 1, vcc_lo
.LBB439_93:
	s_or_b32 exec_lo, exec_lo, s1
.LBB439_94:
	v_mul_lo_u32 v61, v10, s8
	v_mul_lo_u32 v62, v9, s9
	v_mad_u64_u32 v[59:60], null, v9, s8, 0
	v_mov_b32_e32 v119, 0
	v_mov_b32_e32 v120, 0
	v_cmp_ne_u32_e32 vcc_lo, 1, v65
	s_delay_alu instid0(VALU_DEP_2) | instskip(SKIP_1) | instid1(VALU_DEP_1)
	v_dual_mov_b32 v117, v119 :: v_dual_mov_b32 v118, v120
	v_add3_u32 v60, v60, v62, v61
	v_lshlrev_b64 v[59:60], 2, v[59:60]
	s_cbranch_vccnz .LBB439_103
; %bb.95:
	v_add_co_u32 v61, vcc_lo, s10, v57
	v_add_co_ci_u32_e32 v62, vcc_lo, s11, v58, vcc_lo
	s_delay_alu instid0(VALU_DEP_3) | instskip(NEXT) | instid1(VALU_DEP_4)
	v_add_co_u32 v57, vcc_lo, s10, v59
	v_add_co_ci_u32_e32 v58, vcc_lo, s11, v60, vcc_lo
	v_mov_b32_e32 v117, 1
	s_clause 0x1
	global_load_b32 v63, v[61:62], off
	global_load_b32 v64, v[57:58], off
	v_mov_b32_e32 v118, 0
	s_mov_b32 s1, exec_lo
	s_waitcnt vmcnt(0)
	v_cmpx_eq_u32_e64 v63, v64
	s_cbranch_execz .LBB439_102
; %bb.96:
	v_add_co_u32 v57, vcc_lo, v57, 4
	v_add_co_ci_u32_e32 v58, vcc_lo, 0, v58, vcc_lo
	v_add_co_u32 v61, vcc_lo, v61, 4
	v_add_co_ci_u32_e32 v62, vcc_lo, 0, v62, vcc_lo
	s_add_u32 s14, s8, -1
	s_addc_u32 s15, s9, -1
	s_mov_b64 s[22:23], 0
	s_mov_b32 s3, 0
                                        ; implicit-def: $sgpr21
	s_set_inst_prefetch_distance 0x1
	s_branch .LBB439_99
	.p2align	6
.LBB439_97:                             ;   in Loop: Header=BB439_99 Depth=1
	global_load_b32 v63, v[61:62], off
	global_load_b32 v64, v[57:58], off
	v_add_co_u32 v57, vcc_lo, v57, 4
	v_add_co_ci_u32_e32 v58, vcc_lo, 0, v58, vcc_lo
	v_add_co_u32 v61, s0, v61, 4
	s_delay_alu instid0(VALU_DEP_1)
	v_add_co_ci_u32_e64 v62, s0, 0, v62, s0
	s_add_u32 s22, s22, 1
	s_addc_u32 s23, s23, 0
	s_and_not1_b32 s0, s21, exec_lo
	s_waitcnt vmcnt(0)
	v_cmp_ne_u32_e32 vcc_lo, v63, v64
	s_and_b32 s21, vcc_lo, exec_lo
	s_delay_alu instid0(SALU_CYCLE_1)
	s_or_b32 s21, s0, s21
.LBB439_98:                             ;   in Loop: Header=BB439_99 Depth=1
	v_dual_mov_b32 v64, s23 :: v_dual_mov_b32 v63, s22
	s_and_b32 s0, exec_lo, s21
	s_delay_alu instid0(SALU_CYCLE_1) | instskip(NEXT) | instid1(SALU_CYCLE_1)
	s_or_b32 s3, s0, s3
	s_and_not1_b32 exec_lo, exec_lo, s3
	s_cbranch_execz .LBB439_101
.LBB439_99:                             ; =>This Inner Loop Header: Depth=1
	s_or_b32 s21, s21, exec_lo
	s_cmp_eq_u64 s[14:15], s[22:23]
	s_cbranch_scc0 .LBB439_97
; %bb.100:                              ;   in Loop: Header=BB439_99 Depth=1
	s_mov_b64 s[22:23], s[8:9]
                                        ; implicit-def: $vgpr57_vgpr58
                                        ; implicit-def: $vgpr61_vgpr62
	s_branch .LBB439_98
.LBB439_101:
	s_set_inst_prefetch_distance 0x2
	s_or_b32 exec_lo, exec_lo, s3
	v_cmp_gt_i64_e32 vcc_lo, s[8:9], v[63:64]
	s_mov_b32 s0, 0
	s_delay_alu instid0(SALU_CYCLE_1)
	v_mov_b32_e32 v118, s0
	v_cndmask_b32_e64 v117, 0, 1, vcc_lo
.LBB439_102:
	s_or_b32 exec_lo, exec_lo, s1
.LBB439_103:
	v_mul_lo_u32 v61, v56, s8
	v_mul_lo_u32 v62, v55, s9
	v_mad_u64_u32 v[57:58], null, v55, s8, 0
	v_cmp_ne_u32_e32 vcc_lo, 1, v65
	s_delay_alu instid0(VALU_DEP_2) | instskip(NEXT) | instid1(VALU_DEP_1)
	v_add3_u32 v58, v58, v62, v61
	v_lshlrev_b64 v[57:58], 2, v[57:58]
	s_cbranch_vccnz .LBB439_112
; %bb.104:
	v_add_co_u32 v61, vcc_lo, s10, v59
	v_add_co_ci_u32_e32 v62, vcc_lo, s11, v60, vcc_lo
	s_delay_alu instid0(VALU_DEP_3) | instskip(NEXT) | instid1(VALU_DEP_4)
	v_add_co_u32 v59, vcc_lo, s10, v57
	v_add_co_ci_u32_e32 v60, vcc_lo, s11, v58, vcc_lo
	v_mov_b32_e32 v119, 1
	s_clause 0x1
	global_load_b32 v63, v[61:62], off
	global_load_b32 v64, v[59:60], off
	v_mov_b32_e32 v120, 0
	s_mov_b32 s1, exec_lo
	s_waitcnt vmcnt(0)
	v_cmpx_eq_u32_e64 v63, v64
	s_cbranch_execz .LBB439_111
; %bb.105:
	v_add_co_u32 v59, vcc_lo, v59, 4
	v_add_co_ci_u32_e32 v60, vcc_lo, 0, v60, vcc_lo
	v_add_co_u32 v61, vcc_lo, v61, 4
	v_add_co_ci_u32_e32 v62, vcc_lo, 0, v62, vcc_lo
	s_add_u32 s14, s8, -1
	s_addc_u32 s15, s9, -1
	s_mov_b64 s[22:23], 0
	s_mov_b32 s3, 0
                                        ; implicit-def: $sgpr21
	s_set_inst_prefetch_distance 0x1
	s_branch .LBB439_108
	.p2align	6
.LBB439_106:                            ;   in Loop: Header=BB439_108 Depth=1
	global_load_b32 v63, v[61:62], off
	global_load_b32 v64, v[59:60], off
	v_add_co_u32 v59, vcc_lo, v59, 4
	v_add_co_ci_u32_e32 v60, vcc_lo, 0, v60, vcc_lo
	v_add_co_u32 v61, s0, v61, 4
	s_delay_alu instid0(VALU_DEP_1)
	v_add_co_ci_u32_e64 v62, s0, 0, v62, s0
	s_add_u32 s22, s22, 1
	s_addc_u32 s23, s23, 0
	s_and_not1_b32 s0, s21, exec_lo
	s_waitcnt vmcnt(0)
	v_cmp_ne_u32_e32 vcc_lo, v63, v64
	s_and_b32 s21, vcc_lo, exec_lo
	s_delay_alu instid0(SALU_CYCLE_1)
	s_or_b32 s21, s0, s21
.LBB439_107:                            ;   in Loop: Header=BB439_108 Depth=1
	v_dual_mov_b32 v64, s23 :: v_dual_mov_b32 v63, s22
	s_and_b32 s0, exec_lo, s21
	s_delay_alu instid0(SALU_CYCLE_1) | instskip(NEXT) | instid1(SALU_CYCLE_1)
	s_or_b32 s3, s0, s3
	s_and_not1_b32 exec_lo, exec_lo, s3
	s_cbranch_execz .LBB439_110
.LBB439_108:                            ; =>This Inner Loop Header: Depth=1
	s_or_b32 s21, s21, exec_lo
	s_cmp_eq_u64 s[14:15], s[22:23]
	s_cbranch_scc0 .LBB439_106
; %bb.109:                              ;   in Loop: Header=BB439_108 Depth=1
	s_mov_b64 s[22:23], s[8:9]
                                        ; implicit-def: $vgpr59_vgpr60
                                        ; implicit-def: $vgpr61_vgpr62
	s_branch .LBB439_107
.LBB439_110:
	s_set_inst_prefetch_distance 0x2
	s_or_b32 exec_lo, exec_lo, s3
	v_cmp_gt_i64_e32 vcc_lo, s[8:9], v[63:64]
	s_mov_b32 s0, 0
	s_delay_alu instid0(SALU_CYCLE_1)
	v_mov_b32_e32 v120, s0
	v_cndmask_b32_e64 v119, 0, 1, vcc_lo
.LBB439_111:
	s_or_b32 exec_lo, exec_lo, s1
.LBB439_112:
	v_mul_lo_u32 v61, v54, s8
	v_mul_lo_u32 v62, v53, s9
	v_mad_u64_u32 v[59:60], null, v53, s8, 0
	v_mov_b32_e32 v123, 0
	v_mov_b32_e32 v124, 0
	v_cmp_ne_u32_e32 vcc_lo, 1, v65
	s_delay_alu instid0(VALU_DEP_2) | instskip(SKIP_1) | instid1(VALU_DEP_1)
	v_dual_mov_b32 v121, v123 :: v_dual_mov_b32 v122, v124
	v_add3_u32 v60, v60, v62, v61
	v_lshlrev_b64 v[59:60], 2, v[59:60]
	s_cbranch_vccnz .LBB439_121
; %bb.113:
	v_add_co_u32 v61, vcc_lo, s10, v57
	v_add_co_ci_u32_e32 v62, vcc_lo, s11, v58, vcc_lo
	s_delay_alu instid0(VALU_DEP_3) | instskip(NEXT) | instid1(VALU_DEP_4)
	v_add_co_u32 v57, vcc_lo, s10, v59
	v_add_co_ci_u32_e32 v58, vcc_lo, s11, v60, vcc_lo
	v_mov_b32_e32 v121, 1
	s_clause 0x1
	global_load_b32 v63, v[61:62], off
	global_load_b32 v64, v[57:58], off
	v_mov_b32_e32 v122, 0
	s_mov_b32 s1, exec_lo
	s_waitcnt vmcnt(0)
	v_cmpx_eq_u32_e64 v63, v64
	s_cbranch_execz .LBB439_120
; %bb.114:
	v_add_co_u32 v57, vcc_lo, v57, 4
	v_add_co_ci_u32_e32 v58, vcc_lo, 0, v58, vcc_lo
	v_add_co_u32 v61, vcc_lo, v61, 4
	v_add_co_ci_u32_e32 v62, vcc_lo, 0, v62, vcc_lo
	s_add_u32 s14, s8, -1
	s_addc_u32 s15, s9, -1
	s_mov_b64 s[22:23], 0
	s_mov_b32 s3, 0
                                        ; implicit-def: $sgpr21
	s_set_inst_prefetch_distance 0x1
	s_branch .LBB439_117
	.p2align	6
.LBB439_115:                            ;   in Loop: Header=BB439_117 Depth=1
	global_load_b32 v63, v[61:62], off
	global_load_b32 v64, v[57:58], off
	v_add_co_u32 v57, vcc_lo, v57, 4
	v_add_co_ci_u32_e32 v58, vcc_lo, 0, v58, vcc_lo
	v_add_co_u32 v61, s0, v61, 4
	s_delay_alu instid0(VALU_DEP_1)
	v_add_co_ci_u32_e64 v62, s0, 0, v62, s0
	s_add_u32 s22, s22, 1
	s_addc_u32 s23, s23, 0
	s_and_not1_b32 s0, s21, exec_lo
	s_waitcnt vmcnt(0)
	v_cmp_ne_u32_e32 vcc_lo, v63, v64
	s_and_b32 s21, vcc_lo, exec_lo
	s_delay_alu instid0(SALU_CYCLE_1)
	s_or_b32 s21, s0, s21
.LBB439_116:                            ;   in Loop: Header=BB439_117 Depth=1
	v_dual_mov_b32 v64, s23 :: v_dual_mov_b32 v63, s22
	s_and_b32 s0, exec_lo, s21
	s_delay_alu instid0(SALU_CYCLE_1) | instskip(NEXT) | instid1(SALU_CYCLE_1)
	s_or_b32 s3, s0, s3
	s_and_not1_b32 exec_lo, exec_lo, s3
	s_cbranch_execz .LBB439_119
.LBB439_117:                            ; =>This Inner Loop Header: Depth=1
	s_or_b32 s21, s21, exec_lo
	s_cmp_eq_u64 s[14:15], s[22:23]
	s_cbranch_scc0 .LBB439_115
; %bb.118:                              ;   in Loop: Header=BB439_117 Depth=1
	s_mov_b64 s[22:23], s[8:9]
                                        ; implicit-def: $vgpr57_vgpr58
                                        ; implicit-def: $vgpr61_vgpr62
	s_branch .LBB439_116
.LBB439_119:
	s_set_inst_prefetch_distance 0x2
	s_or_b32 exec_lo, exec_lo, s3
	v_cmp_gt_i64_e32 vcc_lo, s[8:9], v[63:64]
	s_mov_b32 s0, 0
	s_delay_alu instid0(SALU_CYCLE_1)
	v_mov_b32_e32 v122, s0
	v_cndmask_b32_e64 v121, 0, 1, vcc_lo
.LBB439_120:
	s_or_b32 exec_lo, exec_lo, s1
.LBB439_121:
	v_mul_lo_u32 v61, v52, s8
	v_mul_lo_u32 v62, v51, s9
	v_mad_u64_u32 v[57:58], null, v51, s8, 0
	v_cmp_ne_u32_e32 vcc_lo, 1, v65
	s_delay_alu instid0(VALU_DEP_2) | instskip(NEXT) | instid1(VALU_DEP_1)
	v_add3_u32 v58, v58, v62, v61
	v_lshlrev_b64 v[57:58], 2, v[57:58]
	s_cbranch_vccnz .LBB439_130
; %bb.122:
	v_add_co_u32 v61, vcc_lo, s10, v59
	v_add_co_ci_u32_e32 v62, vcc_lo, s11, v60, vcc_lo
	s_delay_alu instid0(VALU_DEP_3) | instskip(NEXT) | instid1(VALU_DEP_4)
	v_add_co_u32 v59, vcc_lo, s10, v57
	v_add_co_ci_u32_e32 v60, vcc_lo, s11, v58, vcc_lo
	v_mov_b32_e32 v123, 1
	s_clause 0x1
	global_load_b32 v63, v[61:62], off
	global_load_b32 v64, v[59:60], off
	v_mov_b32_e32 v124, 0
	s_mov_b32 s1, exec_lo
	s_waitcnt vmcnt(0)
	v_cmpx_eq_u32_e64 v63, v64
	s_cbranch_execz .LBB439_129
; %bb.123:
	v_add_co_u32 v59, vcc_lo, v59, 4
	v_add_co_ci_u32_e32 v60, vcc_lo, 0, v60, vcc_lo
	v_add_co_u32 v61, vcc_lo, v61, 4
	v_add_co_ci_u32_e32 v62, vcc_lo, 0, v62, vcc_lo
	s_add_u32 s14, s8, -1
	s_addc_u32 s15, s9, -1
	s_mov_b64 s[22:23], 0
	s_mov_b32 s3, 0
                                        ; implicit-def: $sgpr21
	s_set_inst_prefetch_distance 0x1
	s_branch .LBB439_126
	.p2align	6
.LBB439_124:                            ;   in Loop: Header=BB439_126 Depth=1
	global_load_b32 v63, v[61:62], off
	global_load_b32 v64, v[59:60], off
	v_add_co_u32 v59, vcc_lo, v59, 4
	v_add_co_ci_u32_e32 v60, vcc_lo, 0, v60, vcc_lo
	v_add_co_u32 v61, s0, v61, 4
	s_delay_alu instid0(VALU_DEP_1)
	v_add_co_ci_u32_e64 v62, s0, 0, v62, s0
	s_add_u32 s22, s22, 1
	s_addc_u32 s23, s23, 0
	s_and_not1_b32 s0, s21, exec_lo
	s_waitcnt vmcnt(0)
	v_cmp_ne_u32_e32 vcc_lo, v63, v64
	s_and_b32 s21, vcc_lo, exec_lo
	s_delay_alu instid0(SALU_CYCLE_1)
	s_or_b32 s21, s0, s21
.LBB439_125:                            ;   in Loop: Header=BB439_126 Depth=1
	v_dual_mov_b32 v64, s23 :: v_dual_mov_b32 v63, s22
	s_and_b32 s0, exec_lo, s21
	s_delay_alu instid0(SALU_CYCLE_1) | instskip(NEXT) | instid1(SALU_CYCLE_1)
	s_or_b32 s3, s0, s3
	s_and_not1_b32 exec_lo, exec_lo, s3
	s_cbranch_execz .LBB439_128
.LBB439_126:                            ; =>This Inner Loop Header: Depth=1
	s_or_b32 s21, s21, exec_lo
	s_cmp_eq_u64 s[14:15], s[22:23]
	s_cbranch_scc0 .LBB439_124
; %bb.127:                              ;   in Loop: Header=BB439_126 Depth=1
	s_mov_b64 s[22:23], s[8:9]
                                        ; implicit-def: $vgpr59_vgpr60
                                        ; implicit-def: $vgpr61_vgpr62
	s_branch .LBB439_125
.LBB439_128:
	s_set_inst_prefetch_distance 0x2
	s_or_b32 exec_lo, exec_lo, s3
	v_cmp_gt_i64_e32 vcc_lo, s[8:9], v[63:64]
	s_mov_b32 s0, 0
	s_delay_alu instid0(SALU_CYCLE_1)
	v_mov_b32_e32 v124, s0
	v_cndmask_b32_e64 v123, 0, 1, vcc_lo
.LBB439_129:
	s_or_b32 exec_lo, exec_lo, s1
.LBB439_130:
	v_mul_lo_u32 v61, v50, s8
	v_mul_lo_u32 v62, v49, s9
	v_mad_u64_u32 v[59:60], null, v49, s8, 0
	v_mov_b32_e32 v127, 0
	v_mov_b32_e32 v128, 0
	v_cmp_ne_u32_e32 vcc_lo, 1, v65
	s_delay_alu instid0(VALU_DEP_2) | instskip(SKIP_1) | instid1(VALU_DEP_1)
	v_dual_mov_b32 v125, v127 :: v_dual_mov_b32 v126, v128
	v_add3_u32 v60, v60, v62, v61
	v_lshlrev_b64 v[59:60], 2, v[59:60]
	s_cbranch_vccnz .LBB439_139
; %bb.131:
	v_add_co_u32 v61, vcc_lo, s10, v57
	v_add_co_ci_u32_e32 v62, vcc_lo, s11, v58, vcc_lo
	s_delay_alu instid0(VALU_DEP_3) | instskip(NEXT) | instid1(VALU_DEP_4)
	v_add_co_u32 v57, vcc_lo, s10, v59
	v_add_co_ci_u32_e32 v58, vcc_lo, s11, v60, vcc_lo
	v_mov_b32_e32 v125, 1
	s_clause 0x1
	global_load_b32 v63, v[61:62], off
	global_load_b32 v64, v[57:58], off
	v_mov_b32_e32 v126, 0
	s_mov_b32 s1, exec_lo
	s_waitcnt vmcnt(0)
	v_cmpx_eq_u32_e64 v63, v64
	s_cbranch_execz .LBB439_138
; %bb.132:
	v_add_co_u32 v57, vcc_lo, v57, 4
	v_add_co_ci_u32_e32 v58, vcc_lo, 0, v58, vcc_lo
	v_add_co_u32 v61, vcc_lo, v61, 4
	v_add_co_ci_u32_e32 v62, vcc_lo, 0, v62, vcc_lo
	s_add_u32 s14, s8, -1
	s_addc_u32 s15, s9, -1
	s_mov_b64 s[22:23], 0
	s_mov_b32 s3, 0
                                        ; implicit-def: $sgpr21
	s_set_inst_prefetch_distance 0x1
	s_branch .LBB439_135
	.p2align	6
.LBB439_133:                            ;   in Loop: Header=BB439_135 Depth=1
	global_load_b32 v63, v[61:62], off
	global_load_b32 v64, v[57:58], off
	v_add_co_u32 v57, vcc_lo, v57, 4
	v_add_co_ci_u32_e32 v58, vcc_lo, 0, v58, vcc_lo
	v_add_co_u32 v61, s0, v61, 4
	s_delay_alu instid0(VALU_DEP_1)
	v_add_co_ci_u32_e64 v62, s0, 0, v62, s0
	s_add_u32 s22, s22, 1
	s_addc_u32 s23, s23, 0
	s_and_not1_b32 s0, s21, exec_lo
	s_waitcnt vmcnt(0)
	v_cmp_ne_u32_e32 vcc_lo, v63, v64
	s_and_b32 s21, vcc_lo, exec_lo
	s_delay_alu instid0(SALU_CYCLE_1)
	s_or_b32 s21, s0, s21
.LBB439_134:                            ;   in Loop: Header=BB439_135 Depth=1
	v_dual_mov_b32 v64, s23 :: v_dual_mov_b32 v63, s22
	s_and_b32 s0, exec_lo, s21
	s_delay_alu instid0(SALU_CYCLE_1) | instskip(NEXT) | instid1(SALU_CYCLE_1)
	s_or_b32 s3, s0, s3
	s_and_not1_b32 exec_lo, exec_lo, s3
	s_cbranch_execz .LBB439_137
.LBB439_135:                            ; =>This Inner Loop Header: Depth=1
	s_or_b32 s21, s21, exec_lo
	s_cmp_eq_u64 s[14:15], s[22:23]
	s_cbranch_scc0 .LBB439_133
; %bb.136:                              ;   in Loop: Header=BB439_135 Depth=1
	s_mov_b64 s[22:23], s[8:9]
                                        ; implicit-def: $vgpr57_vgpr58
                                        ; implicit-def: $vgpr61_vgpr62
	s_branch .LBB439_134
.LBB439_137:
	s_set_inst_prefetch_distance 0x2
	s_or_b32 exec_lo, exec_lo, s3
	v_cmp_gt_i64_e32 vcc_lo, s[8:9], v[63:64]
	s_mov_b32 s0, 0
	s_delay_alu instid0(SALU_CYCLE_1)
	v_mov_b32_e32 v126, s0
	v_cndmask_b32_e64 v125, 0, 1, vcc_lo
.LBB439_138:
	s_or_b32 exec_lo, exec_lo, s1
.LBB439_139:
	v_mul_lo_u32 v61, v48, s8
	v_mul_lo_u32 v62, v47, s9
	v_mad_u64_u32 v[57:58], null, v47, s8, 0
	v_cmp_ne_u32_e32 vcc_lo, 1, v65
	s_delay_alu instid0(VALU_DEP_2) | instskip(NEXT) | instid1(VALU_DEP_1)
	v_add3_u32 v58, v58, v62, v61
	v_lshlrev_b64 v[57:58], 2, v[57:58]
	s_cbranch_vccnz .LBB439_148
; %bb.140:
	v_add_co_u32 v61, vcc_lo, s10, v59
	v_add_co_ci_u32_e32 v62, vcc_lo, s11, v60, vcc_lo
	s_delay_alu instid0(VALU_DEP_3) | instskip(NEXT) | instid1(VALU_DEP_4)
	v_add_co_u32 v59, vcc_lo, s10, v57
	v_add_co_ci_u32_e32 v60, vcc_lo, s11, v58, vcc_lo
	v_mov_b32_e32 v127, 1
	s_clause 0x1
	global_load_b32 v63, v[61:62], off
	global_load_b32 v64, v[59:60], off
	v_mov_b32_e32 v128, 0
	s_mov_b32 s1, exec_lo
	s_waitcnt vmcnt(0)
	v_cmpx_eq_u32_e64 v63, v64
	s_cbranch_execz .LBB439_147
; %bb.141:
	v_add_co_u32 v59, vcc_lo, v59, 4
	v_add_co_ci_u32_e32 v60, vcc_lo, 0, v60, vcc_lo
	v_add_co_u32 v61, vcc_lo, v61, 4
	v_add_co_ci_u32_e32 v62, vcc_lo, 0, v62, vcc_lo
	s_add_u32 s14, s8, -1
	s_addc_u32 s15, s9, -1
	s_mov_b64 s[22:23], 0
	s_mov_b32 s3, 0
                                        ; implicit-def: $sgpr21
	s_set_inst_prefetch_distance 0x1
	s_branch .LBB439_144
	.p2align	6
.LBB439_142:                            ;   in Loop: Header=BB439_144 Depth=1
	global_load_b32 v63, v[61:62], off
	global_load_b32 v64, v[59:60], off
	v_add_co_u32 v59, vcc_lo, v59, 4
	v_add_co_ci_u32_e32 v60, vcc_lo, 0, v60, vcc_lo
	v_add_co_u32 v61, s0, v61, 4
	s_delay_alu instid0(VALU_DEP_1)
	v_add_co_ci_u32_e64 v62, s0, 0, v62, s0
	s_add_u32 s22, s22, 1
	s_addc_u32 s23, s23, 0
	s_and_not1_b32 s0, s21, exec_lo
	s_waitcnt vmcnt(0)
	v_cmp_ne_u32_e32 vcc_lo, v63, v64
	s_and_b32 s21, vcc_lo, exec_lo
	s_delay_alu instid0(SALU_CYCLE_1)
	s_or_b32 s21, s0, s21
.LBB439_143:                            ;   in Loop: Header=BB439_144 Depth=1
	v_dual_mov_b32 v64, s23 :: v_dual_mov_b32 v63, s22
	s_and_b32 s0, exec_lo, s21
	s_delay_alu instid0(SALU_CYCLE_1) | instskip(NEXT) | instid1(SALU_CYCLE_1)
	s_or_b32 s3, s0, s3
	s_and_not1_b32 exec_lo, exec_lo, s3
	s_cbranch_execz .LBB439_146
.LBB439_144:                            ; =>This Inner Loop Header: Depth=1
	s_or_b32 s21, s21, exec_lo
	s_cmp_eq_u64 s[14:15], s[22:23]
	s_cbranch_scc0 .LBB439_142
; %bb.145:                              ;   in Loop: Header=BB439_144 Depth=1
	s_mov_b64 s[22:23], s[8:9]
                                        ; implicit-def: $vgpr59_vgpr60
                                        ; implicit-def: $vgpr61_vgpr62
	s_branch .LBB439_143
.LBB439_146:
	s_set_inst_prefetch_distance 0x2
	s_or_b32 exec_lo, exec_lo, s3
	v_cmp_gt_i64_e32 vcc_lo, s[8:9], v[63:64]
	s_mov_b32 s0, 0
	s_delay_alu instid0(SALU_CYCLE_1)
	v_mov_b32_e32 v128, s0
	v_cndmask_b32_e64 v127, 0, 1, vcc_lo
.LBB439_147:
	s_or_b32 exec_lo, exec_lo, s1
.LBB439_148:
	v_mul_lo_u32 v61, v46, s8
	v_mul_lo_u32 v62, v45, s9
	v_mad_u64_u32 v[59:60], null, v45, s8, 0
	v_mov_b32_e32 v131, 0
	v_mov_b32_e32 v132, 0
	v_cmp_ne_u32_e32 vcc_lo, 1, v65
	s_delay_alu instid0(VALU_DEP_2) | instskip(SKIP_1) | instid1(VALU_DEP_1)
	v_dual_mov_b32 v129, v131 :: v_dual_mov_b32 v130, v132
	v_add3_u32 v60, v60, v62, v61
	v_lshlrev_b64 v[59:60], 2, v[59:60]
	s_cbranch_vccnz .LBB439_157
; %bb.149:
	v_add_co_u32 v61, vcc_lo, s10, v57
	v_add_co_ci_u32_e32 v62, vcc_lo, s11, v58, vcc_lo
	s_delay_alu instid0(VALU_DEP_3) | instskip(NEXT) | instid1(VALU_DEP_4)
	v_add_co_u32 v57, vcc_lo, s10, v59
	v_add_co_ci_u32_e32 v58, vcc_lo, s11, v60, vcc_lo
	v_mov_b32_e32 v129, 1
	s_clause 0x1
	global_load_b32 v63, v[61:62], off
	global_load_b32 v64, v[57:58], off
	v_mov_b32_e32 v130, 0
	s_mov_b32 s1, exec_lo
	s_waitcnt vmcnt(0)
	v_cmpx_eq_u32_e64 v63, v64
	s_cbranch_execz .LBB439_156
; %bb.150:
	v_add_co_u32 v57, vcc_lo, v57, 4
	v_add_co_ci_u32_e32 v58, vcc_lo, 0, v58, vcc_lo
	v_add_co_u32 v61, vcc_lo, v61, 4
	v_add_co_ci_u32_e32 v62, vcc_lo, 0, v62, vcc_lo
	s_add_u32 s14, s8, -1
	s_addc_u32 s15, s9, -1
	s_mov_b64 s[22:23], 0
	s_mov_b32 s3, 0
                                        ; implicit-def: $sgpr21
	s_set_inst_prefetch_distance 0x1
	s_branch .LBB439_153
	.p2align	6
.LBB439_151:                            ;   in Loop: Header=BB439_153 Depth=1
	global_load_b32 v63, v[61:62], off
	global_load_b32 v64, v[57:58], off
	v_add_co_u32 v57, vcc_lo, v57, 4
	v_add_co_ci_u32_e32 v58, vcc_lo, 0, v58, vcc_lo
	v_add_co_u32 v61, s0, v61, 4
	s_delay_alu instid0(VALU_DEP_1)
	v_add_co_ci_u32_e64 v62, s0, 0, v62, s0
	s_add_u32 s22, s22, 1
	s_addc_u32 s23, s23, 0
	s_and_not1_b32 s0, s21, exec_lo
	s_waitcnt vmcnt(0)
	v_cmp_ne_u32_e32 vcc_lo, v63, v64
	s_and_b32 s21, vcc_lo, exec_lo
	s_delay_alu instid0(SALU_CYCLE_1)
	s_or_b32 s21, s0, s21
.LBB439_152:                            ;   in Loop: Header=BB439_153 Depth=1
	v_dual_mov_b32 v64, s23 :: v_dual_mov_b32 v63, s22
	s_and_b32 s0, exec_lo, s21
	s_delay_alu instid0(SALU_CYCLE_1) | instskip(NEXT) | instid1(SALU_CYCLE_1)
	s_or_b32 s3, s0, s3
	s_and_not1_b32 exec_lo, exec_lo, s3
	s_cbranch_execz .LBB439_155
.LBB439_153:                            ; =>This Inner Loop Header: Depth=1
	s_or_b32 s21, s21, exec_lo
	s_cmp_eq_u64 s[14:15], s[22:23]
	s_cbranch_scc0 .LBB439_151
; %bb.154:                              ;   in Loop: Header=BB439_153 Depth=1
	s_mov_b64 s[22:23], s[8:9]
                                        ; implicit-def: $vgpr57_vgpr58
                                        ; implicit-def: $vgpr61_vgpr62
	s_branch .LBB439_152
.LBB439_155:
	s_set_inst_prefetch_distance 0x2
	s_or_b32 exec_lo, exec_lo, s3
	v_cmp_gt_i64_e32 vcc_lo, s[8:9], v[63:64]
	s_mov_b32 s0, 0
	s_delay_alu instid0(SALU_CYCLE_1)
	v_mov_b32_e32 v130, s0
	v_cndmask_b32_e64 v129, 0, 1, vcc_lo
.LBB439_156:
	s_or_b32 exec_lo, exec_lo, s1
.LBB439_157:
	v_mul_lo_u32 v61, v44, s8
	v_mul_lo_u32 v62, v43, s9
	v_mad_u64_u32 v[57:58], null, v43, s8, 0
	v_cmp_ne_u32_e32 vcc_lo, 1, v65
	s_delay_alu instid0(VALU_DEP_2) | instskip(NEXT) | instid1(VALU_DEP_1)
	v_add3_u32 v58, v58, v62, v61
	v_lshlrev_b64 v[57:58], 2, v[57:58]
	s_cbranch_vccnz .LBB439_166
; %bb.158:
	v_add_co_u32 v61, vcc_lo, s10, v59
	v_add_co_ci_u32_e32 v62, vcc_lo, s11, v60, vcc_lo
	s_delay_alu instid0(VALU_DEP_3) | instskip(NEXT) | instid1(VALU_DEP_4)
	v_add_co_u32 v59, vcc_lo, s10, v57
	v_add_co_ci_u32_e32 v60, vcc_lo, s11, v58, vcc_lo
	v_mov_b32_e32 v131, 1
	s_clause 0x1
	global_load_b32 v63, v[61:62], off
	global_load_b32 v64, v[59:60], off
	v_mov_b32_e32 v132, 0
	s_mov_b32 s1, exec_lo
	s_waitcnt vmcnt(0)
	v_cmpx_eq_u32_e64 v63, v64
	s_cbranch_execz .LBB439_165
; %bb.159:
	v_add_co_u32 v59, vcc_lo, v59, 4
	v_add_co_ci_u32_e32 v60, vcc_lo, 0, v60, vcc_lo
	v_add_co_u32 v61, vcc_lo, v61, 4
	v_add_co_ci_u32_e32 v62, vcc_lo, 0, v62, vcc_lo
	s_add_u32 s14, s8, -1
	s_addc_u32 s15, s9, -1
	s_mov_b64 s[22:23], 0
	s_mov_b32 s3, 0
                                        ; implicit-def: $sgpr21
	s_set_inst_prefetch_distance 0x1
	s_branch .LBB439_162
	.p2align	6
.LBB439_160:                            ;   in Loop: Header=BB439_162 Depth=1
	global_load_b32 v63, v[61:62], off
	global_load_b32 v64, v[59:60], off
	v_add_co_u32 v59, vcc_lo, v59, 4
	v_add_co_ci_u32_e32 v60, vcc_lo, 0, v60, vcc_lo
	v_add_co_u32 v61, s0, v61, 4
	s_delay_alu instid0(VALU_DEP_1)
	v_add_co_ci_u32_e64 v62, s0, 0, v62, s0
	s_add_u32 s22, s22, 1
	s_addc_u32 s23, s23, 0
	s_and_not1_b32 s0, s21, exec_lo
	s_waitcnt vmcnt(0)
	v_cmp_ne_u32_e32 vcc_lo, v63, v64
	s_and_b32 s21, vcc_lo, exec_lo
	s_delay_alu instid0(SALU_CYCLE_1)
	s_or_b32 s21, s0, s21
.LBB439_161:                            ;   in Loop: Header=BB439_162 Depth=1
	v_dual_mov_b32 v64, s23 :: v_dual_mov_b32 v63, s22
	s_and_b32 s0, exec_lo, s21
	s_delay_alu instid0(SALU_CYCLE_1) | instskip(NEXT) | instid1(SALU_CYCLE_1)
	s_or_b32 s3, s0, s3
	s_and_not1_b32 exec_lo, exec_lo, s3
	s_cbranch_execz .LBB439_164
.LBB439_162:                            ; =>This Inner Loop Header: Depth=1
	s_or_b32 s21, s21, exec_lo
	s_cmp_eq_u64 s[14:15], s[22:23]
	s_cbranch_scc0 .LBB439_160
; %bb.163:                              ;   in Loop: Header=BB439_162 Depth=1
	s_mov_b64 s[22:23], s[8:9]
                                        ; implicit-def: $vgpr59_vgpr60
                                        ; implicit-def: $vgpr61_vgpr62
	s_branch .LBB439_161
.LBB439_164:
	s_set_inst_prefetch_distance 0x2
	s_or_b32 exec_lo, exec_lo, s3
	v_cmp_gt_i64_e32 vcc_lo, s[8:9], v[63:64]
	s_mov_b32 s0, 0
	s_delay_alu instid0(SALU_CYCLE_1)
	v_mov_b32_e32 v132, s0
	v_cndmask_b32_e64 v131, 0, 1, vcc_lo
.LBB439_165:
	s_or_b32 exec_lo, exec_lo, s1
.LBB439_166:
	v_mul_lo_u32 v61, v42, s8
	v_mul_lo_u32 v62, v41, s9
	v_mad_u64_u32 v[59:60], null, v41, s8, 0
	v_mov_b32_e32 v135, 0
	v_mov_b32_e32 v136, 0
	v_cmp_ne_u32_e32 vcc_lo, 1, v65
	s_delay_alu instid0(VALU_DEP_2) | instskip(SKIP_1) | instid1(VALU_DEP_1)
	v_dual_mov_b32 v133, v135 :: v_dual_mov_b32 v134, v136
	v_add3_u32 v60, v60, v62, v61
	v_lshlrev_b64 v[59:60], 2, v[59:60]
	s_cbranch_vccnz .LBB439_175
; %bb.167:
	v_add_co_u32 v61, vcc_lo, s10, v57
	v_add_co_ci_u32_e32 v62, vcc_lo, s11, v58, vcc_lo
	s_delay_alu instid0(VALU_DEP_3) | instskip(NEXT) | instid1(VALU_DEP_4)
	v_add_co_u32 v57, vcc_lo, s10, v59
	v_add_co_ci_u32_e32 v58, vcc_lo, s11, v60, vcc_lo
	v_mov_b32_e32 v133, 1
	s_clause 0x1
	global_load_b32 v63, v[61:62], off
	global_load_b32 v64, v[57:58], off
	v_mov_b32_e32 v134, 0
	s_mov_b32 s1, exec_lo
	s_waitcnt vmcnt(0)
	v_cmpx_eq_u32_e64 v63, v64
	s_cbranch_execz .LBB439_174
; %bb.168:
	v_add_co_u32 v57, vcc_lo, v57, 4
	v_add_co_ci_u32_e32 v58, vcc_lo, 0, v58, vcc_lo
	v_add_co_u32 v61, vcc_lo, v61, 4
	v_add_co_ci_u32_e32 v62, vcc_lo, 0, v62, vcc_lo
	s_add_u32 s14, s8, -1
	s_addc_u32 s15, s9, -1
	s_mov_b64 s[22:23], 0
	s_mov_b32 s3, 0
                                        ; implicit-def: $sgpr21
	s_set_inst_prefetch_distance 0x1
	s_branch .LBB439_171
	.p2align	6
.LBB439_169:                            ;   in Loop: Header=BB439_171 Depth=1
	global_load_b32 v63, v[61:62], off
	global_load_b32 v64, v[57:58], off
	v_add_co_u32 v57, vcc_lo, v57, 4
	v_add_co_ci_u32_e32 v58, vcc_lo, 0, v58, vcc_lo
	v_add_co_u32 v61, s0, v61, 4
	s_delay_alu instid0(VALU_DEP_1)
	v_add_co_ci_u32_e64 v62, s0, 0, v62, s0
	s_add_u32 s22, s22, 1
	s_addc_u32 s23, s23, 0
	s_and_not1_b32 s0, s21, exec_lo
	s_waitcnt vmcnt(0)
	v_cmp_ne_u32_e32 vcc_lo, v63, v64
	s_and_b32 s21, vcc_lo, exec_lo
	s_delay_alu instid0(SALU_CYCLE_1)
	s_or_b32 s21, s0, s21
.LBB439_170:                            ;   in Loop: Header=BB439_171 Depth=1
	v_dual_mov_b32 v64, s23 :: v_dual_mov_b32 v63, s22
	s_and_b32 s0, exec_lo, s21
	s_delay_alu instid0(SALU_CYCLE_1) | instskip(NEXT) | instid1(SALU_CYCLE_1)
	s_or_b32 s3, s0, s3
	s_and_not1_b32 exec_lo, exec_lo, s3
	s_cbranch_execz .LBB439_173
.LBB439_171:                            ; =>This Inner Loop Header: Depth=1
	s_or_b32 s21, s21, exec_lo
	s_cmp_eq_u64 s[14:15], s[22:23]
	s_cbranch_scc0 .LBB439_169
; %bb.172:                              ;   in Loop: Header=BB439_171 Depth=1
	s_mov_b64 s[22:23], s[8:9]
                                        ; implicit-def: $vgpr57_vgpr58
                                        ; implicit-def: $vgpr61_vgpr62
	s_branch .LBB439_170
.LBB439_173:
	s_set_inst_prefetch_distance 0x2
	s_or_b32 exec_lo, exec_lo, s3
	v_cmp_gt_i64_e32 vcc_lo, s[8:9], v[63:64]
	s_mov_b32 s0, 0
	s_delay_alu instid0(SALU_CYCLE_1)
	v_mov_b32_e32 v134, s0
	v_cndmask_b32_e64 v133, 0, 1, vcc_lo
.LBB439_174:
	s_or_b32 exec_lo, exec_lo, s1
.LBB439_175:
	v_mul_lo_u32 v61, v40, s8
	v_mul_lo_u32 v62, v39, s9
	v_mad_u64_u32 v[57:58], null, v39, s8, 0
	v_cmp_ne_u32_e32 vcc_lo, 1, v65
	s_delay_alu instid0(VALU_DEP_2) | instskip(NEXT) | instid1(VALU_DEP_1)
	v_add3_u32 v58, v58, v62, v61
	v_lshlrev_b64 v[57:58], 2, v[57:58]
	s_cbranch_vccnz .LBB439_184
; %bb.176:
	v_add_co_u32 v61, vcc_lo, s10, v59
	v_add_co_ci_u32_e32 v62, vcc_lo, s11, v60, vcc_lo
	s_delay_alu instid0(VALU_DEP_3) | instskip(NEXT) | instid1(VALU_DEP_4)
	v_add_co_u32 v59, vcc_lo, s10, v57
	v_add_co_ci_u32_e32 v60, vcc_lo, s11, v58, vcc_lo
	v_mov_b32_e32 v135, 1
	s_clause 0x1
	global_load_b32 v63, v[61:62], off
	global_load_b32 v64, v[59:60], off
	v_mov_b32_e32 v136, 0
	s_mov_b32 s1, exec_lo
	s_waitcnt vmcnt(0)
	v_cmpx_eq_u32_e64 v63, v64
	s_cbranch_execz .LBB439_183
; %bb.177:
	v_add_co_u32 v59, vcc_lo, v59, 4
	v_add_co_ci_u32_e32 v60, vcc_lo, 0, v60, vcc_lo
	v_add_co_u32 v61, vcc_lo, v61, 4
	v_add_co_ci_u32_e32 v62, vcc_lo, 0, v62, vcc_lo
	s_add_u32 s14, s8, -1
	s_addc_u32 s15, s9, -1
	s_mov_b64 s[22:23], 0
	s_mov_b32 s3, 0
                                        ; implicit-def: $sgpr21
	s_set_inst_prefetch_distance 0x1
	s_branch .LBB439_180
	.p2align	6
.LBB439_178:                            ;   in Loop: Header=BB439_180 Depth=1
	global_load_b32 v63, v[61:62], off
	global_load_b32 v64, v[59:60], off
	v_add_co_u32 v59, vcc_lo, v59, 4
	v_add_co_ci_u32_e32 v60, vcc_lo, 0, v60, vcc_lo
	v_add_co_u32 v61, s0, v61, 4
	s_delay_alu instid0(VALU_DEP_1)
	v_add_co_ci_u32_e64 v62, s0, 0, v62, s0
	s_add_u32 s22, s22, 1
	s_addc_u32 s23, s23, 0
	s_and_not1_b32 s0, s21, exec_lo
	s_waitcnt vmcnt(0)
	v_cmp_ne_u32_e32 vcc_lo, v63, v64
	s_and_b32 s21, vcc_lo, exec_lo
	s_delay_alu instid0(SALU_CYCLE_1)
	s_or_b32 s21, s0, s21
.LBB439_179:                            ;   in Loop: Header=BB439_180 Depth=1
	v_dual_mov_b32 v64, s23 :: v_dual_mov_b32 v63, s22
	s_and_b32 s0, exec_lo, s21
	s_delay_alu instid0(SALU_CYCLE_1) | instskip(NEXT) | instid1(SALU_CYCLE_1)
	s_or_b32 s3, s0, s3
	s_and_not1_b32 exec_lo, exec_lo, s3
	s_cbranch_execz .LBB439_182
.LBB439_180:                            ; =>This Inner Loop Header: Depth=1
	s_or_b32 s21, s21, exec_lo
	s_cmp_eq_u64 s[14:15], s[22:23]
	s_cbranch_scc0 .LBB439_178
; %bb.181:                              ;   in Loop: Header=BB439_180 Depth=1
	s_mov_b64 s[22:23], s[8:9]
                                        ; implicit-def: $vgpr59_vgpr60
                                        ; implicit-def: $vgpr61_vgpr62
	s_branch .LBB439_179
.LBB439_182:
	s_set_inst_prefetch_distance 0x2
	s_or_b32 exec_lo, exec_lo, s3
	v_cmp_gt_i64_e32 vcc_lo, s[8:9], v[63:64]
	s_mov_b32 s0, 0
	s_delay_alu instid0(SALU_CYCLE_1)
	v_mov_b32_e32 v136, s0
	v_cndmask_b32_e64 v135, 0, 1, vcc_lo
.LBB439_183:
	s_or_b32 exec_lo, exec_lo, s1
.LBB439_184:
	v_mul_lo_u32 v61, v38, s8
	v_mul_lo_u32 v62, v37, s9
	v_mad_u64_u32 v[59:60], null, v37, s8, 0
	v_mov_b32_e32 v139, 0
	v_mov_b32_e32 v140, 0
	v_cmp_ne_u32_e32 vcc_lo, 1, v65
	s_delay_alu instid0(VALU_DEP_2) | instskip(SKIP_1) | instid1(VALU_DEP_1)
	v_dual_mov_b32 v137, v139 :: v_dual_mov_b32 v138, v140
	v_add3_u32 v60, v60, v62, v61
	v_lshlrev_b64 v[59:60], 2, v[59:60]
	s_cbranch_vccnz .LBB439_193
; %bb.185:
	v_add_co_u32 v61, vcc_lo, s10, v57
	v_add_co_ci_u32_e32 v62, vcc_lo, s11, v58, vcc_lo
	s_delay_alu instid0(VALU_DEP_3) | instskip(NEXT) | instid1(VALU_DEP_4)
	v_add_co_u32 v57, vcc_lo, s10, v59
	v_add_co_ci_u32_e32 v58, vcc_lo, s11, v60, vcc_lo
	v_mov_b32_e32 v137, 1
	s_clause 0x1
	global_load_b32 v63, v[61:62], off
	global_load_b32 v64, v[57:58], off
	v_mov_b32_e32 v138, 0
	s_mov_b32 s1, exec_lo
	s_waitcnt vmcnt(0)
	v_cmpx_eq_u32_e64 v63, v64
	s_cbranch_execz .LBB439_192
; %bb.186:
	v_add_co_u32 v57, vcc_lo, v57, 4
	v_add_co_ci_u32_e32 v58, vcc_lo, 0, v58, vcc_lo
	v_add_co_u32 v61, vcc_lo, v61, 4
	v_add_co_ci_u32_e32 v62, vcc_lo, 0, v62, vcc_lo
	s_add_u32 s14, s8, -1
	s_addc_u32 s15, s9, -1
	s_mov_b64 s[22:23], 0
	s_mov_b32 s3, 0
                                        ; implicit-def: $sgpr21
	s_set_inst_prefetch_distance 0x1
	s_branch .LBB439_189
	.p2align	6
.LBB439_187:                            ;   in Loop: Header=BB439_189 Depth=1
	global_load_b32 v63, v[61:62], off
	global_load_b32 v64, v[57:58], off
	v_add_co_u32 v57, vcc_lo, v57, 4
	v_add_co_ci_u32_e32 v58, vcc_lo, 0, v58, vcc_lo
	v_add_co_u32 v61, s0, v61, 4
	s_delay_alu instid0(VALU_DEP_1)
	v_add_co_ci_u32_e64 v62, s0, 0, v62, s0
	s_add_u32 s22, s22, 1
	s_addc_u32 s23, s23, 0
	s_and_not1_b32 s0, s21, exec_lo
	s_waitcnt vmcnt(0)
	v_cmp_ne_u32_e32 vcc_lo, v63, v64
	s_and_b32 s21, vcc_lo, exec_lo
	s_delay_alu instid0(SALU_CYCLE_1)
	s_or_b32 s21, s0, s21
.LBB439_188:                            ;   in Loop: Header=BB439_189 Depth=1
	v_dual_mov_b32 v64, s23 :: v_dual_mov_b32 v63, s22
	s_and_b32 s0, exec_lo, s21
	s_delay_alu instid0(SALU_CYCLE_1) | instskip(NEXT) | instid1(SALU_CYCLE_1)
	s_or_b32 s3, s0, s3
	s_and_not1_b32 exec_lo, exec_lo, s3
	s_cbranch_execz .LBB439_191
.LBB439_189:                            ; =>This Inner Loop Header: Depth=1
	s_or_b32 s21, s21, exec_lo
	s_cmp_eq_u64 s[14:15], s[22:23]
	s_cbranch_scc0 .LBB439_187
; %bb.190:                              ;   in Loop: Header=BB439_189 Depth=1
	s_mov_b64 s[22:23], s[8:9]
                                        ; implicit-def: $vgpr57_vgpr58
                                        ; implicit-def: $vgpr61_vgpr62
	s_branch .LBB439_188
.LBB439_191:
	s_set_inst_prefetch_distance 0x2
	s_or_b32 exec_lo, exec_lo, s3
	v_cmp_gt_i64_e32 vcc_lo, s[8:9], v[63:64]
	s_mov_b32 s0, 0
	s_delay_alu instid0(SALU_CYCLE_1)
	v_mov_b32_e32 v138, s0
	v_cndmask_b32_e64 v137, 0, 1, vcc_lo
.LBB439_192:
	s_or_b32 exec_lo, exec_lo, s1
.LBB439_193:
	v_mul_lo_u32 v61, v36, s8
	v_mul_lo_u32 v62, v35, s9
	v_mad_u64_u32 v[57:58], null, v35, s8, 0
	v_cmp_ne_u32_e32 vcc_lo, 1, v65
	s_delay_alu instid0(VALU_DEP_2) | instskip(NEXT) | instid1(VALU_DEP_1)
	v_add3_u32 v58, v58, v62, v61
	v_lshlrev_b64 v[57:58], 2, v[57:58]
	s_cbranch_vccnz .LBB439_202
; %bb.194:
	v_add_co_u32 v61, vcc_lo, s10, v59
	v_add_co_ci_u32_e32 v62, vcc_lo, s11, v60, vcc_lo
	s_delay_alu instid0(VALU_DEP_3) | instskip(NEXT) | instid1(VALU_DEP_4)
	v_add_co_u32 v59, vcc_lo, s10, v57
	v_add_co_ci_u32_e32 v60, vcc_lo, s11, v58, vcc_lo
	v_mov_b32_e32 v139, 1
	s_clause 0x1
	global_load_b32 v63, v[61:62], off
	global_load_b32 v64, v[59:60], off
	v_mov_b32_e32 v140, 0
	s_mov_b32 s1, exec_lo
	s_waitcnt vmcnt(0)
	v_cmpx_eq_u32_e64 v63, v64
	s_cbranch_execz .LBB439_201
; %bb.195:
	v_add_co_u32 v59, vcc_lo, v59, 4
	v_add_co_ci_u32_e32 v60, vcc_lo, 0, v60, vcc_lo
	v_add_co_u32 v61, vcc_lo, v61, 4
	v_add_co_ci_u32_e32 v62, vcc_lo, 0, v62, vcc_lo
	s_add_u32 s14, s8, -1
	s_addc_u32 s15, s9, -1
	s_mov_b64 s[22:23], 0
	s_mov_b32 s3, 0
                                        ; implicit-def: $sgpr21
	s_set_inst_prefetch_distance 0x1
	s_branch .LBB439_198
	.p2align	6
.LBB439_196:                            ;   in Loop: Header=BB439_198 Depth=1
	global_load_b32 v63, v[61:62], off
	global_load_b32 v64, v[59:60], off
	v_add_co_u32 v59, vcc_lo, v59, 4
	v_add_co_ci_u32_e32 v60, vcc_lo, 0, v60, vcc_lo
	v_add_co_u32 v61, s0, v61, 4
	s_delay_alu instid0(VALU_DEP_1)
	v_add_co_ci_u32_e64 v62, s0, 0, v62, s0
	s_add_u32 s22, s22, 1
	s_addc_u32 s23, s23, 0
	s_and_not1_b32 s0, s21, exec_lo
	s_waitcnt vmcnt(0)
	v_cmp_ne_u32_e32 vcc_lo, v63, v64
	s_and_b32 s21, vcc_lo, exec_lo
	s_delay_alu instid0(SALU_CYCLE_1)
	s_or_b32 s21, s0, s21
.LBB439_197:                            ;   in Loop: Header=BB439_198 Depth=1
	v_dual_mov_b32 v64, s23 :: v_dual_mov_b32 v63, s22
	s_and_b32 s0, exec_lo, s21
	s_delay_alu instid0(SALU_CYCLE_1) | instskip(NEXT) | instid1(SALU_CYCLE_1)
	s_or_b32 s3, s0, s3
	s_and_not1_b32 exec_lo, exec_lo, s3
	s_cbranch_execz .LBB439_200
.LBB439_198:                            ; =>This Inner Loop Header: Depth=1
	s_or_b32 s21, s21, exec_lo
	s_cmp_eq_u64 s[14:15], s[22:23]
	s_cbranch_scc0 .LBB439_196
; %bb.199:                              ;   in Loop: Header=BB439_198 Depth=1
	s_mov_b64 s[22:23], s[8:9]
                                        ; implicit-def: $vgpr59_vgpr60
                                        ; implicit-def: $vgpr61_vgpr62
	s_branch .LBB439_197
.LBB439_200:
	s_set_inst_prefetch_distance 0x2
	s_or_b32 exec_lo, exec_lo, s3
	v_cmp_gt_i64_e32 vcc_lo, s[8:9], v[63:64]
	s_mov_b32 s0, 0
	s_delay_alu instid0(SALU_CYCLE_1)
	v_mov_b32_e32 v140, s0
	v_cndmask_b32_e64 v139, 0, 1, vcc_lo
.LBB439_201:
	s_or_b32 exec_lo, exec_lo, s1
.LBB439_202:
	v_mul_lo_u32 v61, v34, s8
	v_mul_lo_u32 v62, v33, s9
	v_mad_u64_u32 v[59:60], null, v33, s8, 0
	v_mov_b32_e32 v143, 0
	v_mov_b32_e32 v144, 0
	v_cmp_ne_u32_e32 vcc_lo, 1, v65
	s_delay_alu instid0(VALU_DEP_2) | instskip(SKIP_1) | instid1(VALU_DEP_1)
	v_dual_mov_b32 v141, v143 :: v_dual_mov_b32 v142, v144
	v_add3_u32 v60, v60, v62, v61
	v_lshlrev_b64 v[59:60], 2, v[59:60]
	s_cbranch_vccnz .LBB439_211
; %bb.203:
	v_add_co_u32 v61, vcc_lo, s10, v57
	v_add_co_ci_u32_e32 v62, vcc_lo, s11, v58, vcc_lo
	s_delay_alu instid0(VALU_DEP_3) | instskip(NEXT) | instid1(VALU_DEP_4)
	v_add_co_u32 v57, vcc_lo, s10, v59
	v_add_co_ci_u32_e32 v58, vcc_lo, s11, v60, vcc_lo
	v_mov_b32_e32 v141, 1
	s_clause 0x1
	global_load_b32 v63, v[61:62], off
	global_load_b32 v64, v[57:58], off
	v_mov_b32_e32 v142, 0
	s_mov_b32 s1, exec_lo
	s_waitcnt vmcnt(0)
	v_cmpx_eq_u32_e64 v63, v64
	s_cbranch_execz .LBB439_210
; %bb.204:
	v_add_co_u32 v57, vcc_lo, v57, 4
	v_add_co_ci_u32_e32 v58, vcc_lo, 0, v58, vcc_lo
	v_add_co_u32 v61, vcc_lo, v61, 4
	v_add_co_ci_u32_e32 v62, vcc_lo, 0, v62, vcc_lo
	s_add_u32 s14, s8, -1
	s_addc_u32 s15, s9, -1
	s_mov_b64 s[22:23], 0
	s_mov_b32 s3, 0
                                        ; implicit-def: $sgpr21
	s_set_inst_prefetch_distance 0x1
	s_branch .LBB439_207
	.p2align	6
.LBB439_205:                            ;   in Loop: Header=BB439_207 Depth=1
	global_load_b32 v63, v[61:62], off
	global_load_b32 v64, v[57:58], off
	v_add_co_u32 v57, vcc_lo, v57, 4
	v_add_co_ci_u32_e32 v58, vcc_lo, 0, v58, vcc_lo
	v_add_co_u32 v61, s0, v61, 4
	s_delay_alu instid0(VALU_DEP_1)
	v_add_co_ci_u32_e64 v62, s0, 0, v62, s0
	s_add_u32 s22, s22, 1
	s_addc_u32 s23, s23, 0
	s_and_not1_b32 s0, s21, exec_lo
	s_waitcnt vmcnt(0)
	v_cmp_ne_u32_e32 vcc_lo, v63, v64
	s_and_b32 s21, vcc_lo, exec_lo
	s_delay_alu instid0(SALU_CYCLE_1)
	s_or_b32 s21, s0, s21
.LBB439_206:                            ;   in Loop: Header=BB439_207 Depth=1
	v_dual_mov_b32 v64, s23 :: v_dual_mov_b32 v63, s22
	s_and_b32 s0, exec_lo, s21
	s_delay_alu instid0(SALU_CYCLE_1) | instskip(NEXT) | instid1(SALU_CYCLE_1)
	s_or_b32 s3, s0, s3
	s_and_not1_b32 exec_lo, exec_lo, s3
	s_cbranch_execz .LBB439_209
.LBB439_207:                            ; =>This Inner Loop Header: Depth=1
	s_or_b32 s21, s21, exec_lo
	s_cmp_eq_u64 s[14:15], s[22:23]
	s_cbranch_scc0 .LBB439_205
; %bb.208:                              ;   in Loop: Header=BB439_207 Depth=1
	s_mov_b64 s[22:23], s[8:9]
                                        ; implicit-def: $vgpr57_vgpr58
                                        ; implicit-def: $vgpr61_vgpr62
	s_branch .LBB439_206
.LBB439_209:
	s_set_inst_prefetch_distance 0x2
	s_or_b32 exec_lo, exec_lo, s3
	v_cmp_gt_i64_e32 vcc_lo, s[8:9], v[63:64]
	s_mov_b32 s0, 0
	s_delay_alu instid0(SALU_CYCLE_1)
	v_mov_b32_e32 v142, s0
	v_cndmask_b32_e64 v141, 0, 1, vcc_lo
.LBB439_210:
	s_or_b32 exec_lo, exec_lo, s1
.LBB439_211:
	v_mul_lo_u32 v61, v32, s8
	v_mul_lo_u32 v62, v31, s9
	v_mad_u64_u32 v[57:58], null, v31, s8, 0
	v_cmp_ne_u32_e32 vcc_lo, 1, v65
	s_delay_alu instid0(VALU_DEP_2) | instskip(NEXT) | instid1(VALU_DEP_1)
	v_add3_u32 v58, v58, v62, v61
	v_lshlrev_b64 v[57:58], 2, v[57:58]
	s_cbranch_vccnz .LBB439_220
; %bb.212:
	v_add_co_u32 v61, vcc_lo, s10, v59
	v_add_co_ci_u32_e32 v62, vcc_lo, s11, v60, vcc_lo
	s_delay_alu instid0(VALU_DEP_3) | instskip(NEXT) | instid1(VALU_DEP_4)
	v_add_co_u32 v59, vcc_lo, s10, v57
	v_add_co_ci_u32_e32 v60, vcc_lo, s11, v58, vcc_lo
	v_mov_b32_e32 v143, 1
	s_clause 0x1
	global_load_b32 v63, v[61:62], off
	global_load_b32 v64, v[59:60], off
	v_mov_b32_e32 v144, 0
	s_mov_b32 s1, exec_lo
	s_waitcnt vmcnt(0)
	v_cmpx_eq_u32_e64 v63, v64
	s_cbranch_execz .LBB439_219
; %bb.213:
	v_add_co_u32 v59, vcc_lo, v59, 4
	v_add_co_ci_u32_e32 v60, vcc_lo, 0, v60, vcc_lo
	v_add_co_u32 v61, vcc_lo, v61, 4
	v_add_co_ci_u32_e32 v62, vcc_lo, 0, v62, vcc_lo
	s_add_u32 s14, s8, -1
	s_addc_u32 s15, s9, -1
	s_mov_b64 s[22:23], 0
	s_mov_b32 s3, 0
                                        ; implicit-def: $sgpr21
	s_set_inst_prefetch_distance 0x1
	s_branch .LBB439_216
	.p2align	6
.LBB439_214:                            ;   in Loop: Header=BB439_216 Depth=1
	global_load_b32 v63, v[61:62], off
	global_load_b32 v64, v[59:60], off
	v_add_co_u32 v59, vcc_lo, v59, 4
	v_add_co_ci_u32_e32 v60, vcc_lo, 0, v60, vcc_lo
	v_add_co_u32 v61, s0, v61, 4
	s_delay_alu instid0(VALU_DEP_1)
	v_add_co_ci_u32_e64 v62, s0, 0, v62, s0
	s_add_u32 s22, s22, 1
	s_addc_u32 s23, s23, 0
	s_and_not1_b32 s0, s21, exec_lo
	s_waitcnt vmcnt(0)
	v_cmp_ne_u32_e32 vcc_lo, v63, v64
	s_and_b32 s21, vcc_lo, exec_lo
	s_delay_alu instid0(SALU_CYCLE_1)
	s_or_b32 s21, s0, s21
.LBB439_215:                            ;   in Loop: Header=BB439_216 Depth=1
	v_dual_mov_b32 v64, s23 :: v_dual_mov_b32 v63, s22
	s_and_b32 s0, exec_lo, s21
	s_delay_alu instid0(SALU_CYCLE_1) | instskip(NEXT) | instid1(SALU_CYCLE_1)
	s_or_b32 s3, s0, s3
	s_and_not1_b32 exec_lo, exec_lo, s3
	s_cbranch_execz .LBB439_218
.LBB439_216:                            ; =>This Inner Loop Header: Depth=1
	s_or_b32 s21, s21, exec_lo
	s_cmp_eq_u64 s[14:15], s[22:23]
	s_cbranch_scc0 .LBB439_214
; %bb.217:                              ;   in Loop: Header=BB439_216 Depth=1
	s_mov_b64 s[22:23], s[8:9]
                                        ; implicit-def: $vgpr59_vgpr60
                                        ; implicit-def: $vgpr61_vgpr62
	s_branch .LBB439_215
.LBB439_218:
	s_set_inst_prefetch_distance 0x2
	s_or_b32 exec_lo, exec_lo, s3
	v_cmp_gt_i64_e32 vcc_lo, s[8:9], v[63:64]
	s_mov_b32 s0, 0
	s_delay_alu instid0(SALU_CYCLE_1)
	v_mov_b32_e32 v144, s0
	v_cndmask_b32_e64 v143, 0, 1, vcc_lo
.LBB439_219:
	s_or_b32 exec_lo, exec_lo, s1
.LBB439_220:
	v_mul_lo_u32 v61, v30, s8
	v_mul_lo_u32 v62, v29, s9
	v_mad_u64_u32 v[59:60], null, v29, s8, 0
	v_mov_b32_e32 v147, 0
	v_mov_b32_e32 v148, 0
	v_cmp_ne_u32_e32 vcc_lo, 1, v65
	s_delay_alu instid0(VALU_DEP_2) | instskip(SKIP_1) | instid1(VALU_DEP_1)
	v_dual_mov_b32 v145, v147 :: v_dual_mov_b32 v146, v148
	v_add3_u32 v60, v60, v62, v61
	v_lshlrev_b64 v[59:60], 2, v[59:60]
	s_cbranch_vccnz .LBB439_229
; %bb.221:
	v_add_co_u32 v61, vcc_lo, s10, v57
	v_add_co_ci_u32_e32 v62, vcc_lo, s11, v58, vcc_lo
	s_delay_alu instid0(VALU_DEP_3) | instskip(NEXT) | instid1(VALU_DEP_4)
	v_add_co_u32 v57, vcc_lo, s10, v59
	v_add_co_ci_u32_e32 v58, vcc_lo, s11, v60, vcc_lo
	v_mov_b32_e32 v145, 1
	s_clause 0x1
	global_load_b32 v63, v[61:62], off
	global_load_b32 v64, v[57:58], off
	v_mov_b32_e32 v146, 0
	s_mov_b32 s1, exec_lo
	s_waitcnt vmcnt(0)
	v_cmpx_eq_u32_e64 v63, v64
	s_cbranch_execz .LBB439_228
; %bb.222:
	v_add_co_u32 v57, vcc_lo, v57, 4
	v_add_co_ci_u32_e32 v58, vcc_lo, 0, v58, vcc_lo
	v_add_co_u32 v61, vcc_lo, v61, 4
	v_add_co_ci_u32_e32 v62, vcc_lo, 0, v62, vcc_lo
	s_add_u32 s14, s8, -1
	s_addc_u32 s15, s9, -1
	s_mov_b64 s[22:23], 0
	s_mov_b32 s3, 0
                                        ; implicit-def: $sgpr21
	s_set_inst_prefetch_distance 0x1
	s_branch .LBB439_225
	.p2align	6
.LBB439_223:                            ;   in Loop: Header=BB439_225 Depth=1
	global_load_b32 v63, v[61:62], off
	global_load_b32 v64, v[57:58], off
	v_add_co_u32 v57, vcc_lo, v57, 4
	v_add_co_ci_u32_e32 v58, vcc_lo, 0, v58, vcc_lo
	v_add_co_u32 v61, s0, v61, 4
	s_delay_alu instid0(VALU_DEP_1)
	v_add_co_ci_u32_e64 v62, s0, 0, v62, s0
	s_add_u32 s22, s22, 1
	s_addc_u32 s23, s23, 0
	s_and_not1_b32 s0, s21, exec_lo
	s_waitcnt vmcnt(0)
	v_cmp_ne_u32_e32 vcc_lo, v63, v64
	s_and_b32 s21, vcc_lo, exec_lo
	s_delay_alu instid0(SALU_CYCLE_1)
	s_or_b32 s21, s0, s21
.LBB439_224:                            ;   in Loop: Header=BB439_225 Depth=1
	v_dual_mov_b32 v64, s23 :: v_dual_mov_b32 v63, s22
	s_and_b32 s0, exec_lo, s21
	s_delay_alu instid0(SALU_CYCLE_1) | instskip(NEXT) | instid1(SALU_CYCLE_1)
	s_or_b32 s3, s0, s3
	s_and_not1_b32 exec_lo, exec_lo, s3
	s_cbranch_execz .LBB439_227
.LBB439_225:                            ; =>This Inner Loop Header: Depth=1
	s_or_b32 s21, s21, exec_lo
	s_cmp_eq_u64 s[14:15], s[22:23]
	s_cbranch_scc0 .LBB439_223
; %bb.226:                              ;   in Loop: Header=BB439_225 Depth=1
	s_mov_b64 s[22:23], s[8:9]
                                        ; implicit-def: $vgpr57_vgpr58
                                        ; implicit-def: $vgpr61_vgpr62
	s_branch .LBB439_224
.LBB439_227:
	s_set_inst_prefetch_distance 0x2
	s_or_b32 exec_lo, exec_lo, s3
	v_cmp_gt_i64_e32 vcc_lo, s[8:9], v[63:64]
	s_mov_b32 s0, 0
	s_delay_alu instid0(SALU_CYCLE_1)
	v_mov_b32_e32 v146, s0
	v_cndmask_b32_e64 v145, 0, 1, vcc_lo
.LBB439_228:
	s_or_b32 exec_lo, exec_lo, s1
.LBB439_229:
	v_mul_lo_u32 v61, v28, s8
	v_mul_lo_u32 v62, v27, s9
	v_mad_u64_u32 v[57:58], null, v27, s8, 0
	v_cmp_ne_u32_e32 vcc_lo, 1, v65
	s_delay_alu instid0(VALU_DEP_2) | instskip(NEXT) | instid1(VALU_DEP_1)
	v_add3_u32 v58, v58, v62, v61
	v_lshlrev_b64 v[57:58], 2, v[57:58]
	s_cbranch_vccnz .LBB439_238
; %bb.230:
	v_add_co_u32 v61, vcc_lo, s10, v59
	v_add_co_ci_u32_e32 v62, vcc_lo, s11, v60, vcc_lo
	s_delay_alu instid0(VALU_DEP_3) | instskip(NEXT) | instid1(VALU_DEP_4)
	v_add_co_u32 v59, vcc_lo, s10, v57
	v_add_co_ci_u32_e32 v60, vcc_lo, s11, v58, vcc_lo
	v_mov_b32_e32 v147, 1
	s_clause 0x1
	global_load_b32 v63, v[61:62], off
	global_load_b32 v64, v[59:60], off
	v_mov_b32_e32 v148, 0
	s_mov_b32 s1, exec_lo
	s_waitcnt vmcnt(0)
	v_cmpx_eq_u32_e64 v63, v64
	s_cbranch_execz .LBB439_237
; %bb.231:
	v_add_co_u32 v59, vcc_lo, v59, 4
	v_add_co_ci_u32_e32 v60, vcc_lo, 0, v60, vcc_lo
	v_add_co_u32 v61, vcc_lo, v61, 4
	v_add_co_ci_u32_e32 v62, vcc_lo, 0, v62, vcc_lo
	s_add_u32 s14, s8, -1
	s_addc_u32 s15, s9, -1
	s_mov_b64 s[22:23], 0
	s_mov_b32 s3, 0
                                        ; implicit-def: $sgpr21
	s_set_inst_prefetch_distance 0x1
	s_branch .LBB439_234
	.p2align	6
.LBB439_232:                            ;   in Loop: Header=BB439_234 Depth=1
	global_load_b32 v63, v[61:62], off
	global_load_b32 v64, v[59:60], off
	v_add_co_u32 v59, vcc_lo, v59, 4
	v_add_co_ci_u32_e32 v60, vcc_lo, 0, v60, vcc_lo
	v_add_co_u32 v61, s0, v61, 4
	s_delay_alu instid0(VALU_DEP_1)
	v_add_co_ci_u32_e64 v62, s0, 0, v62, s0
	s_add_u32 s22, s22, 1
	s_addc_u32 s23, s23, 0
	s_and_not1_b32 s0, s21, exec_lo
	s_waitcnt vmcnt(0)
	v_cmp_ne_u32_e32 vcc_lo, v63, v64
	s_and_b32 s21, vcc_lo, exec_lo
	s_delay_alu instid0(SALU_CYCLE_1)
	s_or_b32 s21, s0, s21
.LBB439_233:                            ;   in Loop: Header=BB439_234 Depth=1
	v_dual_mov_b32 v64, s23 :: v_dual_mov_b32 v63, s22
	s_and_b32 s0, exec_lo, s21
	s_delay_alu instid0(SALU_CYCLE_1) | instskip(NEXT) | instid1(SALU_CYCLE_1)
	s_or_b32 s3, s0, s3
	s_and_not1_b32 exec_lo, exec_lo, s3
	s_cbranch_execz .LBB439_236
.LBB439_234:                            ; =>This Inner Loop Header: Depth=1
	s_or_b32 s21, s21, exec_lo
	s_cmp_eq_u64 s[14:15], s[22:23]
	s_cbranch_scc0 .LBB439_232
; %bb.235:                              ;   in Loop: Header=BB439_234 Depth=1
	s_mov_b64 s[22:23], s[8:9]
                                        ; implicit-def: $vgpr59_vgpr60
                                        ; implicit-def: $vgpr61_vgpr62
	s_branch .LBB439_233
.LBB439_236:
	s_set_inst_prefetch_distance 0x2
	s_or_b32 exec_lo, exec_lo, s3
	v_cmp_gt_i64_e32 vcc_lo, s[8:9], v[63:64]
	s_mov_b32 s0, 0
	s_delay_alu instid0(SALU_CYCLE_1)
	v_mov_b32_e32 v148, s0
	v_cndmask_b32_e64 v147, 0, 1, vcc_lo
.LBB439_237:
	s_or_b32 exec_lo, exec_lo, s1
.LBB439_238:
	v_mul_lo_u32 v61, v26, s8
	v_mul_lo_u32 v62, v25, s9
	v_mad_u64_u32 v[59:60], null, v25, s8, 0
	v_mov_b32_e32 v151, 0
	v_mov_b32_e32 v152, 0
	v_cmp_ne_u32_e32 vcc_lo, 1, v65
	s_delay_alu instid0(VALU_DEP_2) | instskip(SKIP_1) | instid1(VALU_DEP_1)
	v_dual_mov_b32 v149, v151 :: v_dual_mov_b32 v150, v152
	v_add3_u32 v60, v60, v62, v61
	v_lshlrev_b64 v[59:60], 2, v[59:60]
	s_cbranch_vccnz .LBB439_247
; %bb.239:
	v_add_co_u32 v61, vcc_lo, s10, v57
	v_add_co_ci_u32_e32 v62, vcc_lo, s11, v58, vcc_lo
	s_delay_alu instid0(VALU_DEP_3) | instskip(NEXT) | instid1(VALU_DEP_4)
	v_add_co_u32 v57, vcc_lo, s10, v59
	v_add_co_ci_u32_e32 v58, vcc_lo, s11, v60, vcc_lo
	v_mov_b32_e32 v149, 1
	s_clause 0x1
	global_load_b32 v63, v[61:62], off
	global_load_b32 v64, v[57:58], off
	v_mov_b32_e32 v150, 0
	s_mov_b32 s1, exec_lo
	s_waitcnt vmcnt(0)
	v_cmpx_eq_u32_e64 v63, v64
	s_cbranch_execz .LBB439_246
; %bb.240:
	v_add_co_u32 v57, vcc_lo, v57, 4
	v_add_co_ci_u32_e32 v58, vcc_lo, 0, v58, vcc_lo
	v_add_co_u32 v61, vcc_lo, v61, 4
	v_add_co_ci_u32_e32 v62, vcc_lo, 0, v62, vcc_lo
	s_add_u32 s14, s8, -1
	s_addc_u32 s15, s9, -1
	s_mov_b64 s[22:23], 0
	s_mov_b32 s3, 0
                                        ; implicit-def: $sgpr21
	s_set_inst_prefetch_distance 0x1
	s_branch .LBB439_243
	.p2align	6
.LBB439_241:                            ;   in Loop: Header=BB439_243 Depth=1
	global_load_b32 v63, v[61:62], off
	global_load_b32 v64, v[57:58], off
	v_add_co_u32 v57, vcc_lo, v57, 4
	v_add_co_ci_u32_e32 v58, vcc_lo, 0, v58, vcc_lo
	v_add_co_u32 v61, s0, v61, 4
	s_delay_alu instid0(VALU_DEP_1)
	v_add_co_ci_u32_e64 v62, s0, 0, v62, s0
	s_add_u32 s22, s22, 1
	s_addc_u32 s23, s23, 0
	s_and_not1_b32 s0, s21, exec_lo
	s_waitcnt vmcnt(0)
	v_cmp_ne_u32_e32 vcc_lo, v63, v64
	s_and_b32 s21, vcc_lo, exec_lo
	s_delay_alu instid0(SALU_CYCLE_1)
	s_or_b32 s21, s0, s21
.LBB439_242:                            ;   in Loop: Header=BB439_243 Depth=1
	v_dual_mov_b32 v64, s23 :: v_dual_mov_b32 v63, s22
	s_and_b32 s0, exec_lo, s21
	s_delay_alu instid0(SALU_CYCLE_1) | instskip(NEXT) | instid1(SALU_CYCLE_1)
	s_or_b32 s3, s0, s3
	s_and_not1_b32 exec_lo, exec_lo, s3
	s_cbranch_execz .LBB439_245
.LBB439_243:                            ; =>This Inner Loop Header: Depth=1
	s_or_b32 s21, s21, exec_lo
	s_cmp_eq_u64 s[14:15], s[22:23]
	s_cbranch_scc0 .LBB439_241
; %bb.244:                              ;   in Loop: Header=BB439_243 Depth=1
	s_mov_b64 s[22:23], s[8:9]
                                        ; implicit-def: $vgpr57_vgpr58
                                        ; implicit-def: $vgpr61_vgpr62
	s_branch .LBB439_242
.LBB439_245:
	s_set_inst_prefetch_distance 0x2
	s_or_b32 exec_lo, exec_lo, s3
	v_cmp_gt_i64_e32 vcc_lo, s[8:9], v[63:64]
	s_mov_b32 s0, 0
	s_delay_alu instid0(SALU_CYCLE_1)
	v_mov_b32_e32 v150, s0
	v_cndmask_b32_e64 v149, 0, 1, vcc_lo
.LBB439_246:
	s_or_b32 exec_lo, exec_lo, s1
.LBB439_247:
	v_mul_lo_u32 v61, v24, s8
	v_mul_lo_u32 v62, v23, s9
	v_mad_u64_u32 v[57:58], null, v23, s8, 0
	v_cmp_ne_u32_e32 vcc_lo, 1, v65
	s_delay_alu instid0(VALU_DEP_2) | instskip(NEXT) | instid1(VALU_DEP_1)
	v_add3_u32 v58, v58, v62, v61
	v_lshlrev_b64 v[57:58], 2, v[57:58]
	s_cbranch_vccnz .LBB439_256
; %bb.248:
	v_add_co_u32 v61, vcc_lo, s10, v59
	v_add_co_ci_u32_e32 v62, vcc_lo, s11, v60, vcc_lo
	s_delay_alu instid0(VALU_DEP_3) | instskip(NEXT) | instid1(VALU_DEP_4)
	v_add_co_u32 v59, vcc_lo, s10, v57
	v_add_co_ci_u32_e32 v60, vcc_lo, s11, v58, vcc_lo
	v_mov_b32_e32 v151, 1
	s_clause 0x1
	global_load_b32 v63, v[61:62], off
	global_load_b32 v64, v[59:60], off
	v_mov_b32_e32 v152, 0
	s_mov_b32 s1, exec_lo
	s_waitcnt vmcnt(0)
	v_cmpx_eq_u32_e64 v63, v64
	s_cbranch_execz .LBB439_255
; %bb.249:
	v_add_co_u32 v59, vcc_lo, v59, 4
	v_add_co_ci_u32_e32 v60, vcc_lo, 0, v60, vcc_lo
	v_add_co_u32 v61, vcc_lo, v61, 4
	v_add_co_ci_u32_e32 v62, vcc_lo, 0, v62, vcc_lo
	s_add_u32 s14, s8, -1
	s_addc_u32 s15, s9, -1
	s_mov_b64 s[22:23], 0
	s_mov_b32 s3, 0
                                        ; implicit-def: $sgpr21
	s_set_inst_prefetch_distance 0x1
	s_branch .LBB439_252
	.p2align	6
.LBB439_250:                            ;   in Loop: Header=BB439_252 Depth=1
	global_load_b32 v63, v[61:62], off
	global_load_b32 v64, v[59:60], off
	v_add_co_u32 v59, vcc_lo, v59, 4
	v_add_co_ci_u32_e32 v60, vcc_lo, 0, v60, vcc_lo
	v_add_co_u32 v61, s0, v61, 4
	s_delay_alu instid0(VALU_DEP_1)
	v_add_co_ci_u32_e64 v62, s0, 0, v62, s0
	s_add_u32 s22, s22, 1
	s_addc_u32 s23, s23, 0
	s_and_not1_b32 s0, s21, exec_lo
	s_waitcnt vmcnt(0)
	v_cmp_ne_u32_e32 vcc_lo, v63, v64
	s_and_b32 s21, vcc_lo, exec_lo
	s_delay_alu instid0(SALU_CYCLE_1)
	s_or_b32 s21, s0, s21
.LBB439_251:                            ;   in Loop: Header=BB439_252 Depth=1
	v_dual_mov_b32 v64, s23 :: v_dual_mov_b32 v63, s22
	s_and_b32 s0, exec_lo, s21
	s_delay_alu instid0(SALU_CYCLE_1) | instskip(NEXT) | instid1(SALU_CYCLE_1)
	s_or_b32 s3, s0, s3
	s_and_not1_b32 exec_lo, exec_lo, s3
	s_cbranch_execz .LBB439_254
.LBB439_252:                            ; =>This Inner Loop Header: Depth=1
	s_or_b32 s21, s21, exec_lo
	s_cmp_eq_u64 s[14:15], s[22:23]
	s_cbranch_scc0 .LBB439_250
; %bb.253:                              ;   in Loop: Header=BB439_252 Depth=1
	s_mov_b64 s[22:23], s[8:9]
                                        ; implicit-def: $vgpr59_vgpr60
                                        ; implicit-def: $vgpr61_vgpr62
	s_branch .LBB439_251
.LBB439_254:
	s_set_inst_prefetch_distance 0x2
	s_or_b32 exec_lo, exec_lo, s3
	v_cmp_gt_i64_e32 vcc_lo, s[8:9], v[63:64]
	s_mov_b32 s0, 0
	s_delay_alu instid0(SALU_CYCLE_1)
	v_mov_b32_e32 v152, s0
	v_cndmask_b32_e64 v151, 0, 1, vcc_lo
.LBB439_255:
	s_or_b32 exec_lo, exec_lo, s1
.LBB439_256:
	v_mul_lo_u32 v61, v22, s8
	v_mul_lo_u32 v62, v21, s9
	v_mad_u64_u32 v[59:60], null, v21, s8, 0
	v_mov_b32_e32 v155, 0
	v_mov_b32_e32 v156, 0
	v_cmp_ne_u32_e32 vcc_lo, 1, v65
	s_delay_alu instid0(VALU_DEP_2) | instskip(SKIP_1) | instid1(VALU_DEP_1)
	v_dual_mov_b32 v153, v155 :: v_dual_mov_b32 v154, v156
	v_add3_u32 v60, v60, v62, v61
	v_lshlrev_b64 v[59:60], 2, v[59:60]
	s_cbranch_vccnz .LBB439_265
; %bb.257:
	v_add_co_u32 v61, vcc_lo, s10, v57
	v_add_co_ci_u32_e32 v62, vcc_lo, s11, v58, vcc_lo
	s_delay_alu instid0(VALU_DEP_3) | instskip(NEXT) | instid1(VALU_DEP_4)
	v_add_co_u32 v57, vcc_lo, s10, v59
	v_add_co_ci_u32_e32 v58, vcc_lo, s11, v60, vcc_lo
	v_mov_b32_e32 v153, 1
	s_clause 0x1
	global_load_b32 v63, v[61:62], off
	global_load_b32 v64, v[57:58], off
	v_mov_b32_e32 v154, 0
	s_mov_b32 s1, exec_lo
	s_waitcnt vmcnt(0)
	v_cmpx_eq_u32_e64 v63, v64
	s_cbranch_execz .LBB439_264
; %bb.258:
	v_add_co_u32 v57, vcc_lo, v57, 4
	v_add_co_ci_u32_e32 v58, vcc_lo, 0, v58, vcc_lo
	v_add_co_u32 v61, vcc_lo, v61, 4
	v_add_co_ci_u32_e32 v62, vcc_lo, 0, v62, vcc_lo
	s_add_u32 s14, s8, -1
	s_addc_u32 s15, s9, -1
	s_mov_b64 s[22:23], 0
	s_mov_b32 s3, 0
                                        ; implicit-def: $sgpr21
	s_set_inst_prefetch_distance 0x1
	s_branch .LBB439_261
	.p2align	6
.LBB439_259:                            ;   in Loop: Header=BB439_261 Depth=1
	global_load_b32 v63, v[61:62], off
	global_load_b32 v64, v[57:58], off
	v_add_co_u32 v57, vcc_lo, v57, 4
	v_add_co_ci_u32_e32 v58, vcc_lo, 0, v58, vcc_lo
	v_add_co_u32 v61, s0, v61, 4
	s_delay_alu instid0(VALU_DEP_1)
	v_add_co_ci_u32_e64 v62, s0, 0, v62, s0
	s_add_u32 s22, s22, 1
	s_addc_u32 s23, s23, 0
	s_and_not1_b32 s0, s21, exec_lo
	s_waitcnt vmcnt(0)
	v_cmp_ne_u32_e32 vcc_lo, v63, v64
	s_and_b32 s21, vcc_lo, exec_lo
	s_delay_alu instid0(SALU_CYCLE_1)
	s_or_b32 s21, s0, s21
.LBB439_260:                            ;   in Loop: Header=BB439_261 Depth=1
	v_dual_mov_b32 v64, s23 :: v_dual_mov_b32 v63, s22
	s_and_b32 s0, exec_lo, s21
	s_delay_alu instid0(SALU_CYCLE_1) | instskip(NEXT) | instid1(SALU_CYCLE_1)
	s_or_b32 s3, s0, s3
	s_and_not1_b32 exec_lo, exec_lo, s3
	s_cbranch_execz .LBB439_263
.LBB439_261:                            ; =>This Inner Loop Header: Depth=1
	s_or_b32 s21, s21, exec_lo
	s_cmp_eq_u64 s[14:15], s[22:23]
	s_cbranch_scc0 .LBB439_259
; %bb.262:                              ;   in Loop: Header=BB439_261 Depth=1
	s_mov_b64 s[22:23], s[8:9]
                                        ; implicit-def: $vgpr57_vgpr58
                                        ; implicit-def: $vgpr61_vgpr62
	s_branch .LBB439_260
.LBB439_263:
	s_set_inst_prefetch_distance 0x2
	s_or_b32 exec_lo, exec_lo, s3
	v_cmp_gt_i64_e32 vcc_lo, s[8:9], v[63:64]
	s_mov_b32 s0, 0
	s_delay_alu instid0(SALU_CYCLE_1)
	v_mov_b32_e32 v154, s0
	v_cndmask_b32_e64 v153, 0, 1, vcc_lo
.LBB439_264:
	s_or_b32 exec_lo, exec_lo, s1
.LBB439_265:
	v_mul_lo_u32 v61, v20, s8
	v_mul_lo_u32 v62, v19, s9
	v_mad_u64_u32 v[57:58], null, v19, s8, 0
	v_cmp_ne_u32_e32 vcc_lo, 1, v65
	s_delay_alu instid0(VALU_DEP_2) | instskip(NEXT) | instid1(VALU_DEP_1)
	v_add3_u32 v58, v58, v62, v61
	v_lshlrev_b64 v[57:58], 2, v[57:58]
	s_cbranch_vccnz .LBB439_274
; %bb.266:
	v_add_co_u32 v61, vcc_lo, s10, v59
	v_add_co_ci_u32_e32 v62, vcc_lo, s11, v60, vcc_lo
	s_delay_alu instid0(VALU_DEP_3) | instskip(NEXT) | instid1(VALU_DEP_4)
	v_add_co_u32 v59, vcc_lo, s10, v57
	v_add_co_ci_u32_e32 v60, vcc_lo, s11, v58, vcc_lo
	v_mov_b32_e32 v155, 1
	s_clause 0x1
	global_load_b32 v63, v[61:62], off
	global_load_b32 v64, v[59:60], off
	v_mov_b32_e32 v156, 0
	s_mov_b32 s1, exec_lo
	s_waitcnt vmcnt(0)
	v_cmpx_eq_u32_e64 v63, v64
	s_cbranch_execz .LBB439_273
; %bb.267:
	v_add_co_u32 v59, vcc_lo, v59, 4
	v_add_co_ci_u32_e32 v60, vcc_lo, 0, v60, vcc_lo
	v_add_co_u32 v61, vcc_lo, v61, 4
	v_add_co_ci_u32_e32 v62, vcc_lo, 0, v62, vcc_lo
	s_add_u32 s14, s8, -1
	s_addc_u32 s15, s9, -1
	s_mov_b64 s[22:23], 0
	s_mov_b32 s3, 0
                                        ; implicit-def: $sgpr21
	s_set_inst_prefetch_distance 0x1
	s_branch .LBB439_270
	.p2align	6
.LBB439_268:                            ;   in Loop: Header=BB439_270 Depth=1
	global_load_b32 v63, v[61:62], off
	global_load_b32 v64, v[59:60], off
	v_add_co_u32 v59, vcc_lo, v59, 4
	v_add_co_ci_u32_e32 v60, vcc_lo, 0, v60, vcc_lo
	v_add_co_u32 v61, s0, v61, 4
	s_delay_alu instid0(VALU_DEP_1)
	v_add_co_ci_u32_e64 v62, s0, 0, v62, s0
	s_add_u32 s22, s22, 1
	s_addc_u32 s23, s23, 0
	s_and_not1_b32 s0, s21, exec_lo
	s_waitcnt vmcnt(0)
	v_cmp_ne_u32_e32 vcc_lo, v63, v64
	s_and_b32 s21, vcc_lo, exec_lo
	s_delay_alu instid0(SALU_CYCLE_1)
	s_or_b32 s21, s0, s21
.LBB439_269:                            ;   in Loop: Header=BB439_270 Depth=1
	v_dual_mov_b32 v64, s23 :: v_dual_mov_b32 v63, s22
	s_and_b32 s0, exec_lo, s21
	s_delay_alu instid0(SALU_CYCLE_1) | instskip(NEXT) | instid1(SALU_CYCLE_1)
	s_or_b32 s3, s0, s3
	s_and_not1_b32 exec_lo, exec_lo, s3
	s_cbranch_execz .LBB439_272
.LBB439_270:                            ; =>This Inner Loop Header: Depth=1
	s_or_b32 s21, s21, exec_lo
	s_cmp_eq_u64 s[14:15], s[22:23]
	s_cbranch_scc0 .LBB439_268
; %bb.271:                              ;   in Loop: Header=BB439_270 Depth=1
	s_mov_b64 s[22:23], s[8:9]
                                        ; implicit-def: $vgpr59_vgpr60
                                        ; implicit-def: $vgpr61_vgpr62
	s_branch .LBB439_269
.LBB439_272:
	s_set_inst_prefetch_distance 0x2
	s_or_b32 exec_lo, exec_lo, s3
	v_cmp_gt_i64_e32 vcc_lo, s[8:9], v[63:64]
	s_mov_b32 s0, 0
	s_delay_alu instid0(SALU_CYCLE_1)
	v_mov_b32_e32 v156, s0
	v_cndmask_b32_e64 v155, 0, 1, vcc_lo
.LBB439_273:
	s_or_b32 exec_lo, exec_lo, s1
.LBB439_274:
	v_mul_lo_u32 v61, v18, s8
	v_mul_lo_u32 v62, v17, s9
	v_mad_u64_u32 v[59:60], null, v17, s8, 0
	v_mov_b32_e32 v159, 0
	v_mov_b32_e32 v160, 0
	v_cmp_ne_u32_e32 vcc_lo, 1, v65
	s_delay_alu instid0(VALU_DEP_2) | instskip(SKIP_1) | instid1(VALU_DEP_1)
	v_dual_mov_b32 v157, v159 :: v_dual_mov_b32 v158, v160
	v_add3_u32 v60, v60, v62, v61
	v_lshlrev_b64 v[59:60], 2, v[59:60]
	s_cbranch_vccnz .LBB439_283
; %bb.275:
	v_add_co_u32 v61, vcc_lo, s10, v57
	v_add_co_ci_u32_e32 v62, vcc_lo, s11, v58, vcc_lo
	s_delay_alu instid0(VALU_DEP_3) | instskip(NEXT) | instid1(VALU_DEP_4)
	v_add_co_u32 v57, vcc_lo, s10, v59
	v_add_co_ci_u32_e32 v58, vcc_lo, s11, v60, vcc_lo
	v_mov_b32_e32 v157, 1
	s_clause 0x1
	global_load_b32 v63, v[61:62], off
	global_load_b32 v64, v[57:58], off
	v_mov_b32_e32 v158, 0
	s_mov_b32 s1, exec_lo
	s_waitcnt vmcnt(0)
	v_cmpx_eq_u32_e64 v63, v64
	s_cbranch_execz .LBB439_282
; %bb.276:
	v_add_co_u32 v57, vcc_lo, v57, 4
	v_add_co_ci_u32_e32 v58, vcc_lo, 0, v58, vcc_lo
	v_add_co_u32 v61, vcc_lo, v61, 4
	v_add_co_ci_u32_e32 v62, vcc_lo, 0, v62, vcc_lo
	s_add_u32 s14, s8, -1
	s_addc_u32 s15, s9, -1
	s_mov_b64 s[22:23], 0
	s_mov_b32 s3, 0
                                        ; implicit-def: $sgpr21
	s_set_inst_prefetch_distance 0x1
	s_branch .LBB439_279
	.p2align	6
.LBB439_277:                            ;   in Loop: Header=BB439_279 Depth=1
	global_load_b32 v63, v[61:62], off
	global_load_b32 v64, v[57:58], off
	v_add_co_u32 v57, vcc_lo, v57, 4
	v_add_co_ci_u32_e32 v58, vcc_lo, 0, v58, vcc_lo
	v_add_co_u32 v61, s0, v61, 4
	s_delay_alu instid0(VALU_DEP_1)
	v_add_co_ci_u32_e64 v62, s0, 0, v62, s0
	s_add_u32 s22, s22, 1
	s_addc_u32 s23, s23, 0
	s_and_not1_b32 s0, s21, exec_lo
	s_waitcnt vmcnt(0)
	v_cmp_ne_u32_e32 vcc_lo, v63, v64
	s_and_b32 s21, vcc_lo, exec_lo
	s_delay_alu instid0(SALU_CYCLE_1)
	s_or_b32 s21, s0, s21
.LBB439_278:                            ;   in Loop: Header=BB439_279 Depth=1
	v_dual_mov_b32 v64, s23 :: v_dual_mov_b32 v63, s22
	s_and_b32 s0, exec_lo, s21
	s_delay_alu instid0(SALU_CYCLE_1) | instskip(NEXT) | instid1(SALU_CYCLE_1)
	s_or_b32 s3, s0, s3
	s_and_not1_b32 exec_lo, exec_lo, s3
	s_cbranch_execz .LBB439_281
.LBB439_279:                            ; =>This Inner Loop Header: Depth=1
	s_or_b32 s21, s21, exec_lo
	s_cmp_eq_u64 s[14:15], s[22:23]
	s_cbranch_scc0 .LBB439_277
; %bb.280:                              ;   in Loop: Header=BB439_279 Depth=1
	s_mov_b64 s[22:23], s[8:9]
                                        ; implicit-def: $vgpr57_vgpr58
                                        ; implicit-def: $vgpr61_vgpr62
	s_branch .LBB439_278
.LBB439_281:
	s_set_inst_prefetch_distance 0x2
	s_or_b32 exec_lo, exec_lo, s3
	v_cmp_gt_i64_e32 vcc_lo, s[8:9], v[63:64]
	s_mov_b32 s0, 0
	s_delay_alu instid0(SALU_CYCLE_1)
	v_mov_b32_e32 v158, s0
	v_cndmask_b32_e64 v157, 0, 1, vcc_lo
.LBB439_282:
	s_or_b32 exec_lo, exec_lo, s1
.LBB439_283:
	v_mul_lo_u32 v61, v16, s8
	v_mul_lo_u32 v62, v15, s9
	v_mad_u64_u32 v[57:58], null, v15, s8, 0
	v_cmp_ne_u32_e32 vcc_lo, 1, v65
	s_delay_alu instid0(VALU_DEP_2) | instskip(NEXT) | instid1(VALU_DEP_1)
	v_add3_u32 v58, v58, v62, v61
	v_lshlrev_b64 v[57:58], 2, v[57:58]
	s_cbranch_vccnz .LBB439_292
; %bb.284:
	v_add_co_u32 v61, vcc_lo, s10, v59
	v_add_co_ci_u32_e32 v62, vcc_lo, s11, v60, vcc_lo
	s_delay_alu instid0(VALU_DEP_3) | instskip(NEXT) | instid1(VALU_DEP_4)
	v_add_co_u32 v59, vcc_lo, s10, v57
	v_add_co_ci_u32_e32 v60, vcc_lo, s11, v58, vcc_lo
	v_mov_b32_e32 v159, 1
	s_clause 0x1
	global_load_b32 v63, v[61:62], off
	global_load_b32 v64, v[59:60], off
	v_mov_b32_e32 v160, 0
	s_mov_b32 s1, exec_lo
	s_waitcnt vmcnt(0)
	v_cmpx_eq_u32_e64 v63, v64
	s_cbranch_execz .LBB439_291
; %bb.285:
	v_add_co_u32 v59, vcc_lo, v59, 4
	v_add_co_ci_u32_e32 v60, vcc_lo, 0, v60, vcc_lo
	v_add_co_u32 v61, vcc_lo, v61, 4
	v_add_co_ci_u32_e32 v62, vcc_lo, 0, v62, vcc_lo
	s_add_u32 s14, s8, -1
	s_addc_u32 s15, s9, -1
	s_mov_b64 s[22:23], 0
	s_mov_b32 s3, 0
                                        ; implicit-def: $sgpr21
	s_set_inst_prefetch_distance 0x1
	s_branch .LBB439_288
	.p2align	6
.LBB439_286:                            ;   in Loop: Header=BB439_288 Depth=1
	global_load_b32 v63, v[61:62], off
	global_load_b32 v64, v[59:60], off
	v_add_co_u32 v59, vcc_lo, v59, 4
	v_add_co_ci_u32_e32 v60, vcc_lo, 0, v60, vcc_lo
	v_add_co_u32 v61, s0, v61, 4
	s_delay_alu instid0(VALU_DEP_1)
	v_add_co_ci_u32_e64 v62, s0, 0, v62, s0
	s_add_u32 s22, s22, 1
	s_addc_u32 s23, s23, 0
	s_and_not1_b32 s0, s21, exec_lo
	s_waitcnt vmcnt(0)
	v_cmp_ne_u32_e32 vcc_lo, v63, v64
	s_and_b32 s21, vcc_lo, exec_lo
	s_delay_alu instid0(SALU_CYCLE_1)
	s_or_b32 s21, s0, s21
.LBB439_287:                            ;   in Loop: Header=BB439_288 Depth=1
	v_dual_mov_b32 v64, s23 :: v_dual_mov_b32 v63, s22
	s_and_b32 s0, exec_lo, s21
	s_delay_alu instid0(SALU_CYCLE_1) | instskip(NEXT) | instid1(SALU_CYCLE_1)
	s_or_b32 s3, s0, s3
	s_and_not1_b32 exec_lo, exec_lo, s3
	s_cbranch_execz .LBB439_290
.LBB439_288:                            ; =>This Inner Loop Header: Depth=1
	s_or_b32 s21, s21, exec_lo
	s_cmp_eq_u64 s[14:15], s[22:23]
	s_cbranch_scc0 .LBB439_286
; %bb.289:                              ;   in Loop: Header=BB439_288 Depth=1
	s_mov_b64 s[22:23], s[8:9]
                                        ; implicit-def: $vgpr59_vgpr60
                                        ; implicit-def: $vgpr61_vgpr62
	s_branch .LBB439_287
.LBB439_290:
	s_set_inst_prefetch_distance 0x2
	s_or_b32 exec_lo, exec_lo, s3
	v_cmp_gt_i64_e32 vcc_lo, s[8:9], v[63:64]
	s_mov_b32 s0, 0
	s_delay_alu instid0(SALU_CYCLE_1)
	v_mov_b32_e32 v160, s0
	v_cndmask_b32_e64 v159, 0, 1, vcc_lo
.LBB439_291:
	s_or_b32 exec_lo, exec_lo, s1
.LBB439_292:
	v_mul_lo_u32 v61, v14, s8
	v_mul_lo_u32 v62, v13, s9
	v_mad_u64_u32 v[59:60], null, v13, s8, 0
	v_mov_b32_e32 v163, 0
	v_mov_b32_e32 v164, 0
	v_cmp_ne_u32_e32 vcc_lo, 1, v65
	s_delay_alu instid0(VALU_DEP_2) | instskip(SKIP_1) | instid1(VALU_DEP_1)
	v_dual_mov_b32 v161, v163 :: v_dual_mov_b32 v162, v164
	v_add3_u32 v60, v60, v62, v61
	v_lshlrev_b64 v[59:60], 2, v[59:60]
	s_cbranch_vccnz .LBB439_301
; %bb.293:
	v_add_co_u32 v61, vcc_lo, s10, v57
	v_add_co_ci_u32_e32 v62, vcc_lo, s11, v58, vcc_lo
	s_delay_alu instid0(VALU_DEP_3) | instskip(NEXT) | instid1(VALU_DEP_4)
	v_add_co_u32 v57, vcc_lo, s10, v59
	v_add_co_ci_u32_e32 v58, vcc_lo, s11, v60, vcc_lo
	v_mov_b32_e32 v161, 1
	s_clause 0x1
	global_load_b32 v63, v[61:62], off
	global_load_b32 v64, v[57:58], off
	v_mov_b32_e32 v162, 0
	s_mov_b32 s1, exec_lo
	s_waitcnt vmcnt(0)
	v_cmpx_eq_u32_e64 v63, v64
	s_cbranch_execz .LBB439_300
; %bb.294:
	v_add_co_u32 v57, vcc_lo, v57, 4
	v_add_co_ci_u32_e32 v58, vcc_lo, 0, v58, vcc_lo
	v_add_co_u32 v61, vcc_lo, v61, 4
	v_add_co_ci_u32_e32 v62, vcc_lo, 0, v62, vcc_lo
	s_add_u32 s14, s8, -1
	s_addc_u32 s15, s9, -1
	s_mov_b64 s[22:23], 0
	s_mov_b32 s3, 0
                                        ; implicit-def: $sgpr21
	s_set_inst_prefetch_distance 0x1
	s_branch .LBB439_297
	.p2align	6
.LBB439_295:                            ;   in Loop: Header=BB439_297 Depth=1
	global_load_b32 v63, v[61:62], off
	global_load_b32 v64, v[57:58], off
	v_add_co_u32 v57, vcc_lo, v57, 4
	v_add_co_ci_u32_e32 v58, vcc_lo, 0, v58, vcc_lo
	v_add_co_u32 v61, s0, v61, 4
	s_delay_alu instid0(VALU_DEP_1)
	v_add_co_ci_u32_e64 v62, s0, 0, v62, s0
	s_add_u32 s22, s22, 1
	s_addc_u32 s23, s23, 0
	s_and_not1_b32 s0, s21, exec_lo
	s_waitcnt vmcnt(0)
	v_cmp_ne_u32_e32 vcc_lo, v63, v64
	s_and_b32 s21, vcc_lo, exec_lo
	s_delay_alu instid0(SALU_CYCLE_1)
	s_or_b32 s21, s0, s21
.LBB439_296:                            ;   in Loop: Header=BB439_297 Depth=1
	v_dual_mov_b32 v64, s23 :: v_dual_mov_b32 v63, s22
	s_and_b32 s0, exec_lo, s21
	s_delay_alu instid0(SALU_CYCLE_1) | instskip(NEXT) | instid1(SALU_CYCLE_1)
	s_or_b32 s3, s0, s3
	s_and_not1_b32 exec_lo, exec_lo, s3
	s_cbranch_execz .LBB439_299
.LBB439_297:                            ; =>This Inner Loop Header: Depth=1
	s_or_b32 s21, s21, exec_lo
	s_cmp_eq_u64 s[14:15], s[22:23]
	s_cbranch_scc0 .LBB439_295
; %bb.298:                              ;   in Loop: Header=BB439_297 Depth=1
	s_mov_b64 s[22:23], s[8:9]
                                        ; implicit-def: $vgpr57_vgpr58
                                        ; implicit-def: $vgpr61_vgpr62
	s_branch .LBB439_296
.LBB439_299:
	s_set_inst_prefetch_distance 0x2
	s_or_b32 exec_lo, exec_lo, s3
	v_cmp_gt_i64_e32 vcc_lo, s[8:9], v[63:64]
	s_mov_b32 s0, 0
	s_delay_alu instid0(SALU_CYCLE_1)
	v_mov_b32_e32 v162, s0
	v_cndmask_b32_e64 v161, 0, 1, vcc_lo
.LBB439_300:
	s_or_b32 exec_lo, exec_lo, s1
.LBB439_301:
	v_mul_lo_u32 v61, v4, s8
	v_mul_lo_u32 v62, v3, s9
	v_mad_u64_u32 v[57:58], null, v3, s8, 0
	v_cmp_ne_u32_e32 vcc_lo, 1, v65
	s_delay_alu instid0(VALU_DEP_2) | instskip(NEXT) | instid1(VALU_DEP_1)
	v_add3_u32 v58, v58, v62, v61
	v_lshlrev_b64 v[57:58], 2, v[57:58]
	s_cbranch_vccnz .LBB439_310
; %bb.302:
	v_add_co_u32 v61, vcc_lo, s10, v59
	v_add_co_ci_u32_e32 v62, vcc_lo, s11, v60, vcc_lo
	s_delay_alu instid0(VALU_DEP_3) | instskip(NEXT) | instid1(VALU_DEP_4)
	v_add_co_u32 v59, vcc_lo, s10, v57
	v_add_co_ci_u32_e32 v60, vcc_lo, s11, v58, vcc_lo
	v_mov_b32_e32 v163, 1
	s_clause 0x1
	global_load_b32 v63, v[61:62], off
	global_load_b32 v64, v[59:60], off
	v_mov_b32_e32 v164, 0
	s_mov_b32 s1, exec_lo
	s_waitcnt vmcnt(0)
	v_cmpx_eq_u32_e64 v63, v64
	s_cbranch_execz .LBB439_309
; %bb.303:
	v_add_co_u32 v59, vcc_lo, v59, 4
	v_add_co_ci_u32_e32 v60, vcc_lo, 0, v60, vcc_lo
	v_add_co_u32 v61, vcc_lo, v61, 4
	v_add_co_ci_u32_e32 v62, vcc_lo, 0, v62, vcc_lo
	s_add_u32 s14, s8, -1
	s_addc_u32 s15, s9, -1
	s_mov_b64 s[22:23], 0
	s_mov_b32 s3, 0
                                        ; implicit-def: $sgpr21
	s_set_inst_prefetch_distance 0x1
	s_branch .LBB439_306
	.p2align	6
.LBB439_304:                            ;   in Loop: Header=BB439_306 Depth=1
	global_load_b32 v63, v[61:62], off
	global_load_b32 v64, v[59:60], off
	v_add_co_u32 v59, vcc_lo, v59, 4
	v_add_co_ci_u32_e32 v60, vcc_lo, 0, v60, vcc_lo
	v_add_co_u32 v61, s0, v61, 4
	s_delay_alu instid0(VALU_DEP_1)
	v_add_co_ci_u32_e64 v62, s0, 0, v62, s0
	s_add_u32 s22, s22, 1
	s_addc_u32 s23, s23, 0
	s_and_not1_b32 s0, s21, exec_lo
	s_waitcnt vmcnt(0)
	v_cmp_ne_u32_e32 vcc_lo, v63, v64
	s_and_b32 s21, vcc_lo, exec_lo
	s_delay_alu instid0(SALU_CYCLE_1)
	s_or_b32 s21, s0, s21
.LBB439_305:                            ;   in Loop: Header=BB439_306 Depth=1
	v_dual_mov_b32 v64, s23 :: v_dual_mov_b32 v63, s22
	s_and_b32 s0, exec_lo, s21
	s_delay_alu instid0(SALU_CYCLE_1) | instskip(NEXT) | instid1(SALU_CYCLE_1)
	s_or_b32 s3, s0, s3
	s_and_not1_b32 exec_lo, exec_lo, s3
	s_cbranch_execz .LBB439_308
.LBB439_306:                            ; =>This Inner Loop Header: Depth=1
	s_or_b32 s21, s21, exec_lo
	s_cmp_eq_u64 s[14:15], s[22:23]
	s_cbranch_scc0 .LBB439_304
; %bb.307:                              ;   in Loop: Header=BB439_306 Depth=1
	s_mov_b64 s[22:23], s[8:9]
                                        ; implicit-def: $vgpr59_vgpr60
                                        ; implicit-def: $vgpr61_vgpr62
	s_branch .LBB439_305
.LBB439_308:
	s_set_inst_prefetch_distance 0x2
	s_or_b32 exec_lo, exec_lo, s3
	v_cmp_gt_i64_e32 vcc_lo, s[8:9], v[63:64]
	s_mov_b32 s0, 0
	s_delay_alu instid0(SALU_CYCLE_1)
	v_mov_b32_e32 v164, s0
	v_cndmask_b32_e64 v163, 0, 1, vcc_lo
.LBB439_309:
	s_or_b32 exec_lo, exec_lo, s1
.LBB439_310:
	v_cmp_ne_u32_e32 vcc_lo, 1, v65
	s_cbranch_vccnz .LBB439_317
; %bb.311:
	v_mul_lo_u32 v61, v2, s8
	v_mul_lo_u32 v62, v1, s9
	v_mad_u64_u32 v[59:60], null, v1, s8, 0
	v_mov_b32_e32 v165, 1
	v_mov_b32_e32 v166, 0
	s_mov_b32 s1, exec_lo
	s_delay_alu instid0(VALU_DEP_3) | instskip(NEXT) | instid1(VALU_DEP_1)
	v_add3_u32 v60, v60, v62, v61
	v_lshlrev_b64 v[61:62], 2, v[59:60]
	v_add_co_u32 v59, vcc_lo, s10, v57
	v_add_co_ci_u32_e32 v60, vcc_lo, s11, v58, vcc_lo
	s_delay_alu instid0(VALU_DEP_3) | instskip(NEXT) | instid1(VALU_DEP_4)
	v_add_co_u32 v57, vcc_lo, s10, v61
	v_add_co_ci_u32_e32 v58, vcc_lo, s11, v62, vcc_lo
	s_clause 0x1
	global_load_b32 v61, v[59:60], off
	global_load_b32 v62, v[57:58], off
	s_waitcnt vmcnt(0)
	v_cmpx_eq_u32_e64 v61, v62
	s_cbranch_execz .LBB439_319
; %bb.312:
	v_add_co_u32 v57, vcc_lo, v57, 4
	v_add_co_ci_u32_e32 v58, vcc_lo, 0, v58, vcc_lo
	v_add_co_u32 v59, vcc_lo, v59, 4
	v_add_co_ci_u32_e32 v60, vcc_lo, 0, v60, vcc_lo
	s_add_u32 s14, s8, -1
	s_addc_u32 s15, s9, -1
	s_mov_b64 s[22:23], 0
	s_mov_b32 s3, 0
                                        ; implicit-def: $sgpr21
	s_set_inst_prefetch_distance 0x1
	s_branch .LBB439_315
	.p2align	6
.LBB439_313:                            ;   in Loop: Header=BB439_315 Depth=1
	global_load_b32 v61, v[59:60], off
	global_load_b32 v62, v[57:58], off
	v_add_co_u32 v57, vcc_lo, v57, 4
	v_add_co_ci_u32_e32 v58, vcc_lo, 0, v58, vcc_lo
	v_add_co_u32 v59, s0, v59, 4
	s_delay_alu instid0(VALU_DEP_1)
	v_add_co_ci_u32_e64 v60, s0, 0, v60, s0
	s_add_u32 s22, s22, 1
	s_addc_u32 s23, s23, 0
	s_and_not1_b32 s0, s21, exec_lo
	s_waitcnt vmcnt(0)
	v_cmp_ne_u32_e32 vcc_lo, v61, v62
	s_and_b32 s21, vcc_lo, exec_lo
	s_delay_alu instid0(SALU_CYCLE_1)
	s_or_b32 s21, s0, s21
.LBB439_314:                            ;   in Loop: Header=BB439_315 Depth=1
	v_dual_mov_b32 v62, s23 :: v_dual_mov_b32 v61, s22
	s_and_b32 s0, exec_lo, s21
	s_delay_alu instid0(SALU_CYCLE_1) | instskip(NEXT) | instid1(SALU_CYCLE_1)
	s_or_b32 s3, s0, s3
	s_and_not1_b32 exec_lo, exec_lo, s3
	s_cbranch_execz .LBB439_318
.LBB439_315:                            ; =>This Inner Loop Header: Depth=1
	s_or_b32 s21, s21, exec_lo
	s_cmp_eq_u64 s[14:15], s[22:23]
	s_cbranch_scc0 .LBB439_313
; %bb.316:                              ;   in Loop: Header=BB439_315 Depth=1
	s_mov_b64 s[22:23], s[8:9]
                                        ; implicit-def: $vgpr57_vgpr58
                                        ; implicit-def: $vgpr59_vgpr60
	s_branch .LBB439_314
.LBB439_317:
	v_mov_b32_e32 v165, 0
	v_mov_b32_e32 v166, 0
	s_branch .LBB439_320
.LBB439_318:
	s_set_inst_prefetch_distance 0x2
	s_or_b32 exec_lo, exec_lo, s3
	v_cmp_gt_i64_e32 vcc_lo, s[8:9], v[61:62]
	s_mov_b32 s0, 0
	s_delay_alu instid0(SALU_CYCLE_1)
	v_mov_b32_e32 v166, s0
	v_cndmask_b32_e64 v165, 0, 1, vcc_lo
.LBB439_319:
	s_or_b32 exec_lo, exec_lo, s1
.LBB439_320:
	s_waitcnt lgkmcnt(0)
	v_dual_mov_b32 v58, s13 :: v_dual_mov_b32 v57, s12
	s_mov_b32 s0, 0
	s_mov_b32 s1, exec_lo
	s_barrier
	buffer_gl0_inv
	v_cmpx_ne_u32_e32 0, v0
	s_cbranch_execz .LBB439_322
; %bb.321:
	v_add_nc_u32_e32 v57, -8, v195
	ds_load_b64 v[57:58], v57
.LBB439_322:
	s_or_b32 exec_lo, exec_lo, s1
	v_cmp_ne_u32_e32 vcc_lo, 1, v65
	s_cbranch_vccnz .LBB439_331
; %bb.323:
	v_mul_lo_u32 v63, v2, s8
	v_mul_lo_u32 v64, v1, s9
	v_mad_u64_u32 v[59:60], null, v1, s8, 0
	s_waitcnt lgkmcnt(0)
	v_mul_lo_u32 v58, v58, s8
	v_mul_lo_u32 v65, v57, s9
	v_mad_u64_u32 v[61:62], null, v57, s8, 0
	s_mov_b32 s0, -1
	s_mov_b32 s1, exec_lo
	s_delay_alu instid0(VALU_DEP_4) | instskip(NEXT) | instid1(VALU_DEP_2)
	v_add3_u32 v60, v60, v64, v63
	v_add3_u32 v62, v62, v65, v58
	s_delay_alu instid0(VALU_DEP_2) | instskip(NEXT) | instid1(VALU_DEP_2)
	v_lshlrev_b64 v[57:58], 2, v[59:60]
	v_lshlrev_b64 v[61:62], 2, v[61:62]
	s_delay_alu instid0(VALU_DEP_2) | instskip(NEXT) | instid1(VALU_DEP_3)
	v_add_co_u32 v59, vcc_lo, s10, v57
	v_add_co_ci_u32_e32 v60, vcc_lo, s11, v58, vcc_lo
	s_delay_alu instid0(VALU_DEP_3) | instskip(NEXT) | instid1(VALU_DEP_4)
	v_add_co_u32 v57, vcc_lo, s10, v61
	v_add_co_ci_u32_e32 v58, vcc_lo, s11, v62, vcc_lo
	s_clause 0x1
	global_load_b32 v61, v[59:60], off
	global_load_b32 v62, v[57:58], off
	s_waitcnt vmcnt(0)
	v_cmpx_eq_u32_e64 v61, v62
	s_cbranch_execz .LBB439_330
; %bb.324:
	v_add_co_u32 v57, vcc_lo, v57, 4
	v_add_co_ci_u32_e32 v58, vcc_lo, 0, v58, vcc_lo
	v_add_co_u32 v59, vcc_lo, v59, 4
	v_add_co_ci_u32_e32 v60, vcc_lo, 0, v60, vcc_lo
	s_add_u32 s14, s8, -1
	s_addc_u32 s15, s9, -1
	s_mov_b64 s[22:23], 0
	s_mov_b32 s3, 0
                                        ; implicit-def: $sgpr21
	s_set_inst_prefetch_distance 0x1
	s_branch .LBB439_327
	.p2align	6
.LBB439_325:                            ;   in Loop: Header=BB439_327 Depth=1
	global_load_b32 v61, v[59:60], off
	global_load_b32 v62, v[57:58], off
	v_add_co_u32 v57, vcc_lo, v57, 4
	v_add_co_ci_u32_e32 v58, vcc_lo, 0, v58, vcc_lo
	v_add_co_u32 v59, s0, v59, 4
	s_delay_alu instid0(VALU_DEP_1)
	v_add_co_ci_u32_e64 v60, s0, 0, v60, s0
	s_add_u32 s22, s22, 1
	s_addc_u32 s23, s23, 0
	s_and_not1_b32 s0, s21, exec_lo
	s_waitcnt vmcnt(0)
	v_cmp_ne_u32_e32 vcc_lo, v61, v62
	s_and_b32 s21, vcc_lo, exec_lo
	s_delay_alu instid0(SALU_CYCLE_1)
	s_or_b32 s21, s0, s21
.LBB439_326:                            ;   in Loop: Header=BB439_327 Depth=1
	v_dual_mov_b32 v62, s23 :: v_dual_mov_b32 v61, s22
	s_and_b32 s0, exec_lo, s21
	s_delay_alu instid0(SALU_CYCLE_1) | instskip(NEXT) | instid1(SALU_CYCLE_1)
	s_or_b32 s3, s0, s3
	s_and_not1_b32 exec_lo, exec_lo, s3
	s_cbranch_execz .LBB439_329
.LBB439_327:                            ; =>This Inner Loop Header: Depth=1
	s_or_b32 s21, s21, exec_lo
	s_cmp_eq_u64 s[14:15], s[22:23]
	s_cbranch_scc0 .LBB439_325
; %bb.328:                              ;   in Loop: Header=BB439_327 Depth=1
	s_mov_b64 s[22:23], s[8:9]
                                        ; implicit-def: $vgpr57_vgpr58
                                        ; implicit-def: $vgpr59_vgpr60
	s_branch .LBB439_326
.LBB439_329:
	s_set_inst_prefetch_distance 0x2
	s_or_b32 exec_lo, exec_lo, s3
	v_cmp_gt_i64_e32 vcc_lo, s[8:9], v[61:62]
	s_or_not1_b32 s0, vcc_lo, exec_lo
.LBB439_330:
	s_or_b32 exec_lo, exec_lo, s1
.LBB439_331:
	s_mov_b32 s1, -1
	s_branch .LBB439_73
.LBB439_332:
	v_cmp_gt_i64_e64 s0, s[8:9], 0
	s_waitcnt lgkmcnt(0)
	v_mad_u32_u24 v57, v0, 29, 28
	v_mul_u32_u24_e32 v64, 29, v0
	v_dual_mov_b32 v112, v110 :: v_dual_mov_b32 v111, v109
	s_mul_i32 s3, s20, 0xfffff180
	v_cndmask_b32_e64 v63, 0, 1, s0
	s_add_i32 s3, s3, s6
	s_mov_b32 s22, exec_lo
	ds_store_b64 v195, v[109:110]
	v_cmpx_gt_u32_e64 s3, v57
	s_cbranch_execz .LBB439_343
; %bb.333:
	s_and_not1_b32 vcc_lo, exec_lo, s0
	s_cbranch_vccnz .LBB439_340
; %bb.334:
	v_mul_lo_u32 v61, v110, s8
	v_mul_lo_u32 v62, v109, s9
	v_mad_u64_u32 v[57:58], null, v109, s8, 0
	v_mul_lo_u32 v65, v8, s8
	v_mul_lo_u32 v66, v7, s9
	v_mad_u64_u32 v[59:60], null, v7, s8, 0
	v_mov_b32_e32 v111, 1
	v_mov_b32_e32 v112, 0
	v_add3_u32 v58, v58, v62, v61
	s_mov_b32 s23, exec_lo
	s_delay_alu instid0(VALU_DEP_4) | instskip(NEXT) | instid1(VALU_DEP_2)
	v_add3_u32 v60, v60, v66, v65
	v_lshlrev_b64 v[57:58], 2, v[57:58]
	s_delay_alu instid0(VALU_DEP_2) | instskip(NEXT) | instid1(VALU_DEP_2)
	v_lshlrev_b64 v[61:62], 2, v[59:60]
	v_add_co_u32 v59, vcc_lo, s10, v57
	s_delay_alu instid0(VALU_DEP_3) | instskip(NEXT) | instid1(VALU_DEP_3)
	v_add_co_ci_u32_e32 v60, vcc_lo, s11, v58, vcc_lo
	v_add_co_u32 v57, vcc_lo, s10, v61
	s_delay_alu instid0(VALU_DEP_4)
	v_add_co_ci_u32_e32 v58, vcc_lo, s11, v62, vcc_lo
	s_clause 0x1
	global_load_b32 v61, v[59:60], off
	global_load_b32 v62, v[57:58], off
	s_waitcnt vmcnt(0)
	v_cmpx_eq_u32_e64 v61, v62
	s_cbranch_execz .LBB439_342
; %bb.335:
	v_add_co_u32 v57, vcc_lo, v57, 4
	v_add_co_ci_u32_e32 v58, vcc_lo, 0, v58, vcc_lo
	v_add_co_u32 v59, vcc_lo, v59, 4
	v_add_co_ci_u32_e32 v60, vcc_lo, 0, v60, vcc_lo
	s_add_u32 s14, s8, -1
	s_addc_u32 s15, s9, -1
	s_mov_b64 s[20:21], 0
	s_mov_b32 s24, 0
                                        ; implicit-def: $sgpr25
	s_set_inst_prefetch_distance 0x1
	s_branch .LBB439_338
	.p2align	6
.LBB439_336:                            ;   in Loop: Header=BB439_338 Depth=1
	global_load_b32 v61, v[59:60], off
	global_load_b32 v62, v[57:58], off
	v_add_co_u32 v57, vcc_lo, v57, 4
	v_add_co_ci_u32_e32 v58, vcc_lo, 0, v58, vcc_lo
	v_add_co_u32 v59, s0, v59, 4
	s_delay_alu instid0(VALU_DEP_1)
	v_add_co_ci_u32_e64 v60, s0, 0, v60, s0
	s_add_u32 s20, s20, 1
	s_addc_u32 s21, s21, 0
	s_and_not1_b32 s0, s25, exec_lo
	s_waitcnt vmcnt(0)
	v_cmp_ne_u32_e32 vcc_lo, v61, v62
	s_and_b32 s25, vcc_lo, exec_lo
	s_delay_alu instid0(SALU_CYCLE_1)
	s_or_b32 s25, s0, s25
.LBB439_337:                            ;   in Loop: Header=BB439_338 Depth=1
	v_dual_mov_b32 v62, s21 :: v_dual_mov_b32 v61, s20
	s_and_b32 s0, exec_lo, s25
	s_delay_alu instid0(SALU_CYCLE_1) | instskip(NEXT) | instid1(SALU_CYCLE_1)
	s_or_b32 s24, s0, s24
	s_and_not1_b32 exec_lo, exec_lo, s24
	s_cbranch_execz .LBB439_341
.LBB439_338:                            ; =>This Inner Loop Header: Depth=1
	s_or_b32 s25, s25, exec_lo
	s_cmp_eq_u64 s[14:15], s[20:21]
	s_cbranch_scc0 .LBB439_336
; %bb.339:                              ;   in Loop: Header=BB439_338 Depth=1
	s_mov_b64 s[20:21], s[8:9]
                                        ; implicit-def: $vgpr57_vgpr58
                                        ; implicit-def: $vgpr59_vgpr60
	s_branch .LBB439_337
.LBB439_340:
	v_mov_b32_e32 v111, 0
	v_mov_b32_e32 v112, 0
	s_branch .LBB439_343
.LBB439_341:
	s_set_inst_prefetch_distance 0x2
	s_or_b32 exec_lo, exec_lo, s24
	v_cmp_gt_i64_e32 vcc_lo, s[8:9], v[61:62]
	s_mov_b32 s0, 0
	s_delay_alu instid0(SALU_CYCLE_1)
	v_mov_b32_e32 v112, s0
	v_cndmask_b32_e64 v111, 0, 1, vcc_lo
.LBB439_342:
	s_or_b32 exec_lo, exec_lo, s23
.LBB439_343:
	s_delay_alu instid0(SALU_CYCLE_1) | instskip(SKIP_3) | instid1(VALU_DEP_2)
	s_or_b32 exec_lo, exec_lo, s22
	v_dual_mov_b32 v116, v8 :: v_dual_add_nc_u32 v57, 27, v64
	v_mov_b32_e32 v115, v7
	s_mov_b32 s22, exec_lo
	v_cmpx_gt_u32_e64 s3, v57
	s_cbranch_execz .LBB439_354
; %bb.344:
	v_cmp_ne_u32_e32 vcc_lo, 1, v63
	s_cbranch_vccnz .LBB439_351
; %bb.345:
	v_mul_lo_u32 v61, v8, s8
	v_mul_lo_u32 v62, v7, s9
	v_mad_u64_u32 v[57:58], null, v7, s8, 0
	v_mul_lo_u32 v65, v6, s8
	v_mul_lo_u32 v66, v5, s9
	v_mad_u64_u32 v[59:60], null, v5, s8, 0
	v_mov_b32_e32 v115, 1
	v_mov_b32_e32 v116, 0
	v_add3_u32 v58, v58, v62, v61
	s_mov_b32 s23, exec_lo
	s_delay_alu instid0(VALU_DEP_4) | instskip(NEXT) | instid1(VALU_DEP_2)
	v_add3_u32 v60, v60, v66, v65
	v_lshlrev_b64 v[57:58], 2, v[57:58]
	s_delay_alu instid0(VALU_DEP_2) | instskip(NEXT) | instid1(VALU_DEP_2)
	v_lshlrev_b64 v[61:62], 2, v[59:60]
	v_add_co_u32 v59, vcc_lo, s10, v57
	s_delay_alu instid0(VALU_DEP_3) | instskip(NEXT) | instid1(VALU_DEP_3)
	v_add_co_ci_u32_e32 v60, vcc_lo, s11, v58, vcc_lo
	v_add_co_u32 v57, vcc_lo, s10, v61
	s_delay_alu instid0(VALU_DEP_4)
	v_add_co_ci_u32_e32 v58, vcc_lo, s11, v62, vcc_lo
	s_clause 0x1
	global_load_b32 v61, v[59:60], off
	global_load_b32 v62, v[57:58], off
	s_waitcnt vmcnt(0)
	v_cmpx_eq_u32_e64 v61, v62
	s_cbranch_execz .LBB439_353
; %bb.346:
	v_add_co_u32 v57, vcc_lo, v57, 4
	v_add_co_ci_u32_e32 v58, vcc_lo, 0, v58, vcc_lo
	v_add_co_u32 v59, vcc_lo, v59, 4
	v_add_co_ci_u32_e32 v60, vcc_lo, 0, v60, vcc_lo
	s_add_u32 s14, s8, -1
	s_addc_u32 s15, s9, -1
	s_mov_b64 s[20:21], 0
	s_mov_b32 s24, 0
                                        ; implicit-def: $sgpr25
	s_set_inst_prefetch_distance 0x1
	s_branch .LBB439_349
	.p2align	6
.LBB439_347:                            ;   in Loop: Header=BB439_349 Depth=1
	global_load_b32 v61, v[59:60], off
	global_load_b32 v62, v[57:58], off
	v_add_co_u32 v57, vcc_lo, v57, 4
	v_add_co_ci_u32_e32 v58, vcc_lo, 0, v58, vcc_lo
	v_add_co_u32 v59, s0, v59, 4
	s_delay_alu instid0(VALU_DEP_1)
	v_add_co_ci_u32_e64 v60, s0, 0, v60, s0
	s_add_u32 s20, s20, 1
	s_addc_u32 s21, s21, 0
	s_and_not1_b32 s0, s25, exec_lo
	s_waitcnt vmcnt(0)
	v_cmp_ne_u32_e32 vcc_lo, v61, v62
	s_and_b32 s25, vcc_lo, exec_lo
	s_delay_alu instid0(SALU_CYCLE_1)
	s_or_b32 s25, s0, s25
.LBB439_348:                            ;   in Loop: Header=BB439_349 Depth=1
	v_dual_mov_b32 v62, s21 :: v_dual_mov_b32 v61, s20
	s_and_b32 s0, exec_lo, s25
	s_delay_alu instid0(SALU_CYCLE_1) | instskip(NEXT) | instid1(SALU_CYCLE_1)
	s_or_b32 s24, s0, s24
	s_and_not1_b32 exec_lo, exec_lo, s24
	s_cbranch_execz .LBB439_352
.LBB439_349:                            ; =>This Inner Loop Header: Depth=1
	s_or_b32 s25, s25, exec_lo
	s_cmp_eq_u64 s[14:15], s[20:21]
	s_cbranch_scc0 .LBB439_347
; %bb.350:                              ;   in Loop: Header=BB439_349 Depth=1
	s_mov_b64 s[20:21], s[8:9]
                                        ; implicit-def: $vgpr57_vgpr58
                                        ; implicit-def: $vgpr59_vgpr60
	s_branch .LBB439_348
.LBB439_351:
	v_mov_b32_e32 v115, 0
	v_mov_b32_e32 v116, 0
	s_branch .LBB439_354
.LBB439_352:
	s_set_inst_prefetch_distance 0x2
	s_or_b32 exec_lo, exec_lo, s24
	v_cmp_gt_i64_e32 vcc_lo, s[8:9], v[61:62]
	s_mov_b32 s0, 0
	s_delay_alu instid0(SALU_CYCLE_1)
	v_mov_b32_e32 v116, s0
	v_cndmask_b32_e64 v115, 0, 1, vcc_lo
.LBB439_353:
	s_or_b32 exec_lo, exec_lo, s23
.LBB439_354:
	s_delay_alu instid0(SALU_CYCLE_1) | instskip(SKIP_3) | instid1(VALU_DEP_2)
	s_or_b32 exec_lo, exec_lo, s22
	v_dual_mov_b32 v114, v6 :: v_dual_add_nc_u32 v57, 26, v64
	v_mov_b32_e32 v113, v5
	s_mov_b32 s22, exec_lo
	v_cmpx_gt_u32_e64 s3, v57
	s_cbranch_execz .LBB439_365
; %bb.355:
	v_cmp_ne_u32_e32 vcc_lo, 1, v63
	s_cbranch_vccnz .LBB439_362
; %bb.356:
	v_mul_lo_u32 v61, v6, s8
	v_mul_lo_u32 v62, v5, s9
	v_mad_u64_u32 v[57:58], null, v5, s8, 0
	v_mul_lo_u32 v65, v12, s8
	v_mul_lo_u32 v66, v11, s9
	v_mad_u64_u32 v[59:60], null, v11, s8, 0
	v_mov_b32_e32 v113, 1
	v_mov_b32_e32 v114, 0
	v_add3_u32 v58, v58, v62, v61
	s_mov_b32 s23, exec_lo
	s_delay_alu instid0(VALU_DEP_4) | instskip(NEXT) | instid1(VALU_DEP_2)
	v_add3_u32 v60, v60, v66, v65
	v_lshlrev_b64 v[57:58], 2, v[57:58]
	s_delay_alu instid0(VALU_DEP_2) | instskip(NEXT) | instid1(VALU_DEP_2)
	v_lshlrev_b64 v[61:62], 2, v[59:60]
	v_add_co_u32 v59, vcc_lo, s10, v57
	s_delay_alu instid0(VALU_DEP_3) | instskip(NEXT) | instid1(VALU_DEP_3)
	v_add_co_ci_u32_e32 v60, vcc_lo, s11, v58, vcc_lo
	v_add_co_u32 v57, vcc_lo, s10, v61
	s_delay_alu instid0(VALU_DEP_4)
	v_add_co_ci_u32_e32 v58, vcc_lo, s11, v62, vcc_lo
	s_clause 0x1
	global_load_b32 v61, v[59:60], off
	global_load_b32 v62, v[57:58], off
	s_waitcnt vmcnt(0)
	v_cmpx_eq_u32_e64 v61, v62
	s_cbranch_execz .LBB439_364
; %bb.357:
	v_add_co_u32 v57, vcc_lo, v57, 4
	v_add_co_ci_u32_e32 v58, vcc_lo, 0, v58, vcc_lo
	v_add_co_u32 v59, vcc_lo, v59, 4
	v_add_co_ci_u32_e32 v60, vcc_lo, 0, v60, vcc_lo
	s_add_u32 s14, s8, -1
	s_addc_u32 s15, s9, -1
	s_mov_b64 s[20:21], 0
	s_mov_b32 s24, 0
                                        ; implicit-def: $sgpr25
	s_set_inst_prefetch_distance 0x1
	s_branch .LBB439_360
	.p2align	6
.LBB439_358:                            ;   in Loop: Header=BB439_360 Depth=1
	global_load_b32 v61, v[59:60], off
	global_load_b32 v62, v[57:58], off
	v_add_co_u32 v57, vcc_lo, v57, 4
	v_add_co_ci_u32_e32 v58, vcc_lo, 0, v58, vcc_lo
	v_add_co_u32 v59, s0, v59, 4
	s_delay_alu instid0(VALU_DEP_1)
	v_add_co_ci_u32_e64 v60, s0, 0, v60, s0
	s_add_u32 s20, s20, 1
	s_addc_u32 s21, s21, 0
	s_and_not1_b32 s0, s25, exec_lo
	s_waitcnt vmcnt(0)
	v_cmp_ne_u32_e32 vcc_lo, v61, v62
	s_and_b32 s25, vcc_lo, exec_lo
	s_delay_alu instid0(SALU_CYCLE_1)
	s_or_b32 s25, s0, s25
.LBB439_359:                            ;   in Loop: Header=BB439_360 Depth=1
	v_dual_mov_b32 v62, s21 :: v_dual_mov_b32 v61, s20
	s_and_b32 s0, exec_lo, s25
	s_delay_alu instid0(SALU_CYCLE_1) | instskip(NEXT) | instid1(SALU_CYCLE_1)
	s_or_b32 s24, s0, s24
	s_and_not1_b32 exec_lo, exec_lo, s24
	s_cbranch_execz .LBB439_363
.LBB439_360:                            ; =>This Inner Loop Header: Depth=1
	s_or_b32 s25, s25, exec_lo
	s_cmp_eq_u64 s[14:15], s[20:21]
	s_cbranch_scc0 .LBB439_358
; %bb.361:                              ;   in Loop: Header=BB439_360 Depth=1
	s_mov_b64 s[20:21], s[8:9]
                                        ; implicit-def: $vgpr57_vgpr58
                                        ; implicit-def: $vgpr59_vgpr60
	s_branch .LBB439_359
.LBB439_362:
	v_mov_b32_e32 v113, 0
	v_mov_b32_e32 v114, 0
	s_branch .LBB439_365
.LBB439_363:
	s_set_inst_prefetch_distance 0x2
	s_or_b32 exec_lo, exec_lo, s24
	v_cmp_gt_i64_e32 vcc_lo, s[8:9], v[61:62]
	s_mov_b32 s0, 0
	s_delay_alu instid0(SALU_CYCLE_1)
	v_mov_b32_e32 v114, s0
	v_cndmask_b32_e64 v113, 0, 1, vcc_lo
.LBB439_364:
	s_or_b32 exec_lo, exec_lo, s23
.LBB439_365:
	s_delay_alu instid0(SALU_CYCLE_1) | instskip(SKIP_3) | instid1(VALU_DEP_2)
	s_or_b32 exec_lo, exec_lo, s22
	v_dual_mov_b32 v118, v12 :: v_dual_add_nc_u32 v57, 25, v64
	v_mov_b32_e32 v117, v11
	s_mov_b32 s22, exec_lo
	v_cmpx_gt_u32_e64 s3, v57
	s_cbranch_execz .LBB439_376
; %bb.366:
	v_cmp_ne_u32_e32 vcc_lo, 1, v63
	s_cbranch_vccnz .LBB439_373
; %bb.367:
	v_mul_lo_u32 v61, v12, s8
	v_mul_lo_u32 v62, v11, s9
	v_mad_u64_u32 v[57:58], null, v11, s8, 0
	v_mul_lo_u32 v65, v10, s8
	v_mul_lo_u32 v66, v9, s9
	v_mad_u64_u32 v[59:60], null, v9, s8, 0
	v_mov_b32_e32 v117, 1
	v_mov_b32_e32 v118, 0
	v_add3_u32 v58, v58, v62, v61
	s_mov_b32 s23, exec_lo
	s_delay_alu instid0(VALU_DEP_4) | instskip(NEXT) | instid1(VALU_DEP_2)
	v_add3_u32 v60, v60, v66, v65
	v_lshlrev_b64 v[57:58], 2, v[57:58]
	s_delay_alu instid0(VALU_DEP_2) | instskip(NEXT) | instid1(VALU_DEP_2)
	v_lshlrev_b64 v[61:62], 2, v[59:60]
	v_add_co_u32 v59, vcc_lo, s10, v57
	s_delay_alu instid0(VALU_DEP_3) | instskip(NEXT) | instid1(VALU_DEP_3)
	v_add_co_ci_u32_e32 v60, vcc_lo, s11, v58, vcc_lo
	v_add_co_u32 v57, vcc_lo, s10, v61
	s_delay_alu instid0(VALU_DEP_4)
	v_add_co_ci_u32_e32 v58, vcc_lo, s11, v62, vcc_lo
	s_clause 0x1
	global_load_b32 v61, v[59:60], off
	global_load_b32 v62, v[57:58], off
	s_waitcnt vmcnt(0)
	v_cmpx_eq_u32_e64 v61, v62
	s_cbranch_execz .LBB439_375
; %bb.368:
	v_add_co_u32 v57, vcc_lo, v57, 4
	v_add_co_ci_u32_e32 v58, vcc_lo, 0, v58, vcc_lo
	v_add_co_u32 v59, vcc_lo, v59, 4
	v_add_co_ci_u32_e32 v60, vcc_lo, 0, v60, vcc_lo
	s_add_u32 s14, s8, -1
	s_addc_u32 s15, s9, -1
	s_mov_b64 s[20:21], 0
	s_mov_b32 s24, 0
                                        ; implicit-def: $sgpr25
	s_set_inst_prefetch_distance 0x1
	s_branch .LBB439_371
	.p2align	6
.LBB439_369:                            ;   in Loop: Header=BB439_371 Depth=1
	global_load_b32 v61, v[59:60], off
	global_load_b32 v62, v[57:58], off
	v_add_co_u32 v57, vcc_lo, v57, 4
	v_add_co_ci_u32_e32 v58, vcc_lo, 0, v58, vcc_lo
	v_add_co_u32 v59, s0, v59, 4
	s_delay_alu instid0(VALU_DEP_1)
	v_add_co_ci_u32_e64 v60, s0, 0, v60, s0
	s_add_u32 s20, s20, 1
	s_addc_u32 s21, s21, 0
	s_and_not1_b32 s0, s25, exec_lo
	s_waitcnt vmcnt(0)
	v_cmp_ne_u32_e32 vcc_lo, v61, v62
	s_and_b32 s25, vcc_lo, exec_lo
	s_delay_alu instid0(SALU_CYCLE_1)
	s_or_b32 s25, s0, s25
.LBB439_370:                            ;   in Loop: Header=BB439_371 Depth=1
	v_dual_mov_b32 v62, s21 :: v_dual_mov_b32 v61, s20
	s_and_b32 s0, exec_lo, s25
	s_delay_alu instid0(SALU_CYCLE_1) | instskip(NEXT) | instid1(SALU_CYCLE_1)
	s_or_b32 s24, s0, s24
	s_and_not1_b32 exec_lo, exec_lo, s24
	s_cbranch_execz .LBB439_374
.LBB439_371:                            ; =>This Inner Loop Header: Depth=1
	s_or_b32 s25, s25, exec_lo
	s_cmp_eq_u64 s[14:15], s[20:21]
	s_cbranch_scc0 .LBB439_369
; %bb.372:                              ;   in Loop: Header=BB439_371 Depth=1
	s_mov_b64 s[20:21], s[8:9]
                                        ; implicit-def: $vgpr57_vgpr58
                                        ; implicit-def: $vgpr59_vgpr60
	s_branch .LBB439_370
.LBB439_373:
	v_mov_b32_e32 v117, 0
	v_mov_b32_e32 v118, 0
	s_branch .LBB439_376
.LBB439_374:
	s_set_inst_prefetch_distance 0x2
	s_or_b32 exec_lo, exec_lo, s24
	v_cmp_gt_i64_e32 vcc_lo, s[8:9], v[61:62]
	s_mov_b32 s0, 0
	s_delay_alu instid0(SALU_CYCLE_1)
	v_mov_b32_e32 v118, s0
	v_cndmask_b32_e64 v117, 0, 1, vcc_lo
.LBB439_375:
	s_or_b32 exec_lo, exec_lo, s23
.LBB439_376:
	s_delay_alu instid0(SALU_CYCLE_1) | instskip(SKIP_3) | instid1(VALU_DEP_2)
	s_or_b32 exec_lo, exec_lo, s22
	v_dual_mov_b32 v120, v10 :: v_dual_add_nc_u32 v57, 24, v64
	v_mov_b32_e32 v119, v9
	s_mov_b32 s22, exec_lo
	v_cmpx_gt_u32_e64 s3, v57
	s_cbranch_execz .LBB439_387
; %bb.377:
	v_cmp_ne_u32_e32 vcc_lo, 1, v63
	s_cbranch_vccnz .LBB439_384
; %bb.378:
	v_mul_lo_u32 v61, v10, s8
	v_mul_lo_u32 v62, v9, s9
	v_mad_u64_u32 v[57:58], null, v9, s8, 0
	v_mul_lo_u32 v65, v56, s8
	v_mul_lo_u32 v66, v55, s9
	v_mad_u64_u32 v[59:60], null, v55, s8, 0
	v_mov_b32_e32 v119, 1
	v_mov_b32_e32 v120, 0
	v_add3_u32 v58, v58, v62, v61
	s_mov_b32 s23, exec_lo
	s_delay_alu instid0(VALU_DEP_4) | instskip(NEXT) | instid1(VALU_DEP_2)
	v_add3_u32 v60, v60, v66, v65
	v_lshlrev_b64 v[57:58], 2, v[57:58]
	s_delay_alu instid0(VALU_DEP_2) | instskip(NEXT) | instid1(VALU_DEP_2)
	v_lshlrev_b64 v[61:62], 2, v[59:60]
	v_add_co_u32 v59, vcc_lo, s10, v57
	s_delay_alu instid0(VALU_DEP_3) | instskip(NEXT) | instid1(VALU_DEP_3)
	v_add_co_ci_u32_e32 v60, vcc_lo, s11, v58, vcc_lo
	v_add_co_u32 v57, vcc_lo, s10, v61
	s_delay_alu instid0(VALU_DEP_4)
	v_add_co_ci_u32_e32 v58, vcc_lo, s11, v62, vcc_lo
	s_clause 0x1
	global_load_b32 v61, v[59:60], off
	global_load_b32 v62, v[57:58], off
	s_waitcnt vmcnt(0)
	v_cmpx_eq_u32_e64 v61, v62
	s_cbranch_execz .LBB439_386
; %bb.379:
	v_add_co_u32 v57, vcc_lo, v57, 4
	v_add_co_ci_u32_e32 v58, vcc_lo, 0, v58, vcc_lo
	v_add_co_u32 v59, vcc_lo, v59, 4
	v_add_co_ci_u32_e32 v60, vcc_lo, 0, v60, vcc_lo
	s_add_u32 s14, s8, -1
	s_addc_u32 s15, s9, -1
	s_mov_b64 s[20:21], 0
	s_mov_b32 s24, 0
                                        ; implicit-def: $sgpr25
	s_set_inst_prefetch_distance 0x1
	s_branch .LBB439_382
	.p2align	6
.LBB439_380:                            ;   in Loop: Header=BB439_382 Depth=1
	global_load_b32 v61, v[59:60], off
	global_load_b32 v62, v[57:58], off
	v_add_co_u32 v57, vcc_lo, v57, 4
	v_add_co_ci_u32_e32 v58, vcc_lo, 0, v58, vcc_lo
	v_add_co_u32 v59, s0, v59, 4
	s_delay_alu instid0(VALU_DEP_1)
	v_add_co_ci_u32_e64 v60, s0, 0, v60, s0
	s_add_u32 s20, s20, 1
	s_addc_u32 s21, s21, 0
	s_and_not1_b32 s0, s25, exec_lo
	s_waitcnt vmcnt(0)
	v_cmp_ne_u32_e32 vcc_lo, v61, v62
	s_and_b32 s25, vcc_lo, exec_lo
	s_delay_alu instid0(SALU_CYCLE_1)
	s_or_b32 s25, s0, s25
.LBB439_381:                            ;   in Loop: Header=BB439_382 Depth=1
	v_dual_mov_b32 v62, s21 :: v_dual_mov_b32 v61, s20
	s_and_b32 s0, exec_lo, s25
	s_delay_alu instid0(SALU_CYCLE_1) | instskip(NEXT) | instid1(SALU_CYCLE_1)
	s_or_b32 s24, s0, s24
	s_and_not1_b32 exec_lo, exec_lo, s24
	s_cbranch_execz .LBB439_385
.LBB439_382:                            ; =>This Inner Loop Header: Depth=1
	s_or_b32 s25, s25, exec_lo
	s_cmp_eq_u64 s[14:15], s[20:21]
	s_cbranch_scc0 .LBB439_380
; %bb.383:                              ;   in Loop: Header=BB439_382 Depth=1
	s_mov_b64 s[20:21], s[8:9]
                                        ; implicit-def: $vgpr57_vgpr58
                                        ; implicit-def: $vgpr59_vgpr60
	s_branch .LBB439_381
.LBB439_384:
	v_mov_b32_e32 v119, 0
	v_mov_b32_e32 v120, 0
	s_branch .LBB439_387
.LBB439_385:
	s_set_inst_prefetch_distance 0x2
	s_or_b32 exec_lo, exec_lo, s24
	v_cmp_gt_i64_e32 vcc_lo, s[8:9], v[61:62]
	s_mov_b32 s0, 0
	s_delay_alu instid0(SALU_CYCLE_1)
	v_mov_b32_e32 v120, s0
	v_cndmask_b32_e64 v119, 0, 1, vcc_lo
.LBB439_386:
	s_or_b32 exec_lo, exec_lo, s23
.LBB439_387:
	s_delay_alu instid0(SALU_CYCLE_1) | instskip(SKIP_3) | instid1(VALU_DEP_2)
	s_or_b32 exec_lo, exec_lo, s22
	v_dual_mov_b32 v122, v56 :: v_dual_add_nc_u32 v57, 23, v64
	v_mov_b32_e32 v121, v55
	s_mov_b32 s22, exec_lo
	v_cmpx_gt_u32_e64 s3, v57
	s_cbranch_execz .LBB439_398
; %bb.388:
	v_cmp_ne_u32_e32 vcc_lo, 1, v63
	s_cbranch_vccnz .LBB439_395
; %bb.389:
	v_mul_lo_u32 v61, v56, s8
	v_mul_lo_u32 v62, v55, s9
	v_mad_u64_u32 v[57:58], null, v55, s8, 0
	v_mul_lo_u32 v65, v54, s8
	v_mul_lo_u32 v66, v53, s9
	v_mad_u64_u32 v[59:60], null, v53, s8, 0
	v_mov_b32_e32 v121, 1
	v_mov_b32_e32 v122, 0
	v_add3_u32 v58, v58, v62, v61
	s_mov_b32 s23, exec_lo
	s_delay_alu instid0(VALU_DEP_4) | instskip(NEXT) | instid1(VALU_DEP_2)
	v_add3_u32 v60, v60, v66, v65
	v_lshlrev_b64 v[57:58], 2, v[57:58]
	s_delay_alu instid0(VALU_DEP_2) | instskip(NEXT) | instid1(VALU_DEP_2)
	v_lshlrev_b64 v[61:62], 2, v[59:60]
	v_add_co_u32 v59, vcc_lo, s10, v57
	s_delay_alu instid0(VALU_DEP_3) | instskip(NEXT) | instid1(VALU_DEP_3)
	v_add_co_ci_u32_e32 v60, vcc_lo, s11, v58, vcc_lo
	v_add_co_u32 v57, vcc_lo, s10, v61
	s_delay_alu instid0(VALU_DEP_4)
	v_add_co_ci_u32_e32 v58, vcc_lo, s11, v62, vcc_lo
	s_clause 0x1
	global_load_b32 v61, v[59:60], off
	global_load_b32 v62, v[57:58], off
	s_waitcnt vmcnt(0)
	v_cmpx_eq_u32_e64 v61, v62
	s_cbranch_execz .LBB439_397
; %bb.390:
	v_add_co_u32 v57, vcc_lo, v57, 4
	v_add_co_ci_u32_e32 v58, vcc_lo, 0, v58, vcc_lo
	v_add_co_u32 v59, vcc_lo, v59, 4
	v_add_co_ci_u32_e32 v60, vcc_lo, 0, v60, vcc_lo
	s_add_u32 s14, s8, -1
	s_addc_u32 s15, s9, -1
	s_mov_b64 s[20:21], 0
	s_mov_b32 s24, 0
                                        ; implicit-def: $sgpr25
	s_set_inst_prefetch_distance 0x1
	s_branch .LBB439_393
	.p2align	6
.LBB439_391:                            ;   in Loop: Header=BB439_393 Depth=1
	global_load_b32 v61, v[59:60], off
	global_load_b32 v62, v[57:58], off
	v_add_co_u32 v57, vcc_lo, v57, 4
	v_add_co_ci_u32_e32 v58, vcc_lo, 0, v58, vcc_lo
	v_add_co_u32 v59, s0, v59, 4
	s_delay_alu instid0(VALU_DEP_1)
	v_add_co_ci_u32_e64 v60, s0, 0, v60, s0
	s_add_u32 s20, s20, 1
	s_addc_u32 s21, s21, 0
	s_and_not1_b32 s0, s25, exec_lo
	s_waitcnt vmcnt(0)
	v_cmp_ne_u32_e32 vcc_lo, v61, v62
	s_and_b32 s25, vcc_lo, exec_lo
	s_delay_alu instid0(SALU_CYCLE_1)
	s_or_b32 s25, s0, s25
.LBB439_392:                            ;   in Loop: Header=BB439_393 Depth=1
	v_dual_mov_b32 v62, s21 :: v_dual_mov_b32 v61, s20
	s_and_b32 s0, exec_lo, s25
	s_delay_alu instid0(SALU_CYCLE_1) | instskip(NEXT) | instid1(SALU_CYCLE_1)
	s_or_b32 s24, s0, s24
	s_and_not1_b32 exec_lo, exec_lo, s24
	s_cbranch_execz .LBB439_396
.LBB439_393:                            ; =>This Inner Loop Header: Depth=1
	s_or_b32 s25, s25, exec_lo
	s_cmp_eq_u64 s[14:15], s[20:21]
	s_cbranch_scc0 .LBB439_391
; %bb.394:                              ;   in Loop: Header=BB439_393 Depth=1
	s_mov_b64 s[20:21], s[8:9]
                                        ; implicit-def: $vgpr57_vgpr58
                                        ; implicit-def: $vgpr59_vgpr60
	s_branch .LBB439_392
.LBB439_395:
	v_mov_b32_e32 v121, 0
	v_mov_b32_e32 v122, 0
	s_branch .LBB439_398
.LBB439_396:
	s_set_inst_prefetch_distance 0x2
	s_or_b32 exec_lo, exec_lo, s24
	v_cmp_gt_i64_e32 vcc_lo, s[8:9], v[61:62]
	s_mov_b32 s0, 0
	s_delay_alu instid0(SALU_CYCLE_1)
	v_mov_b32_e32 v122, s0
	v_cndmask_b32_e64 v121, 0, 1, vcc_lo
.LBB439_397:
	s_or_b32 exec_lo, exec_lo, s23
.LBB439_398:
	s_delay_alu instid0(SALU_CYCLE_1) | instskip(SKIP_3) | instid1(VALU_DEP_2)
	s_or_b32 exec_lo, exec_lo, s22
	v_dual_mov_b32 v124, v54 :: v_dual_add_nc_u32 v57, 22, v64
	v_mov_b32_e32 v123, v53
	s_mov_b32 s22, exec_lo
	v_cmpx_gt_u32_e64 s3, v57
	s_cbranch_execz .LBB439_409
; %bb.399:
	v_cmp_ne_u32_e32 vcc_lo, 1, v63
	s_cbranch_vccnz .LBB439_406
; %bb.400:
	v_mul_lo_u32 v61, v54, s8
	v_mul_lo_u32 v62, v53, s9
	v_mad_u64_u32 v[57:58], null, v53, s8, 0
	v_mul_lo_u32 v65, v52, s8
	v_mul_lo_u32 v66, v51, s9
	v_mad_u64_u32 v[59:60], null, v51, s8, 0
	v_mov_b32_e32 v123, 1
	v_mov_b32_e32 v124, 0
	v_add3_u32 v58, v58, v62, v61
	s_mov_b32 s23, exec_lo
	s_delay_alu instid0(VALU_DEP_4) | instskip(NEXT) | instid1(VALU_DEP_2)
	v_add3_u32 v60, v60, v66, v65
	v_lshlrev_b64 v[57:58], 2, v[57:58]
	s_delay_alu instid0(VALU_DEP_2) | instskip(NEXT) | instid1(VALU_DEP_2)
	v_lshlrev_b64 v[61:62], 2, v[59:60]
	v_add_co_u32 v59, vcc_lo, s10, v57
	s_delay_alu instid0(VALU_DEP_3) | instskip(NEXT) | instid1(VALU_DEP_3)
	v_add_co_ci_u32_e32 v60, vcc_lo, s11, v58, vcc_lo
	v_add_co_u32 v57, vcc_lo, s10, v61
	s_delay_alu instid0(VALU_DEP_4)
	v_add_co_ci_u32_e32 v58, vcc_lo, s11, v62, vcc_lo
	s_clause 0x1
	global_load_b32 v61, v[59:60], off
	global_load_b32 v62, v[57:58], off
	s_waitcnt vmcnt(0)
	v_cmpx_eq_u32_e64 v61, v62
	s_cbranch_execz .LBB439_408
; %bb.401:
	v_add_co_u32 v57, vcc_lo, v57, 4
	v_add_co_ci_u32_e32 v58, vcc_lo, 0, v58, vcc_lo
	v_add_co_u32 v59, vcc_lo, v59, 4
	v_add_co_ci_u32_e32 v60, vcc_lo, 0, v60, vcc_lo
	s_add_u32 s14, s8, -1
	s_addc_u32 s15, s9, -1
	s_mov_b64 s[20:21], 0
	s_mov_b32 s24, 0
                                        ; implicit-def: $sgpr25
	s_set_inst_prefetch_distance 0x1
	s_branch .LBB439_404
	.p2align	6
.LBB439_402:                            ;   in Loop: Header=BB439_404 Depth=1
	global_load_b32 v61, v[59:60], off
	global_load_b32 v62, v[57:58], off
	v_add_co_u32 v57, vcc_lo, v57, 4
	v_add_co_ci_u32_e32 v58, vcc_lo, 0, v58, vcc_lo
	v_add_co_u32 v59, s0, v59, 4
	s_delay_alu instid0(VALU_DEP_1)
	v_add_co_ci_u32_e64 v60, s0, 0, v60, s0
	s_add_u32 s20, s20, 1
	s_addc_u32 s21, s21, 0
	s_and_not1_b32 s0, s25, exec_lo
	s_waitcnt vmcnt(0)
	v_cmp_ne_u32_e32 vcc_lo, v61, v62
	s_and_b32 s25, vcc_lo, exec_lo
	s_delay_alu instid0(SALU_CYCLE_1)
	s_or_b32 s25, s0, s25
.LBB439_403:                            ;   in Loop: Header=BB439_404 Depth=1
	v_dual_mov_b32 v62, s21 :: v_dual_mov_b32 v61, s20
	s_and_b32 s0, exec_lo, s25
	s_delay_alu instid0(SALU_CYCLE_1) | instskip(NEXT) | instid1(SALU_CYCLE_1)
	s_or_b32 s24, s0, s24
	s_and_not1_b32 exec_lo, exec_lo, s24
	s_cbranch_execz .LBB439_407
.LBB439_404:                            ; =>This Inner Loop Header: Depth=1
	s_or_b32 s25, s25, exec_lo
	s_cmp_eq_u64 s[14:15], s[20:21]
	s_cbranch_scc0 .LBB439_402
; %bb.405:                              ;   in Loop: Header=BB439_404 Depth=1
	s_mov_b64 s[20:21], s[8:9]
                                        ; implicit-def: $vgpr57_vgpr58
                                        ; implicit-def: $vgpr59_vgpr60
	s_branch .LBB439_403
.LBB439_406:
	v_mov_b32_e32 v123, 0
	v_mov_b32_e32 v124, 0
	s_branch .LBB439_409
.LBB439_407:
	s_set_inst_prefetch_distance 0x2
	s_or_b32 exec_lo, exec_lo, s24
	v_cmp_gt_i64_e32 vcc_lo, s[8:9], v[61:62]
	s_mov_b32 s0, 0
	s_delay_alu instid0(SALU_CYCLE_1)
	v_mov_b32_e32 v124, s0
	v_cndmask_b32_e64 v123, 0, 1, vcc_lo
.LBB439_408:
	s_or_b32 exec_lo, exec_lo, s23
.LBB439_409:
	s_delay_alu instid0(SALU_CYCLE_1) | instskip(SKIP_3) | instid1(VALU_DEP_2)
	s_or_b32 exec_lo, exec_lo, s22
	v_dual_mov_b32 v126, v52 :: v_dual_add_nc_u32 v57, 21, v64
	v_mov_b32_e32 v125, v51
	s_mov_b32 s22, exec_lo
	v_cmpx_gt_u32_e64 s3, v57
	s_cbranch_execz .LBB439_420
; %bb.410:
	v_cmp_ne_u32_e32 vcc_lo, 1, v63
	s_cbranch_vccnz .LBB439_417
; %bb.411:
	v_mul_lo_u32 v61, v52, s8
	v_mul_lo_u32 v62, v51, s9
	v_mad_u64_u32 v[57:58], null, v51, s8, 0
	v_mul_lo_u32 v65, v50, s8
	v_mul_lo_u32 v66, v49, s9
	v_mad_u64_u32 v[59:60], null, v49, s8, 0
	v_mov_b32_e32 v125, 1
	v_mov_b32_e32 v126, 0
	v_add3_u32 v58, v58, v62, v61
	s_mov_b32 s23, exec_lo
	s_delay_alu instid0(VALU_DEP_4) | instskip(NEXT) | instid1(VALU_DEP_2)
	v_add3_u32 v60, v60, v66, v65
	v_lshlrev_b64 v[57:58], 2, v[57:58]
	s_delay_alu instid0(VALU_DEP_2) | instskip(NEXT) | instid1(VALU_DEP_2)
	v_lshlrev_b64 v[61:62], 2, v[59:60]
	v_add_co_u32 v59, vcc_lo, s10, v57
	s_delay_alu instid0(VALU_DEP_3) | instskip(NEXT) | instid1(VALU_DEP_3)
	v_add_co_ci_u32_e32 v60, vcc_lo, s11, v58, vcc_lo
	v_add_co_u32 v57, vcc_lo, s10, v61
	s_delay_alu instid0(VALU_DEP_4)
	v_add_co_ci_u32_e32 v58, vcc_lo, s11, v62, vcc_lo
	s_clause 0x1
	global_load_b32 v61, v[59:60], off
	global_load_b32 v62, v[57:58], off
	s_waitcnt vmcnt(0)
	v_cmpx_eq_u32_e64 v61, v62
	s_cbranch_execz .LBB439_419
; %bb.412:
	v_add_co_u32 v57, vcc_lo, v57, 4
	v_add_co_ci_u32_e32 v58, vcc_lo, 0, v58, vcc_lo
	v_add_co_u32 v59, vcc_lo, v59, 4
	v_add_co_ci_u32_e32 v60, vcc_lo, 0, v60, vcc_lo
	s_add_u32 s14, s8, -1
	s_addc_u32 s15, s9, -1
	s_mov_b64 s[20:21], 0
	s_mov_b32 s24, 0
                                        ; implicit-def: $sgpr25
	s_set_inst_prefetch_distance 0x1
	s_branch .LBB439_415
	.p2align	6
.LBB439_413:                            ;   in Loop: Header=BB439_415 Depth=1
	global_load_b32 v61, v[59:60], off
	global_load_b32 v62, v[57:58], off
	v_add_co_u32 v57, vcc_lo, v57, 4
	v_add_co_ci_u32_e32 v58, vcc_lo, 0, v58, vcc_lo
	v_add_co_u32 v59, s0, v59, 4
	s_delay_alu instid0(VALU_DEP_1)
	v_add_co_ci_u32_e64 v60, s0, 0, v60, s0
	s_add_u32 s20, s20, 1
	s_addc_u32 s21, s21, 0
	s_and_not1_b32 s0, s25, exec_lo
	s_waitcnt vmcnt(0)
	v_cmp_ne_u32_e32 vcc_lo, v61, v62
	s_and_b32 s25, vcc_lo, exec_lo
	s_delay_alu instid0(SALU_CYCLE_1)
	s_or_b32 s25, s0, s25
.LBB439_414:                            ;   in Loop: Header=BB439_415 Depth=1
	v_dual_mov_b32 v62, s21 :: v_dual_mov_b32 v61, s20
	s_and_b32 s0, exec_lo, s25
	s_delay_alu instid0(SALU_CYCLE_1) | instskip(NEXT) | instid1(SALU_CYCLE_1)
	s_or_b32 s24, s0, s24
	s_and_not1_b32 exec_lo, exec_lo, s24
	s_cbranch_execz .LBB439_418
.LBB439_415:                            ; =>This Inner Loop Header: Depth=1
	s_or_b32 s25, s25, exec_lo
	s_cmp_eq_u64 s[14:15], s[20:21]
	s_cbranch_scc0 .LBB439_413
; %bb.416:                              ;   in Loop: Header=BB439_415 Depth=1
	s_mov_b64 s[20:21], s[8:9]
                                        ; implicit-def: $vgpr57_vgpr58
                                        ; implicit-def: $vgpr59_vgpr60
	s_branch .LBB439_414
.LBB439_417:
	v_mov_b32_e32 v125, 0
	v_mov_b32_e32 v126, 0
	s_branch .LBB439_420
.LBB439_418:
	s_set_inst_prefetch_distance 0x2
	s_or_b32 exec_lo, exec_lo, s24
	v_cmp_gt_i64_e32 vcc_lo, s[8:9], v[61:62]
	s_mov_b32 s0, 0
	s_delay_alu instid0(SALU_CYCLE_1)
	v_mov_b32_e32 v126, s0
	v_cndmask_b32_e64 v125, 0, 1, vcc_lo
.LBB439_419:
	s_or_b32 exec_lo, exec_lo, s23
.LBB439_420:
	s_delay_alu instid0(SALU_CYCLE_1) | instskip(SKIP_3) | instid1(VALU_DEP_2)
	s_or_b32 exec_lo, exec_lo, s22
	v_dual_mov_b32 v128, v50 :: v_dual_add_nc_u32 v57, 20, v64
	v_mov_b32_e32 v127, v49
	s_mov_b32 s22, exec_lo
	v_cmpx_gt_u32_e64 s3, v57
	s_cbranch_execz .LBB439_431
; %bb.421:
	v_cmp_ne_u32_e32 vcc_lo, 1, v63
	s_cbranch_vccnz .LBB439_428
; %bb.422:
	v_mul_lo_u32 v61, v50, s8
	v_mul_lo_u32 v62, v49, s9
	v_mad_u64_u32 v[57:58], null, v49, s8, 0
	v_mul_lo_u32 v65, v48, s8
	v_mul_lo_u32 v66, v47, s9
	v_mad_u64_u32 v[59:60], null, v47, s8, 0
	v_mov_b32_e32 v127, 1
	v_mov_b32_e32 v128, 0
	v_add3_u32 v58, v58, v62, v61
	s_mov_b32 s23, exec_lo
	s_delay_alu instid0(VALU_DEP_4) | instskip(NEXT) | instid1(VALU_DEP_2)
	v_add3_u32 v60, v60, v66, v65
	v_lshlrev_b64 v[57:58], 2, v[57:58]
	s_delay_alu instid0(VALU_DEP_2) | instskip(NEXT) | instid1(VALU_DEP_2)
	v_lshlrev_b64 v[61:62], 2, v[59:60]
	v_add_co_u32 v59, vcc_lo, s10, v57
	s_delay_alu instid0(VALU_DEP_3) | instskip(NEXT) | instid1(VALU_DEP_3)
	v_add_co_ci_u32_e32 v60, vcc_lo, s11, v58, vcc_lo
	v_add_co_u32 v57, vcc_lo, s10, v61
	s_delay_alu instid0(VALU_DEP_4)
	v_add_co_ci_u32_e32 v58, vcc_lo, s11, v62, vcc_lo
	s_clause 0x1
	global_load_b32 v61, v[59:60], off
	global_load_b32 v62, v[57:58], off
	s_waitcnt vmcnt(0)
	v_cmpx_eq_u32_e64 v61, v62
	s_cbranch_execz .LBB439_430
; %bb.423:
	v_add_co_u32 v57, vcc_lo, v57, 4
	v_add_co_ci_u32_e32 v58, vcc_lo, 0, v58, vcc_lo
	v_add_co_u32 v59, vcc_lo, v59, 4
	v_add_co_ci_u32_e32 v60, vcc_lo, 0, v60, vcc_lo
	s_add_u32 s14, s8, -1
	s_addc_u32 s15, s9, -1
	s_mov_b64 s[20:21], 0
	s_mov_b32 s24, 0
                                        ; implicit-def: $sgpr25
	s_set_inst_prefetch_distance 0x1
	s_branch .LBB439_426
	.p2align	6
.LBB439_424:                            ;   in Loop: Header=BB439_426 Depth=1
	global_load_b32 v61, v[59:60], off
	global_load_b32 v62, v[57:58], off
	v_add_co_u32 v57, vcc_lo, v57, 4
	v_add_co_ci_u32_e32 v58, vcc_lo, 0, v58, vcc_lo
	v_add_co_u32 v59, s0, v59, 4
	s_delay_alu instid0(VALU_DEP_1)
	v_add_co_ci_u32_e64 v60, s0, 0, v60, s0
	s_add_u32 s20, s20, 1
	s_addc_u32 s21, s21, 0
	s_and_not1_b32 s0, s25, exec_lo
	s_waitcnt vmcnt(0)
	v_cmp_ne_u32_e32 vcc_lo, v61, v62
	s_and_b32 s25, vcc_lo, exec_lo
	s_delay_alu instid0(SALU_CYCLE_1)
	s_or_b32 s25, s0, s25
.LBB439_425:                            ;   in Loop: Header=BB439_426 Depth=1
	v_dual_mov_b32 v62, s21 :: v_dual_mov_b32 v61, s20
	s_and_b32 s0, exec_lo, s25
	s_delay_alu instid0(SALU_CYCLE_1) | instskip(NEXT) | instid1(SALU_CYCLE_1)
	s_or_b32 s24, s0, s24
	s_and_not1_b32 exec_lo, exec_lo, s24
	s_cbranch_execz .LBB439_429
.LBB439_426:                            ; =>This Inner Loop Header: Depth=1
	s_or_b32 s25, s25, exec_lo
	s_cmp_eq_u64 s[14:15], s[20:21]
	s_cbranch_scc0 .LBB439_424
; %bb.427:                              ;   in Loop: Header=BB439_426 Depth=1
	s_mov_b64 s[20:21], s[8:9]
                                        ; implicit-def: $vgpr57_vgpr58
                                        ; implicit-def: $vgpr59_vgpr60
	s_branch .LBB439_425
.LBB439_428:
	v_mov_b32_e32 v127, 0
	v_mov_b32_e32 v128, 0
	s_branch .LBB439_431
.LBB439_429:
	s_set_inst_prefetch_distance 0x2
	s_or_b32 exec_lo, exec_lo, s24
	v_cmp_gt_i64_e32 vcc_lo, s[8:9], v[61:62]
	s_mov_b32 s0, 0
	s_delay_alu instid0(SALU_CYCLE_1)
	v_mov_b32_e32 v128, s0
	v_cndmask_b32_e64 v127, 0, 1, vcc_lo
.LBB439_430:
	s_or_b32 exec_lo, exec_lo, s23
.LBB439_431:
	s_delay_alu instid0(SALU_CYCLE_1) | instskip(SKIP_3) | instid1(VALU_DEP_2)
	s_or_b32 exec_lo, exec_lo, s22
	v_dual_mov_b32 v130, v48 :: v_dual_add_nc_u32 v57, 19, v64
	v_mov_b32_e32 v129, v47
	s_mov_b32 s22, exec_lo
	v_cmpx_gt_u32_e64 s3, v57
	s_cbranch_execz .LBB439_442
; %bb.432:
	v_cmp_ne_u32_e32 vcc_lo, 1, v63
	s_cbranch_vccnz .LBB439_439
; %bb.433:
	v_mul_lo_u32 v61, v48, s8
	v_mul_lo_u32 v62, v47, s9
	v_mad_u64_u32 v[57:58], null, v47, s8, 0
	v_mul_lo_u32 v65, v46, s8
	v_mul_lo_u32 v66, v45, s9
	v_mad_u64_u32 v[59:60], null, v45, s8, 0
	v_mov_b32_e32 v129, 1
	v_mov_b32_e32 v130, 0
	v_add3_u32 v58, v58, v62, v61
	s_mov_b32 s23, exec_lo
	s_delay_alu instid0(VALU_DEP_4) | instskip(NEXT) | instid1(VALU_DEP_2)
	v_add3_u32 v60, v60, v66, v65
	v_lshlrev_b64 v[57:58], 2, v[57:58]
	s_delay_alu instid0(VALU_DEP_2) | instskip(NEXT) | instid1(VALU_DEP_2)
	v_lshlrev_b64 v[61:62], 2, v[59:60]
	v_add_co_u32 v59, vcc_lo, s10, v57
	s_delay_alu instid0(VALU_DEP_3) | instskip(NEXT) | instid1(VALU_DEP_3)
	v_add_co_ci_u32_e32 v60, vcc_lo, s11, v58, vcc_lo
	v_add_co_u32 v57, vcc_lo, s10, v61
	s_delay_alu instid0(VALU_DEP_4)
	v_add_co_ci_u32_e32 v58, vcc_lo, s11, v62, vcc_lo
	s_clause 0x1
	global_load_b32 v61, v[59:60], off
	global_load_b32 v62, v[57:58], off
	s_waitcnt vmcnt(0)
	v_cmpx_eq_u32_e64 v61, v62
	s_cbranch_execz .LBB439_441
; %bb.434:
	v_add_co_u32 v57, vcc_lo, v57, 4
	v_add_co_ci_u32_e32 v58, vcc_lo, 0, v58, vcc_lo
	v_add_co_u32 v59, vcc_lo, v59, 4
	v_add_co_ci_u32_e32 v60, vcc_lo, 0, v60, vcc_lo
	s_add_u32 s14, s8, -1
	s_addc_u32 s15, s9, -1
	s_mov_b64 s[20:21], 0
	s_mov_b32 s24, 0
                                        ; implicit-def: $sgpr25
	s_set_inst_prefetch_distance 0x1
	s_branch .LBB439_437
	.p2align	6
.LBB439_435:                            ;   in Loop: Header=BB439_437 Depth=1
	global_load_b32 v61, v[59:60], off
	global_load_b32 v62, v[57:58], off
	v_add_co_u32 v57, vcc_lo, v57, 4
	v_add_co_ci_u32_e32 v58, vcc_lo, 0, v58, vcc_lo
	v_add_co_u32 v59, s0, v59, 4
	s_delay_alu instid0(VALU_DEP_1)
	v_add_co_ci_u32_e64 v60, s0, 0, v60, s0
	s_add_u32 s20, s20, 1
	s_addc_u32 s21, s21, 0
	s_and_not1_b32 s0, s25, exec_lo
	s_waitcnt vmcnt(0)
	v_cmp_ne_u32_e32 vcc_lo, v61, v62
	s_and_b32 s25, vcc_lo, exec_lo
	s_delay_alu instid0(SALU_CYCLE_1)
	s_or_b32 s25, s0, s25
.LBB439_436:                            ;   in Loop: Header=BB439_437 Depth=1
	v_dual_mov_b32 v62, s21 :: v_dual_mov_b32 v61, s20
	s_and_b32 s0, exec_lo, s25
	s_delay_alu instid0(SALU_CYCLE_1) | instskip(NEXT) | instid1(SALU_CYCLE_1)
	s_or_b32 s24, s0, s24
	s_and_not1_b32 exec_lo, exec_lo, s24
	s_cbranch_execz .LBB439_440
.LBB439_437:                            ; =>This Inner Loop Header: Depth=1
	s_or_b32 s25, s25, exec_lo
	s_cmp_eq_u64 s[14:15], s[20:21]
	s_cbranch_scc0 .LBB439_435
; %bb.438:                              ;   in Loop: Header=BB439_437 Depth=1
	s_mov_b64 s[20:21], s[8:9]
                                        ; implicit-def: $vgpr57_vgpr58
                                        ; implicit-def: $vgpr59_vgpr60
	s_branch .LBB439_436
.LBB439_439:
	v_mov_b32_e32 v129, 0
	v_mov_b32_e32 v130, 0
	s_branch .LBB439_442
.LBB439_440:
	s_set_inst_prefetch_distance 0x2
	s_or_b32 exec_lo, exec_lo, s24
	v_cmp_gt_i64_e32 vcc_lo, s[8:9], v[61:62]
	s_mov_b32 s0, 0
	s_delay_alu instid0(SALU_CYCLE_1)
	v_mov_b32_e32 v130, s0
	v_cndmask_b32_e64 v129, 0, 1, vcc_lo
.LBB439_441:
	s_or_b32 exec_lo, exec_lo, s23
.LBB439_442:
	s_delay_alu instid0(SALU_CYCLE_1) | instskip(SKIP_3) | instid1(VALU_DEP_2)
	s_or_b32 exec_lo, exec_lo, s22
	v_dual_mov_b32 v132, v46 :: v_dual_add_nc_u32 v57, 18, v64
	v_mov_b32_e32 v131, v45
	s_mov_b32 s22, exec_lo
	v_cmpx_gt_u32_e64 s3, v57
	s_cbranch_execz .LBB439_453
; %bb.443:
	v_cmp_ne_u32_e32 vcc_lo, 1, v63
	s_cbranch_vccnz .LBB439_450
; %bb.444:
	v_mul_lo_u32 v61, v46, s8
	v_mul_lo_u32 v62, v45, s9
	v_mad_u64_u32 v[57:58], null, v45, s8, 0
	v_mul_lo_u32 v65, v44, s8
	v_mul_lo_u32 v66, v43, s9
	v_mad_u64_u32 v[59:60], null, v43, s8, 0
	v_mov_b32_e32 v131, 1
	v_mov_b32_e32 v132, 0
	v_add3_u32 v58, v58, v62, v61
	s_mov_b32 s23, exec_lo
	s_delay_alu instid0(VALU_DEP_4) | instskip(NEXT) | instid1(VALU_DEP_2)
	v_add3_u32 v60, v60, v66, v65
	v_lshlrev_b64 v[57:58], 2, v[57:58]
	s_delay_alu instid0(VALU_DEP_2) | instskip(NEXT) | instid1(VALU_DEP_2)
	v_lshlrev_b64 v[61:62], 2, v[59:60]
	v_add_co_u32 v59, vcc_lo, s10, v57
	s_delay_alu instid0(VALU_DEP_3) | instskip(NEXT) | instid1(VALU_DEP_3)
	v_add_co_ci_u32_e32 v60, vcc_lo, s11, v58, vcc_lo
	v_add_co_u32 v57, vcc_lo, s10, v61
	s_delay_alu instid0(VALU_DEP_4)
	v_add_co_ci_u32_e32 v58, vcc_lo, s11, v62, vcc_lo
	s_clause 0x1
	global_load_b32 v61, v[59:60], off
	global_load_b32 v62, v[57:58], off
	s_waitcnt vmcnt(0)
	v_cmpx_eq_u32_e64 v61, v62
	s_cbranch_execz .LBB439_452
; %bb.445:
	v_add_co_u32 v57, vcc_lo, v57, 4
	v_add_co_ci_u32_e32 v58, vcc_lo, 0, v58, vcc_lo
	v_add_co_u32 v59, vcc_lo, v59, 4
	v_add_co_ci_u32_e32 v60, vcc_lo, 0, v60, vcc_lo
	s_add_u32 s14, s8, -1
	s_addc_u32 s15, s9, -1
	s_mov_b64 s[20:21], 0
	s_mov_b32 s24, 0
                                        ; implicit-def: $sgpr25
	s_set_inst_prefetch_distance 0x1
	s_branch .LBB439_448
	.p2align	6
.LBB439_446:                            ;   in Loop: Header=BB439_448 Depth=1
	global_load_b32 v61, v[59:60], off
	global_load_b32 v62, v[57:58], off
	v_add_co_u32 v57, vcc_lo, v57, 4
	v_add_co_ci_u32_e32 v58, vcc_lo, 0, v58, vcc_lo
	v_add_co_u32 v59, s0, v59, 4
	s_delay_alu instid0(VALU_DEP_1)
	v_add_co_ci_u32_e64 v60, s0, 0, v60, s0
	s_add_u32 s20, s20, 1
	s_addc_u32 s21, s21, 0
	s_and_not1_b32 s0, s25, exec_lo
	s_waitcnt vmcnt(0)
	v_cmp_ne_u32_e32 vcc_lo, v61, v62
	s_and_b32 s25, vcc_lo, exec_lo
	s_delay_alu instid0(SALU_CYCLE_1)
	s_or_b32 s25, s0, s25
.LBB439_447:                            ;   in Loop: Header=BB439_448 Depth=1
	v_dual_mov_b32 v62, s21 :: v_dual_mov_b32 v61, s20
	s_and_b32 s0, exec_lo, s25
	s_delay_alu instid0(SALU_CYCLE_1) | instskip(NEXT) | instid1(SALU_CYCLE_1)
	s_or_b32 s24, s0, s24
	s_and_not1_b32 exec_lo, exec_lo, s24
	s_cbranch_execz .LBB439_451
.LBB439_448:                            ; =>This Inner Loop Header: Depth=1
	s_or_b32 s25, s25, exec_lo
	s_cmp_eq_u64 s[14:15], s[20:21]
	s_cbranch_scc0 .LBB439_446
; %bb.449:                              ;   in Loop: Header=BB439_448 Depth=1
	s_mov_b64 s[20:21], s[8:9]
                                        ; implicit-def: $vgpr57_vgpr58
                                        ; implicit-def: $vgpr59_vgpr60
	s_branch .LBB439_447
.LBB439_450:
	v_mov_b32_e32 v131, 0
	v_mov_b32_e32 v132, 0
	s_branch .LBB439_453
.LBB439_451:
	s_set_inst_prefetch_distance 0x2
	s_or_b32 exec_lo, exec_lo, s24
	v_cmp_gt_i64_e32 vcc_lo, s[8:9], v[61:62]
	s_mov_b32 s0, 0
	s_delay_alu instid0(SALU_CYCLE_1)
	v_mov_b32_e32 v132, s0
	v_cndmask_b32_e64 v131, 0, 1, vcc_lo
.LBB439_452:
	s_or_b32 exec_lo, exec_lo, s23
.LBB439_453:
	s_delay_alu instid0(SALU_CYCLE_1) | instskip(SKIP_3) | instid1(VALU_DEP_2)
	s_or_b32 exec_lo, exec_lo, s22
	v_dual_mov_b32 v134, v44 :: v_dual_add_nc_u32 v57, 17, v64
	v_mov_b32_e32 v133, v43
	s_mov_b32 s22, exec_lo
	v_cmpx_gt_u32_e64 s3, v57
	s_cbranch_execz .LBB439_464
; %bb.454:
	v_cmp_ne_u32_e32 vcc_lo, 1, v63
	s_cbranch_vccnz .LBB439_461
; %bb.455:
	v_mul_lo_u32 v61, v44, s8
	v_mul_lo_u32 v62, v43, s9
	v_mad_u64_u32 v[57:58], null, v43, s8, 0
	v_mul_lo_u32 v65, v42, s8
	v_mul_lo_u32 v66, v41, s9
	v_mad_u64_u32 v[59:60], null, v41, s8, 0
	v_mov_b32_e32 v133, 1
	v_mov_b32_e32 v134, 0
	v_add3_u32 v58, v58, v62, v61
	s_mov_b32 s23, exec_lo
	s_delay_alu instid0(VALU_DEP_4) | instskip(NEXT) | instid1(VALU_DEP_2)
	v_add3_u32 v60, v60, v66, v65
	v_lshlrev_b64 v[57:58], 2, v[57:58]
	s_delay_alu instid0(VALU_DEP_2) | instskip(NEXT) | instid1(VALU_DEP_2)
	v_lshlrev_b64 v[61:62], 2, v[59:60]
	v_add_co_u32 v59, vcc_lo, s10, v57
	s_delay_alu instid0(VALU_DEP_3) | instskip(NEXT) | instid1(VALU_DEP_3)
	v_add_co_ci_u32_e32 v60, vcc_lo, s11, v58, vcc_lo
	v_add_co_u32 v57, vcc_lo, s10, v61
	s_delay_alu instid0(VALU_DEP_4)
	v_add_co_ci_u32_e32 v58, vcc_lo, s11, v62, vcc_lo
	s_clause 0x1
	global_load_b32 v61, v[59:60], off
	global_load_b32 v62, v[57:58], off
	s_waitcnt vmcnt(0)
	v_cmpx_eq_u32_e64 v61, v62
	s_cbranch_execz .LBB439_463
; %bb.456:
	v_add_co_u32 v57, vcc_lo, v57, 4
	v_add_co_ci_u32_e32 v58, vcc_lo, 0, v58, vcc_lo
	v_add_co_u32 v59, vcc_lo, v59, 4
	v_add_co_ci_u32_e32 v60, vcc_lo, 0, v60, vcc_lo
	s_add_u32 s14, s8, -1
	s_addc_u32 s15, s9, -1
	s_mov_b64 s[20:21], 0
	s_mov_b32 s24, 0
                                        ; implicit-def: $sgpr25
	s_set_inst_prefetch_distance 0x1
	s_branch .LBB439_459
	.p2align	6
.LBB439_457:                            ;   in Loop: Header=BB439_459 Depth=1
	global_load_b32 v61, v[59:60], off
	global_load_b32 v62, v[57:58], off
	v_add_co_u32 v57, vcc_lo, v57, 4
	v_add_co_ci_u32_e32 v58, vcc_lo, 0, v58, vcc_lo
	v_add_co_u32 v59, s0, v59, 4
	s_delay_alu instid0(VALU_DEP_1)
	v_add_co_ci_u32_e64 v60, s0, 0, v60, s0
	s_add_u32 s20, s20, 1
	s_addc_u32 s21, s21, 0
	s_and_not1_b32 s0, s25, exec_lo
	s_waitcnt vmcnt(0)
	v_cmp_ne_u32_e32 vcc_lo, v61, v62
	s_and_b32 s25, vcc_lo, exec_lo
	s_delay_alu instid0(SALU_CYCLE_1)
	s_or_b32 s25, s0, s25
.LBB439_458:                            ;   in Loop: Header=BB439_459 Depth=1
	v_dual_mov_b32 v62, s21 :: v_dual_mov_b32 v61, s20
	s_and_b32 s0, exec_lo, s25
	s_delay_alu instid0(SALU_CYCLE_1) | instskip(NEXT) | instid1(SALU_CYCLE_1)
	s_or_b32 s24, s0, s24
	s_and_not1_b32 exec_lo, exec_lo, s24
	s_cbranch_execz .LBB439_462
.LBB439_459:                            ; =>This Inner Loop Header: Depth=1
	s_or_b32 s25, s25, exec_lo
	s_cmp_eq_u64 s[14:15], s[20:21]
	s_cbranch_scc0 .LBB439_457
; %bb.460:                              ;   in Loop: Header=BB439_459 Depth=1
	s_mov_b64 s[20:21], s[8:9]
                                        ; implicit-def: $vgpr57_vgpr58
                                        ; implicit-def: $vgpr59_vgpr60
	s_branch .LBB439_458
.LBB439_461:
	v_mov_b32_e32 v133, 0
	v_mov_b32_e32 v134, 0
	s_branch .LBB439_464
.LBB439_462:
	s_set_inst_prefetch_distance 0x2
	s_or_b32 exec_lo, exec_lo, s24
	v_cmp_gt_i64_e32 vcc_lo, s[8:9], v[61:62]
	s_mov_b32 s0, 0
	s_delay_alu instid0(SALU_CYCLE_1)
	v_mov_b32_e32 v134, s0
	v_cndmask_b32_e64 v133, 0, 1, vcc_lo
.LBB439_463:
	s_or_b32 exec_lo, exec_lo, s23
.LBB439_464:
	s_delay_alu instid0(SALU_CYCLE_1) | instskip(SKIP_3) | instid1(VALU_DEP_2)
	s_or_b32 exec_lo, exec_lo, s22
	v_dual_mov_b32 v136, v42 :: v_dual_add_nc_u32 v57, 16, v64
	v_mov_b32_e32 v135, v41
	s_mov_b32 s22, exec_lo
	v_cmpx_gt_u32_e64 s3, v57
	s_cbranch_execz .LBB439_475
; %bb.465:
	v_cmp_ne_u32_e32 vcc_lo, 1, v63
	s_cbranch_vccnz .LBB439_472
; %bb.466:
	v_mul_lo_u32 v61, v42, s8
	v_mul_lo_u32 v62, v41, s9
	v_mad_u64_u32 v[57:58], null, v41, s8, 0
	v_mul_lo_u32 v65, v40, s8
	v_mul_lo_u32 v66, v39, s9
	v_mad_u64_u32 v[59:60], null, v39, s8, 0
	v_mov_b32_e32 v135, 1
	v_mov_b32_e32 v136, 0
	v_add3_u32 v58, v58, v62, v61
	s_mov_b32 s23, exec_lo
	s_delay_alu instid0(VALU_DEP_4) | instskip(NEXT) | instid1(VALU_DEP_2)
	v_add3_u32 v60, v60, v66, v65
	v_lshlrev_b64 v[57:58], 2, v[57:58]
	s_delay_alu instid0(VALU_DEP_2) | instskip(NEXT) | instid1(VALU_DEP_2)
	v_lshlrev_b64 v[61:62], 2, v[59:60]
	v_add_co_u32 v59, vcc_lo, s10, v57
	s_delay_alu instid0(VALU_DEP_3) | instskip(NEXT) | instid1(VALU_DEP_3)
	v_add_co_ci_u32_e32 v60, vcc_lo, s11, v58, vcc_lo
	v_add_co_u32 v57, vcc_lo, s10, v61
	s_delay_alu instid0(VALU_DEP_4)
	v_add_co_ci_u32_e32 v58, vcc_lo, s11, v62, vcc_lo
	s_clause 0x1
	global_load_b32 v61, v[59:60], off
	global_load_b32 v62, v[57:58], off
	s_waitcnt vmcnt(0)
	v_cmpx_eq_u32_e64 v61, v62
	s_cbranch_execz .LBB439_474
; %bb.467:
	v_add_co_u32 v57, vcc_lo, v57, 4
	v_add_co_ci_u32_e32 v58, vcc_lo, 0, v58, vcc_lo
	v_add_co_u32 v59, vcc_lo, v59, 4
	v_add_co_ci_u32_e32 v60, vcc_lo, 0, v60, vcc_lo
	s_add_u32 s14, s8, -1
	s_addc_u32 s15, s9, -1
	s_mov_b64 s[20:21], 0
	s_mov_b32 s24, 0
                                        ; implicit-def: $sgpr25
	s_set_inst_prefetch_distance 0x1
	s_branch .LBB439_470
	.p2align	6
.LBB439_468:                            ;   in Loop: Header=BB439_470 Depth=1
	global_load_b32 v61, v[59:60], off
	global_load_b32 v62, v[57:58], off
	v_add_co_u32 v57, vcc_lo, v57, 4
	v_add_co_ci_u32_e32 v58, vcc_lo, 0, v58, vcc_lo
	v_add_co_u32 v59, s0, v59, 4
	s_delay_alu instid0(VALU_DEP_1)
	v_add_co_ci_u32_e64 v60, s0, 0, v60, s0
	s_add_u32 s20, s20, 1
	s_addc_u32 s21, s21, 0
	s_and_not1_b32 s0, s25, exec_lo
	s_waitcnt vmcnt(0)
	v_cmp_ne_u32_e32 vcc_lo, v61, v62
	s_and_b32 s25, vcc_lo, exec_lo
	s_delay_alu instid0(SALU_CYCLE_1)
	s_or_b32 s25, s0, s25
.LBB439_469:                            ;   in Loop: Header=BB439_470 Depth=1
	v_dual_mov_b32 v62, s21 :: v_dual_mov_b32 v61, s20
	s_and_b32 s0, exec_lo, s25
	s_delay_alu instid0(SALU_CYCLE_1) | instskip(NEXT) | instid1(SALU_CYCLE_1)
	s_or_b32 s24, s0, s24
	s_and_not1_b32 exec_lo, exec_lo, s24
	s_cbranch_execz .LBB439_473
.LBB439_470:                            ; =>This Inner Loop Header: Depth=1
	s_or_b32 s25, s25, exec_lo
	s_cmp_eq_u64 s[14:15], s[20:21]
	s_cbranch_scc0 .LBB439_468
; %bb.471:                              ;   in Loop: Header=BB439_470 Depth=1
	s_mov_b64 s[20:21], s[8:9]
                                        ; implicit-def: $vgpr57_vgpr58
                                        ; implicit-def: $vgpr59_vgpr60
	s_branch .LBB439_469
.LBB439_472:
	v_mov_b32_e32 v135, 0
	v_mov_b32_e32 v136, 0
	s_branch .LBB439_475
.LBB439_473:
	s_set_inst_prefetch_distance 0x2
	s_or_b32 exec_lo, exec_lo, s24
	v_cmp_gt_i64_e32 vcc_lo, s[8:9], v[61:62]
	s_mov_b32 s0, 0
	s_delay_alu instid0(SALU_CYCLE_1)
	v_mov_b32_e32 v136, s0
	v_cndmask_b32_e64 v135, 0, 1, vcc_lo
.LBB439_474:
	s_or_b32 exec_lo, exec_lo, s23
.LBB439_475:
	s_delay_alu instid0(SALU_CYCLE_1) | instskip(SKIP_3) | instid1(VALU_DEP_2)
	s_or_b32 exec_lo, exec_lo, s22
	v_dual_mov_b32 v138, v40 :: v_dual_add_nc_u32 v57, 15, v64
	v_mov_b32_e32 v137, v39
	s_mov_b32 s22, exec_lo
	v_cmpx_gt_u32_e64 s3, v57
	s_cbranch_execz .LBB439_486
; %bb.476:
	v_cmp_ne_u32_e32 vcc_lo, 1, v63
	s_cbranch_vccnz .LBB439_483
; %bb.477:
	v_mul_lo_u32 v61, v40, s8
	v_mul_lo_u32 v62, v39, s9
	v_mad_u64_u32 v[57:58], null, v39, s8, 0
	v_mul_lo_u32 v65, v38, s8
	v_mul_lo_u32 v66, v37, s9
	v_mad_u64_u32 v[59:60], null, v37, s8, 0
	v_mov_b32_e32 v137, 1
	v_mov_b32_e32 v138, 0
	v_add3_u32 v58, v58, v62, v61
	s_mov_b32 s23, exec_lo
	s_delay_alu instid0(VALU_DEP_4) | instskip(NEXT) | instid1(VALU_DEP_2)
	v_add3_u32 v60, v60, v66, v65
	v_lshlrev_b64 v[57:58], 2, v[57:58]
	s_delay_alu instid0(VALU_DEP_2) | instskip(NEXT) | instid1(VALU_DEP_2)
	v_lshlrev_b64 v[61:62], 2, v[59:60]
	v_add_co_u32 v59, vcc_lo, s10, v57
	s_delay_alu instid0(VALU_DEP_3) | instskip(NEXT) | instid1(VALU_DEP_3)
	v_add_co_ci_u32_e32 v60, vcc_lo, s11, v58, vcc_lo
	v_add_co_u32 v57, vcc_lo, s10, v61
	s_delay_alu instid0(VALU_DEP_4)
	v_add_co_ci_u32_e32 v58, vcc_lo, s11, v62, vcc_lo
	s_clause 0x1
	global_load_b32 v61, v[59:60], off
	global_load_b32 v62, v[57:58], off
	s_waitcnt vmcnt(0)
	v_cmpx_eq_u32_e64 v61, v62
	s_cbranch_execz .LBB439_485
; %bb.478:
	v_add_co_u32 v57, vcc_lo, v57, 4
	v_add_co_ci_u32_e32 v58, vcc_lo, 0, v58, vcc_lo
	v_add_co_u32 v59, vcc_lo, v59, 4
	v_add_co_ci_u32_e32 v60, vcc_lo, 0, v60, vcc_lo
	s_add_u32 s14, s8, -1
	s_addc_u32 s15, s9, -1
	s_mov_b64 s[20:21], 0
	s_mov_b32 s24, 0
                                        ; implicit-def: $sgpr25
	s_set_inst_prefetch_distance 0x1
	s_branch .LBB439_481
	.p2align	6
.LBB439_479:                            ;   in Loop: Header=BB439_481 Depth=1
	global_load_b32 v61, v[59:60], off
	global_load_b32 v62, v[57:58], off
	v_add_co_u32 v57, vcc_lo, v57, 4
	v_add_co_ci_u32_e32 v58, vcc_lo, 0, v58, vcc_lo
	v_add_co_u32 v59, s0, v59, 4
	s_delay_alu instid0(VALU_DEP_1)
	v_add_co_ci_u32_e64 v60, s0, 0, v60, s0
	s_add_u32 s20, s20, 1
	s_addc_u32 s21, s21, 0
	s_and_not1_b32 s0, s25, exec_lo
	s_waitcnt vmcnt(0)
	v_cmp_ne_u32_e32 vcc_lo, v61, v62
	s_and_b32 s25, vcc_lo, exec_lo
	s_delay_alu instid0(SALU_CYCLE_1)
	s_or_b32 s25, s0, s25
.LBB439_480:                            ;   in Loop: Header=BB439_481 Depth=1
	v_dual_mov_b32 v62, s21 :: v_dual_mov_b32 v61, s20
	s_and_b32 s0, exec_lo, s25
	s_delay_alu instid0(SALU_CYCLE_1) | instskip(NEXT) | instid1(SALU_CYCLE_1)
	s_or_b32 s24, s0, s24
	s_and_not1_b32 exec_lo, exec_lo, s24
	s_cbranch_execz .LBB439_484
.LBB439_481:                            ; =>This Inner Loop Header: Depth=1
	s_or_b32 s25, s25, exec_lo
	s_cmp_eq_u64 s[14:15], s[20:21]
	s_cbranch_scc0 .LBB439_479
; %bb.482:                              ;   in Loop: Header=BB439_481 Depth=1
	s_mov_b64 s[20:21], s[8:9]
                                        ; implicit-def: $vgpr57_vgpr58
                                        ; implicit-def: $vgpr59_vgpr60
	s_branch .LBB439_480
.LBB439_483:
	v_mov_b32_e32 v137, 0
	v_mov_b32_e32 v138, 0
	s_branch .LBB439_486
.LBB439_484:
	s_set_inst_prefetch_distance 0x2
	s_or_b32 exec_lo, exec_lo, s24
	v_cmp_gt_i64_e32 vcc_lo, s[8:9], v[61:62]
	s_mov_b32 s0, 0
	s_delay_alu instid0(SALU_CYCLE_1)
	v_mov_b32_e32 v138, s0
	v_cndmask_b32_e64 v137, 0, 1, vcc_lo
.LBB439_485:
	s_or_b32 exec_lo, exec_lo, s23
.LBB439_486:
	s_delay_alu instid0(SALU_CYCLE_1) | instskip(SKIP_3) | instid1(VALU_DEP_2)
	s_or_b32 exec_lo, exec_lo, s22
	v_dual_mov_b32 v140, v38 :: v_dual_add_nc_u32 v57, 14, v64
	v_mov_b32_e32 v139, v37
	s_mov_b32 s22, exec_lo
	v_cmpx_gt_u32_e64 s3, v57
	s_cbranch_execz .LBB439_497
; %bb.487:
	v_cmp_ne_u32_e32 vcc_lo, 1, v63
	s_cbranch_vccnz .LBB439_494
; %bb.488:
	v_mul_lo_u32 v61, v38, s8
	v_mul_lo_u32 v62, v37, s9
	v_mad_u64_u32 v[57:58], null, v37, s8, 0
	v_mul_lo_u32 v65, v36, s8
	v_mul_lo_u32 v66, v35, s9
	v_mad_u64_u32 v[59:60], null, v35, s8, 0
	v_mov_b32_e32 v139, 1
	v_mov_b32_e32 v140, 0
	v_add3_u32 v58, v58, v62, v61
	s_mov_b32 s23, exec_lo
	s_delay_alu instid0(VALU_DEP_4) | instskip(NEXT) | instid1(VALU_DEP_2)
	v_add3_u32 v60, v60, v66, v65
	v_lshlrev_b64 v[57:58], 2, v[57:58]
	s_delay_alu instid0(VALU_DEP_2) | instskip(NEXT) | instid1(VALU_DEP_2)
	v_lshlrev_b64 v[61:62], 2, v[59:60]
	v_add_co_u32 v59, vcc_lo, s10, v57
	s_delay_alu instid0(VALU_DEP_3) | instskip(NEXT) | instid1(VALU_DEP_3)
	v_add_co_ci_u32_e32 v60, vcc_lo, s11, v58, vcc_lo
	v_add_co_u32 v57, vcc_lo, s10, v61
	s_delay_alu instid0(VALU_DEP_4)
	v_add_co_ci_u32_e32 v58, vcc_lo, s11, v62, vcc_lo
	s_clause 0x1
	global_load_b32 v61, v[59:60], off
	global_load_b32 v62, v[57:58], off
	s_waitcnt vmcnt(0)
	v_cmpx_eq_u32_e64 v61, v62
	s_cbranch_execz .LBB439_496
; %bb.489:
	v_add_co_u32 v57, vcc_lo, v57, 4
	v_add_co_ci_u32_e32 v58, vcc_lo, 0, v58, vcc_lo
	v_add_co_u32 v59, vcc_lo, v59, 4
	v_add_co_ci_u32_e32 v60, vcc_lo, 0, v60, vcc_lo
	s_add_u32 s14, s8, -1
	s_addc_u32 s15, s9, -1
	s_mov_b64 s[20:21], 0
	s_mov_b32 s24, 0
                                        ; implicit-def: $sgpr25
	s_set_inst_prefetch_distance 0x1
	s_branch .LBB439_492
	.p2align	6
.LBB439_490:                            ;   in Loop: Header=BB439_492 Depth=1
	global_load_b32 v61, v[59:60], off
	global_load_b32 v62, v[57:58], off
	v_add_co_u32 v57, vcc_lo, v57, 4
	v_add_co_ci_u32_e32 v58, vcc_lo, 0, v58, vcc_lo
	v_add_co_u32 v59, s0, v59, 4
	s_delay_alu instid0(VALU_DEP_1)
	v_add_co_ci_u32_e64 v60, s0, 0, v60, s0
	s_add_u32 s20, s20, 1
	s_addc_u32 s21, s21, 0
	s_and_not1_b32 s0, s25, exec_lo
	s_waitcnt vmcnt(0)
	v_cmp_ne_u32_e32 vcc_lo, v61, v62
	s_and_b32 s25, vcc_lo, exec_lo
	s_delay_alu instid0(SALU_CYCLE_1)
	s_or_b32 s25, s0, s25
.LBB439_491:                            ;   in Loop: Header=BB439_492 Depth=1
	v_dual_mov_b32 v62, s21 :: v_dual_mov_b32 v61, s20
	s_and_b32 s0, exec_lo, s25
	s_delay_alu instid0(SALU_CYCLE_1) | instskip(NEXT) | instid1(SALU_CYCLE_1)
	s_or_b32 s24, s0, s24
	s_and_not1_b32 exec_lo, exec_lo, s24
	s_cbranch_execz .LBB439_495
.LBB439_492:                            ; =>This Inner Loop Header: Depth=1
	s_or_b32 s25, s25, exec_lo
	s_cmp_eq_u64 s[14:15], s[20:21]
	s_cbranch_scc0 .LBB439_490
; %bb.493:                              ;   in Loop: Header=BB439_492 Depth=1
	s_mov_b64 s[20:21], s[8:9]
                                        ; implicit-def: $vgpr57_vgpr58
                                        ; implicit-def: $vgpr59_vgpr60
	s_branch .LBB439_491
.LBB439_494:
	v_mov_b32_e32 v139, 0
	v_mov_b32_e32 v140, 0
	s_branch .LBB439_497
.LBB439_495:
	s_set_inst_prefetch_distance 0x2
	s_or_b32 exec_lo, exec_lo, s24
	v_cmp_gt_i64_e32 vcc_lo, s[8:9], v[61:62]
	s_mov_b32 s0, 0
	s_delay_alu instid0(SALU_CYCLE_1)
	v_mov_b32_e32 v140, s0
	v_cndmask_b32_e64 v139, 0, 1, vcc_lo
.LBB439_496:
	s_or_b32 exec_lo, exec_lo, s23
.LBB439_497:
	s_delay_alu instid0(SALU_CYCLE_1) | instskip(SKIP_3) | instid1(VALU_DEP_2)
	s_or_b32 exec_lo, exec_lo, s22
	v_dual_mov_b32 v142, v36 :: v_dual_add_nc_u32 v57, 13, v64
	v_mov_b32_e32 v141, v35
	s_mov_b32 s22, exec_lo
	v_cmpx_gt_u32_e64 s3, v57
	s_cbranch_execz .LBB439_508
; %bb.498:
	v_cmp_ne_u32_e32 vcc_lo, 1, v63
	s_cbranch_vccnz .LBB439_505
; %bb.499:
	v_mul_lo_u32 v61, v36, s8
	v_mul_lo_u32 v62, v35, s9
	v_mad_u64_u32 v[57:58], null, v35, s8, 0
	v_mul_lo_u32 v65, v34, s8
	v_mul_lo_u32 v66, v33, s9
	v_mad_u64_u32 v[59:60], null, v33, s8, 0
	v_mov_b32_e32 v141, 1
	v_mov_b32_e32 v142, 0
	v_add3_u32 v58, v58, v62, v61
	s_mov_b32 s23, exec_lo
	s_delay_alu instid0(VALU_DEP_4) | instskip(NEXT) | instid1(VALU_DEP_2)
	v_add3_u32 v60, v60, v66, v65
	v_lshlrev_b64 v[57:58], 2, v[57:58]
	s_delay_alu instid0(VALU_DEP_2) | instskip(NEXT) | instid1(VALU_DEP_2)
	v_lshlrev_b64 v[61:62], 2, v[59:60]
	v_add_co_u32 v59, vcc_lo, s10, v57
	s_delay_alu instid0(VALU_DEP_3) | instskip(NEXT) | instid1(VALU_DEP_3)
	v_add_co_ci_u32_e32 v60, vcc_lo, s11, v58, vcc_lo
	v_add_co_u32 v57, vcc_lo, s10, v61
	s_delay_alu instid0(VALU_DEP_4)
	v_add_co_ci_u32_e32 v58, vcc_lo, s11, v62, vcc_lo
	s_clause 0x1
	global_load_b32 v61, v[59:60], off
	global_load_b32 v62, v[57:58], off
	s_waitcnt vmcnt(0)
	v_cmpx_eq_u32_e64 v61, v62
	s_cbranch_execz .LBB439_507
; %bb.500:
	v_add_co_u32 v57, vcc_lo, v57, 4
	v_add_co_ci_u32_e32 v58, vcc_lo, 0, v58, vcc_lo
	v_add_co_u32 v59, vcc_lo, v59, 4
	v_add_co_ci_u32_e32 v60, vcc_lo, 0, v60, vcc_lo
	s_add_u32 s14, s8, -1
	s_addc_u32 s15, s9, -1
	s_mov_b64 s[20:21], 0
	s_mov_b32 s24, 0
                                        ; implicit-def: $sgpr25
	s_set_inst_prefetch_distance 0x1
	s_branch .LBB439_503
	.p2align	6
.LBB439_501:                            ;   in Loop: Header=BB439_503 Depth=1
	global_load_b32 v61, v[59:60], off
	global_load_b32 v62, v[57:58], off
	v_add_co_u32 v57, vcc_lo, v57, 4
	v_add_co_ci_u32_e32 v58, vcc_lo, 0, v58, vcc_lo
	v_add_co_u32 v59, s0, v59, 4
	s_delay_alu instid0(VALU_DEP_1)
	v_add_co_ci_u32_e64 v60, s0, 0, v60, s0
	s_add_u32 s20, s20, 1
	s_addc_u32 s21, s21, 0
	s_and_not1_b32 s0, s25, exec_lo
	s_waitcnt vmcnt(0)
	v_cmp_ne_u32_e32 vcc_lo, v61, v62
	s_and_b32 s25, vcc_lo, exec_lo
	s_delay_alu instid0(SALU_CYCLE_1)
	s_or_b32 s25, s0, s25
.LBB439_502:                            ;   in Loop: Header=BB439_503 Depth=1
	v_dual_mov_b32 v62, s21 :: v_dual_mov_b32 v61, s20
	s_and_b32 s0, exec_lo, s25
	s_delay_alu instid0(SALU_CYCLE_1) | instskip(NEXT) | instid1(SALU_CYCLE_1)
	s_or_b32 s24, s0, s24
	s_and_not1_b32 exec_lo, exec_lo, s24
	s_cbranch_execz .LBB439_506
.LBB439_503:                            ; =>This Inner Loop Header: Depth=1
	s_or_b32 s25, s25, exec_lo
	s_cmp_eq_u64 s[14:15], s[20:21]
	s_cbranch_scc0 .LBB439_501
; %bb.504:                              ;   in Loop: Header=BB439_503 Depth=1
	s_mov_b64 s[20:21], s[8:9]
                                        ; implicit-def: $vgpr57_vgpr58
                                        ; implicit-def: $vgpr59_vgpr60
	s_branch .LBB439_502
.LBB439_505:
	v_mov_b32_e32 v141, 0
	v_mov_b32_e32 v142, 0
	s_branch .LBB439_508
.LBB439_506:
	s_set_inst_prefetch_distance 0x2
	s_or_b32 exec_lo, exec_lo, s24
	v_cmp_gt_i64_e32 vcc_lo, s[8:9], v[61:62]
	s_mov_b32 s0, 0
	s_delay_alu instid0(SALU_CYCLE_1)
	v_mov_b32_e32 v142, s0
	v_cndmask_b32_e64 v141, 0, 1, vcc_lo
.LBB439_507:
	s_or_b32 exec_lo, exec_lo, s23
.LBB439_508:
	s_delay_alu instid0(SALU_CYCLE_1) | instskip(SKIP_3) | instid1(VALU_DEP_2)
	s_or_b32 exec_lo, exec_lo, s22
	v_dual_mov_b32 v144, v34 :: v_dual_add_nc_u32 v57, 12, v64
	v_mov_b32_e32 v143, v33
	s_mov_b32 s22, exec_lo
	v_cmpx_gt_u32_e64 s3, v57
	s_cbranch_execz .LBB439_519
; %bb.509:
	v_cmp_ne_u32_e32 vcc_lo, 1, v63
	s_cbranch_vccnz .LBB439_516
; %bb.510:
	v_mul_lo_u32 v61, v34, s8
	v_mul_lo_u32 v62, v33, s9
	v_mad_u64_u32 v[57:58], null, v33, s8, 0
	v_mul_lo_u32 v65, v32, s8
	v_mul_lo_u32 v66, v31, s9
	v_mad_u64_u32 v[59:60], null, v31, s8, 0
	v_mov_b32_e32 v143, 1
	v_mov_b32_e32 v144, 0
	v_add3_u32 v58, v58, v62, v61
	s_mov_b32 s23, exec_lo
	s_delay_alu instid0(VALU_DEP_4) | instskip(NEXT) | instid1(VALU_DEP_2)
	v_add3_u32 v60, v60, v66, v65
	v_lshlrev_b64 v[57:58], 2, v[57:58]
	s_delay_alu instid0(VALU_DEP_2) | instskip(NEXT) | instid1(VALU_DEP_2)
	v_lshlrev_b64 v[61:62], 2, v[59:60]
	v_add_co_u32 v59, vcc_lo, s10, v57
	s_delay_alu instid0(VALU_DEP_3) | instskip(NEXT) | instid1(VALU_DEP_3)
	v_add_co_ci_u32_e32 v60, vcc_lo, s11, v58, vcc_lo
	v_add_co_u32 v57, vcc_lo, s10, v61
	s_delay_alu instid0(VALU_DEP_4)
	v_add_co_ci_u32_e32 v58, vcc_lo, s11, v62, vcc_lo
	s_clause 0x1
	global_load_b32 v61, v[59:60], off
	global_load_b32 v62, v[57:58], off
	s_waitcnt vmcnt(0)
	v_cmpx_eq_u32_e64 v61, v62
	s_cbranch_execz .LBB439_518
; %bb.511:
	v_add_co_u32 v57, vcc_lo, v57, 4
	v_add_co_ci_u32_e32 v58, vcc_lo, 0, v58, vcc_lo
	v_add_co_u32 v59, vcc_lo, v59, 4
	v_add_co_ci_u32_e32 v60, vcc_lo, 0, v60, vcc_lo
	s_add_u32 s14, s8, -1
	s_addc_u32 s15, s9, -1
	s_mov_b64 s[20:21], 0
	s_mov_b32 s24, 0
                                        ; implicit-def: $sgpr25
	s_set_inst_prefetch_distance 0x1
	s_branch .LBB439_514
	.p2align	6
.LBB439_512:                            ;   in Loop: Header=BB439_514 Depth=1
	global_load_b32 v61, v[59:60], off
	global_load_b32 v62, v[57:58], off
	v_add_co_u32 v57, vcc_lo, v57, 4
	v_add_co_ci_u32_e32 v58, vcc_lo, 0, v58, vcc_lo
	v_add_co_u32 v59, s0, v59, 4
	s_delay_alu instid0(VALU_DEP_1)
	v_add_co_ci_u32_e64 v60, s0, 0, v60, s0
	s_add_u32 s20, s20, 1
	s_addc_u32 s21, s21, 0
	s_and_not1_b32 s0, s25, exec_lo
	s_waitcnt vmcnt(0)
	v_cmp_ne_u32_e32 vcc_lo, v61, v62
	s_and_b32 s25, vcc_lo, exec_lo
	s_delay_alu instid0(SALU_CYCLE_1)
	s_or_b32 s25, s0, s25
.LBB439_513:                            ;   in Loop: Header=BB439_514 Depth=1
	v_dual_mov_b32 v62, s21 :: v_dual_mov_b32 v61, s20
	s_and_b32 s0, exec_lo, s25
	s_delay_alu instid0(SALU_CYCLE_1) | instskip(NEXT) | instid1(SALU_CYCLE_1)
	s_or_b32 s24, s0, s24
	s_and_not1_b32 exec_lo, exec_lo, s24
	s_cbranch_execz .LBB439_517
.LBB439_514:                            ; =>This Inner Loop Header: Depth=1
	s_or_b32 s25, s25, exec_lo
	s_cmp_eq_u64 s[14:15], s[20:21]
	s_cbranch_scc0 .LBB439_512
; %bb.515:                              ;   in Loop: Header=BB439_514 Depth=1
	s_mov_b64 s[20:21], s[8:9]
                                        ; implicit-def: $vgpr57_vgpr58
                                        ; implicit-def: $vgpr59_vgpr60
	s_branch .LBB439_513
.LBB439_516:
	v_mov_b32_e32 v143, 0
	v_mov_b32_e32 v144, 0
	s_branch .LBB439_519
.LBB439_517:
	s_set_inst_prefetch_distance 0x2
	s_or_b32 exec_lo, exec_lo, s24
	v_cmp_gt_i64_e32 vcc_lo, s[8:9], v[61:62]
	s_mov_b32 s0, 0
	s_delay_alu instid0(SALU_CYCLE_1)
	v_mov_b32_e32 v144, s0
	v_cndmask_b32_e64 v143, 0, 1, vcc_lo
.LBB439_518:
	s_or_b32 exec_lo, exec_lo, s23
.LBB439_519:
	s_delay_alu instid0(SALU_CYCLE_1) | instskip(SKIP_3) | instid1(VALU_DEP_2)
	s_or_b32 exec_lo, exec_lo, s22
	v_dual_mov_b32 v146, v32 :: v_dual_add_nc_u32 v57, 11, v64
	v_mov_b32_e32 v145, v31
	s_mov_b32 s22, exec_lo
	v_cmpx_gt_u32_e64 s3, v57
	s_cbranch_execz .LBB439_530
; %bb.520:
	v_cmp_ne_u32_e32 vcc_lo, 1, v63
	s_cbranch_vccnz .LBB439_527
; %bb.521:
	v_mul_lo_u32 v61, v32, s8
	v_mul_lo_u32 v62, v31, s9
	v_mad_u64_u32 v[57:58], null, v31, s8, 0
	v_mul_lo_u32 v65, v30, s8
	v_mul_lo_u32 v66, v29, s9
	v_mad_u64_u32 v[59:60], null, v29, s8, 0
	v_mov_b32_e32 v145, 1
	v_mov_b32_e32 v146, 0
	v_add3_u32 v58, v58, v62, v61
	s_mov_b32 s23, exec_lo
	s_delay_alu instid0(VALU_DEP_4) | instskip(NEXT) | instid1(VALU_DEP_2)
	v_add3_u32 v60, v60, v66, v65
	v_lshlrev_b64 v[57:58], 2, v[57:58]
	s_delay_alu instid0(VALU_DEP_2) | instskip(NEXT) | instid1(VALU_DEP_2)
	v_lshlrev_b64 v[61:62], 2, v[59:60]
	v_add_co_u32 v59, vcc_lo, s10, v57
	s_delay_alu instid0(VALU_DEP_3) | instskip(NEXT) | instid1(VALU_DEP_3)
	v_add_co_ci_u32_e32 v60, vcc_lo, s11, v58, vcc_lo
	v_add_co_u32 v57, vcc_lo, s10, v61
	s_delay_alu instid0(VALU_DEP_4)
	v_add_co_ci_u32_e32 v58, vcc_lo, s11, v62, vcc_lo
	s_clause 0x1
	global_load_b32 v61, v[59:60], off
	global_load_b32 v62, v[57:58], off
	s_waitcnt vmcnt(0)
	v_cmpx_eq_u32_e64 v61, v62
	s_cbranch_execz .LBB439_529
; %bb.522:
	v_add_co_u32 v57, vcc_lo, v57, 4
	v_add_co_ci_u32_e32 v58, vcc_lo, 0, v58, vcc_lo
	v_add_co_u32 v59, vcc_lo, v59, 4
	v_add_co_ci_u32_e32 v60, vcc_lo, 0, v60, vcc_lo
	s_add_u32 s14, s8, -1
	s_addc_u32 s15, s9, -1
	s_mov_b64 s[20:21], 0
	s_mov_b32 s24, 0
                                        ; implicit-def: $sgpr25
	s_set_inst_prefetch_distance 0x1
	s_branch .LBB439_525
	.p2align	6
.LBB439_523:                            ;   in Loop: Header=BB439_525 Depth=1
	global_load_b32 v61, v[59:60], off
	global_load_b32 v62, v[57:58], off
	v_add_co_u32 v57, vcc_lo, v57, 4
	v_add_co_ci_u32_e32 v58, vcc_lo, 0, v58, vcc_lo
	v_add_co_u32 v59, s0, v59, 4
	s_delay_alu instid0(VALU_DEP_1)
	v_add_co_ci_u32_e64 v60, s0, 0, v60, s0
	s_add_u32 s20, s20, 1
	s_addc_u32 s21, s21, 0
	s_and_not1_b32 s0, s25, exec_lo
	s_waitcnt vmcnt(0)
	v_cmp_ne_u32_e32 vcc_lo, v61, v62
	s_and_b32 s25, vcc_lo, exec_lo
	s_delay_alu instid0(SALU_CYCLE_1)
	s_or_b32 s25, s0, s25
.LBB439_524:                            ;   in Loop: Header=BB439_525 Depth=1
	v_dual_mov_b32 v62, s21 :: v_dual_mov_b32 v61, s20
	s_and_b32 s0, exec_lo, s25
	s_delay_alu instid0(SALU_CYCLE_1) | instskip(NEXT) | instid1(SALU_CYCLE_1)
	s_or_b32 s24, s0, s24
	s_and_not1_b32 exec_lo, exec_lo, s24
	s_cbranch_execz .LBB439_528
.LBB439_525:                            ; =>This Inner Loop Header: Depth=1
	s_or_b32 s25, s25, exec_lo
	s_cmp_eq_u64 s[14:15], s[20:21]
	s_cbranch_scc0 .LBB439_523
; %bb.526:                              ;   in Loop: Header=BB439_525 Depth=1
	s_mov_b64 s[20:21], s[8:9]
                                        ; implicit-def: $vgpr57_vgpr58
                                        ; implicit-def: $vgpr59_vgpr60
	s_branch .LBB439_524
.LBB439_527:
	v_mov_b32_e32 v145, 0
	v_mov_b32_e32 v146, 0
	s_branch .LBB439_530
.LBB439_528:
	s_set_inst_prefetch_distance 0x2
	s_or_b32 exec_lo, exec_lo, s24
	v_cmp_gt_i64_e32 vcc_lo, s[8:9], v[61:62]
	s_mov_b32 s0, 0
	s_delay_alu instid0(SALU_CYCLE_1)
	v_mov_b32_e32 v146, s0
	v_cndmask_b32_e64 v145, 0, 1, vcc_lo
.LBB439_529:
	s_or_b32 exec_lo, exec_lo, s23
.LBB439_530:
	s_delay_alu instid0(SALU_CYCLE_1) | instskip(SKIP_3) | instid1(VALU_DEP_2)
	s_or_b32 exec_lo, exec_lo, s22
	v_dual_mov_b32 v148, v30 :: v_dual_add_nc_u32 v57, 10, v64
	v_mov_b32_e32 v147, v29
	s_mov_b32 s22, exec_lo
	v_cmpx_gt_u32_e64 s3, v57
	s_cbranch_execz .LBB439_541
; %bb.531:
	v_cmp_ne_u32_e32 vcc_lo, 1, v63
	s_cbranch_vccnz .LBB439_538
; %bb.532:
	v_mul_lo_u32 v61, v30, s8
	v_mul_lo_u32 v62, v29, s9
	v_mad_u64_u32 v[57:58], null, v29, s8, 0
	v_mul_lo_u32 v65, v28, s8
	v_mul_lo_u32 v66, v27, s9
	v_mad_u64_u32 v[59:60], null, v27, s8, 0
	v_mov_b32_e32 v147, 1
	v_mov_b32_e32 v148, 0
	v_add3_u32 v58, v58, v62, v61
	s_mov_b32 s23, exec_lo
	s_delay_alu instid0(VALU_DEP_4) | instskip(NEXT) | instid1(VALU_DEP_2)
	v_add3_u32 v60, v60, v66, v65
	v_lshlrev_b64 v[57:58], 2, v[57:58]
	s_delay_alu instid0(VALU_DEP_2) | instskip(NEXT) | instid1(VALU_DEP_2)
	v_lshlrev_b64 v[61:62], 2, v[59:60]
	v_add_co_u32 v59, vcc_lo, s10, v57
	s_delay_alu instid0(VALU_DEP_3) | instskip(NEXT) | instid1(VALU_DEP_3)
	v_add_co_ci_u32_e32 v60, vcc_lo, s11, v58, vcc_lo
	v_add_co_u32 v57, vcc_lo, s10, v61
	s_delay_alu instid0(VALU_DEP_4)
	v_add_co_ci_u32_e32 v58, vcc_lo, s11, v62, vcc_lo
	s_clause 0x1
	global_load_b32 v61, v[59:60], off
	global_load_b32 v62, v[57:58], off
	s_waitcnt vmcnt(0)
	v_cmpx_eq_u32_e64 v61, v62
	s_cbranch_execz .LBB439_540
; %bb.533:
	v_add_co_u32 v57, vcc_lo, v57, 4
	v_add_co_ci_u32_e32 v58, vcc_lo, 0, v58, vcc_lo
	v_add_co_u32 v59, vcc_lo, v59, 4
	v_add_co_ci_u32_e32 v60, vcc_lo, 0, v60, vcc_lo
	s_add_u32 s14, s8, -1
	s_addc_u32 s15, s9, -1
	s_mov_b64 s[20:21], 0
	s_mov_b32 s24, 0
                                        ; implicit-def: $sgpr25
	s_set_inst_prefetch_distance 0x1
	s_branch .LBB439_536
	.p2align	6
.LBB439_534:                            ;   in Loop: Header=BB439_536 Depth=1
	global_load_b32 v61, v[59:60], off
	global_load_b32 v62, v[57:58], off
	v_add_co_u32 v57, vcc_lo, v57, 4
	v_add_co_ci_u32_e32 v58, vcc_lo, 0, v58, vcc_lo
	v_add_co_u32 v59, s0, v59, 4
	s_delay_alu instid0(VALU_DEP_1)
	v_add_co_ci_u32_e64 v60, s0, 0, v60, s0
	s_add_u32 s20, s20, 1
	s_addc_u32 s21, s21, 0
	s_and_not1_b32 s0, s25, exec_lo
	s_waitcnt vmcnt(0)
	v_cmp_ne_u32_e32 vcc_lo, v61, v62
	s_and_b32 s25, vcc_lo, exec_lo
	s_delay_alu instid0(SALU_CYCLE_1)
	s_or_b32 s25, s0, s25
.LBB439_535:                            ;   in Loop: Header=BB439_536 Depth=1
	v_dual_mov_b32 v62, s21 :: v_dual_mov_b32 v61, s20
	s_and_b32 s0, exec_lo, s25
	s_delay_alu instid0(SALU_CYCLE_1) | instskip(NEXT) | instid1(SALU_CYCLE_1)
	s_or_b32 s24, s0, s24
	s_and_not1_b32 exec_lo, exec_lo, s24
	s_cbranch_execz .LBB439_539
.LBB439_536:                            ; =>This Inner Loop Header: Depth=1
	s_or_b32 s25, s25, exec_lo
	s_cmp_eq_u64 s[14:15], s[20:21]
	s_cbranch_scc0 .LBB439_534
; %bb.537:                              ;   in Loop: Header=BB439_536 Depth=1
	s_mov_b64 s[20:21], s[8:9]
                                        ; implicit-def: $vgpr57_vgpr58
                                        ; implicit-def: $vgpr59_vgpr60
	s_branch .LBB439_535
.LBB439_538:
	v_mov_b32_e32 v147, 0
	v_mov_b32_e32 v148, 0
	s_branch .LBB439_541
.LBB439_539:
	s_set_inst_prefetch_distance 0x2
	s_or_b32 exec_lo, exec_lo, s24
	v_cmp_gt_i64_e32 vcc_lo, s[8:9], v[61:62]
	s_mov_b32 s0, 0
	s_delay_alu instid0(SALU_CYCLE_1)
	v_mov_b32_e32 v148, s0
	v_cndmask_b32_e64 v147, 0, 1, vcc_lo
.LBB439_540:
	s_or_b32 exec_lo, exec_lo, s23
.LBB439_541:
	s_delay_alu instid0(SALU_CYCLE_1) | instskip(SKIP_3) | instid1(VALU_DEP_2)
	s_or_b32 exec_lo, exec_lo, s22
	v_dual_mov_b32 v150, v28 :: v_dual_add_nc_u32 v57, 9, v64
	v_mov_b32_e32 v149, v27
	s_mov_b32 s22, exec_lo
	v_cmpx_gt_u32_e64 s3, v57
	s_cbranch_execz .LBB439_552
; %bb.542:
	v_cmp_ne_u32_e32 vcc_lo, 1, v63
	s_cbranch_vccnz .LBB439_549
; %bb.543:
	v_mul_lo_u32 v61, v28, s8
	v_mul_lo_u32 v62, v27, s9
	v_mad_u64_u32 v[57:58], null, v27, s8, 0
	v_mul_lo_u32 v65, v26, s8
	v_mul_lo_u32 v66, v25, s9
	v_mad_u64_u32 v[59:60], null, v25, s8, 0
	v_mov_b32_e32 v149, 1
	v_mov_b32_e32 v150, 0
	v_add3_u32 v58, v58, v62, v61
	s_mov_b32 s23, exec_lo
	s_delay_alu instid0(VALU_DEP_4) | instskip(NEXT) | instid1(VALU_DEP_2)
	v_add3_u32 v60, v60, v66, v65
	v_lshlrev_b64 v[57:58], 2, v[57:58]
	s_delay_alu instid0(VALU_DEP_2) | instskip(NEXT) | instid1(VALU_DEP_2)
	v_lshlrev_b64 v[61:62], 2, v[59:60]
	v_add_co_u32 v59, vcc_lo, s10, v57
	s_delay_alu instid0(VALU_DEP_3) | instskip(NEXT) | instid1(VALU_DEP_3)
	v_add_co_ci_u32_e32 v60, vcc_lo, s11, v58, vcc_lo
	v_add_co_u32 v57, vcc_lo, s10, v61
	s_delay_alu instid0(VALU_DEP_4)
	v_add_co_ci_u32_e32 v58, vcc_lo, s11, v62, vcc_lo
	s_clause 0x1
	global_load_b32 v61, v[59:60], off
	global_load_b32 v62, v[57:58], off
	s_waitcnt vmcnt(0)
	v_cmpx_eq_u32_e64 v61, v62
	s_cbranch_execz .LBB439_551
; %bb.544:
	v_add_co_u32 v57, vcc_lo, v57, 4
	v_add_co_ci_u32_e32 v58, vcc_lo, 0, v58, vcc_lo
	v_add_co_u32 v59, vcc_lo, v59, 4
	v_add_co_ci_u32_e32 v60, vcc_lo, 0, v60, vcc_lo
	s_add_u32 s14, s8, -1
	s_addc_u32 s15, s9, -1
	s_mov_b64 s[20:21], 0
	s_mov_b32 s24, 0
                                        ; implicit-def: $sgpr25
	s_set_inst_prefetch_distance 0x1
	s_branch .LBB439_547
	.p2align	6
.LBB439_545:                            ;   in Loop: Header=BB439_547 Depth=1
	global_load_b32 v61, v[59:60], off
	global_load_b32 v62, v[57:58], off
	v_add_co_u32 v57, vcc_lo, v57, 4
	v_add_co_ci_u32_e32 v58, vcc_lo, 0, v58, vcc_lo
	v_add_co_u32 v59, s0, v59, 4
	s_delay_alu instid0(VALU_DEP_1)
	v_add_co_ci_u32_e64 v60, s0, 0, v60, s0
	s_add_u32 s20, s20, 1
	s_addc_u32 s21, s21, 0
	s_and_not1_b32 s0, s25, exec_lo
	s_waitcnt vmcnt(0)
	v_cmp_ne_u32_e32 vcc_lo, v61, v62
	s_and_b32 s25, vcc_lo, exec_lo
	s_delay_alu instid0(SALU_CYCLE_1)
	s_or_b32 s25, s0, s25
.LBB439_546:                            ;   in Loop: Header=BB439_547 Depth=1
	v_dual_mov_b32 v62, s21 :: v_dual_mov_b32 v61, s20
	s_and_b32 s0, exec_lo, s25
	s_delay_alu instid0(SALU_CYCLE_1) | instskip(NEXT) | instid1(SALU_CYCLE_1)
	s_or_b32 s24, s0, s24
	s_and_not1_b32 exec_lo, exec_lo, s24
	s_cbranch_execz .LBB439_550
.LBB439_547:                            ; =>This Inner Loop Header: Depth=1
	s_or_b32 s25, s25, exec_lo
	s_cmp_eq_u64 s[14:15], s[20:21]
	s_cbranch_scc0 .LBB439_545
; %bb.548:                              ;   in Loop: Header=BB439_547 Depth=1
	s_mov_b64 s[20:21], s[8:9]
                                        ; implicit-def: $vgpr57_vgpr58
                                        ; implicit-def: $vgpr59_vgpr60
	s_branch .LBB439_546
.LBB439_549:
	v_mov_b32_e32 v149, 0
	v_mov_b32_e32 v150, 0
	s_branch .LBB439_552
.LBB439_550:
	s_set_inst_prefetch_distance 0x2
	s_or_b32 exec_lo, exec_lo, s24
	v_cmp_gt_i64_e32 vcc_lo, s[8:9], v[61:62]
	s_mov_b32 s0, 0
	s_delay_alu instid0(SALU_CYCLE_1)
	v_mov_b32_e32 v150, s0
	v_cndmask_b32_e64 v149, 0, 1, vcc_lo
.LBB439_551:
	s_or_b32 exec_lo, exec_lo, s23
.LBB439_552:
	s_delay_alu instid0(SALU_CYCLE_1) | instskip(SKIP_3) | instid1(VALU_DEP_2)
	s_or_b32 exec_lo, exec_lo, s22
	v_dual_mov_b32 v152, v26 :: v_dual_add_nc_u32 v57, 8, v64
	v_mov_b32_e32 v151, v25
	s_mov_b32 s22, exec_lo
	v_cmpx_gt_u32_e64 s3, v57
	s_cbranch_execz .LBB439_563
; %bb.553:
	v_cmp_ne_u32_e32 vcc_lo, 1, v63
	s_cbranch_vccnz .LBB439_560
; %bb.554:
	v_mul_lo_u32 v61, v26, s8
	v_mul_lo_u32 v62, v25, s9
	v_mad_u64_u32 v[57:58], null, v25, s8, 0
	v_mul_lo_u32 v65, v24, s8
	v_mul_lo_u32 v66, v23, s9
	v_mad_u64_u32 v[59:60], null, v23, s8, 0
	v_mov_b32_e32 v151, 1
	v_mov_b32_e32 v152, 0
	v_add3_u32 v58, v58, v62, v61
	s_mov_b32 s23, exec_lo
	s_delay_alu instid0(VALU_DEP_4) | instskip(NEXT) | instid1(VALU_DEP_2)
	v_add3_u32 v60, v60, v66, v65
	v_lshlrev_b64 v[57:58], 2, v[57:58]
	s_delay_alu instid0(VALU_DEP_2) | instskip(NEXT) | instid1(VALU_DEP_2)
	v_lshlrev_b64 v[61:62], 2, v[59:60]
	v_add_co_u32 v59, vcc_lo, s10, v57
	s_delay_alu instid0(VALU_DEP_3) | instskip(NEXT) | instid1(VALU_DEP_3)
	v_add_co_ci_u32_e32 v60, vcc_lo, s11, v58, vcc_lo
	v_add_co_u32 v57, vcc_lo, s10, v61
	s_delay_alu instid0(VALU_DEP_4)
	v_add_co_ci_u32_e32 v58, vcc_lo, s11, v62, vcc_lo
	s_clause 0x1
	global_load_b32 v61, v[59:60], off
	global_load_b32 v62, v[57:58], off
	s_waitcnt vmcnt(0)
	v_cmpx_eq_u32_e64 v61, v62
	s_cbranch_execz .LBB439_562
; %bb.555:
	v_add_co_u32 v57, vcc_lo, v57, 4
	v_add_co_ci_u32_e32 v58, vcc_lo, 0, v58, vcc_lo
	v_add_co_u32 v59, vcc_lo, v59, 4
	v_add_co_ci_u32_e32 v60, vcc_lo, 0, v60, vcc_lo
	s_add_u32 s14, s8, -1
	s_addc_u32 s15, s9, -1
	s_mov_b64 s[20:21], 0
	s_mov_b32 s24, 0
                                        ; implicit-def: $sgpr25
	s_set_inst_prefetch_distance 0x1
	s_branch .LBB439_558
	.p2align	6
.LBB439_556:                            ;   in Loop: Header=BB439_558 Depth=1
	global_load_b32 v61, v[59:60], off
	global_load_b32 v62, v[57:58], off
	v_add_co_u32 v57, vcc_lo, v57, 4
	v_add_co_ci_u32_e32 v58, vcc_lo, 0, v58, vcc_lo
	v_add_co_u32 v59, s0, v59, 4
	s_delay_alu instid0(VALU_DEP_1)
	v_add_co_ci_u32_e64 v60, s0, 0, v60, s0
	s_add_u32 s20, s20, 1
	s_addc_u32 s21, s21, 0
	s_and_not1_b32 s0, s25, exec_lo
	s_waitcnt vmcnt(0)
	v_cmp_ne_u32_e32 vcc_lo, v61, v62
	s_and_b32 s25, vcc_lo, exec_lo
	s_delay_alu instid0(SALU_CYCLE_1)
	s_or_b32 s25, s0, s25
.LBB439_557:                            ;   in Loop: Header=BB439_558 Depth=1
	v_dual_mov_b32 v62, s21 :: v_dual_mov_b32 v61, s20
	s_and_b32 s0, exec_lo, s25
	s_delay_alu instid0(SALU_CYCLE_1) | instskip(NEXT) | instid1(SALU_CYCLE_1)
	s_or_b32 s24, s0, s24
	s_and_not1_b32 exec_lo, exec_lo, s24
	s_cbranch_execz .LBB439_561
.LBB439_558:                            ; =>This Inner Loop Header: Depth=1
	s_or_b32 s25, s25, exec_lo
	s_cmp_eq_u64 s[14:15], s[20:21]
	s_cbranch_scc0 .LBB439_556
; %bb.559:                              ;   in Loop: Header=BB439_558 Depth=1
	s_mov_b64 s[20:21], s[8:9]
                                        ; implicit-def: $vgpr57_vgpr58
                                        ; implicit-def: $vgpr59_vgpr60
	s_branch .LBB439_557
.LBB439_560:
	v_mov_b32_e32 v151, 0
	v_mov_b32_e32 v152, 0
	s_branch .LBB439_563
.LBB439_561:
	s_set_inst_prefetch_distance 0x2
	s_or_b32 exec_lo, exec_lo, s24
	v_cmp_gt_i64_e32 vcc_lo, s[8:9], v[61:62]
	s_mov_b32 s0, 0
	s_delay_alu instid0(SALU_CYCLE_1)
	v_mov_b32_e32 v152, s0
	v_cndmask_b32_e64 v151, 0, 1, vcc_lo
.LBB439_562:
	s_or_b32 exec_lo, exec_lo, s23
.LBB439_563:
	s_delay_alu instid0(SALU_CYCLE_1) | instskip(SKIP_3) | instid1(VALU_DEP_2)
	s_or_b32 exec_lo, exec_lo, s22
	v_dual_mov_b32 v154, v24 :: v_dual_add_nc_u32 v57, 7, v64
	v_mov_b32_e32 v153, v23
	s_mov_b32 s22, exec_lo
	v_cmpx_gt_u32_e64 s3, v57
	s_cbranch_execz .LBB439_574
; %bb.564:
	v_cmp_ne_u32_e32 vcc_lo, 1, v63
	s_cbranch_vccnz .LBB439_571
; %bb.565:
	v_mul_lo_u32 v61, v24, s8
	v_mul_lo_u32 v62, v23, s9
	v_mad_u64_u32 v[57:58], null, v23, s8, 0
	v_mul_lo_u32 v65, v22, s8
	v_mul_lo_u32 v66, v21, s9
	v_mad_u64_u32 v[59:60], null, v21, s8, 0
	v_mov_b32_e32 v153, 1
	v_mov_b32_e32 v154, 0
	v_add3_u32 v58, v58, v62, v61
	s_mov_b32 s23, exec_lo
	s_delay_alu instid0(VALU_DEP_4) | instskip(NEXT) | instid1(VALU_DEP_2)
	v_add3_u32 v60, v60, v66, v65
	v_lshlrev_b64 v[57:58], 2, v[57:58]
	s_delay_alu instid0(VALU_DEP_2) | instskip(NEXT) | instid1(VALU_DEP_2)
	v_lshlrev_b64 v[61:62], 2, v[59:60]
	v_add_co_u32 v59, vcc_lo, s10, v57
	s_delay_alu instid0(VALU_DEP_3) | instskip(NEXT) | instid1(VALU_DEP_3)
	v_add_co_ci_u32_e32 v60, vcc_lo, s11, v58, vcc_lo
	v_add_co_u32 v57, vcc_lo, s10, v61
	s_delay_alu instid0(VALU_DEP_4)
	v_add_co_ci_u32_e32 v58, vcc_lo, s11, v62, vcc_lo
	s_clause 0x1
	global_load_b32 v61, v[59:60], off
	global_load_b32 v62, v[57:58], off
	s_waitcnt vmcnt(0)
	v_cmpx_eq_u32_e64 v61, v62
	s_cbranch_execz .LBB439_573
; %bb.566:
	v_add_co_u32 v57, vcc_lo, v57, 4
	v_add_co_ci_u32_e32 v58, vcc_lo, 0, v58, vcc_lo
	v_add_co_u32 v59, vcc_lo, v59, 4
	v_add_co_ci_u32_e32 v60, vcc_lo, 0, v60, vcc_lo
	s_add_u32 s14, s8, -1
	s_addc_u32 s15, s9, -1
	s_mov_b64 s[20:21], 0
	s_mov_b32 s24, 0
                                        ; implicit-def: $sgpr25
	s_set_inst_prefetch_distance 0x1
	s_branch .LBB439_569
	.p2align	6
.LBB439_567:                            ;   in Loop: Header=BB439_569 Depth=1
	global_load_b32 v61, v[59:60], off
	global_load_b32 v62, v[57:58], off
	v_add_co_u32 v57, vcc_lo, v57, 4
	v_add_co_ci_u32_e32 v58, vcc_lo, 0, v58, vcc_lo
	v_add_co_u32 v59, s0, v59, 4
	s_delay_alu instid0(VALU_DEP_1)
	v_add_co_ci_u32_e64 v60, s0, 0, v60, s0
	s_add_u32 s20, s20, 1
	s_addc_u32 s21, s21, 0
	s_and_not1_b32 s0, s25, exec_lo
	s_waitcnt vmcnt(0)
	v_cmp_ne_u32_e32 vcc_lo, v61, v62
	s_and_b32 s25, vcc_lo, exec_lo
	s_delay_alu instid0(SALU_CYCLE_1)
	s_or_b32 s25, s0, s25
.LBB439_568:                            ;   in Loop: Header=BB439_569 Depth=1
	v_dual_mov_b32 v62, s21 :: v_dual_mov_b32 v61, s20
	s_and_b32 s0, exec_lo, s25
	s_delay_alu instid0(SALU_CYCLE_1) | instskip(NEXT) | instid1(SALU_CYCLE_1)
	s_or_b32 s24, s0, s24
	s_and_not1_b32 exec_lo, exec_lo, s24
	s_cbranch_execz .LBB439_572
.LBB439_569:                            ; =>This Inner Loop Header: Depth=1
	s_or_b32 s25, s25, exec_lo
	s_cmp_eq_u64 s[14:15], s[20:21]
	s_cbranch_scc0 .LBB439_567
; %bb.570:                              ;   in Loop: Header=BB439_569 Depth=1
	s_mov_b64 s[20:21], s[8:9]
                                        ; implicit-def: $vgpr57_vgpr58
                                        ; implicit-def: $vgpr59_vgpr60
	s_branch .LBB439_568
.LBB439_571:
	v_mov_b32_e32 v153, 0
	v_mov_b32_e32 v154, 0
	s_branch .LBB439_574
.LBB439_572:
	s_set_inst_prefetch_distance 0x2
	s_or_b32 exec_lo, exec_lo, s24
	v_cmp_gt_i64_e32 vcc_lo, s[8:9], v[61:62]
	s_mov_b32 s0, 0
	s_delay_alu instid0(SALU_CYCLE_1)
	v_mov_b32_e32 v154, s0
	v_cndmask_b32_e64 v153, 0, 1, vcc_lo
.LBB439_573:
	s_or_b32 exec_lo, exec_lo, s23
.LBB439_574:
	s_delay_alu instid0(SALU_CYCLE_1) | instskip(SKIP_3) | instid1(VALU_DEP_2)
	s_or_b32 exec_lo, exec_lo, s22
	v_dual_mov_b32 v156, v22 :: v_dual_add_nc_u32 v57, 6, v64
	v_mov_b32_e32 v155, v21
	s_mov_b32 s22, exec_lo
	v_cmpx_gt_u32_e64 s3, v57
	s_cbranch_execz .LBB439_585
; %bb.575:
	v_cmp_ne_u32_e32 vcc_lo, 1, v63
	s_cbranch_vccnz .LBB439_582
; %bb.576:
	v_mul_lo_u32 v61, v22, s8
	v_mul_lo_u32 v62, v21, s9
	v_mad_u64_u32 v[57:58], null, v21, s8, 0
	v_mul_lo_u32 v65, v20, s8
	v_mul_lo_u32 v66, v19, s9
	v_mad_u64_u32 v[59:60], null, v19, s8, 0
	v_mov_b32_e32 v155, 1
	v_mov_b32_e32 v156, 0
	v_add3_u32 v58, v58, v62, v61
	s_mov_b32 s23, exec_lo
	s_delay_alu instid0(VALU_DEP_4) | instskip(NEXT) | instid1(VALU_DEP_2)
	v_add3_u32 v60, v60, v66, v65
	v_lshlrev_b64 v[57:58], 2, v[57:58]
	s_delay_alu instid0(VALU_DEP_2) | instskip(NEXT) | instid1(VALU_DEP_2)
	v_lshlrev_b64 v[61:62], 2, v[59:60]
	v_add_co_u32 v59, vcc_lo, s10, v57
	s_delay_alu instid0(VALU_DEP_3) | instskip(NEXT) | instid1(VALU_DEP_3)
	v_add_co_ci_u32_e32 v60, vcc_lo, s11, v58, vcc_lo
	v_add_co_u32 v57, vcc_lo, s10, v61
	s_delay_alu instid0(VALU_DEP_4)
	v_add_co_ci_u32_e32 v58, vcc_lo, s11, v62, vcc_lo
	s_clause 0x1
	global_load_b32 v61, v[59:60], off
	global_load_b32 v62, v[57:58], off
	s_waitcnt vmcnt(0)
	v_cmpx_eq_u32_e64 v61, v62
	s_cbranch_execz .LBB439_584
; %bb.577:
	v_add_co_u32 v57, vcc_lo, v57, 4
	v_add_co_ci_u32_e32 v58, vcc_lo, 0, v58, vcc_lo
	v_add_co_u32 v59, vcc_lo, v59, 4
	v_add_co_ci_u32_e32 v60, vcc_lo, 0, v60, vcc_lo
	s_add_u32 s14, s8, -1
	s_addc_u32 s15, s9, -1
	s_mov_b64 s[20:21], 0
	s_mov_b32 s24, 0
                                        ; implicit-def: $sgpr25
	s_set_inst_prefetch_distance 0x1
	s_branch .LBB439_580
	.p2align	6
.LBB439_578:                            ;   in Loop: Header=BB439_580 Depth=1
	global_load_b32 v61, v[59:60], off
	global_load_b32 v62, v[57:58], off
	v_add_co_u32 v57, vcc_lo, v57, 4
	v_add_co_ci_u32_e32 v58, vcc_lo, 0, v58, vcc_lo
	v_add_co_u32 v59, s0, v59, 4
	s_delay_alu instid0(VALU_DEP_1)
	v_add_co_ci_u32_e64 v60, s0, 0, v60, s0
	s_add_u32 s20, s20, 1
	s_addc_u32 s21, s21, 0
	s_and_not1_b32 s0, s25, exec_lo
	s_waitcnt vmcnt(0)
	v_cmp_ne_u32_e32 vcc_lo, v61, v62
	s_and_b32 s25, vcc_lo, exec_lo
	s_delay_alu instid0(SALU_CYCLE_1)
	s_or_b32 s25, s0, s25
.LBB439_579:                            ;   in Loop: Header=BB439_580 Depth=1
	v_dual_mov_b32 v62, s21 :: v_dual_mov_b32 v61, s20
	s_and_b32 s0, exec_lo, s25
	s_delay_alu instid0(SALU_CYCLE_1) | instskip(NEXT) | instid1(SALU_CYCLE_1)
	s_or_b32 s24, s0, s24
	s_and_not1_b32 exec_lo, exec_lo, s24
	s_cbranch_execz .LBB439_583
.LBB439_580:                            ; =>This Inner Loop Header: Depth=1
	s_or_b32 s25, s25, exec_lo
	s_cmp_eq_u64 s[14:15], s[20:21]
	s_cbranch_scc0 .LBB439_578
; %bb.581:                              ;   in Loop: Header=BB439_580 Depth=1
	s_mov_b64 s[20:21], s[8:9]
                                        ; implicit-def: $vgpr57_vgpr58
                                        ; implicit-def: $vgpr59_vgpr60
	s_branch .LBB439_579
.LBB439_582:
	v_mov_b32_e32 v155, 0
	v_mov_b32_e32 v156, 0
	s_branch .LBB439_585
.LBB439_583:
	s_set_inst_prefetch_distance 0x2
	s_or_b32 exec_lo, exec_lo, s24
	v_cmp_gt_i64_e32 vcc_lo, s[8:9], v[61:62]
	s_mov_b32 s0, 0
	s_delay_alu instid0(SALU_CYCLE_1)
	v_mov_b32_e32 v156, s0
	v_cndmask_b32_e64 v155, 0, 1, vcc_lo
.LBB439_584:
	s_or_b32 exec_lo, exec_lo, s23
.LBB439_585:
	s_delay_alu instid0(SALU_CYCLE_1) | instskip(SKIP_3) | instid1(VALU_DEP_2)
	s_or_b32 exec_lo, exec_lo, s22
	v_dual_mov_b32 v158, v20 :: v_dual_add_nc_u32 v57, 5, v64
	v_mov_b32_e32 v157, v19
	s_mov_b32 s22, exec_lo
	v_cmpx_gt_u32_e64 s3, v57
	s_cbranch_execz .LBB439_596
; %bb.586:
	v_cmp_ne_u32_e32 vcc_lo, 1, v63
	s_cbranch_vccnz .LBB439_593
; %bb.587:
	v_mul_lo_u32 v61, v20, s8
	v_mul_lo_u32 v62, v19, s9
	v_mad_u64_u32 v[57:58], null, v19, s8, 0
	v_mul_lo_u32 v65, v18, s8
	v_mul_lo_u32 v66, v17, s9
	v_mad_u64_u32 v[59:60], null, v17, s8, 0
	v_mov_b32_e32 v157, 1
	v_mov_b32_e32 v158, 0
	v_add3_u32 v58, v58, v62, v61
	s_mov_b32 s23, exec_lo
	s_delay_alu instid0(VALU_DEP_4) | instskip(NEXT) | instid1(VALU_DEP_2)
	v_add3_u32 v60, v60, v66, v65
	v_lshlrev_b64 v[57:58], 2, v[57:58]
	s_delay_alu instid0(VALU_DEP_2) | instskip(NEXT) | instid1(VALU_DEP_2)
	v_lshlrev_b64 v[61:62], 2, v[59:60]
	v_add_co_u32 v59, vcc_lo, s10, v57
	s_delay_alu instid0(VALU_DEP_3) | instskip(NEXT) | instid1(VALU_DEP_3)
	v_add_co_ci_u32_e32 v60, vcc_lo, s11, v58, vcc_lo
	v_add_co_u32 v57, vcc_lo, s10, v61
	s_delay_alu instid0(VALU_DEP_4)
	v_add_co_ci_u32_e32 v58, vcc_lo, s11, v62, vcc_lo
	s_clause 0x1
	global_load_b32 v61, v[59:60], off
	global_load_b32 v62, v[57:58], off
	s_waitcnt vmcnt(0)
	v_cmpx_eq_u32_e64 v61, v62
	s_cbranch_execz .LBB439_595
; %bb.588:
	v_add_co_u32 v57, vcc_lo, v57, 4
	v_add_co_ci_u32_e32 v58, vcc_lo, 0, v58, vcc_lo
	v_add_co_u32 v59, vcc_lo, v59, 4
	v_add_co_ci_u32_e32 v60, vcc_lo, 0, v60, vcc_lo
	s_add_u32 s14, s8, -1
	s_addc_u32 s15, s9, -1
	s_mov_b64 s[20:21], 0
	s_mov_b32 s24, 0
                                        ; implicit-def: $sgpr25
	s_set_inst_prefetch_distance 0x1
	s_branch .LBB439_591
	.p2align	6
.LBB439_589:                            ;   in Loop: Header=BB439_591 Depth=1
	global_load_b32 v61, v[59:60], off
	global_load_b32 v62, v[57:58], off
	v_add_co_u32 v57, vcc_lo, v57, 4
	v_add_co_ci_u32_e32 v58, vcc_lo, 0, v58, vcc_lo
	v_add_co_u32 v59, s0, v59, 4
	s_delay_alu instid0(VALU_DEP_1)
	v_add_co_ci_u32_e64 v60, s0, 0, v60, s0
	s_add_u32 s20, s20, 1
	s_addc_u32 s21, s21, 0
	s_and_not1_b32 s0, s25, exec_lo
	s_waitcnt vmcnt(0)
	v_cmp_ne_u32_e32 vcc_lo, v61, v62
	s_and_b32 s25, vcc_lo, exec_lo
	s_delay_alu instid0(SALU_CYCLE_1)
	s_or_b32 s25, s0, s25
.LBB439_590:                            ;   in Loop: Header=BB439_591 Depth=1
	v_dual_mov_b32 v62, s21 :: v_dual_mov_b32 v61, s20
	s_and_b32 s0, exec_lo, s25
	s_delay_alu instid0(SALU_CYCLE_1) | instskip(NEXT) | instid1(SALU_CYCLE_1)
	s_or_b32 s24, s0, s24
	s_and_not1_b32 exec_lo, exec_lo, s24
	s_cbranch_execz .LBB439_594
.LBB439_591:                            ; =>This Inner Loop Header: Depth=1
	s_or_b32 s25, s25, exec_lo
	s_cmp_eq_u64 s[14:15], s[20:21]
	s_cbranch_scc0 .LBB439_589
; %bb.592:                              ;   in Loop: Header=BB439_591 Depth=1
	s_mov_b64 s[20:21], s[8:9]
                                        ; implicit-def: $vgpr57_vgpr58
                                        ; implicit-def: $vgpr59_vgpr60
	s_branch .LBB439_590
.LBB439_593:
	v_mov_b32_e32 v157, 0
	v_mov_b32_e32 v158, 0
	s_branch .LBB439_596
.LBB439_594:
	s_set_inst_prefetch_distance 0x2
	s_or_b32 exec_lo, exec_lo, s24
	v_cmp_gt_i64_e32 vcc_lo, s[8:9], v[61:62]
	s_mov_b32 s0, 0
	s_delay_alu instid0(SALU_CYCLE_1)
	v_mov_b32_e32 v158, s0
	v_cndmask_b32_e64 v157, 0, 1, vcc_lo
.LBB439_595:
	s_or_b32 exec_lo, exec_lo, s23
.LBB439_596:
	s_delay_alu instid0(SALU_CYCLE_1) | instskip(SKIP_3) | instid1(VALU_DEP_2)
	s_or_b32 exec_lo, exec_lo, s22
	v_dual_mov_b32 v160, v18 :: v_dual_add_nc_u32 v57, 4, v64
	v_mov_b32_e32 v159, v17
	s_mov_b32 s22, exec_lo
	v_cmpx_gt_u32_e64 s3, v57
	s_cbranch_execz .LBB439_607
; %bb.597:
	v_cmp_ne_u32_e32 vcc_lo, 1, v63
	s_cbranch_vccnz .LBB439_604
; %bb.598:
	v_mul_lo_u32 v61, v18, s8
	v_mul_lo_u32 v62, v17, s9
	v_mad_u64_u32 v[57:58], null, v17, s8, 0
	v_mul_lo_u32 v65, v16, s8
	v_mul_lo_u32 v66, v15, s9
	v_mad_u64_u32 v[59:60], null, v15, s8, 0
	v_mov_b32_e32 v159, 1
	v_mov_b32_e32 v160, 0
	v_add3_u32 v58, v58, v62, v61
	s_mov_b32 s23, exec_lo
	s_delay_alu instid0(VALU_DEP_4) | instskip(NEXT) | instid1(VALU_DEP_2)
	v_add3_u32 v60, v60, v66, v65
	v_lshlrev_b64 v[57:58], 2, v[57:58]
	s_delay_alu instid0(VALU_DEP_2) | instskip(NEXT) | instid1(VALU_DEP_2)
	v_lshlrev_b64 v[61:62], 2, v[59:60]
	v_add_co_u32 v59, vcc_lo, s10, v57
	s_delay_alu instid0(VALU_DEP_3) | instskip(NEXT) | instid1(VALU_DEP_3)
	v_add_co_ci_u32_e32 v60, vcc_lo, s11, v58, vcc_lo
	v_add_co_u32 v57, vcc_lo, s10, v61
	s_delay_alu instid0(VALU_DEP_4)
	v_add_co_ci_u32_e32 v58, vcc_lo, s11, v62, vcc_lo
	s_clause 0x1
	global_load_b32 v61, v[59:60], off
	global_load_b32 v62, v[57:58], off
	s_waitcnt vmcnt(0)
	v_cmpx_eq_u32_e64 v61, v62
	s_cbranch_execz .LBB439_606
; %bb.599:
	v_add_co_u32 v57, vcc_lo, v57, 4
	v_add_co_ci_u32_e32 v58, vcc_lo, 0, v58, vcc_lo
	v_add_co_u32 v59, vcc_lo, v59, 4
	v_add_co_ci_u32_e32 v60, vcc_lo, 0, v60, vcc_lo
	s_add_u32 s14, s8, -1
	s_addc_u32 s15, s9, -1
	s_mov_b64 s[20:21], 0
	s_mov_b32 s24, 0
                                        ; implicit-def: $sgpr25
	s_set_inst_prefetch_distance 0x1
	s_branch .LBB439_602
	.p2align	6
.LBB439_600:                            ;   in Loop: Header=BB439_602 Depth=1
	global_load_b32 v61, v[59:60], off
	global_load_b32 v62, v[57:58], off
	v_add_co_u32 v57, vcc_lo, v57, 4
	v_add_co_ci_u32_e32 v58, vcc_lo, 0, v58, vcc_lo
	v_add_co_u32 v59, s0, v59, 4
	s_delay_alu instid0(VALU_DEP_1)
	v_add_co_ci_u32_e64 v60, s0, 0, v60, s0
	s_add_u32 s20, s20, 1
	s_addc_u32 s21, s21, 0
	s_and_not1_b32 s0, s25, exec_lo
	s_waitcnt vmcnt(0)
	v_cmp_ne_u32_e32 vcc_lo, v61, v62
	s_and_b32 s25, vcc_lo, exec_lo
	s_delay_alu instid0(SALU_CYCLE_1)
	s_or_b32 s25, s0, s25
.LBB439_601:                            ;   in Loop: Header=BB439_602 Depth=1
	v_dual_mov_b32 v62, s21 :: v_dual_mov_b32 v61, s20
	s_and_b32 s0, exec_lo, s25
	s_delay_alu instid0(SALU_CYCLE_1) | instskip(NEXT) | instid1(SALU_CYCLE_1)
	s_or_b32 s24, s0, s24
	s_and_not1_b32 exec_lo, exec_lo, s24
	s_cbranch_execz .LBB439_605
.LBB439_602:                            ; =>This Inner Loop Header: Depth=1
	s_or_b32 s25, s25, exec_lo
	s_cmp_eq_u64 s[14:15], s[20:21]
	s_cbranch_scc0 .LBB439_600
; %bb.603:                              ;   in Loop: Header=BB439_602 Depth=1
	s_mov_b64 s[20:21], s[8:9]
                                        ; implicit-def: $vgpr57_vgpr58
                                        ; implicit-def: $vgpr59_vgpr60
	s_branch .LBB439_601
.LBB439_604:
	v_mov_b32_e32 v159, 0
	v_mov_b32_e32 v160, 0
	s_branch .LBB439_607
.LBB439_605:
	s_set_inst_prefetch_distance 0x2
	s_or_b32 exec_lo, exec_lo, s24
	v_cmp_gt_i64_e32 vcc_lo, s[8:9], v[61:62]
	s_mov_b32 s0, 0
	s_delay_alu instid0(SALU_CYCLE_1)
	v_mov_b32_e32 v160, s0
	v_cndmask_b32_e64 v159, 0, 1, vcc_lo
.LBB439_606:
	s_or_b32 exec_lo, exec_lo, s23
.LBB439_607:
	s_delay_alu instid0(SALU_CYCLE_1) | instskip(SKIP_3) | instid1(VALU_DEP_2)
	s_or_b32 exec_lo, exec_lo, s22
	v_dual_mov_b32 v162, v16 :: v_dual_add_nc_u32 v57, 3, v64
	v_mov_b32_e32 v161, v15
	s_mov_b32 s22, exec_lo
	v_cmpx_gt_u32_e64 s3, v57
	s_cbranch_execz .LBB439_618
; %bb.608:
	v_cmp_ne_u32_e32 vcc_lo, 1, v63
	s_cbranch_vccnz .LBB439_615
; %bb.609:
	v_mul_lo_u32 v61, v16, s8
	v_mul_lo_u32 v62, v15, s9
	v_mad_u64_u32 v[57:58], null, v15, s8, 0
	v_mul_lo_u32 v65, v14, s8
	v_mul_lo_u32 v66, v13, s9
	v_mad_u64_u32 v[59:60], null, v13, s8, 0
	v_mov_b32_e32 v161, 1
	v_mov_b32_e32 v162, 0
	v_add3_u32 v58, v58, v62, v61
	s_mov_b32 s23, exec_lo
	s_delay_alu instid0(VALU_DEP_4) | instskip(NEXT) | instid1(VALU_DEP_2)
	v_add3_u32 v60, v60, v66, v65
	v_lshlrev_b64 v[57:58], 2, v[57:58]
	s_delay_alu instid0(VALU_DEP_2) | instskip(NEXT) | instid1(VALU_DEP_2)
	v_lshlrev_b64 v[61:62], 2, v[59:60]
	v_add_co_u32 v59, vcc_lo, s10, v57
	s_delay_alu instid0(VALU_DEP_3) | instskip(NEXT) | instid1(VALU_DEP_3)
	v_add_co_ci_u32_e32 v60, vcc_lo, s11, v58, vcc_lo
	v_add_co_u32 v57, vcc_lo, s10, v61
	s_delay_alu instid0(VALU_DEP_4)
	v_add_co_ci_u32_e32 v58, vcc_lo, s11, v62, vcc_lo
	s_clause 0x1
	global_load_b32 v61, v[59:60], off
	global_load_b32 v62, v[57:58], off
	s_waitcnt vmcnt(0)
	v_cmpx_eq_u32_e64 v61, v62
	s_cbranch_execz .LBB439_617
; %bb.610:
	v_add_co_u32 v57, vcc_lo, v57, 4
	v_add_co_ci_u32_e32 v58, vcc_lo, 0, v58, vcc_lo
	v_add_co_u32 v59, vcc_lo, v59, 4
	v_add_co_ci_u32_e32 v60, vcc_lo, 0, v60, vcc_lo
	s_add_u32 s14, s8, -1
	s_addc_u32 s15, s9, -1
	s_mov_b64 s[20:21], 0
	s_mov_b32 s24, 0
                                        ; implicit-def: $sgpr25
	s_set_inst_prefetch_distance 0x1
	s_branch .LBB439_613
	.p2align	6
.LBB439_611:                            ;   in Loop: Header=BB439_613 Depth=1
	global_load_b32 v61, v[59:60], off
	global_load_b32 v62, v[57:58], off
	v_add_co_u32 v57, vcc_lo, v57, 4
	v_add_co_ci_u32_e32 v58, vcc_lo, 0, v58, vcc_lo
	v_add_co_u32 v59, s0, v59, 4
	s_delay_alu instid0(VALU_DEP_1)
	v_add_co_ci_u32_e64 v60, s0, 0, v60, s0
	s_add_u32 s20, s20, 1
	s_addc_u32 s21, s21, 0
	s_and_not1_b32 s0, s25, exec_lo
	s_waitcnt vmcnt(0)
	v_cmp_ne_u32_e32 vcc_lo, v61, v62
	s_and_b32 s25, vcc_lo, exec_lo
	s_delay_alu instid0(SALU_CYCLE_1)
	s_or_b32 s25, s0, s25
.LBB439_612:                            ;   in Loop: Header=BB439_613 Depth=1
	v_dual_mov_b32 v62, s21 :: v_dual_mov_b32 v61, s20
	s_and_b32 s0, exec_lo, s25
	s_delay_alu instid0(SALU_CYCLE_1) | instskip(NEXT) | instid1(SALU_CYCLE_1)
	s_or_b32 s24, s0, s24
	s_and_not1_b32 exec_lo, exec_lo, s24
	s_cbranch_execz .LBB439_616
.LBB439_613:                            ; =>This Inner Loop Header: Depth=1
	s_or_b32 s25, s25, exec_lo
	s_cmp_eq_u64 s[14:15], s[20:21]
	s_cbranch_scc0 .LBB439_611
; %bb.614:                              ;   in Loop: Header=BB439_613 Depth=1
	s_mov_b64 s[20:21], s[8:9]
                                        ; implicit-def: $vgpr57_vgpr58
                                        ; implicit-def: $vgpr59_vgpr60
	s_branch .LBB439_612
.LBB439_615:
	v_mov_b32_e32 v161, 0
	v_mov_b32_e32 v162, 0
	s_branch .LBB439_618
.LBB439_616:
	s_set_inst_prefetch_distance 0x2
	s_or_b32 exec_lo, exec_lo, s24
	v_cmp_gt_i64_e32 vcc_lo, s[8:9], v[61:62]
	s_mov_b32 s0, 0
	s_delay_alu instid0(SALU_CYCLE_1)
	v_mov_b32_e32 v162, s0
	v_cndmask_b32_e64 v161, 0, 1, vcc_lo
.LBB439_617:
	s_or_b32 exec_lo, exec_lo, s23
.LBB439_618:
	s_delay_alu instid0(SALU_CYCLE_1) | instskip(SKIP_3) | instid1(VALU_DEP_2)
	s_or_b32 exec_lo, exec_lo, s22
	v_dual_mov_b32 v164, v14 :: v_dual_add_nc_u32 v57, 2, v64
	v_mov_b32_e32 v163, v13
	s_mov_b32 s22, exec_lo
	v_cmpx_gt_u32_e64 s3, v57
	s_cbranch_execz .LBB439_629
; %bb.619:
	v_cmp_ne_u32_e32 vcc_lo, 1, v63
	s_cbranch_vccnz .LBB439_626
; %bb.620:
	v_mul_lo_u32 v61, v14, s8
	v_mul_lo_u32 v62, v13, s9
	v_mad_u64_u32 v[57:58], null, v13, s8, 0
	v_mul_lo_u32 v65, v4, s8
	v_mul_lo_u32 v66, v3, s9
	v_mad_u64_u32 v[59:60], null, v3, s8, 0
	v_mov_b32_e32 v163, 1
	v_mov_b32_e32 v164, 0
	v_add3_u32 v58, v58, v62, v61
	s_mov_b32 s23, exec_lo
	s_delay_alu instid0(VALU_DEP_4) | instskip(NEXT) | instid1(VALU_DEP_2)
	v_add3_u32 v60, v60, v66, v65
	v_lshlrev_b64 v[57:58], 2, v[57:58]
	s_delay_alu instid0(VALU_DEP_2) | instskip(NEXT) | instid1(VALU_DEP_2)
	v_lshlrev_b64 v[61:62], 2, v[59:60]
	v_add_co_u32 v59, vcc_lo, s10, v57
	s_delay_alu instid0(VALU_DEP_3) | instskip(NEXT) | instid1(VALU_DEP_3)
	v_add_co_ci_u32_e32 v60, vcc_lo, s11, v58, vcc_lo
	v_add_co_u32 v57, vcc_lo, s10, v61
	s_delay_alu instid0(VALU_DEP_4)
	v_add_co_ci_u32_e32 v58, vcc_lo, s11, v62, vcc_lo
	s_clause 0x1
	global_load_b32 v61, v[59:60], off
	global_load_b32 v62, v[57:58], off
	s_waitcnt vmcnt(0)
	v_cmpx_eq_u32_e64 v61, v62
	s_cbranch_execz .LBB439_628
; %bb.621:
	v_add_co_u32 v57, vcc_lo, v57, 4
	v_add_co_ci_u32_e32 v58, vcc_lo, 0, v58, vcc_lo
	v_add_co_u32 v59, vcc_lo, v59, 4
	v_add_co_ci_u32_e32 v60, vcc_lo, 0, v60, vcc_lo
	s_add_u32 s14, s8, -1
	s_addc_u32 s15, s9, -1
	s_mov_b64 s[20:21], 0
	s_mov_b32 s24, 0
                                        ; implicit-def: $sgpr25
	s_set_inst_prefetch_distance 0x1
	s_branch .LBB439_624
	.p2align	6
.LBB439_622:                            ;   in Loop: Header=BB439_624 Depth=1
	global_load_b32 v61, v[59:60], off
	global_load_b32 v62, v[57:58], off
	v_add_co_u32 v57, vcc_lo, v57, 4
	v_add_co_ci_u32_e32 v58, vcc_lo, 0, v58, vcc_lo
	v_add_co_u32 v59, s0, v59, 4
	s_delay_alu instid0(VALU_DEP_1)
	v_add_co_ci_u32_e64 v60, s0, 0, v60, s0
	s_add_u32 s20, s20, 1
	s_addc_u32 s21, s21, 0
	s_and_not1_b32 s0, s25, exec_lo
	s_waitcnt vmcnt(0)
	v_cmp_ne_u32_e32 vcc_lo, v61, v62
	s_and_b32 s25, vcc_lo, exec_lo
	s_delay_alu instid0(SALU_CYCLE_1)
	s_or_b32 s25, s0, s25
.LBB439_623:                            ;   in Loop: Header=BB439_624 Depth=1
	v_dual_mov_b32 v62, s21 :: v_dual_mov_b32 v61, s20
	s_and_b32 s0, exec_lo, s25
	s_delay_alu instid0(SALU_CYCLE_1) | instskip(NEXT) | instid1(SALU_CYCLE_1)
	s_or_b32 s24, s0, s24
	s_and_not1_b32 exec_lo, exec_lo, s24
	s_cbranch_execz .LBB439_627
.LBB439_624:                            ; =>This Inner Loop Header: Depth=1
	s_or_b32 s25, s25, exec_lo
	s_cmp_eq_u64 s[14:15], s[20:21]
	s_cbranch_scc0 .LBB439_622
; %bb.625:                              ;   in Loop: Header=BB439_624 Depth=1
	s_mov_b64 s[20:21], s[8:9]
                                        ; implicit-def: $vgpr57_vgpr58
                                        ; implicit-def: $vgpr59_vgpr60
	s_branch .LBB439_623
.LBB439_626:
	v_mov_b32_e32 v163, 0
	v_mov_b32_e32 v164, 0
	s_branch .LBB439_629
.LBB439_627:
	s_set_inst_prefetch_distance 0x2
	s_or_b32 exec_lo, exec_lo, s24
	v_cmp_gt_i64_e32 vcc_lo, s[8:9], v[61:62]
	s_mov_b32 s0, 0
	s_delay_alu instid0(SALU_CYCLE_1)
	v_mov_b32_e32 v164, s0
	v_cndmask_b32_e64 v163, 0, 1, vcc_lo
.LBB439_628:
	s_or_b32 exec_lo, exec_lo, s23
.LBB439_629:
	s_delay_alu instid0(SALU_CYCLE_1) | instskip(SKIP_3) | instid1(VALU_DEP_2)
	s_or_b32 exec_lo, exec_lo, s22
	v_dual_mov_b32 v166, v4 :: v_dual_add_nc_u32 v57, 1, v64
	v_mov_b32_e32 v165, v3
	s_mov_b32 s22, exec_lo
	v_cmpx_gt_u32_e64 s3, v57
	s_cbranch_execz .LBB439_640
; %bb.630:
	v_cmp_ne_u32_e32 vcc_lo, 1, v63
	s_cbranch_vccnz .LBB439_637
; %bb.631:
	v_mul_lo_u32 v61, v4, s8
	v_mul_lo_u32 v62, v3, s9
	v_mad_u64_u32 v[57:58], null, v3, s8, 0
	v_mul_lo_u32 v65, v2, s8
	v_mul_lo_u32 v66, v1, s9
	v_mad_u64_u32 v[59:60], null, v1, s8, 0
	v_mov_b32_e32 v165, 1
	v_mov_b32_e32 v166, 0
	v_add3_u32 v58, v58, v62, v61
	s_mov_b32 s23, exec_lo
	s_delay_alu instid0(VALU_DEP_4) | instskip(NEXT) | instid1(VALU_DEP_2)
	v_add3_u32 v60, v60, v66, v65
	v_lshlrev_b64 v[57:58], 2, v[57:58]
	s_delay_alu instid0(VALU_DEP_2) | instskip(NEXT) | instid1(VALU_DEP_2)
	v_lshlrev_b64 v[61:62], 2, v[59:60]
	v_add_co_u32 v59, vcc_lo, s10, v57
	s_delay_alu instid0(VALU_DEP_3) | instskip(NEXT) | instid1(VALU_DEP_3)
	v_add_co_ci_u32_e32 v60, vcc_lo, s11, v58, vcc_lo
	v_add_co_u32 v57, vcc_lo, s10, v61
	s_delay_alu instid0(VALU_DEP_4)
	v_add_co_ci_u32_e32 v58, vcc_lo, s11, v62, vcc_lo
	s_clause 0x1
	global_load_b32 v61, v[59:60], off
	global_load_b32 v62, v[57:58], off
	s_waitcnt vmcnt(0)
	v_cmpx_eq_u32_e64 v61, v62
	s_cbranch_execz .LBB439_639
; %bb.632:
	v_add_co_u32 v57, vcc_lo, v57, 4
	v_add_co_ci_u32_e32 v58, vcc_lo, 0, v58, vcc_lo
	v_add_co_u32 v59, vcc_lo, v59, 4
	v_add_co_ci_u32_e32 v60, vcc_lo, 0, v60, vcc_lo
	s_add_u32 s14, s8, -1
	s_addc_u32 s15, s9, -1
	s_mov_b64 s[20:21], 0
	s_mov_b32 s24, 0
                                        ; implicit-def: $sgpr25
	s_set_inst_prefetch_distance 0x1
	s_branch .LBB439_635
	.p2align	6
.LBB439_633:                            ;   in Loop: Header=BB439_635 Depth=1
	global_load_b32 v61, v[59:60], off
	global_load_b32 v62, v[57:58], off
	v_add_co_u32 v57, vcc_lo, v57, 4
	v_add_co_ci_u32_e32 v58, vcc_lo, 0, v58, vcc_lo
	v_add_co_u32 v59, s0, v59, 4
	s_delay_alu instid0(VALU_DEP_1)
	v_add_co_ci_u32_e64 v60, s0, 0, v60, s0
	s_add_u32 s20, s20, 1
	s_addc_u32 s21, s21, 0
	s_and_not1_b32 s0, s25, exec_lo
	s_waitcnt vmcnt(0)
	v_cmp_ne_u32_e32 vcc_lo, v61, v62
	s_and_b32 s25, vcc_lo, exec_lo
	s_delay_alu instid0(SALU_CYCLE_1)
	s_or_b32 s25, s0, s25
.LBB439_634:                            ;   in Loop: Header=BB439_635 Depth=1
	v_dual_mov_b32 v62, s21 :: v_dual_mov_b32 v61, s20
	s_and_b32 s0, exec_lo, s25
	s_delay_alu instid0(SALU_CYCLE_1) | instskip(NEXT) | instid1(SALU_CYCLE_1)
	s_or_b32 s24, s0, s24
	s_and_not1_b32 exec_lo, exec_lo, s24
	s_cbranch_execz .LBB439_638
.LBB439_635:                            ; =>This Inner Loop Header: Depth=1
	s_or_b32 s25, s25, exec_lo
	s_cmp_eq_u64 s[14:15], s[20:21]
	s_cbranch_scc0 .LBB439_633
; %bb.636:                              ;   in Loop: Header=BB439_635 Depth=1
	s_mov_b64 s[20:21], s[8:9]
                                        ; implicit-def: $vgpr57_vgpr58
                                        ; implicit-def: $vgpr59_vgpr60
	s_branch .LBB439_634
.LBB439_637:
	v_mov_b32_e32 v165, 0
	v_mov_b32_e32 v166, 0
	s_branch .LBB439_640
.LBB439_638:
	s_set_inst_prefetch_distance 0x2
	s_or_b32 exec_lo, exec_lo, s24
	v_cmp_gt_i64_e32 vcc_lo, s[8:9], v[61:62]
	s_mov_b32 s0, 0
	s_delay_alu instid0(SALU_CYCLE_1)
	v_mov_b32_e32 v166, s0
	v_cndmask_b32_e64 v165, 0, 1, vcc_lo
.LBB439_639:
	s_or_b32 exec_lo, exec_lo, s23
.LBB439_640:
	s_delay_alu instid0(SALU_CYCLE_1)
	s_or_b32 exec_lo, exec_lo, s22
	v_dual_mov_b32 v58, s13 :: v_dual_mov_b32 v57, s12
	s_mov_b32 s0, exec_lo
	s_waitcnt lgkmcnt(0)
	s_barrier
	buffer_gl0_inv
	v_cmpx_ne_u32_e32 0, v0
	s_cbranch_execz .LBB439_642
; %bb.641:
	v_add_nc_u32_e32 v57, -8, v195
	ds_load_b64 v[57:58], v57
.LBB439_642:
	s_or_b32 exec_lo, exec_lo, s0
	v_cmp_gt_u32_e32 vcc_lo, s3, v64
                                        ; implicit-def: $sgpr0
	s_and_saveexec_b32 s3, vcc_lo
	s_cbranch_execz .LBB439_654
; %bb.643:
	v_cmp_ne_u32_e32 vcc_lo, 1, v63
	s_cbranch_vccnz .LBB439_650
; %bb.644:
	v_mul_lo_u32 v63, v2, s8
	v_mul_lo_u32 v64, v1, s9
	v_mad_u64_u32 v[59:60], null, v1, s8, 0
	s_waitcnt lgkmcnt(0)
	v_mul_lo_u32 v58, v58, s8
	v_mul_lo_u32 v65, v57, s9
	v_mad_u64_u32 v[61:62], null, v57, s8, 0
	s_mov_b32 s0, -1
	s_mov_b32 s20, exec_lo
	s_delay_alu instid0(VALU_DEP_4) | instskip(NEXT) | instid1(VALU_DEP_2)
	v_add3_u32 v60, v60, v64, v63
	v_add3_u32 v62, v62, v65, v58
	s_delay_alu instid0(VALU_DEP_2) | instskip(NEXT) | instid1(VALU_DEP_2)
	v_lshlrev_b64 v[57:58], 2, v[59:60]
	v_lshlrev_b64 v[61:62], 2, v[61:62]
	s_delay_alu instid0(VALU_DEP_2) | instskip(NEXT) | instid1(VALU_DEP_3)
	v_add_co_u32 v59, vcc_lo, s10, v57
	v_add_co_ci_u32_e32 v60, vcc_lo, s11, v58, vcc_lo
	s_delay_alu instid0(VALU_DEP_3) | instskip(NEXT) | instid1(VALU_DEP_4)
	v_add_co_u32 v57, vcc_lo, s10, v61
	v_add_co_ci_u32_e32 v58, vcc_lo, s11, v62, vcc_lo
	s_clause 0x1
	global_load_b32 v61, v[59:60], off
	global_load_b32 v62, v[57:58], off
	s_waitcnt vmcnt(0)
	v_cmpx_eq_u32_e64 v61, v62
	s_cbranch_execz .LBB439_652
; %bb.645:
	v_add_co_u32 v57, vcc_lo, v57, 4
	v_add_co_ci_u32_e32 v58, vcc_lo, 0, v58, vcc_lo
	v_add_co_u32 v59, vcc_lo, v59, 4
	v_add_co_ci_u32_e32 v60, vcc_lo, 0, v60, vcc_lo
	s_add_u32 s12, s8, -1
	s_addc_u32 s13, s9, -1
	s_mov_b64 s[14:15], 0
	s_mov_b32 s21, 0
                                        ; implicit-def: $sgpr22
	s_set_inst_prefetch_distance 0x1
	s_branch .LBB439_648
	.p2align	6
.LBB439_646:                            ;   in Loop: Header=BB439_648 Depth=1
	global_load_b32 v61, v[59:60], off
	global_load_b32 v62, v[57:58], off
	v_add_co_u32 v57, vcc_lo, v57, 4
	v_add_co_ci_u32_e32 v58, vcc_lo, 0, v58, vcc_lo
	v_add_co_u32 v59, s0, v59, 4
	s_delay_alu instid0(VALU_DEP_1)
	v_add_co_ci_u32_e64 v60, s0, 0, v60, s0
	s_add_u32 s14, s14, 1
	s_addc_u32 s15, s15, 0
	s_and_not1_b32 s0, s22, exec_lo
	s_waitcnt vmcnt(0)
	v_cmp_ne_u32_e32 vcc_lo, v61, v62
	s_and_b32 s22, vcc_lo, exec_lo
	s_delay_alu instid0(SALU_CYCLE_1)
	s_or_b32 s22, s0, s22
.LBB439_647:                            ;   in Loop: Header=BB439_648 Depth=1
	v_dual_mov_b32 v62, s15 :: v_dual_mov_b32 v61, s14
	s_and_b32 s0, exec_lo, s22
	s_delay_alu instid0(SALU_CYCLE_1) | instskip(NEXT) | instid1(SALU_CYCLE_1)
	s_or_b32 s21, s0, s21
	s_and_not1_b32 exec_lo, exec_lo, s21
	s_cbranch_execz .LBB439_651
.LBB439_648:                            ; =>This Inner Loop Header: Depth=1
	s_or_b32 s22, s22, exec_lo
	s_cmp_eq_u64 s[12:13], s[14:15]
	s_cbranch_scc0 .LBB439_646
; %bb.649:                              ;   in Loop: Header=BB439_648 Depth=1
	s_mov_b64 s[14:15], s[8:9]
                                        ; implicit-def: $vgpr57_vgpr58
                                        ; implicit-def: $vgpr59_vgpr60
	s_branch .LBB439_647
.LBB439_650:
	s_mov_b32 s0, 0
	s_branch .LBB439_653
.LBB439_651:
	s_set_inst_prefetch_distance 0x2
	s_or_b32 exec_lo, exec_lo, s21
	v_cmp_gt_i64_e32 vcc_lo, s[8:9], v[61:62]
	s_or_not1_b32 s0, vcc_lo, exec_lo
.LBB439_652:
	s_or_b32 exec_lo, exec_lo, s20
.LBB439_653:
	s_delay_alu instid0(SALU_CYCLE_1)
	s_and_b32 s0, s0, exec_lo
	s_or_b32 s1, s1, exec_lo
.LBB439_654:
	s_or_b32 exec_lo, exec_lo, s3
	v_dual_mov_b32 v182, v166 :: v_dual_mov_b32 v181, v165
	v_dual_mov_b32 v168, v164 :: v_dual_mov_b32 v167, v163
	;; [unrolled: 1-line block ×27, first 2 shown]
	s_branch .LBB439_1243
.LBB439_655:
	s_cmp_lg_u64 s[18:19], 1
	s_cbranch_scc0 .LBB439_663
; %bb.656:
	v_mul_lo_u32 v59, v8, s8
	v_mul_lo_u32 v60, v7, s9
	s_waitcnt lgkmcnt(0)
	v_mad_u64_u32 v[57:58], null, v7, s8, 0
	v_mov_b32_e32 v113, 0
	v_mov_b32_e32 v114, 0
	v_cmp_lt_i64_e64 s0, s[8:9], 1
	v_cmp_gt_i64_e64 s3, s[8:9], 0
	s_delay_alu instid0(VALU_DEP_4) | instskip(SKIP_4) | instid1(VALU_DEP_1)
	v_mov_b32_e32 v111, v113
	ds_store_b64 v195, v[109:110]
	v_mov_b32_e32 v112, v114
	v_add3_u32 v58, v58, v60, v59
	s_and_b32 vcc_lo, exec_lo, s0
	v_lshlrev_b64 v[57:58], 2, v[57:58]
	s_cbranch_vccnz .LBB439_666
; %bb.657:
	v_mul_lo_u32 v61, v110, s8
	v_mul_lo_u32 v62, v109, s9
	v_mad_u64_u32 v[59:60], null, v109, s8, 0
	v_mov_b32_e32 v111, 1
	v_mov_b32_e32 v112, 0
	s_mov_b32 s18, exec_lo
	s_delay_alu instid0(VALU_DEP_3) | instskip(NEXT) | instid1(VALU_DEP_1)
	v_add3_u32 v60, v60, v62, v61
	v_lshlrev_b64 v[59:60], 2, v[59:60]
	s_delay_alu instid0(VALU_DEP_1) | instskip(NEXT) | instid1(VALU_DEP_2)
	v_add_co_u32 v61, vcc_lo, s10, v59
	v_add_co_ci_u32_e32 v62, vcc_lo, s11, v60, vcc_lo
	v_add_co_u32 v59, vcc_lo, s10, v57
	v_add_co_ci_u32_e32 v60, vcc_lo, s11, v58, vcc_lo
	s_clause 0x1
	global_load_b32 v63, v[61:62], off
	global_load_b32 v64, v[59:60], off
	s_waitcnt vmcnt(0)
	v_cmpx_eq_u32_e64 v63, v64
	s_cbranch_execz .LBB439_665
; %bb.658:
	v_add_co_u32 v59, vcc_lo, v59, 4
	v_add_co_ci_u32_e32 v60, vcc_lo, 0, v60, vcc_lo
	v_add_co_u32 v61, vcc_lo, v61, 4
	v_add_co_ci_u32_e32 v62, vcc_lo, 0, v62, vcc_lo
	s_add_u32 s12, s8, -1
	s_addc_u32 s13, s9, -1
	s_mov_b64 s[14:15], 0
	s_mov_b32 s19, 0
                                        ; implicit-def: $sgpr20
	s_set_inst_prefetch_distance 0x1
	s_branch .LBB439_661
	.p2align	6
.LBB439_659:                            ;   in Loop: Header=BB439_661 Depth=1
	global_load_b32 v63, v[61:62], off
	global_load_b32 v64, v[59:60], off
	v_add_co_u32 v59, vcc_lo, v59, 4
	v_add_co_ci_u32_e32 v60, vcc_lo, 0, v60, vcc_lo
	v_add_co_u32 v61, s0, v61, 4
	s_delay_alu instid0(VALU_DEP_1)
	v_add_co_ci_u32_e64 v62, s0, 0, v62, s0
	s_add_u32 s14, s14, 1
	s_addc_u32 s15, s15, 0
	s_and_not1_b32 s0, s20, exec_lo
	s_waitcnt vmcnt(0)
	v_cmp_ne_u32_e32 vcc_lo, v63, v64
	s_and_b32 s20, vcc_lo, exec_lo
	s_delay_alu instid0(SALU_CYCLE_1)
	s_or_b32 s20, s0, s20
.LBB439_660:                            ;   in Loop: Header=BB439_661 Depth=1
	v_dual_mov_b32 v64, s15 :: v_dual_mov_b32 v63, s14
	s_and_b32 s0, exec_lo, s20
	s_delay_alu instid0(SALU_CYCLE_1) | instskip(NEXT) | instid1(SALU_CYCLE_1)
	s_or_b32 s19, s0, s19
	s_and_not1_b32 exec_lo, exec_lo, s19
	s_cbranch_execz .LBB439_664
.LBB439_661:                            ; =>This Inner Loop Header: Depth=1
	s_or_b32 s20, s20, exec_lo
	s_cmp_eq_u64 s[12:13], s[14:15]
	s_cbranch_scc0 .LBB439_659
; %bb.662:                              ;   in Loop: Header=BB439_661 Depth=1
	s_mov_b64 s[14:15], s[8:9]
                                        ; implicit-def: $vgpr59_vgpr60
                                        ; implicit-def: $vgpr61_vgpr62
	s_branch .LBB439_660
.LBB439_663:
                                        ; implicit-def: $sgpr0
                                        ; implicit-def: $vgpr165_vgpr166
                                        ; implicit-def: $vgpr163_vgpr164
                                        ; implicit-def: $vgpr161_vgpr162
                                        ; implicit-def: $vgpr159_vgpr160
                                        ; implicit-def: $vgpr157_vgpr158
                                        ; implicit-def: $vgpr155_vgpr156
                                        ; implicit-def: $vgpr153_vgpr154
                                        ; implicit-def: $vgpr151_vgpr152
                                        ; implicit-def: $vgpr149_vgpr150
                                        ; implicit-def: $vgpr147_vgpr148
                                        ; implicit-def: $vgpr145_vgpr146
                                        ; implicit-def: $vgpr143_vgpr144
                                        ; implicit-def: $vgpr141_vgpr142
                                        ; implicit-def: $vgpr139_vgpr140
                                        ; implicit-def: $vgpr137_vgpr138
                                        ; implicit-def: $vgpr135_vgpr136
                                        ; implicit-def: $vgpr133_vgpr134
                                        ; implicit-def: $vgpr131_vgpr132
                                        ; implicit-def: $vgpr129_vgpr130
                                        ; implicit-def: $vgpr127_vgpr128
                                        ; implicit-def: $vgpr125_vgpr126
                                        ; implicit-def: $vgpr123_vgpr124
                                        ; implicit-def: $vgpr121_vgpr122
                                        ; implicit-def: $vgpr119_vgpr120
                                        ; implicit-def: $vgpr117_vgpr118
                                        ; implicit-def: $vgpr113_vgpr114
                                        ; implicit-def: $vgpr115_vgpr116
                                        ; implicit-def: $vgpr111_vgpr112
                                        ; implicit-def: $vgpr181_vgpr182
                                        ; implicit-def: $vgpr167_vgpr168
                                        ; implicit-def: $vgpr169_vgpr170
                                        ; implicit-def: $vgpr171_vgpr172
                                        ; implicit-def: $vgpr173_vgpr174
                                        ; implicit-def: $vgpr175_vgpr176
                                        ; implicit-def: $vgpr177_vgpr178
                                        ; implicit-def: $vgpr179_vgpr180
                                        ; implicit-def: $vgpr183_vgpr184
                                        ; implicit-def: $vgpr185_vgpr186
                                        ; implicit-def: $vgpr187_vgpr188
                                        ; implicit-def: $vgpr189_vgpr190
                                        ; implicit-def: $vgpr191_vgpr192
                                        ; implicit-def: $vgpr193_vgpr194
                                        ; implicit-def: $vgpr57_vgpr58_vgpr59_vgpr60
                                        ; implicit-def: $vgpr61_vgpr62_vgpr63_vgpr64
                                        ; implicit-def: $vgpr65_vgpr66_vgpr67_vgpr68
                                        ; implicit-def: $vgpr69_vgpr70_vgpr71_vgpr72
                                        ; implicit-def: $vgpr73_vgpr74_vgpr75_vgpr76
                                        ; implicit-def: $vgpr77_vgpr78_vgpr79_vgpr80
                                        ; implicit-def: $vgpr81_vgpr82_vgpr83_vgpr84
                                        ; implicit-def: $vgpr85_vgpr86_vgpr87_vgpr88
                                        ; implicit-def: $vgpr89_vgpr90_vgpr91_vgpr92
                                        ; implicit-def: $vgpr93_vgpr94_vgpr95_vgpr96
                                        ; implicit-def: $vgpr97_vgpr98_vgpr99_vgpr100
                                        ; implicit-def: $vgpr101_vgpr102_vgpr103_vgpr104
                                        ; implicit-def: $vgpr105_vgpr106_vgpr107_vgpr108
	s_cbranch_execnz .LBB439_923
	s_branch .LBB439_1243
.LBB439_664:
	s_set_inst_prefetch_distance 0x2
	s_or_b32 exec_lo, exec_lo, s19
	v_cmp_gt_i64_e32 vcc_lo, s[8:9], v[63:64]
	s_mov_b32 s0, 0
	s_delay_alu instid0(SALU_CYCLE_1)
	v_mov_b32_e32 v112, s0
	v_cndmask_b32_e64 v111, 0, 1, vcc_lo
.LBB439_665:
	s_or_b32 exec_lo, exec_lo, s18
.LBB439_666:
	v_mul_lo_u32 v61, v6, s8
	v_mul_lo_u32 v62, v5, s9
	v_mad_u64_u32 v[59:60], null, v5, s8, 0
	v_cndmask_b32_e64 v65, 0, 1, s3
	v_dual_mov_b32 v116, v114 :: v_dual_mov_b32 v115, v113
	s_and_not1_b32 vcc_lo, exec_lo, s3
	s_delay_alu instid0(VALU_DEP_3) | instskip(NEXT) | instid1(VALU_DEP_1)
	v_add3_u32 v60, v60, v62, v61
	v_lshlrev_b64 v[59:60], 2, v[59:60]
	s_cbranch_vccnz .LBB439_675
; %bb.667:
	v_add_co_u32 v61, vcc_lo, s10, v57
	v_add_co_ci_u32_e32 v62, vcc_lo, s11, v58, vcc_lo
	s_delay_alu instid0(VALU_DEP_3) | instskip(NEXT) | instid1(VALU_DEP_4)
	v_add_co_u32 v57, vcc_lo, s10, v59
	v_add_co_ci_u32_e32 v58, vcc_lo, s11, v60, vcc_lo
	v_mov_b32_e32 v115, 1
	s_clause 0x1
	global_load_b32 v63, v[61:62], off
	global_load_b32 v64, v[57:58], off
	v_mov_b32_e32 v116, 0
	s_mov_b32 s3, exec_lo
	s_waitcnt vmcnt(0)
	v_cmpx_eq_u32_e64 v63, v64
	s_cbranch_execz .LBB439_674
; %bb.668:
	v_add_co_u32 v57, vcc_lo, v57, 4
	v_add_co_ci_u32_e32 v58, vcc_lo, 0, v58, vcc_lo
	v_add_co_u32 v61, vcc_lo, v61, 4
	v_add_co_ci_u32_e32 v62, vcc_lo, 0, v62, vcc_lo
	s_add_u32 s12, s8, -1
	s_addc_u32 s13, s9, -1
	s_mov_b64 s[14:15], 0
	s_mov_b32 s18, 0
                                        ; implicit-def: $sgpr19
	s_set_inst_prefetch_distance 0x1
	s_branch .LBB439_671
	.p2align	6
.LBB439_669:                            ;   in Loop: Header=BB439_671 Depth=1
	global_load_b32 v63, v[61:62], off
	global_load_b32 v64, v[57:58], off
	v_add_co_u32 v57, vcc_lo, v57, 4
	v_add_co_ci_u32_e32 v58, vcc_lo, 0, v58, vcc_lo
	v_add_co_u32 v61, s0, v61, 4
	s_delay_alu instid0(VALU_DEP_1)
	v_add_co_ci_u32_e64 v62, s0, 0, v62, s0
	s_add_u32 s14, s14, 1
	s_addc_u32 s15, s15, 0
	s_and_not1_b32 s0, s19, exec_lo
	s_waitcnt vmcnt(0)
	v_cmp_ne_u32_e32 vcc_lo, v63, v64
	s_and_b32 s19, vcc_lo, exec_lo
	s_delay_alu instid0(SALU_CYCLE_1)
	s_or_b32 s19, s0, s19
.LBB439_670:                            ;   in Loop: Header=BB439_671 Depth=1
	v_dual_mov_b32 v64, s15 :: v_dual_mov_b32 v63, s14
	s_and_b32 s0, exec_lo, s19
	s_delay_alu instid0(SALU_CYCLE_1) | instskip(NEXT) | instid1(SALU_CYCLE_1)
	s_or_b32 s18, s0, s18
	s_and_not1_b32 exec_lo, exec_lo, s18
	s_cbranch_execz .LBB439_673
.LBB439_671:                            ; =>This Inner Loop Header: Depth=1
	s_or_b32 s19, s19, exec_lo
	s_cmp_eq_u64 s[12:13], s[14:15]
	s_cbranch_scc0 .LBB439_669
; %bb.672:                              ;   in Loop: Header=BB439_671 Depth=1
	s_mov_b64 s[14:15], s[8:9]
                                        ; implicit-def: $vgpr57_vgpr58
                                        ; implicit-def: $vgpr61_vgpr62
	s_branch .LBB439_670
.LBB439_673:
	s_set_inst_prefetch_distance 0x2
	s_or_b32 exec_lo, exec_lo, s18
	v_cmp_gt_i64_e32 vcc_lo, s[8:9], v[63:64]
	s_mov_b32 s0, 0
	s_delay_alu instid0(SALU_CYCLE_1)
	v_mov_b32_e32 v116, s0
	v_cndmask_b32_e64 v115, 0, 1, vcc_lo
.LBB439_674:
	s_or_b32 exec_lo, exec_lo, s3
.LBB439_675:
	v_mul_lo_u32 v61, v12, s8
	v_mul_lo_u32 v62, v11, s9
	v_mad_u64_u32 v[57:58], null, v11, s8, 0
	v_cmp_ne_u32_e32 vcc_lo, 1, v65
	s_delay_alu instid0(VALU_DEP_2) | instskip(NEXT) | instid1(VALU_DEP_1)
	v_add3_u32 v58, v58, v62, v61
	v_lshlrev_b64 v[57:58], 2, v[57:58]
	s_cbranch_vccnz .LBB439_684
; %bb.676:
	v_add_co_u32 v61, vcc_lo, s10, v59
	v_add_co_ci_u32_e32 v62, vcc_lo, s11, v60, vcc_lo
	s_delay_alu instid0(VALU_DEP_3) | instskip(NEXT) | instid1(VALU_DEP_4)
	v_add_co_u32 v59, vcc_lo, s10, v57
	v_add_co_ci_u32_e32 v60, vcc_lo, s11, v58, vcc_lo
	v_mov_b32_e32 v113, 1
	s_clause 0x1
	global_load_b32 v63, v[61:62], off
	global_load_b32 v64, v[59:60], off
	v_mov_b32_e32 v114, 0
	s_mov_b32 s3, exec_lo
	s_waitcnt vmcnt(0)
	v_cmpx_eq_u32_e64 v63, v64
	s_cbranch_execz .LBB439_683
; %bb.677:
	v_add_co_u32 v59, vcc_lo, v59, 4
	v_add_co_ci_u32_e32 v60, vcc_lo, 0, v60, vcc_lo
	v_add_co_u32 v61, vcc_lo, v61, 4
	v_add_co_ci_u32_e32 v62, vcc_lo, 0, v62, vcc_lo
	s_add_u32 s12, s8, -1
	s_addc_u32 s13, s9, -1
	s_mov_b64 s[14:15], 0
	s_mov_b32 s18, 0
                                        ; implicit-def: $sgpr19
	s_set_inst_prefetch_distance 0x1
	s_branch .LBB439_680
	.p2align	6
.LBB439_678:                            ;   in Loop: Header=BB439_680 Depth=1
	global_load_b32 v63, v[61:62], off
	global_load_b32 v64, v[59:60], off
	v_add_co_u32 v59, vcc_lo, v59, 4
	v_add_co_ci_u32_e32 v60, vcc_lo, 0, v60, vcc_lo
	v_add_co_u32 v61, s0, v61, 4
	s_delay_alu instid0(VALU_DEP_1)
	v_add_co_ci_u32_e64 v62, s0, 0, v62, s0
	s_add_u32 s14, s14, 1
	s_addc_u32 s15, s15, 0
	s_and_not1_b32 s0, s19, exec_lo
	s_waitcnt vmcnt(0)
	v_cmp_ne_u32_e32 vcc_lo, v63, v64
	s_and_b32 s19, vcc_lo, exec_lo
	s_delay_alu instid0(SALU_CYCLE_1)
	s_or_b32 s19, s0, s19
.LBB439_679:                            ;   in Loop: Header=BB439_680 Depth=1
	v_dual_mov_b32 v64, s15 :: v_dual_mov_b32 v63, s14
	s_and_b32 s0, exec_lo, s19
	s_delay_alu instid0(SALU_CYCLE_1) | instskip(NEXT) | instid1(SALU_CYCLE_1)
	s_or_b32 s18, s0, s18
	s_and_not1_b32 exec_lo, exec_lo, s18
	s_cbranch_execz .LBB439_682
.LBB439_680:                            ; =>This Inner Loop Header: Depth=1
	s_or_b32 s19, s19, exec_lo
	s_cmp_eq_u64 s[12:13], s[14:15]
	s_cbranch_scc0 .LBB439_678
; %bb.681:                              ;   in Loop: Header=BB439_680 Depth=1
	s_mov_b64 s[14:15], s[8:9]
                                        ; implicit-def: $vgpr59_vgpr60
                                        ; implicit-def: $vgpr61_vgpr62
	s_branch .LBB439_679
.LBB439_682:
	s_set_inst_prefetch_distance 0x2
	s_or_b32 exec_lo, exec_lo, s18
	v_cmp_gt_i64_e32 vcc_lo, s[8:9], v[63:64]
	s_mov_b32 s0, 0
	s_delay_alu instid0(SALU_CYCLE_1)
	v_mov_b32_e32 v114, s0
	v_cndmask_b32_e64 v113, 0, 1, vcc_lo
.LBB439_683:
	s_or_b32 exec_lo, exec_lo, s3
.LBB439_684:
	v_mul_lo_u32 v61, v10, s8
	v_mul_lo_u32 v62, v9, s9
	v_mad_u64_u32 v[59:60], null, v9, s8, 0
	v_mov_b32_e32 v119, 0
	v_mov_b32_e32 v120, 0
	v_cmp_ne_u32_e32 vcc_lo, 1, v65
	s_delay_alu instid0(VALU_DEP_2) | instskip(SKIP_1) | instid1(VALU_DEP_1)
	v_dual_mov_b32 v117, v119 :: v_dual_mov_b32 v118, v120
	v_add3_u32 v60, v60, v62, v61
	v_lshlrev_b64 v[59:60], 2, v[59:60]
	s_cbranch_vccnz .LBB439_693
; %bb.685:
	v_add_co_u32 v61, vcc_lo, s10, v57
	v_add_co_ci_u32_e32 v62, vcc_lo, s11, v58, vcc_lo
	s_delay_alu instid0(VALU_DEP_3) | instskip(NEXT) | instid1(VALU_DEP_4)
	v_add_co_u32 v57, vcc_lo, s10, v59
	v_add_co_ci_u32_e32 v58, vcc_lo, s11, v60, vcc_lo
	v_mov_b32_e32 v117, 1
	s_clause 0x1
	global_load_b32 v63, v[61:62], off
	global_load_b32 v64, v[57:58], off
	v_mov_b32_e32 v118, 0
	s_mov_b32 s3, exec_lo
	s_waitcnt vmcnt(0)
	v_cmpx_eq_u32_e64 v63, v64
	s_cbranch_execz .LBB439_692
; %bb.686:
	v_add_co_u32 v57, vcc_lo, v57, 4
	v_add_co_ci_u32_e32 v58, vcc_lo, 0, v58, vcc_lo
	v_add_co_u32 v61, vcc_lo, v61, 4
	v_add_co_ci_u32_e32 v62, vcc_lo, 0, v62, vcc_lo
	s_add_u32 s12, s8, -1
	s_addc_u32 s13, s9, -1
	s_mov_b64 s[14:15], 0
	s_mov_b32 s18, 0
                                        ; implicit-def: $sgpr19
	s_set_inst_prefetch_distance 0x1
	s_branch .LBB439_689
	.p2align	6
.LBB439_687:                            ;   in Loop: Header=BB439_689 Depth=1
	global_load_b32 v63, v[61:62], off
	global_load_b32 v64, v[57:58], off
	v_add_co_u32 v57, vcc_lo, v57, 4
	v_add_co_ci_u32_e32 v58, vcc_lo, 0, v58, vcc_lo
	v_add_co_u32 v61, s0, v61, 4
	s_delay_alu instid0(VALU_DEP_1)
	v_add_co_ci_u32_e64 v62, s0, 0, v62, s0
	s_add_u32 s14, s14, 1
	s_addc_u32 s15, s15, 0
	s_and_not1_b32 s0, s19, exec_lo
	s_waitcnt vmcnt(0)
	v_cmp_ne_u32_e32 vcc_lo, v63, v64
	s_and_b32 s19, vcc_lo, exec_lo
	s_delay_alu instid0(SALU_CYCLE_1)
	s_or_b32 s19, s0, s19
.LBB439_688:                            ;   in Loop: Header=BB439_689 Depth=1
	v_dual_mov_b32 v64, s15 :: v_dual_mov_b32 v63, s14
	s_and_b32 s0, exec_lo, s19
	s_delay_alu instid0(SALU_CYCLE_1) | instskip(NEXT) | instid1(SALU_CYCLE_1)
	s_or_b32 s18, s0, s18
	s_and_not1_b32 exec_lo, exec_lo, s18
	s_cbranch_execz .LBB439_691
.LBB439_689:                            ; =>This Inner Loop Header: Depth=1
	s_or_b32 s19, s19, exec_lo
	s_cmp_eq_u64 s[12:13], s[14:15]
	s_cbranch_scc0 .LBB439_687
; %bb.690:                              ;   in Loop: Header=BB439_689 Depth=1
	s_mov_b64 s[14:15], s[8:9]
                                        ; implicit-def: $vgpr57_vgpr58
                                        ; implicit-def: $vgpr61_vgpr62
	s_branch .LBB439_688
.LBB439_691:
	s_set_inst_prefetch_distance 0x2
	s_or_b32 exec_lo, exec_lo, s18
	v_cmp_gt_i64_e32 vcc_lo, s[8:9], v[63:64]
	s_mov_b32 s0, 0
	s_delay_alu instid0(SALU_CYCLE_1)
	v_mov_b32_e32 v118, s0
	v_cndmask_b32_e64 v117, 0, 1, vcc_lo
.LBB439_692:
	s_or_b32 exec_lo, exec_lo, s3
.LBB439_693:
	v_mul_lo_u32 v61, v56, s8
	v_mul_lo_u32 v62, v55, s9
	v_mad_u64_u32 v[57:58], null, v55, s8, 0
	v_cmp_ne_u32_e32 vcc_lo, 1, v65
	s_delay_alu instid0(VALU_DEP_2) | instskip(NEXT) | instid1(VALU_DEP_1)
	v_add3_u32 v58, v58, v62, v61
	v_lshlrev_b64 v[57:58], 2, v[57:58]
	s_cbranch_vccnz .LBB439_702
; %bb.694:
	v_add_co_u32 v61, vcc_lo, s10, v59
	v_add_co_ci_u32_e32 v62, vcc_lo, s11, v60, vcc_lo
	s_delay_alu instid0(VALU_DEP_3) | instskip(NEXT) | instid1(VALU_DEP_4)
	v_add_co_u32 v59, vcc_lo, s10, v57
	v_add_co_ci_u32_e32 v60, vcc_lo, s11, v58, vcc_lo
	v_mov_b32_e32 v119, 1
	s_clause 0x1
	global_load_b32 v63, v[61:62], off
	global_load_b32 v64, v[59:60], off
	v_mov_b32_e32 v120, 0
	s_mov_b32 s3, exec_lo
	s_waitcnt vmcnt(0)
	v_cmpx_eq_u32_e64 v63, v64
	s_cbranch_execz .LBB439_701
; %bb.695:
	v_add_co_u32 v59, vcc_lo, v59, 4
	v_add_co_ci_u32_e32 v60, vcc_lo, 0, v60, vcc_lo
	v_add_co_u32 v61, vcc_lo, v61, 4
	v_add_co_ci_u32_e32 v62, vcc_lo, 0, v62, vcc_lo
	s_add_u32 s12, s8, -1
	s_addc_u32 s13, s9, -1
	s_mov_b64 s[14:15], 0
	s_mov_b32 s18, 0
                                        ; implicit-def: $sgpr19
	s_set_inst_prefetch_distance 0x1
	s_branch .LBB439_698
	.p2align	6
.LBB439_696:                            ;   in Loop: Header=BB439_698 Depth=1
	global_load_b32 v63, v[61:62], off
	global_load_b32 v64, v[59:60], off
	v_add_co_u32 v59, vcc_lo, v59, 4
	v_add_co_ci_u32_e32 v60, vcc_lo, 0, v60, vcc_lo
	v_add_co_u32 v61, s0, v61, 4
	s_delay_alu instid0(VALU_DEP_1)
	v_add_co_ci_u32_e64 v62, s0, 0, v62, s0
	s_add_u32 s14, s14, 1
	s_addc_u32 s15, s15, 0
	s_and_not1_b32 s0, s19, exec_lo
	s_waitcnt vmcnt(0)
	v_cmp_ne_u32_e32 vcc_lo, v63, v64
	s_and_b32 s19, vcc_lo, exec_lo
	s_delay_alu instid0(SALU_CYCLE_1)
	s_or_b32 s19, s0, s19
.LBB439_697:                            ;   in Loop: Header=BB439_698 Depth=1
	v_dual_mov_b32 v64, s15 :: v_dual_mov_b32 v63, s14
	s_and_b32 s0, exec_lo, s19
	s_delay_alu instid0(SALU_CYCLE_1) | instskip(NEXT) | instid1(SALU_CYCLE_1)
	s_or_b32 s18, s0, s18
	s_and_not1_b32 exec_lo, exec_lo, s18
	s_cbranch_execz .LBB439_700
.LBB439_698:                            ; =>This Inner Loop Header: Depth=1
	s_or_b32 s19, s19, exec_lo
	s_cmp_eq_u64 s[12:13], s[14:15]
	s_cbranch_scc0 .LBB439_696
; %bb.699:                              ;   in Loop: Header=BB439_698 Depth=1
	s_mov_b64 s[14:15], s[8:9]
                                        ; implicit-def: $vgpr59_vgpr60
                                        ; implicit-def: $vgpr61_vgpr62
	s_branch .LBB439_697
.LBB439_700:
	s_set_inst_prefetch_distance 0x2
	s_or_b32 exec_lo, exec_lo, s18
	v_cmp_gt_i64_e32 vcc_lo, s[8:9], v[63:64]
	s_mov_b32 s0, 0
	s_delay_alu instid0(SALU_CYCLE_1)
	v_mov_b32_e32 v120, s0
	v_cndmask_b32_e64 v119, 0, 1, vcc_lo
.LBB439_701:
	s_or_b32 exec_lo, exec_lo, s3
.LBB439_702:
	v_mul_lo_u32 v61, v54, s8
	v_mul_lo_u32 v62, v53, s9
	v_mad_u64_u32 v[59:60], null, v53, s8, 0
	v_mov_b32_e32 v123, 0
	v_mov_b32_e32 v124, 0
	v_cmp_ne_u32_e32 vcc_lo, 1, v65
	s_delay_alu instid0(VALU_DEP_2) | instskip(SKIP_1) | instid1(VALU_DEP_1)
	v_dual_mov_b32 v121, v123 :: v_dual_mov_b32 v122, v124
	v_add3_u32 v60, v60, v62, v61
	v_lshlrev_b64 v[59:60], 2, v[59:60]
	s_cbranch_vccnz .LBB439_711
; %bb.703:
	v_add_co_u32 v61, vcc_lo, s10, v57
	v_add_co_ci_u32_e32 v62, vcc_lo, s11, v58, vcc_lo
	s_delay_alu instid0(VALU_DEP_3) | instskip(NEXT) | instid1(VALU_DEP_4)
	v_add_co_u32 v57, vcc_lo, s10, v59
	v_add_co_ci_u32_e32 v58, vcc_lo, s11, v60, vcc_lo
	v_mov_b32_e32 v121, 1
	s_clause 0x1
	global_load_b32 v63, v[61:62], off
	global_load_b32 v64, v[57:58], off
	v_mov_b32_e32 v122, 0
	s_mov_b32 s3, exec_lo
	s_waitcnt vmcnt(0)
	v_cmpx_eq_u32_e64 v63, v64
	s_cbranch_execz .LBB439_710
; %bb.704:
	v_add_co_u32 v57, vcc_lo, v57, 4
	v_add_co_ci_u32_e32 v58, vcc_lo, 0, v58, vcc_lo
	v_add_co_u32 v61, vcc_lo, v61, 4
	v_add_co_ci_u32_e32 v62, vcc_lo, 0, v62, vcc_lo
	s_add_u32 s12, s8, -1
	s_addc_u32 s13, s9, -1
	s_mov_b64 s[14:15], 0
	s_mov_b32 s18, 0
                                        ; implicit-def: $sgpr19
	s_set_inst_prefetch_distance 0x1
	s_branch .LBB439_707
	.p2align	6
.LBB439_705:                            ;   in Loop: Header=BB439_707 Depth=1
	global_load_b32 v63, v[61:62], off
	global_load_b32 v64, v[57:58], off
	v_add_co_u32 v57, vcc_lo, v57, 4
	v_add_co_ci_u32_e32 v58, vcc_lo, 0, v58, vcc_lo
	v_add_co_u32 v61, s0, v61, 4
	s_delay_alu instid0(VALU_DEP_1)
	v_add_co_ci_u32_e64 v62, s0, 0, v62, s0
	s_add_u32 s14, s14, 1
	s_addc_u32 s15, s15, 0
	s_and_not1_b32 s0, s19, exec_lo
	s_waitcnt vmcnt(0)
	v_cmp_ne_u32_e32 vcc_lo, v63, v64
	s_and_b32 s19, vcc_lo, exec_lo
	s_delay_alu instid0(SALU_CYCLE_1)
	s_or_b32 s19, s0, s19
.LBB439_706:                            ;   in Loop: Header=BB439_707 Depth=1
	v_dual_mov_b32 v64, s15 :: v_dual_mov_b32 v63, s14
	s_and_b32 s0, exec_lo, s19
	s_delay_alu instid0(SALU_CYCLE_1) | instskip(NEXT) | instid1(SALU_CYCLE_1)
	s_or_b32 s18, s0, s18
	s_and_not1_b32 exec_lo, exec_lo, s18
	s_cbranch_execz .LBB439_709
.LBB439_707:                            ; =>This Inner Loop Header: Depth=1
	s_or_b32 s19, s19, exec_lo
	s_cmp_eq_u64 s[12:13], s[14:15]
	s_cbranch_scc0 .LBB439_705
; %bb.708:                              ;   in Loop: Header=BB439_707 Depth=1
	s_mov_b64 s[14:15], s[8:9]
                                        ; implicit-def: $vgpr57_vgpr58
                                        ; implicit-def: $vgpr61_vgpr62
	s_branch .LBB439_706
.LBB439_709:
	s_set_inst_prefetch_distance 0x2
	s_or_b32 exec_lo, exec_lo, s18
	v_cmp_gt_i64_e32 vcc_lo, s[8:9], v[63:64]
	s_mov_b32 s0, 0
	s_delay_alu instid0(SALU_CYCLE_1)
	v_mov_b32_e32 v122, s0
	v_cndmask_b32_e64 v121, 0, 1, vcc_lo
.LBB439_710:
	s_or_b32 exec_lo, exec_lo, s3
.LBB439_711:
	v_mul_lo_u32 v61, v52, s8
	v_mul_lo_u32 v62, v51, s9
	v_mad_u64_u32 v[57:58], null, v51, s8, 0
	v_cmp_ne_u32_e32 vcc_lo, 1, v65
	s_delay_alu instid0(VALU_DEP_2) | instskip(NEXT) | instid1(VALU_DEP_1)
	v_add3_u32 v58, v58, v62, v61
	v_lshlrev_b64 v[57:58], 2, v[57:58]
	s_cbranch_vccnz .LBB439_720
; %bb.712:
	v_add_co_u32 v61, vcc_lo, s10, v59
	v_add_co_ci_u32_e32 v62, vcc_lo, s11, v60, vcc_lo
	s_delay_alu instid0(VALU_DEP_3) | instskip(NEXT) | instid1(VALU_DEP_4)
	v_add_co_u32 v59, vcc_lo, s10, v57
	v_add_co_ci_u32_e32 v60, vcc_lo, s11, v58, vcc_lo
	v_mov_b32_e32 v123, 1
	s_clause 0x1
	global_load_b32 v63, v[61:62], off
	global_load_b32 v64, v[59:60], off
	v_mov_b32_e32 v124, 0
	s_mov_b32 s3, exec_lo
	s_waitcnt vmcnt(0)
	v_cmpx_eq_u32_e64 v63, v64
	s_cbranch_execz .LBB439_719
; %bb.713:
	v_add_co_u32 v59, vcc_lo, v59, 4
	v_add_co_ci_u32_e32 v60, vcc_lo, 0, v60, vcc_lo
	v_add_co_u32 v61, vcc_lo, v61, 4
	v_add_co_ci_u32_e32 v62, vcc_lo, 0, v62, vcc_lo
	s_add_u32 s12, s8, -1
	s_addc_u32 s13, s9, -1
	s_mov_b64 s[14:15], 0
	s_mov_b32 s18, 0
                                        ; implicit-def: $sgpr19
	s_set_inst_prefetch_distance 0x1
	s_branch .LBB439_716
	.p2align	6
.LBB439_714:                            ;   in Loop: Header=BB439_716 Depth=1
	global_load_b32 v63, v[61:62], off
	global_load_b32 v64, v[59:60], off
	v_add_co_u32 v59, vcc_lo, v59, 4
	v_add_co_ci_u32_e32 v60, vcc_lo, 0, v60, vcc_lo
	v_add_co_u32 v61, s0, v61, 4
	s_delay_alu instid0(VALU_DEP_1)
	v_add_co_ci_u32_e64 v62, s0, 0, v62, s0
	s_add_u32 s14, s14, 1
	s_addc_u32 s15, s15, 0
	s_and_not1_b32 s0, s19, exec_lo
	s_waitcnt vmcnt(0)
	v_cmp_ne_u32_e32 vcc_lo, v63, v64
	s_and_b32 s19, vcc_lo, exec_lo
	s_delay_alu instid0(SALU_CYCLE_1)
	s_or_b32 s19, s0, s19
.LBB439_715:                            ;   in Loop: Header=BB439_716 Depth=1
	v_dual_mov_b32 v64, s15 :: v_dual_mov_b32 v63, s14
	s_and_b32 s0, exec_lo, s19
	s_delay_alu instid0(SALU_CYCLE_1) | instskip(NEXT) | instid1(SALU_CYCLE_1)
	s_or_b32 s18, s0, s18
	s_and_not1_b32 exec_lo, exec_lo, s18
	s_cbranch_execz .LBB439_718
.LBB439_716:                            ; =>This Inner Loop Header: Depth=1
	s_or_b32 s19, s19, exec_lo
	s_cmp_eq_u64 s[12:13], s[14:15]
	s_cbranch_scc0 .LBB439_714
; %bb.717:                              ;   in Loop: Header=BB439_716 Depth=1
	s_mov_b64 s[14:15], s[8:9]
                                        ; implicit-def: $vgpr59_vgpr60
                                        ; implicit-def: $vgpr61_vgpr62
	s_branch .LBB439_715
.LBB439_718:
	s_set_inst_prefetch_distance 0x2
	s_or_b32 exec_lo, exec_lo, s18
	v_cmp_gt_i64_e32 vcc_lo, s[8:9], v[63:64]
	s_mov_b32 s0, 0
	s_delay_alu instid0(SALU_CYCLE_1)
	v_mov_b32_e32 v124, s0
	v_cndmask_b32_e64 v123, 0, 1, vcc_lo
.LBB439_719:
	s_or_b32 exec_lo, exec_lo, s3
.LBB439_720:
	v_mul_lo_u32 v61, v50, s8
	v_mul_lo_u32 v62, v49, s9
	v_mad_u64_u32 v[59:60], null, v49, s8, 0
	v_mov_b32_e32 v127, 0
	v_mov_b32_e32 v128, 0
	v_cmp_ne_u32_e32 vcc_lo, 1, v65
	s_delay_alu instid0(VALU_DEP_2) | instskip(SKIP_1) | instid1(VALU_DEP_1)
	v_dual_mov_b32 v125, v127 :: v_dual_mov_b32 v126, v128
	v_add3_u32 v60, v60, v62, v61
	v_lshlrev_b64 v[59:60], 2, v[59:60]
	s_cbranch_vccnz .LBB439_729
; %bb.721:
	v_add_co_u32 v61, vcc_lo, s10, v57
	v_add_co_ci_u32_e32 v62, vcc_lo, s11, v58, vcc_lo
	s_delay_alu instid0(VALU_DEP_3) | instskip(NEXT) | instid1(VALU_DEP_4)
	v_add_co_u32 v57, vcc_lo, s10, v59
	v_add_co_ci_u32_e32 v58, vcc_lo, s11, v60, vcc_lo
	v_mov_b32_e32 v125, 1
	s_clause 0x1
	global_load_b32 v63, v[61:62], off
	global_load_b32 v64, v[57:58], off
	v_mov_b32_e32 v126, 0
	s_mov_b32 s3, exec_lo
	s_waitcnt vmcnt(0)
	v_cmpx_eq_u32_e64 v63, v64
	s_cbranch_execz .LBB439_728
; %bb.722:
	v_add_co_u32 v57, vcc_lo, v57, 4
	v_add_co_ci_u32_e32 v58, vcc_lo, 0, v58, vcc_lo
	v_add_co_u32 v61, vcc_lo, v61, 4
	v_add_co_ci_u32_e32 v62, vcc_lo, 0, v62, vcc_lo
	s_add_u32 s12, s8, -1
	s_addc_u32 s13, s9, -1
	s_mov_b64 s[14:15], 0
	s_mov_b32 s18, 0
                                        ; implicit-def: $sgpr19
	s_set_inst_prefetch_distance 0x1
	s_branch .LBB439_725
	.p2align	6
.LBB439_723:                            ;   in Loop: Header=BB439_725 Depth=1
	global_load_b32 v63, v[61:62], off
	global_load_b32 v64, v[57:58], off
	v_add_co_u32 v57, vcc_lo, v57, 4
	v_add_co_ci_u32_e32 v58, vcc_lo, 0, v58, vcc_lo
	v_add_co_u32 v61, s0, v61, 4
	s_delay_alu instid0(VALU_DEP_1)
	v_add_co_ci_u32_e64 v62, s0, 0, v62, s0
	s_add_u32 s14, s14, 1
	s_addc_u32 s15, s15, 0
	s_and_not1_b32 s0, s19, exec_lo
	s_waitcnt vmcnt(0)
	v_cmp_ne_u32_e32 vcc_lo, v63, v64
	s_and_b32 s19, vcc_lo, exec_lo
	s_delay_alu instid0(SALU_CYCLE_1)
	s_or_b32 s19, s0, s19
.LBB439_724:                            ;   in Loop: Header=BB439_725 Depth=1
	v_dual_mov_b32 v64, s15 :: v_dual_mov_b32 v63, s14
	s_and_b32 s0, exec_lo, s19
	s_delay_alu instid0(SALU_CYCLE_1) | instskip(NEXT) | instid1(SALU_CYCLE_1)
	s_or_b32 s18, s0, s18
	s_and_not1_b32 exec_lo, exec_lo, s18
	s_cbranch_execz .LBB439_727
.LBB439_725:                            ; =>This Inner Loop Header: Depth=1
	s_or_b32 s19, s19, exec_lo
	s_cmp_eq_u64 s[12:13], s[14:15]
	s_cbranch_scc0 .LBB439_723
; %bb.726:                              ;   in Loop: Header=BB439_725 Depth=1
	s_mov_b64 s[14:15], s[8:9]
                                        ; implicit-def: $vgpr57_vgpr58
                                        ; implicit-def: $vgpr61_vgpr62
	s_branch .LBB439_724
.LBB439_727:
	s_set_inst_prefetch_distance 0x2
	s_or_b32 exec_lo, exec_lo, s18
	v_cmp_gt_i64_e32 vcc_lo, s[8:9], v[63:64]
	s_mov_b32 s0, 0
	s_delay_alu instid0(SALU_CYCLE_1)
	v_mov_b32_e32 v126, s0
	v_cndmask_b32_e64 v125, 0, 1, vcc_lo
.LBB439_728:
	s_or_b32 exec_lo, exec_lo, s3
.LBB439_729:
	v_mul_lo_u32 v61, v48, s8
	v_mul_lo_u32 v62, v47, s9
	v_mad_u64_u32 v[57:58], null, v47, s8, 0
	v_cmp_ne_u32_e32 vcc_lo, 1, v65
	s_delay_alu instid0(VALU_DEP_2) | instskip(NEXT) | instid1(VALU_DEP_1)
	v_add3_u32 v58, v58, v62, v61
	v_lshlrev_b64 v[57:58], 2, v[57:58]
	s_cbranch_vccnz .LBB439_738
; %bb.730:
	v_add_co_u32 v61, vcc_lo, s10, v59
	v_add_co_ci_u32_e32 v62, vcc_lo, s11, v60, vcc_lo
	s_delay_alu instid0(VALU_DEP_3) | instskip(NEXT) | instid1(VALU_DEP_4)
	v_add_co_u32 v59, vcc_lo, s10, v57
	v_add_co_ci_u32_e32 v60, vcc_lo, s11, v58, vcc_lo
	v_mov_b32_e32 v127, 1
	s_clause 0x1
	global_load_b32 v63, v[61:62], off
	global_load_b32 v64, v[59:60], off
	v_mov_b32_e32 v128, 0
	s_mov_b32 s3, exec_lo
	s_waitcnt vmcnt(0)
	v_cmpx_eq_u32_e64 v63, v64
	s_cbranch_execz .LBB439_737
; %bb.731:
	v_add_co_u32 v59, vcc_lo, v59, 4
	v_add_co_ci_u32_e32 v60, vcc_lo, 0, v60, vcc_lo
	v_add_co_u32 v61, vcc_lo, v61, 4
	v_add_co_ci_u32_e32 v62, vcc_lo, 0, v62, vcc_lo
	s_add_u32 s12, s8, -1
	s_addc_u32 s13, s9, -1
	s_mov_b64 s[14:15], 0
	s_mov_b32 s18, 0
                                        ; implicit-def: $sgpr19
	s_set_inst_prefetch_distance 0x1
	s_branch .LBB439_734
	.p2align	6
.LBB439_732:                            ;   in Loop: Header=BB439_734 Depth=1
	global_load_b32 v63, v[61:62], off
	global_load_b32 v64, v[59:60], off
	v_add_co_u32 v59, vcc_lo, v59, 4
	v_add_co_ci_u32_e32 v60, vcc_lo, 0, v60, vcc_lo
	v_add_co_u32 v61, s0, v61, 4
	s_delay_alu instid0(VALU_DEP_1)
	v_add_co_ci_u32_e64 v62, s0, 0, v62, s0
	s_add_u32 s14, s14, 1
	s_addc_u32 s15, s15, 0
	s_and_not1_b32 s0, s19, exec_lo
	s_waitcnt vmcnt(0)
	v_cmp_ne_u32_e32 vcc_lo, v63, v64
	s_and_b32 s19, vcc_lo, exec_lo
	s_delay_alu instid0(SALU_CYCLE_1)
	s_or_b32 s19, s0, s19
.LBB439_733:                            ;   in Loop: Header=BB439_734 Depth=1
	v_dual_mov_b32 v64, s15 :: v_dual_mov_b32 v63, s14
	s_and_b32 s0, exec_lo, s19
	s_delay_alu instid0(SALU_CYCLE_1) | instskip(NEXT) | instid1(SALU_CYCLE_1)
	s_or_b32 s18, s0, s18
	s_and_not1_b32 exec_lo, exec_lo, s18
	s_cbranch_execz .LBB439_736
.LBB439_734:                            ; =>This Inner Loop Header: Depth=1
	s_or_b32 s19, s19, exec_lo
	s_cmp_eq_u64 s[12:13], s[14:15]
	s_cbranch_scc0 .LBB439_732
; %bb.735:                              ;   in Loop: Header=BB439_734 Depth=1
	s_mov_b64 s[14:15], s[8:9]
                                        ; implicit-def: $vgpr59_vgpr60
                                        ; implicit-def: $vgpr61_vgpr62
	s_branch .LBB439_733
.LBB439_736:
	s_set_inst_prefetch_distance 0x2
	s_or_b32 exec_lo, exec_lo, s18
	v_cmp_gt_i64_e32 vcc_lo, s[8:9], v[63:64]
	s_mov_b32 s0, 0
	s_delay_alu instid0(SALU_CYCLE_1)
	v_mov_b32_e32 v128, s0
	v_cndmask_b32_e64 v127, 0, 1, vcc_lo
.LBB439_737:
	s_or_b32 exec_lo, exec_lo, s3
.LBB439_738:
	v_mul_lo_u32 v61, v46, s8
	v_mul_lo_u32 v62, v45, s9
	v_mad_u64_u32 v[59:60], null, v45, s8, 0
	v_mov_b32_e32 v131, 0
	v_mov_b32_e32 v132, 0
	v_cmp_ne_u32_e32 vcc_lo, 1, v65
	s_delay_alu instid0(VALU_DEP_2) | instskip(SKIP_1) | instid1(VALU_DEP_1)
	v_dual_mov_b32 v129, v131 :: v_dual_mov_b32 v130, v132
	v_add3_u32 v60, v60, v62, v61
	v_lshlrev_b64 v[59:60], 2, v[59:60]
	s_cbranch_vccnz .LBB439_747
; %bb.739:
	v_add_co_u32 v61, vcc_lo, s10, v57
	v_add_co_ci_u32_e32 v62, vcc_lo, s11, v58, vcc_lo
	s_delay_alu instid0(VALU_DEP_3) | instskip(NEXT) | instid1(VALU_DEP_4)
	v_add_co_u32 v57, vcc_lo, s10, v59
	v_add_co_ci_u32_e32 v58, vcc_lo, s11, v60, vcc_lo
	v_mov_b32_e32 v129, 1
	s_clause 0x1
	global_load_b32 v63, v[61:62], off
	global_load_b32 v64, v[57:58], off
	v_mov_b32_e32 v130, 0
	s_mov_b32 s3, exec_lo
	s_waitcnt vmcnt(0)
	v_cmpx_eq_u32_e64 v63, v64
	s_cbranch_execz .LBB439_746
; %bb.740:
	v_add_co_u32 v57, vcc_lo, v57, 4
	v_add_co_ci_u32_e32 v58, vcc_lo, 0, v58, vcc_lo
	v_add_co_u32 v61, vcc_lo, v61, 4
	v_add_co_ci_u32_e32 v62, vcc_lo, 0, v62, vcc_lo
	s_add_u32 s12, s8, -1
	s_addc_u32 s13, s9, -1
	s_mov_b64 s[14:15], 0
	s_mov_b32 s18, 0
                                        ; implicit-def: $sgpr19
	s_set_inst_prefetch_distance 0x1
	s_branch .LBB439_743
	.p2align	6
.LBB439_741:                            ;   in Loop: Header=BB439_743 Depth=1
	global_load_b32 v63, v[61:62], off
	global_load_b32 v64, v[57:58], off
	v_add_co_u32 v57, vcc_lo, v57, 4
	v_add_co_ci_u32_e32 v58, vcc_lo, 0, v58, vcc_lo
	v_add_co_u32 v61, s0, v61, 4
	s_delay_alu instid0(VALU_DEP_1)
	v_add_co_ci_u32_e64 v62, s0, 0, v62, s0
	s_add_u32 s14, s14, 1
	s_addc_u32 s15, s15, 0
	s_and_not1_b32 s0, s19, exec_lo
	s_waitcnt vmcnt(0)
	v_cmp_ne_u32_e32 vcc_lo, v63, v64
	s_and_b32 s19, vcc_lo, exec_lo
	s_delay_alu instid0(SALU_CYCLE_1)
	s_or_b32 s19, s0, s19
.LBB439_742:                            ;   in Loop: Header=BB439_743 Depth=1
	v_dual_mov_b32 v64, s15 :: v_dual_mov_b32 v63, s14
	s_and_b32 s0, exec_lo, s19
	s_delay_alu instid0(SALU_CYCLE_1) | instskip(NEXT) | instid1(SALU_CYCLE_1)
	s_or_b32 s18, s0, s18
	s_and_not1_b32 exec_lo, exec_lo, s18
	s_cbranch_execz .LBB439_745
.LBB439_743:                            ; =>This Inner Loop Header: Depth=1
	s_or_b32 s19, s19, exec_lo
	s_cmp_eq_u64 s[12:13], s[14:15]
	s_cbranch_scc0 .LBB439_741
; %bb.744:                              ;   in Loop: Header=BB439_743 Depth=1
	s_mov_b64 s[14:15], s[8:9]
                                        ; implicit-def: $vgpr57_vgpr58
                                        ; implicit-def: $vgpr61_vgpr62
	s_branch .LBB439_742
.LBB439_745:
	s_set_inst_prefetch_distance 0x2
	s_or_b32 exec_lo, exec_lo, s18
	v_cmp_gt_i64_e32 vcc_lo, s[8:9], v[63:64]
	s_mov_b32 s0, 0
	s_delay_alu instid0(SALU_CYCLE_1)
	v_mov_b32_e32 v130, s0
	v_cndmask_b32_e64 v129, 0, 1, vcc_lo
.LBB439_746:
	s_or_b32 exec_lo, exec_lo, s3
.LBB439_747:
	v_mul_lo_u32 v61, v44, s8
	v_mul_lo_u32 v62, v43, s9
	v_mad_u64_u32 v[57:58], null, v43, s8, 0
	v_cmp_ne_u32_e32 vcc_lo, 1, v65
	s_delay_alu instid0(VALU_DEP_2) | instskip(NEXT) | instid1(VALU_DEP_1)
	v_add3_u32 v58, v58, v62, v61
	v_lshlrev_b64 v[57:58], 2, v[57:58]
	s_cbranch_vccnz .LBB439_756
; %bb.748:
	v_add_co_u32 v61, vcc_lo, s10, v59
	v_add_co_ci_u32_e32 v62, vcc_lo, s11, v60, vcc_lo
	s_delay_alu instid0(VALU_DEP_3) | instskip(NEXT) | instid1(VALU_DEP_4)
	v_add_co_u32 v59, vcc_lo, s10, v57
	v_add_co_ci_u32_e32 v60, vcc_lo, s11, v58, vcc_lo
	v_mov_b32_e32 v131, 1
	s_clause 0x1
	global_load_b32 v63, v[61:62], off
	global_load_b32 v64, v[59:60], off
	v_mov_b32_e32 v132, 0
	s_mov_b32 s3, exec_lo
	s_waitcnt vmcnt(0)
	v_cmpx_eq_u32_e64 v63, v64
	s_cbranch_execz .LBB439_755
; %bb.749:
	v_add_co_u32 v59, vcc_lo, v59, 4
	v_add_co_ci_u32_e32 v60, vcc_lo, 0, v60, vcc_lo
	v_add_co_u32 v61, vcc_lo, v61, 4
	v_add_co_ci_u32_e32 v62, vcc_lo, 0, v62, vcc_lo
	s_add_u32 s12, s8, -1
	s_addc_u32 s13, s9, -1
	s_mov_b64 s[14:15], 0
	s_mov_b32 s18, 0
                                        ; implicit-def: $sgpr19
	s_set_inst_prefetch_distance 0x1
	s_branch .LBB439_752
	.p2align	6
.LBB439_750:                            ;   in Loop: Header=BB439_752 Depth=1
	global_load_b32 v63, v[61:62], off
	global_load_b32 v64, v[59:60], off
	v_add_co_u32 v59, vcc_lo, v59, 4
	v_add_co_ci_u32_e32 v60, vcc_lo, 0, v60, vcc_lo
	v_add_co_u32 v61, s0, v61, 4
	s_delay_alu instid0(VALU_DEP_1)
	v_add_co_ci_u32_e64 v62, s0, 0, v62, s0
	s_add_u32 s14, s14, 1
	s_addc_u32 s15, s15, 0
	s_and_not1_b32 s0, s19, exec_lo
	s_waitcnt vmcnt(0)
	v_cmp_ne_u32_e32 vcc_lo, v63, v64
	s_and_b32 s19, vcc_lo, exec_lo
	s_delay_alu instid0(SALU_CYCLE_1)
	s_or_b32 s19, s0, s19
.LBB439_751:                            ;   in Loop: Header=BB439_752 Depth=1
	v_dual_mov_b32 v64, s15 :: v_dual_mov_b32 v63, s14
	s_and_b32 s0, exec_lo, s19
	s_delay_alu instid0(SALU_CYCLE_1) | instskip(NEXT) | instid1(SALU_CYCLE_1)
	s_or_b32 s18, s0, s18
	s_and_not1_b32 exec_lo, exec_lo, s18
	s_cbranch_execz .LBB439_754
.LBB439_752:                            ; =>This Inner Loop Header: Depth=1
	s_or_b32 s19, s19, exec_lo
	s_cmp_eq_u64 s[12:13], s[14:15]
	s_cbranch_scc0 .LBB439_750
; %bb.753:                              ;   in Loop: Header=BB439_752 Depth=1
	s_mov_b64 s[14:15], s[8:9]
                                        ; implicit-def: $vgpr59_vgpr60
                                        ; implicit-def: $vgpr61_vgpr62
	s_branch .LBB439_751
.LBB439_754:
	s_set_inst_prefetch_distance 0x2
	s_or_b32 exec_lo, exec_lo, s18
	v_cmp_gt_i64_e32 vcc_lo, s[8:9], v[63:64]
	s_mov_b32 s0, 0
	s_delay_alu instid0(SALU_CYCLE_1)
	v_mov_b32_e32 v132, s0
	v_cndmask_b32_e64 v131, 0, 1, vcc_lo
.LBB439_755:
	s_or_b32 exec_lo, exec_lo, s3
.LBB439_756:
	v_mul_lo_u32 v61, v42, s8
	v_mul_lo_u32 v62, v41, s9
	v_mad_u64_u32 v[59:60], null, v41, s8, 0
	v_mov_b32_e32 v135, 0
	v_mov_b32_e32 v136, 0
	v_cmp_ne_u32_e32 vcc_lo, 1, v65
	s_delay_alu instid0(VALU_DEP_2) | instskip(SKIP_1) | instid1(VALU_DEP_1)
	v_dual_mov_b32 v133, v135 :: v_dual_mov_b32 v134, v136
	v_add3_u32 v60, v60, v62, v61
	v_lshlrev_b64 v[59:60], 2, v[59:60]
	s_cbranch_vccnz .LBB439_765
; %bb.757:
	v_add_co_u32 v61, vcc_lo, s10, v57
	v_add_co_ci_u32_e32 v62, vcc_lo, s11, v58, vcc_lo
	s_delay_alu instid0(VALU_DEP_3) | instskip(NEXT) | instid1(VALU_DEP_4)
	v_add_co_u32 v57, vcc_lo, s10, v59
	v_add_co_ci_u32_e32 v58, vcc_lo, s11, v60, vcc_lo
	v_mov_b32_e32 v133, 1
	s_clause 0x1
	global_load_b32 v63, v[61:62], off
	global_load_b32 v64, v[57:58], off
	v_mov_b32_e32 v134, 0
	s_mov_b32 s3, exec_lo
	s_waitcnt vmcnt(0)
	v_cmpx_eq_u32_e64 v63, v64
	s_cbranch_execz .LBB439_764
; %bb.758:
	v_add_co_u32 v57, vcc_lo, v57, 4
	v_add_co_ci_u32_e32 v58, vcc_lo, 0, v58, vcc_lo
	v_add_co_u32 v61, vcc_lo, v61, 4
	v_add_co_ci_u32_e32 v62, vcc_lo, 0, v62, vcc_lo
	s_add_u32 s12, s8, -1
	s_addc_u32 s13, s9, -1
	s_mov_b64 s[14:15], 0
	s_mov_b32 s18, 0
                                        ; implicit-def: $sgpr19
	s_set_inst_prefetch_distance 0x1
	s_branch .LBB439_761
	.p2align	6
.LBB439_759:                            ;   in Loop: Header=BB439_761 Depth=1
	global_load_b32 v63, v[61:62], off
	global_load_b32 v64, v[57:58], off
	v_add_co_u32 v57, vcc_lo, v57, 4
	v_add_co_ci_u32_e32 v58, vcc_lo, 0, v58, vcc_lo
	v_add_co_u32 v61, s0, v61, 4
	s_delay_alu instid0(VALU_DEP_1)
	v_add_co_ci_u32_e64 v62, s0, 0, v62, s0
	s_add_u32 s14, s14, 1
	s_addc_u32 s15, s15, 0
	s_and_not1_b32 s0, s19, exec_lo
	s_waitcnt vmcnt(0)
	v_cmp_ne_u32_e32 vcc_lo, v63, v64
	s_and_b32 s19, vcc_lo, exec_lo
	s_delay_alu instid0(SALU_CYCLE_1)
	s_or_b32 s19, s0, s19
.LBB439_760:                            ;   in Loop: Header=BB439_761 Depth=1
	v_dual_mov_b32 v64, s15 :: v_dual_mov_b32 v63, s14
	s_and_b32 s0, exec_lo, s19
	s_delay_alu instid0(SALU_CYCLE_1) | instskip(NEXT) | instid1(SALU_CYCLE_1)
	s_or_b32 s18, s0, s18
	s_and_not1_b32 exec_lo, exec_lo, s18
	s_cbranch_execz .LBB439_763
.LBB439_761:                            ; =>This Inner Loop Header: Depth=1
	s_or_b32 s19, s19, exec_lo
	s_cmp_eq_u64 s[12:13], s[14:15]
	s_cbranch_scc0 .LBB439_759
; %bb.762:                              ;   in Loop: Header=BB439_761 Depth=1
	s_mov_b64 s[14:15], s[8:9]
                                        ; implicit-def: $vgpr57_vgpr58
                                        ; implicit-def: $vgpr61_vgpr62
	s_branch .LBB439_760
.LBB439_763:
	s_set_inst_prefetch_distance 0x2
	s_or_b32 exec_lo, exec_lo, s18
	v_cmp_gt_i64_e32 vcc_lo, s[8:9], v[63:64]
	s_mov_b32 s0, 0
	s_delay_alu instid0(SALU_CYCLE_1)
	v_mov_b32_e32 v134, s0
	v_cndmask_b32_e64 v133, 0, 1, vcc_lo
.LBB439_764:
	s_or_b32 exec_lo, exec_lo, s3
.LBB439_765:
	v_mul_lo_u32 v61, v40, s8
	v_mul_lo_u32 v62, v39, s9
	v_mad_u64_u32 v[57:58], null, v39, s8, 0
	v_cmp_ne_u32_e32 vcc_lo, 1, v65
	s_delay_alu instid0(VALU_DEP_2) | instskip(NEXT) | instid1(VALU_DEP_1)
	v_add3_u32 v58, v58, v62, v61
	v_lshlrev_b64 v[57:58], 2, v[57:58]
	s_cbranch_vccnz .LBB439_774
; %bb.766:
	v_add_co_u32 v61, vcc_lo, s10, v59
	v_add_co_ci_u32_e32 v62, vcc_lo, s11, v60, vcc_lo
	s_delay_alu instid0(VALU_DEP_3) | instskip(NEXT) | instid1(VALU_DEP_4)
	v_add_co_u32 v59, vcc_lo, s10, v57
	v_add_co_ci_u32_e32 v60, vcc_lo, s11, v58, vcc_lo
	v_mov_b32_e32 v135, 1
	s_clause 0x1
	global_load_b32 v63, v[61:62], off
	global_load_b32 v64, v[59:60], off
	v_mov_b32_e32 v136, 0
	s_mov_b32 s3, exec_lo
	s_waitcnt vmcnt(0)
	v_cmpx_eq_u32_e64 v63, v64
	s_cbranch_execz .LBB439_773
; %bb.767:
	v_add_co_u32 v59, vcc_lo, v59, 4
	v_add_co_ci_u32_e32 v60, vcc_lo, 0, v60, vcc_lo
	v_add_co_u32 v61, vcc_lo, v61, 4
	v_add_co_ci_u32_e32 v62, vcc_lo, 0, v62, vcc_lo
	s_add_u32 s12, s8, -1
	s_addc_u32 s13, s9, -1
	s_mov_b64 s[14:15], 0
	s_mov_b32 s18, 0
                                        ; implicit-def: $sgpr19
	s_set_inst_prefetch_distance 0x1
	s_branch .LBB439_770
	.p2align	6
.LBB439_768:                            ;   in Loop: Header=BB439_770 Depth=1
	global_load_b32 v63, v[61:62], off
	global_load_b32 v64, v[59:60], off
	v_add_co_u32 v59, vcc_lo, v59, 4
	v_add_co_ci_u32_e32 v60, vcc_lo, 0, v60, vcc_lo
	v_add_co_u32 v61, s0, v61, 4
	s_delay_alu instid0(VALU_DEP_1)
	v_add_co_ci_u32_e64 v62, s0, 0, v62, s0
	s_add_u32 s14, s14, 1
	s_addc_u32 s15, s15, 0
	s_and_not1_b32 s0, s19, exec_lo
	s_waitcnt vmcnt(0)
	v_cmp_ne_u32_e32 vcc_lo, v63, v64
	s_and_b32 s19, vcc_lo, exec_lo
	s_delay_alu instid0(SALU_CYCLE_1)
	s_or_b32 s19, s0, s19
.LBB439_769:                            ;   in Loop: Header=BB439_770 Depth=1
	v_dual_mov_b32 v64, s15 :: v_dual_mov_b32 v63, s14
	s_and_b32 s0, exec_lo, s19
	s_delay_alu instid0(SALU_CYCLE_1) | instskip(NEXT) | instid1(SALU_CYCLE_1)
	s_or_b32 s18, s0, s18
	s_and_not1_b32 exec_lo, exec_lo, s18
	s_cbranch_execz .LBB439_772
.LBB439_770:                            ; =>This Inner Loop Header: Depth=1
	s_or_b32 s19, s19, exec_lo
	s_cmp_eq_u64 s[12:13], s[14:15]
	s_cbranch_scc0 .LBB439_768
; %bb.771:                              ;   in Loop: Header=BB439_770 Depth=1
	s_mov_b64 s[14:15], s[8:9]
                                        ; implicit-def: $vgpr59_vgpr60
                                        ; implicit-def: $vgpr61_vgpr62
	s_branch .LBB439_769
.LBB439_772:
	s_set_inst_prefetch_distance 0x2
	s_or_b32 exec_lo, exec_lo, s18
	v_cmp_gt_i64_e32 vcc_lo, s[8:9], v[63:64]
	s_mov_b32 s0, 0
	s_delay_alu instid0(SALU_CYCLE_1)
	v_mov_b32_e32 v136, s0
	v_cndmask_b32_e64 v135, 0, 1, vcc_lo
.LBB439_773:
	s_or_b32 exec_lo, exec_lo, s3
.LBB439_774:
	v_mul_lo_u32 v61, v38, s8
	v_mul_lo_u32 v62, v37, s9
	v_mad_u64_u32 v[59:60], null, v37, s8, 0
	v_mov_b32_e32 v139, 0
	v_mov_b32_e32 v140, 0
	v_cmp_ne_u32_e32 vcc_lo, 1, v65
	s_delay_alu instid0(VALU_DEP_2) | instskip(SKIP_1) | instid1(VALU_DEP_1)
	v_dual_mov_b32 v137, v139 :: v_dual_mov_b32 v138, v140
	v_add3_u32 v60, v60, v62, v61
	v_lshlrev_b64 v[59:60], 2, v[59:60]
	s_cbranch_vccnz .LBB439_783
; %bb.775:
	v_add_co_u32 v61, vcc_lo, s10, v57
	v_add_co_ci_u32_e32 v62, vcc_lo, s11, v58, vcc_lo
	s_delay_alu instid0(VALU_DEP_3) | instskip(NEXT) | instid1(VALU_DEP_4)
	v_add_co_u32 v57, vcc_lo, s10, v59
	v_add_co_ci_u32_e32 v58, vcc_lo, s11, v60, vcc_lo
	v_mov_b32_e32 v137, 1
	s_clause 0x1
	global_load_b32 v63, v[61:62], off
	global_load_b32 v64, v[57:58], off
	v_mov_b32_e32 v138, 0
	s_mov_b32 s3, exec_lo
	s_waitcnt vmcnt(0)
	v_cmpx_eq_u32_e64 v63, v64
	s_cbranch_execz .LBB439_782
; %bb.776:
	v_add_co_u32 v57, vcc_lo, v57, 4
	v_add_co_ci_u32_e32 v58, vcc_lo, 0, v58, vcc_lo
	v_add_co_u32 v61, vcc_lo, v61, 4
	v_add_co_ci_u32_e32 v62, vcc_lo, 0, v62, vcc_lo
	s_add_u32 s12, s8, -1
	s_addc_u32 s13, s9, -1
	s_mov_b64 s[14:15], 0
	s_mov_b32 s18, 0
                                        ; implicit-def: $sgpr19
	s_set_inst_prefetch_distance 0x1
	s_branch .LBB439_779
	.p2align	6
.LBB439_777:                            ;   in Loop: Header=BB439_779 Depth=1
	global_load_b32 v63, v[61:62], off
	global_load_b32 v64, v[57:58], off
	v_add_co_u32 v57, vcc_lo, v57, 4
	v_add_co_ci_u32_e32 v58, vcc_lo, 0, v58, vcc_lo
	v_add_co_u32 v61, s0, v61, 4
	s_delay_alu instid0(VALU_DEP_1)
	v_add_co_ci_u32_e64 v62, s0, 0, v62, s0
	s_add_u32 s14, s14, 1
	s_addc_u32 s15, s15, 0
	s_and_not1_b32 s0, s19, exec_lo
	s_waitcnt vmcnt(0)
	v_cmp_ne_u32_e32 vcc_lo, v63, v64
	s_and_b32 s19, vcc_lo, exec_lo
	s_delay_alu instid0(SALU_CYCLE_1)
	s_or_b32 s19, s0, s19
.LBB439_778:                            ;   in Loop: Header=BB439_779 Depth=1
	v_dual_mov_b32 v64, s15 :: v_dual_mov_b32 v63, s14
	s_and_b32 s0, exec_lo, s19
	s_delay_alu instid0(SALU_CYCLE_1) | instskip(NEXT) | instid1(SALU_CYCLE_1)
	s_or_b32 s18, s0, s18
	s_and_not1_b32 exec_lo, exec_lo, s18
	s_cbranch_execz .LBB439_781
.LBB439_779:                            ; =>This Inner Loop Header: Depth=1
	s_or_b32 s19, s19, exec_lo
	s_cmp_eq_u64 s[12:13], s[14:15]
	s_cbranch_scc0 .LBB439_777
; %bb.780:                              ;   in Loop: Header=BB439_779 Depth=1
	s_mov_b64 s[14:15], s[8:9]
                                        ; implicit-def: $vgpr57_vgpr58
                                        ; implicit-def: $vgpr61_vgpr62
	s_branch .LBB439_778
.LBB439_781:
	s_set_inst_prefetch_distance 0x2
	s_or_b32 exec_lo, exec_lo, s18
	v_cmp_gt_i64_e32 vcc_lo, s[8:9], v[63:64]
	s_mov_b32 s0, 0
	s_delay_alu instid0(SALU_CYCLE_1)
	v_mov_b32_e32 v138, s0
	v_cndmask_b32_e64 v137, 0, 1, vcc_lo
.LBB439_782:
	s_or_b32 exec_lo, exec_lo, s3
.LBB439_783:
	v_mul_lo_u32 v61, v36, s8
	v_mul_lo_u32 v62, v35, s9
	v_mad_u64_u32 v[57:58], null, v35, s8, 0
	v_cmp_ne_u32_e32 vcc_lo, 1, v65
	s_delay_alu instid0(VALU_DEP_2) | instskip(NEXT) | instid1(VALU_DEP_1)
	v_add3_u32 v58, v58, v62, v61
	v_lshlrev_b64 v[57:58], 2, v[57:58]
	s_cbranch_vccnz .LBB439_792
; %bb.784:
	v_add_co_u32 v61, vcc_lo, s10, v59
	v_add_co_ci_u32_e32 v62, vcc_lo, s11, v60, vcc_lo
	s_delay_alu instid0(VALU_DEP_3) | instskip(NEXT) | instid1(VALU_DEP_4)
	v_add_co_u32 v59, vcc_lo, s10, v57
	v_add_co_ci_u32_e32 v60, vcc_lo, s11, v58, vcc_lo
	v_mov_b32_e32 v139, 1
	s_clause 0x1
	global_load_b32 v63, v[61:62], off
	global_load_b32 v64, v[59:60], off
	v_mov_b32_e32 v140, 0
	s_mov_b32 s3, exec_lo
	s_waitcnt vmcnt(0)
	v_cmpx_eq_u32_e64 v63, v64
	s_cbranch_execz .LBB439_791
; %bb.785:
	v_add_co_u32 v59, vcc_lo, v59, 4
	v_add_co_ci_u32_e32 v60, vcc_lo, 0, v60, vcc_lo
	v_add_co_u32 v61, vcc_lo, v61, 4
	v_add_co_ci_u32_e32 v62, vcc_lo, 0, v62, vcc_lo
	s_add_u32 s12, s8, -1
	s_addc_u32 s13, s9, -1
	s_mov_b64 s[14:15], 0
	s_mov_b32 s18, 0
                                        ; implicit-def: $sgpr19
	s_set_inst_prefetch_distance 0x1
	s_branch .LBB439_788
	.p2align	6
.LBB439_786:                            ;   in Loop: Header=BB439_788 Depth=1
	global_load_b32 v63, v[61:62], off
	global_load_b32 v64, v[59:60], off
	v_add_co_u32 v59, vcc_lo, v59, 4
	v_add_co_ci_u32_e32 v60, vcc_lo, 0, v60, vcc_lo
	v_add_co_u32 v61, s0, v61, 4
	s_delay_alu instid0(VALU_DEP_1)
	v_add_co_ci_u32_e64 v62, s0, 0, v62, s0
	s_add_u32 s14, s14, 1
	s_addc_u32 s15, s15, 0
	s_and_not1_b32 s0, s19, exec_lo
	s_waitcnt vmcnt(0)
	v_cmp_ne_u32_e32 vcc_lo, v63, v64
	s_and_b32 s19, vcc_lo, exec_lo
	s_delay_alu instid0(SALU_CYCLE_1)
	s_or_b32 s19, s0, s19
.LBB439_787:                            ;   in Loop: Header=BB439_788 Depth=1
	v_dual_mov_b32 v64, s15 :: v_dual_mov_b32 v63, s14
	s_and_b32 s0, exec_lo, s19
	s_delay_alu instid0(SALU_CYCLE_1) | instskip(NEXT) | instid1(SALU_CYCLE_1)
	s_or_b32 s18, s0, s18
	s_and_not1_b32 exec_lo, exec_lo, s18
	s_cbranch_execz .LBB439_790
.LBB439_788:                            ; =>This Inner Loop Header: Depth=1
	s_or_b32 s19, s19, exec_lo
	s_cmp_eq_u64 s[12:13], s[14:15]
	s_cbranch_scc0 .LBB439_786
; %bb.789:                              ;   in Loop: Header=BB439_788 Depth=1
	s_mov_b64 s[14:15], s[8:9]
                                        ; implicit-def: $vgpr59_vgpr60
                                        ; implicit-def: $vgpr61_vgpr62
	s_branch .LBB439_787
.LBB439_790:
	s_set_inst_prefetch_distance 0x2
	s_or_b32 exec_lo, exec_lo, s18
	v_cmp_gt_i64_e32 vcc_lo, s[8:9], v[63:64]
	s_mov_b32 s0, 0
	s_delay_alu instid0(SALU_CYCLE_1)
	v_mov_b32_e32 v140, s0
	v_cndmask_b32_e64 v139, 0, 1, vcc_lo
.LBB439_791:
	s_or_b32 exec_lo, exec_lo, s3
.LBB439_792:
	v_mul_lo_u32 v61, v34, s8
	v_mul_lo_u32 v62, v33, s9
	v_mad_u64_u32 v[59:60], null, v33, s8, 0
	v_mov_b32_e32 v143, 0
	v_mov_b32_e32 v144, 0
	v_cmp_ne_u32_e32 vcc_lo, 1, v65
	s_delay_alu instid0(VALU_DEP_2) | instskip(SKIP_1) | instid1(VALU_DEP_1)
	v_dual_mov_b32 v141, v143 :: v_dual_mov_b32 v142, v144
	v_add3_u32 v60, v60, v62, v61
	v_lshlrev_b64 v[59:60], 2, v[59:60]
	s_cbranch_vccnz .LBB439_801
; %bb.793:
	v_add_co_u32 v61, vcc_lo, s10, v57
	v_add_co_ci_u32_e32 v62, vcc_lo, s11, v58, vcc_lo
	s_delay_alu instid0(VALU_DEP_3) | instskip(NEXT) | instid1(VALU_DEP_4)
	v_add_co_u32 v57, vcc_lo, s10, v59
	v_add_co_ci_u32_e32 v58, vcc_lo, s11, v60, vcc_lo
	v_mov_b32_e32 v141, 1
	s_clause 0x1
	global_load_b32 v63, v[61:62], off
	global_load_b32 v64, v[57:58], off
	v_mov_b32_e32 v142, 0
	s_mov_b32 s3, exec_lo
	s_waitcnt vmcnt(0)
	v_cmpx_eq_u32_e64 v63, v64
	s_cbranch_execz .LBB439_800
; %bb.794:
	v_add_co_u32 v57, vcc_lo, v57, 4
	v_add_co_ci_u32_e32 v58, vcc_lo, 0, v58, vcc_lo
	v_add_co_u32 v61, vcc_lo, v61, 4
	v_add_co_ci_u32_e32 v62, vcc_lo, 0, v62, vcc_lo
	s_add_u32 s12, s8, -1
	s_addc_u32 s13, s9, -1
	s_mov_b64 s[14:15], 0
	s_mov_b32 s18, 0
                                        ; implicit-def: $sgpr19
	s_set_inst_prefetch_distance 0x1
	s_branch .LBB439_797
	.p2align	6
.LBB439_795:                            ;   in Loop: Header=BB439_797 Depth=1
	global_load_b32 v63, v[61:62], off
	global_load_b32 v64, v[57:58], off
	v_add_co_u32 v57, vcc_lo, v57, 4
	v_add_co_ci_u32_e32 v58, vcc_lo, 0, v58, vcc_lo
	v_add_co_u32 v61, s0, v61, 4
	s_delay_alu instid0(VALU_DEP_1)
	v_add_co_ci_u32_e64 v62, s0, 0, v62, s0
	s_add_u32 s14, s14, 1
	s_addc_u32 s15, s15, 0
	s_and_not1_b32 s0, s19, exec_lo
	s_waitcnt vmcnt(0)
	v_cmp_ne_u32_e32 vcc_lo, v63, v64
	s_and_b32 s19, vcc_lo, exec_lo
	s_delay_alu instid0(SALU_CYCLE_1)
	s_or_b32 s19, s0, s19
.LBB439_796:                            ;   in Loop: Header=BB439_797 Depth=1
	v_dual_mov_b32 v64, s15 :: v_dual_mov_b32 v63, s14
	s_and_b32 s0, exec_lo, s19
	s_delay_alu instid0(SALU_CYCLE_1) | instskip(NEXT) | instid1(SALU_CYCLE_1)
	s_or_b32 s18, s0, s18
	s_and_not1_b32 exec_lo, exec_lo, s18
	s_cbranch_execz .LBB439_799
.LBB439_797:                            ; =>This Inner Loop Header: Depth=1
	s_or_b32 s19, s19, exec_lo
	s_cmp_eq_u64 s[12:13], s[14:15]
	s_cbranch_scc0 .LBB439_795
; %bb.798:                              ;   in Loop: Header=BB439_797 Depth=1
	s_mov_b64 s[14:15], s[8:9]
                                        ; implicit-def: $vgpr57_vgpr58
                                        ; implicit-def: $vgpr61_vgpr62
	s_branch .LBB439_796
.LBB439_799:
	s_set_inst_prefetch_distance 0x2
	s_or_b32 exec_lo, exec_lo, s18
	v_cmp_gt_i64_e32 vcc_lo, s[8:9], v[63:64]
	s_mov_b32 s0, 0
	s_delay_alu instid0(SALU_CYCLE_1)
	v_mov_b32_e32 v142, s0
	v_cndmask_b32_e64 v141, 0, 1, vcc_lo
.LBB439_800:
	s_or_b32 exec_lo, exec_lo, s3
.LBB439_801:
	v_mul_lo_u32 v61, v32, s8
	v_mul_lo_u32 v62, v31, s9
	v_mad_u64_u32 v[57:58], null, v31, s8, 0
	v_cmp_ne_u32_e32 vcc_lo, 1, v65
	s_delay_alu instid0(VALU_DEP_2) | instskip(NEXT) | instid1(VALU_DEP_1)
	v_add3_u32 v58, v58, v62, v61
	v_lshlrev_b64 v[57:58], 2, v[57:58]
	s_cbranch_vccnz .LBB439_810
; %bb.802:
	v_add_co_u32 v61, vcc_lo, s10, v59
	v_add_co_ci_u32_e32 v62, vcc_lo, s11, v60, vcc_lo
	s_delay_alu instid0(VALU_DEP_3) | instskip(NEXT) | instid1(VALU_DEP_4)
	v_add_co_u32 v59, vcc_lo, s10, v57
	v_add_co_ci_u32_e32 v60, vcc_lo, s11, v58, vcc_lo
	v_mov_b32_e32 v143, 1
	s_clause 0x1
	global_load_b32 v63, v[61:62], off
	global_load_b32 v64, v[59:60], off
	v_mov_b32_e32 v144, 0
	s_mov_b32 s3, exec_lo
	s_waitcnt vmcnt(0)
	v_cmpx_eq_u32_e64 v63, v64
	s_cbranch_execz .LBB439_809
; %bb.803:
	v_add_co_u32 v59, vcc_lo, v59, 4
	v_add_co_ci_u32_e32 v60, vcc_lo, 0, v60, vcc_lo
	v_add_co_u32 v61, vcc_lo, v61, 4
	v_add_co_ci_u32_e32 v62, vcc_lo, 0, v62, vcc_lo
	s_add_u32 s12, s8, -1
	s_addc_u32 s13, s9, -1
	s_mov_b64 s[14:15], 0
	s_mov_b32 s18, 0
                                        ; implicit-def: $sgpr19
	s_set_inst_prefetch_distance 0x1
	s_branch .LBB439_806
	.p2align	6
.LBB439_804:                            ;   in Loop: Header=BB439_806 Depth=1
	global_load_b32 v63, v[61:62], off
	global_load_b32 v64, v[59:60], off
	v_add_co_u32 v59, vcc_lo, v59, 4
	v_add_co_ci_u32_e32 v60, vcc_lo, 0, v60, vcc_lo
	v_add_co_u32 v61, s0, v61, 4
	s_delay_alu instid0(VALU_DEP_1)
	v_add_co_ci_u32_e64 v62, s0, 0, v62, s0
	s_add_u32 s14, s14, 1
	s_addc_u32 s15, s15, 0
	s_and_not1_b32 s0, s19, exec_lo
	s_waitcnt vmcnt(0)
	v_cmp_ne_u32_e32 vcc_lo, v63, v64
	s_and_b32 s19, vcc_lo, exec_lo
	s_delay_alu instid0(SALU_CYCLE_1)
	s_or_b32 s19, s0, s19
.LBB439_805:                            ;   in Loop: Header=BB439_806 Depth=1
	v_dual_mov_b32 v64, s15 :: v_dual_mov_b32 v63, s14
	s_and_b32 s0, exec_lo, s19
	s_delay_alu instid0(SALU_CYCLE_1) | instskip(NEXT) | instid1(SALU_CYCLE_1)
	s_or_b32 s18, s0, s18
	s_and_not1_b32 exec_lo, exec_lo, s18
	s_cbranch_execz .LBB439_808
.LBB439_806:                            ; =>This Inner Loop Header: Depth=1
	s_or_b32 s19, s19, exec_lo
	s_cmp_eq_u64 s[12:13], s[14:15]
	s_cbranch_scc0 .LBB439_804
; %bb.807:                              ;   in Loop: Header=BB439_806 Depth=1
	s_mov_b64 s[14:15], s[8:9]
                                        ; implicit-def: $vgpr59_vgpr60
                                        ; implicit-def: $vgpr61_vgpr62
	s_branch .LBB439_805
.LBB439_808:
	s_set_inst_prefetch_distance 0x2
	s_or_b32 exec_lo, exec_lo, s18
	v_cmp_gt_i64_e32 vcc_lo, s[8:9], v[63:64]
	s_mov_b32 s0, 0
	s_delay_alu instid0(SALU_CYCLE_1)
	v_mov_b32_e32 v144, s0
	v_cndmask_b32_e64 v143, 0, 1, vcc_lo
.LBB439_809:
	s_or_b32 exec_lo, exec_lo, s3
.LBB439_810:
	v_mul_lo_u32 v61, v30, s8
	v_mul_lo_u32 v62, v29, s9
	v_mad_u64_u32 v[59:60], null, v29, s8, 0
	v_mov_b32_e32 v147, 0
	v_mov_b32_e32 v148, 0
	v_cmp_ne_u32_e32 vcc_lo, 1, v65
	s_delay_alu instid0(VALU_DEP_2) | instskip(SKIP_1) | instid1(VALU_DEP_1)
	v_dual_mov_b32 v145, v147 :: v_dual_mov_b32 v146, v148
	v_add3_u32 v60, v60, v62, v61
	v_lshlrev_b64 v[59:60], 2, v[59:60]
	s_cbranch_vccnz .LBB439_819
; %bb.811:
	v_add_co_u32 v61, vcc_lo, s10, v57
	v_add_co_ci_u32_e32 v62, vcc_lo, s11, v58, vcc_lo
	s_delay_alu instid0(VALU_DEP_3) | instskip(NEXT) | instid1(VALU_DEP_4)
	v_add_co_u32 v57, vcc_lo, s10, v59
	v_add_co_ci_u32_e32 v58, vcc_lo, s11, v60, vcc_lo
	v_mov_b32_e32 v145, 1
	s_clause 0x1
	global_load_b32 v63, v[61:62], off
	global_load_b32 v64, v[57:58], off
	v_mov_b32_e32 v146, 0
	s_mov_b32 s3, exec_lo
	s_waitcnt vmcnt(0)
	v_cmpx_eq_u32_e64 v63, v64
	s_cbranch_execz .LBB439_818
; %bb.812:
	v_add_co_u32 v57, vcc_lo, v57, 4
	v_add_co_ci_u32_e32 v58, vcc_lo, 0, v58, vcc_lo
	v_add_co_u32 v61, vcc_lo, v61, 4
	v_add_co_ci_u32_e32 v62, vcc_lo, 0, v62, vcc_lo
	s_add_u32 s12, s8, -1
	s_addc_u32 s13, s9, -1
	s_mov_b64 s[14:15], 0
	s_mov_b32 s18, 0
                                        ; implicit-def: $sgpr19
	s_set_inst_prefetch_distance 0x1
	s_branch .LBB439_815
	.p2align	6
.LBB439_813:                            ;   in Loop: Header=BB439_815 Depth=1
	global_load_b32 v63, v[61:62], off
	global_load_b32 v64, v[57:58], off
	v_add_co_u32 v57, vcc_lo, v57, 4
	v_add_co_ci_u32_e32 v58, vcc_lo, 0, v58, vcc_lo
	v_add_co_u32 v61, s0, v61, 4
	s_delay_alu instid0(VALU_DEP_1)
	v_add_co_ci_u32_e64 v62, s0, 0, v62, s0
	s_add_u32 s14, s14, 1
	s_addc_u32 s15, s15, 0
	s_and_not1_b32 s0, s19, exec_lo
	s_waitcnt vmcnt(0)
	v_cmp_ne_u32_e32 vcc_lo, v63, v64
	s_and_b32 s19, vcc_lo, exec_lo
	s_delay_alu instid0(SALU_CYCLE_1)
	s_or_b32 s19, s0, s19
.LBB439_814:                            ;   in Loop: Header=BB439_815 Depth=1
	v_dual_mov_b32 v64, s15 :: v_dual_mov_b32 v63, s14
	s_and_b32 s0, exec_lo, s19
	s_delay_alu instid0(SALU_CYCLE_1) | instskip(NEXT) | instid1(SALU_CYCLE_1)
	s_or_b32 s18, s0, s18
	s_and_not1_b32 exec_lo, exec_lo, s18
	s_cbranch_execz .LBB439_817
.LBB439_815:                            ; =>This Inner Loop Header: Depth=1
	s_or_b32 s19, s19, exec_lo
	s_cmp_eq_u64 s[12:13], s[14:15]
	s_cbranch_scc0 .LBB439_813
; %bb.816:                              ;   in Loop: Header=BB439_815 Depth=1
	s_mov_b64 s[14:15], s[8:9]
                                        ; implicit-def: $vgpr57_vgpr58
                                        ; implicit-def: $vgpr61_vgpr62
	s_branch .LBB439_814
.LBB439_817:
	s_set_inst_prefetch_distance 0x2
	s_or_b32 exec_lo, exec_lo, s18
	v_cmp_gt_i64_e32 vcc_lo, s[8:9], v[63:64]
	s_mov_b32 s0, 0
	s_delay_alu instid0(SALU_CYCLE_1)
	v_mov_b32_e32 v146, s0
	v_cndmask_b32_e64 v145, 0, 1, vcc_lo
.LBB439_818:
	s_or_b32 exec_lo, exec_lo, s3
.LBB439_819:
	v_mul_lo_u32 v61, v28, s8
	v_mul_lo_u32 v62, v27, s9
	v_mad_u64_u32 v[57:58], null, v27, s8, 0
	v_cmp_ne_u32_e32 vcc_lo, 1, v65
	s_delay_alu instid0(VALU_DEP_2) | instskip(NEXT) | instid1(VALU_DEP_1)
	v_add3_u32 v58, v58, v62, v61
	v_lshlrev_b64 v[57:58], 2, v[57:58]
	s_cbranch_vccnz .LBB439_828
; %bb.820:
	v_add_co_u32 v61, vcc_lo, s10, v59
	v_add_co_ci_u32_e32 v62, vcc_lo, s11, v60, vcc_lo
	s_delay_alu instid0(VALU_DEP_3) | instskip(NEXT) | instid1(VALU_DEP_4)
	v_add_co_u32 v59, vcc_lo, s10, v57
	v_add_co_ci_u32_e32 v60, vcc_lo, s11, v58, vcc_lo
	v_mov_b32_e32 v147, 1
	s_clause 0x1
	global_load_b32 v63, v[61:62], off
	global_load_b32 v64, v[59:60], off
	v_mov_b32_e32 v148, 0
	s_mov_b32 s3, exec_lo
	s_waitcnt vmcnt(0)
	v_cmpx_eq_u32_e64 v63, v64
	s_cbranch_execz .LBB439_827
; %bb.821:
	v_add_co_u32 v59, vcc_lo, v59, 4
	v_add_co_ci_u32_e32 v60, vcc_lo, 0, v60, vcc_lo
	v_add_co_u32 v61, vcc_lo, v61, 4
	v_add_co_ci_u32_e32 v62, vcc_lo, 0, v62, vcc_lo
	s_add_u32 s12, s8, -1
	s_addc_u32 s13, s9, -1
	s_mov_b64 s[14:15], 0
	s_mov_b32 s18, 0
                                        ; implicit-def: $sgpr19
	s_set_inst_prefetch_distance 0x1
	s_branch .LBB439_824
	.p2align	6
.LBB439_822:                            ;   in Loop: Header=BB439_824 Depth=1
	global_load_b32 v63, v[61:62], off
	global_load_b32 v64, v[59:60], off
	v_add_co_u32 v59, vcc_lo, v59, 4
	v_add_co_ci_u32_e32 v60, vcc_lo, 0, v60, vcc_lo
	v_add_co_u32 v61, s0, v61, 4
	s_delay_alu instid0(VALU_DEP_1)
	v_add_co_ci_u32_e64 v62, s0, 0, v62, s0
	s_add_u32 s14, s14, 1
	s_addc_u32 s15, s15, 0
	s_and_not1_b32 s0, s19, exec_lo
	s_waitcnt vmcnt(0)
	v_cmp_ne_u32_e32 vcc_lo, v63, v64
	s_and_b32 s19, vcc_lo, exec_lo
	s_delay_alu instid0(SALU_CYCLE_1)
	s_or_b32 s19, s0, s19
.LBB439_823:                            ;   in Loop: Header=BB439_824 Depth=1
	v_dual_mov_b32 v64, s15 :: v_dual_mov_b32 v63, s14
	s_and_b32 s0, exec_lo, s19
	s_delay_alu instid0(SALU_CYCLE_1) | instskip(NEXT) | instid1(SALU_CYCLE_1)
	s_or_b32 s18, s0, s18
	s_and_not1_b32 exec_lo, exec_lo, s18
	s_cbranch_execz .LBB439_826
.LBB439_824:                            ; =>This Inner Loop Header: Depth=1
	s_or_b32 s19, s19, exec_lo
	s_cmp_eq_u64 s[12:13], s[14:15]
	s_cbranch_scc0 .LBB439_822
; %bb.825:                              ;   in Loop: Header=BB439_824 Depth=1
	s_mov_b64 s[14:15], s[8:9]
                                        ; implicit-def: $vgpr59_vgpr60
                                        ; implicit-def: $vgpr61_vgpr62
	s_branch .LBB439_823
.LBB439_826:
	s_set_inst_prefetch_distance 0x2
	s_or_b32 exec_lo, exec_lo, s18
	v_cmp_gt_i64_e32 vcc_lo, s[8:9], v[63:64]
	s_mov_b32 s0, 0
	s_delay_alu instid0(SALU_CYCLE_1)
	v_mov_b32_e32 v148, s0
	v_cndmask_b32_e64 v147, 0, 1, vcc_lo
.LBB439_827:
	s_or_b32 exec_lo, exec_lo, s3
.LBB439_828:
	v_mul_lo_u32 v61, v26, s8
	v_mul_lo_u32 v62, v25, s9
	v_mad_u64_u32 v[59:60], null, v25, s8, 0
	v_mov_b32_e32 v151, 0
	v_mov_b32_e32 v152, 0
	v_cmp_ne_u32_e32 vcc_lo, 1, v65
	s_delay_alu instid0(VALU_DEP_2) | instskip(SKIP_1) | instid1(VALU_DEP_1)
	v_dual_mov_b32 v149, v151 :: v_dual_mov_b32 v150, v152
	v_add3_u32 v60, v60, v62, v61
	v_lshlrev_b64 v[59:60], 2, v[59:60]
	s_cbranch_vccnz .LBB439_837
; %bb.829:
	v_add_co_u32 v61, vcc_lo, s10, v57
	v_add_co_ci_u32_e32 v62, vcc_lo, s11, v58, vcc_lo
	s_delay_alu instid0(VALU_DEP_3) | instskip(NEXT) | instid1(VALU_DEP_4)
	v_add_co_u32 v57, vcc_lo, s10, v59
	v_add_co_ci_u32_e32 v58, vcc_lo, s11, v60, vcc_lo
	v_mov_b32_e32 v149, 1
	s_clause 0x1
	global_load_b32 v63, v[61:62], off
	global_load_b32 v64, v[57:58], off
	v_mov_b32_e32 v150, 0
	s_mov_b32 s3, exec_lo
	s_waitcnt vmcnt(0)
	v_cmpx_eq_u32_e64 v63, v64
	s_cbranch_execz .LBB439_836
; %bb.830:
	v_add_co_u32 v57, vcc_lo, v57, 4
	v_add_co_ci_u32_e32 v58, vcc_lo, 0, v58, vcc_lo
	v_add_co_u32 v61, vcc_lo, v61, 4
	v_add_co_ci_u32_e32 v62, vcc_lo, 0, v62, vcc_lo
	s_add_u32 s12, s8, -1
	s_addc_u32 s13, s9, -1
	s_mov_b64 s[14:15], 0
	s_mov_b32 s18, 0
                                        ; implicit-def: $sgpr19
	s_set_inst_prefetch_distance 0x1
	s_branch .LBB439_833
	.p2align	6
.LBB439_831:                            ;   in Loop: Header=BB439_833 Depth=1
	global_load_b32 v63, v[61:62], off
	global_load_b32 v64, v[57:58], off
	v_add_co_u32 v57, vcc_lo, v57, 4
	v_add_co_ci_u32_e32 v58, vcc_lo, 0, v58, vcc_lo
	v_add_co_u32 v61, s0, v61, 4
	s_delay_alu instid0(VALU_DEP_1)
	v_add_co_ci_u32_e64 v62, s0, 0, v62, s0
	s_add_u32 s14, s14, 1
	s_addc_u32 s15, s15, 0
	s_and_not1_b32 s0, s19, exec_lo
	s_waitcnt vmcnt(0)
	v_cmp_ne_u32_e32 vcc_lo, v63, v64
	s_and_b32 s19, vcc_lo, exec_lo
	s_delay_alu instid0(SALU_CYCLE_1)
	s_or_b32 s19, s0, s19
.LBB439_832:                            ;   in Loop: Header=BB439_833 Depth=1
	v_dual_mov_b32 v64, s15 :: v_dual_mov_b32 v63, s14
	s_and_b32 s0, exec_lo, s19
	s_delay_alu instid0(SALU_CYCLE_1) | instskip(NEXT) | instid1(SALU_CYCLE_1)
	s_or_b32 s18, s0, s18
	s_and_not1_b32 exec_lo, exec_lo, s18
	s_cbranch_execz .LBB439_835
.LBB439_833:                            ; =>This Inner Loop Header: Depth=1
	s_or_b32 s19, s19, exec_lo
	s_cmp_eq_u64 s[12:13], s[14:15]
	s_cbranch_scc0 .LBB439_831
; %bb.834:                              ;   in Loop: Header=BB439_833 Depth=1
	s_mov_b64 s[14:15], s[8:9]
                                        ; implicit-def: $vgpr57_vgpr58
                                        ; implicit-def: $vgpr61_vgpr62
	s_branch .LBB439_832
.LBB439_835:
	s_set_inst_prefetch_distance 0x2
	s_or_b32 exec_lo, exec_lo, s18
	v_cmp_gt_i64_e32 vcc_lo, s[8:9], v[63:64]
	s_mov_b32 s0, 0
	s_delay_alu instid0(SALU_CYCLE_1)
	v_mov_b32_e32 v150, s0
	v_cndmask_b32_e64 v149, 0, 1, vcc_lo
.LBB439_836:
	s_or_b32 exec_lo, exec_lo, s3
.LBB439_837:
	v_mul_lo_u32 v61, v24, s8
	v_mul_lo_u32 v62, v23, s9
	v_mad_u64_u32 v[57:58], null, v23, s8, 0
	v_cmp_ne_u32_e32 vcc_lo, 1, v65
	s_delay_alu instid0(VALU_DEP_2) | instskip(NEXT) | instid1(VALU_DEP_1)
	v_add3_u32 v58, v58, v62, v61
	v_lshlrev_b64 v[57:58], 2, v[57:58]
	s_cbranch_vccnz .LBB439_846
; %bb.838:
	v_add_co_u32 v61, vcc_lo, s10, v59
	v_add_co_ci_u32_e32 v62, vcc_lo, s11, v60, vcc_lo
	s_delay_alu instid0(VALU_DEP_3) | instskip(NEXT) | instid1(VALU_DEP_4)
	v_add_co_u32 v59, vcc_lo, s10, v57
	v_add_co_ci_u32_e32 v60, vcc_lo, s11, v58, vcc_lo
	v_mov_b32_e32 v151, 1
	s_clause 0x1
	global_load_b32 v63, v[61:62], off
	global_load_b32 v64, v[59:60], off
	v_mov_b32_e32 v152, 0
	s_mov_b32 s3, exec_lo
	s_waitcnt vmcnt(0)
	v_cmpx_eq_u32_e64 v63, v64
	s_cbranch_execz .LBB439_845
; %bb.839:
	v_add_co_u32 v59, vcc_lo, v59, 4
	v_add_co_ci_u32_e32 v60, vcc_lo, 0, v60, vcc_lo
	v_add_co_u32 v61, vcc_lo, v61, 4
	v_add_co_ci_u32_e32 v62, vcc_lo, 0, v62, vcc_lo
	s_add_u32 s12, s8, -1
	s_addc_u32 s13, s9, -1
	s_mov_b64 s[14:15], 0
	s_mov_b32 s18, 0
                                        ; implicit-def: $sgpr19
	s_set_inst_prefetch_distance 0x1
	s_branch .LBB439_842
	.p2align	6
.LBB439_840:                            ;   in Loop: Header=BB439_842 Depth=1
	global_load_b32 v63, v[61:62], off
	global_load_b32 v64, v[59:60], off
	v_add_co_u32 v59, vcc_lo, v59, 4
	v_add_co_ci_u32_e32 v60, vcc_lo, 0, v60, vcc_lo
	v_add_co_u32 v61, s0, v61, 4
	s_delay_alu instid0(VALU_DEP_1)
	v_add_co_ci_u32_e64 v62, s0, 0, v62, s0
	s_add_u32 s14, s14, 1
	s_addc_u32 s15, s15, 0
	s_and_not1_b32 s0, s19, exec_lo
	s_waitcnt vmcnt(0)
	v_cmp_ne_u32_e32 vcc_lo, v63, v64
	s_and_b32 s19, vcc_lo, exec_lo
	s_delay_alu instid0(SALU_CYCLE_1)
	s_or_b32 s19, s0, s19
.LBB439_841:                            ;   in Loop: Header=BB439_842 Depth=1
	v_dual_mov_b32 v64, s15 :: v_dual_mov_b32 v63, s14
	s_and_b32 s0, exec_lo, s19
	s_delay_alu instid0(SALU_CYCLE_1) | instskip(NEXT) | instid1(SALU_CYCLE_1)
	s_or_b32 s18, s0, s18
	s_and_not1_b32 exec_lo, exec_lo, s18
	s_cbranch_execz .LBB439_844
.LBB439_842:                            ; =>This Inner Loop Header: Depth=1
	s_or_b32 s19, s19, exec_lo
	s_cmp_eq_u64 s[12:13], s[14:15]
	s_cbranch_scc0 .LBB439_840
; %bb.843:                              ;   in Loop: Header=BB439_842 Depth=1
	s_mov_b64 s[14:15], s[8:9]
                                        ; implicit-def: $vgpr59_vgpr60
                                        ; implicit-def: $vgpr61_vgpr62
	s_branch .LBB439_841
.LBB439_844:
	s_set_inst_prefetch_distance 0x2
	s_or_b32 exec_lo, exec_lo, s18
	v_cmp_gt_i64_e32 vcc_lo, s[8:9], v[63:64]
	s_mov_b32 s0, 0
	s_delay_alu instid0(SALU_CYCLE_1)
	v_mov_b32_e32 v152, s0
	v_cndmask_b32_e64 v151, 0, 1, vcc_lo
.LBB439_845:
	s_or_b32 exec_lo, exec_lo, s3
.LBB439_846:
	v_mul_lo_u32 v61, v22, s8
	v_mul_lo_u32 v62, v21, s9
	v_mad_u64_u32 v[59:60], null, v21, s8, 0
	v_mov_b32_e32 v155, 0
	v_mov_b32_e32 v156, 0
	v_cmp_ne_u32_e32 vcc_lo, 1, v65
	s_delay_alu instid0(VALU_DEP_2) | instskip(SKIP_1) | instid1(VALU_DEP_1)
	v_dual_mov_b32 v153, v155 :: v_dual_mov_b32 v154, v156
	v_add3_u32 v60, v60, v62, v61
	v_lshlrev_b64 v[59:60], 2, v[59:60]
	s_cbranch_vccnz .LBB439_855
; %bb.847:
	v_add_co_u32 v61, vcc_lo, s10, v57
	v_add_co_ci_u32_e32 v62, vcc_lo, s11, v58, vcc_lo
	s_delay_alu instid0(VALU_DEP_3) | instskip(NEXT) | instid1(VALU_DEP_4)
	v_add_co_u32 v57, vcc_lo, s10, v59
	v_add_co_ci_u32_e32 v58, vcc_lo, s11, v60, vcc_lo
	v_mov_b32_e32 v153, 1
	s_clause 0x1
	global_load_b32 v63, v[61:62], off
	global_load_b32 v64, v[57:58], off
	v_mov_b32_e32 v154, 0
	s_mov_b32 s3, exec_lo
	s_waitcnt vmcnt(0)
	v_cmpx_eq_u32_e64 v63, v64
	s_cbranch_execz .LBB439_854
; %bb.848:
	v_add_co_u32 v57, vcc_lo, v57, 4
	v_add_co_ci_u32_e32 v58, vcc_lo, 0, v58, vcc_lo
	v_add_co_u32 v61, vcc_lo, v61, 4
	v_add_co_ci_u32_e32 v62, vcc_lo, 0, v62, vcc_lo
	s_add_u32 s12, s8, -1
	s_addc_u32 s13, s9, -1
	s_mov_b64 s[14:15], 0
	s_mov_b32 s18, 0
                                        ; implicit-def: $sgpr19
	s_set_inst_prefetch_distance 0x1
	s_branch .LBB439_851
	.p2align	6
.LBB439_849:                            ;   in Loop: Header=BB439_851 Depth=1
	global_load_b32 v63, v[61:62], off
	global_load_b32 v64, v[57:58], off
	v_add_co_u32 v57, vcc_lo, v57, 4
	v_add_co_ci_u32_e32 v58, vcc_lo, 0, v58, vcc_lo
	v_add_co_u32 v61, s0, v61, 4
	s_delay_alu instid0(VALU_DEP_1)
	v_add_co_ci_u32_e64 v62, s0, 0, v62, s0
	s_add_u32 s14, s14, 1
	s_addc_u32 s15, s15, 0
	s_and_not1_b32 s0, s19, exec_lo
	s_waitcnt vmcnt(0)
	v_cmp_ne_u32_e32 vcc_lo, v63, v64
	s_and_b32 s19, vcc_lo, exec_lo
	s_delay_alu instid0(SALU_CYCLE_1)
	s_or_b32 s19, s0, s19
.LBB439_850:                            ;   in Loop: Header=BB439_851 Depth=1
	v_dual_mov_b32 v64, s15 :: v_dual_mov_b32 v63, s14
	s_and_b32 s0, exec_lo, s19
	s_delay_alu instid0(SALU_CYCLE_1) | instskip(NEXT) | instid1(SALU_CYCLE_1)
	s_or_b32 s18, s0, s18
	s_and_not1_b32 exec_lo, exec_lo, s18
	s_cbranch_execz .LBB439_853
.LBB439_851:                            ; =>This Inner Loop Header: Depth=1
	s_or_b32 s19, s19, exec_lo
	s_cmp_eq_u64 s[12:13], s[14:15]
	s_cbranch_scc0 .LBB439_849
; %bb.852:                              ;   in Loop: Header=BB439_851 Depth=1
	s_mov_b64 s[14:15], s[8:9]
                                        ; implicit-def: $vgpr57_vgpr58
                                        ; implicit-def: $vgpr61_vgpr62
	s_branch .LBB439_850
.LBB439_853:
	s_set_inst_prefetch_distance 0x2
	s_or_b32 exec_lo, exec_lo, s18
	v_cmp_gt_i64_e32 vcc_lo, s[8:9], v[63:64]
	s_mov_b32 s0, 0
	s_delay_alu instid0(SALU_CYCLE_1)
	v_mov_b32_e32 v154, s0
	v_cndmask_b32_e64 v153, 0, 1, vcc_lo
.LBB439_854:
	s_or_b32 exec_lo, exec_lo, s3
.LBB439_855:
	v_mul_lo_u32 v61, v20, s8
	v_mul_lo_u32 v62, v19, s9
	v_mad_u64_u32 v[57:58], null, v19, s8, 0
	v_cmp_ne_u32_e32 vcc_lo, 1, v65
	s_delay_alu instid0(VALU_DEP_2) | instskip(NEXT) | instid1(VALU_DEP_1)
	v_add3_u32 v58, v58, v62, v61
	v_lshlrev_b64 v[57:58], 2, v[57:58]
	s_cbranch_vccnz .LBB439_864
; %bb.856:
	v_add_co_u32 v61, vcc_lo, s10, v59
	v_add_co_ci_u32_e32 v62, vcc_lo, s11, v60, vcc_lo
	s_delay_alu instid0(VALU_DEP_3) | instskip(NEXT) | instid1(VALU_DEP_4)
	v_add_co_u32 v59, vcc_lo, s10, v57
	v_add_co_ci_u32_e32 v60, vcc_lo, s11, v58, vcc_lo
	v_mov_b32_e32 v155, 1
	s_clause 0x1
	global_load_b32 v63, v[61:62], off
	global_load_b32 v64, v[59:60], off
	v_mov_b32_e32 v156, 0
	s_mov_b32 s3, exec_lo
	s_waitcnt vmcnt(0)
	v_cmpx_eq_u32_e64 v63, v64
	s_cbranch_execz .LBB439_863
; %bb.857:
	v_add_co_u32 v59, vcc_lo, v59, 4
	v_add_co_ci_u32_e32 v60, vcc_lo, 0, v60, vcc_lo
	v_add_co_u32 v61, vcc_lo, v61, 4
	v_add_co_ci_u32_e32 v62, vcc_lo, 0, v62, vcc_lo
	s_add_u32 s12, s8, -1
	s_addc_u32 s13, s9, -1
	s_mov_b64 s[14:15], 0
	s_mov_b32 s18, 0
                                        ; implicit-def: $sgpr19
	s_set_inst_prefetch_distance 0x1
	s_branch .LBB439_860
	.p2align	6
.LBB439_858:                            ;   in Loop: Header=BB439_860 Depth=1
	global_load_b32 v63, v[61:62], off
	global_load_b32 v64, v[59:60], off
	v_add_co_u32 v59, vcc_lo, v59, 4
	v_add_co_ci_u32_e32 v60, vcc_lo, 0, v60, vcc_lo
	v_add_co_u32 v61, s0, v61, 4
	s_delay_alu instid0(VALU_DEP_1)
	v_add_co_ci_u32_e64 v62, s0, 0, v62, s0
	s_add_u32 s14, s14, 1
	s_addc_u32 s15, s15, 0
	s_and_not1_b32 s0, s19, exec_lo
	s_waitcnt vmcnt(0)
	v_cmp_ne_u32_e32 vcc_lo, v63, v64
	s_and_b32 s19, vcc_lo, exec_lo
	s_delay_alu instid0(SALU_CYCLE_1)
	s_or_b32 s19, s0, s19
.LBB439_859:                            ;   in Loop: Header=BB439_860 Depth=1
	v_dual_mov_b32 v64, s15 :: v_dual_mov_b32 v63, s14
	s_and_b32 s0, exec_lo, s19
	s_delay_alu instid0(SALU_CYCLE_1) | instskip(NEXT) | instid1(SALU_CYCLE_1)
	s_or_b32 s18, s0, s18
	s_and_not1_b32 exec_lo, exec_lo, s18
	s_cbranch_execz .LBB439_862
.LBB439_860:                            ; =>This Inner Loop Header: Depth=1
	s_or_b32 s19, s19, exec_lo
	s_cmp_eq_u64 s[12:13], s[14:15]
	s_cbranch_scc0 .LBB439_858
; %bb.861:                              ;   in Loop: Header=BB439_860 Depth=1
	s_mov_b64 s[14:15], s[8:9]
                                        ; implicit-def: $vgpr59_vgpr60
                                        ; implicit-def: $vgpr61_vgpr62
	s_branch .LBB439_859
.LBB439_862:
	s_set_inst_prefetch_distance 0x2
	s_or_b32 exec_lo, exec_lo, s18
	v_cmp_gt_i64_e32 vcc_lo, s[8:9], v[63:64]
	s_mov_b32 s0, 0
	s_delay_alu instid0(SALU_CYCLE_1)
	v_mov_b32_e32 v156, s0
	v_cndmask_b32_e64 v155, 0, 1, vcc_lo
.LBB439_863:
	s_or_b32 exec_lo, exec_lo, s3
.LBB439_864:
	v_mul_lo_u32 v61, v18, s8
	v_mul_lo_u32 v62, v17, s9
	v_mad_u64_u32 v[59:60], null, v17, s8, 0
	v_mov_b32_e32 v159, 0
	v_mov_b32_e32 v160, 0
	v_cmp_ne_u32_e32 vcc_lo, 1, v65
	s_delay_alu instid0(VALU_DEP_2) | instskip(SKIP_1) | instid1(VALU_DEP_1)
	v_dual_mov_b32 v157, v159 :: v_dual_mov_b32 v158, v160
	v_add3_u32 v60, v60, v62, v61
	v_lshlrev_b64 v[59:60], 2, v[59:60]
	s_cbranch_vccnz .LBB439_873
; %bb.865:
	v_add_co_u32 v61, vcc_lo, s10, v57
	v_add_co_ci_u32_e32 v62, vcc_lo, s11, v58, vcc_lo
	s_delay_alu instid0(VALU_DEP_3) | instskip(NEXT) | instid1(VALU_DEP_4)
	v_add_co_u32 v57, vcc_lo, s10, v59
	v_add_co_ci_u32_e32 v58, vcc_lo, s11, v60, vcc_lo
	v_mov_b32_e32 v157, 1
	s_clause 0x1
	global_load_b32 v63, v[61:62], off
	global_load_b32 v64, v[57:58], off
	v_mov_b32_e32 v158, 0
	s_mov_b32 s3, exec_lo
	s_waitcnt vmcnt(0)
	v_cmpx_eq_u32_e64 v63, v64
	s_cbranch_execz .LBB439_872
; %bb.866:
	v_add_co_u32 v57, vcc_lo, v57, 4
	v_add_co_ci_u32_e32 v58, vcc_lo, 0, v58, vcc_lo
	v_add_co_u32 v61, vcc_lo, v61, 4
	v_add_co_ci_u32_e32 v62, vcc_lo, 0, v62, vcc_lo
	s_add_u32 s12, s8, -1
	s_addc_u32 s13, s9, -1
	s_mov_b64 s[14:15], 0
	s_mov_b32 s18, 0
                                        ; implicit-def: $sgpr19
	s_set_inst_prefetch_distance 0x1
	s_branch .LBB439_869
	.p2align	6
.LBB439_867:                            ;   in Loop: Header=BB439_869 Depth=1
	global_load_b32 v63, v[61:62], off
	global_load_b32 v64, v[57:58], off
	v_add_co_u32 v57, vcc_lo, v57, 4
	v_add_co_ci_u32_e32 v58, vcc_lo, 0, v58, vcc_lo
	v_add_co_u32 v61, s0, v61, 4
	s_delay_alu instid0(VALU_DEP_1)
	v_add_co_ci_u32_e64 v62, s0, 0, v62, s0
	s_add_u32 s14, s14, 1
	s_addc_u32 s15, s15, 0
	s_and_not1_b32 s0, s19, exec_lo
	s_waitcnt vmcnt(0)
	v_cmp_ne_u32_e32 vcc_lo, v63, v64
	s_and_b32 s19, vcc_lo, exec_lo
	s_delay_alu instid0(SALU_CYCLE_1)
	s_or_b32 s19, s0, s19
.LBB439_868:                            ;   in Loop: Header=BB439_869 Depth=1
	v_dual_mov_b32 v64, s15 :: v_dual_mov_b32 v63, s14
	s_and_b32 s0, exec_lo, s19
	s_delay_alu instid0(SALU_CYCLE_1) | instskip(NEXT) | instid1(SALU_CYCLE_1)
	s_or_b32 s18, s0, s18
	s_and_not1_b32 exec_lo, exec_lo, s18
	s_cbranch_execz .LBB439_871
.LBB439_869:                            ; =>This Inner Loop Header: Depth=1
	s_or_b32 s19, s19, exec_lo
	s_cmp_eq_u64 s[12:13], s[14:15]
	s_cbranch_scc0 .LBB439_867
; %bb.870:                              ;   in Loop: Header=BB439_869 Depth=1
	s_mov_b64 s[14:15], s[8:9]
                                        ; implicit-def: $vgpr57_vgpr58
                                        ; implicit-def: $vgpr61_vgpr62
	s_branch .LBB439_868
.LBB439_871:
	s_set_inst_prefetch_distance 0x2
	s_or_b32 exec_lo, exec_lo, s18
	v_cmp_gt_i64_e32 vcc_lo, s[8:9], v[63:64]
	s_mov_b32 s0, 0
	s_delay_alu instid0(SALU_CYCLE_1)
	v_mov_b32_e32 v158, s0
	v_cndmask_b32_e64 v157, 0, 1, vcc_lo
.LBB439_872:
	s_or_b32 exec_lo, exec_lo, s3
.LBB439_873:
	v_mul_lo_u32 v61, v16, s8
	v_mul_lo_u32 v62, v15, s9
	v_mad_u64_u32 v[57:58], null, v15, s8, 0
	v_cmp_ne_u32_e32 vcc_lo, 1, v65
	s_delay_alu instid0(VALU_DEP_2) | instskip(NEXT) | instid1(VALU_DEP_1)
	v_add3_u32 v58, v58, v62, v61
	v_lshlrev_b64 v[57:58], 2, v[57:58]
	s_cbranch_vccnz .LBB439_882
; %bb.874:
	v_add_co_u32 v61, vcc_lo, s10, v59
	v_add_co_ci_u32_e32 v62, vcc_lo, s11, v60, vcc_lo
	s_delay_alu instid0(VALU_DEP_3) | instskip(NEXT) | instid1(VALU_DEP_4)
	v_add_co_u32 v59, vcc_lo, s10, v57
	v_add_co_ci_u32_e32 v60, vcc_lo, s11, v58, vcc_lo
	v_mov_b32_e32 v159, 1
	s_clause 0x1
	global_load_b32 v63, v[61:62], off
	global_load_b32 v64, v[59:60], off
	v_mov_b32_e32 v160, 0
	s_mov_b32 s3, exec_lo
	s_waitcnt vmcnt(0)
	v_cmpx_eq_u32_e64 v63, v64
	s_cbranch_execz .LBB439_881
; %bb.875:
	v_add_co_u32 v59, vcc_lo, v59, 4
	v_add_co_ci_u32_e32 v60, vcc_lo, 0, v60, vcc_lo
	v_add_co_u32 v61, vcc_lo, v61, 4
	v_add_co_ci_u32_e32 v62, vcc_lo, 0, v62, vcc_lo
	s_add_u32 s12, s8, -1
	s_addc_u32 s13, s9, -1
	s_mov_b64 s[14:15], 0
	s_mov_b32 s18, 0
                                        ; implicit-def: $sgpr19
	s_set_inst_prefetch_distance 0x1
	s_branch .LBB439_878
	.p2align	6
.LBB439_876:                            ;   in Loop: Header=BB439_878 Depth=1
	global_load_b32 v63, v[61:62], off
	global_load_b32 v64, v[59:60], off
	v_add_co_u32 v59, vcc_lo, v59, 4
	v_add_co_ci_u32_e32 v60, vcc_lo, 0, v60, vcc_lo
	v_add_co_u32 v61, s0, v61, 4
	s_delay_alu instid0(VALU_DEP_1)
	v_add_co_ci_u32_e64 v62, s0, 0, v62, s0
	s_add_u32 s14, s14, 1
	s_addc_u32 s15, s15, 0
	s_and_not1_b32 s0, s19, exec_lo
	s_waitcnt vmcnt(0)
	v_cmp_ne_u32_e32 vcc_lo, v63, v64
	s_and_b32 s19, vcc_lo, exec_lo
	s_delay_alu instid0(SALU_CYCLE_1)
	s_or_b32 s19, s0, s19
.LBB439_877:                            ;   in Loop: Header=BB439_878 Depth=1
	v_dual_mov_b32 v64, s15 :: v_dual_mov_b32 v63, s14
	s_and_b32 s0, exec_lo, s19
	s_delay_alu instid0(SALU_CYCLE_1) | instskip(NEXT) | instid1(SALU_CYCLE_1)
	s_or_b32 s18, s0, s18
	s_and_not1_b32 exec_lo, exec_lo, s18
	s_cbranch_execz .LBB439_880
.LBB439_878:                            ; =>This Inner Loop Header: Depth=1
	s_or_b32 s19, s19, exec_lo
	s_cmp_eq_u64 s[12:13], s[14:15]
	s_cbranch_scc0 .LBB439_876
; %bb.879:                              ;   in Loop: Header=BB439_878 Depth=1
	s_mov_b64 s[14:15], s[8:9]
                                        ; implicit-def: $vgpr59_vgpr60
                                        ; implicit-def: $vgpr61_vgpr62
	s_branch .LBB439_877
.LBB439_880:
	s_set_inst_prefetch_distance 0x2
	s_or_b32 exec_lo, exec_lo, s18
	v_cmp_gt_i64_e32 vcc_lo, s[8:9], v[63:64]
	s_mov_b32 s0, 0
	s_delay_alu instid0(SALU_CYCLE_1)
	v_mov_b32_e32 v160, s0
	v_cndmask_b32_e64 v159, 0, 1, vcc_lo
.LBB439_881:
	s_or_b32 exec_lo, exec_lo, s3
.LBB439_882:
	v_mul_lo_u32 v61, v14, s8
	v_mul_lo_u32 v62, v13, s9
	v_mad_u64_u32 v[59:60], null, v13, s8, 0
	v_mov_b32_e32 v163, 0
	v_mov_b32_e32 v164, 0
	v_cmp_ne_u32_e32 vcc_lo, 1, v65
	s_delay_alu instid0(VALU_DEP_2) | instskip(SKIP_1) | instid1(VALU_DEP_1)
	v_dual_mov_b32 v161, v163 :: v_dual_mov_b32 v162, v164
	v_add3_u32 v60, v60, v62, v61
	v_lshlrev_b64 v[59:60], 2, v[59:60]
	s_cbranch_vccnz .LBB439_891
; %bb.883:
	v_add_co_u32 v61, vcc_lo, s10, v57
	v_add_co_ci_u32_e32 v62, vcc_lo, s11, v58, vcc_lo
	s_delay_alu instid0(VALU_DEP_3) | instskip(NEXT) | instid1(VALU_DEP_4)
	v_add_co_u32 v57, vcc_lo, s10, v59
	v_add_co_ci_u32_e32 v58, vcc_lo, s11, v60, vcc_lo
	v_mov_b32_e32 v161, 1
	s_clause 0x1
	global_load_b32 v63, v[61:62], off
	global_load_b32 v64, v[57:58], off
	v_mov_b32_e32 v162, 0
	s_mov_b32 s3, exec_lo
	s_waitcnt vmcnt(0)
	v_cmpx_eq_u32_e64 v63, v64
	s_cbranch_execz .LBB439_890
; %bb.884:
	v_add_co_u32 v57, vcc_lo, v57, 4
	v_add_co_ci_u32_e32 v58, vcc_lo, 0, v58, vcc_lo
	v_add_co_u32 v61, vcc_lo, v61, 4
	v_add_co_ci_u32_e32 v62, vcc_lo, 0, v62, vcc_lo
	s_add_u32 s12, s8, -1
	s_addc_u32 s13, s9, -1
	s_mov_b64 s[14:15], 0
	s_mov_b32 s18, 0
                                        ; implicit-def: $sgpr19
	s_set_inst_prefetch_distance 0x1
	s_branch .LBB439_887
	.p2align	6
.LBB439_885:                            ;   in Loop: Header=BB439_887 Depth=1
	global_load_b32 v63, v[61:62], off
	global_load_b32 v64, v[57:58], off
	v_add_co_u32 v57, vcc_lo, v57, 4
	v_add_co_ci_u32_e32 v58, vcc_lo, 0, v58, vcc_lo
	v_add_co_u32 v61, s0, v61, 4
	s_delay_alu instid0(VALU_DEP_1)
	v_add_co_ci_u32_e64 v62, s0, 0, v62, s0
	s_add_u32 s14, s14, 1
	s_addc_u32 s15, s15, 0
	s_and_not1_b32 s0, s19, exec_lo
	s_waitcnt vmcnt(0)
	v_cmp_ne_u32_e32 vcc_lo, v63, v64
	s_and_b32 s19, vcc_lo, exec_lo
	s_delay_alu instid0(SALU_CYCLE_1)
	s_or_b32 s19, s0, s19
.LBB439_886:                            ;   in Loop: Header=BB439_887 Depth=1
	v_dual_mov_b32 v64, s15 :: v_dual_mov_b32 v63, s14
	s_and_b32 s0, exec_lo, s19
	s_delay_alu instid0(SALU_CYCLE_1) | instskip(NEXT) | instid1(SALU_CYCLE_1)
	s_or_b32 s18, s0, s18
	s_and_not1_b32 exec_lo, exec_lo, s18
	s_cbranch_execz .LBB439_889
.LBB439_887:                            ; =>This Inner Loop Header: Depth=1
	s_or_b32 s19, s19, exec_lo
	s_cmp_eq_u64 s[12:13], s[14:15]
	s_cbranch_scc0 .LBB439_885
; %bb.888:                              ;   in Loop: Header=BB439_887 Depth=1
	s_mov_b64 s[14:15], s[8:9]
                                        ; implicit-def: $vgpr57_vgpr58
                                        ; implicit-def: $vgpr61_vgpr62
	s_branch .LBB439_886
.LBB439_889:
	s_set_inst_prefetch_distance 0x2
	s_or_b32 exec_lo, exec_lo, s18
	v_cmp_gt_i64_e32 vcc_lo, s[8:9], v[63:64]
	s_mov_b32 s0, 0
	s_delay_alu instid0(SALU_CYCLE_1)
	v_mov_b32_e32 v162, s0
	v_cndmask_b32_e64 v161, 0, 1, vcc_lo
.LBB439_890:
	s_or_b32 exec_lo, exec_lo, s3
.LBB439_891:
	v_mul_lo_u32 v61, v4, s8
	v_mul_lo_u32 v62, v3, s9
	v_mad_u64_u32 v[57:58], null, v3, s8, 0
	v_cmp_ne_u32_e32 vcc_lo, 1, v65
	s_delay_alu instid0(VALU_DEP_2) | instskip(NEXT) | instid1(VALU_DEP_1)
	v_add3_u32 v58, v58, v62, v61
	v_lshlrev_b64 v[57:58], 2, v[57:58]
	s_cbranch_vccnz .LBB439_900
; %bb.892:
	v_add_co_u32 v61, vcc_lo, s10, v59
	v_add_co_ci_u32_e32 v62, vcc_lo, s11, v60, vcc_lo
	s_delay_alu instid0(VALU_DEP_3) | instskip(NEXT) | instid1(VALU_DEP_4)
	v_add_co_u32 v59, vcc_lo, s10, v57
	v_add_co_ci_u32_e32 v60, vcc_lo, s11, v58, vcc_lo
	v_mov_b32_e32 v163, 1
	s_clause 0x1
	global_load_b32 v63, v[61:62], off
	global_load_b32 v64, v[59:60], off
	v_mov_b32_e32 v164, 0
	s_mov_b32 s3, exec_lo
	s_waitcnt vmcnt(0)
	v_cmpx_eq_u32_e64 v63, v64
	s_cbranch_execz .LBB439_899
; %bb.893:
	v_add_co_u32 v59, vcc_lo, v59, 4
	v_add_co_ci_u32_e32 v60, vcc_lo, 0, v60, vcc_lo
	v_add_co_u32 v61, vcc_lo, v61, 4
	v_add_co_ci_u32_e32 v62, vcc_lo, 0, v62, vcc_lo
	s_add_u32 s12, s8, -1
	s_addc_u32 s13, s9, -1
	s_mov_b64 s[14:15], 0
	s_mov_b32 s18, 0
                                        ; implicit-def: $sgpr19
	s_set_inst_prefetch_distance 0x1
	s_branch .LBB439_896
	.p2align	6
.LBB439_894:                            ;   in Loop: Header=BB439_896 Depth=1
	global_load_b32 v63, v[61:62], off
	global_load_b32 v64, v[59:60], off
	v_add_co_u32 v59, vcc_lo, v59, 4
	v_add_co_ci_u32_e32 v60, vcc_lo, 0, v60, vcc_lo
	v_add_co_u32 v61, s0, v61, 4
	s_delay_alu instid0(VALU_DEP_1)
	v_add_co_ci_u32_e64 v62, s0, 0, v62, s0
	s_add_u32 s14, s14, 1
	s_addc_u32 s15, s15, 0
	s_and_not1_b32 s0, s19, exec_lo
	s_waitcnt vmcnt(0)
	v_cmp_ne_u32_e32 vcc_lo, v63, v64
	s_and_b32 s19, vcc_lo, exec_lo
	s_delay_alu instid0(SALU_CYCLE_1)
	s_or_b32 s19, s0, s19
.LBB439_895:                            ;   in Loop: Header=BB439_896 Depth=1
	v_dual_mov_b32 v64, s15 :: v_dual_mov_b32 v63, s14
	s_and_b32 s0, exec_lo, s19
	s_delay_alu instid0(SALU_CYCLE_1) | instskip(NEXT) | instid1(SALU_CYCLE_1)
	s_or_b32 s18, s0, s18
	s_and_not1_b32 exec_lo, exec_lo, s18
	s_cbranch_execz .LBB439_898
.LBB439_896:                            ; =>This Inner Loop Header: Depth=1
	s_or_b32 s19, s19, exec_lo
	s_cmp_eq_u64 s[12:13], s[14:15]
	s_cbranch_scc0 .LBB439_894
; %bb.897:                              ;   in Loop: Header=BB439_896 Depth=1
	s_mov_b64 s[14:15], s[8:9]
                                        ; implicit-def: $vgpr59_vgpr60
                                        ; implicit-def: $vgpr61_vgpr62
	s_branch .LBB439_895
.LBB439_898:
	s_set_inst_prefetch_distance 0x2
	s_or_b32 exec_lo, exec_lo, s18
	v_cmp_gt_i64_e32 vcc_lo, s[8:9], v[63:64]
	s_mov_b32 s0, 0
	s_delay_alu instid0(SALU_CYCLE_1)
	v_mov_b32_e32 v164, s0
	v_cndmask_b32_e64 v163, 0, 1, vcc_lo
.LBB439_899:
	s_or_b32 exec_lo, exec_lo, s3
.LBB439_900:
	v_cmp_ne_u32_e32 vcc_lo, 1, v65
	s_cbranch_vccnz .LBB439_907
; %bb.901:
	v_mul_lo_u32 v61, v2, s8
	v_mul_lo_u32 v62, v1, s9
	v_mad_u64_u32 v[59:60], null, v1, s8, 0
	v_mov_b32_e32 v165, 1
	v_mov_b32_e32 v166, 0
	s_mov_b32 s3, exec_lo
	s_delay_alu instid0(VALU_DEP_3) | instskip(NEXT) | instid1(VALU_DEP_1)
	v_add3_u32 v60, v60, v62, v61
	v_lshlrev_b64 v[61:62], 2, v[59:60]
	v_add_co_u32 v59, vcc_lo, s10, v57
	v_add_co_ci_u32_e32 v60, vcc_lo, s11, v58, vcc_lo
	s_delay_alu instid0(VALU_DEP_3) | instskip(NEXT) | instid1(VALU_DEP_4)
	v_add_co_u32 v57, vcc_lo, s10, v61
	v_add_co_ci_u32_e32 v58, vcc_lo, s11, v62, vcc_lo
	s_clause 0x1
	global_load_b32 v61, v[59:60], off
	global_load_b32 v62, v[57:58], off
	s_waitcnt vmcnt(0)
	v_cmpx_eq_u32_e64 v61, v62
	s_cbranch_execz .LBB439_909
; %bb.902:
	v_add_co_u32 v57, vcc_lo, v57, 4
	v_add_co_ci_u32_e32 v58, vcc_lo, 0, v58, vcc_lo
	v_add_co_u32 v59, vcc_lo, v59, 4
	v_add_co_ci_u32_e32 v60, vcc_lo, 0, v60, vcc_lo
	s_add_u32 s12, s8, -1
	s_addc_u32 s13, s9, -1
	s_mov_b64 s[14:15], 0
	s_mov_b32 s18, 0
                                        ; implicit-def: $sgpr19
	s_set_inst_prefetch_distance 0x1
	s_branch .LBB439_905
	.p2align	6
.LBB439_903:                            ;   in Loop: Header=BB439_905 Depth=1
	global_load_b32 v61, v[59:60], off
	global_load_b32 v62, v[57:58], off
	v_add_co_u32 v57, vcc_lo, v57, 4
	v_add_co_ci_u32_e32 v58, vcc_lo, 0, v58, vcc_lo
	v_add_co_u32 v59, s0, v59, 4
	s_delay_alu instid0(VALU_DEP_1)
	v_add_co_ci_u32_e64 v60, s0, 0, v60, s0
	s_add_u32 s14, s14, 1
	s_addc_u32 s15, s15, 0
	s_and_not1_b32 s0, s19, exec_lo
	s_waitcnt vmcnt(0)
	v_cmp_ne_u32_e32 vcc_lo, v61, v62
	s_and_b32 s19, vcc_lo, exec_lo
	s_delay_alu instid0(SALU_CYCLE_1)
	s_or_b32 s19, s0, s19
.LBB439_904:                            ;   in Loop: Header=BB439_905 Depth=1
	v_dual_mov_b32 v62, s15 :: v_dual_mov_b32 v61, s14
	s_and_b32 s0, exec_lo, s19
	s_delay_alu instid0(SALU_CYCLE_1) | instskip(NEXT) | instid1(SALU_CYCLE_1)
	s_or_b32 s18, s0, s18
	s_and_not1_b32 exec_lo, exec_lo, s18
	s_cbranch_execz .LBB439_908
.LBB439_905:                            ; =>This Inner Loop Header: Depth=1
	s_or_b32 s19, s19, exec_lo
	s_cmp_eq_u64 s[12:13], s[14:15]
	s_cbranch_scc0 .LBB439_903
; %bb.906:                              ;   in Loop: Header=BB439_905 Depth=1
	s_mov_b64 s[14:15], s[8:9]
                                        ; implicit-def: $vgpr57_vgpr58
                                        ; implicit-def: $vgpr59_vgpr60
	s_branch .LBB439_904
.LBB439_907:
	v_mov_b32_e32 v165, 0
	v_mov_b32_e32 v166, 0
	s_branch .LBB439_910
.LBB439_908:
	s_set_inst_prefetch_distance 0x2
	s_or_b32 exec_lo, exec_lo, s18
	v_cmp_gt_i64_e32 vcc_lo, s[8:9], v[61:62]
	s_mov_b32 s0, 0
	s_delay_alu instid0(SALU_CYCLE_1)
	v_mov_b32_e32 v166, s0
	v_cndmask_b32_e64 v165, 0, 1, vcc_lo
.LBB439_909:
	s_or_b32 exec_lo, exec_lo, s3
.LBB439_910:
	s_mov_b32 s3, 0
	s_mov_b32 s18, exec_lo
	s_waitcnt lgkmcnt(0)
	s_barrier
	buffer_gl0_inv
                                        ; implicit-def: $sgpr0
	v_cmpx_ne_u32_e32 0, v0
	s_cbranch_execz .LBB439_922
; %bb.911:
	v_cmp_ne_u32_e32 vcc_lo, 1, v65
	s_cbranch_vccnz .LBB439_918
; %bb.912:
	v_add_nc_u32_e32 v57, -8, v195
	v_mul_lo_u32 v63, v2, s8
	v_mul_lo_u32 v64, v1, s9
	v_mad_u64_u32 v[59:60], null, v1, s8, 0
	ds_load_b64 v[57:58], v57
	s_mov_b32 s0, -1
	s_mov_b32 s19, exec_lo
	v_add3_u32 v60, v60, v64, v63
	s_waitcnt lgkmcnt(0)
	v_mul_lo_u32 v58, v58, s8
	v_mul_lo_u32 v65, v57, s9
	v_mad_u64_u32 v[61:62], null, v57, s8, 0
	s_delay_alu instid0(VALU_DEP_1) | instskip(SKIP_1) | instid1(VALU_DEP_2)
	v_add3_u32 v62, v62, v65, v58
	v_lshlrev_b64 v[57:58], 2, v[59:60]
	v_lshlrev_b64 v[61:62], 2, v[61:62]
	s_delay_alu instid0(VALU_DEP_2) | instskip(NEXT) | instid1(VALU_DEP_3)
	v_add_co_u32 v59, vcc_lo, s10, v57
	v_add_co_ci_u32_e32 v60, vcc_lo, s11, v58, vcc_lo
	s_delay_alu instid0(VALU_DEP_3) | instskip(NEXT) | instid1(VALU_DEP_4)
	v_add_co_u32 v57, vcc_lo, s10, v61
	v_add_co_ci_u32_e32 v58, vcc_lo, s11, v62, vcc_lo
	s_clause 0x1
	global_load_b32 v61, v[59:60], off
	global_load_b32 v62, v[57:58], off
	s_waitcnt vmcnt(0)
	v_cmpx_eq_u32_e64 v61, v62
	s_cbranch_execz .LBB439_920
; %bb.913:
	v_add_co_u32 v57, vcc_lo, v57, 4
	v_add_co_ci_u32_e32 v58, vcc_lo, 0, v58, vcc_lo
	v_add_co_u32 v59, vcc_lo, v59, 4
	v_add_co_ci_u32_e32 v60, vcc_lo, 0, v60, vcc_lo
	s_add_u32 s12, s8, -1
	s_addc_u32 s13, s9, -1
	s_mov_b64 s[14:15], 0
	s_mov_b32 s20, 0
                                        ; implicit-def: $sgpr21
	s_set_inst_prefetch_distance 0x1
	s_branch .LBB439_916
	.p2align	6
.LBB439_914:                            ;   in Loop: Header=BB439_916 Depth=1
	global_load_b32 v61, v[59:60], off
	global_load_b32 v62, v[57:58], off
	v_add_co_u32 v57, vcc_lo, v57, 4
	v_add_co_ci_u32_e32 v58, vcc_lo, 0, v58, vcc_lo
	v_add_co_u32 v59, s0, v59, 4
	s_delay_alu instid0(VALU_DEP_1)
	v_add_co_ci_u32_e64 v60, s0, 0, v60, s0
	s_add_u32 s14, s14, 1
	s_addc_u32 s15, s15, 0
	s_and_not1_b32 s0, s21, exec_lo
	s_waitcnt vmcnt(0)
	v_cmp_ne_u32_e32 vcc_lo, v61, v62
	s_and_b32 s21, vcc_lo, exec_lo
	s_delay_alu instid0(SALU_CYCLE_1)
	s_or_b32 s21, s0, s21
.LBB439_915:                            ;   in Loop: Header=BB439_916 Depth=1
	v_dual_mov_b32 v62, s15 :: v_dual_mov_b32 v61, s14
	s_and_b32 s0, exec_lo, s21
	s_delay_alu instid0(SALU_CYCLE_1) | instskip(NEXT) | instid1(SALU_CYCLE_1)
	s_or_b32 s20, s0, s20
	s_and_not1_b32 exec_lo, exec_lo, s20
	s_cbranch_execz .LBB439_919
.LBB439_916:                            ; =>This Inner Loop Header: Depth=1
	s_or_b32 s21, s21, exec_lo
	s_cmp_eq_u64 s[12:13], s[14:15]
	s_cbranch_scc0 .LBB439_914
; %bb.917:                              ;   in Loop: Header=BB439_916 Depth=1
	s_mov_b64 s[14:15], s[8:9]
                                        ; implicit-def: $vgpr57_vgpr58
                                        ; implicit-def: $vgpr59_vgpr60
	s_branch .LBB439_915
.LBB439_918:
	s_mov_b32 s0, 0
	s_branch .LBB439_921
.LBB439_919:
	s_set_inst_prefetch_distance 0x2
	s_or_b32 exec_lo, exec_lo, s20
	v_cmp_gt_i64_e32 vcc_lo, s[8:9], v[61:62]
	s_or_not1_b32 s0, vcc_lo, exec_lo
.LBB439_920:
	s_or_b32 exec_lo, exec_lo, s19
.LBB439_921:
	s_delay_alu instid0(SALU_CYCLE_1)
	s_and_b32 s0, s0, exec_lo
	s_or_b32 s1, s1, exec_lo
.LBB439_922:
	s_or_b32 exec_lo, exec_lo, s18
	v_dual_mov_b32 v182, v166 :: v_dual_mov_b32 v181, v165
	v_dual_mov_b32 v168, v164 :: v_dual_mov_b32 v167, v163
	;; [unrolled: 1-line block ×27, first 2 shown]
	s_and_b32 vcc_lo, exec_lo, s3
	s_cbranch_vccz .LBB439_1243
.LBB439_923:
	v_cmp_gt_i64_e64 s0, s[8:9], 0
	s_waitcnt lgkmcnt(0)
	v_mad_u32_u24 v57, v0, 29, 28
	v_mul_u32_u24_e32 v64, 29, v0
	s_mov_b32 s3, exec_lo
	ds_store_b64 v195, v[109:110]
	v_cndmask_b32_e64 v63, 0, 1, s0
	v_cmpx_gt_u32_e64 s6, v57
	s_cbranch_execz .LBB439_934
; %bb.924:
	s_and_not1_b32 vcc_lo, exec_lo, s0
	s_cbranch_vccnz .LBB439_931
; %bb.925:
	v_mul_lo_u32 v61, v110, s8
	v_mul_lo_u32 v62, v109, s9
	v_mad_u64_u32 v[57:58], null, v109, s8, 0
	v_mul_lo_u32 v65, v8, s8
	v_mul_lo_u32 v66, v7, s9
	v_mad_u64_u32 v[59:60], null, v7, s8, 0
	v_mov_b32_e32 v109, 1
	v_mov_b32_e32 v110, 0
	v_add3_u32 v58, v58, v62, v61
	s_mov_b32 s18, exec_lo
	s_delay_alu instid0(VALU_DEP_4) | instskip(NEXT) | instid1(VALU_DEP_2)
	v_add3_u32 v60, v60, v66, v65
	v_lshlrev_b64 v[57:58], 2, v[57:58]
	s_delay_alu instid0(VALU_DEP_2) | instskip(NEXT) | instid1(VALU_DEP_2)
	v_lshlrev_b64 v[61:62], 2, v[59:60]
	v_add_co_u32 v59, vcc_lo, s10, v57
	s_delay_alu instid0(VALU_DEP_3) | instskip(NEXT) | instid1(VALU_DEP_3)
	v_add_co_ci_u32_e32 v60, vcc_lo, s11, v58, vcc_lo
	v_add_co_u32 v57, vcc_lo, s10, v61
	s_delay_alu instid0(VALU_DEP_4)
	v_add_co_ci_u32_e32 v58, vcc_lo, s11, v62, vcc_lo
	s_clause 0x1
	global_load_b32 v61, v[59:60], off
	global_load_b32 v62, v[57:58], off
	s_waitcnt vmcnt(0)
	v_cmpx_eq_u32_e64 v61, v62
	s_cbranch_execz .LBB439_933
; %bb.926:
	v_add_co_u32 v57, vcc_lo, v57, 4
	v_add_co_ci_u32_e32 v58, vcc_lo, 0, v58, vcc_lo
	v_add_co_u32 v59, vcc_lo, v59, 4
	v_add_co_ci_u32_e32 v60, vcc_lo, 0, v60, vcc_lo
	s_add_u32 s12, s8, -1
	s_addc_u32 s13, s9, -1
	s_mov_b64 s[14:15], 0
	s_mov_b32 s19, 0
                                        ; implicit-def: $sgpr20
	s_set_inst_prefetch_distance 0x1
	s_branch .LBB439_929
	.p2align	6
.LBB439_927:                            ;   in Loop: Header=BB439_929 Depth=1
	global_load_b32 v61, v[59:60], off
	global_load_b32 v62, v[57:58], off
	v_add_co_u32 v57, vcc_lo, v57, 4
	v_add_co_ci_u32_e32 v58, vcc_lo, 0, v58, vcc_lo
	v_add_co_u32 v59, s0, v59, 4
	s_delay_alu instid0(VALU_DEP_1)
	v_add_co_ci_u32_e64 v60, s0, 0, v60, s0
	s_add_u32 s14, s14, 1
	s_addc_u32 s15, s15, 0
	s_and_not1_b32 s0, s20, exec_lo
	s_waitcnt vmcnt(0)
	v_cmp_ne_u32_e32 vcc_lo, v61, v62
	s_and_b32 s20, vcc_lo, exec_lo
	s_delay_alu instid0(SALU_CYCLE_1)
	s_or_b32 s20, s0, s20
.LBB439_928:                            ;   in Loop: Header=BB439_929 Depth=1
	v_dual_mov_b32 v62, s15 :: v_dual_mov_b32 v61, s14
	s_and_b32 s0, exec_lo, s20
	s_delay_alu instid0(SALU_CYCLE_1) | instskip(NEXT) | instid1(SALU_CYCLE_1)
	s_or_b32 s19, s0, s19
	s_and_not1_b32 exec_lo, exec_lo, s19
	s_cbranch_execz .LBB439_932
.LBB439_929:                            ; =>This Inner Loop Header: Depth=1
	s_or_b32 s20, s20, exec_lo
	s_cmp_eq_u64 s[12:13], s[14:15]
	s_cbranch_scc0 .LBB439_927
; %bb.930:                              ;   in Loop: Header=BB439_929 Depth=1
	s_mov_b64 s[14:15], s[8:9]
                                        ; implicit-def: $vgpr57_vgpr58
                                        ; implicit-def: $vgpr59_vgpr60
	s_branch .LBB439_928
.LBB439_931:
	v_mov_b32_e32 v109, 0
	v_mov_b32_e32 v110, 0
	s_branch .LBB439_934
.LBB439_932:
	s_set_inst_prefetch_distance 0x2
	s_or_b32 exec_lo, exec_lo, s19
	v_cmp_gt_i64_e32 vcc_lo, s[8:9], v[61:62]
	s_mov_b32 s0, 0
	s_delay_alu instid0(SALU_CYCLE_1)
	v_mov_b32_e32 v110, s0
	v_cndmask_b32_e64 v109, 0, 1, vcc_lo
.LBB439_933:
	s_or_b32 exec_lo, exec_lo, s18
.LBB439_934:
	s_delay_alu instid0(SALU_CYCLE_1) | instskip(SKIP_2) | instid1(VALU_DEP_1)
	s_or_b32 exec_lo, exec_lo, s3
	v_add_nc_u32_e32 v57, 27, v64
	s_mov_b32 s3, exec_lo
	v_cmpx_gt_u32_e64 s6, v57
	s_cbranch_execz .LBB439_945
; %bb.935:
	v_cmp_ne_u32_e32 vcc_lo, 1, v63
	s_cbranch_vccnz .LBB439_942
; %bb.936:
	v_mul_lo_u32 v59, v8, s8
	v_mul_lo_u32 v60, v7, s9
	v_mad_u64_u32 v[57:58], null, v7, s8, 0
	v_mul_lo_u32 v61, v6, s8
	v_mul_lo_u32 v62, v5, s9
	v_mad_u64_u32 v[7:8], null, v5, s8, 0
	s_mov_b32 s18, exec_lo
	s_delay_alu instid0(VALU_DEP_4) | instskip(NEXT) | instid1(VALU_DEP_2)
	v_add3_u32 v58, v58, v60, v59
	v_add3_u32 v8, v8, v62, v61
	s_delay_alu instid0(VALU_DEP_2) | instskip(NEXT) | instid1(VALU_DEP_2)
	v_lshlrev_b64 v[57:58], 2, v[57:58]
	v_lshlrev_b64 v[7:8], 2, v[7:8]
	s_delay_alu instid0(VALU_DEP_2) | instskip(NEXT) | instid1(VALU_DEP_3)
	v_add_co_u32 v57, vcc_lo, s10, v57
	v_add_co_ci_u32_e32 v58, vcc_lo, s11, v58, vcc_lo
	s_delay_alu instid0(VALU_DEP_3) | instskip(NEXT) | instid1(VALU_DEP_4)
	v_add_co_u32 v59, vcc_lo, s10, v7
	v_add_co_ci_u32_e32 v60, vcc_lo, s11, v8, vcc_lo
	s_clause 0x1
	global_load_b32 v61, v[57:58], off
	global_load_b32 v62, v[59:60], off
	v_mov_b32_e32 v7, 1
	v_mov_b32_e32 v8, 0
	s_waitcnt vmcnt(0)
	v_cmpx_eq_u32_e64 v61, v62
	s_cbranch_execz .LBB439_944
; %bb.937:
	v_add_co_u32 v7, vcc_lo, v59, 4
	v_add_co_ci_u32_e32 v8, vcc_lo, 0, v60, vcc_lo
	v_add_co_u32 v57, vcc_lo, v57, 4
	v_add_co_ci_u32_e32 v58, vcc_lo, 0, v58, vcc_lo
	s_add_u32 s12, s8, -1
	s_addc_u32 s13, s9, -1
	s_mov_b64 s[14:15], 0
	s_mov_b32 s19, 0
                                        ; implicit-def: $sgpr20
	s_set_inst_prefetch_distance 0x1
	s_branch .LBB439_940
	.p2align	6
.LBB439_938:                            ;   in Loop: Header=BB439_940 Depth=1
	global_load_b32 v59, v[57:58], off
	global_load_b32 v60, v[7:8], off
	v_add_co_u32 v7, vcc_lo, v7, 4
	v_add_co_ci_u32_e32 v8, vcc_lo, 0, v8, vcc_lo
	v_add_co_u32 v57, s0, v57, 4
	s_delay_alu instid0(VALU_DEP_1)
	v_add_co_ci_u32_e64 v58, s0, 0, v58, s0
	s_add_u32 s14, s14, 1
	s_addc_u32 s15, s15, 0
	s_and_not1_b32 s0, s20, exec_lo
	s_waitcnt vmcnt(0)
	v_cmp_ne_u32_e32 vcc_lo, v59, v60
	s_and_b32 s20, vcc_lo, exec_lo
	s_delay_alu instid0(SALU_CYCLE_1)
	s_or_b32 s20, s0, s20
.LBB439_939:                            ;   in Loop: Header=BB439_940 Depth=1
	v_dual_mov_b32 v60, s15 :: v_dual_mov_b32 v59, s14
	s_and_b32 s0, exec_lo, s20
	s_delay_alu instid0(SALU_CYCLE_1) | instskip(NEXT) | instid1(SALU_CYCLE_1)
	s_or_b32 s19, s0, s19
	s_and_not1_b32 exec_lo, exec_lo, s19
	s_cbranch_execz .LBB439_943
.LBB439_940:                            ; =>This Inner Loop Header: Depth=1
	s_or_b32 s20, s20, exec_lo
	s_cmp_eq_u64 s[12:13], s[14:15]
	s_cbranch_scc0 .LBB439_938
; %bb.941:                              ;   in Loop: Header=BB439_940 Depth=1
	s_mov_b64 s[14:15], s[8:9]
                                        ; implicit-def: $vgpr7_vgpr8
                                        ; implicit-def: $vgpr57_vgpr58
	s_branch .LBB439_939
.LBB439_942:
	v_mov_b32_e32 v7, 0
	v_mov_b32_e32 v8, 0
	s_branch .LBB439_945
.LBB439_943:
	s_set_inst_prefetch_distance 0x2
	s_or_b32 exec_lo, exec_lo, s19
	v_cmp_gt_i64_e32 vcc_lo, s[8:9], v[59:60]
	s_mov_b32 s0, 0
	s_delay_alu instid0(SALU_CYCLE_1)
	v_mov_b32_e32 v8, s0
	v_cndmask_b32_e64 v7, 0, 1, vcc_lo
.LBB439_944:
	s_or_b32 exec_lo, exec_lo, s18
.LBB439_945:
	s_delay_alu instid0(SALU_CYCLE_1) | instskip(SKIP_2) | instid1(VALU_DEP_1)
	s_or_b32 exec_lo, exec_lo, s3
	v_add_nc_u32_e32 v57, 26, v64
	s_mov_b32 s3, exec_lo
	v_cmpx_gt_u32_e64 s6, v57
	s_cbranch_execz .LBB439_956
; %bb.946:
	v_cmp_ne_u32_e32 vcc_lo, 1, v63
	s_cbranch_vccnz .LBB439_953
; %bb.947:
	v_mul_lo_u32 v59, v6, s8
	v_mul_lo_u32 v60, v5, s9
	v_mad_u64_u32 v[57:58], null, v5, s8, 0
	v_mul_lo_u32 v61, v12, s8
	v_mul_lo_u32 v62, v11, s9
	v_mad_u64_u32 v[5:6], null, v11, s8, 0
	s_mov_b32 s18, exec_lo
	s_delay_alu instid0(VALU_DEP_4) | instskip(NEXT) | instid1(VALU_DEP_2)
	v_add3_u32 v58, v58, v60, v59
	v_add3_u32 v6, v6, v62, v61
	s_delay_alu instid0(VALU_DEP_2) | instskip(NEXT) | instid1(VALU_DEP_2)
	v_lshlrev_b64 v[57:58], 2, v[57:58]
	v_lshlrev_b64 v[5:6], 2, v[5:6]
	s_delay_alu instid0(VALU_DEP_2) | instskip(NEXT) | instid1(VALU_DEP_3)
	v_add_co_u32 v57, vcc_lo, s10, v57
	v_add_co_ci_u32_e32 v58, vcc_lo, s11, v58, vcc_lo
	s_delay_alu instid0(VALU_DEP_3) | instskip(NEXT) | instid1(VALU_DEP_4)
	v_add_co_u32 v59, vcc_lo, s10, v5
	v_add_co_ci_u32_e32 v60, vcc_lo, s11, v6, vcc_lo
	s_clause 0x1
	global_load_b32 v61, v[57:58], off
	global_load_b32 v62, v[59:60], off
	v_mov_b32_e32 v5, 1
	v_mov_b32_e32 v6, 0
	s_waitcnt vmcnt(0)
	v_cmpx_eq_u32_e64 v61, v62
	s_cbranch_execz .LBB439_955
; %bb.948:
	v_add_co_u32 v5, vcc_lo, v59, 4
	v_add_co_ci_u32_e32 v6, vcc_lo, 0, v60, vcc_lo
	v_add_co_u32 v57, vcc_lo, v57, 4
	v_add_co_ci_u32_e32 v58, vcc_lo, 0, v58, vcc_lo
	s_add_u32 s12, s8, -1
	s_addc_u32 s13, s9, -1
	s_mov_b64 s[14:15], 0
	s_mov_b32 s19, 0
                                        ; implicit-def: $sgpr20
	s_set_inst_prefetch_distance 0x1
	s_branch .LBB439_951
	.p2align	6
.LBB439_949:                            ;   in Loop: Header=BB439_951 Depth=1
	global_load_b32 v59, v[57:58], off
	global_load_b32 v60, v[5:6], off
	v_add_co_u32 v5, vcc_lo, v5, 4
	v_add_co_ci_u32_e32 v6, vcc_lo, 0, v6, vcc_lo
	v_add_co_u32 v57, s0, v57, 4
	s_delay_alu instid0(VALU_DEP_1)
	v_add_co_ci_u32_e64 v58, s0, 0, v58, s0
	s_add_u32 s14, s14, 1
	s_addc_u32 s15, s15, 0
	s_and_not1_b32 s0, s20, exec_lo
	s_waitcnt vmcnt(0)
	v_cmp_ne_u32_e32 vcc_lo, v59, v60
	s_and_b32 s20, vcc_lo, exec_lo
	s_delay_alu instid0(SALU_CYCLE_1)
	s_or_b32 s20, s0, s20
.LBB439_950:                            ;   in Loop: Header=BB439_951 Depth=1
	v_dual_mov_b32 v60, s15 :: v_dual_mov_b32 v59, s14
	s_and_b32 s0, exec_lo, s20
	s_delay_alu instid0(SALU_CYCLE_1) | instskip(NEXT) | instid1(SALU_CYCLE_1)
	s_or_b32 s19, s0, s19
	s_and_not1_b32 exec_lo, exec_lo, s19
	s_cbranch_execz .LBB439_954
.LBB439_951:                            ; =>This Inner Loop Header: Depth=1
	s_or_b32 s20, s20, exec_lo
	s_cmp_eq_u64 s[12:13], s[14:15]
	s_cbranch_scc0 .LBB439_949
; %bb.952:                              ;   in Loop: Header=BB439_951 Depth=1
	s_mov_b64 s[14:15], s[8:9]
                                        ; implicit-def: $vgpr5_vgpr6
                                        ; implicit-def: $vgpr57_vgpr58
	s_branch .LBB439_950
.LBB439_953:
	v_mov_b32_e32 v5, 0
	v_mov_b32_e32 v6, 0
	s_branch .LBB439_956
.LBB439_954:
	s_set_inst_prefetch_distance 0x2
	s_or_b32 exec_lo, exec_lo, s19
	v_cmp_gt_i64_e32 vcc_lo, s[8:9], v[59:60]
	s_mov_b32 s0, 0
	s_delay_alu instid0(SALU_CYCLE_1)
	v_mov_b32_e32 v6, s0
	v_cndmask_b32_e64 v5, 0, 1, vcc_lo
.LBB439_955:
	s_or_b32 exec_lo, exec_lo, s18
.LBB439_956:
	s_delay_alu instid0(SALU_CYCLE_1) | instskip(SKIP_2) | instid1(VALU_DEP_1)
	s_or_b32 exec_lo, exec_lo, s3
	v_add_nc_u32_e32 v57, 25, v64
	s_mov_b32 s3, exec_lo
	v_cmpx_gt_u32_e64 s6, v57
	s_cbranch_execz .LBB439_967
; %bb.957:
	v_cmp_ne_u32_e32 vcc_lo, 1, v63
	s_cbranch_vccnz .LBB439_964
; %bb.958:
	v_mul_lo_u32 v59, v12, s8
	v_mul_lo_u32 v60, v11, s9
	v_mad_u64_u32 v[57:58], null, v11, s8, 0
	v_mul_lo_u32 v61, v10, s8
	v_mul_lo_u32 v62, v9, s9
	v_mad_u64_u32 v[11:12], null, v9, s8, 0
	s_mov_b32 s18, exec_lo
	s_delay_alu instid0(VALU_DEP_4) | instskip(NEXT) | instid1(VALU_DEP_2)
	v_add3_u32 v58, v58, v60, v59
	v_add3_u32 v12, v12, v62, v61
	s_delay_alu instid0(VALU_DEP_2) | instskip(NEXT) | instid1(VALU_DEP_2)
	v_lshlrev_b64 v[57:58], 2, v[57:58]
	v_lshlrev_b64 v[11:12], 2, v[11:12]
	s_delay_alu instid0(VALU_DEP_2) | instskip(NEXT) | instid1(VALU_DEP_3)
	v_add_co_u32 v57, vcc_lo, s10, v57
	v_add_co_ci_u32_e32 v58, vcc_lo, s11, v58, vcc_lo
	s_delay_alu instid0(VALU_DEP_3) | instskip(NEXT) | instid1(VALU_DEP_4)
	v_add_co_u32 v59, vcc_lo, s10, v11
	v_add_co_ci_u32_e32 v60, vcc_lo, s11, v12, vcc_lo
	s_clause 0x1
	global_load_b32 v61, v[57:58], off
	global_load_b32 v62, v[59:60], off
	v_mov_b32_e32 v11, 1
	v_mov_b32_e32 v12, 0
	s_waitcnt vmcnt(0)
	v_cmpx_eq_u32_e64 v61, v62
	s_cbranch_execz .LBB439_966
; %bb.959:
	v_add_co_u32 v11, vcc_lo, v59, 4
	v_add_co_ci_u32_e32 v12, vcc_lo, 0, v60, vcc_lo
	v_add_co_u32 v57, vcc_lo, v57, 4
	v_add_co_ci_u32_e32 v58, vcc_lo, 0, v58, vcc_lo
	s_add_u32 s12, s8, -1
	s_addc_u32 s13, s9, -1
	s_mov_b64 s[14:15], 0
	s_mov_b32 s19, 0
                                        ; implicit-def: $sgpr20
	s_set_inst_prefetch_distance 0x1
	s_branch .LBB439_962
	.p2align	6
.LBB439_960:                            ;   in Loop: Header=BB439_962 Depth=1
	global_load_b32 v59, v[57:58], off
	global_load_b32 v60, v[11:12], off
	v_add_co_u32 v11, vcc_lo, v11, 4
	v_add_co_ci_u32_e32 v12, vcc_lo, 0, v12, vcc_lo
	v_add_co_u32 v57, s0, v57, 4
	s_delay_alu instid0(VALU_DEP_1)
	v_add_co_ci_u32_e64 v58, s0, 0, v58, s0
	s_add_u32 s14, s14, 1
	s_addc_u32 s15, s15, 0
	s_and_not1_b32 s0, s20, exec_lo
	s_waitcnt vmcnt(0)
	v_cmp_ne_u32_e32 vcc_lo, v59, v60
	s_and_b32 s20, vcc_lo, exec_lo
	s_delay_alu instid0(SALU_CYCLE_1)
	s_or_b32 s20, s0, s20
.LBB439_961:                            ;   in Loop: Header=BB439_962 Depth=1
	v_dual_mov_b32 v60, s15 :: v_dual_mov_b32 v59, s14
	s_and_b32 s0, exec_lo, s20
	s_delay_alu instid0(SALU_CYCLE_1) | instskip(NEXT) | instid1(SALU_CYCLE_1)
	s_or_b32 s19, s0, s19
	s_and_not1_b32 exec_lo, exec_lo, s19
	s_cbranch_execz .LBB439_965
.LBB439_962:                            ; =>This Inner Loop Header: Depth=1
	s_or_b32 s20, s20, exec_lo
	s_cmp_eq_u64 s[12:13], s[14:15]
	s_cbranch_scc0 .LBB439_960
; %bb.963:                              ;   in Loop: Header=BB439_962 Depth=1
	s_mov_b64 s[14:15], s[8:9]
                                        ; implicit-def: $vgpr11_vgpr12
                                        ; implicit-def: $vgpr57_vgpr58
	s_branch .LBB439_961
.LBB439_964:
	v_mov_b32_e32 v11, 0
	v_mov_b32_e32 v12, 0
	s_branch .LBB439_967
.LBB439_965:
	s_set_inst_prefetch_distance 0x2
	s_or_b32 exec_lo, exec_lo, s19
	v_cmp_gt_i64_e32 vcc_lo, s[8:9], v[59:60]
	s_mov_b32 s0, 0
	s_delay_alu instid0(SALU_CYCLE_1)
	v_mov_b32_e32 v12, s0
	v_cndmask_b32_e64 v11, 0, 1, vcc_lo
.LBB439_966:
	s_or_b32 exec_lo, exec_lo, s18
.LBB439_967:
	s_delay_alu instid0(SALU_CYCLE_1) | instskip(SKIP_2) | instid1(VALU_DEP_1)
	s_or_b32 exec_lo, exec_lo, s3
	v_add_nc_u32_e32 v57, 24, v64
	s_mov_b32 s3, exec_lo
	v_cmpx_gt_u32_e64 s6, v57
	s_cbranch_execz .LBB439_978
; %bb.968:
	v_cmp_ne_u32_e32 vcc_lo, 1, v63
	s_cbranch_vccnz .LBB439_975
; %bb.969:
	v_mul_lo_u32 v59, v10, s8
	v_mul_lo_u32 v60, v9, s9
	v_mad_u64_u32 v[57:58], null, v9, s8, 0
	v_mul_lo_u32 v61, v56, s8
	v_mul_lo_u32 v62, v55, s9
	v_mad_u64_u32 v[9:10], null, v55, s8, 0
	s_mov_b32 s18, exec_lo
	s_delay_alu instid0(VALU_DEP_4) | instskip(NEXT) | instid1(VALU_DEP_2)
	v_add3_u32 v58, v58, v60, v59
	v_add3_u32 v10, v10, v62, v61
	s_delay_alu instid0(VALU_DEP_2) | instskip(NEXT) | instid1(VALU_DEP_2)
	v_lshlrev_b64 v[57:58], 2, v[57:58]
	v_lshlrev_b64 v[9:10], 2, v[9:10]
	s_delay_alu instid0(VALU_DEP_2) | instskip(NEXT) | instid1(VALU_DEP_3)
	v_add_co_u32 v57, vcc_lo, s10, v57
	v_add_co_ci_u32_e32 v58, vcc_lo, s11, v58, vcc_lo
	s_delay_alu instid0(VALU_DEP_3) | instskip(NEXT) | instid1(VALU_DEP_4)
	v_add_co_u32 v59, vcc_lo, s10, v9
	v_add_co_ci_u32_e32 v60, vcc_lo, s11, v10, vcc_lo
	s_clause 0x1
	global_load_b32 v61, v[57:58], off
	global_load_b32 v62, v[59:60], off
	v_mov_b32_e32 v9, 1
	v_mov_b32_e32 v10, 0
	s_waitcnt vmcnt(0)
	v_cmpx_eq_u32_e64 v61, v62
	s_cbranch_execz .LBB439_977
; %bb.970:
	v_add_co_u32 v9, vcc_lo, v59, 4
	v_add_co_ci_u32_e32 v10, vcc_lo, 0, v60, vcc_lo
	v_add_co_u32 v57, vcc_lo, v57, 4
	v_add_co_ci_u32_e32 v58, vcc_lo, 0, v58, vcc_lo
	s_add_u32 s12, s8, -1
	s_addc_u32 s13, s9, -1
	s_mov_b64 s[14:15], 0
	s_mov_b32 s19, 0
                                        ; implicit-def: $sgpr20
	s_set_inst_prefetch_distance 0x1
	s_branch .LBB439_973
	.p2align	6
.LBB439_971:                            ;   in Loop: Header=BB439_973 Depth=1
	global_load_b32 v59, v[57:58], off
	global_load_b32 v60, v[9:10], off
	v_add_co_u32 v9, vcc_lo, v9, 4
	v_add_co_ci_u32_e32 v10, vcc_lo, 0, v10, vcc_lo
	v_add_co_u32 v57, s0, v57, 4
	s_delay_alu instid0(VALU_DEP_1)
	v_add_co_ci_u32_e64 v58, s0, 0, v58, s0
	s_add_u32 s14, s14, 1
	s_addc_u32 s15, s15, 0
	s_and_not1_b32 s0, s20, exec_lo
	s_waitcnt vmcnt(0)
	v_cmp_ne_u32_e32 vcc_lo, v59, v60
	s_and_b32 s20, vcc_lo, exec_lo
	s_delay_alu instid0(SALU_CYCLE_1)
	s_or_b32 s20, s0, s20
.LBB439_972:                            ;   in Loop: Header=BB439_973 Depth=1
	v_dual_mov_b32 v60, s15 :: v_dual_mov_b32 v59, s14
	s_and_b32 s0, exec_lo, s20
	s_delay_alu instid0(SALU_CYCLE_1) | instskip(NEXT) | instid1(SALU_CYCLE_1)
	s_or_b32 s19, s0, s19
	s_and_not1_b32 exec_lo, exec_lo, s19
	s_cbranch_execz .LBB439_976
.LBB439_973:                            ; =>This Inner Loop Header: Depth=1
	s_or_b32 s20, s20, exec_lo
	s_cmp_eq_u64 s[12:13], s[14:15]
	s_cbranch_scc0 .LBB439_971
; %bb.974:                              ;   in Loop: Header=BB439_973 Depth=1
	s_mov_b64 s[14:15], s[8:9]
                                        ; implicit-def: $vgpr9_vgpr10
                                        ; implicit-def: $vgpr57_vgpr58
	s_branch .LBB439_972
.LBB439_975:
	v_mov_b32_e32 v9, 0
	v_mov_b32_e32 v10, 0
	s_branch .LBB439_978
.LBB439_976:
	s_set_inst_prefetch_distance 0x2
	s_or_b32 exec_lo, exec_lo, s19
	v_cmp_gt_i64_e32 vcc_lo, s[8:9], v[59:60]
	s_mov_b32 s0, 0
	s_delay_alu instid0(SALU_CYCLE_1)
	v_mov_b32_e32 v10, s0
	v_cndmask_b32_e64 v9, 0, 1, vcc_lo
.LBB439_977:
	s_or_b32 exec_lo, exec_lo, s18
.LBB439_978:
	s_delay_alu instid0(SALU_CYCLE_1) | instskip(SKIP_2) | instid1(VALU_DEP_1)
	s_or_b32 exec_lo, exec_lo, s3
	v_add_nc_u32_e32 v57, 23, v64
	s_mov_b32 s3, exec_lo
	v_cmpx_gt_u32_e64 s6, v57
	s_cbranch_execz .LBB439_989
; %bb.979:
	v_cmp_ne_u32_e32 vcc_lo, 1, v63
	s_cbranch_vccnz .LBB439_986
; %bb.980:
	v_mul_lo_u32 v60, v56, s8
	v_mul_lo_u32 v61, v55, s9
	v_mad_u64_u32 v[56:57], null, v55, s8, 0
	v_mul_lo_u32 v55, v54, s8
	v_mul_lo_u32 v62, v53, s9
	v_mad_u64_u32 v[58:59], null, v53, s8, 0
	s_mov_b32 s18, exec_lo
	s_delay_alu instid0(VALU_DEP_4) | instskip(NEXT) | instid1(VALU_DEP_2)
	v_add3_u32 v57, v57, v61, v60
	v_add3_u32 v59, v59, v62, v55
	s_delay_alu instid0(VALU_DEP_2) | instskip(NEXT) | instid1(VALU_DEP_2)
	v_lshlrev_b64 v[55:56], 2, v[56:57]
	v_lshlrev_b64 v[59:60], 2, v[58:59]
	s_delay_alu instid0(VALU_DEP_2) | instskip(NEXT) | instid1(VALU_DEP_3)
	v_add_co_u32 v57, vcc_lo, s10, v55
	v_add_co_ci_u32_e32 v58, vcc_lo, s11, v56, vcc_lo
	s_delay_alu instid0(VALU_DEP_3) | instskip(NEXT) | instid1(VALU_DEP_4)
	v_add_co_u32 v59, vcc_lo, s10, v59
	v_add_co_ci_u32_e32 v60, vcc_lo, s11, v60, vcc_lo
	s_clause 0x1
	global_load_b32 v61, v[57:58], off
	global_load_b32 v62, v[59:60], off
	v_mov_b32_e32 v55, 1
	v_mov_b32_e32 v56, 0
	s_waitcnt vmcnt(0)
	v_cmpx_eq_u32_e64 v61, v62
	s_cbranch_execz .LBB439_988
; %bb.981:
	v_add_co_u32 v55, vcc_lo, v59, 4
	v_add_co_ci_u32_e32 v56, vcc_lo, 0, v60, vcc_lo
	v_add_co_u32 v57, vcc_lo, v57, 4
	v_add_co_ci_u32_e32 v58, vcc_lo, 0, v58, vcc_lo
	s_add_u32 s12, s8, -1
	s_addc_u32 s13, s9, -1
	s_mov_b64 s[14:15], 0
	s_mov_b32 s19, 0
                                        ; implicit-def: $sgpr20
	s_set_inst_prefetch_distance 0x1
	s_branch .LBB439_984
	.p2align	6
.LBB439_982:                            ;   in Loop: Header=BB439_984 Depth=1
	global_load_b32 v59, v[57:58], off
	global_load_b32 v60, v[55:56], off
	v_add_co_u32 v55, vcc_lo, v55, 4
	v_add_co_ci_u32_e32 v56, vcc_lo, 0, v56, vcc_lo
	v_add_co_u32 v57, s0, v57, 4
	s_delay_alu instid0(VALU_DEP_1)
	v_add_co_ci_u32_e64 v58, s0, 0, v58, s0
	s_add_u32 s14, s14, 1
	s_addc_u32 s15, s15, 0
	s_and_not1_b32 s0, s20, exec_lo
	s_waitcnt vmcnt(0)
	v_cmp_ne_u32_e32 vcc_lo, v59, v60
	s_and_b32 s20, vcc_lo, exec_lo
	s_delay_alu instid0(SALU_CYCLE_1)
	s_or_b32 s20, s0, s20
.LBB439_983:                            ;   in Loop: Header=BB439_984 Depth=1
	v_dual_mov_b32 v60, s15 :: v_dual_mov_b32 v59, s14
	s_and_b32 s0, exec_lo, s20
	s_delay_alu instid0(SALU_CYCLE_1) | instskip(NEXT) | instid1(SALU_CYCLE_1)
	s_or_b32 s19, s0, s19
	s_and_not1_b32 exec_lo, exec_lo, s19
	s_cbranch_execz .LBB439_987
.LBB439_984:                            ; =>This Inner Loop Header: Depth=1
	s_or_b32 s20, s20, exec_lo
	s_cmp_eq_u64 s[12:13], s[14:15]
	s_cbranch_scc0 .LBB439_982
; %bb.985:                              ;   in Loop: Header=BB439_984 Depth=1
	s_mov_b64 s[14:15], s[8:9]
                                        ; implicit-def: $vgpr55_vgpr56
                                        ; implicit-def: $vgpr57_vgpr58
	s_branch .LBB439_983
.LBB439_986:
	v_mov_b32_e32 v55, 0
	v_mov_b32_e32 v56, 0
	s_branch .LBB439_989
.LBB439_987:
	s_set_inst_prefetch_distance 0x2
	s_or_b32 exec_lo, exec_lo, s19
	v_cmp_gt_i64_e32 vcc_lo, s[8:9], v[59:60]
	s_mov_b32 s0, 0
	s_delay_alu instid0(SALU_CYCLE_1)
	v_mov_b32_e32 v56, s0
	v_cndmask_b32_e64 v55, 0, 1, vcc_lo
.LBB439_988:
	s_or_b32 exec_lo, exec_lo, s18
.LBB439_989:
	s_delay_alu instid0(SALU_CYCLE_1) | instskip(SKIP_2) | instid1(VALU_DEP_1)
	s_or_b32 exec_lo, exec_lo, s3
	v_add_nc_u32_e32 v57, 22, v64
	s_mov_b32 s3, exec_lo
	v_cmpx_gt_u32_e64 s6, v57
	s_cbranch_execz .LBB439_1000
; %bb.990:
	v_cmp_ne_u32_e32 vcc_lo, 1, v63
	s_cbranch_vccnz .LBB439_997
; %bb.991:
	v_mul_lo_u32 v59, v54, s8
	v_mul_lo_u32 v60, v53, s9
	v_mad_u64_u32 v[57:58], null, v53, s8, 0
	v_mul_lo_u32 v61, v52, s8
	v_mul_lo_u32 v62, v51, s9
	v_mad_u64_u32 v[53:54], null, v51, s8, 0
	s_mov_b32 s18, exec_lo
	s_delay_alu instid0(VALU_DEP_4) | instskip(NEXT) | instid1(VALU_DEP_2)
	v_add3_u32 v58, v58, v60, v59
	v_add3_u32 v54, v54, v62, v61
	s_delay_alu instid0(VALU_DEP_2) | instskip(NEXT) | instid1(VALU_DEP_2)
	v_lshlrev_b64 v[57:58], 2, v[57:58]
	v_lshlrev_b64 v[53:54], 2, v[53:54]
	s_delay_alu instid0(VALU_DEP_2) | instskip(NEXT) | instid1(VALU_DEP_3)
	v_add_co_u32 v57, vcc_lo, s10, v57
	v_add_co_ci_u32_e32 v58, vcc_lo, s11, v58, vcc_lo
	s_delay_alu instid0(VALU_DEP_3) | instskip(NEXT) | instid1(VALU_DEP_4)
	v_add_co_u32 v59, vcc_lo, s10, v53
	v_add_co_ci_u32_e32 v60, vcc_lo, s11, v54, vcc_lo
	s_clause 0x1
	global_load_b32 v61, v[57:58], off
	global_load_b32 v62, v[59:60], off
	v_mov_b32_e32 v53, 1
	v_mov_b32_e32 v54, 0
	s_waitcnt vmcnt(0)
	v_cmpx_eq_u32_e64 v61, v62
	s_cbranch_execz .LBB439_999
; %bb.992:
	v_add_co_u32 v53, vcc_lo, v59, 4
	v_add_co_ci_u32_e32 v54, vcc_lo, 0, v60, vcc_lo
	v_add_co_u32 v57, vcc_lo, v57, 4
	v_add_co_ci_u32_e32 v58, vcc_lo, 0, v58, vcc_lo
	s_add_u32 s12, s8, -1
	s_addc_u32 s13, s9, -1
	s_mov_b64 s[14:15], 0
	s_mov_b32 s19, 0
                                        ; implicit-def: $sgpr20
	s_set_inst_prefetch_distance 0x1
	s_branch .LBB439_995
	.p2align	6
.LBB439_993:                            ;   in Loop: Header=BB439_995 Depth=1
	global_load_b32 v59, v[57:58], off
	global_load_b32 v60, v[53:54], off
	v_add_co_u32 v53, vcc_lo, v53, 4
	v_add_co_ci_u32_e32 v54, vcc_lo, 0, v54, vcc_lo
	v_add_co_u32 v57, s0, v57, 4
	s_delay_alu instid0(VALU_DEP_1)
	v_add_co_ci_u32_e64 v58, s0, 0, v58, s0
	s_add_u32 s14, s14, 1
	s_addc_u32 s15, s15, 0
	s_and_not1_b32 s0, s20, exec_lo
	s_waitcnt vmcnt(0)
	v_cmp_ne_u32_e32 vcc_lo, v59, v60
	s_and_b32 s20, vcc_lo, exec_lo
	s_delay_alu instid0(SALU_CYCLE_1)
	s_or_b32 s20, s0, s20
.LBB439_994:                            ;   in Loop: Header=BB439_995 Depth=1
	v_dual_mov_b32 v60, s15 :: v_dual_mov_b32 v59, s14
	s_and_b32 s0, exec_lo, s20
	s_delay_alu instid0(SALU_CYCLE_1) | instskip(NEXT) | instid1(SALU_CYCLE_1)
	s_or_b32 s19, s0, s19
	s_and_not1_b32 exec_lo, exec_lo, s19
	s_cbranch_execz .LBB439_998
.LBB439_995:                            ; =>This Inner Loop Header: Depth=1
	s_or_b32 s20, s20, exec_lo
	s_cmp_eq_u64 s[12:13], s[14:15]
	s_cbranch_scc0 .LBB439_993
; %bb.996:                              ;   in Loop: Header=BB439_995 Depth=1
	s_mov_b64 s[14:15], s[8:9]
                                        ; implicit-def: $vgpr53_vgpr54
                                        ; implicit-def: $vgpr57_vgpr58
	s_branch .LBB439_994
.LBB439_997:
	v_mov_b32_e32 v53, 0
	v_mov_b32_e32 v54, 0
	s_branch .LBB439_1000
.LBB439_998:
	s_set_inst_prefetch_distance 0x2
	s_or_b32 exec_lo, exec_lo, s19
	v_cmp_gt_i64_e32 vcc_lo, s[8:9], v[59:60]
	s_mov_b32 s0, 0
	s_delay_alu instid0(SALU_CYCLE_1)
	v_mov_b32_e32 v54, s0
	v_cndmask_b32_e64 v53, 0, 1, vcc_lo
.LBB439_999:
	s_or_b32 exec_lo, exec_lo, s18
.LBB439_1000:
	s_delay_alu instid0(SALU_CYCLE_1) | instskip(SKIP_2) | instid1(VALU_DEP_1)
	s_or_b32 exec_lo, exec_lo, s3
	v_add_nc_u32_e32 v57, 21, v64
	s_mov_b32 s3, exec_lo
	v_cmpx_gt_u32_e64 s6, v57
	s_cbranch_execz .LBB439_1011
; %bb.1001:
	v_cmp_ne_u32_e32 vcc_lo, 1, v63
	s_cbranch_vccnz .LBB439_1008
; %bb.1002:
	v_mul_lo_u32 v59, v52, s8
	v_mul_lo_u32 v60, v51, s9
	v_mad_u64_u32 v[57:58], null, v51, s8, 0
	v_mul_lo_u32 v61, v50, s8
	v_mul_lo_u32 v62, v49, s9
	v_mad_u64_u32 v[51:52], null, v49, s8, 0
	s_mov_b32 s18, exec_lo
	s_delay_alu instid0(VALU_DEP_4) | instskip(NEXT) | instid1(VALU_DEP_2)
	v_add3_u32 v58, v58, v60, v59
	v_add3_u32 v52, v52, v62, v61
	s_delay_alu instid0(VALU_DEP_2) | instskip(NEXT) | instid1(VALU_DEP_2)
	v_lshlrev_b64 v[57:58], 2, v[57:58]
	v_lshlrev_b64 v[51:52], 2, v[51:52]
	s_delay_alu instid0(VALU_DEP_2) | instskip(NEXT) | instid1(VALU_DEP_3)
	v_add_co_u32 v57, vcc_lo, s10, v57
	v_add_co_ci_u32_e32 v58, vcc_lo, s11, v58, vcc_lo
	s_delay_alu instid0(VALU_DEP_3) | instskip(NEXT) | instid1(VALU_DEP_4)
	v_add_co_u32 v59, vcc_lo, s10, v51
	v_add_co_ci_u32_e32 v60, vcc_lo, s11, v52, vcc_lo
	s_clause 0x1
	global_load_b32 v61, v[57:58], off
	global_load_b32 v62, v[59:60], off
	v_mov_b32_e32 v51, 1
	v_mov_b32_e32 v52, 0
	s_waitcnt vmcnt(0)
	v_cmpx_eq_u32_e64 v61, v62
	s_cbranch_execz .LBB439_1010
; %bb.1003:
	v_add_co_u32 v51, vcc_lo, v59, 4
	v_add_co_ci_u32_e32 v52, vcc_lo, 0, v60, vcc_lo
	v_add_co_u32 v57, vcc_lo, v57, 4
	v_add_co_ci_u32_e32 v58, vcc_lo, 0, v58, vcc_lo
	s_add_u32 s12, s8, -1
	s_addc_u32 s13, s9, -1
	s_mov_b64 s[14:15], 0
	s_mov_b32 s19, 0
                                        ; implicit-def: $sgpr20
	s_set_inst_prefetch_distance 0x1
	s_branch .LBB439_1006
	.p2align	6
.LBB439_1004:                           ;   in Loop: Header=BB439_1006 Depth=1
	global_load_b32 v59, v[57:58], off
	global_load_b32 v60, v[51:52], off
	v_add_co_u32 v51, vcc_lo, v51, 4
	v_add_co_ci_u32_e32 v52, vcc_lo, 0, v52, vcc_lo
	v_add_co_u32 v57, s0, v57, 4
	s_delay_alu instid0(VALU_DEP_1)
	v_add_co_ci_u32_e64 v58, s0, 0, v58, s0
	s_add_u32 s14, s14, 1
	s_addc_u32 s15, s15, 0
	s_and_not1_b32 s0, s20, exec_lo
	s_waitcnt vmcnt(0)
	v_cmp_ne_u32_e32 vcc_lo, v59, v60
	s_and_b32 s20, vcc_lo, exec_lo
	s_delay_alu instid0(SALU_CYCLE_1)
	s_or_b32 s20, s0, s20
.LBB439_1005:                           ;   in Loop: Header=BB439_1006 Depth=1
	v_dual_mov_b32 v60, s15 :: v_dual_mov_b32 v59, s14
	s_and_b32 s0, exec_lo, s20
	s_delay_alu instid0(SALU_CYCLE_1) | instskip(NEXT) | instid1(SALU_CYCLE_1)
	s_or_b32 s19, s0, s19
	s_and_not1_b32 exec_lo, exec_lo, s19
	s_cbranch_execz .LBB439_1009
.LBB439_1006:                           ; =>This Inner Loop Header: Depth=1
	s_or_b32 s20, s20, exec_lo
	s_cmp_eq_u64 s[12:13], s[14:15]
	s_cbranch_scc0 .LBB439_1004
; %bb.1007:                             ;   in Loop: Header=BB439_1006 Depth=1
	s_mov_b64 s[14:15], s[8:9]
                                        ; implicit-def: $vgpr51_vgpr52
                                        ; implicit-def: $vgpr57_vgpr58
	s_branch .LBB439_1005
.LBB439_1008:
	v_mov_b32_e32 v51, 0
	v_mov_b32_e32 v52, 0
	s_branch .LBB439_1011
.LBB439_1009:
	s_set_inst_prefetch_distance 0x2
	s_or_b32 exec_lo, exec_lo, s19
	v_cmp_gt_i64_e32 vcc_lo, s[8:9], v[59:60]
	s_mov_b32 s0, 0
	s_delay_alu instid0(SALU_CYCLE_1)
	v_mov_b32_e32 v52, s0
	v_cndmask_b32_e64 v51, 0, 1, vcc_lo
.LBB439_1010:
	s_or_b32 exec_lo, exec_lo, s18
.LBB439_1011:
	s_delay_alu instid0(SALU_CYCLE_1) | instskip(SKIP_2) | instid1(VALU_DEP_1)
	s_or_b32 exec_lo, exec_lo, s3
	v_add_nc_u32_e32 v57, 20, v64
	s_mov_b32 s3, exec_lo
	v_cmpx_gt_u32_e64 s6, v57
	s_cbranch_execz .LBB439_1022
; %bb.1012:
	v_cmp_ne_u32_e32 vcc_lo, 1, v63
	s_cbranch_vccnz .LBB439_1019
; %bb.1013:
	v_mul_lo_u32 v59, v50, s8
	v_mul_lo_u32 v60, v49, s9
	v_mad_u64_u32 v[57:58], null, v49, s8, 0
	v_mul_lo_u32 v61, v48, s8
	v_mul_lo_u32 v62, v47, s9
	v_mad_u64_u32 v[49:50], null, v47, s8, 0
	s_mov_b32 s18, exec_lo
	s_delay_alu instid0(VALU_DEP_4) | instskip(NEXT) | instid1(VALU_DEP_2)
	v_add3_u32 v58, v58, v60, v59
	v_add3_u32 v50, v50, v62, v61
	s_delay_alu instid0(VALU_DEP_2) | instskip(NEXT) | instid1(VALU_DEP_2)
	v_lshlrev_b64 v[57:58], 2, v[57:58]
	v_lshlrev_b64 v[49:50], 2, v[49:50]
	s_delay_alu instid0(VALU_DEP_2) | instskip(NEXT) | instid1(VALU_DEP_3)
	v_add_co_u32 v57, vcc_lo, s10, v57
	v_add_co_ci_u32_e32 v58, vcc_lo, s11, v58, vcc_lo
	s_delay_alu instid0(VALU_DEP_3) | instskip(NEXT) | instid1(VALU_DEP_4)
	v_add_co_u32 v59, vcc_lo, s10, v49
	v_add_co_ci_u32_e32 v60, vcc_lo, s11, v50, vcc_lo
	s_clause 0x1
	global_load_b32 v61, v[57:58], off
	global_load_b32 v62, v[59:60], off
	v_mov_b32_e32 v49, 1
	v_mov_b32_e32 v50, 0
	s_waitcnt vmcnt(0)
	v_cmpx_eq_u32_e64 v61, v62
	s_cbranch_execz .LBB439_1021
; %bb.1014:
	v_add_co_u32 v49, vcc_lo, v59, 4
	v_add_co_ci_u32_e32 v50, vcc_lo, 0, v60, vcc_lo
	v_add_co_u32 v57, vcc_lo, v57, 4
	v_add_co_ci_u32_e32 v58, vcc_lo, 0, v58, vcc_lo
	s_add_u32 s12, s8, -1
	s_addc_u32 s13, s9, -1
	s_mov_b64 s[14:15], 0
	s_mov_b32 s19, 0
                                        ; implicit-def: $sgpr20
	s_set_inst_prefetch_distance 0x1
	s_branch .LBB439_1017
	.p2align	6
.LBB439_1015:                           ;   in Loop: Header=BB439_1017 Depth=1
	global_load_b32 v59, v[57:58], off
	global_load_b32 v60, v[49:50], off
	v_add_co_u32 v49, vcc_lo, v49, 4
	v_add_co_ci_u32_e32 v50, vcc_lo, 0, v50, vcc_lo
	v_add_co_u32 v57, s0, v57, 4
	s_delay_alu instid0(VALU_DEP_1)
	v_add_co_ci_u32_e64 v58, s0, 0, v58, s0
	s_add_u32 s14, s14, 1
	s_addc_u32 s15, s15, 0
	s_and_not1_b32 s0, s20, exec_lo
	s_waitcnt vmcnt(0)
	v_cmp_ne_u32_e32 vcc_lo, v59, v60
	s_and_b32 s20, vcc_lo, exec_lo
	s_delay_alu instid0(SALU_CYCLE_1)
	s_or_b32 s20, s0, s20
.LBB439_1016:                           ;   in Loop: Header=BB439_1017 Depth=1
	v_dual_mov_b32 v60, s15 :: v_dual_mov_b32 v59, s14
	s_and_b32 s0, exec_lo, s20
	s_delay_alu instid0(SALU_CYCLE_1) | instskip(NEXT) | instid1(SALU_CYCLE_1)
	s_or_b32 s19, s0, s19
	s_and_not1_b32 exec_lo, exec_lo, s19
	s_cbranch_execz .LBB439_1020
.LBB439_1017:                           ; =>This Inner Loop Header: Depth=1
	s_or_b32 s20, s20, exec_lo
	s_cmp_eq_u64 s[12:13], s[14:15]
	s_cbranch_scc0 .LBB439_1015
; %bb.1018:                             ;   in Loop: Header=BB439_1017 Depth=1
	s_mov_b64 s[14:15], s[8:9]
                                        ; implicit-def: $vgpr49_vgpr50
                                        ; implicit-def: $vgpr57_vgpr58
	s_branch .LBB439_1016
.LBB439_1019:
	v_mov_b32_e32 v49, 0
	v_mov_b32_e32 v50, 0
	s_branch .LBB439_1022
.LBB439_1020:
	s_set_inst_prefetch_distance 0x2
	s_or_b32 exec_lo, exec_lo, s19
	v_cmp_gt_i64_e32 vcc_lo, s[8:9], v[59:60]
	s_mov_b32 s0, 0
	s_delay_alu instid0(SALU_CYCLE_1)
	v_mov_b32_e32 v50, s0
	v_cndmask_b32_e64 v49, 0, 1, vcc_lo
.LBB439_1021:
	s_or_b32 exec_lo, exec_lo, s18
.LBB439_1022:
	s_delay_alu instid0(SALU_CYCLE_1) | instskip(SKIP_2) | instid1(VALU_DEP_1)
	s_or_b32 exec_lo, exec_lo, s3
	v_add_nc_u32_e32 v57, 19, v64
	s_mov_b32 s3, exec_lo
	v_cmpx_gt_u32_e64 s6, v57
	s_cbranch_execz .LBB439_1033
; %bb.1023:
	v_cmp_ne_u32_e32 vcc_lo, 1, v63
	s_cbranch_vccnz .LBB439_1030
; %bb.1024:
	v_mul_lo_u32 v59, v48, s8
	v_mul_lo_u32 v60, v47, s9
	v_mad_u64_u32 v[57:58], null, v47, s8, 0
	v_mul_lo_u32 v61, v46, s8
	v_mul_lo_u32 v62, v45, s9
	v_mad_u64_u32 v[47:48], null, v45, s8, 0
	s_mov_b32 s18, exec_lo
	s_delay_alu instid0(VALU_DEP_4) | instskip(NEXT) | instid1(VALU_DEP_2)
	v_add3_u32 v58, v58, v60, v59
	v_add3_u32 v48, v48, v62, v61
	s_delay_alu instid0(VALU_DEP_2) | instskip(NEXT) | instid1(VALU_DEP_2)
	v_lshlrev_b64 v[57:58], 2, v[57:58]
	v_lshlrev_b64 v[47:48], 2, v[47:48]
	s_delay_alu instid0(VALU_DEP_2) | instskip(NEXT) | instid1(VALU_DEP_3)
	v_add_co_u32 v57, vcc_lo, s10, v57
	v_add_co_ci_u32_e32 v58, vcc_lo, s11, v58, vcc_lo
	s_delay_alu instid0(VALU_DEP_3) | instskip(NEXT) | instid1(VALU_DEP_4)
	v_add_co_u32 v59, vcc_lo, s10, v47
	v_add_co_ci_u32_e32 v60, vcc_lo, s11, v48, vcc_lo
	s_clause 0x1
	global_load_b32 v61, v[57:58], off
	global_load_b32 v62, v[59:60], off
	v_mov_b32_e32 v47, 1
	v_mov_b32_e32 v48, 0
	s_waitcnt vmcnt(0)
	v_cmpx_eq_u32_e64 v61, v62
	s_cbranch_execz .LBB439_1032
; %bb.1025:
	v_add_co_u32 v47, vcc_lo, v59, 4
	v_add_co_ci_u32_e32 v48, vcc_lo, 0, v60, vcc_lo
	v_add_co_u32 v57, vcc_lo, v57, 4
	v_add_co_ci_u32_e32 v58, vcc_lo, 0, v58, vcc_lo
	s_add_u32 s12, s8, -1
	s_addc_u32 s13, s9, -1
	s_mov_b64 s[14:15], 0
	s_mov_b32 s19, 0
                                        ; implicit-def: $sgpr20
	s_set_inst_prefetch_distance 0x1
	s_branch .LBB439_1028
	.p2align	6
.LBB439_1026:                           ;   in Loop: Header=BB439_1028 Depth=1
	global_load_b32 v59, v[57:58], off
	global_load_b32 v60, v[47:48], off
	v_add_co_u32 v47, vcc_lo, v47, 4
	v_add_co_ci_u32_e32 v48, vcc_lo, 0, v48, vcc_lo
	v_add_co_u32 v57, s0, v57, 4
	s_delay_alu instid0(VALU_DEP_1)
	v_add_co_ci_u32_e64 v58, s0, 0, v58, s0
	s_add_u32 s14, s14, 1
	s_addc_u32 s15, s15, 0
	s_and_not1_b32 s0, s20, exec_lo
	s_waitcnt vmcnt(0)
	v_cmp_ne_u32_e32 vcc_lo, v59, v60
	s_and_b32 s20, vcc_lo, exec_lo
	s_delay_alu instid0(SALU_CYCLE_1)
	s_or_b32 s20, s0, s20
.LBB439_1027:                           ;   in Loop: Header=BB439_1028 Depth=1
	v_dual_mov_b32 v60, s15 :: v_dual_mov_b32 v59, s14
	s_and_b32 s0, exec_lo, s20
	s_delay_alu instid0(SALU_CYCLE_1) | instskip(NEXT) | instid1(SALU_CYCLE_1)
	s_or_b32 s19, s0, s19
	s_and_not1_b32 exec_lo, exec_lo, s19
	s_cbranch_execz .LBB439_1031
.LBB439_1028:                           ; =>This Inner Loop Header: Depth=1
	s_or_b32 s20, s20, exec_lo
	s_cmp_eq_u64 s[12:13], s[14:15]
	s_cbranch_scc0 .LBB439_1026
; %bb.1029:                             ;   in Loop: Header=BB439_1028 Depth=1
	s_mov_b64 s[14:15], s[8:9]
                                        ; implicit-def: $vgpr47_vgpr48
                                        ; implicit-def: $vgpr57_vgpr58
	s_branch .LBB439_1027
.LBB439_1030:
	v_mov_b32_e32 v47, 0
	v_mov_b32_e32 v48, 0
	s_branch .LBB439_1033
.LBB439_1031:
	s_set_inst_prefetch_distance 0x2
	s_or_b32 exec_lo, exec_lo, s19
	v_cmp_gt_i64_e32 vcc_lo, s[8:9], v[59:60]
	s_mov_b32 s0, 0
	s_delay_alu instid0(SALU_CYCLE_1)
	v_mov_b32_e32 v48, s0
	v_cndmask_b32_e64 v47, 0, 1, vcc_lo
.LBB439_1032:
	s_or_b32 exec_lo, exec_lo, s18
.LBB439_1033:
	s_delay_alu instid0(SALU_CYCLE_1) | instskip(SKIP_2) | instid1(VALU_DEP_1)
	s_or_b32 exec_lo, exec_lo, s3
	v_add_nc_u32_e32 v57, 18, v64
	s_mov_b32 s3, exec_lo
	v_cmpx_gt_u32_e64 s6, v57
	s_cbranch_execz .LBB439_1044
; %bb.1034:
	v_cmp_ne_u32_e32 vcc_lo, 1, v63
	s_cbranch_vccnz .LBB439_1041
; %bb.1035:
	v_mul_lo_u32 v59, v46, s8
	v_mul_lo_u32 v60, v45, s9
	v_mad_u64_u32 v[57:58], null, v45, s8, 0
	v_mul_lo_u32 v61, v44, s8
	v_mul_lo_u32 v62, v43, s9
	v_mad_u64_u32 v[45:46], null, v43, s8, 0
	s_mov_b32 s18, exec_lo
	s_delay_alu instid0(VALU_DEP_4) | instskip(NEXT) | instid1(VALU_DEP_2)
	v_add3_u32 v58, v58, v60, v59
	v_add3_u32 v46, v46, v62, v61
	s_delay_alu instid0(VALU_DEP_2) | instskip(NEXT) | instid1(VALU_DEP_2)
	v_lshlrev_b64 v[57:58], 2, v[57:58]
	v_lshlrev_b64 v[45:46], 2, v[45:46]
	s_delay_alu instid0(VALU_DEP_2) | instskip(NEXT) | instid1(VALU_DEP_3)
	v_add_co_u32 v57, vcc_lo, s10, v57
	v_add_co_ci_u32_e32 v58, vcc_lo, s11, v58, vcc_lo
	s_delay_alu instid0(VALU_DEP_3) | instskip(NEXT) | instid1(VALU_DEP_4)
	v_add_co_u32 v59, vcc_lo, s10, v45
	v_add_co_ci_u32_e32 v60, vcc_lo, s11, v46, vcc_lo
	s_clause 0x1
	global_load_b32 v61, v[57:58], off
	global_load_b32 v62, v[59:60], off
	v_mov_b32_e32 v45, 1
	v_mov_b32_e32 v46, 0
	s_waitcnt vmcnt(0)
	v_cmpx_eq_u32_e64 v61, v62
	s_cbranch_execz .LBB439_1043
; %bb.1036:
	v_add_co_u32 v45, vcc_lo, v59, 4
	v_add_co_ci_u32_e32 v46, vcc_lo, 0, v60, vcc_lo
	v_add_co_u32 v57, vcc_lo, v57, 4
	v_add_co_ci_u32_e32 v58, vcc_lo, 0, v58, vcc_lo
	s_add_u32 s12, s8, -1
	s_addc_u32 s13, s9, -1
	s_mov_b64 s[14:15], 0
	s_mov_b32 s19, 0
                                        ; implicit-def: $sgpr20
	s_set_inst_prefetch_distance 0x1
	s_branch .LBB439_1039
	.p2align	6
.LBB439_1037:                           ;   in Loop: Header=BB439_1039 Depth=1
	global_load_b32 v59, v[57:58], off
	global_load_b32 v60, v[45:46], off
	v_add_co_u32 v45, vcc_lo, v45, 4
	v_add_co_ci_u32_e32 v46, vcc_lo, 0, v46, vcc_lo
	v_add_co_u32 v57, s0, v57, 4
	s_delay_alu instid0(VALU_DEP_1)
	v_add_co_ci_u32_e64 v58, s0, 0, v58, s0
	s_add_u32 s14, s14, 1
	s_addc_u32 s15, s15, 0
	s_and_not1_b32 s0, s20, exec_lo
	s_waitcnt vmcnt(0)
	v_cmp_ne_u32_e32 vcc_lo, v59, v60
	s_and_b32 s20, vcc_lo, exec_lo
	s_delay_alu instid0(SALU_CYCLE_1)
	s_or_b32 s20, s0, s20
.LBB439_1038:                           ;   in Loop: Header=BB439_1039 Depth=1
	v_dual_mov_b32 v60, s15 :: v_dual_mov_b32 v59, s14
	s_and_b32 s0, exec_lo, s20
	s_delay_alu instid0(SALU_CYCLE_1) | instskip(NEXT) | instid1(SALU_CYCLE_1)
	s_or_b32 s19, s0, s19
	s_and_not1_b32 exec_lo, exec_lo, s19
	s_cbranch_execz .LBB439_1042
.LBB439_1039:                           ; =>This Inner Loop Header: Depth=1
	s_or_b32 s20, s20, exec_lo
	s_cmp_eq_u64 s[12:13], s[14:15]
	s_cbranch_scc0 .LBB439_1037
; %bb.1040:                             ;   in Loop: Header=BB439_1039 Depth=1
	s_mov_b64 s[14:15], s[8:9]
                                        ; implicit-def: $vgpr45_vgpr46
                                        ; implicit-def: $vgpr57_vgpr58
	s_branch .LBB439_1038
.LBB439_1041:
	v_mov_b32_e32 v45, 0
	v_mov_b32_e32 v46, 0
	s_branch .LBB439_1044
.LBB439_1042:
	s_set_inst_prefetch_distance 0x2
	s_or_b32 exec_lo, exec_lo, s19
	v_cmp_gt_i64_e32 vcc_lo, s[8:9], v[59:60]
	s_mov_b32 s0, 0
	s_delay_alu instid0(SALU_CYCLE_1)
	v_mov_b32_e32 v46, s0
	v_cndmask_b32_e64 v45, 0, 1, vcc_lo
.LBB439_1043:
	s_or_b32 exec_lo, exec_lo, s18
.LBB439_1044:
	s_delay_alu instid0(SALU_CYCLE_1) | instskip(SKIP_2) | instid1(VALU_DEP_1)
	s_or_b32 exec_lo, exec_lo, s3
	v_add_nc_u32_e32 v57, 17, v64
	s_mov_b32 s3, exec_lo
	v_cmpx_gt_u32_e64 s6, v57
	s_cbranch_execz .LBB439_1055
; %bb.1045:
	v_cmp_ne_u32_e32 vcc_lo, 1, v63
	s_cbranch_vccnz .LBB439_1052
; %bb.1046:
	v_mul_lo_u32 v59, v44, s8
	v_mul_lo_u32 v60, v43, s9
	v_mad_u64_u32 v[57:58], null, v43, s8, 0
	v_mul_lo_u32 v61, v42, s8
	v_mul_lo_u32 v62, v41, s9
	v_mad_u64_u32 v[43:44], null, v41, s8, 0
	s_mov_b32 s18, exec_lo
	s_delay_alu instid0(VALU_DEP_4) | instskip(NEXT) | instid1(VALU_DEP_2)
	v_add3_u32 v58, v58, v60, v59
	v_add3_u32 v44, v44, v62, v61
	s_delay_alu instid0(VALU_DEP_2) | instskip(NEXT) | instid1(VALU_DEP_2)
	v_lshlrev_b64 v[57:58], 2, v[57:58]
	v_lshlrev_b64 v[43:44], 2, v[43:44]
	s_delay_alu instid0(VALU_DEP_2) | instskip(NEXT) | instid1(VALU_DEP_3)
	v_add_co_u32 v57, vcc_lo, s10, v57
	v_add_co_ci_u32_e32 v58, vcc_lo, s11, v58, vcc_lo
	s_delay_alu instid0(VALU_DEP_3) | instskip(NEXT) | instid1(VALU_DEP_4)
	v_add_co_u32 v59, vcc_lo, s10, v43
	v_add_co_ci_u32_e32 v60, vcc_lo, s11, v44, vcc_lo
	s_clause 0x1
	global_load_b32 v61, v[57:58], off
	global_load_b32 v62, v[59:60], off
	v_mov_b32_e32 v43, 1
	v_mov_b32_e32 v44, 0
	s_waitcnt vmcnt(0)
	v_cmpx_eq_u32_e64 v61, v62
	s_cbranch_execz .LBB439_1054
; %bb.1047:
	v_add_co_u32 v43, vcc_lo, v59, 4
	v_add_co_ci_u32_e32 v44, vcc_lo, 0, v60, vcc_lo
	v_add_co_u32 v57, vcc_lo, v57, 4
	v_add_co_ci_u32_e32 v58, vcc_lo, 0, v58, vcc_lo
	s_add_u32 s12, s8, -1
	s_addc_u32 s13, s9, -1
	s_mov_b64 s[14:15], 0
	s_mov_b32 s19, 0
                                        ; implicit-def: $sgpr20
	s_set_inst_prefetch_distance 0x1
	s_branch .LBB439_1050
	.p2align	6
.LBB439_1048:                           ;   in Loop: Header=BB439_1050 Depth=1
	global_load_b32 v59, v[57:58], off
	global_load_b32 v60, v[43:44], off
	v_add_co_u32 v43, vcc_lo, v43, 4
	v_add_co_ci_u32_e32 v44, vcc_lo, 0, v44, vcc_lo
	v_add_co_u32 v57, s0, v57, 4
	s_delay_alu instid0(VALU_DEP_1)
	v_add_co_ci_u32_e64 v58, s0, 0, v58, s0
	s_add_u32 s14, s14, 1
	s_addc_u32 s15, s15, 0
	s_and_not1_b32 s0, s20, exec_lo
	s_waitcnt vmcnt(0)
	v_cmp_ne_u32_e32 vcc_lo, v59, v60
	s_and_b32 s20, vcc_lo, exec_lo
	s_delay_alu instid0(SALU_CYCLE_1)
	s_or_b32 s20, s0, s20
.LBB439_1049:                           ;   in Loop: Header=BB439_1050 Depth=1
	v_dual_mov_b32 v60, s15 :: v_dual_mov_b32 v59, s14
	s_and_b32 s0, exec_lo, s20
	s_delay_alu instid0(SALU_CYCLE_1) | instskip(NEXT) | instid1(SALU_CYCLE_1)
	s_or_b32 s19, s0, s19
	s_and_not1_b32 exec_lo, exec_lo, s19
	s_cbranch_execz .LBB439_1053
.LBB439_1050:                           ; =>This Inner Loop Header: Depth=1
	s_or_b32 s20, s20, exec_lo
	s_cmp_eq_u64 s[12:13], s[14:15]
	s_cbranch_scc0 .LBB439_1048
; %bb.1051:                             ;   in Loop: Header=BB439_1050 Depth=1
	s_mov_b64 s[14:15], s[8:9]
                                        ; implicit-def: $vgpr43_vgpr44
                                        ; implicit-def: $vgpr57_vgpr58
	s_branch .LBB439_1049
.LBB439_1052:
	v_mov_b32_e32 v43, 0
	v_mov_b32_e32 v44, 0
	s_branch .LBB439_1055
.LBB439_1053:
	s_set_inst_prefetch_distance 0x2
	s_or_b32 exec_lo, exec_lo, s19
	v_cmp_gt_i64_e32 vcc_lo, s[8:9], v[59:60]
	s_mov_b32 s0, 0
	s_delay_alu instid0(SALU_CYCLE_1)
	v_mov_b32_e32 v44, s0
	v_cndmask_b32_e64 v43, 0, 1, vcc_lo
.LBB439_1054:
	s_or_b32 exec_lo, exec_lo, s18
.LBB439_1055:
	s_delay_alu instid0(SALU_CYCLE_1) | instskip(SKIP_2) | instid1(VALU_DEP_1)
	s_or_b32 exec_lo, exec_lo, s3
	v_add_nc_u32_e32 v57, 16, v64
	s_mov_b32 s3, exec_lo
	v_cmpx_gt_u32_e64 s6, v57
	s_cbranch_execz .LBB439_1066
; %bb.1056:
	v_cmp_ne_u32_e32 vcc_lo, 1, v63
	s_cbranch_vccnz .LBB439_1063
; %bb.1057:
	v_mul_lo_u32 v59, v42, s8
	v_mul_lo_u32 v60, v41, s9
	v_mad_u64_u32 v[57:58], null, v41, s8, 0
	v_mul_lo_u32 v61, v40, s8
	v_mul_lo_u32 v62, v39, s9
	v_mad_u64_u32 v[41:42], null, v39, s8, 0
	s_mov_b32 s18, exec_lo
	s_delay_alu instid0(VALU_DEP_4) | instskip(NEXT) | instid1(VALU_DEP_2)
	v_add3_u32 v58, v58, v60, v59
	v_add3_u32 v42, v42, v62, v61
	s_delay_alu instid0(VALU_DEP_2) | instskip(NEXT) | instid1(VALU_DEP_2)
	v_lshlrev_b64 v[57:58], 2, v[57:58]
	v_lshlrev_b64 v[41:42], 2, v[41:42]
	s_delay_alu instid0(VALU_DEP_2) | instskip(NEXT) | instid1(VALU_DEP_3)
	v_add_co_u32 v57, vcc_lo, s10, v57
	v_add_co_ci_u32_e32 v58, vcc_lo, s11, v58, vcc_lo
	s_delay_alu instid0(VALU_DEP_3) | instskip(NEXT) | instid1(VALU_DEP_4)
	v_add_co_u32 v59, vcc_lo, s10, v41
	v_add_co_ci_u32_e32 v60, vcc_lo, s11, v42, vcc_lo
	s_clause 0x1
	global_load_b32 v61, v[57:58], off
	global_load_b32 v62, v[59:60], off
	v_mov_b32_e32 v41, 1
	v_mov_b32_e32 v42, 0
	s_waitcnt vmcnt(0)
	v_cmpx_eq_u32_e64 v61, v62
	s_cbranch_execz .LBB439_1065
; %bb.1058:
	v_add_co_u32 v41, vcc_lo, v59, 4
	v_add_co_ci_u32_e32 v42, vcc_lo, 0, v60, vcc_lo
	v_add_co_u32 v57, vcc_lo, v57, 4
	v_add_co_ci_u32_e32 v58, vcc_lo, 0, v58, vcc_lo
	s_add_u32 s12, s8, -1
	s_addc_u32 s13, s9, -1
	s_mov_b64 s[14:15], 0
	s_mov_b32 s19, 0
                                        ; implicit-def: $sgpr20
	s_set_inst_prefetch_distance 0x1
	s_branch .LBB439_1061
	.p2align	6
.LBB439_1059:                           ;   in Loop: Header=BB439_1061 Depth=1
	global_load_b32 v59, v[57:58], off
	global_load_b32 v60, v[41:42], off
	v_add_co_u32 v41, vcc_lo, v41, 4
	v_add_co_ci_u32_e32 v42, vcc_lo, 0, v42, vcc_lo
	v_add_co_u32 v57, s0, v57, 4
	s_delay_alu instid0(VALU_DEP_1)
	v_add_co_ci_u32_e64 v58, s0, 0, v58, s0
	s_add_u32 s14, s14, 1
	s_addc_u32 s15, s15, 0
	s_and_not1_b32 s0, s20, exec_lo
	s_waitcnt vmcnt(0)
	v_cmp_ne_u32_e32 vcc_lo, v59, v60
	s_and_b32 s20, vcc_lo, exec_lo
	s_delay_alu instid0(SALU_CYCLE_1)
	s_or_b32 s20, s0, s20
.LBB439_1060:                           ;   in Loop: Header=BB439_1061 Depth=1
	v_dual_mov_b32 v60, s15 :: v_dual_mov_b32 v59, s14
	s_and_b32 s0, exec_lo, s20
	s_delay_alu instid0(SALU_CYCLE_1) | instskip(NEXT) | instid1(SALU_CYCLE_1)
	s_or_b32 s19, s0, s19
	s_and_not1_b32 exec_lo, exec_lo, s19
	s_cbranch_execz .LBB439_1064
.LBB439_1061:                           ; =>This Inner Loop Header: Depth=1
	s_or_b32 s20, s20, exec_lo
	s_cmp_eq_u64 s[12:13], s[14:15]
	s_cbranch_scc0 .LBB439_1059
; %bb.1062:                             ;   in Loop: Header=BB439_1061 Depth=1
	s_mov_b64 s[14:15], s[8:9]
                                        ; implicit-def: $vgpr41_vgpr42
                                        ; implicit-def: $vgpr57_vgpr58
	s_branch .LBB439_1060
.LBB439_1063:
	v_mov_b32_e32 v41, 0
	v_mov_b32_e32 v42, 0
	s_branch .LBB439_1066
.LBB439_1064:
	s_set_inst_prefetch_distance 0x2
	s_or_b32 exec_lo, exec_lo, s19
	v_cmp_gt_i64_e32 vcc_lo, s[8:9], v[59:60]
	s_mov_b32 s0, 0
	s_delay_alu instid0(SALU_CYCLE_1)
	v_mov_b32_e32 v42, s0
	v_cndmask_b32_e64 v41, 0, 1, vcc_lo
.LBB439_1065:
	s_or_b32 exec_lo, exec_lo, s18
.LBB439_1066:
	s_delay_alu instid0(SALU_CYCLE_1) | instskip(SKIP_2) | instid1(VALU_DEP_1)
	s_or_b32 exec_lo, exec_lo, s3
	v_add_nc_u32_e32 v57, 15, v64
	s_mov_b32 s3, exec_lo
	v_cmpx_gt_u32_e64 s6, v57
	s_cbranch_execz .LBB439_1077
; %bb.1067:
	v_cmp_ne_u32_e32 vcc_lo, 1, v63
	s_cbranch_vccnz .LBB439_1074
; %bb.1068:
	v_mul_lo_u32 v59, v40, s8
	v_mul_lo_u32 v60, v39, s9
	v_mad_u64_u32 v[57:58], null, v39, s8, 0
	v_mul_lo_u32 v61, v38, s8
	v_mul_lo_u32 v62, v37, s9
	v_mad_u64_u32 v[39:40], null, v37, s8, 0
	s_mov_b32 s18, exec_lo
	s_delay_alu instid0(VALU_DEP_4) | instskip(NEXT) | instid1(VALU_DEP_2)
	v_add3_u32 v58, v58, v60, v59
	v_add3_u32 v40, v40, v62, v61
	s_delay_alu instid0(VALU_DEP_2) | instskip(NEXT) | instid1(VALU_DEP_2)
	v_lshlrev_b64 v[57:58], 2, v[57:58]
	v_lshlrev_b64 v[39:40], 2, v[39:40]
	s_delay_alu instid0(VALU_DEP_2) | instskip(NEXT) | instid1(VALU_DEP_3)
	v_add_co_u32 v57, vcc_lo, s10, v57
	v_add_co_ci_u32_e32 v58, vcc_lo, s11, v58, vcc_lo
	s_delay_alu instid0(VALU_DEP_3) | instskip(NEXT) | instid1(VALU_DEP_4)
	v_add_co_u32 v59, vcc_lo, s10, v39
	v_add_co_ci_u32_e32 v60, vcc_lo, s11, v40, vcc_lo
	s_clause 0x1
	global_load_b32 v61, v[57:58], off
	global_load_b32 v62, v[59:60], off
	v_mov_b32_e32 v39, 1
	v_mov_b32_e32 v40, 0
	s_waitcnt vmcnt(0)
	v_cmpx_eq_u32_e64 v61, v62
	s_cbranch_execz .LBB439_1076
; %bb.1069:
	v_add_co_u32 v39, vcc_lo, v59, 4
	v_add_co_ci_u32_e32 v40, vcc_lo, 0, v60, vcc_lo
	v_add_co_u32 v57, vcc_lo, v57, 4
	v_add_co_ci_u32_e32 v58, vcc_lo, 0, v58, vcc_lo
	s_add_u32 s12, s8, -1
	s_addc_u32 s13, s9, -1
	s_mov_b64 s[14:15], 0
	s_mov_b32 s19, 0
                                        ; implicit-def: $sgpr20
	s_set_inst_prefetch_distance 0x1
	s_branch .LBB439_1072
	.p2align	6
.LBB439_1070:                           ;   in Loop: Header=BB439_1072 Depth=1
	global_load_b32 v59, v[57:58], off
	global_load_b32 v60, v[39:40], off
	v_add_co_u32 v39, vcc_lo, v39, 4
	v_add_co_ci_u32_e32 v40, vcc_lo, 0, v40, vcc_lo
	v_add_co_u32 v57, s0, v57, 4
	s_delay_alu instid0(VALU_DEP_1)
	v_add_co_ci_u32_e64 v58, s0, 0, v58, s0
	s_add_u32 s14, s14, 1
	s_addc_u32 s15, s15, 0
	s_and_not1_b32 s0, s20, exec_lo
	s_waitcnt vmcnt(0)
	v_cmp_ne_u32_e32 vcc_lo, v59, v60
	s_and_b32 s20, vcc_lo, exec_lo
	s_delay_alu instid0(SALU_CYCLE_1)
	s_or_b32 s20, s0, s20
.LBB439_1071:                           ;   in Loop: Header=BB439_1072 Depth=1
	v_dual_mov_b32 v60, s15 :: v_dual_mov_b32 v59, s14
	s_and_b32 s0, exec_lo, s20
	s_delay_alu instid0(SALU_CYCLE_1) | instskip(NEXT) | instid1(SALU_CYCLE_1)
	s_or_b32 s19, s0, s19
	s_and_not1_b32 exec_lo, exec_lo, s19
	s_cbranch_execz .LBB439_1075
.LBB439_1072:                           ; =>This Inner Loop Header: Depth=1
	s_or_b32 s20, s20, exec_lo
	s_cmp_eq_u64 s[12:13], s[14:15]
	s_cbranch_scc0 .LBB439_1070
; %bb.1073:                             ;   in Loop: Header=BB439_1072 Depth=1
	s_mov_b64 s[14:15], s[8:9]
                                        ; implicit-def: $vgpr39_vgpr40
                                        ; implicit-def: $vgpr57_vgpr58
	s_branch .LBB439_1071
.LBB439_1074:
	v_mov_b32_e32 v39, 0
	v_mov_b32_e32 v40, 0
	s_branch .LBB439_1077
.LBB439_1075:
	s_set_inst_prefetch_distance 0x2
	s_or_b32 exec_lo, exec_lo, s19
	v_cmp_gt_i64_e32 vcc_lo, s[8:9], v[59:60]
	s_mov_b32 s0, 0
	s_delay_alu instid0(SALU_CYCLE_1)
	v_mov_b32_e32 v40, s0
	v_cndmask_b32_e64 v39, 0, 1, vcc_lo
.LBB439_1076:
	s_or_b32 exec_lo, exec_lo, s18
.LBB439_1077:
	s_delay_alu instid0(SALU_CYCLE_1) | instskip(SKIP_2) | instid1(VALU_DEP_1)
	s_or_b32 exec_lo, exec_lo, s3
	v_add_nc_u32_e32 v57, 14, v64
	s_mov_b32 s3, exec_lo
	v_cmpx_gt_u32_e64 s6, v57
	s_cbranch_execz .LBB439_1088
; %bb.1078:
	v_cmp_ne_u32_e32 vcc_lo, 1, v63
	s_cbranch_vccnz .LBB439_1085
; %bb.1079:
	v_mul_lo_u32 v59, v38, s8
	v_mul_lo_u32 v60, v37, s9
	v_mad_u64_u32 v[57:58], null, v37, s8, 0
	v_mul_lo_u32 v61, v36, s8
	v_mul_lo_u32 v62, v35, s9
	v_mad_u64_u32 v[37:38], null, v35, s8, 0
	s_mov_b32 s18, exec_lo
	s_delay_alu instid0(VALU_DEP_4) | instskip(NEXT) | instid1(VALU_DEP_2)
	v_add3_u32 v58, v58, v60, v59
	v_add3_u32 v38, v38, v62, v61
	s_delay_alu instid0(VALU_DEP_2) | instskip(NEXT) | instid1(VALU_DEP_2)
	v_lshlrev_b64 v[57:58], 2, v[57:58]
	v_lshlrev_b64 v[37:38], 2, v[37:38]
	s_delay_alu instid0(VALU_DEP_2) | instskip(NEXT) | instid1(VALU_DEP_3)
	v_add_co_u32 v57, vcc_lo, s10, v57
	v_add_co_ci_u32_e32 v58, vcc_lo, s11, v58, vcc_lo
	s_delay_alu instid0(VALU_DEP_3) | instskip(NEXT) | instid1(VALU_DEP_4)
	v_add_co_u32 v59, vcc_lo, s10, v37
	v_add_co_ci_u32_e32 v60, vcc_lo, s11, v38, vcc_lo
	s_clause 0x1
	global_load_b32 v61, v[57:58], off
	global_load_b32 v62, v[59:60], off
	v_mov_b32_e32 v37, 1
	v_mov_b32_e32 v38, 0
	s_waitcnt vmcnt(0)
	v_cmpx_eq_u32_e64 v61, v62
	s_cbranch_execz .LBB439_1087
; %bb.1080:
	v_add_co_u32 v37, vcc_lo, v59, 4
	v_add_co_ci_u32_e32 v38, vcc_lo, 0, v60, vcc_lo
	v_add_co_u32 v57, vcc_lo, v57, 4
	v_add_co_ci_u32_e32 v58, vcc_lo, 0, v58, vcc_lo
	s_add_u32 s12, s8, -1
	s_addc_u32 s13, s9, -1
	s_mov_b64 s[14:15], 0
	s_mov_b32 s19, 0
                                        ; implicit-def: $sgpr20
	s_set_inst_prefetch_distance 0x1
	s_branch .LBB439_1083
	.p2align	6
.LBB439_1081:                           ;   in Loop: Header=BB439_1083 Depth=1
	global_load_b32 v59, v[57:58], off
	global_load_b32 v60, v[37:38], off
	v_add_co_u32 v37, vcc_lo, v37, 4
	v_add_co_ci_u32_e32 v38, vcc_lo, 0, v38, vcc_lo
	v_add_co_u32 v57, s0, v57, 4
	s_delay_alu instid0(VALU_DEP_1)
	v_add_co_ci_u32_e64 v58, s0, 0, v58, s0
	s_add_u32 s14, s14, 1
	s_addc_u32 s15, s15, 0
	s_and_not1_b32 s0, s20, exec_lo
	s_waitcnt vmcnt(0)
	v_cmp_ne_u32_e32 vcc_lo, v59, v60
	s_and_b32 s20, vcc_lo, exec_lo
	s_delay_alu instid0(SALU_CYCLE_1)
	s_or_b32 s20, s0, s20
.LBB439_1082:                           ;   in Loop: Header=BB439_1083 Depth=1
	v_dual_mov_b32 v60, s15 :: v_dual_mov_b32 v59, s14
	s_and_b32 s0, exec_lo, s20
	s_delay_alu instid0(SALU_CYCLE_1) | instskip(NEXT) | instid1(SALU_CYCLE_1)
	s_or_b32 s19, s0, s19
	s_and_not1_b32 exec_lo, exec_lo, s19
	s_cbranch_execz .LBB439_1086
.LBB439_1083:                           ; =>This Inner Loop Header: Depth=1
	s_or_b32 s20, s20, exec_lo
	s_cmp_eq_u64 s[12:13], s[14:15]
	s_cbranch_scc0 .LBB439_1081
; %bb.1084:                             ;   in Loop: Header=BB439_1083 Depth=1
	s_mov_b64 s[14:15], s[8:9]
                                        ; implicit-def: $vgpr37_vgpr38
                                        ; implicit-def: $vgpr57_vgpr58
	s_branch .LBB439_1082
.LBB439_1085:
	v_mov_b32_e32 v37, 0
	v_mov_b32_e32 v38, 0
	s_branch .LBB439_1088
.LBB439_1086:
	s_set_inst_prefetch_distance 0x2
	s_or_b32 exec_lo, exec_lo, s19
	v_cmp_gt_i64_e32 vcc_lo, s[8:9], v[59:60]
	s_mov_b32 s0, 0
	s_delay_alu instid0(SALU_CYCLE_1)
	v_mov_b32_e32 v38, s0
	v_cndmask_b32_e64 v37, 0, 1, vcc_lo
.LBB439_1087:
	s_or_b32 exec_lo, exec_lo, s18
.LBB439_1088:
	s_delay_alu instid0(SALU_CYCLE_1) | instskip(SKIP_2) | instid1(VALU_DEP_1)
	s_or_b32 exec_lo, exec_lo, s3
	v_add_nc_u32_e32 v57, 13, v64
	s_mov_b32 s3, exec_lo
	v_cmpx_gt_u32_e64 s6, v57
	s_cbranch_execz .LBB439_1099
; %bb.1089:
	v_cmp_ne_u32_e32 vcc_lo, 1, v63
	s_cbranch_vccnz .LBB439_1096
; %bb.1090:
	v_mul_lo_u32 v59, v36, s8
	v_mul_lo_u32 v60, v35, s9
	v_mad_u64_u32 v[57:58], null, v35, s8, 0
	v_mul_lo_u32 v61, v34, s8
	v_mul_lo_u32 v62, v33, s9
	v_mad_u64_u32 v[35:36], null, v33, s8, 0
	s_mov_b32 s18, exec_lo
	s_delay_alu instid0(VALU_DEP_4) | instskip(NEXT) | instid1(VALU_DEP_2)
	v_add3_u32 v58, v58, v60, v59
	v_add3_u32 v36, v36, v62, v61
	s_delay_alu instid0(VALU_DEP_2) | instskip(NEXT) | instid1(VALU_DEP_2)
	v_lshlrev_b64 v[57:58], 2, v[57:58]
	v_lshlrev_b64 v[35:36], 2, v[35:36]
	s_delay_alu instid0(VALU_DEP_2) | instskip(NEXT) | instid1(VALU_DEP_3)
	v_add_co_u32 v57, vcc_lo, s10, v57
	v_add_co_ci_u32_e32 v58, vcc_lo, s11, v58, vcc_lo
	s_delay_alu instid0(VALU_DEP_3) | instskip(NEXT) | instid1(VALU_DEP_4)
	v_add_co_u32 v59, vcc_lo, s10, v35
	v_add_co_ci_u32_e32 v60, vcc_lo, s11, v36, vcc_lo
	s_clause 0x1
	global_load_b32 v61, v[57:58], off
	global_load_b32 v62, v[59:60], off
	v_mov_b32_e32 v35, 1
	v_mov_b32_e32 v36, 0
	s_waitcnt vmcnt(0)
	v_cmpx_eq_u32_e64 v61, v62
	s_cbranch_execz .LBB439_1098
; %bb.1091:
	v_add_co_u32 v35, vcc_lo, v59, 4
	v_add_co_ci_u32_e32 v36, vcc_lo, 0, v60, vcc_lo
	v_add_co_u32 v57, vcc_lo, v57, 4
	v_add_co_ci_u32_e32 v58, vcc_lo, 0, v58, vcc_lo
	s_add_u32 s12, s8, -1
	s_addc_u32 s13, s9, -1
	s_mov_b64 s[14:15], 0
	s_mov_b32 s19, 0
                                        ; implicit-def: $sgpr20
	s_set_inst_prefetch_distance 0x1
	s_branch .LBB439_1094
	.p2align	6
.LBB439_1092:                           ;   in Loop: Header=BB439_1094 Depth=1
	global_load_b32 v59, v[57:58], off
	global_load_b32 v60, v[35:36], off
	v_add_co_u32 v35, vcc_lo, v35, 4
	v_add_co_ci_u32_e32 v36, vcc_lo, 0, v36, vcc_lo
	v_add_co_u32 v57, s0, v57, 4
	s_delay_alu instid0(VALU_DEP_1)
	v_add_co_ci_u32_e64 v58, s0, 0, v58, s0
	s_add_u32 s14, s14, 1
	s_addc_u32 s15, s15, 0
	s_and_not1_b32 s0, s20, exec_lo
	s_waitcnt vmcnt(0)
	v_cmp_ne_u32_e32 vcc_lo, v59, v60
	s_and_b32 s20, vcc_lo, exec_lo
	s_delay_alu instid0(SALU_CYCLE_1)
	s_or_b32 s20, s0, s20
.LBB439_1093:                           ;   in Loop: Header=BB439_1094 Depth=1
	v_dual_mov_b32 v60, s15 :: v_dual_mov_b32 v59, s14
	s_and_b32 s0, exec_lo, s20
	s_delay_alu instid0(SALU_CYCLE_1) | instskip(NEXT) | instid1(SALU_CYCLE_1)
	s_or_b32 s19, s0, s19
	s_and_not1_b32 exec_lo, exec_lo, s19
	s_cbranch_execz .LBB439_1097
.LBB439_1094:                           ; =>This Inner Loop Header: Depth=1
	s_or_b32 s20, s20, exec_lo
	s_cmp_eq_u64 s[12:13], s[14:15]
	s_cbranch_scc0 .LBB439_1092
; %bb.1095:                             ;   in Loop: Header=BB439_1094 Depth=1
	s_mov_b64 s[14:15], s[8:9]
                                        ; implicit-def: $vgpr35_vgpr36
                                        ; implicit-def: $vgpr57_vgpr58
	s_branch .LBB439_1093
.LBB439_1096:
	v_mov_b32_e32 v35, 0
	v_mov_b32_e32 v36, 0
	s_branch .LBB439_1099
.LBB439_1097:
	s_set_inst_prefetch_distance 0x2
	s_or_b32 exec_lo, exec_lo, s19
	v_cmp_gt_i64_e32 vcc_lo, s[8:9], v[59:60]
	s_mov_b32 s0, 0
	s_delay_alu instid0(SALU_CYCLE_1)
	v_mov_b32_e32 v36, s0
	v_cndmask_b32_e64 v35, 0, 1, vcc_lo
.LBB439_1098:
	s_or_b32 exec_lo, exec_lo, s18
.LBB439_1099:
	s_delay_alu instid0(SALU_CYCLE_1) | instskip(SKIP_2) | instid1(VALU_DEP_1)
	s_or_b32 exec_lo, exec_lo, s3
	v_add_nc_u32_e32 v57, 12, v64
	s_mov_b32 s3, exec_lo
	v_cmpx_gt_u32_e64 s6, v57
	s_cbranch_execz .LBB439_1110
; %bb.1100:
	v_cmp_ne_u32_e32 vcc_lo, 1, v63
	s_cbranch_vccnz .LBB439_1107
; %bb.1101:
	v_mul_lo_u32 v59, v34, s8
	v_mul_lo_u32 v60, v33, s9
	v_mad_u64_u32 v[57:58], null, v33, s8, 0
	v_mul_lo_u32 v61, v32, s8
	v_mul_lo_u32 v62, v31, s9
	v_mad_u64_u32 v[33:34], null, v31, s8, 0
	s_mov_b32 s18, exec_lo
	s_delay_alu instid0(VALU_DEP_4) | instskip(NEXT) | instid1(VALU_DEP_2)
	v_add3_u32 v58, v58, v60, v59
	v_add3_u32 v34, v34, v62, v61
	s_delay_alu instid0(VALU_DEP_2) | instskip(NEXT) | instid1(VALU_DEP_2)
	v_lshlrev_b64 v[57:58], 2, v[57:58]
	v_lshlrev_b64 v[33:34], 2, v[33:34]
	s_delay_alu instid0(VALU_DEP_2) | instskip(NEXT) | instid1(VALU_DEP_3)
	v_add_co_u32 v57, vcc_lo, s10, v57
	v_add_co_ci_u32_e32 v58, vcc_lo, s11, v58, vcc_lo
	s_delay_alu instid0(VALU_DEP_3) | instskip(NEXT) | instid1(VALU_DEP_4)
	v_add_co_u32 v59, vcc_lo, s10, v33
	v_add_co_ci_u32_e32 v60, vcc_lo, s11, v34, vcc_lo
	s_clause 0x1
	global_load_b32 v61, v[57:58], off
	global_load_b32 v62, v[59:60], off
	v_mov_b32_e32 v33, 1
	v_mov_b32_e32 v34, 0
	s_waitcnt vmcnt(0)
	v_cmpx_eq_u32_e64 v61, v62
	s_cbranch_execz .LBB439_1109
; %bb.1102:
	v_add_co_u32 v33, vcc_lo, v59, 4
	v_add_co_ci_u32_e32 v34, vcc_lo, 0, v60, vcc_lo
	v_add_co_u32 v57, vcc_lo, v57, 4
	v_add_co_ci_u32_e32 v58, vcc_lo, 0, v58, vcc_lo
	s_add_u32 s12, s8, -1
	s_addc_u32 s13, s9, -1
	s_mov_b64 s[14:15], 0
	s_mov_b32 s19, 0
                                        ; implicit-def: $sgpr20
	s_set_inst_prefetch_distance 0x1
	s_branch .LBB439_1105
	.p2align	6
.LBB439_1103:                           ;   in Loop: Header=BB439_1105 Depth=1
	global_load_b32 v59, v[57:58], off
	global_load_b32 v60, v[33:34], off
	v_add_co_u32 v33, vcc_lo, v33, 4
	v_add_co_ci_u32_e32 v34, vcc_lo, 0, v34, vcc_lo
	v_add_co_u32 v57, s0, v57, 4
	s_delay_alu instid0(VALU_DEP_1)
	v_add_co_ci_u32_e64 v58, s0, 0, v58, s0
	s_add_u32 s14, s14, 1
	s_addc_u32 s15, s15, 0
	s_and_not1_b32 s0, s20, exec_lo
	s_waitcnt vmcnt(0)
	v_cmp_ne_u32_e32 vcc_lo, v59, v60
	s_and_b32 s20, vcc_lo, exec_lo
	s_delay_alu instid0(SALU_CYCLE_1)
	s_or_b32 s20, s0, s20
.LBB439_1104:                           ;   in Loop: Header=BB439_1105 Depth=1
	v_dual_mov_b32 v60, s15 :: v_dual_mov_b32 v59, s14
	s_and_b32 s0, exec_lo, s20
	s_delay_alu instid0(SALU_CYCLE_1) | instskip(NEXT) | instid1(SALU_CYCLE_1)
	s_or_b32 s19, s0, s19
	s_and_not1_b32 exec_lo, exec_lo, s19
	s_cbranch_execz .LBB439_1108
.LBB439_1105:                           ; =>This Inner Loop Header: Depth=1
	s_or_b32 s20, s20, exec_lo
	s_cmp_eq_u64 s[12:13], s[14:15]
	s_cbranch_scc0 .LBB439_1103
; %bb.1106:                             ;   in Loop: Header=BB439_1105 Depth=1
	s_mov_b64 s[14:15], s[8:9]
                                        ; implicit-def: $vgpr33_vgpr34
                                        ; implicit-def: $vgpr57_vgpr58
	s_branch .LBB439_1104
.LBB439_1107:
	v_mov_b32_e32 v33, 0
	v_mov_b32_e32 v34, 0
	s_branch .LBB439_1110
.LBB439_1108:
	s_set_inst_prefetch_distance 0x2
	s_or_b32 exec_lo, exec_lo, s19
	v_cmp_gt_i64_e32 vcc_lo, s[8:9], v[59:60]
	s_mov_b32 s0, 0
	s_delay_alu instid0(SALU_CYCLE_1)
	v_mov_b32_e32 v34, s0
	v_cndmask_b32_e64 v33, 0, 1, vcc_lo
.LBB439_1109:
	s_or_b32 exec_lo, exec_lo, s18
.LBB439_1110:
	s_delay_alu instid0(SALU_CYCLE_1) | instskip(SKIP_2) | instid1(VALU_DEP_1)
	s_or_b32 exec_lo, exec_lo, s3
	v_add_nc_u32_e32 v57, 11, v64
	s_mov_b32 s3, exec_lo
	v_cmpx_gt_u32_e64 s6, v57
	s_cbranch_execz .LBB439_1121
; %bb.1111:
	v_cmp_ne_u32_e32 vcc_lo, 1, v63
	s_cbranch_vccnz .LBB439_1118
; %bb.1112:
	v_mul_lo_u32 v59, v32, s8
	v_mul_lo_u32 v60, v31, s9
	v_mad_u64_u32 v[57:58], null, v31, s8, 0
	v_mul_lo_u32 v61, v30, s8
	v_mul_lo_u32 v62, v29, s9
	v_mad_u64_u32 v[31:32], null, v29, s8, 0
	s_mov_b32 s18, exec_lo
	s_delay_alu instid0(VALU_DEP_4) | instskip(NEXT) | instid1(VALU_DEP_2)
	v_add3_u32 v58, v58, v60, v59
	v_add3_u32 v32, v32, v62, v61
	s_delay_alu instid0(VALU_DEP_2) | instskip(NEXT) | instid1(VALU_DEP_2)
	v_lshlrev_b64 v[57:58], 2, v[57:58]
	v_lshlrev_b64 v[31:32], 2, v[31:32]
	s_delay_alu instid0(VALU_DEP_2) | instskip(NEXT) | instid1(VALU_DEP_3)
	v_add_co_u32 v57, vcc_lo, s10, v57
	v_add_co_ci_u32_e32 v58, vcc_lo, s11, v58, vcc_lo
	s_delay_alu instid0(VALU_DEP_3) | instskip(NEXT) | instid1(VALU_DEP_4)
	v_add_co_u32 v59, vcc_lo, s10, v31
	v_add_co_ci_u32_e32 v60, vcc_lo, s11, v32, vcc_lo
	s_clause 0x1
	global_load_b32 v61, v[57:58], off
	global_load_b32 v62, v[59:60], off
	v_mov_b32_e32 v31, 1
	v_mov_b32_e32 v32, 0
	s_waitcnt vmcnt(0)
	v_cmpx_eq_u32_e64 v61, v62
	s_cbranch_execz .LBB439_1120
; %bb.1113:
	v_add_co_u32 v31, vcc_lo, v59, 4
	v_add_co_ci_u32_e32 v32, vcc_lo, 0, v60, vcc_lo
	v_add_co_u32 v57, vcc_lo, v57, 4
	v_add_co_ci_u32_e32 v58, vcc_lo, 0, v58, vcc_lo
	s_add_u32 s12, s8, -1
	s_addc_u32 s13, s9, -1
	s_mov_b64 s[14:15], 0
	s_mov_b32 s19, 0
                                        ; implicit-def: $sgpr20
	s_set_inst_prefetch_distance 0x1
	s_branch .LBB439_1116
	.p2align	6
.LBB439_1114:                           ;   in Loop: Header=BB439_1116 Depth=1
	global_load_b32 v59, v[57:58], off
	global_load_b32 v60, v[31:32], off
	v_add_co_u32 v31, vcc_lo, v31, 4
	v_add_co_ci_u32_e32 v32, vcc_lo, 0, v32, vcc_lo
	v_add_co_u32 v57, s0, v57, 4
	s_delay_alu instid0(VALU_DEP_1)
	v_add_co_ci_u32_e64 v58, s0, 0, v58, s0
	s_add_u32 s14, s14, 1
	s_addc_u32 s15, s15, 0
	s_and_not1_b32 s0, s20, exec_lo
	s_waitcnt vmcnt(0)
	v_cmp_ne_u32_e32 vcc_lo, v59, v60
	s_and_b32 s20, vcc_lo, exec_lo
	s_delay_alu instid0(SALU_CYCLE_1)
	s_or_b32 s20, s0, s20
.LBB439_1115:                           ;   in Loop: Header=BB439_1116 Depth=1
	v_dual_mov_b32 v60, s15 :: v_dual_mov_b32 v59, s14
	s_and_b32 s0, exec_lo, s20
	s_delay_alu instid0(SALU_CYCLE_1) | instskip(NEXT) | instid1(SALU_CYCLE_1)
	s_or_b32 s19, s0, s19
	s_and_not1_b32 exec_lo, exec_lo, s19
	s_cbranch_execz .LBB439_1119
.LBB439_1116:                           ; =>This Inner Loop Header: Depth=1
	s_or_b32 s20, s20, exec_lo
	s_cmp_eq_u64 s[12:13], s[14:15]
	s_cbranch_scc0 .LBB439_1114
; %bb.1117:                             ;   in Loop: Header=BB439_1116 Depth=1
	s_mov_b64 s[14:15], s[8:9]
                                        ; implicit-def: $vgpr31_vgpr32
                                        ; implicit-def: $vgpr57_vgpr58
	s_branch .LBB439_1115
.LBB439_1118:
	v_mov_b32_e32 v31, 0
	v_mov_b32_e32 v32, 0
	s_branch .LBB439_1121
.LBB439_1119:
	s_set_inst_prefetch_distance 0x2
	s_or_b32 exec_lo, exec_lo, s19
	v_cmp_gt_i64_e32 vcc_lo, s[8:9], v[59:60]
	s_mov_b32 s0, 0
	s_delay_alu instid0(SALU_CYCLE_1)
	v_mov_b32_e32 v32, s0
	v_cndmask_b32_e64 v31, 0, 1, vcc_lo
.LBB439_1120:
	s_or_b32 exec_lo, exec_lo, s18
.LBB439_1121:
	s_delay_alu instid0(SALU_CYCLE_1) | instskip(SKIP_2) | instid1(VALU_DEP_1)
	s_or_b32 exec_lo, exec_lo, s3
	v_add_nc_u32_e32 v57, 10, v64
	s_mov_b32 s3, exec_lo
	v_cmpx_gt_u32_e64 s6, v57
	s_cbranch_execz .LBB439_1132
; %bb.1122:
	v_cmp_ne_u32_e32 vcc_lo, 1, v63
	s_cbranch_vccnz .LBB439_1129
; %bb.1123:
	v_mul_lo_u32 v59, v30, s8
	v_mul_lo_u32 v60, v29, s9
	v_mad_u64_u32 v[57:58], null, v29, s8, 0
	v_mul_lo_u32 v61, v28, s8
	v_mul_lo_u32 v62, v27, s9
	v_mad_u64_u32 v[29:30], null, v27, s8, 0
	s_mov_b32 s18, exec_lo
	s_delay_alu instid0(VALU_DEP_4) | instskip(NEXT) | instid1(VALU_DEP_2)
	v_add3_u32 v58, v58, v60, v59
	v_add3_u32 v30, v30, v62, v61
	s_delay_alu instid0(VALU_DEP_2) | instskip(NEXT) | instid1(VALU_DEP_2)
	v_lshlrev_b64 v[57:58], 2, v[57:58]
	v_lshlrev_b64 v[29:30], 2, v[29:30]
	s_delay_alu instid0(VALU_DEP_2) | instskip(NEXT) | instid1(VALU_DEP_3)
	v_add_co_u32 v57, vcc_lo, s10, v57
	v_add_co_ci_u32_e32 v58, vcc_lo, s11, v58, vcc_lo
	s_delay_alu instid0(VALU_DEP_3) | instskip(NEXT) | instid1(VALU_DEP_4)
	v_add_co_u32 v59, vcc_lo, s10, v29
	v_add_co_ci_u32_e32 v60, vcc_lo, s11, v30, vcc_lo
	s_clause 0x1
	global_load_b32 v61, v[57:58], off
	global_load_b32 v62, v[59:60], off
	v_mov_b32_e32 v29, 1
	v_mov_b32_e32 v30, 0
	s_waitcnt vmcnt(0)
	v_cmpx_eq_u32_e64 v61, v62
	s_cbranch_execz .LBB439_1131
; %bb.1124:
	v_add_co_u32 v29, vcc_lo, v59, 4
	v_add_co_ci_u32_e32 v30, vcc_lo, 0, v60, vcc_lo
	v_add_co_u32 v57, vcc_lo, v57, 4
	v_add_co_ci_u32_e32 v58, vcc_lo, 0, v58, vcc_lo
	s_add_u32 s12, s8, -1
	s_addc_u32 s13, s9, -1
	s_mov_b64 s[14:15], 0
	s_mov_b32 s19, 0
                                        ; implicit-def: $sgpr20
	s_set_inst_prefetch_distance 0x1
	s_branch .LBB439_1127
	.p2align	6
.LBB439_1125:                           ;   in Loop: Header=BB439_1127 Depth=1
	global_load_b32 v59, v[57:58], off
	global_load_b32 v60, v[29:30], off
	v_add_co_u32 v29, vcc_lo, v29, 4
	v_add_co_ci_u32_e32 v30, vcc_lo, 0, v30, vcc_lo
	v_add_co_u32 v57, s0, v57, 4
	s_delay_alu instid0(VALU_DEP_1)
	v_add_co_ci_u32_e64 v58, s0, 0, v58, s0
	s_add_u32 s14, s14, 1
	s_addc_u32 s15, s15, 0
	s_and_not1_b32 s0, s20, exec_lo
	s_waitcnt vmcnt(0)
	v_cmp_ne_u32_e32 vcc_lo, v59, v60
	s_and_b32 s20, vcc_lo, exec_lo
	s_delay_alu instid0(SALU_CYCLE_1)
	s_or_b32 s20, s0, s20
.LBB439_1126:                           ;   in Loop: Header=BB439_1127 Depth=1
	v_dual_mov_b32 v60, s15 :: v_dual_mov_b32 v59, s14
	s_and_b32 s0, exec_lo, s20
	s_delay_alu instid0(SALU_CYCLE_1) | instskip(NEXT) | instid1(SALU_CYCLE_1)
	s_or_b32 s19, s0, s19
	s_and_not1_b32 exec_lo, exec_lo, s19
	s_cbranch_execz .LBB439_1130
.LBB439_1127:                           ; =>This Inner Loop Header: Depth=1
	s_or_b32 s20, s20, exec_lo
	s_cmp_eq_u64 s[12:13], s[14:15]
	s_cbranch_scc0 .LBB439_1125
; %bb.1128:                             ;   in Loop: Header=BB439_1127 Depth=1
	s_mov_b64 s[14:15], s[8:9]
                                        ; implicit-def: $vgpr29_vgpr30
                                        ; implicit-def: $vgpr57_vgpr58
	s_branch .LBB439_1126
.LBB439_1129:
	v_mov_b32_e32 v29, 0
	v_mov_b32_e32 v30, 0
	s_branch .LBB439_1132
.LBB439_1130:
	s_set_inst_prefetch_distance 0x2
	s_or_b32 exec_lo, exec_lo, s19
	v_cmp_gt_i64_e32 vcc_lo, s[8:9], v[59:60]
	s_mov_b32 s0, 0
	s_delay_alu instid0(SALU_CYCLE_1)
	v_mov_b32_e32 v30, s0
	v_cndmask_b32_e64 v29, 0, 1, vcc_lo
.LBB439_1131:
	s_or_b32 exec_lo, exec_lo, s18
.LBB439_1132:
	s_delay_alu instid0(SALU_CYCLE_1) | instskip(SKIP_2) | instid1(VALU_DEP_1)
	s_or_b32 exec_lo, exec_lo, s3
	v_add_nc_u32_e32 v57, 9, v64
	s_mov_b32 s3, exec_lo
	v_cmpx_gt_u32_e64 s6, v57
	s_cbranch_execz .LBB439_1143
; %bb.1133:
	v_cmp_ne_u32_e32 vcc_lo, 1, v63
	s_cbranch_vccnz .LBB439_1140
; %bb.1134:
	v_mul_lo_u32 v59, v28, s8
	v_mul_lo_u32 v60, v27, s9
	v_mad_u64_u32 v[57:58], null, v27, s8, 0
	v_mul_lo_u32 v61, v26, s8
	v_mul_lo_u32 v62, v25, s9
	v_mad_u64_u32 v[27:28], null, v25, s8, 0
	s_mov_b32 s18, exec_lo
	s_delay_alu instid0(VALU_DEP_4) | instskip(NEXT) | instid1(VALU_DEP_2)
	v_add3_u32 v58, v58, v60, v59
	v_add3_u32 v28, v28, v62, v61
	s_delay_alu instid0(VALU_DEP_2) | instskip(NEXT) | instid1(VALU_DEP_2)
	v_lshlrev_b64 v[57:58], 2, v[57:58]
	v_lshlrev_b64 v[27:28], 2, v[27:28]
	s_delay_alu instid0(VALU_DEP_2) | instskip(NEXT) | instid1(VALU_DEP_3)
	v_add_co_u32 v57, vcc_lo, s10, v57
	v_add_co_ci_u32_e32 v58, vcc_lo, s11, v58, vcc_lo
	s_delay_alu instid0(VALU_DEP_3) | instskip(NEXT) | instid1(VALU_DEP_4)
	v_add_co_u32 v59, vcc_lo, s10, v27
	v_add_co_ci_u32_e32 v60, vcc_lo, s11, v28, vcc_lo
	s_clause 0x1
	global_load_b32 v61, v[57:58], off
	global_load_b32 v62, v[59:60], off
	v_mov_b32_e32 v27, 1
	v_mov_b32_e32 v28, 0
	s_waitcnt vmcnt(0)
	v_cmpx_eq_u32_e64 v61, v62
	s_cbranch_execz .LBB439_1142
; %bb.1135:
	v_add_co_u32 v27, vcc_lo, v59, 4
	v_add_co_ci_u32_e32 v28, vcc_lo, 0, v60, vcc_lo
	v_add_co_u32 v57, vcc_lo, v57, 4
	v_add_co_ci_u32_e32 v58, vcc_lo, 0, v58, vcc_lo
	s_add_u32 s12, s8, -1
	s_addc_u32 s13, s9, -1
	s_mov_b64 s[14:15], 0
	s_mov_b32 s19, 0
                                        ; implicit-def: $sgpr20
	s_set_inst_prefetch_distance 0x1
	s_branch .LBB439_1138
	.p2align	6
.LBB439_1136:                           ;   in Loop: Header=BB439_1138 Depth=1
	global_load_b32 v59, v[57:58], off
	global_load_b32 v60, v[27:28], off
	v_add_co_u32 v27, vcc_lo, v27, 4
	v_add_co_ci_u32_e32 v28, vcc_lo, 0, v28, vcc_lo
	v_add_co_u32 v57, s0, v57, 4
	s_delay_alu instid0(VALU_DEP_1)
	v_add_co_ci_u32_e64 v58, s0, 0, v58, s0
	s_add_u32 s14, s14, 1
	s_addc_u32 s15, s15, 0
	s_and_not1_b32 s0, s20, exec_lo
	s_waitcnt vmcnt(0)
	v_cmp_ne_u32_e32 vcc_lo, v59, v60
	s_and_b32 s20, vcc_lo, exec_lo
	s_delay_alu instid0(SALU_CYCLE_1)
	s_or_b32 s20, s0, s20
.LBB439_1137:                           ;   in Loop: Header=BB439_1138 Depth=1
	v_dual_mov_b32 v60, s15 :: v_dual_mov_b32 v59, s14
	s_and_b32 s0, exec_lo, s20
	s_delay_alu instid0(SALU_CYCLE_1) | instskip(NEXT) | instid1(SALU_CYCLE_1)
	s_or_b32 s19, s0, s19
	s_and_not1_b32 exec_lo, exec_lo, s19
	s_cbranch_execz .LBB439_1141
.LBB439_1138:                           ; =>This Inner Loop Header: Depth=1
	s_or_b32 s20, s20, exec_lo
	s_cmp_eq_u64 s[12:13], s[14:15]
	s_cbranch_scc0 .LBB439_1136
; %bb.1139:                             ;   in Loop: Header=BB439_1138 Depth=1
	s_mov_b64 s[14:15], s[8:9]
                                        ; implicit-def: $vgpr27_vgpr28
                                        ; implicit-def: $vgpr57_vgpr58
	s_branch .LBB439_1137
.LBB439_1140:
	v_mov_b32_e32 v27, 0
	v_mov_b32_e32 v28, 0
	s_branch .LBB439_1143
.LBB439_1141:
	s_set_inst_prefetch_distance 0x2
	s_or_b32 exec_lo, exec_lo, s19
	v_cmp_gt_i64_e32 vcc_lo, s[8:9], v[59:60]
	s_mov_b32 s0, 0
	s_delay_alu instid0(SALU_CYCLE_1)
	v_mov_b32_e32 v28, s0
	v_cndmask_b32_e64 v27, 0, 1, vcc_lo
.LBB439_1142:
	s_or_b32 exec_lo, exec_lo, s18
.LBB439_1143:
	s_delay_alu instid0(SALU_CYCLE_1) | instskip(SKIP_2) | instid1(VALU_DEP_1)
	s_or_b32 exec_lo, exec_lo, s3
	v_add_nc_u32_e32 v57, 8, v64
	s_mov_b32 s3, exec_lo
	v_cmpx_gt_u32_e64 s6, v57
	s_cbranch_execz .LBB439_1154
; %bb.1144:
	v_cmp_ne_u32_e32 vcc_lo, 1, v63
	s_cbranch_vccnz .LBB439_1151
; %bb.1145:
	v_mul_lo_u32 v59, v26, s8
	v_mul_lo_u32 v60, v25, s9
	v_mad_u64_u32 v[57:58], null, v25, s8, 0
	v_mul_lo_u32 v61, v24, s8
	v_mul_lo_u32 v62, v23, s9
	v_mad_u64_u32 v[25:26], null, v23, s8, 0
	s_mov_b32 s18, exec_lo
	s_delay_alu instid0(VALU_DEP_4) | instskip(NEXT) | instid1(VALU_DEP_2)
	v_add3_u32 v58, v58, v60, v59
	v_add3_u32 v26, v26, v62, v61
	s_delay_alu instid0(VALU_DEP_2) | instskip(NEXT) | instid1(VALU_DEP_2)
	v_lshlrev_b64 v[57:58], 2, v[57:58]
	v_lshlrev_b64 v[25:26], 2, v[25:26]
	s_delay_alu instid0(VALU_DEP_2) | instskip(NEXT) | instid1(VALU_DEP_3)
	v_add_co_u32 v57, vcc_lo, s10, v57
	v_add_co_ci_u32_e32 v58, vcc_lo, s11, v58, vcc_lo
	s_delay_alu instid0(VALU_DEP_3) | instskip(NEXT) | instid1(VALU_DEP_4)
	v_add_co_u32 v59, vcc_lo, s10, v25
	v_add_co_ci_u32_e32 v60, vcc_lo, s11, v26, vcc_lo
	s_clause 0x1
	global_load_b32 v61, v[57:58], off
	global_load_b32 v62, v[59:60], off
	v_mov_b32_e32 v25, 1
	v_mov_b32_e32 v26, 0
	s_waitcnt vmcnt(0)
	v_cmpx_eq_u32_e64 v61, v62
	s_cbranch_execz .LBB439_1153
; %bb.1146:
	v_add_co_u32 v25, vcc_lo, v59, 4
	v_add_co_ci_u32_e32 v26, vcc_lo, 0, v60, vcc_lo
	v_add_co_u32 v57, vcc_lo, v57, 4
	v_add_co_ci_u32_e32 v58, vcc_lo, 0, v58, vcc_lo
	s_add_u32 s12, s8, -1
	s_addc_u32 s13, s9, -1
	s_mov_b64 s[14:15], 0
	s_mov_b32 s19, 0
                                        ; implicit-def: $sgpr20
	s_set_inst_prefetch_distance 0x1
	s_branch .LBB439_1149
	.p2align	6
.LBB439_1147:                           ;   in Loop: Header=BB439_1149 Depth=1
	global_load_b32 v59, v[57:58], off
	global_load_b32 v60, v[25:26], off
	v_add_co_u32 v25, vcc_lo, v25, 4
	v_add_co_ci_u32_e32 v26, vcc_lo, 0, v26, vcc_lo
	v_add_co_u32 v57, s0, v57, 4
	s_delay_alu instid0(VALU_DEP_1)
	v_add_co_ci_u32_e64 v58, s0, 0, v58, s0
	s_add_u32 s14, s14, 1
	s_addc_u32 s15, s15, 0
	s_and_not1_b32 s0, s20, exec_lo
	s_waitcnt vmcnt(0)
	v_cmp_ne_u32_e32 vcc_lo, v59, v60
	s_and_b32 s20, vcc_lo, exec_lo
	s_delay_alu instid0(SALU_CYCLE_1)
	s_or_b32 s20, s0, s20
.LBB439_1148:                           ;   in Loop: Header=BB439_1149 Depth=1
	v_dual_mov_b32 v60, s15 :: v_dual_mov_b32 v59, s14
	s_and_b32 s0, exec_lo, s20
	s_delay_alu instid0(SALU_CYCLE_1) | instskip(NEXT) | instid1(SALU_CYCLE_1)
	s_or_b32 s19, s0, s19
	s_and_not1_b32 exec_lo, exec_lo, s19
	s_cbranch_execz .LBB439_1152
.LBB439_1149:                           ; =>This Inner Loop Header: Depth=1
	s_or_b32 s20, s20, exec_lo
	s_cmp_eq_u64 s[12:13], s[14:15]
	s_cbranch_scc0 .LBB439_1147
; %bb.1150:                             ;   in Loop: Header=BB439_1149 Depth=1
	s_mov_b64 s[14:15], s[8:9]
                                        ; implicit-def: $vgpr25_vgpr26
                                        ; implicit-def: $vgpr57_vgpr58
	s_branch .LBB439_1148
.LBB439_1151:
	v_mov_b32_e32 v25, 0
	v_mov_b32_e32 v26, 0
	s_branch .LBB439_1154
.LBB439_1152:
	s_set_inst_prefetch_distance 0x2
	s_or_b32 exec_lo, exec_lo, s19
	v_cmp_gt_i64_e32 vcc_lo, s[8:9], v[59:60]
	s_mov_b32 s0, 0
	s_delay_alu instid0(SALU_CYCLE_1)
	v_mov_b32_e32 v26, s0
	v_cndmask_b32_e64 v25, 0, 1, vcc_lo
.LBB439_1153:
	s_or_b32 exec_lo, exec_lo, s18
.LBB439_1154:
	s_delay_alu instid0(SALU_CYCLE_1) | instskip(SKIP_2) | instid1(VALU_DEP_1)
	s_or_b32 exec_lo, exec_lo, s3
	v_add_nc_u32_e32 v57, 7, v64
	s_mov_b32 s3, exec_lo
	v_cmpx_gt_u32_e64 s6, v57
	s_cbranch_execz .LBB439_1165
; %bb.1155:
	v_cmp_ne_u32_e32 vcc_lo, 1, v63
	s_cbranch_vccnz .LBB439_1162
; %bb.1156:
	v_mul_lo_u32 v59, v24, s8
	v_mul_lo_u32 v60, v23, s9
	v_mad_u64_u32 v[57:58], null, v23, s8, 0
	v_mul_lo_u32 v61, v22, s8
	v_mul_lo_u32 v62, v21, s9
	v_mad_u64_u32 v[23:24], null, v21, s8, 0
	s_mov_b32 s18, exec_lo
	s_delay_alu instid0(VALU_DEP_4) | instskip(NEXT) | instid1(VALU_DEP_2)
	v_add3_u32 v58, v58, v60, v59
	v_add3_u32 v24, v24, v62, v61
	s_delay_alu instid0(VALU_DEP_2) | instskip(NEXT) | instid1(VALU_DEP_2)
	v_lshlrev_b64 v[57:58], 2, v[57:58]
	v_lshlrev_b64 v[23:24], 2, v[23:24]
	s_delay_alu instid0(VALU_DEP_2) | instskip(NEXT) | instid1(VALU_DEP_3)
	v_add_co_u32 v57, vcc_lo, s10, v57
	v_add_co_ci_u32_e32 v58, vcc_lo, s11, v58, vcc_lo
	s_delay_alu instid0(VALU_DEP_3) | instskip(NEXT) | instid1(VALU_DEP_4)
	v_add_co_u32 v59, vcc_lo, s10, v23
	v_add_co_ci_u32_e32 v60, vcc_lo, s11, v24, vcc_lo
	s_clause 0x1
	global_load_b32 v61, v[57:58], off
	global_load_b32 v62, v[59:60], off
	v_mov_b32_e32 v23, 1
	v_mov_b32_e32 v24, 0
	s_waitcnt vmcnt(0)
	v_cmpx_eq_u32_e64 v61, v62
	s_cbranch_execz .LBB439_1164
; %bb.1157:
	v_add_co_u32 v23, vcc_lo, v59, 4
	v_add_co_ci_u32_e32 v24, vcc_lo, 0, v60, vcc_lo
	v_add_co_u32 v57, vcc_lo, v57, 4
	v_add_co_ci_u32_e32 v58, vcc_lo, 0, v58, vcc_lo
	s_add_u32 s12, s8, -1
	s_addc_u32 s13, s9, -1
	s_mov_b64 s[14:15], 0
	s_mov_b32 s19, 0
                                        ; implicit-def: $sgpr20
	s_set_inst_prefetch_distance 0x1
	s_branch .LBB439_1160
	.p2align	6
.LBB439_1158:                           ;   in Loop: Header=BB439_1160 Depth=1
	global_load_b32 v59, v[57:58], off
	global_load_b32 v60, v[23:24], off
	v_add_co_u32 v23, vcc_lo, v23, 4
	v_add_co_ci_u32_e32 v24, vcc_lo, 0, v24, vcc_lo
	v_add_co_u32 v57, s0, v57, 4
	s_delay_alu instid0(VALU_DEP_1)
	v_add_co_ci_u32_e64 v58, s0, 0, v58, s0
	s_add_u32 s14, s14, 1
	s_addc_u32 s15, s15, 0
	s_and_not1_b32 s0, s20, exec_lo
	s_waitcnt vmcnt(0)
	v_cmp_ne_u32_e32 vcc_lo, v59, v60
	s_and_b32 s20, vcc_lo, exec_lo
	s_delay_alu instid0(SALU_CYCLE_1)
	s_or_b32 s20, s0, s20
.LBB439_1159:                           ;   in Loop: Header=BB439_1160 Depth=1
	v_dual_mov_b32 v60, s15 :: v_dual_mov_b32 v59, s14
	s_and_b32 s0, exec_lo, s20
	s_delay_alu instid0(SALU_CYCLE_1) | instskip(NEXT) | instid1(SALU_CYCLE_1)
	s_or_b32 s19, s0, s19
	s_and_not1_b32 exec_lo, exec_lo, s19
	s_cbranch_execz .LBB439_1163
.LBB439_1160:                           ; =>This Inner Loop Header: Depth=1
	s_or_b32 s20, s20, exec_lo
	s_cmp_eq_u64 s[12:13], s[14:15]
	s_cbranch_scc0 .LBB439_1158
; %bb.1161:                             ;   in Loop: Header=BB439_1160 Depth=1
	s_mov_b64 s[14:15], s[8:9]
                                        ; implicit-def: $vgpr23_vgpr24
                                        ; implicit-def: $vgpr57_vgpr58
	s_branch .LBB439_1159
.LBB439_1162:
	v_mov_b32_e32 v23, 0
	v_mov_b32_e32 v24, 0
	s_branch .LBB439_1165
.LBB439_1163:
	s_set_inst_prefetch_distance 0x2
	s_or_b32 exec_lo, exec_lo, s19
	v_cmp_gt_i64_e32 vcc_lo, s[8:9], v[59:60]
	s_mov_b32 s0, 0
	s_delay_alu instid0(SALU_CYCLE_1)
	v_mov_b32_e32 v24, s0
	v_cndmask_b32_e64 v23, 0, 1, vcc_lo
.LBB439_1164:
	s_or_b32 exec_lo, exec_lo, s18
.LBB439_1165:
	s_delay_alu instid0(SALU_CYCLE_1) | instskip(SKIP_2) | instid1(VALU_DEP_1)
	s_or_b32 exec_lo, exec_lo, s3
	v_add_nc_u32_e32 v57, 6, v64
	s_mov_b32 s3, exec_lo
	v_cmpx_gt_u32_e64 s6, v57
	s_cbranch_execz .LBB439_1176
; %bb.1166:
	v_cmp_ne_u32_e32 vcc_lo, 1, v63
	s_cbranch_vccnz .LBB439_1173
; %bb.1167:
	v_mul_lo_u32 v59, v22, s8
	v_mul_lo_u32 v60, v21, s9
	v_mad_u64_u32 v[57:58], null, v21, s8, 0
	v_mul_lo_u32 v61, v20, s8
	v_mul_lo_u32 v62, v19, s9
	v_mad_u64_u32 v[21:22], null, v19, s8, 0
	s_mov_b32 s18, exec_lo
	s_delay_alu instid0(VALU_DEP_4) | instskip(NEXT) | instid1(VALU_DEP_2)
	v_add3_u32 v58, v58, v60, v59
	v_add3_u32 v22, v22, v62, v61
	s_delay_alu instid0(VALU_DEP_2) | instskip(NEXT) | instid1(VALU_DEP_2)
	v_lshlrev_b64 v[57:58], 2, v[57:58]
	v_lshlrev_b64 v[21:22], 2, v[21:22]
	s_delay_alu instid0(VALU_DEP_2) | instskip(NEXT) | instid1(VALU_DEP_3)
	v_add_co_u32 v57, vcc_lo, s10, v57
	v_add_co_ci_u32_e32 v58, vcc_lo, s11, v58, vcc_lo
	s_delay_alu instid0(VALU_DEP_3) | instskip(NEXT) | instid1(VALU_DEP_4)
	v_add_co_u32 v59, vcc_lo, s10, v21
	v_add_co_ci_u32_e32 v60, vcc_lo, s11, v22, vcc_lo
	s_clause 0x1
	global_load_b32 v61, v[57:58], off
	global_load_b32 v62, v[59:60], off
	v_mov_b32_e32 v21, 1
	v_mov_b32_e32 v22, 0
	s_waitcnt vmcnt(0)
	v_cmpx_eq_u32_e64 v61, v62
	s_cbranch_execz .LBB439_1175
; %bb.1168:
	v_add_co_u32 v21, vcc_lo, v59, 4
	v_add_co_ci_u32_e32 v22, vcc_lo, 0, v60, vcc_lo
	v_add_co_u32 v57, vcc_lo, v57, 4
	v_add_co_ci_u32_e32 v58, vcc_lo, 0, v58, vcc_lo
	s_add_u32 s12, s8, -1
	s_addc_u32 s13, s9, -1
	s_mov_b64 s[14:15], 0
	s_mov_b32 s19, 0
                                        ; implicit-def: $sgpr20
	s_set_inst_prefetch_distance 0x1
	s_branch .LBB439_1171
	.p2align	6
.LBB439_1169:                           ;   in Loop: Header=BB439_1171 Depth=1
	global_load_b32 v59, v[57:58], off
	global_load_b32 v60, v[21:22], off
	v_add_co_u32 v21, vcc_lo, v21, 4
	v_add_co_ci_u32_e32 v22, vcc_lo, 0, v22, vcc_lo
	v_add_co_u32 v57, s0, v57, 4
	s_delay_alu instid0(VALU_DEP_1)
	v_add_co_ci_u32_e64 v58, s0, 0, v58, s0
	s_add_u32 s14, s14, 1
	s_addc_u32 s15, s15, 0
	s_and_not1_b32 s0, s20, exec_lo
	s_waitcnt vmcnt(0)
	v_cmp_ne_u32_e32 vcc_lo, v59, v60
	s_and_b32 s20, vcc_lo, exec_lo
	s_delay_alu instid0(SALU_CYCLE_1)
	s_or_b32 s20, s0, s20
.LBB439_1170:                           ;   in Loop: Header=BB439_1171 Depth=1
	v_dual_mov_b32 v60, s15 :: v_dual_mov_b32 v59, s14
	s_and_b32 s0, exec_lo, s20
	s_delay_alu instid0(SALU_CYCLE_1) | instskip(NEXT) | instid1(SALU_CYCLE_1)
	s_or_b32 s19, s0, s19
	s_and_not1_b32 exec_lo, exec_lo, s19
	s_cbranch_execz .LBB439_1174
.LBB439_1171:                           ; =>This Inner Loop Header: Depth=1
	s_or_b32 s20, s20, exec_lo
	s_cmp_eq_u64 s[12:13], s[14:15]
	s_cbranch_scc0 .LBB439_1169
; %bb.1172:                             ;   in Loop: Header=BB439_1171 Depth=1
	s_mov_b64 s[14:15], s[8:9]
                                        ; implicit-def: $vgpr21_vgpr22
                                        ; implicit-def: $vgpr57_vgpr58
	s_branch .LBB439_1170
.LBB439_1173:
	v_mov_b32_e32 v21, 0
	v_mov_b32_e32 v22, 0
	s_branch .LBB439_1176
.LBB439_1174:
	s_set_inst_prefetch_distance 0x2
	s_or_b32 exec_lo, exec_lo, s19
	v_cmp_gt_i64_e32 vcc_lo, s[8:9], v[59:60]
	s_mov_b32 s0, 0
	s_delay_alu instid0(SALU_CYCLE_1)
	v_mov_b32_e32 v22, s0
	v_cndmask_b32_e64 v21, 0, 1, vcc_lo
.LBB439_1175:
	s_or_b32 exec_lo, exec_lo, s18
.LBB439_1176:
	s_delay_alu instid0(SALU_CYCLE_1) | instskip(SKIP_2) | instid1(VALU_DEP_1)
	s_or_b32 exec_lo, exec_lo, s3
	v_add_nc_u32_e32 v57, 5, v64
	s_mov_b32 s3, exec_lo
	v_cmpx_gt_u32_e64 s6, v57
	s_cbranch_execz .LBB439_1187
; %bb.1177:
	v_cmp_ne_u32_e32 vcc_lo, 1, v63
	s_cbranch_vccnz .LBB439_1184
; %bb.1178:
	v_mul_lo_u32 v59, v20, s8
	v_mul_lo_u32 v60, v19, s9
	v_mad_u64_u32 v[57:58], null, v19, s8, 0
	v_mul_lo_u32 v61, v18, s8
	v_mul_lo_u32 v62, v17, s9
	v_mad_u64_u32 v[19:20], null, v17, s8, 0
	s_mov_b32 s18, exec_lo
	s_delay_alu instid0(VALU_DEP_4) | instskip(NEXT) | instid1(VALU_DEP_2)
	v_add3_u32 v58, v58, v60, v59
	v_add3_u32 v20, v20, v62, v61
	s_delay_alu instid0(VALU_DEP_2) | instskip(NEXT) | instid1(VALU_DEP_2)
	v_lshlrev_b64 v[57:58], 2, v[57:58]
	v_lshlrev_b64 v[19:20], 2, v[19:20]
	s_delay_alu instid0(VALU_DEP_2) | instskip(NEXT) | instid1(VALU_DEP_3)
	v_add_co_u32 v57, vcc_lo, s10, v57
	v_add_co_ci_u32_e32 v58, vcc_lo, s11, v58, vcc_lo
	s_delay_alu instid0(VALU_DEP_3) | instskip(NEXT) | instid1(VALU_DEP_4)
	v_add_co_u32 v59, vcc_lo, s10, v19
	v_add_co_ci_u32_e32 v60, vcc_lo, s11, v20, vcc_lo
	s_clause 0x1
	global_load_b32 v61, v[57:58], off
	global_load_b32 v62, v[59:60], off
	v_mov_b32_e32 v19, 1
	v_mov_b32_e32 v20, 0
	s_waitcnt vmcnt(0)
	v_cmpx_eq_u32_e64 v61, v62
	s_cbranch_execz .LBB439_1186
; %bb.1179:
	v_add_co_u32 v19, vcc_lo, v59, 4
	v_add_co_ci_u32_e32 v20, vcc_lo, 0, v60, vcc_lo
	v_add_co_u32 v57, vcc_lo, v57, 4
	v_add_co_ci_u32_e32 v58, vcc_lo, 0, v58, vcc_lo
	s_add_u32 s12, s8, -1
	s_addc_u32 s13, s9, -1
	s_mov_b64 s[14:15], 0
	s_mov_b32 s19, 0
                                        ; implicit-def: $sgpr20
	s_set_inst_prefetch_distance 0x1
	s_branch .LBB439_1182
	.p2align	6
.LBB439_1180:                           ;   in Loop: Header=BB439_1182 Depth=1
	global_load_b32 v59, v[57:58], off
	global_load_b32 v60, v[19:20], off
	v_add_co_u32 v19, vcc_lo, v19, 4
	v_add_co_ci_u32_e32 v20, vcc_lo, 0, v20, vcc_lo
	v_add_co_u32 v57, s0, v57, 4
	s_delay_alu instid0(VALU_DEP_1)
	v_add_co_ci_u32_e64 v58, s0, 0, v58, s0
	s_add_u32 s14, s14, 1
	s_addc_u32 s15, s15, 0
	s_and_not1_b32 s0, s20, exec_lo
	s_waitcnt vmcnt(0)
	v_cmp_ne_u32_e32 vcc_lo, v59, v60
	s_and_b32 s20, vcc_lo, exec_lo
	s_delay_alu instid0(SALU_CYCLE_1)
	s_or_b32 s20, s0, s20
.LBB439_1181:                           ;   in Loop: Header=BB439_1182 Depth=1
	v_dual_mov_b32 v60, s15 :: v_dual_mov_b32 v59, s14
	s_and_b32 s0, exec_lo, s20
	s_delay_alu instid0(SALU_CYCLE_1) | instskip(NEXT) | instid1(SALU_CYCLE_1)
	s_or_b32 s19, s0, s19
	s_and_not1_b32 exec_lo, exec_lo, s19
	s_cbranch_execz .LBB439_1185
.LBB439_1182:                           ; =>This Inner Loop Header: Depth=1
	s_or_b32 s20, s20, exec_lo
	s_cmp_eq_u64 s[12:13], s[14:15]
	s_cbranch_scc0 .LBB439_1180
; %bb.1183:                             ;   in Loop: Header=BB439_1182 Depth=1
	s_mov_b64 s[14:15], s[8:9]
                                        ; implicit-def: $vgpr19_vgpr20
                                        ; implicit-def: $vgpr57_vgpr58
	s_branch .LBB439_1181
.LBB439_1184:
	v_mov_b32_e32 v19, 0
	v_mov_b32_e32 v20, 0
	s_branch .LBB439_1187
.LBB439_1185:
	s_set_inst_prefetch_distance 0x2
	s_or_b32 exec_lo, exec_lo, s19
	v_cmp_gt_i64_e32 vcc_lo, s[8:9], v[59:60]
	s_mov_b32 s0, 0
	s_delay_alu instid0(SALU_CYCLE_1)
	v_mov_b32_e32 v20, s0
	v_cndmask_b32_e64 v19, 0, 1, vcc_lo
.LBB439_1186:
	s_or_b32 exec_lo, exec_lo, s18
.LBB439_1187:
	s_delay_alu instid0(SALU_CYCLE_1) | instskip(SKIP_2) | instid1(VALU_DEP_1)
	s_or_b32 exec_lo, exec_lo, s3
	v_add_nc_u32_e32 v57, 4, v64
	s_mov_b32 s3, exec_lo
	v_cmpx_gt_u32_e64 s6, v57
	s_cbranch_execz .LBB439_1198
; %bb.1188:
	v_cmp_ne_u32_e32 vcc_lo, 1, v63
	s_cbranch_vccnz .LBB439_1195
; %bb.1189:
	v_mul_lo_u32 v59, v18, s8
	v_mul_lo_u32 v60, v17, s9
	v_mad_u64_u32 v[57:58], null, v17, s8, 0
	v_mul_lo_u32 v61, v16, s8
	v_mul_lo_u32 v62, v15, s9
	v_mad_u64_u32 v[17:18], null, v15, s8, 0
	s_mov_b32 s18, exec_lo
	s_delay_alu instid0(VALU_DEP_4) | instskip(NEXT) | instid1(VALU_DEP_2)
	v_add3_u32 v58, v58, v60, v59
	v_add3_u32 v18, v18, v62, v61
	s_delay_alu instid0(VALU_DEP_2) | instskip(NEXT) | instid1(VALU_DEP_2)
	v_lshlrev_b64 v[57:58], 2, v[57:58]
	v_lshlrev_b64 v[17:18], 2, v[17:18]
	s_delay_alu instid0(VALU_DEP_2) | instskip(NEXT) | instid1(VALU_DEP_3)
	v_add_co_u32 v57, vcc_lo, s10, v57
	v_add_co_ci_u32_e32 v58, vcc_lo, s11, v58, vcc_lo
	s_delay_alu instid0(VALU_DEP_3) | instskip(NEXT) | instid1(VALU_DEP_4)
	v_add_co_u32 v59, vcc_lo, s10, v17
	v_add_co_ci_u32_e32 v60, vcc_lo, s11, v18, vcc_lo
	s_clause 0x1
	global_load_b32 v61, v[57:58], off
	global_load_b32 v62, v[59:60], off
	v_mov_b32_e32 v17, 1
	v_mov_b32_e32 v18, 0
	s_waitcnt vmcnt(0)
	v_cmpx_eq_u32_e64 v61, v62
	s_cbranch_execz .LBB439_1197
; %bb.1190:
	v_add_co_u32 v17, vcc_lo, v59, 4
	v_add_co_ci_u32_e32 v18, vcc_lo, 0, v60, vcc_lo
	v_add_co_u32 v57, vcc_lo, v57, 4
	v_add_co_ci_u32_e32 v58, vcc_lo, 0, v58, vcc_lo
	s_add_u32 s12, s8, -1
	s_addc_u32 s13, s9, -1
	s_mov_b64 s[14:15], 0
	s_mov_b32 s19, 0
                                        ; implicit-def: $sgpr20
	s_set_inst_prefetch_distance 0x1
	s_branch .LBB439_1193
	.p2align	6
.LBB439_1191:                           ;   in Loop: Header=BB439_1193 Depth=1
	global_load_b32 v59, v[57:58], off
	global_load_b32 v60, v[17:18], off
	v_add_co_u32 v17, vcc_lo, v17, 4
	v_add_co_ci_u32_e32 v18, vcc_lo, 0, v18, vcc_lo
	v_add_co_u32 v57, s0, v57, 4
	s_delay_alu instid0(VALU_DEP_1)
	v_add_co_ci_u32_e64 v58, s0, 0, v58, s0
	s_add_u32 s14, s14, 1
	s_addc_u32 s15, s15, 0
	s_and_not1_b32 s0, s20, exec_lo
	s_waitcnt vmcnt(0)
	v_cmp_ne_u32_e32 vcc_lo, v59, v60
	s_and_b32 s20, vcc_lo, exec_lo
	s_delay_alu instid0(SALU_CYCLE_1)
	s_or_b32 s20, s0, s20
.LBB439_1192:                           ;   in Loop: Header=BB439_1193 Depth=1
	v_dual_mov_b32 v60, s15 :: v_dual_mov_b32 v59, s14
	s_and_b32 s0, exec_lo, s20
	s_delay_alu instid0(SALU_CYCLE_1) | instskip(NEXT) | instid1(SALU_CYCLE_1)
	s_or_b32 s19, s0, s19
	s_and_not1_b32 exec_lo, exec_lo, s19
	s_cbranch_execz .LBB439_1196
.LBB439_1193:                           ; =>This Inner Loop Header: Depth=1
	s_or_b32 s20, s20, exec_lo
	s_cmp_eq_u64 s[12:13], s[14:15]
	s_cbranch_scc0 .LBB439_1191
; %bb.1194:                             ;   in Loop: Header=BB439_1193 Depth=1
	s_mov_b64 s[14:15], s[8:9]
                                        ; implicit-def: $vgpr17_vgpr18
                                        ; implicit-def: $vgpr57_vgpr58
	s_branch .LBB439_1192
.LBB439_1195:
	v_mov_b32_e32 v17, 0
	v_mov_b32_e32 v18, 0
	s_branch .LBB439_1198
.LBB439_1196:
	s_set_inst_prefetch_distance 0x2
	s_or_b32 exec_lo, exec_lo, s19
	v_cmp_gt_i64_e32 vcc_lo, s[8:9], v[59:60]
	s_mov_b32 s0, 0
	s_delay_alu instid0(SALU_CYCLE_1)
	v_mov_b32_e32 v18, s0
	v_cndmask_b32_e64 v17, 0, 1, vcc_lo
.LBB439_1197:
	s_or_b32 exec_lo, exec_lo, s18
.LBB439_1198:
	s_delay_alu instid0(SALU_CYCLE_1) | instskip(SKIP_2) | instid1(VALU_DEP_1)
	s_or_b32 exec_lo, exec_lo, s3
	v_add_nc_u32_e32 v57, 3, v64
	s_mov_b32 s3, exec_lo
	v_cmpx_gt_u32_e64 s6, v57
	s_cbranch_execz .LBB439_1209
; %bb.1199:
	v_cmp_ne_u32_e32 vcc_lo, 1, v63
	s_cbranch_vccnz .LBB439_1206
; %bb.1200:
	v_mul_lo_u32 v59, v16, s8
	v_mul_lo_u32 v60, v15, s9
	v_mad_u64_u32 v[57:58], null, v15, s8, 0
	v_mul_lo_u32 v61, v14, s8
	v_mul_lo_u32 v62, v13, s9
	v_mad_u64_u32 v[15:16], null, v13, s8, 0
	s_mov_b32 s18, exec_lo
	s_delay_alu instid0(VALU_DEP_4) | instskip(NEXT) | instid1(VALU_DEP_2)
	v_add3_u32 v58, v58, v60, v59
	v_add3_u32 v16, v16, v62, v61
	s_delay_alu instid0(VALU_DEP_2) | instskip(NEXT) | instid1(VALU_DEP_2)
	v_lshlrev_b64 v[57:58], 2, v[57:58]
	v_lshlrev_b64 v[15:16], 2, v[15:16]
	s_delay_alu instid0(VALU_DEP_2) | instskip(NEXT) | instid1(VALU_DEP_3)
	v_add_co_u32 v57, vcc_lo, s10, v57
	v_add_co_ci_u32_e32 v58, vcc_lo, s11, v58, vcc_lo
	s_delay_alu instid0(VALU_DEP_3) | instskip(NEXT) | instid1(VALU_DEP_4)
	v_add_co_u32 v59, vcc_lo, s10, v15
	v_add_co_ci_u32_e32 v60, vcc_lo, s11, v16, vcc_lo
	s_clause 0x1
	global_load_b32 v61, v[57:58], off
	global_load_b32 v62, v[59:60], off
	v_mov_b32_e32 v15, 1
	v_mov_b32_e32 v16, 0
	s_waitcnt vmcnt(0)
	v_cmpx_eq_u32_e64 v61, v62
	s_cbranch_execz .LBB439_1208
; %bb.1201:
	v_add_co_u32 v15, vcc_lo, v59, 4
	v_add_co_ci_u32_e32 v16, vcc_lo, 0, v60, vcc_lo
	v_add_co_u32 v57, vcc_lo, v57, 4
	v_add_co_ci_u32_e32 v58, vcc_lo, 0, v58, vcc_lo
	s_add_u32 s12, s8, -1
	s_addc_u32 s13, s9, -1
	s_mov_b64 s[14:15], 0
	s_mov_b32 s19, 0
                                        ; implicit-def: $sgpr20
	s_set_inst_prefetch_distance 0x1
	s_branch .LBB439_1204
	.p2align	6
.LBB439_1202:                           ;   in Loop: Header=BB439_1204 Depth=1
	global_load_b32 v59, v[57:58], off
	global_load_b32 v60, v[15:16], off
	v_add_co_u32 v15, vcc_lo, v15, 4
	v_add_co_ci_u32_e32 v16, vcc_lo, 0, v16, vcc_lo
	v_add_co_u32 v57, s0, v57, 4
	s_delay_alu instid0(VALU_DEP_1)
	v_add_co_ci_u32_e64 v58, s0, 0, v58, s0
	s_add_u32 s14, s14, 1
	s_addc_u32 s15, s15, 0
	s_and_not1_b32 s0, s20, exec_lo
	s_waitcnt vmcnt(0)
	v_cmp_ne_u32_e32 vcc_lo, v59, v60
	s_and_b32 s20, vcc_lo, exec_lo
	s_delay_alu instid0(SALU_CYCLE_1)
	s_or_b32 s20, s0, s20
.LBB439_1203:                           ;   in Loop: Header=BB439_1204 Depth=1
	v_dual_mov_b32 v60, s15 :: v_dual_mov_b32 v59, s14
	s_and_b32 s0, exec_lo, s20
	s_delay_alu instid0(SALU_CYCLE_1) | instskip(NEXT) | instid1(SALU_CYCLE_1)
	s_or_b32 s19, s0, s19
	s_and_not1_b32 exec_lo, exec_lo, s19
	s_cbranch_execz .LBB439_1207
.LBB439_1204:                           ; =>This Inner Loop Header: Depth=1
	s_or_b32 s20, s20, exec_lo
	s_cmp_eq_u64 s[12:13], s[14:15]
	s_cbranch_scc0 .LBB439_1202
; %bb.1205:                             ;   in Loop: Header=BB439_1204 Depth=1
	s_mov_b64 s[14:15], s[8:9]
                                        ; implicit-def: $vgpr15_vgpr16
                                        ; implicit-def: $vgpr57_vgpr58
	s_branch .LBB439_1203
.LBB439_1206:
	v_mov_b32_e32 v15, 0
	v_mov_b32_e32 v16, 0
	s_branch .LBB439_1209
.LBB439_1207:
	s_set_inst_prefetch_distance 0x2
	s_or_b32 exec_lo, exec_lo, s19
	v_cmp_gt_i64_e32 vcc_lo, s[8:9], v[59:60]
	s_mov_b32 s0, 0
	s_delay_alu instid0(SALU_CYCLE_1)
	v_mov_b32_e32 v16, s0
	v_cndmask_b32_e64 v15, 0, 1, vcc_lo
.LBB439_1208:
	s_or_b32 exec_lo, exec_lo, s18
.LBB439_1209:
	s_delay_alu instid0(SALU_CYCLE_1) | instskip(SKIP_2) | instid1(VALU_DEP_1)
	s_or_b32 exec_lo, exec_lo, s3
	v_add_nc_u32_e32 v57, 2, v64
	s_mov_b32 s3, exec_lo
	v_cmpx_gt_u32_e64 s6, v57
	s_cbranch_execz .LBB439_1220
; %bb.1210:
	v_cmp_ne_u32_e32 vcc_lo, 1, v63
	s_cbranch_vccnz .LBB439_1217
; %bb.1211:
	v_mul_lo_u32 v59, v14, s8
	v_mul_lo_u32 v60, v13, s9
	v_mad_u64_u32 v[57:58], null, v13, s8, 0
	v_mul_lo_u32 v61, v4, s8
	v_mul_lo_u32 v62, v3, s9
	v_mad_u64_u32 v[13:14], null, v3, s8, 0
	s_mov_b32 s18, exec_lo
	s_delay_alu instid0(VALU_DEP_4) | instskip(NEXT) | instid1(VALU_DEP_2)
	v_add3_u32 v58, v58, v60, v59
	v_add3_u32 v14, v14, v62, v61
	s_delay_alu instid0(VALU_DEP_2) | instskip(NEXT) | instid1(VALU_DEP_2)
	v_lshlrev_b64 v[57:58], 2, v[57:58]
	v_lshlrev_b64 v[13:14], 2, v[13:14]
	s_delay_alu instid0(VALU_DEP_2) | instskip(NEXT) | instid1(VALU_DEP_3)
	v_add_co_u32 v57, vcc_lo, s10, v57
	v_add_co_ci_u32_e32 v58, vcc_lo, s11, v58, vcc_lo
	s_delay_alu instid0(VALU_DEP_3) | instskip(NEXT) | instid1(VALU_DEP_4)
	v_add_co_u32 v59, vcc_lo, s10, v13
	v_add_co_ci_u32_e32 v60, vcc_lo, s11, v14, vcc_lo
	s_clause 0x1
	global_load_b32 v61, v[57:58], off
	global_load_b32 v62, v[59:60], off
	v_mov_b32_e32 v13, 1
	v_mov_b32_e32 v14, 0
	s_waitcnt vmcnt(0)
	v_cmpx_eq_u32_e64 v61, v62
	s_cbranch_execz .LBB439_1219
; %bb.1212:
	v_add_co_u32 v13, vcc_lo, v59, 4
	v_add_co_ci_u32_e32 v14, vcc_lo, 0, v60, vcc_lo
	v_add_co_u32 v57, vcc_lo, v57, 4
	v_add_co_ci_u32_e32 v58, vcc_lo, 0, v58, vcc_lo
	s_add_u32 s12, s8, -1
	s_addc_u32 s13, s9, -1
	s_mov_b64 s[14:15], 0
	s_mov_b32 s19, 0
                                        ; implicit-def: $sgpr20
	s_set_inst_prefetch_distance 0x1
	s_branch .LBB439_1215
	.p2align	6
.LBB439_1213:                           ;   in Loop: Header=BB439_1215 Depth=1
	global_load_b32 v59, v[57:58], off
	global_load_b32 v60, v[13:14], off
	v_add_co_u32 v13, vcc_lo, v13, 4
	v_add_co_ci_u32_e32 v14, vcc_lo, 0, v14, vcc_lo
	v_add_co_u32 v57, s0, v57, 4
	s_delay_alu instid0(VALU_DEP_1)
	v_add_co_ci_u32_e64 v58, s0, 0, v58, s0
	s_add_u32 s14, s14, 1
	s_addc_u32 s15, s15, 0
	s_and_not1_b32 s0, s20, exec_lo
	s_waitcnt vmcnt(0)
	v_cmp_ne_u32_e32 vcc_lo, v59, v60
	s_and_b32 s20, vcc_lo, exec_lo
	s_delay_alu instid0(SALU_CYCLE_1)
	s_or_b32 s20, s0, s20
.LBB439_1214:                           ;   in Loop: Header=BB439_1215 Depth=1
	v_dual_mov_b32 v60, s15 :: v_dual_mov_b32 v59, s14
	s_and_b32 s0, exec_lo, s20
	s_delay_alu instid0(SALU_CYCLE_1) | instskip(NEXT) | instid1(SALU_CYCLE_1)
	s_or_b32 s19, s0, s19
	s_and_not1_b32 exec_lo, exec_lo, s19
	s_cbranch_execz .LBB439_1218
.LBB439_1215:                           ; =>This Inner Loop Header: Depth=1
	s_or_b32 s20, s20, exec_lo
	s_cmp_eq_u64 s[12:13], s[14:15]
	s_cbranch_scc0 .LBB439_1213
; %bb.1216:                             ;   in Loop: Header=BB439_1215 Depth=1
	s_mov_b64 s[14:15], s[8:9]
                                        ; implicit-def: $vgpr13_vgpr14
                                        ; implicit-def: $vgpr57_vgpr58
	s_branch .LBB439_1214
.LBB439_1217:
	v_mov_b32_e32 v13, 0
	v_mov_b32_e32 v14, 0
	s_branch .LBB439_1220
.LBB439_1218:
	s_set_inst_prefetch_distance 0x2
	s_or_b32 exec_lo, exec_lo, s19
	v_cmp_gt_i64_e32 vcc_lo, s[8:9], v[59:60]
	s_mov_b32 s0, 0
	s_delay_alu instid0(SALU_CYCLE_1)
	v_mov_b32_e32 v14, s0
	v_cndmask_b32_e64 v13, 0, 1, vcc_lo
.LBB439_1219:
	s_or_b32 exec_lo, exec_lo, s18
.LBB439_1220:
	s_delay_alu instid0(SALU_CYCLE_1) | instskip(SKIP_2) | instid1(VALU_DEP_1)
	s_or_b32 exec_lo, exec_lo, s3
	v_add_nc_u32_e32 v57, 1, v64
	s_mov_b32 s3, exec_lo
	v_cmpx_gt_u32_e64 s6, v57
	s_cbranch_execz .LBB439_1231
; %bb.1221:
	v_cmp_ne_u32_e32 vcc_lo, 1, v63
	s_cbranch_vccnz .LBB439_1228
; %bb.1222:
	v_mul_lo_u32 v59, v4, s8
	v_mul_lo_u32 v60, v3, s9
	v_mad_u64_u32 v[57:58], null, v3, s8, 0
	v_mul_lo_u32 v61, v2, s8
	v_mul_lo_u32 v62, v1, s9
	v_mad_u64_u32 v[3:4], null, v1, s8, 0
	s_mov_b32 s18, exec_lo
	s_delay_alu instid0(VALU_DEP_4) | instskip(NEXT) | instid1(VALU_DEP_2)
	v_add3_u32 v58, v58, v60, v59
	v_add3_u32 v4, v4, v62, v61
	s_delay_alu instid0(VALU_DEP_2) | instskip(NEXT) | instid1(VALU_DEP_2)
	v_lshlrev_b64 v[57:58], 2, v[57:58]
	v_lshlrev_b64 v[3:4], 2, v[3:4]
	s_delay_alu instid0(VALU_DEP_2) | instskip(NEXT) | instid1(VALU_DEP_3)
	v_add_co_u32 v57, vcc_lo, s10, v57
	v_add_co_ci_u32_e32 v58, vcc_lo, s11, v58, vcc_lo
	s_delay_alu instid0(VALU_DEP_3) | instskip(NEXT) | instid1(VALU_DEP_4)
	v_add_co_u32 v59, vcc_lo, s10, v3
	v_add_co_ci_u32_e32 v60, vcc_lo, s11, v4, vcc_lo
	s_clause 0x1
	global_load_b32 v61, v[57:58], off
	global_load_b32 v62, v[59:60], off
	v_mov_b32_e32 v3, 1
	v_mov_b32_e32 v4, 0
	s_waitcnt vmcnt(0)
	v_cmpx_eq_u32_e64 v61, v62
	s_cbranch_execz .LBB439_1230
; %bb.1223:
	v_add_co_u32 v3, vcc_lo, v59, 4
	v_add_co_ci_u32_e32 v4, vcc_lo, 0, v60, vcc_lo
	v_add_co_u32 v57, vcc_lo, v57, 4
	v_add_co_ci_u32_e32 v58, vcc_lo, 0, v58, vcc_lo
	s_add_u32 s12, s8, -1
	s_addc_u32 s13, s9, -1
	s_mov_b64 s[14:15], 0
	s_mov_b32 s19, 0
                                        ; implicit-def: $sgpr20
	s_set_inst_prefetch_distance 0x1
	s_branch .LBB439_1226
	.p2align	6
.LBB439_1224:                           ;   in Loop: Header=BB439_1226 Depth=1
	global_load_b32 v59, v[57:58], off
	global_load_b32 v60, v[3:4], off
	v_add_co_u32 v3, vcc_lo, v3, 4
	v_add_co_ci_u32_e32 v4, vcc_lo, 0, v4, vcc_lo
	v_add_co_u32 v57, s0, v57, 4
	s_delay_alu instid0(VALU_DEP_1)
	v_add_co_ci_u32_e64 v58, s0, 0, v58, s0
	s_add_u32 s14, s14, 1
	s_addc_u32 s15, s15, 0
	s_and_not1_b32 s0, s20, exec_lo
	s_waitcnt vmcnt(0)
	v_cmp_ne_u32_e32 vcc_lo, v59, v60
	s_and_b32 s20, vcc_lo, exec_lo
	s_delay_alu instid0(SALU_CYCLE_1)
	s_or_b32 s20, s0, s20
.LBB439_1225:                           ;   in Loop: Header=BB439_1226 Depth=1
	v_dual_mov_b32 v60, s15 :: v_dual_mov_b32 v59, s14
	s_and_b32 s0, exec_lo, s20
	s_delay_alu instid0(SALU_CYCLE_1) | instskip(NEXT) | instid1(SALU_CYCLE_1)
	s_or_b32 s19, s0, s19
	s_and_not1_b32 exec_lo, exec_lo, s19
	s_cbranch_execz .LBB439_1229
.LBB439_1226:                           ; =>This Inner Loop Header: Depth=1
	s_or_b32 s20, s20, exec_lo
	s_cmp_eq_u64 s[12:13], s[14:15]
	s_cbranch_scc0 .LBB439_1224
; %bb.1227:                             ;   in Loop: Header=BB439_1226 Depth=1
	s_mov_b64 s[14:15], s[8:9]
                                        ; implicit-def: $vgpr3_vgpr4
                                        ; implicit-def: $vgpr57_vgpr58
	s_branch .LBB439_1225
.LBB439_1228:
	v_mov_b32_e32 v3, 0
	v_mov_b32_e32 v4, 0
	s_branch .LBB439_1231
.LBB439_1229:
	s_set_inst_prefetch_distance 0x2
	s_or_b32 exec_lo, exec_lo, s19
	v_cmp_gt_i64_e32 vcc_lo, s[8:9], v[59:60]
	s_mov_b32 s0, 0
	s_delay_alu instid0(SALU_CYCLE_1)
	v_mov_b32_e32 v4, s0
	v_cndmask_b32_e64 v3, 0, 1, vcc_lo
.LBB439_1230:
	s_or_b32 exec_lo, exec_lo, s18
.LBB439_1231:
	s_delay_alu instid0(SALU_CYCLE_1)
	s_or_b32 exec_lo, exec_lo, s3
	v_cmp_ne_u32_e32 vcc_lo, 0, v0
	v_cmp_gt_u32_e64 s0, s6, v64
	s_mov_b32 s12, 0
	s_waitcnt lgkmcnt(0)
	s_barrier
	buffer_gl0_inv
	s_and_b32 s13, vcc_lo, s0
                                        ; implicit-def: $sgpr0
	s_delay_alu instid0(SALU_CYCLE_1)
	s_and_saveexec_b32 s3, s13
	s_cbranch_execz .LBB439_1242
; %bb.1232:
	v_cmp_ne_u32_e32 vcc_lo, 1, v63
	s_cbranch_vccnz .LBB439_1241
; %bb.1233:
	v_add_nc_u32_e32 v57, -8, v195
	v_mul_lo_u32 v61, v2, s8
	v_mul_lo_u32 v62, v1, s9
	v_mad_u64_u32 v[59:60], null, v1, s8, 0
	ds_load_b64 v[57:58], v57
	s_mov_b32 s12, -1
	s_mov_b32 s14, exec_lo
	v_add3_u32 v60, v60, v62, v61
	s_waitcnt lgkmcnt(0)
	v_mul_lo_u32 v58, v58, s8
	v_mul_lo_u32 v63, v57, s9
	v_mad_u64_u32 v[1:2], null, v57, s8, 0
	s_delay_alu instid0(VALU_DEP_1) | instskip(SKIP_1) | instid1(VALU_DEP_2)
	v_add3_u32 v2, v2, v63, v58
	v_lshlrev_b64 v[57:58], 2, v[59:60]
	v_lshlrev_b64 v[1:2], 2, v[1:2]
	s_delay_alu instid0(VALU_DEP_2) | instskip(NEXT) | instid1(VALU_DEP_3)
	v_add_co_u32 v57, vcc_lo, s10, v57
	v_add_co_ci_u32_e32 v58, vcc_lo, s11, v58, vcc_lo
	s_delay_alu instid0(VALU_DEP_3) | instskip(NEXT) | instid1(VALU_DEP_4)
	v_add_co_u32 v1, vcc_lo, s10, v1
	v_add_co_ci_u32_e32 v2, vcc_lo, s11, v2, vcc_lo
	s_clause 0x1
	global_load_b32 v59, v[57:58], off
	global_load_b32 v60, v[1:2], off
	s_waitcnt vmcnt(0)
	v_cmpx_eq_u32_e64 v59, v60
	s_cbranch_execz .LBB439_1240
; %bb.1234:
	v_add_co_u32 v1, vcc_lo, v1, 4
	v_add_co_ci_u32_e32 v2, vcc_lo, 0, v2, vcc_lo
	v_add_co_u32 v57, vcc_lo, v57, 4
	v_add_co_ci_u32_e32 v58, vcc_lo, 0, v58, vcc_lo
	s_add_u32 s10, s8, -1
	s_addc_u32 s11, s9, -1
	s_mov_b64 s[12:13], 0
	s_mov_b32 s15, 0
                                        ; implicit-def: $sgpr18
	s_set_inst_prefetch_distance 0x1
	s_branch .LBB439_1237
	.p2align	6
.LBB439_1235:                           ;   in Loop: Header=BB439_1237 Depth=1
	global_load_b32 v59, v[57:58], off
	global_load_b32 v60, v[1:2], off
	v_add_co_u32 v1, vcc_lo, v1, 4
	v_add_co_ci_u32_e32 v2, vcc_lo, 0, v2, vcc_lo
	v_add_co_u32 v57, s0, v57, 4
	s_delay_alu instid0(VALU_DEP_1)
	v_add_co_ci_u32_e64 v58, s0, 0, v58, s0
	s_add_u32 s12, s12, 1
	s_addc_u32 s13, s13, 0
	s_and_not1_b32 s0, s18, exec_lo
	s_waitcnt vmcnt(0)
	v_cmp_ne_u32_e32 vcc_lo, v59, v60
	s_and_b32 s18, vcc_lo, exec_lo
	s_delay_alu instid0(SALU_CYCLE_1)
	s_or_b32 s18, s0, s18
.LBB439_1236:                           ;   in Loop: Header=BB439_1237 Depth=1
	v_dual_mov_b32 v60, s13 :: v_dual_mov_b32 v59, s12
	s_and_b32 s0, exec_lo, s18
	s_delay_alu instid0(SALU_CYCLE_1) | instskip(NEXT) | instid1(SALU_CYCLE_1)
	s_or_b32 s15, s0, s15
	s_and_not1_b32 exec_lo, exec_lo, s15
	s_cbranch_execz .LBB439_1239
.LBB439_1237:                           ; =>This Inner Loop Header: Depth=1
	s_or_b32 s18, s18, exec_lo
	s_cmp_eq_u64 s[10:11], s[12:13]
	s_cbranch_scc0 .LBB439_1235
; %bb.1238:                             ;   in Loop: Header=BB439_1237 Depth=1
	s_mov_b64 s[12:13], s[8:9]
                                        ; implicit-def: $vgpr1_vgpr2
                                        ; implicit-def: $vgpr57_vgpr58
	s_branch .LBB439_1236
.LBB439_1239:
	s_set_inst_prefetch_distance 0x2
	s_or_b32 exec_lo, exec_lo, s15
	v_cmp_gt_i64_e32 vcc_lo, s[8:9], v[59:60]
	s_or_not1_b32 s12, vcc_lo, exec_lo
.LBB439_1240:
	s_or_b32 exec_lo, exec_lo, s14
.LBB439_1241:
	s_delay_alu instid0(SALU_CYCLE_1)
	s_and_b32 s0, s12, exec_lo
	s_or_b32 s1, s1, exec_lo
.LBB439_1242:
	s_or_b32 exec_lo, exec_lo, s3
	v_dual_mov_b32 v166, v4 :: v_dual_mov_b32 v165, v3
	v_dual_mov_b32 v164, v14 :: v_dual_mov_b32 v163, v13
	;; [unrolled: 1-line block ×55, first 2 shown]
.LBB439_1243:
	s_and_saveexec_b32 s3, s1
	s_cbranch_execz .LBB439_1245
; %bb.1244:
	s_mov_b32 s1, 0
	v_dual_mov_b32 v194, v114 :: v_dual_mov_b32 v63, v117
	v_dual_mov_b32 v2, s1 :: v_dual_mov_b32 v59, v115
	;; [unrolled: 1-line block ×13, first 2 shown]
	v_mov_b32_e32 v168, v164
	v_dual_mov_b32 v182, v166 :: v_dual_mov_b32 v181, v165
	v_cndmask_b32_e64 v1, 0, 1, s0
	v_dual_mov_b32 v60, v116 :: v_dual_mov_b32 v193, v113
	v_dual_mov_b32 v64, v118 :: v_dual_mov_b32 v191, v119
	;; [unrolled: 1-line block ×13, first 2 shown]
.LBB439_1245:
	s_or_b32 exec_lo, exec_lo, s3
	v_mul_u32_u24_e32 v65, 0xe8, v0
	v_mul_i32_i24_e32 v66, 0xffffff20, v0
	s_add_u32 s8, s4, s16
	s_addc_u32 s4, s5, s17
	s_and_b32 vcc_lo, exec_lo, s26
	s_waitcnt lgkmcnt(0)
	s_barrier
	buffer_gl0_inv
	s_cbranch_vccz .LBB439_1303
; %bb.1246:
	v_dual_mov_b32 v3, v181 :: v_dual_mov_b32 v4, v182
	s_mov_b32 s3, 0
	ds_store_2addr_b64 v65, v[169:170], v[103:104] offset0:4 offset1:5
	ds_store_2addr_b64 v65, v[171:172], v[99:100] offset0:6 offset1:7
	ds_store_2addr_b64 v65, v[1:2], v[3:4] offset1:1
	ds_store_2addr_b64 v65, v[167:168], v[107:108] offset0:2 offset1:3
	ds_store_2addr_b64 v65, v[173:174], v[95:96] offset0:8 offset1:9
	;; [unrolled: 1-line block ×11, first 2 shown]
	v_mad_u32_u24 v3, 0xe8, v0, v66
	ds_store_b64 v65, v[111:112] offset:224
	s_waitcnt lgkmcnt(0)
	s_barrier
	buffer_gl0_inv
	ds_load_2addr_stride64_b64 v[55:58], v3 offset0:2 offset1:4
	ds_load_2addr_stride64_b64 v[51:54], v3 offset0:6 offset1:8
	;; [unrolled: 1-line block ×14, first 2 shown]
	s_lshl_b64 s[0:1], s[2:3], 3
	s_add_i32 s7, s7, s6
	s_add_u32 s0, s8, s0
	s_addc_u32 s1, s4, s1
	v_add_co_u32 v61, s0, s0, v195
	s_delay_alu instid0(VALU_DEP_1)
	v_add_co_ci_u32_e64 v62, null, s1, 0, s0
	s_mov_b32 s0, exec_lo
	v_cmpx_gt_u32_e64 s7, v0
	s_cbranch_execz .LBB439_1248
; %bb.1247:
	v_add_nc_u32_e32 v69, v65, v66
	ds_load_b64 v[69:70], v69
	s_waitcnt lgkmcnt(0)
	global_store_b64 v[61:62], v[69:70], off
.LBB439_1248:
	s_or_b32 exec_lo, exec_lo, s0
	v_or_b32_e32 v69, 0x80, v0
	s_mov_b32 s0, exec_lo
	s_delay_alu instid0(VALU_DEP_1)
	v_cmpx_gt_u32_e64 s7, v69
	s_cbranch_execz .LBB439_1250
; %bb.1249:
	s_waitcnt lgkmcnt(13)
	global_store_b64 v[61:62], v[55:56], off offset:1024
.LBB439_1250:
	s_or_b32 exec_lo, exec_lo, s0
	s_waitcnt lgkmcnt(13)
	v_or_b32_e32 v55, 0x100, v0
	s_mov_b32 s0, exec_lo
	s_delay_alu instid0(VALU_DEP_1)
	v_cmpx_gt_u32_e64 s7, v55
	s_cbranch_execz .LBB439_1252
; %bb.1251:
	global_store_b64 v[61:62], v[57:58], off offset:2048
.LBB439_1252:
	s_or_b32 exec_lo, exec_lo, s0
	v_or_b32_e32 v55, 0x180, v0
	s_mov_b32 s0, exec_lo
	s_delay_alu instid0(VALU_DEP_1)
	v_cmpx_gt_u32_e64 s7, v55
	s_cbranch_execz .LBB439_1254
; %bb.1253:
	s_waitcnt lgkmcnt(12)
	global_store_b64 v[61:62], v[51:52], off offset:3072
.LBB439_1254:
	s_or_b32 exec_lo, exec_lo, s0
	s_waitcnt lgkmcnt(12)
	v_or_b32_e32 v51, 0x200, v0
	s_mov_b32 s0, exec_lo
	s_delay_alu instid0(VALU_DEP_1)
	v_cmpx_gt_u32_e64 s7, v51
	s_cbranch_execz .LBB439_1256
; %bb.1255:
	v_add_co_u32 v51, vcc_lo, 0x1000, v61
	v_add_co_ci_u32_e32 v52, vcc_lo, 0, v62, vcc_lo
	global_store_b64 v[51:52], v[53:54], off
.LBB439_1256:
	s_or_b32 exec_lo, exec_lo, s0
	v_or_b32_e32 v51, 0x280, v0
	s_mov_b32 s0, exec_lo
	s_delay_alu instid0(VALU_DEP_1)
	v_cmpx_gt_u32_e64 s7, v51
	s_cbranch_execz .LBB439_1258
; %bb.1257:
	v_add_co_u32 v51, vcc_lo, 0x1000, v61
	v_add_co_ci_u32_e32 v52, vcc_lo, 0, v62, vcc_lo
	s_waitcnt lgkmcnt(11)
	global_store_b64 v[51:52], v[47:48], off offset:1024
.LBB439_1258:
	s_or_b32 exec_lo, exec_lo, s0
	s_waitcnt lgkmcnt(11)
	v_or_b32_e32 v47, 0x300, v0
	s_mov_b32 s0, exec_lo
	s_delay_alu instid0(VALU_DEP_1)
	v_cmpx_gt_u32_e64 s7, v47
	s_cbranch_execz .LBB439_1260
; %bb.1259:
	v_add_co_u32 v47, vcc_lo, 0x1000, v61
	v_add_co_ci_u32_e32 v48, vcc_lo, 0, v62, vcc_lo
	global_store_b64 v[47:48], v[49:50], off offset:2048
.LBB439_1260:
	s_or_b32 exec_lo, exec_lo, s0
	v_or_b32_e32 v47, 0x380, v0
	s_mov_b32 s0, exec_lo
	s_delay_alu instid0(VALU_DEP_1)
	v_cmpx_gt_u32_e64 s7, v47
	s_cbranch_execz .LBB439_1262
; %bb.1261:
	v_add_co_u32 v47, vcc_lo, 0x1000, v61
	v_add_co_ci_u32_e32 v48, vcc_lo, 0, v62, vcc_lo
	s_waitcnt lgkmcnt(10)
	global_store_b64 v[47:48], v[43:44], off offset:3072
.LBB439_1262:
	s_or_b32 exec_lo, exec_lo, s0
	s_waitcnt lgkmcnt(10)
	v_or_b32_e32 v43, 0x400, v0
	s_mov_b32 s0, exec_lo
	s_delay_alu instid0(VALU_DEP_1)
	v_cmpx_gt_u32_e64 s7, v43
	s_cbranch_execz .LBB439_1264
; %bb.1263:
	v_add_co_u32 v43, vcc_lo, 0x2000, v61
	v_add_co_ci_u32_e32 v44, vcc_lo, 0, v62, vcc_lo
	global_store_b64 v[43:44], v[45:46], off
.LBB439_1264:
	s_or_b32 exec_lo, exec_lo, s0
	v_or_b32_e32 v43, 0x480, v0
	s_mov_b32 s0, exec_lo
	s_delay_alu instid0(VALU_DEP_1)
	v_cmpx_gt_u32_e64 s7, v43
	s_cbranch_execz .LBB439_1266
; %bb.1265:
	v_add_co_u32 v43, vcc_lo, 0x2000, v61
	v_add_co_ci_u32_e32 v44, vcc_lo, 0, v62, vcc_lo
	s_waitcnt lgkmcnt(9)
	global_store_b64 v[43:44], v[39:40], off offset:1024
.LBB439_1266:
	s_or_b32 exec_lo, exec_lo, s0
	s_waitcnt lgkmcnt(9)
	v_or_b32_e32 v39, 0x500, v0
	s_mov_b32 s0, exec_lo
	s_delay_alu instid0(VALU_DEP_1)
	v_cmpx_gt_u32_e64 s7, v39
	s_cbranch_execz .LBB439_1268
; %bb.1267:
	v_add_co_u32 v39, vcc_lo, 0x2000, v61
	v_add_co_ci_u32_e32 v40, vcc_lo, 0, v62, vcc_lo
	global_store_b64 v[39:40], v[41:42], off offset:2048
.LBB439_1268:
	s_or_b32 exec_lo, exec_lo, s0
	v_or_b32_e32 v39, 0x580, v0
	s_mov_b32 s0, exec_lo
	s_delay_alu instid0(VALU_DEP_1)
	v_cmpx_gt_u32_e64 s7, v39
	s_cbranch_execz .LBB439_1270
; %bb.1269:
	v_add_co_u32 v39, vcc_lo, 0x2000, v61
	v_add_co_ci_u32_e32 v40, vcc_lo, 0, v62, vcc_lo
	s_waitcnt lgkmcnt(8)
	global_store_b64 v[39:40], v[35:36], off offset:3072
.LBB439_1270:
	;; [unrolled: 48-line block ×6, first 2 shown]
	s_or_b32 exec_lo, exec_lo, s0
	s_waitcnt lgkmcnt(0)
	v_or_b32_e32 v3, 0xe00, v0
	s_delay_alu instid0(VALU_DEP_1)
	v_cmp_gt_u32_e64 s5, s7, v3
	s_branch .LBB439_1305
.LBB439_1303:
	s_mov_b32 s5, 0
                                        ; implicit-def: $vgpr5_vgpr6
                                        ; implicit-def: $vgpr61_vgpr62
	s_cbranch_execz .LBB439_1305
; %bb.1304:
	v_mad_u32_u24 v4, 0xe8, v0, v66
	ds_store_2addr_b64 v65, v[1:2], v[181:182] offset1:1
	ds_store_2addr_b64 v65, v[167:168], v[107:108] offset0:2 offset1:3
	ds_store_2addr_b64 v65, v[169:170], v[103:104] offset0:4 offset1:5
	;; [unrolled: 1-line block ×13, first 2 shown]
	ds_store_b64 v65, v[111:112] offset:224
	s_waitcnt lgkmcnt(0)
	s_waitcnt_vscnt null, 0x0
	s_barrier
	buffer_gl0_inv
	ds_load_2addr_stride64_b64 v[0:3], v4 offset1:2
	s_mov_b32 s3, 0
	ds_load_2addr_stride64_b64 v[7:10], v4 offset0:4 offset1:6
	ds_load_2addr_stride64_b64 v[11:14], v4 offset0:8 offset1:10
	;; [unrolled: 1-line block ×13, first 2 shown]
	ds_load_b64 v[5:6], v4 offset:28672
	s_lshl_b64 s[0:1], s[2:3], 3
	s_delay_alu instid0(SALU_CYCLE_1) | instskip(SKIP_2) | instid1(VALU_DEP_1)
	s_add_u32 s0, s8, s0
	s_addc_u32 s1, s4, s1
	v_add_co_u32 v61, s2, s0, v195
	v_add_co_ci_u32_e64 v62, null, s1, 0, s2
	s_or_b32 s5, s5, exec_lo
	s_waitcnt lgkmcnt(14)
	s_clause 0x1
	global_store_b64 v195, v[0:1], s[0:1]
	global_store_b64 v195, v[2:3], s[0:1] offset:1024
	s_waitcnt lgkmcnt(13)
	s_clause 0x1
	global_store_b64 v195, v[7:8], s[0:1] offset:2048
	global_store_b64 v195, v[9:10], s[0:1] offset:3072
	v_add_co_u32 v0, vcc_lo, 0x1000, v61
	v_add_co_ci_u32_e32 v1, vcc_lo, 0, v62, vcc_lo
	v_add_co_u32 v2, vcc_lo, v61, 0x2000
	v_add_co_ci_u32_e32 v3, vcc_lo, 0, v62, vcc_lo
	;; [unrolled: 2-line block ×3, first 2 shown]
	s_waitcnt lgkmcnt(10)
	s_clause 0x4
	global_store_b64 v[2:3], v[19:20], off
	global_store_b64 v[0:1], v[13:14], off offset:1024
	global_store_b64 v[0:1], v[15:16], off offset:2048
	;; [unrolled: 1-line block ×4, first 2 shown]
	v_add_co_u32 v0, vcc_lo, 0x3000, v61
	v_add_co_ci_u32_e32 v1, vcc_lo, 0, v62, vcc_lo
	v_add_co_u32 v9, vcc_lo, v61, 0x4000
	v_add_co_ci_u32_e32 v10, vcc_lo, 0, v62, vcc_lo
	;; [unrolled: 2-line block ×3, first 2 shown]
	s_waitcnt lgkmcnt(9)
	s_clause 0x1
	global_store_b64 v[7:8], v[23:24], off offset:2048
	global_store_b64 v[7:8], v[25:26], off offset:3072
	s_waitcnt lgkmcnt(8)
	global_store_b64 v[0:1], v[29:30], off offset:1024
	s_waitcnt lgkmcnt(7)
	s_clause 0x1
	global_store_b64 v[0:1], v[31:32], off offset:2048
	global_store_b64 v[0:1], v[33:34], off offset:3072
	s_waitcnt lgkmcnt(6)
	global_store_b64 v[13:14], v[37:38], off offset:1024
	s_waitcnt lgkmcnt(5)
	s_clause 0x1
	global_store_b64 v[13:14], v[39:40], off offset:2048
	global_store_b64 v[13:14], v[41:42], off offset:3072
	v_add_co_u32 v0, vcc_lo, 0x5000, v61
	v_add_co_ci_u32_e32 v1, vcc_lo, 0, v62, vcc_lo
	v_add_co_u32 v7, vcc_lo, v61, 0x6000
	v_add_co_ci_u32_e32 v8, vcc_lo, 0, v62, vcc_lo
	v_add_co_u32 v13, vcc_lo, 0x6000, v61
	v_add_co_ci_u32_e32 v14, vcc_lo, 0, v62, vcc_lo
	s_clause 0x1
	global_store_b64 v[9:10], v[27:28], off offset:-4096
	global_store_b64 v[9:10], v[35:36], off
	s_waitcnt lgkmcnt(4)
	global_store_b64 v[7:8], v[43:44], off offset:-4096
	s_waitcnt lgkmcnt(2)
	s_clause 0x4
	global_store_b64 v[7:8], v[51:52], off
	global_store_b64 v[0:1], v[45:46], off offset:1024
	global_store_b64 v[0:1], v[47:48], off offset:2048
	;; [unrolled: 1-line block ×4, first 2 shown]
	s_waitcnt lgkmcnt(1)
	s_clause 0x2
	global_store_b64 v[13:14], v[55:56], off offset:2048
	global_store_b64 v[2:3], v[11:12], off offset:-4096
	global_store_b64 v[13:14], v[57:58], off offset:3072
.LBB439_1305:
	s_delay_alu instid0(VALU_DEP_1)
	s_and_saveexec_b32 s0, s5
	s_cbranch_execnz .LBB439_1307
; %bb.1306:
	s_nop 0
	s_sendmsg sendmsg(MSG_DEALLOC_VGPRS)
	s_endpgm
.LBB439_1307:
	v_add_co_u32 v0, vcc_lo, 0x7000, v61
	v_add_co_ci_u32_e32 v1, vcc_lo, 0, v62, vcc_lo
	s_waitcnt lgkmcnt(0)
	global_store_b64 v[0:1], v[5:6], off
	s_nop 0
	s_sendmsg sendmsg(MSG_DEALLOC_VGPRS)
	s_endpgm
	.section	.rodata,"a",@progbits
	.p2align	6, 0x0
	.amdhsa_kernel _ZN7rocprim17ROCPRIM_400000_NS6detail17trampoline_kernelINS0_14default_configENS1_35adjacent_difference_config_selectorILb1ElEEZNS1_24adjacent_difference_implIS3_Lb1ELb0EPlS7_ZN2at6native12_GLOBAL__N_124unique_dim_cuda_templateIiEESt5tupleIJNS8_6TensorESD_SD_EERKSD_lbbbEUlllE1_EE10hipError_tPvRmT2_T3_mT4_P12ihipStream_tbEUlT_E_NS1_11comp_targetILNS1_3genE9ELNS1_11target_archE1100ELNS1_3gpuE3ELNS1_3repE0EEENS1_30default_config_static_selectorELNS0_4arch9wavefront6targetE0EEEvT1_
		.amdhsa_group_segment_fixed_size 29696
		.amdhsa_private_segment_fixed_size 0
		.amdhsa_kernarg_size 64
		.amdhsa_user_sgpr_count 15
		.amdhsa_user_sgpr_dispatch_ptr 0
		.amdhsa_user_sgpr_queue_ptr 0
		.amdhsa_user_sgpr_kernarg_segment_ptr 1
		.amdhsa_user_sgpr_dispatch_id 0
		.amdhsa_user_sgpr_private_segment_size 0
		.amdhsa_wavefront_size32 1
		.amdhsa_uses_dynamic_stack 0
		.amdhsa_enable_private_segment 0
		.amdhsa_system_sgpr_workgroup_id_x 1
		.amdhsa_system_sgpr_workgroup_id_y 0
		.amdhsa_system_sgpr_workgroup_id_z 0
		.amdhsa_system_sgpr_workgroup_info 0
		.amdhsa_system_vgpr_workitem_id 0
		.amdhsa_next_free_vgpr 196
		.amdhsa_next_free_sgpr 30
		.amdhsa_reserve_vcc 1
		.amdhsa_float_round_mode_32 0
		.amdhsa_float_round_mode_16_64 0
		.amdhsa_float_denorm_mode_32 3
		.amdhsa_float_denorm_mode_16_64 3
		.amdhsa_dx10_clamp 1
		.amdhsa_ieee_mode 1
		.amdhsa_fp16_overflow 0
		.amdhsa_workgroup_processor_mode 1
		.amdhsa_memory_ordered 1
		.amdhsa_forward_progress 0
		.amdhsa_shared_vgpr_count 0
		.amdhsa_exception_fp_ieee_invalid_op 0
		.amdhsa_exception_fp_denorm_src 0
		.amdhsa_exception_fp_ieee_div_zero 0
		.amdhsa_exception_fp_ieee_overflow 0
		.amdhsa_exception_fp_ieee_underflow 0
		.amdhsa_exception_fp_ieee_inexact 0
		.amdhsa_exception_int_div_zero 0
	.end_amdhsa_kernel
	.section	.text._ZN7rocprim17ROCPRIM_400000_NS6detail17trampoline_kernelINS0_14default_configENS1_35adjacent_difference_config_selectorILb1ElEEZNS1_24adjacent_difference_implIS3_Lb1ELb0EPlS7_ZN2at6native12_GLOBAL__N_124unique_dim_cuda_templateIiEESt5tupleIJNS8_6TensorESD_SD_EERKSD_lbbbEUlllE1_EE10hipError_tPvRmT2_T3_mT4_P12ihipStream_tbEUlT_E_NS1_11comp_targetILNS1_3genE9ELNS1_11target_archE1100ELNS1_3gpuE3ELNS1_3repE0EEENS1_30default_config_static_selectorELNS0_4arch9wavefront6targetE0EEEvT1_,"axG",@progbits,_ZN7rocprim17ROCPRIM_400000_NS6detail17trampoline_kernelINS0_14default_configENS1_35adjacent_difference_config_selectorILb1ElEEZNS1_24adjacent_difference_implIS3_Lb1ELb0EPlS7_ZN2at6native12_GLOBAL__N_124unique_dim_cuda_templateIiEESt5tupleIJNS8_6TensorESD_SD_EERKSD_lbbbEUlllE1_EE10hipError_tPvRmT2_T3_mT4_P12ihipStream_tbEUlT_E_NS1_11comp_targetILNS1_3genE9ELNS1_11target_archE1100ELNS1_3gpuE3ELNS1_3repE0EEENS1_30default_config_static_selectorELNS0_4arch9wavefront6targetE0EEEvT1_,comdat
.Lfunc_end439:
	.size	_ZN7rocprim17ROCPRIM_400000_NS6detail17trampoline_kernelINS0_14default_configENS1_35adjacent_difference_config_selectorILb1ElEEZNS1_24adjacent_difference_implIS3_Lb1ELb0EPlS7_ZN2at6native12_GLOBAL__N_124unique_dim_cuda_templateIiEESt5tupleIJNS8_6TensorESD_SD_EERKSD_lbbbEUlllE1_EE10hipError_tPvRmT2_T3_mT4_P12ihipStream_tbEUlT_E_NS1_11comp_targetILNS1_3genE9ELNS1_11target_archE1100ELNS1_3gpuE3ELNS1_3repE0EEENS1_30default_config_static_selectorELNS0_4arch9wavefront6targetE0EEEvT1_, .Lfunc_end439-_ZN7rocprim17ROCPRIM_400000_NS6detail17trampoline_kernelINS0_14default_configENS1_35adjacent_difference_config_selectorILb1ElEEZNS1_24adjacent_difference_implIS3_Lb1ELb0EPlS7_ZN2at6native12_GLOBAL__N_124unique_dim_cuda_templateIiEESt5tupleIJNS8_6TensorESD_SD_EERKSD_lbbbEUlllE1_EE10hipError_tPvRmT2_T3_mT4_P12ihipStream_tbEUlT_E_NS1_11comp_targetILNS1_3genE9ELNS1_11target_archE1100ELNS1_3gpuE3ELNS1_3repE0EEENS1_30default_config_static_selectorELNS0_4arch9wavefront6targetE0EEEvT1_
                                        ; -- End function
	.section	.AMDGPU.csdata,"",@progbits
; Kernel info:
; codeLenInByte = 52496
; NumSgprs: 32
; NumVgprs: 196
; ScratchSize: 0
; MemoryBound: 0
; FloatMode: 240
; IeeeMode: 1
; LDSByteSize: 29696 bytes/workgroup (compile time only)
; SGPRBlocks: 3
; VGPRBlocks: 24
; NumSGPRsForWavesPerEU: 32
; NumVGPRsForWavesPerEU: 196
; Occupancy: 4
; WaveLimiterHint : 1
; COMPUTE_PGM_RSRC2:SCRATCH_EN: 0
; COMPUTE_PGM_RSRC2:USER_SGPR: 15
; COMPUTE_PGM_RSRC2:TRAP_HANDLER: 0
; COMPUTE_PGM_RSRC2:TGID_X_EN: 1
; COMPUTE_PGM_RSRC2:TGID_Y_EN: 0
; COMPUTE_PGM_RSRC2:TGID_Z_EN: 0
; COMPUTE_PGM_RSRC2:TIDIG_COMP_CNT: 0
	.section	.text._ZN7rocprim17ROCPRIM_400000_NS6detail17trampoline_kernelINS0_14default_configENS1_35adjacent_difference_config_selectorILb1ElEEZNS1_24adjacent_difference_implIS3_Lb1ELb0EPlS7_ZN2at6native12_GLOBAL__N_124unique_dim_cuda_templateIiEESt5tupleIJNS8_6TensorESD_SD_EERKSD_lbbbEUlllE1_EE10hipError_tPvRmT2_T3_mT4_P12ihipStream_tbEUlT_E_NS1_11comp_targetILNS1_3genE8ELNS1_11target_archE1030ELNS1_3gpuE2ELNS1_3repE0EEENS1_30default_config_static_selectorELNS0_4arch9wavefront6targetE0EEEvT1_,"axG",@progbits,_ZN7rocprim17ROCPRIM_400000_NS6detail17trampoline_kernelINS0_14default_configENS1_35adjacent_difference_config_selectorILb1ElEEZNS1_24adjacent_difference_implIS3_Lb1ELb0EPlS7_ZN2at6native12_GLOBAL__N_124unique_dim_cuda_templateIiEESt5tupleIJNS8_6TensorESD_SD_EERKSD_lbbbEUlllE1_EE10hipError_tPvRmT2_T3_mT4_P12ihipStream_tbEUlT_E_NS1_11comp_targetILNS1_3genE8ELNS1_11target_archE1030ELNS1_3gpuE2ELNS1_3repE0EEENS1_30default_config_static_selectorELNS0_4arch9wavefront6targetE0EEEvT1_,comdat
	.globl	_ZN7rocprim17ROCPRIM_400000_NS6detail17trampoline_kernelINS0_14default_configENS1_35adjacent_difference_config_selectorILb1ElEEZNS1_24adjacent_difference_implIS3_Lb1ELb0EPlS7_ZN2at6native12_GLOBAL__N_124unique_dim_cuda_templateIiEESt5tupleIJNS8_6TensorESD_SD_EERKSD_lbbbEUlllE1_EE10hipError_tPvRmT2_T3_mT4_P12ihipStream_tbEUlT_E_NS1_11comp_targetILNS1_3genE8ELNS1_11target_archE1030ELNS1_3gpuE2ELNS1_3repE0EEENS1_30default_config_static_selectorELNS0_4arch9wavefront6targetE0EEEvT1_ ; -- Begin function _ZN7rocprim17ROCPRIM_400000_NS6detail17trampoline_kernelINS0_14default_configENS1_35adjacent_difference_config_selectorILb1ElEEZNS1_24adjacent_difference_implIS3_Lb1ELb0EPlS7_ZN2at6native12_GLOBAL__N_124unique_dim_cuda_templateIiEESt5tupleIJNS8_6TensorESD_SD_EERKSD_lbbbEUlllE1_EE10hipError_tPvRmT2_T3_mT4_P12ihipStream_tbEUlT_E_NS1_11comp_targetILNS1_3genE8ELNS1_11target_archE1030ELNS1_3gpuE2ELNS1_3repE0EEENS1_30default_config_static_selectorELNS0_4arch9wavefront6targetE0EEEvT1_
	.p2align	8
	.type	_ZN7rocprim17ROCPRIM_400000_NS6detail17trampoline_kernelINS0_14default_configENS1_35adjacent_difference_config_selectorILb1ElEEZNS1_24adjacent_difference_implIS3_Lb1ELb0EPlS7_ZN2at6native12_GLOBAL__N_124unique_dim_cuda_templateIiEESt5tupleIJNS8_6TensorESD_SD_EERKSD_lbbbEUlllE1_EE10hipError_tPvRmT2_T3_mT4_P12ihipStream_tbEUlT_E_NS1_11comp_targetILNS1_3genE8ELNS1_11target_archE1030ELNS1_3gpuE2ELNS1_3repE0EEENS1_30default_config_static_selectorELNS0_4arch9wavefront6targetE0EEEvT1_,@function
_ZN7rocprim17ROCPRIM_400000_NS6detail17trampoline_kernelINS0_14default_configENS1_35adjacent_difference_config_selectorILb1ElEEZNS1_24adjacent_difference_implIS3_Lb1ELb0EPlS7_ZN2at6native12_GLOBAL__N_124unique_dim_cuda_templateIiEESt5tupleIJNS8_6TensorESD_SD_EERKSD_lbbbEUlllE1_EE10hipError_tPvRmT2_T3_mT4_P12ihipStream_tbEUlT_E_NS1_11comp_targetILNS1_3genE8ELNS1_11target_archE1030ELNS1_3gpuE2ELNS1_3repE0EEENS1_30default_config_static_selectorELNS0_4arch9wavefront6targetE0EEEvT1_: ; @_ZN7rocprim17ROCPRIM_400000_NS6detail17trampoline_kernelINS0_14default_configENS1_35adjacent_difference_config_selectorILb1ElEEZNS1_24adjacent_difference_implIS3_Lb1ELb0EPlS7_ZN2at6native12_GLOBAL__N_124unique_dim_cuda_templateIiEESt5tupleIJNS8_6TensorESD_SD_EERKSD_lbbbEUlllE1_EE10hipError_tPvRmT2_T3_mT4_P12ihipStream_tbEUlT_E_NS1_11comp_targetILNS1_3genE8ELNS1_11target_archE1030ELNS1_3gpuE2ELNS1_3repE0EEENS1_30default_config_static_selectorELNS0_4arch9wavefront6targetE0EEEvT1_
; %bb.0:
	.section	.rodata,"a",@progbits
	.p2align	6, 0x0
	.amdhsa_kernel _ZN7rocprim17ROCPRIM_400000_NS6detail17trampoline_kernelINS0_14default_configENS1_35adjacent_difference_config_selectorILb1ElEEZNS1_24adjacent_difference_implIS3_Lb1ELb0EPlS7_ZN2at6native12_GLOBAL__N_124unique_dim_cuda_templateIiEESt5tupleIJNS8_6TensorESD_SD_EERKSD_lbbbEUlllE1_EE10hipError_tPvRmT2_T3_mT4_P12ihipStream_tbEUlT_E_NS1_11comp_targetILNS1_3genE8ELNS1_11target_archE1030ELNS1_3gpuE2ELNS1_3repE0EEENS1_30default_config_static_selectorELNS0_4arch9wavefront6targetE0EEEvT1_
		.amdhsa_group_segment_fixed_size 0
		.amdhsa_private_segment_fixed_size 0
		.amdhsa_kernarg_size 64
		.amdhsa_user_sgpr_count 15
		.amdhsa_user_sgpr_dispatch_ptr 0
		.amdhsa_user_sgpr_queue_ptr 0
		.amdhsa_user_sgpr_kernarg_segment_ptr 1
		.amdhsa_user_sgpr_dispatch_id 0
		.amdhsa_user_sgpr_private_segment_size 0
		.amdhsa_wavefront_size32 1
		.amdhsa_uses_dynamic_stack 0
		.amdhsa_enable_private_segment 0
		.amdhsa_system_sgpr_workgroup_id_x 1
		.amdhsa_system_sgpr_workgroup_id_y 0
		.amdhsa_system_sgpr_workgroup_id_z 0
		.amdhsa_system_sgpr_workgroup_info 0
		.amdhsa_system_vgpr_workitem_id 0
		.amdhsa_next_free_vgpr 1
		.amdhsa_next_free_sgpr 1
		.amdhsa_reserve_vcc 0
		.amdhsa_float_round_mode_32 0
		.amdhsa_float_round_mode_16_64 0
		.amdhsa_float_denorm_mode_32 3
		.amdhsa_float_denorm_mode_16_64 3
		.amdhsa_dx10_clamp 1
		.amdhsa_ieee_mode 1
		.amdhsa_fp16_overflow 0
		.amdhsa_workgroup_processor_mode 1
		.amdhsa_memory_ordered 1
		.amdhsa_forward_progress 0
		.amdhsa_shared_vgpr_count 0
		.amdhsa_exception_fp_ieee_invalid_op 0
		.amdhsa_exception_fp_denorm_src 0
		.amdhsa_exception_fp_ieee_div_zero 0
		.amdhsa_exception_fp_ieee_overflow 0
		.amdhsa_exception_fp_ieee_underflow 0
		.amdhsa_exception_fp_ieee_inexact 0
		.amdhsa_exception_int_div_zero 0
	.end_amdhsa_kernel
	.section	.text._ZN7rocprim17ROCPRIM_400000_NS6detail17trampoline_kernelINS0_14default_configENS1_35adjacent_difference_config_selectorILb1ElEEZNS1_24adjacent_difference_implIS3_Lb1ELb0EPlS7_ZN2at6native12_GLOBAL__N_124unique_dim_cuda_templateIiEESt5tupleIJNS8_6TensorESD_SD_EERKSD_lbbbEUlllE1_EE10hipError_tPvRmT2_T3_mT4_P12ihipStream_tbEUlT_E_NS1_11comp_targetILNS1_3genE8ELNS1_11target_archE1030ELNS1_3gpuE2ELNS1_3repE0EEENS1_30default_config_static_selectorELNS0_4arch9wavefront6targetE0EEEvT1_,"axG",@progbits,_ZN7rocprim17ROCPRIM_400000_NS6detail17trampoline_kernelINS0_14default_configENS1_35adjacent_difference_config_selectorILb1ElEEZNS1_24adjacent_difference_implIS3_Lb1ELb0EPlS7_ZN2at6native12_GLOBAL__N_124unique_dim_cuda_templateIiEESt5tupleIJNS8_6TensorESD_SD_EERKSD_lbbbEUlllE1_EE10hipError_tPvRmT2_T3_mT4_P12ihipStream_tbEUlT_E_NS1_11comp_targetILNS1_3genE8ELNS1_11target_archE1030ELNS1_3gpuE2ELNS1_3repE0EEENS1_30default_config_static_selectorELNS0_4arch9wavefront6targetE0EEEvT1_,comdat
.Lfunc_end440:
	.size	_ZN7rocprim17ROCPRIM_400000_NS6detail17trampoline_kernelINS0_14default_configENS1_35adjacent_difference_config_selectorILb1ElEEZNS1_24adjacent_difference_implIS3_Lb1ELb0EPlS7_ZN2at6native12_GLOBAL__N_124unique_dim_cuda_templateIiEESt5tupleIJNS8_6TensorESD_SD_EERKSD_lbbbEUlllE1_EE10hipError_tPvRmT2_T3_mT4_P12ihipStream_tbEUlT_E_NS1_11comp_targetILNS1_3genE8ELNS1_11target_archE1030ELNS1_3gpuE2ELNS1_3repE0EEENS1_30default_config_static_selectorELNS0_4arch9wavefront6targetE0EEEvT1_, .Lfunc_end440-_ZN7rocprim17ROCPRIM_400000_NS6detail17trampoline_kernelINS0_14default_configENS1_35adjacent_difference_config_selectorILb1ElEEZNS1_24adjacent_difference_implIS3_Lb1ELb0EPlS7_ZN2at6native12_GLOBAL__N_124unique_dim_cuda_templateIiEESt5tupleIJNS8_6TensorESD_SD_EERKSD_lbbbEUlllE1_EE10hipError_tPvRmT2_T3_mT4_P12ihipStream_tbEUlT_E_NS1_11comp_targetILNS1_3genE8ELNS1_11target_archE1030ELNS1_3gpuE2ELNS1_3repE0EEENS1_30default_config_static_selectorELNS0_4arch9wavefront6targetE0EEEvT1_
                                        ; -- End function
	.section	.AMDGPU.csdata,"",@progbits
; Kernel info:
; codeLenInByte = 0
; NumSgprs: 0
; NumVgprs: 0
; ScratchSize: 0
; MemoryBound: 0
; FloatMode: 240
; IeeeMode: 1
; LDSByteSize: 0 bytes/workgroup (compile time only)
; SGPRBlocks: 0
; VGPRBlocks: 0
; NumSGPRsForWavesPerEU: 1
; NumVGPRsForWavesPerEU: 1
; Occupancy: 16
; WaveLimiterHint : 0
; COMPUTE_PGM_RSRC2:SCRATCH_EN: 0
; COMPUTE_PGM_RSRC2:USER_SGPR: 15
; COMPUTE_PGM_RSRC2:TRAP_HANDLER: 0
; COMPUTE_PGM_RSRC2:TGID_X_EN: 1
; COMPUTE_PGM_RSRC2:TGID_Y_EN: 0
; COMPUTE_PGM_RSRC2:TGID_Z_EN: 0
; COMPUTE_PGM_RSRC2:TIDIG_COMP_CNT: 0
	.section	.text._ZN7rocprim17ROCPRIM_400000_NS6detail17trampoline_kernelINS0_14default_configENS1_25partition_config_selectorILNS1_17partition_subalgoE8ElNS0_10empty_typeEbEEZZNS1_14partition_implILS5_8ELb0ES3_jPlPS6_PKS6_NS0_5tupleIJS9_S6_EEENSD_IJSA_SA_EEENS0_18inequality_wrapperIZN2at6native12_GLOBAL__N_124unique_dim_cuda_templateIiEESt5tupleIJNSH_6TensorESM_SM_EERKSM_lbbbEUlllE0_EEPmJS6_EEE10hipError_tPvRmT3_T4_T5_T6_T7_T9_mT8_P12ihipStream_tbDpT10_ENKUlT_T0_E_clISt17integral_constantIbLb0EES1C_EEDaS17_S18_EUlS17_E_NS1_11comp_targetILNS1_3genE0ELNS1_11target_archE4294967295ELNS1_3gpuE0ELNS1_3repE0EEENS1_30default_config_static_selectorELNS0_4arch9wavefront6targetE0EEEvT1_,"axG",@progbits,_ZN7rocprim17ROCPRIM_400000_NS6detail17trampoline_kernelINS0_14default_configENS1_25partition_config_selectorILNS1_17partition_subalgoE8ElNS0_10empty_typeEbEEZZNS1_14partition_implILS5_8ELb0ES3_jPlPS6_PKS6_NS0_5tupleIJS9_S6_EEENSD_IJSA_SA_EEENS0_18inequality_wrapperIZN2at6native12_GLOBAL__N_124unique_dim_cuda_templateIiEESt5tupleIJNSH_6TensorESM_SM_EERKSM_lbbbEUlllE0_EEPmJS6_EEE10hipError_tPvRmT3_T4_T5_T6_T7_T9_mT8_P12ihipStream_tbDpT10_ENKUlT_T0_E_clISt17integral_constantIbLb0EES1C_EEDaS17_S18_EUlS17_E_NS1_11comp_targetILNS1_3genE0ELNS1_11target_archE4294967295ELNS1_3gpuE0ELNS1_3repE0EEENS1_30default_config_static_selectorELNS0_4arch9wavefront6targetE0EEEvT1_,comdat
	.globl	_ZN7rocprim17ROCPRIM_400000_NS6detail17trampoline_kernelINS0_14default_configENS1_25partition_config_selectorILNS1_17partition_subalgoE8ElNS0_10empty_typeEbEEZZNS1_14partition_implILS5_8ELb0ES3_jPlPS6_PKS6_NS0_5tupleIJS9_S6_EEENSD_IJSA_SA_EEENS0_18inequality_wrapperIZN2at6native12_GLOBAL__N_124unique_dim_cuda_templateIiEESt5tupleIJNSH_6TensorESM_SM_EERKSM_lbbbEUlllE0_EEPmJS6_EEE10hipError_tPvRmT3_T4_T5_T6_T7_T9_mT8_P12ihipStream_tbDpT10_ENKUlT_T0_E_clISt17integral_constantIbLb0EES1C_EEDaS17_S18_EUlS17_E_NS1_11comp_targetILNS1_3genE0ELNS1_11target_archE4294967295ELNS1_3gpuE0ELNS1_3repE0EEENS1_30default_config_static_selectorELNS0_4arch9wavefront6targetE0EEEvT1_ ; -- Begin function _ZN7rocprim17ROCPRIM_400000_NS6detail17trampoline_kernelINS0_14default_configENS1_25partition_config_selectorILNS1_17partition_subalgoE8ElNS0_10empty_typeEbEEZZNS1_14partition_implILS5_8ELb0ES3_jPlPS6_PKS6_NS0_5tupleIJS9_S6_EEENSD_IJSA_SA_EEENS0_18inequality_wrapperIZN2at6native12_GLOBAL__N_124unique_dim_cuda_templateIiEESt5tupleIJNSH_6TensorESM_SM_EERKSM_lbbbEUlllE0_EEPmJS6_EEE10hipError_tPvRmT3_T4_T5_T6_T7_T9_mT8_P12ihipStream_tbDpT10_ENKUlT_T0_E_clISt17integral_constantIbLb0EES1C_EEDaS17_S18_EUlS17_E_NS1_11comp_targetILNS1_3genE0ELNS1_11target_archE4294967295ELNS1_3gpuE0ELNS1_3repE0EEENS1_30default_config_static_selectorELNS0_4arch9wavefront6targetE0EEEvT1_
	.p2align	8
	.type	_ZN7rocprim17ROCPRIM_400000_NS6detail17trampoline_kernelINS0_14default_configENS1_25partition_config_selectorILNS1_17partition_subalgoE8ElNS0_10empty_typeEbEEZZNS1_14partition_implILS5_8ELb0ES3_jPlPS6_PKS6_NS0_5tupleIJS9_S6_EEENSD_IJSA_SA_EEENS0_18inequality_wrapperIZN2at6native12_GLOBAL__N_124unique_dim_cuda_templateIiEESt5tupleIJNSH_6TensorESM_SM_EERKSM_lbbbEUlllE0_EEPmJS6_EEE10hipError_tPvRmT3_T4_T5_T6_T7_T9_mT8_P12ihipStream_tbDpT10_ENKUlT_T0_E_clISt17integral_constantIbLb0EES1C_EEDaS17_S18_EUlS17_E_NS1_11comp_targetILNS1_3genE0ELNS1_11target_archE4294967295ELNS1_3gpuE0ELNS1_3repE0EEENS1_30default_config_static_selectorELNS0_4arch9wavefront6targetE0EEEvT1_,@function
_ZN7rocprim17ROCPRIM_400000_NS6detail17trampoline_kernelINS0_14default_configENS1_25partition_config_selectorILNS1_17partition_subalgoE8ElNS0_10empty_typeEbEEZZNS1_14partition_implILS5_8ELb0ES3_jPlPS6_PKS6_NS0_5tupleIJS9_S6_EEENSD_IJSA_SA_EEENS0_18inequality_wrapperIZN2at6native12_GLOBAL__N_124unique_dim_cuda_templateIiEESt5tupleIJNSH_6TensorESM_SM_EERKSM_lbbbEUlllE0_EEPmJS6_EEE10hipError_tPvRmT3_T4_T5_T6_T7_T9_mT8_P12ihipStream_tbDpT10_ENKUlT_T0_E_clISt17integral_constantIbLb0EES1C_EEDaS17_S18_EUlS17_E_NS1_11comp_targetILNS1_3genE0ELNS1_11target_archE4294967295ELNS1_3gpuE0ELNS1_3repE0EEENS1_30default_config_static_selectorELNS0_4arch9wavefront6targetE0EEEvT1_: ; @_ZN7rocprim17ROCPRIM_400000_NS6detail17trampoline_kernelINS0_14default_configENS1_25partition_config_selectorILNS1_17partition_subalgoE8ElNS0_10empty_typeEbEEZZNS1_14partition_implILS5_8ELb0ES3_jPlPS6_PKS6_NS0_5tupleIJS9_S6_EEENSD_IJSA_SA_EEENS0_18inequality_wrapperIZN2at6native12_GLOBAL__N_124unique_dim_cuda_templateIiEESt5tupleIJNSH_6TensorESM_SM_EERKSM_lbbbEUlllE0_EEPmJS6_EEE10hipError_tPvRmT3_T4_T5_T6_T7_T9_mT8_P12ihipStream_tbDpT10_ENKUlT_T0_E_clISt17integral_constantIbLb0EES1C_EEDaS17_S18_EUlS17_E_NS1_11comp_targetILNS1_3genE0ELNS1_11target_archE4294967295ELNS1_3gpuE0ELNS1_3repE0EEENS1_30default_config_static_selectorELNS0_4arch9wavefront6targetE0EEEvT1_
; %bb.0:
	.section	.rodata,"a",@progbits
	.p2align	6, 0x0
	.amdhsa_kernel _ZN7rocprim17ROCPRIM_400000_NS6detail17trampoline_kernelINS0_14default_configENS1_25partition_config_selectorILNS1_17partition_subalgoE8ElNS0_10empty_typeEbEEZZNS1_14partition_implILS5_8ELb0ES3_jPlPS6_PKS6_NS0_5tupleIJS9_S6_EEENSD_IJSA_SA_EEENS0_18inequality_wrapperIZN2at6native12_GLOBAL__N_124unique_dim_cuda_templateIiEESt5tupleIJNSH_6TensorESM_SM_EERKSM_lbbbEUlllE0_EEPmJS6_EEE10hipError_tPvRmT3_T4_T5_T6_T7_T9_mT8_P12ihipStream_tbDpT10_ENKUlT_T0_E_clISt17integral_constantIbLb0EES1C_EEDaS17_S18_EUlS17_E_NS1_11comp_targetILNS1_3genE0ELNS1_11target_archE4294967295ELNS1_3gpuE0ELNS1_3repE0EEENS1_30default_config_static_selectorELNS0_4arch9wavefront6targetE0EEEvT1_
		.amdhsa_group_segment_fixed_size 0
		.amdhsa_private_segment_fixed_size 0
		.amdhsa_kernarg_size 120
		.amdhsa_user_sgpr_count 15
		.amdhsa_user_sgpr_dispatch_ptr 0
		.amdhsa_user_sgpr_queue_ptr 0
		.amdhsa_user_sgpr_kernarg_segment_ptr 1
		.amdhsa_user_sgpr_dispatch_id 0
		.amdhsa_user_sgpr_private_segment_size 0
		.amdhsa_wavefront_size32 1
		.amdhsa_uses_dynamic_stack 0
		.amdhsa_enable_private_segment 0
		.amdhsa_system_sgpr_workgroup_id_x 1
		.amdhsa_system_sgpr_workgroup_id_y 0
		.amdhsa_system_sgpr_workgroup_id_z 0
		.amdhsa_system_sgpr_workgroup_info 0
		.amdhsa_system_vgpr_workitem_id 0
		.amdhsa_next_free_vgpr 1
		.amdhsa_next_free_sgpr 1
		.amdhsa_reserve_vcc 0
		.amdhsa_float_round_mode_32 0
		.amdhsa_float_round_mode_16_64 0
		.amdhsa_float_denorm_mode_32 3
		.amdhsa_float_denorm_mode_16_64 3
		.amdhsa_dx10_clamp 1
		.amdhsa_ieee_mode 1
		.amdhsa_fp16_overflow 0
		.amdhsa_workgroup_processor_mode 1
		.amdhsa_memory_ordered 1
		.amdhsa_forward_progress 0
		.amdhsa_shared_vgpr_count 0
		.amdhsa_exception_fp_ieee_invalid_op 0
		.amdhsa_exception_fp_denorm_src 0
		.amdhsa_exception_fp_ieee_div_zero 0
		.amdhsa_exception_fp_ieee_overflow 0
		.amdhsa_exception_fp_ieee_underflow 0
		.amdhsa_exception_fp_ieee_inexact 0
		.amdhsa_exception_int_div_zero 0
	.end_amdhsa_kernel
	.section	.text._ZN7rocprim17ROCPRIM_400000_NS6detail17trampoline_kernelINS0_14default_configENS1_25partition_config_selectorILNS1_17partition_subalgoE8ElNS0_10empty_typeEbEEZZNS1_14partition_implILS5_8ELb0ES3_jPlPS6_PKS6_NS0_5tupleIJS9_S6_EEENSD_IJSA_SA_EEENS0_18inequality_wrapperIZN2at6native12_GLOBAL__N_124unique_dim_cuda_templateIiEESt5tupleIJNSH_6TensorESM_SM_EERKSM_lbbbEUlllE0_EEPmJS6_EEE10hipError_tPvRmT3_T4_T5_T6_T7_T9_mT8_P12ihipStream_tbDpT10_ENKUlT_T0_E_clISt17integral_constantIbLb0EES1C_EEDaS17_S18_EUlS17_E_NS1_11comp_targetILNS1_3genE0ELNS1_11target_archE4294967295ELNS1_3gpuE0ELNS1_3repE0EEENS1_30default_config_static_selectorELNS0_4arch9wavefront6targetE0EEEvT1_,"axG",@progbits,_ZN7rocprim17ROCPRIM_400000_NS6detail17trampoline_kernelINS0_14default_configENS1_25partition_config_selectorILNS1_17partition_subalgoE8ElNS0_10empty_typeEbEEZZNS1_14partition_implILS5_8ELb0ES3_jPlPS6_PKS6_NS0_5tupleIJS9_S6_EEENSD_IJSA_SA_EEENS0_18inequality_wrapperIZN2at6native12_GLOBAL__N_124unique_dim_cuda_templateIiEESt5tupleIJNSH_6TensorESM_SM_EERKSM_lbbbEUlllE0_EEPmJS6_EEE10hipError_tPvRmT3_T4_T5_T6_T7_T9_mT8_P12ihipStream_tbDpT10_ENKUlT_T0_E_clISt17integral_constantIbLb0EES1C_EEDaS17_S18_EUlS17_E_NS1_11comp_targetILNS1_3genE0ELNS1_11target_archE4294967295ELNS1_3gpuE0ELNS1_3repE0EEENS1_30default_config_static_selectorELNS0_4arch9wavefront6targetE0EEEvT1_,comdat
.Lfunc_end441:
	.size	_ZN7rocprim17ROCPRIM_400000_NS6detail17trampoline_kernelINS0_14default_configENS1_25partition_config_selectorILNS1_17partition_subalgoE8ElNS0_10empty_typeEbEEZZNS1_14partition_implILS5_8ELb0ES3_jPlPS6_PKS6_NS0_5tupleIJS9_S6_EEENSD_IJSA_SA_EEENS0_18inequality_wrapperIZN2at6native12_GLOBAL__N_124unique_dim_cuda_templateIiEESt5tupleIJNSH_6TensorESM_SM_EERKSM_lbbbEUlllE0_EEPmJS6_EEE10hipError_tPvRmT3_T4_T5_T6_T7_T9_mT8_P12ihipStream_tbDpT10_ENKUlT_T0_E_clISt17integral_constantIbLb0EES1C_EEDaS17_S18_EUlS17_E_NS1_11comp_targetILNS1_3genE0ELNS1_11target_archE4294967295ELNS1_3gpuE0ELNS1_3repE0EEENS1_30default_config_static_selectorELNS0_4arch9wavefront6targetE0EEEvT1_, .Lfunc_end441-_ZN7rocprim17ROCPRIM_400000_NS6detail17trampoline_kernelINS0_14default_configENS1_25partition_config_selectorILNS1_17partition_subalgoE8ElNS0_10empty_typeEbEEZZNS1_14partition_implILS5_8ELb0ES3_jPlPS6_PKS6_NS0_5tupleIJS9_S6_EEENSD_IJSA_SA_EEENS0_18inequality_wrapperIZN2at6native12_GLOBAL__N_124unique_dim_cuda_templateIiEESt5tupleIJNSH_6TensorESM_SM_EERKSM_lbbbEUlllE0_EEPmJS6_EEE10hipError_tPvRmT3_T4_T5_T6_T7_T9_mT8_P12ihipStream_tbDpT10_ENKUlT_T0_E_clISt17integral_constantIbLb0EES1C_EEDaS17_S18_EUlS17_E_NS1_11comp_targetILNS1_3genE0ELNS1_11target_archE4294967295ELNS1_3gpuE0ELNS1_3repE0EEENS1_30default_config_static_selectorELNS0_4arch9wavefront6targetE0EEEvT1_
                                        ; -- End function
	.section	.AMDGPU.csdata,"",@progbits
; Kernel info:
; codeLenInByte = 0
; NumSgprs: 0
; NumVgprs: 0
; ScratchSize: 0
; MemoryBound: 0
; FloatMode: 240
; IeeeMode: 1
; LDSByteSize: 0 bytes/workgroup (compile time only)
; SGPRBlocks: 0
; VGPRBlocks: 0
; NumSGPRsForWavesPerEU: 1
; NumVGPRsForWavesPerEU: 1
; Occupancy: 16
; WaveLimiterHint : 0
; COMPUTE_PGM_RSRC2:SCRATCH_EN: 0
; COMPUTE_PGM_RSRC2:USER_SGPR: 15
; COMPUTE_PGM_RSRC2:TRAP_HANDLER: 0
; COMPUTE_PGM_RSRC2:TGID_X_EN: 1
; COMPUTE_PGM_RSRC2:TGID_Y_EN: 0
; COMPUTE_PGM_RSRC2:TGID_Z_EN: 0
; COMPUTE_PGM_RSRC2:TIDIG_COMP_CNT: 0
	.section	.text._ZN7rocprim17ROCPRIM_400000_NS6detail17trampoline_kernelINS0_14default_configENS1_25partition_config_selectorILNS1_17partition_subalgoE8ElNS0_10empty_typeEbEEZZNS1_14partition_implILS5_8ELb0ES3_jPlPS6_PKS6_NS0_5tupleIJS9_S6_EEENSD_IJSA_SA_EEENS0_18inequality_wrapperIZN2at6native12_GLOBAL__N_124unique_dim_cuda_templateIiEESt5tupleIJNSH_6TensorESM_SM_EERKSM_lbbbEUlllE0_EEPmJS6_EEE10hipError_tPvRmT3_T4_T5_T6_T7_T9_mT8_P12ihipStream_tbDpT10_ENKUlT_T0_E_clISt17integral_constantIbLb0EES1C_EEDaS17_S18_EUlS17_E_NS1_11comp_targetILNS1_3genE5ELNS1_11target_archE942ELNS1_3gpuE9ELNS1_3repE0EEENS1_30default_config_static_selectorELNS0_4arch9wavefront6targetE0EEEvT1_,"axG",@progbits,_ZN7rocprim17ROCPRIM_400000_NS6detail17trampoline_kernelINS0_14default_configENS1_25partition_config_selectorILNS1_17partition_subalgoE8ElNS0_10empty_typeEbEEZZNS1_14partition_implILS5_8ELb0ES3_jPlPS6_PKS6_NS0_5tupleIJS9_S6_EEENSD_IJSA_SA_EEENS0_18inequality_wrapperIZN2at6native12_GLOBAL__N_124unique_dim_cuda_templateIiEESt5tupleIJNSH_6TensorESM_SM_EERKSM_lbbbEUlllE0_EEPmJS6_EEE10hipError_tPvRmT3_T4_T5_T6_T7_T9_mT8_P12ihipStream_tbDpT10_ENKUlT_T0_E_clISt17integral_constantIbLb0EES1C_EEDaS17_S18_EUlS17_E_NS1_11comp_targetILNS1_3genE5ELNS1_11target_archE942ELNS1_3gpuE9ELNS1_3repE0EEENS1_30default_config_static_selectorELNS0_4arch9wavefront6targetE0EEEvT1_,comdat
	.globl	_ZN7rocprim17ROCPRIM_400000_NS6detail17trampoline_kernelINS0_14default_configENS1_25partition_config_selectorILNS1_17partition_subalgoE8ElNS0_10empty_typeEbEEZZNS1_14partition_implILS5_8ELb0ES3_jPlPS6_PKS6_NS0_5tupleIJS9_S6_EEENSD_IJSA_SA_EEENS0_18inequality_wrapperIZN2at6native12_GLOBAL__N_124unique_dim_cuda_templateIiEESt5tupleIJNSH_6TensorESM_SM_EERKSM_lbbbEUlllE0_EEPmJS6_EEE10hipError_tPvRmT3_T4_T5_T6_T7_T9_mT8_P12ihipStream_tbDpT10_ENKUlT_T0_E_clISt17integral_constantIbLb0EES1C_EEDaS17_S18_EUlS17_E_NS1_11comp_targetILNS1_3genE5ELNS1_11target_archE942ELNS1_3gpuE9ELNS1_3repE0EEENS1_30default_config_static_selectorELNS0_4arch9wavefront6targetE0EEEvT1_ ; -- Begin function _ZN7rocprim17ROCPRIM_400000_NS6detail17trampoline_kernelINS0_14default_configENS1_25partition_config_selectorILNS1_17partition_subalgoE8ElNS0_10empty_typeEbEEZZNS1_14partition_implILS5_8ELb0ES3_jPlPS6_PKS6_NS0_5tupleIJS9_S6_EEENSD_IJSA_SA_EEENS0_18inequality_wrapperIZN2at6native12_GLOBAL__N_124unique_dim_cuda_templateIiEESt5tupleIJNSH_6TensorESM_SM_EERKSM_lbbbEUlllE0_EEPmJS6_EEE10hipError_tPvRmT3_T4_T5_T6_T7_T9_mT8_P12ihipStream_tbDpT10_ENKUlT_T0_E_clISt17integral_constantIbLb0EES1C_EEDaS17_S18_EUlS17_E_NS1_11comp_targetILNS1_3genE5ELNS1_11target_archE942ELNS1_3gpuE9ELNS1_3repE0EEENS1_30default_config_static_selectorELNS0_4arch9wavefront6targetE0EEEvT1_
	.p2align	8
	.type	_ZN7rocprim17ROCPRIM_400000_NS6detail17trampoline_kernelINS0_14default_configENS1_25partition_config_selectorILNS1_17partition_subalgoE8ElNS0_10empty_typeEbEEZZNS1_14partition_implILS5_8ELb0ES3_jPlPS6_PKS6_NS0_5tupleIJS9_S6_EEENSD_IJSA_SA_EEENS0_18inequality_wrapperIZN2at6native12_GLOBAL__N_124unique_dim_cuda_templateIiEESt5tupleIJNSH_6TensorESM_SM_EERKSM_lbbbEUlllE0_EEPmJS6_EEE10hipError_tPvRmT3_T4_T5_T6_T7_T9_mT8_P12ihipStream_tbDpT10_ENKUlT_T0_E_clISt17integral_constantIbLb0EES1C_EEDaS17_S18_EUlS17_E_NS1_11comp_targetILNS1_3genE5ELNS1_11target_archE942ELNS1_3gpuE9ELNS1_3repE0EEENS1_30default_config_static_selectorELNS0_4arch9wavefront6targetE0EEEvT1_,@function
_ZN7rocprim17ROCPRIM_400000_NS6detail17trampoline_kernelINS0_14default_configENS1_25partition_config_selectorILNS1_17partition_subalgoE8ElNS0_10empty_typeEbEEZZNS1_14partition_implILS5_8ELb0ES3_jPlPS6_PKS6_NS0_5tupleIJS9_S6_EEENSD_IJSA_SA_EEENS0_18inequality_wrapperIZN2at6native12_GLOBAL__N_124unique_dim_cuda_templateIiEESt5tupleIJNSH_6TensorESM_SM_EERKSM_lbbbEUlllE0_EEPmJS6_EEE10hipError_tPvRmT3_T4_T5_T6_T7_T9_mT8_P12ihipStream_tbDpT10_ENKUlT_T0_E_clISt17integral_constantIbLb0EES1C_EEDaS17_S18_EUlS17_E_NS1_11comp_targetILNS1_3genE5ELNS1_11target_archE942ELNS1_3gpuE9ELNS1_3repE0EEENS1_30default_config_static_selectorELNS0_4arch9wavefront6targetE0EEEvT1_: ; @_ZN7rocprim17ROCPRIM_400000_NS6detail17trampoline_kernelINS0_14default_configENS1_25partition_config_selectorILNS1_17partition_subalgoE8ElNS0_10empty_typeEbEEZZNS1_14partition_implILS5_8ELb0ES3_jPlPS6_PKS6_NS0_5tupleIJS9_S6_EEENSD_IJSA_SA_EEENS0_18inequality_wrapperIZN2at6native12_GLOBAL__N_124unique_dim_cuda_templateIiEESt5tupleIJNSH_6TensorESM_SM_EERKSM_lbbbEUlllE0_EEPmJS6_EEE10hipError_tPvRmT3_T4_T5_T6_T7_T9_mT8_P12ihipStream_tbDpT10_ENKUlT_T0_E_clISt17integral_constantIbLb0EES1C_EEDaS17_S18_EUlS17_E_NS1_11comp_targetILNS1_3genE5ELNS1_11target_archE942ELNS1_3gpuE9ELNS1_3repE0EEENS1_30default_config_static_selectorELNS0_4arch9wavefront6targetE0EEEvT1_
; %bb.0:
	.section	.rodata,"a",@progbits
	.p2align	6, 0x0
	.amdhsa_kernel _ZN7rocprim17ROCPRIM_400000_NS6detail17trampoline_kernelINS0_14default_configENS1_25partition_config_selectorILNS1_17partition_subalgoE8ElNS0_10empty_typeEbEEZZNS1_14partition_implILS5_8ELb0ES3_jPlPS6_PKS6_NS0_5tupleIJS9_S6_EEENSD_IJSA_SA_EEENS0_18inequality_wrapperIZN2at6native12_GLOBAL__N_124unique_dim_cuda_templateIiEESt5tupleIJNSH_6TensorESM_SM_EERKSM_lbbbEUlllE0_EEPmJS6_EEE10hipError_tPvRmT3_T4_T5_T6_T7_T9_mT8_P12ihipStream_tbDpT10_ENKUlT_T0_E_clISt17integral_constantIbLb0EES1C_EEDaS17_S18_EUlS17_E_NS1_11comp_targetILNS1_3genE5ELNS1_11target_archE942ELNS1_3gpuE9ELNS1_3repE0EEENS1_30default_config_static_selectorELNS0_4arch9wavefront6targetE0EEEvT1_
		.amdhsa_group_segment_fixed_size 0
		.amdhsa_private_segment_fixed_size 0
		.amdhsa_kernarg_size 120
		.amdhsa_user_sgpr_count 15
		.amdhsa_user_sgpr_dispatch_ptr 0
		.amdhsa_user_sgpr_queue_ptr 0
		.amdhsa_user_sgpr_kernarg_segment_ptr 1
		.amdhsa_user_sgpr_dispatch_id 0
		.amdhsa_user_sgpr_private_segment_size 0
		.amdhsa_wavefront_size32 1
		.amdhsa_uses_dynamic_stack 0
		.amdhsa_enable_private_segment 0
		.amdhsa_system_sgpr_workgroup_id_x 1
		.amdhsa_system_sgpr_workgroup_id_y 0
		.amdhsa_system_sgpr_workgroup_id_z 0
		.amdhsa_system_sgpr_workgroup_info 0
		.amdhsa_system_vgpr_workitem_id 0
		.amdhsa_next_free_vgpr 1
		.amdhsa_next_free_sgpr 1
		.amdhsa_reserve_vcc 0
		.amdhsa_float_round_mode_32 0
		.amdhsa_float_round_mode_16_64 0
		.amdhsa_float_denorm_mode_32 3
		.amdhsa_float_denorm_mode_16_64 3
		.amdhsa_dx10_clamp 1
		.amdhsa_ieee_mode 1
		.amdhsa_fp16_overflow 0
		.amdhsa_workgroup_processor_mode 1
		.amdhsa_memory_ordered 1
		.amdhsa_forward_progress 0
		.amdhsa_shared_vgpr_count 0
		.amdhsa_exception_fp_ieee_invalid_op 0
		.amdhsa_exception_fp_denorm_src 0
		.amdhsa_exception_fp_ieee_div_zero 0
		.amdhsa_exception_fp_ieee_overflow 0
		.amdhsa_exception_fp_ieee_underflow 0
		.amdhsa_exception_fp_ieee_inexact 0
		.amdhsa_exception_int_div_zero 0
	.end_amdhsa_kernel
	.section	.text._ZN7rocprim17ROCPRIM_400000_NS6detail17trampoline_kernelINS0_14default_configENS1_25partition_config_selectorILNS1_17partition_subalgoE8ElNS0_10empty_typeEbEEZZNS1_14partition_implILS5_8ELb0ES3_jPlPS6_PKS6_NS0_5tupleIJS9_S6_EEENSD_IJSA_SA_EEENS0_18inequality_wrapperIZN2at6native12_GLOBAL__N_124unique_dim_cuda_templateIiEESt5tupleIJNSH_6TensorESM_SM_EERKSM_lbbbEUlllE0_EEPmJS6_EEE10hipError_tPvRmT3_T4_T5_T6_T7_T9_mT8_P12ihipStream_tbDpT10_ENKUlT_T0_E_clISt17integral_constantIbLb0EES1C_EEDaS17_S18_EUlS17_E_NS1_11comp_targetILNS1_3genE5ELNS1_11target_archE942ELNS1_3gpuE9ELNS1_3repE0EEENS1_30default_config_static_selectorELNS0_4arch9wavefront6targetE0EEEvT1_,"axG",@progbits,_ZN7rocprim17ROCPRIM_400000_NS6detail17trampoline_kernelINS0_14default_configENS1_25partition_config_selectorILNS1_17partition_subalgoE8ElNS0_10empty_typeEbEEZZNS1_14partition_implILS5_8ELb0ES3_jPlPS6_PKS6_NS0_5tupleIJS9_S6_EEENSD_IJSA_SA_EEENS0_18inequality_wrapperIZN2at6native12_GLOBAL__N_124unique_dim_cuda_templateIiEESt5tupleIJNSH_6TensorESM_SM_EERKSM_lbbbEUlllE0_EEPmJS6_EEE10hipError_tPvRmT3_T4_T5_T6_T7_T9_mT8_P12ihipStream_tbDpT10_ENKUlT_T0_E_clISt17integral_constantIbLb0EES1C_EEDaS17_S18_EUlS17_E_NS1_11comp_targetILNS1_3genE5ELNS1_11target_archE942ELNS1_3gpuE9ELNS1_3repE0EEENS1_30default_config_static_selectorELNS0_4arch9wavefront6targetE0EEEvT1_,comdat
.Lfunc_end442:
	.size	_ZN7rocprim17ROCPRIM_400000_NS6detail17trampoline_kernelINS0_14default_configENS1_25partition_config_selectorILNS1_17partition_subalgoE8ElNS0_10empty_typeEbEEZZNS1_14partition_implILS5_8ELb0ES3_jPlPS6_PKS6_NS0_5tupleIJS9_S6_EEENSD_IJSA_SA_EEENS0_18inequality_wrapperIZN2at6native12_GLOBAL__N_124unique_dim_cuda_templateIiEESt5tupleIJNSH_6TensorESM_SM_EERKSM_lbbbEUlllE0_EEPmJS6_EEE10hipError_tPvRmT3_T4_T5_T6_T7_T9_mT8_P12ihipStream_tbDpT10_ENKUlT_T0_E_clISt17integral_constantIbLb0EES1C_EEDaS17_S18_EUlS17_E_NS1_11comp_targetILNS1_3genE5ELNS1_11target_archE942ELNS1_3gpuE9ELNS1_3repE0EEENS1_30default_config_static_selectorELNS0_4arch9wavefront6targetE0EEEvT1_, .Lfunc_end442-_ZN7rocprim17ROCPRIM_400000_NS6detail17trampoline_kernelINS0_14default_configENS1_25partition_config_selectorILNS1_17partition_subalgoE8ElNS0_10empty_typeEbEEZZNS1_14partition_implILS5_8ELb0ES3_jPlPS6_PKS6_NS0_5tupleIJS9_S6_EEENSD_IJSA_SA_EEENS0_18inequality_wrapperIZN2at6native12_GLOBAL__N_124unique_dim_cuda_templateIiEESt5tupleIJNSH_6TensorESM_SM_EERKSM_lbbbEUlllE0_EEPmJS6_EEE10hipError_tPvRmT3_T4_T5_T6_T7_T9_mT8_P12ihipStream_tbDpT10_ENKUlT_T0_E_clISt17integral_constantIbLb0EES1C_EEDaS17_S18_EUlS17_E_NS1_11comp_targetILNS1_3genE5ELNS1_11target_archE942ELNS1_3gpuE9ELNS1_3repE0EEENS1_30default_config_static_selectorELNS0_4arch9wavefront6targetE0EEEvT1_
                                        ; -- End function
	.section	.AMDGPU.csdata,"",@progbits
; Kernel info:
; codeLenInByte = 0
; NumSgprs: 0
; NumVgprs: 0
; ScratchSize: 0
; MemoryBound: 0
; FloatMode: 240
; IeeeMode: 1
; LDSByteSize: 0 bytes/workgroup (compile time only)
; SGPRBlocks: 0
; VGPRBlocks: 0
; NumSGPRsForWavesPerEU: 1
; NumVGPRsForWavesPerEU: 1
; Occupancy: 16
; WaveLimiterHint : 0
; COMPUTE_PGM_RSRC2:SCRATCH_EN: 0
; COMPUTE_PGM_RSRC2:USER_SGPR: 15
; COMPUTE_PGM_RSRC2:TRAP_HANDLER: 0
; COMPUTE_PGM_RSRC2:TGID_X_EN: 1
; COMPUTE_PGM_RSRC2:TGID_Y_EN: 0
; COMPUTE_PGM_RSRC2:TGID_Z_EN: 0
; COMPUTE_PGM_RSRC2:TIDIG_COMP_CNT: 0
	.section	.text._ZN7rocprim17ROCPRIM_400000_NS6detail17trampoline_kernelINS0_14default_configENS1_25partition_config_selectorILNS1_17partition_subalgoE8ElNS0_10empty_typeEbEEZZNS1_14partition_implILS5_8ELb0ES3_jPlPS6_PKS6_NS0_5tupleIJS9_S6_EEENSD_IJSA_SA_EEENS0_18inequality_wrapperIZN2at6native12_GLOBAL__N_124unique_dim_cuda_templateIiEESt5tupleIJNSH_6TensorESM_SM_EERKSM_lbbbEUlllE0_EEPmJS6_EEE10hipError_tPvRmT3_T4_T5_T6_T7_T9_mT8_P12ihipStream_tbDpT10_ENKUlT_T0_E_clISt17integral_constantIbLb0EES1C_EEDaS17_S18_EUlS17_E_NS1_11comp_targetILNS1_3genE4ELNS1_11target_archE910ELNS1_3gpuE8ELNS1_3repE0EEENS1_30default_config_static_selectorELNS0_4arch9wavefront6targetE0EEEvT1_,"axG",@progbits,_ZN7rocprim17ROCPRIM_400000_NS6detail17trampoline_kernelINS0_14default_configENS1_25partition_config_selectorILNS1_17partition_subalgoE8ElNS0_10empty_typeEbEEZZNS1_14partition_implILS5_8ELb0ES3_jPlPS6_PKS6_NS0_5tupleIJS9_S6_EEENSD_IJSA_SA_EEENS0_18inequality_wrapperIZN2at6native12_GLOBAL__N_124unique_dim_cuda_templateIiEESt5tupleIJNSH_6TensorESM_SM_EERKSM_lbbbEUlllE0_EEPmJS6_EEE10hipError_tPvRmT3_T4_T5_T6_T7_T9_mT8_P12ihipStream_tbDpT10_ENKUlT_T0_E_clISt17integral_constantIbLb0EES1C_EEDaS17_S18_EUlS17_E_NS1_11comp_targetILNS1_3genE4ELNS1_11target_archE910ELNS1_3gpuE8ELNS1_3repE0EEENS1_30default_config_static_selectorELNS0_4arch9wavefront6targetE0EEEvT1_,comdat
	.globl	_ZN7rocprim17ROCPRIM_400000_NS6detail17trampoline_kernelINS0_14default_configENS1_25partition_config_selectorILNS1_17partition_subalgoE8ElNS0_10empty_typeEbEEZZNS1_14partition_implILS5_8ELb0ES3_jPlPS6_PKS6_NS0_5tupleIJS9_S6_EEENSD_IJSA_SA_EEENS0_18inequality_wrapperIZN2at6native12_GLOBAL__N_124unique_dim_cuda_templateIiEESt5tupleIJNSH_6TensorESM_SM_EERKSM_lbbbEUlllE0_EEPmJS6_EEE10hipError_tPvRmT3_T4_T5_T6_T7_T9_mT8_P12ihipStream_tbDpT10_ENKUlT_T0_E_clISt17integral_constantIbLb0EES1C_EEDaS17_S18_EUlS17_E_NS1_11comp_targetILNS1_3genE4ELNS1_11target_archE910ELNS1_3gpuE8ELNS1_3repE0EEENS1_30default_config_static_selectorELNS0_4arch9wavefront6targetE0EEEvT1_ ; -- Begin function _ZN7rocprim17ROCPRIM_400000_NS6detail17trampoline_kernelINS0_14default_configENS1_25partition_config_selectorILNS1_17partition_subalgoE8ElNS0_10empty_typeEbEEZZNS1_14partition_implILS5_8ELb0ES3_jPlPS6_PKS6_NS0_5tupleIJS9_S6_EEENSD_IJSA_SA_EEENS0_18inequality_wrapperIZN2at6native12_GLOBAL__N_124unique_dim_cuda_templateIiEESt5tupleIJNSH_6TensorESM_SM_EERKSM_lbbbEUlllE0_EEPmJS6_EEE10hipError_tPvRmT3_T4_T5_T6_T7_T9_mT8_P12ihipStream_tbDpT10_ENKUlT_T0_E_clISt17integral_constantIbLb0EES1C_EEDaS17_S18_EUlS17_E_NS1_11comp_targetILNS1_3genE4ELNS1_11target_archE910ELNS1_3gpuE8ELNS1_3repE0EEENS1_30default_config_static_selectorELNS0_4arch9wavefront6targetE0EEEvT1_
	.p2align	8
	.type	_ZN7rocprim17ROCPRIM_400000_NS6detail17trampoline_kernelINS0_14default_configENS1_25partition_config_selectorILNS1_17partition_subalgoE8ElNS0_10empty_typeEbEEZZNS1_14partition_implILS5_8ELb0ES3_jPlPS6_PKS6_NS0_5tupleIJS9_S6_EEENSD_IJSA_SA_EEENS0_18inequality_wrapperIZN2at6native12_GLOBAL__N_124unique_dim_cuda_templateIiEESt5tupleIJNSH_6TensorESM_SM_EERKSM_lbbbEUlllE0_EEPmJS6_EEE10hipError_tPvRmT3_T4_T5_T6_T7_T9_mT8_P12ihipStream_tbDpT10_ENKUlT_T0_E_clISt17integral_constantIbLb0EES1C_EEDaS17_S18_EUlS17_E_NS1_11comp_targetILNS1_3genE4ELNS1_11target_archE910ELNS1_3gpuE8ELNS1_3repE0EEENS1_30default_config_static_selectorELNS0_4arch9wavefront6targetE0EEEvT1_,@function
_ZN7rocprim17ROCPRIM_400000_NS6detail17trampoline_kernelINS0_14default_configENS1_25partition_config_selectorILNS1_17partition_subalgoE8ElNS0_10empty_typeEbEEZZNS1_14partition_implILS5_8ELb0ES3_jPlPS6_PKS6_NS0_5tupleIJS9_S6_EEENSD_IJSA_SA_EEENS0_18inequality_wrapperIZN2at6native12_GLOBAL__N_124unique_dim_cuda_templateIiEESt5tupleIJNSH_6TensorESM_SM_EERKSM_lbbbEUlllE0_EEPmJS6_EEE10hipError_tPvRmT3_T4_T5_T6_T7_T9_mT8_P12ihipStream_tbDpT10_ENKUlT_T0_E_clISt17integral_constantIbLb0EES1C_EEDaS17_S18_EUlS17_E_NS1_11comp_targetILNS1_3genE4ELNS1_11target_archE910ELNS1_3gpuE8ELNS1_3repE0EEENS1_30default_config_static_selectorELNS0_4arch9wavefront6targetE0EEEvT1_: ; @_ZN7rocprim17ROCPRIM_400000_NS6detail17trampoline_kernelINS0_14default_configENS1_25partition_config_selectorILNS1_17partition_subalgoE8ElNS0_10empty_typeEbEEZZNS1_14partition_implILS5_8ELb0ES3_jPlPS6_PKS6_NS0_5tupleIJS9_S6_EEENSD_IJSA_SA_EEENS0_18inequality_wrapperIZN2at6native12_GLOBAL__N_124unique_dim_cuda_templateIiEESt5tupleIJNSH_6TensorESM_SM_EERKSM_lbbbEUlllE0_EEPmJS6_EEE10hipError_tPvRmT3_T4_T5_T6_T7_T9_mT8_P12ihipStream_tbDpT10_ENKUlT_T0_E_clISt17integral_constantIbLb0EES1C_EEDaS17_S18_EUlS17_E_NS1_11comp_targetILNS1_3genE4ELNS1_11target_archE910ELNS1_3gpuE8ELNS1_3repE0EEENS1_30default_config_static_selectorELNS0_4arch9wavefront6targetE0EEEvT1_
; %bb.0:
	.section	.rodata,"a",@progbits
	.p2align	6, 0x0
	.amdhsa_kernel _ZN7rocprim17ROCPRIM_400000_NS6detail17trampoline_kernelINS0_14default_configENS1_25partition_config_selectorILNS1_17partition_subalgoE8ElNS0_10empty_typeEbEEZZNS1_14partition_implILS5_8ELb0ES3_jPlPS6_PKS6_NS0_5tupleIJS9_S6_EEENSD_IJSA_SA_EEENS0_18inequality_wrapperIZN2at6native12_GLOBAL__N_124unique_dim_cuda_templateIiEESt5tupleIJNSH_6TensorESM_SM_EERKSM_lbbbEUlllE0_EEPmJS6_EEE10hipError_tPvRmT3_T4_T5_T6_T7_T9_mT8_P12ihipStream_tbDpT10_ENKUlT_T0_E_clISt17integral_constantIbLb0EES1C_EEDaS17_S18_EUlS17_E_NS1_11comp_targetILNS1_3genE4ELNS1_11target_archE910ELNS1_3gpuE8ELNS1_3repE0EEENS1_30default_config_static_selectorELNS0_4arch9wavefront6targetE0EEEvT1_
		.amdhsa_group_segment_fixed_size 0
		.amdhsa_private_segment_fixed_size 0
		.amdhsa_kernarg_size 120
		.amdhsa_user_sgpr_count 15
		.amdhsa_user_sgpr_dispatch_ptr 0
		.amdhsa_user_sgpr_queue_ptr 0
		.amdhsa_user_sgpr_kernarg_segment_ptr 1
		.amdhsa_user_sgpr_dispatch_id 0
		.amdhsa_user_sgpr_private_segment_size 0
		.amdhsa_wavefront_size32 1
		.amdhsa_uses_dynamic_stack 0
		.amdhsa_enable_private_segment 0
		.amdhsa_system_sgpr_workgroup_id_x 1
		.amdhsa_system_sgpr_workgroup_id_y 0
		.amdhsa_system_sgpr_workgroup_id_z 0
		.amdhsa_system_sgpr_workgroup_info 0
		.amdhsa_system_vgpr_workitem_id 0
		.amdhsa_next_free_vgpr 1
		.amdhsa_next_free_sgpr 1
		.amdhsa_reserve_vcc 0
		.amdhsa_float_round_mode_32 0
		.amdhsa_float_round_mode_16_64 0
		.amdhsa_float_denorm_mode_32 3
		.amdhsa_float_denorm_mode_16_64 3
		.amdhsa_dx10_clamp 1
		.amdhsa_ieee_mode 1
		.amdhsa_fp16_overflow 0
		.amdhsa_workgroup_processor_mode 1
		.amdhsa_memory_ordered 1
		.amdhsa_forward_progress 0
		.amdhsa_shared_vgpr_count 0
		.amdhsa_exception_fp_ieee_invalid_op 0
		.amdhsa_exception_fp_denorm_src 0
		.amdhsa_exception_fp_ieee_div_zero 0
		.amdhsa_exception_fp_ieee_overflow 0
		.amdhsa_exception_fp_ieee_underflow 0
		.amdhsa_exception_fp_ieee_inexact 0
		.amdhsa_exception_int_div_zero 0
	.end_amdhsa_kernel
	.section	.text._ZN7rocprim17ROCPRIM_400000_NS6detail17trampoline_kernelINS0_14default_configENS1_25partition_config_selectorILNS1_17partition_subalgoE8ElNS0_10empty_typeEbEEZZNS1_14partition_implILS5_8ELb0ES3_jPlPS6_PKS6_NS0_5tupleIJS9_S6_EEENSD_IJSA_SA_EEENS0_18inequality_wrapperIZN2at6native12_GLOBAL__N_124unique_dim_cuda_templateIiEESt5tupleIJNSH_6TensorESM_SM_EERKSM_lbbbEUlllE0_EEPmJS6_EEE10hipError_tPvRmT3_T4_T5_T6_T7_T9_mT8_P12ihipStream_tbDpT10_ENKUlT_T0_E_clISt17integral_constantIbLb0EES1C_EEDaS17_S18_EUlS17_E_NS1_11comp_targetILNS1_3genE4ELNS1_11target_archE910ELNS1_3gpuE8ELNS1_3repE0EEENS1_30default_config_static_selectorELNS0_4arch9wavefront6targetE0EEEvT1_,"axG",@progbits,_ZN7rocprim17ROCPRIM_400000_NS6detail17trampoline_kernelINS0_14default_configENS1_25partition_config_selectorILNS1_17partition_subalgoE8ElNS0_10empty_typeEbEEZZNS1_14partition_implILS5_8ELb0ES3_jPlPS6_PKS6_NS0_5tupleIJS9_S6_EEENSD_IJSA_SA_EEENS0_18inequality_wrapperIZN2at6native12_GLOBAL__N_124unique_dim_cuda_templateIiEESt5tupleIJNSH_6TensorESM_SM_EERKSM_lbbbEUlllE0_EEPmJS6_EEE10hipError_tPvRmT3_T4_T5_T6_T7_T9_mT8_P12ihipStream_tbDpT10_ENKUlT_T0_E_clISt17integral_constantIbLb0EES1C_EEDaS17_S18_EUlS17_E_NS1_11comp_targetILNS1_3genE4ELNS1_11target_archE910ELNS1_3gpuE8ELNS1_3repE0EEENS1_30default_config_static_selectorELNS0_4arch9wavefront6targetE0EEEvT1_,comdat
.Lfunc_end443:
	.size	_ZN7rocprim17ROCPRIM_400000_NS6detail17trampoline_kernelINS0_14default_configENS1_25partition_config_selectorILNS1_17partition_subalgoE8ElNS0_10empty_typeEbEEZZNS1_14partition_implILS5_8ELb0ES3_jPlPS6_PKS6_NS0_5tupleIJS9_S6_EEENSD_IJSA_SA_EEENS0_18inequality_wrapperIZN2at6native12_GLOBAL__N_124unique_dim_cuda_templateIiEESt5tupleIJNSH_6TensorESM_SM_EERKSM_lbbbEUlllE0_EEPmJS6_EEE10hipError_tPvRmT3_T4_T5_T6_T7_T9_mT8_P12ihipStream_tbDpT10_ENKUlT_T0_E_clISt17integral_constantIbLb0EES1C_EEDaS17_S18_EUlS17_E_NS1_11comp_targetILNS1_3genE4ELNS1_11target_archE910ELNS1_3gpuE8ELNS1_3repE0EEENS1_30default_config_static_selectorELNS0_4arch9wavefront6targetE0EEEvT1_, .Lfunc_end443-_ZN7rocprim17ROCPRIM_400000_NS6detail17trampoline_kernelINS0_14default_configENS1_25partition_config_selectorILNS1_17partition_subalgoE8ElNS0_10empty_typeEbEEZZNS1_14partition_implILS5_8ELb0ES3_jPlPS6_PKS6_NS0_5tupleIJS9_S6_EEENSD_IJSA_SA_EEENS0_18inequality_wrapperIZN2at6native12_GLOBAL__N_124unique_dim_cuda_templateIiEESt5tupleIJNSH_6TensorESM_SM_EERKSM_lbbbEUlllE0_EEPmJS6_EEE10hipError_tPvRmT3_T4_T5_T6_T7_T9_mT8_P12ihipStream_tbDpT10_ENKUlT_T0_E_clISt17integral_constantIbLb0EES1C_EEDaS17_S18_EUlS17_E_NS1_11comp_targetILNS1_3genE4ELNS1_11target_archE910ELNS1_3gpuE8ELNS1_3repE0EEENS1_30default_config_static_selectorELNS0_4arch9wavefront6targetE0EEEvT1_
                                        ; -- End function
	.section	.AMDGPU.csdata,"",@progbits
; Kernel info:
; codeLenInByte = 0
; NumSgprs: 0
; NumVgprs: 0
; ScratchSize: 0
; MemoryBound: 0
; FloatMode: 240
; IeeeMode: 1
; LDSByteSize: 0 bytes/workgroup (compile time only)
; SGPRBlocks: 0
; VGPRBlocks: 0
; NumSGPRsForWavesPerEU: 1
; NumVGPRsForWavesPerEU: 1
; Occupancy: 16
; WaveLimiterHint : 0
; COMPUTE_PGM_RSRC2:SCRATCH_EN: 0
; COMPUTE_PGM_RSRC2:USER_SGPR: 15
; COMPUTE_PGM_RSRC2:TRAP_HANDLER: 0
; COMPUTE_PGM_RSRC2:TGID_X_EN: 1
; COMPUTE_PGM_RSRC2:TGID_Y_EN: 0
; COMPUTE_PGM_RSRC2:TGID_Z_EN: 0
; COMPUTE_PGM_RSRC2:TIDIG_COMP_CNT: 0
	.section	.text._ZN7rocprim17ROCPRIM_400000_NS6detail17trampoline_kernelINS0_14default_configENS1_25partition_config_selectorILNS1_17partition_subalgoE8ElNS0_10empty_typeEbEEZZNS1_14partition_implILS5_8ELb0ES3_jPlPS6_PKS6_NS0_5tupleIJS9_S6_EEENSD_IJSA_SA_EEENS0_18inequality_wrapperIZN2at6native12_GLOBAL__N_124unique_dim_cuda_templateIiEESt5tupleIJNSH_6TensorESM_SM_EERKSM_lbbbEUlllE0_EEPmJS6_EEE10hipError_tPvRmT3_T4_T5_T6_T7_T9_mT8_P12ihipStream_tbDpT10_ENKUlT_T0_E_clISt17integral_constantIbLb0EES1C_EEDaS17_S18_EUlS17_E_NS1_11comp_targetILNS1_3genE3ELNS1_11target_archE908ELNS1_3gpuE7ELNS1_3repE0EEENS1_30default_config_static_selectorELNS0_4arch9wavefront6targetE0EEEvT1_,"axG",@progbits,_ZN7rocprim17ROCPRIM_400000_NS6detail17trampoline_kernelINS0_14default_configENS1_25partition_config_selectorILNS1_17partition_subalgoE8ElNS0_10empty_typeEbEEZZNS1_14partition_implILS5_8ELb0ES3_jPlPS6_PKS6_NS0_5tupleIJS9_S6_EEENSD_IJSA_SA_EEENS0_18inequality_wrapperIZN2at6native12_GLOBAL__N_124unique_dim_cuda_templateIiEESt5tupleIJNSH_6TensorESM_SM_EERKSM_lbbbEUlllE0_EEPmJS6_EEE10hipError_tPvRmT3_T4_T5_T6_T7_T9_mT8_P12ihipStream_tbDpT10_ENKUlT_T0_E_clISt17integral_constantIbLb0EES1C_EEDaS17_S18_EUlS17_E_NS1_11comp_targetILNS1_3genE3ELNS1_11target_archE908ELNS1_3gpuE7ELNS1_3repE0EEENS1_30default_config_static_selectorELNS0_4arch9wavefront6targetE0EEEvT1_,comdat
	.globl	_ZN7rocprim17ROCPRIM_400000_NS6detail17trampoline_kernelINS0_14default_configENS1_25partition_config_selectorILNS1_17partition_subalgoE8ElNS0_10empty_typeEbEEZZNS1_14partition_implILS5_8ELb0ES3_jPlPS6_PKS6_NS0_5tupleIJS9_S6_EEENSD_IJSA_SA_EEENS0_18inequality_wrapperIZN2at6native12_GLOBAL__N_124unique_dim_cuda_templateIiEESt5tupleIJNSH_6TensorESM_SM_EERKSM_lbbbEUlllE0_EEPmJS6_EEE10hipError_tPvRmT3_T4_T5_T6_T7_T9_mT8_P12ihipStream_tbDpT10_ENKUlT_T0_E_clISt17integral_constantIbLb0EES1C_EEDaS17_S18_EUlS17_E_NS1_11comp_targetILNS1_3genE3ELNS1_11target_archE908ELNS1_3gpuE7ELNS1_3repE0EEENS1_30default_config_static_selectorELNS0_4arch9wavefront6targetE0EEEvT1_ ; -- Begin function _ZN7rocprim17ROCPRIM_400000_NS6detail17trampoline_kernelINS0_14default_configENS1_25partition_config_selectorILNS1_17partition_subalgoE8ElNS0_10empty_typeEbEEZZNS1_14partition_implILS5_8ELb0ES3_jPlPS6_PKS6_NS0_5tupleIJS9_S6_EEENSD_IJSA_SA_EEENS0_18inequality_wrapperIZN2at6native12_GLOBAL__N_124unique_dim_cuda_templateIiEESt5tupleIJNSH_6TensorESM_SM_EERKSM_lbbbEUlllE0_EEPmJS6_EEE10hipError_tPvRmT3_T4_T5_T6_T7_T9_mT8_P12ihipStream_tbDpT10_ENKUlT_T0_E_clISt17integral_constantIbLb0EES1C_EEDaS17_S18_EUlS17_E_NS1_11comp_targetILNS1_3genE3ELNS1_11target_archE908ELNS1_3gpuE7ELNS1_3repE0EEENS1_30default_config_static_selectorELNS0_4arch9wavefront6targetE0EEEvT1_
	.p2align	8
	.type	_ZN7rocprim17ROCPRIM_400000_NS6detail17trampoline_kernelINS0_14default_configENS1_25partition_config_selectorILNS1_17partition_subalgoE8ElNS0_10empty_typeEbEEZZNS1_14partition_implILS5_8ELb0ES3_jPlPS6_PKS6_NS0_5tupleIJS9_S6_EEENSD_IJSA_SA_EEENS0_18inequality_wrapperIZN2at6native12_GLOBAL__N_124unique_dim_cuda_templateIiEESt5tupleIJNSH_6TensorESM_SM_EERKSM_lbbbEUlllE0_EEPmJS6_EEE10hipError_tPvRmT3_T4_T5_T6_T7_T9_mT8_P12ihipStream_tbDpT10_ENKUlT_T0_E_clISt17integral_constantIbLb0EES1C_EEDaS17_S18_EUlS17_E_NS1_11comp_targetILNS1_3genE3ELNS1_11target_archE908ELNS1_3gpuE7ELNS1_3repE0EEENS1_30default_config_static_selectorELNS0_4arch9wavefront6targetE0EEEvT1_,@function
_ZN7rocprim17ROCPRIM_400000_NS6detail17trampoline_kernelINS0_14default_configENS1_25partition_config_selectorILNS1_17partition_subalgoE8ElNS0_10empty_typeEbEEZZNS1_14partition_implILS5_8ELb0ES3_jPlPS6_PKS6_NS0_5tupleIJS9_S6_EEENSD_IJSA_SA_EEENS0_18inequality_wrapperIZN2at6native12_GLOBAL__N_124unique_dim_cuda_templateIiEESt5tupleIJNSH_6TensorESM_SM_EERKSM_lbbbEUlllE0_EEPmJS6_EEE10hipError_tPvRmT3_T4_T5_T6_T7_T9_mT8_P12ihipStream_tbDpT10_ENKUlT_T0_E_clISt17integral_constantIbLb0EES1C_EEDaS17_S18_EUlS17_E_NS1_11comp_targetILNS1_3genE3ELNS1_11target_archE908ELNS1_3gpuE7ELNS1_3repE0EEENS1_30default_config_static_selectorELNS0_4arch9wavefront6targetE0EEEvT1_: ; @_ZN7rocprim17ROCPRIM_400000_NS6detail17trampoline_kernelINS0_14default_configENS1_25partition_config_selectorILNS1_17partition_subalgoE8ElNS0_10empty_typeEbEEZZNS1_14partition_implILS5_8ELb0ES3_jPlPS6_PKS6_NS0_5tupleIJS9_S6_EEENSD_IJSA_SA_EEENS0_18inequality_wrapperIZN2at6native12_GLOBAL__N_124unique_dim_cuda_templateIiEESt5tupleIJNSH_6TensorESM_SM_EERKSM_lbbbEUlllE0_EEPmJS6_EEE10hipError_tPvRmT3_T4_T5_T6_T7_T9_mT8_P12ihipStream_tbDpT10_ENKUlT_T0_E_clISt17integral_constantIbLb0EES1C_EEDaS17_S18_EUlS17_E_NS1_11comp_targetILNS1_3genE3ELNS1_11target_archE908ELNS1_3gpuE7ELNS1_3repE0EEENS1_30default_config_static_selectorELNS0_4arch9wavefront6targetE0EEEvT1_
; %bb.0:
	.section	.rodata,"a",@progbits
	.p2align	6, 0x0
	.amdhsa_kernel _ZN7rocprim17ROCPRIM_400000_NS6detail17trampoline_kernelINS0_14default_configENS1_25partition_config_selectorILNS1_17partition_subalgoE8ElNS0_10empty_typeEbEEZZNS1_14partition_implILS5_8ELb0ES3_jPlPS6_PKS6_NS0_5tupleIJS9_S6_EEENSD_IJSA_SA_EEENS0_18inequality_wrapperIZN2at6native12_GLOBAL__N_124unique_dim_cuda_templateIiEESt5tupleIJNSH_6TensorESM_SM_EERKSM_lbbbEUlllE0_EEPmJS6_EEE10hipError_tPvRmT3_T4_T5_T6_T7_T9_mT8_P12ihipStream_tbDpT10_ENKUlT_T0_E_clISt17integral_constantIbLb0EES1C_EEDaS17_S18_EUlS17_E_NS1_11comp_targetILNS1_3genE3ELNS1_11target_archE908ELNS1_3gpuE7ELNS1_3repE0EEENS1_30default_config_static_selectorELNS0_4arch9wavefront6targetE0EEEvT1_
		.amdhsa_group_segment_fixed_size 0
		.amdhsa_private_segment_fixed_size 0
		.amdhsa_kernarg_size 120
		.amdhsa_user_sgpr_count 15
		.amdhsa_user_sgpr_dispatch_ptr 0
		.amdhsa_user_sgpr_queue_ptr 0
		.amdhsa_user_sgpr_kernarg_segment_ptr 1
		.amdhsa_user_sgpr_dispatch_id 0
		.amdhsa_user_sgpr_private_segment_size 0
		.amdhsa_wavefront_size32 1
		.amdhsa_uses_dynamic_stack 0
		.amdhsa_enable_private_segment 0
		.amdhsa_system_sgpr_workgroup_id_x 1
		.amdhsa_system_sgpr_workgroup_id_y 0
		.amdhsa_system_sgpr_workgroup_id_z 0
		.amdhsa_system_sgpr_workgroup_info 0
		.amdhsa_system_vgpr_workitem_id 0
		.amdhsa_next_free_vgpr 1
		.amdhsa_next_free_sgpr 1
		.amdhsa_reserve_vcc 0
		.amdhsa_float_round_mode_32 0
		.amdhsa_float_round_mode_16_64 0
		.amdhsa_float_denorm_mode_32 3
		.amdhsa_float_denorm_mode_16_64 3
		.amdhsa_dx10_clamp 1
		.amdhsa_ieee_mode 1
		.amdhsa_fp16_overflow 0
		.amdhsa_workgroup_processor_mode 1
		.amdhsa_memory_ordered 1
		.amdhsa_forward_progress 0
		.amdhsa_shared_vgpr_count 0
		.amdhsa_exception_fp_ieee_invalid_op 0
		.amdhsa_exception_fp_denorm_src 0
		.amdhsa_exception_fp_ieee_div_zero 0
		.amdhsa_exception_fp_ieee_overflow 0
		.amdhsa_exception_fp_ieee_underflow 0
		.amdhsa_exception_fp_ieee_inexact 0
		.amdhsa_exception_int_div_zero 0
	.end_amdhsa_kernel
	.section	.text._ZN7rocprim17ROCPRIM_400000_NS6detail17trampoline_kernelINS0_14default_configENS1_25partition_config_selectorILNS1_17partition_subalgoE8ElNS0_10empty_typeEbEEZZNS1_14partition_implILS5_8ELb0ES3_jPlPS6_PKS6_NS0_5tupleIJS9_S6_EEENSD_IJSA_SA_EEENS0_18inequality_wrapperIZN2at6native12_GLOBAL__N_124unique_dim_cuda_templateIiEESt5tupleIJNSH_6TensorESM_SM_EERKSM_lbbbEUlllE0_EEPmJS6_EEE10hipError_tPvRmT3_T4_T5_T6_T7_T9_mT8_P12ihipStream_tbDpT10_ENKUlT_T0_E_clISt17integral_constantIbLb0EES1C_EEDaS17_S18_EUlS17_E_NS1_11comp_targetILNS1_3genE3ELNS1_11target_archE908ELNS1_3gpuE7ELNS1_3repE0EEENS1_30default_config_static_selectorELNS0_4arch9wavefront6targetE0EEEvT1_,"axG",@progbits,_ZN7rocprim17ROCPRIM_400000_NS6detail17trampoline_kernelINS0_14default_configENS1_25partition_config_selectorILNS1_17partition_subalgoE8ElNS0_10empty_typeEbEEZZNS1_14partition_implILS5_8ELb0ES3_jPlPS6_PKS6_NS0_5tupleIJS9_S6_EEENSD_IJSA_SA_EEENS0_18inequality_wrapperIZN2at6native12_GLOBAL__N_124unique_dim_cuda_templateIiEESt5tupleIJNSH_6TensorESM_SM_EERKSM_lbbbEUlllE0_EEPmJS6_EEE10hipError_tPvRmT3_T4_T5_T6_T7_T9_mT8_P12ihipStream_tbDpT10_ENKUlT_T0_E_clISt17integral_constantIbLb0EES1C_EEDaS17_S18_EUlS17_E_NS1_11comp_targetILNS1_3genE3ELNS1_11target_archE908ELNS1_3gpuE7ELNS1_3repE0EEENS1_30default_config_static_selectorELNS0_4arch9wavefront6targetE0EEEvT1_,comdat
.Lfunc_end444:
	.size	_ZN7rocprim17ROCPRIM_400000_NS6detail17trampoline_kernelINS0_14default_configENS1_25partition_config_selectorILNS1_17partition_subalgoE8ElNS0_10empty_typeEbEEZZNS1_14partition_implILS5_8ELb0ES3_jPlPS6_PKS6_NS0_5tupleIJS9_S6_EEENSD_IJSA_SA_EEENS0_18inequality_wrapperIZN2at6native12_GLOBAL__N_124unique_dim_cuda_templateIiEESt5tupleIJNSH_6TensorESM_SM_EERKSM_lbbbEUlllE0_EEPmJS6_EEE10hipError_tPvRmT3_T4_T5_T6_T7_T9_mT8_P12ihipStream_tbDpT10_ENKUlT_T0_E_clISt17integral_constantIbLb0EES1C_EEDaS17_S18_EUlS17_E_NS1_11comp_targetILNS1_3genE3ELNS1_11target_archE908ELNS1_3gpuE7ELNS1_3repE0EEENS1_30default_config_static_selectorELNS0_4arch9wavefront6targetE0EEEvT1_, .Lfunc_end444-_ZN7rocprim17ROCPRIM_400000_NS6detail17trampoline_kernelINS0_14default_configENS1_25partition_config_selectorILNS1_17partition_subalgoE8ElNS0_10empty_typeEbEEZZNS1_14partition_implILS5_8ELb0ES3_jPlPS6_PKS6_NS0_5tupleIJS9_S6_EEENSD_IJSA_SA_EEENS0_18inequality_wrapperIZN2at6native12_GLOBAL__N_124unique_dim_cuda_templateIiEESt5tupleIJNSH_6TensorESM_SM_EERKSM_lbbbEUlllE0_EEPmJS6_EEE10hipError_tPvRmT3_T4_T5_T6_T7_T9_mT8_P12ihipStream_tbDpT10_ENKUlT_T0_E_clISt17integral_constantIbLb0EES1C_EEDaS17_S18_EUlS17_E_NS1_11comp_targetILNS1_3genE3ELNS1_11target_archE908ELNS1_3gpuE7ELNS1_3repE0EEENS1_30default_config_static_selectorELNS0_4arch9wavefront6targetE0EEEvT1_
                                        ; -- End function
	.section	.AMDGPU.csdata,"",@progbits
; Kernel info:
; codeLenInByte = 0
; NumSgprs: 0
; NumVgprs: 0
; ScratchSize: 0
; MemoryBound: 0
; FloatMode: 240
; IeeeMode: 1
; LDSByteSize: 0 bytes/workgroup (compile time only)
; SGPRBlocks: 0
; VGPRBlocks: 0
; NumSGPRsForWavesPerEU: 1
; NumVGPRsForWavesPerEU: 1
; Occupancy: 16
; WaveLimiterHint : 0
; COMPUTE_PGM_RSRC2:SCRATCH_EN: 0
; COMPUTE_PGM_RSRC2:USER_SGPR: 15
; COMPUTE_PGM_RSRC2:TRAP_HANDLER: 0
; COMPUTE_PGM_RSRC2:TGID_X_EN: 1
; COMPUTE_PGM_RSRC2:TGID_Y_EN: 0
; COMPUTE_PGM_RSRC2:TGID_Z_EN: 0
; COMPUTE_PGM_RSRC2:TIDIG_COMP_CNT: 0
	.section	.text._ZN7rocprim17ROCPRIM_400000_NS6detail17trampoline_kernelINS0_14default_configENS1_25partition_config_selectorILNS1_17partition_subalgoE8ElNS0_10empty_typeEbEEZZNS1_14partition_implILS5_8ELb0ES3_jPlPS6_PKS6_NS0_5tupleIJS9_S6_EEENSD_IJSA_SA_EEENS0_18inequality_wrapperIZN2at6native12_GLOBAL__N_124unique_dim_cuda_templateIiEESt5tupleIJNSH_6TensorESM_SM_EERKSM_lbbbEUlllE0_EEPmJS6_EEE10hipError_tPvRmT3_T4_T5_T6_T7_T9_mT8_P12ihipStream_tbDpT10_ENKUlT_T0_E_clISt17integral_constantIbLb0EES1C_EEDaS17_S18_EUlS17_E_NS1_11comp_targetILNS1_3genE2ELNS1_11target_archE906ELNS1_3gpuE6ELNS1_3repE0EEENS1_30default_config_static_selectorELNS0_4arch9wavefront6targetE0EEEvT1_,"axG",@progbits,_ZN7rocprim17ROCPRIM_400000_NS6detail17trampoline_kernelINS0_14default_configENS1_25partition_config_selectorILNS1_17partition_subalgoE8ElNS0_10empty_typeEbEEZZNS1_14partition_implILS5_8ELb0ES3_jPlPS6_PKS6_NS0_5tupleIJS9_S6_EEENSD_IJSA_SA_EEENS0_18inequality_wrapperIZN2at6native12_GLOBAL__N_124unique_dim_cuda_templateIiEESt5tupleIJNSH_6TensorESM_SM_EERKSM_lbbbEUlllE0_EEPmJS6_EEE10hipError_tPvRmT3_T4_T5_T6_T7_T9_mT8_P12ihipStream_tbDpT10_ENKUlT_T0_E_clISt17integral_constantIbLb0EES1C_EEDaS17_S18_EUlS17_E_NS1_11comp_targetILNS1_3genE2ELNS1_11target_archE906ELNS1_3gpuE6ELNS1_3repE0EEENS1_30default_config_static_selectorELNS0_4arch9wavefront6targetE0EEEvT1_,comdat
	.globl	_ZN7rocprim17ROCPRIM_400000_NS6detail17trampoline_kernelINS0_14default_configENS1_25partition_config_selectorILNS1_17partition_subalgoE8ElNS0_10empty_typeEbEEZZNS1_14partition_implILS5_8ELb0ES3_jPlPS6_PKS6_NS0_5tupleIJS9_S6_EEENSD_IJSA_SA_EEENS0_18inequality_wrapperIZN2at6native12_GLOBAL__N_124unique_dim_cuda_templateIiEESt5tupleIJNSH_6TensorESM_SM_EERKSM_lbbbEUlllE0_EEPmJS6_EEE10hipError_tPvRmT3_T4_T5_T6_T7_T9_mT8_P12ihipStream_tbDpT10_ENKUlT_T0_E_clISt17integral_constantIbLb0EES1C_EEDaS17_S18_EUlS17_E_NS1_11comp_targetILNS1_3genE2ELNS1_11target_archE906ELNS1_3gpuE6ELNS1_3repE0EEENS1_30default_config_static_selectorELNS0_4arch9wavefront6targetE0EEEvT1_ ; -- Begin function _ZN7rocprim17ROCPRIM_400000_NS6detail17trampoline_kernelINS0_14default_configENS1_25partition_config_selectorILNS1_17partition_subalgoE8ElNS0_10empty_typeEbEEZZNS1_14partition_implILS5_8ELb0ES3_jPlPS6_PKS6_NS0_5tupleIJS9_S6_EEENSD_IJSA_SA_EEENS0_18inequality_wrapperIZN2at6native12_GLOBAL__N_124unique_dim_cuda_templateIiEESt5tupleIJNSH_6TensorESM_SM_EERKSM_lbbbEUlllE0_EEPmJS6_EEE10hipError_tPvRmT3_T4_T5_T6_T7_T9_mT8_P12ihipStream_tbDpT10_ENKUlT_T0_E_clISt17integral_constantIbLb0EES1C_EEDaS17_S18_EUlS17_E_NS1_11comp_targetILNS1_3genE2ELNS1_11target_archE906ELNS1_3gpuE6ELNS1_3repE0EEENS1_30default_config_static_selectorELNS0_4arch9wavefront6targetE0EEEvT1_
	.p2align	8
	.type	_ZN7rocprim17ROCPRIM_400000_NS6detail17trampoline_kernelINS0_14default_configENS1_25partition_config_selectorILNS1_17partition_subalgoE8ElNS0_10empty_typeEbEEZZNS1_14partition_implILS5_8ELb0ES3_jPlPS6_PKS6_NS0_5tupleIJS9_S6_EEENSD_IJSA_SA_EEENS0_18inequality_wrapperIZN2at6native12_GLOBAL__N_124unique_dim_cuda_templateIiEESt5tupleIJNSH_6TensorESM_SM_EERKSM_lbbbEUlllE0_EEPmJS6_EEE10hipError_tPvRmT3_T4_T5_T6_T7_T9_mT8_P12ihipStream_tbDpT10_ENKUlT_T0_E_clISt17integral_constantIbLb0EES1C_EEDaS17_S18_EUlS17_E_NS1_11comp_targetILNS1_3genE2ELNS1_11target_archE906ELNS1_3gpuE6ELNS1_3repE0EEENS1_30default_config_static_selectorELNS0_4arch9wavefront6targetE0EEEvT1_,@function
_ZN7rocprim17ROCPRIM_400000_NS6detail17trampoline_kernelINS0_14default_configENS1_25partition_config_selectorILNS1_17partition_subalgoE8ElNS0_10empty_typeEbEEZZNS1_14partition_implILS5_8ELb0ES3_jPlPS6_PKS6_NS0_5tupleIJS9_S6_EEENSD_IJSA_SA_EEENS0_18inequality_wrapperIZN2at6native12_GLOBAL__N_124unique_dim_cuda_templateIiEESt5tupleIJNSH_6TensorESM_SM_EERKSM_lbbbEUlllE0_EEPmJS6_EEE10hipError_tPvRmT3_T4_T5_T6_T7_T9_mT8_P12ihipStream_tbDpT10_ENKUlT_T0_E_clISt17integral_constantIbLb0EES1C_EEDaS17_S18_EUlS17_E_NS1_11comp_targetILNS1_3genE2ELNS1_11target_archE906ELNS1_3gpuE6ELNS1_3repE0EEENS1_30default_config_static_selectorELNS0_4arch9wavefront6targetE0EEEvT1_: ; @_ZN7rocprim17ROCPRIM_400000_NS6detail17trampoline_kernelINS0_14default_configENS1_25partition_config_selectorILNS1_17partition_subalgoE8ElNS0_10empty_typeEbEEZZNS1_14partition_implILS5_8ELb0ES3_jPlPS6_PKS6_NS0_5tupleIJS9_S6_EEENSD_IJSA_SA_EEENS0_18inequality_wrapperIZN2at6native12_GLOBAL__N_124unique_dim_cuda_templateIiEESt5tupleIJNSH_6TensorESM_SM_EERKSM_lbbbEUlllE0_EEPmJS6_EEE10hipError_tPvRmT3_T4_T5_T6_T7_T9_mT8_P12ihipStream_tbDpT10_ENKUlT_T0_E_clISt17integral_constantIbLb0EES1C_EEDaS17_S18_EUlS17_E_NS1_11comp_targetILNS1_3genE2ELNS1_11target_archE906ELNS1_3gpuE6ELNS1_3repE0EEENS1_30default_config_static_selectorELNS0_4arch9wavefront6targetE0EEEvT1_
; %bb.0:
	.section	.rodata,"a",@progbits
	.p2align	6, 0x0
	.amdhsa_kernel _ZN7rocprim17ROCPRIM_400000_NS6detail17trampoline_kernelINS0_14default_configENS1_25partition_config_selectorILNS1_17partition_subalgoE8ElNS0_10empty_typeEbEEZZNS1_14partition_implILS5_8ELb0ES3_jPlPS6_PKS6_NS0_5tupleIJS9_S6_EEENSD_IJSA_SA_EEENS0_18inequality_wrapperIZN2at6native12_GLOBAL__N_124unique_dim_cuda_templateIiEESt5tupleIJNSH_6TensorESM_SM_EERKSM_lbbbEUlllE0_EEPmJS6_EEE10hipError_tPvRmT3_T4_T5_T6_T7_T9_mT8_P12ihipStream_tbDpT10_ENKUlT_T0_E_clISt17integral_constantIbLb0EES1C_EEDaS17_S18_EUlS17_E_NS1_11comp_targetILNS1_3genE2ELNS1_11target_archE906ELNS1_3gpuE6ELNS1_3repE0EEENS1_30default_config_static_selectorELNS0_4arch9wavefront6targetE0EEEvT1_
		.amdhsa_group_segment_fixed_size 0
		.amdhsa_private_segment_fixed_size 0
		.amdhsa_kernarg_size 120
		.amdhsa_user_sgpr_count 15
		.amdhsa_user_sgpr_dispatch_ptr 0
		.amdhsa_user_sgpr_queue_ptr 0
		.amdhsa_user_sgpr_kernarg_segment_ptr 1
		.amdhsa_user_sgpr_dispatch_id 0
		.amdhsa_user_sgpr_private_segment_size 0
		.amdhsa_wavefront_size32 1
		.amdhsa_uses_dynamic_stack 0
		.amdhsa_enable_private_segment 0
		.amdhsa_system_sgpr_workgroup_id_x 1
		.amdhsa_system_sgpr_workgroup_id_y 0
		.amdhsa_system_sgpr_workgroup_id_z 0
		.amdhsa_system_sgpr_workgroup_info 0
		.amdhsa_system_vgpr_workitem_id 0
		.amdhsa_next_free_vgpr 1
		.amdhsa_next_free_sgpr 1
		.amdhsa_reserve_vcc 0
		.amdhsa_float_round_mode_32 0
		.amdhsa_float_round_mode_16_64 0
		.amdhsa_float_denorm_mode_32 3
		.amdhsa_float_denorm_mode_16_64 3
		.amdhsa_dx10_clamp 1
		.amdhsa_ieee_mode 1
		.amdhsa_fp16_overflow 0
		.amdhsa_workgroup_processor_mode 1
		.amdhsa_memory_ordered 1
		.amdhsa_forward_progress 0
		.amdhsa_shared_vgpr_count 0
		.amdhsa_exception_fp_ieee_invalid_op 0
		.amdhsa_exception_fp_denorm_src 0
		.amdhsa_exception_fp_ieee_div_zero 0
		.amdhsa_exception_fp_ieee_overflow 0
		.amdhsa_exception_fp_ieee_underflow 0
		.amdhsa_exception_fp_ieee_inexact 0
		.amdhsa_exception_int_div_zero 0
	.end_amdhsa_kernel
	.section	.text._ZN7rocprim17ROCPRIM_400000_NS6detail17trampoline_kernelINS0_14default_configENS1_25partition_config_selectorILNS1_17partition_subalgoE8ElNS0_10empty_typeEbEEZZNS1_14partition_implILS5_8ELb0ES3_jPlPS6_PKS6_NS0_5tupleIJS9_S6_EEENSD_IJSA_SA_EEENS0_18inequality_wrapperIZN2at6native12_GLOBAL__N_124unique_dim_cuda_templateIiEESt5tupleIJNSH_6TensorESM_SM_EERKSM_lbbbEUlllE0_EEPmJS6_EEE10hipError_tPvRmT3_T4_T5_T6_T7_T9_mT8_P12ihipStream_tbDpT10_ENKUlT_T0_E_clISt17integral_constantIbLb0EES1C_EEDaS17_S18_EUlS17_E_NS1_11comp_targetILNS1_3genE2ELNS1_11target_archE906ELNS1_3gpuE6ELNS1_3repE0EEENS1_30default_config_static_selectorELNS0_4arch9wavefront6targetE0EEEvT1_,"axG",@progbits,_ZN7rocprim17ROCPRIM_400000_NS6detail17trampoline_kernelINS0_14default_configENS1_25partition_config_selectorILNS1_17partition_subalgoE8ElNS0_10empty_typeEbEEZZNS1_14partition_implILS5_8ELb0ES3_jPlPS6_PKS6_NS0_5tupleIJS9_S6_EEENSD_IJSA_SA_EEENS0_18inequality_wrapperIZN2at6native12_GLOBAL__N_124unique_dim_cuda_templateIiEESt5tupleIJNSH_6TensorESM_SM_EERKSM_lbbbEUlllE0_EEPmJS6_EEE10hipError_tPvRmT3_T4_T5_T6_T7_T9_mT8_P12ihipStream_tbDpT10_ENKUlT_T0_E_clISt17integral_constantIbLb0EES1C_EEDaS17_S18_EUlS17_E_NS1_11comp_targetILNS1_3genE2ELNS1_11target_archE906ELNS1_3gpuE6ELNS1_3repE0EEENS1_30default_config_static_selectorELNS0_4arch9wavefront6targetE0EEEvT1_,comdat
.Lfunc_end445:
	.size	_ZN7rocprim17ROCPRIM_400000_NS6detail17trampoline_kernelINS0_14default_configENS1_25partition_config_selectorILNS1_17partition_subalgoE8ElNS0_10empty_typeEbEEZZNS1_14partition_implILS5_8ELb0ES3_jPlPS6_PKS6_NS0_5tupleIJS9_S6_EEENSD_IJSA_SA_EEENS0_18inequality_wrapperIZN2at6native12_GLOBAL__N_124unique_dim_cuda_templateIiEESt5tupleIJNSH_6TensorESM_SM_EERKSM_lbbbEUlllE0_EEPmJS6_EEE10hipError_tPvRmT3_T4_T5_T6_T7_T9_mT8_P12ihipStream_tbDpT10_ENKUlT_T0_E_clISt17integral_constantIbLb0EES1C_EEDaS17_S18_EUlS17_E_NS1_11comp_targetILNS1_3genE2ELNS1_11target_archE906ELNS1_3gpuE6ELNS1_3repE0EEENS1_30default_config_static_selectorELNS0_4arch9wavefront6targetE0EEEvT1_, .Lfunc_end445-_ZN7rocprim17ROCPRIM_400000_NS6detail17trampoline_kernelINS0_14default_configENS1_25partition_config_selectorILNS1_17partition_subalgoE8ElNS0_10empty_typeEbEEZZNS1_14partition_implILS5_8ELb0ES3_jPlPS6_PKS6_NS0_5tupleIJS9_S6_EEENSD_IJSA_SA_EEENS0_18inequality_wrapperIZN2at6native12_GLOBAL__N_124unique_dim_cuda_templateIiEESt5tupleIJNSH_6TensorESM_SM_EERKSM_lbbbEUlllE0_EEPmJS6_EEE10hipError_tPvRmT3_T4_T5_T6_T7_T9_mT8_P12ihipStream_tbDpT10_ENKUlT_T0_E_clISt17integral_constantIbLb0EES1C_EEDaS17_S18_EUlS17_E_NS1_11comp_targetILNS1_3genE2ELNS1_11target_archE906ELNS1_3gpuE6ELNS1_3repE0EEENS1_30default_config_static_selectorELNS0_4arch9wavefront6targetE0EEEvT1_
                                        ; -- End function
	.section	.AMDGPU.csdata,"",@progbits
; Kernel info:
; codeLenInByte = 0
; NumSgprs: 0
; NumVgprs: 0
; ScratchSize: 0
; MemoryBound: 0
; FloatMode: 240
; IeeeMode: 1
; LDSByteSize: 0 bytes/workgroup (compile time only)
; SGPRBlocks: 0
; VGPRBlocks: 0
; NumSGPRsForWavesPerEU: 1
; NumVGPRsForWavesPerEU: 1
; Occupancy: 16
; WaveLimiterHint : 0
; COMPUTE_PGM_RSRC2:SCRATCH_EN: 0
; COMPUTE_PGM_RSRC2:USER_SGPR: 15
; COMPUTE_PGM_RSRC2:TRAP_HANDLER: 0
; COMPUTE_PGM_RSRC2:TGID_X_EN: 1
; COMPUTE_PGM_RSRC2:TGID_Y_EN: 0
; COMPUTE_PGM_RSRC2:TGID_Z_EN: 0
; COMPUTE_PGM_RSRC2:TIDIG_COMP_CNT: 0
	.section	.text._ZN7rocprim17ROCPRIM_400000_NS6detail17trampoline_kernelINS0_14default_configENS1_25partition_config_selectorILNS1_17partition_subalgoE8ElNS0_10empty_typeEbEEZZNS1_14partition_implILS5_8ELb0ES3_jPlPS6_PKS6_NS0_5tupleIJS9_S6_EEENSD_IJSA_SA_EEENS0_18inequality_wrapperIZN2at6native12_GLOBAL__N_124unique_dim_cuda_templateIiEESt5tupleIJNSH_6TensorESM_SM_EERKSM_lbbbEUlllE0_EEPmJS6_EEE10hipError_tPvRmT3_T4_T5_T6_T7_T9_mT8_P12ihipStream_tbDpT10_ENKUlT_T0_E_clISt17integral_constantIbLb0EES1C_EEDaS17_S18_EUlS17_E_NS1_11comp_targetILNS1_3genE10ELNS1_11target_archE1200ELNS1_3gpuE4ELNS1_3repE0EEENS1_30default_config_static_selectorELNS0_4arch9wavefront6targetE0EEEvT1_,"axG",@progbits,_ZN7rocprim17ROCPRIM_400000_NS6detail17trampoline_kernelINS0_14default_configENS1_25partition_config_selectorILNS1_17partition_subalgoE8ElNS0_10empty_typeEbEEZZNS1_14partition_implILS5_8ELb0ES3_jPlPS6_PKS6_NS0_5tupleIJS9_S6_EEENSD_IJSA_SA_EEENS0_18inequality_wrapperIZN2at6native12_GLOBAL__N_124unique_dim_cuda_templateIiEESt5tupleIJNSH_6TensorESM_SM_EERKSM_lbbbEUlllE0_EEPmJS6_EEE10hipError_tPvRmT3_T4_T5_T6_T7_T9_mT8_P12ihipStream_tbDpT10_ENKUlT_T0_E_clISt17integral_constantIbLb0EES1C_EEDaS17_S18_EUlS17_E_NS1_11comp_targetILNS1_3genE10ELNS1_11target_archE1200ELNS1_3gpuE4ELNS1_3repE0EEENS1_30default_config_static_selectorELNS0_4arch9wavefront6targetE0EEEvT1_,comdat
	.globl	_ZN7rocprim17ROCPRIM_400000_NS6detail17trampoline_kernelINS0_14default_configENS1_25partition_config_selectorILNS1_17partition_subalgoE8ElNS0_10empty_typeEbEEZZNS1_14partition_implILS5_8ELb0ES3_jPlPS6_PKS6_NS0_5tupleIJS9_S6_EEENSD_IJSA_SA_EEENS0_18inequality_wrapperIZN2at6native12_GLOBAL__N_124unique_dim_cuda_templateIiEESt5tupleIJNSH_6TensorESM_SM_EERKSM_lbbbEUlllE0_EEPmJS6_EEE10hipError_tPvRmT3_T4_T5_T6_T7_T9_mT8_P12ihipStream_tbDpT10_ENKUlT_T0_E_clISt17integral_constantIbLb0EES1C_EEDaS17_S18_EUlS17_E_NS1_11comp_targetILNS1_3genE10ELNS1_11target_archE1200ELNS1_3gpuE4ELNS1_3repE0EEENS1_30default_config_static_selectorELNS0_4arch9wavefront6targetE0EEEvT1_ ; -- Begin function _ZN7rocprim17ROCPRIM_400000_NS6detail17trampoline_kernelINS0_14default_configENS1_25partition_config_selectorILNS1_17partition_subalgoE8ElNS0_10empty_typeEbEEZZNS1_14partition_implILS5_8ELb0ES3_jPlPS6_PKS6_NS0_5tupleIJS9_S6_EEENSD_IJSA_SA_EEENS0_18inequality_wrapperIZN2at6native12_GLOBAL__N_124unique_dim_cuda_templateIiEESt5tupleIJNSH_6TensorESM_SM_EERKSM_lbbbEUlllE0_EEPmJS6_EEE10hipError_tPvRmT3_T4_T5_T6_T7_T9_mT8_P12ihipStream_tbDpT10_ENKUlT_T0_E_clISt17integral_constantIbLb0EES1C_EEDaS17_S18_EUlS17_E_NS1_11comp_targetILNS1_3genE10ELNS1_11target_archE1200ELNS1_3gpuE4ELNS1_3repE0EEENS1_30default_config_static_selectorELNS0_4arch9wavefront6targetE0EEEvT1_
	.p2align	8
	.type	_ZN7rocprim17ROCPRIM_400000_NS6detail17trampoline_kernelINS0_14default_configENS1_25partition_config_selectorILNS1_17partition_subalgoE8ElNS0_10empty_typeEbEEZZNS1_14partition_implILS5_8ELb0ES3_jPlPS6_PKS6_NS0_5tupleIJS9_S6_EEENSD_IJSA_SA_EEENS0_18inequality_wrapperIZN2at6native12_GLOBAL__N_124unique_dim_cuda_templateIiEESt5tupleIJNSH_6TensorESM_SM_EERKSM_lbbbEUlllE0_EEPmJS6_EEE10hipError_tPvRmT3_T4_T5_T6_T7_T9_mT8_P12ihipStream_tbDpT10_ENKUlT_T0_E_clISt17integral_constantIbLb0EES1C_EEDaS17_S18_EUlS17_E_NS1_11comp_targetILNS1_3genE10ELNS1_11target_archE1200ELNS1_3gpuE4ELNS1_3repE0EEENS1_30default_config_static_selectorELNS0_4arch9wavefront6targetE0EEEvT1_,@function
_ZN7rocprim17ROCPRIM_400000_NS6detail17trampoline_kernelINS0_14default_configENS1_25partition_config_selectorILNS1_17partition_subalgoE8ElNS0_10empty_typeEbEEZZNS1_14partition_implILS5_8ELb0ES3_jPlPS6_PKS6_NS0_5tupleIJS9_S6_EEENSD_IJSA_SA_EEENS0_18inequality_wrapperIZN2at6native12_GLOBAL__N_124unique_dim_cuda_templateIiEESt5tupleIJNSH_6TensorESM_SM_EERKSM_lbbbEUlllE0_EEPmJS6_EEE10hipError_tPvRmT3_T4_T5_T6_T7_T9_mT8_P12ihipStream_tbDpT10_ENKUlT_T0_E_clISt17integral_constantIbLb0EES1C_EEDaS17_S18_EUlS17_E_NS1_11comp_targetILNS1_3genE10ELNS1_11target_archE1200ELNS1_3gpuE4ELNS1_3repE0EEENS1_30default_config_static_selectorELNS0_4arch9wavefront6targetE0EEEvT1_: ; @_ZN7rocprim17ROCPRIM_400000_NS6detail17trampoline_kernelINS0_14default_configENS1_25partition_config_selectorILNS1_17partition_subalgoE8ElNS0_10empty_typeEbEEZZNS1_14partition_implILS5_8ELb0ES3_jPlPS6_PKS6_NS0_5tupleIJS9_S6_EEENSD_IJSA_SA_EEENS0_18inequality_wrapperIZN2at6native12_GLOBAL__N_124unique_dim_cuda_templateIiEESt5tupleIJNSH_6TensorESM_SM_EERKSM_lbbbEUlllE0_EEPmJS6_EEE10hipError_tPvRmT3_T4_T5_T6_T7_T9_mT8_P12ihipStream_tbDpT10_ENKUlT_T0_E_clISt17integral_constantIbLb0EES1C_EEDaS17_S18_EUlS17_E_NS1_11comp_targetILNS1_3genE10ELNS1_11target_archE1200ELNS1_3gpuE4ELNS1_3repE0EEENS1_30default_config_static_selectorELNS0_4arch9wavefront6targetE0EEEvT1_
; %bb.0:
	.section	.rodata,"a",@progbits
	.p2align	6, 0x0
	.amdhsa_kernel _ZN7rocprim17ROCPRIM_400000_NS6detail17trampoline_kernelINS0_14default_configENS1_25partition_config_selectorILNS1_17partition_subalgoE8ElNS0_10empty_typeEbEEZZNS1_14partition_implILS5_8ELb0ES3_jPlPS6_PKS6_NS0_5tupleIJS9_S6_EEENSD_IJSA_SA_EEENS0_18inequality_wrapperIZN2at6native12_GLOBAL__N_124unique_dim_cuda_templateIiEESt5tupleIJNSH_6TensorESM_SM_EERKSM_lbbbEUlllE0_EEPmJS6_EEE10hipError_tPvRmT3_T4_T5_T6_T7_T9_mT8_P12ihipStream_tbDpT10_ENKUlT_T0_E_clISt17integral_constantIbLb0EES1C_EEDaS17_S18_EUlS17_E_NS1_11comp_targetILNS1_3genE10ELNS1_11target_archE1200ELNS1_3gpuE4ELNS1_3repE0EEENS1_30default_config_static_selectorELNS0_4arch9wavefront6targetE0EEEvT1_
		.amdhsa_group_segment_fixed_size 0
		.amdhsa_private_segment_fixed_size 0
		.amdhsa_kernarg_size 120
		.amdhsa_user_sgpr_count 15
		.amdhsa_user_sgpr_dispatch_ptr 0
		.amdhsa_user_sgpr_queue_ptr 0
		.amdhsa_user_sgpr_kernarg_segment_ptr 1
		.amdhsa_user_sgpr_dispatch_id 0
		.amdhsa_user_sgpr_private_segment_size 0
		.amdhsa_wavefront_size32 1
		.amdhsa_uses_dynamic_stack 0
		.amdhsa_enable_private_segment 0
		.amdhsa_system_sgpr_workgroup_id_x 1
		.amdhsa_system_sgpr_workgroup_id_y 0
		.amdhsa_system_sgpr_workgroup_id_z 0
		.amdhsa_system_sgpr_workgroup_info 0
		.amdhsa_system_vgpr_workitem_id 0
		.amdhsa_next_free_vgpr 1
		.amdhsa_next_free_sgpr 1
		.amdhsa_reserve_vcc 0
		.amdhsa_float_round_mode_32 0
		.amdhsa_float_round_mode_16_64 0
		.amdhsa_float_denorm_mode_32 3
		.amdhsa_float_denorm_mode_16_64 3
		.amdhsa_dx10_clamp 1
		.amdhsa_ieee_mode 1
		.amdhsa_fp16_overflow 0
		.amdhsa_workgroup_processor_mode 1
		.amdhsa_memory_ordered 1
		.amdhsa_forward_progress 0
		.amdhsa_shared_vgpr_count 0
		.amdhsa_exception_fp_ieee_invalid_op 0
		.amdhsa_exception_fp_denorm_src 0
		.amdhsa_exception_fp_ieee_div_zero 0
		.amdhsa_exception_fp_ieee_overflow 0
		.amdhsa_exception_fp_ieee_underflow 0
		.amdhsa_exception_fp_ieee_inexact 0
		.amdhsa_exception_int_div_zero 0
	.end_amdhsa_kernel
	.section	.text._ZN7rocprim17ROCPRIM_400000_NS6detail17trampoline_kernelINS0_14default_configENS1_25partition_config_selectorILNS1_17partition_subalgoE8ElNS0_10empty_typeEbEEZZNS1_14partition_implILS5_8ELb0ES3_jPlPS6_PKS6_NS0_5tupleIJS9_S6_EEENSD_IJSA_SA_EEENS0_18inequality_wrapperIZN2at6native12_GLOBAL__N_124unique_dim_cuda_templateIiEESt5tupleIJNSH_6TensorESM_SM_EERKSM_lbbbEUlllE0_EEPmJS6_EEE10hipError_tPvRmT3_T4_T5_T6_T7_T9_mT8_P12ihipStream_tbDpT10_ENKUlT_T0_E_clISt17integral_constantIbLb0EES1C_EEDaS17_S18_EUlS17_E_NS1_11comp_targetILNS1_3genE10ELNS1_11target_archE1200ELNS1_3gpuE4ELNS1_3repE0EEENS1_30default_config_static_selectorELNS0_4arch9wavefront6targetE0EEEvT1_,"axG",@progbits,_ZN7rocprim17ROCPRIM_400000_NS6detail17trampoline_kernelINS0_14default_configENS1_25partition_config_selectorILNS1_17partition_subalgoE8ElNS0_10empty_typeEbEEZZNS1_14partition_implILS5_8ELb0ES3_jPlPS6_PKS6_NS0_5tupleIJS9_S6_EEENSD_IJSA_SA_EEENS0_18inequality_wrapperIZN2at6native12_GLOBAL__N_124unique_dim_cuda_templateIiEESt5tupleIJNSH_6TensorESM_SM_EERKSM_lbbbEUlllE0_EEPmJS6_EEE10hipError_tPvRmT3_T4_T5_T6_T7_T9_mT8_P12ihipStream_tbDpT10_ENKUlT_T0_E_clISt17integral_constantIbLb0EES1C_EEDaS17_S18_EUlS17_E_NS1_11comp_targetILNS1_3genE10ELNS1_11target_archE1200ELNS1_3gpuE4ELNS1_3repE0EEENS1_30default_config_static_selectorELNS0_4arch9wavefront6targetE0EEEvT1_,comdat
.Lfunc_end446:
	.size	_ZN7rocprim17ROCPRIM_400000_NS6detail17trampoline_kernelINS0_14default_configENS1_25partition_config_selectorILNS1_17partition_subalgoE8ElNS0_10empty_typeEbEEZZNS1_14partition_implILS5_8ELb0ES3_jPlPS6_PKS6_NS0_5tupleIJS9_S6_EEENSD_IJSA_SA_EEENS0_18inequality_wrapperIZN2at6native12_GLOBAL__N_124unique_dim_cuda_templateIiEESt5tupleIJNSH_6TensorESM_SM_EERKSM_lbbbEUlllE0_EEPmJS6_EEE10hipError_tPvRmT3_T4_T5_T6_T7_T9_mT8_P12ihipStream_tbDpT10_ENKUlT_T0_E_clISt17integral_constantIbLb0EES1C_EEDaS17_S18_EUlS17_E_NS1_11comp_targetILNS1_3genE10ELNS1_11target_archE1200ELNS1_3gpuE4ELNS1_3repE0EEENS1_30default_config_static_selectorELNS0_4arch9wavefront6targetE0EEEvT1_, .Lfunc_end446-_ZN7rocprim17ROCPRIM_400000_NS6detail17trampoline_kernelINS0_14default_configENS1_25partition_config_selectorILNS1_17partition_subalgoE8ElNS0_10empty_typeEbEEZZNS1_14partition_implILS5_8ELb0ES3_jPlPS6_PKS6_NS0_5tupleIJS9_S6_EEENSD_IJSA_SA_EEENS0_18inequality_wrapperIZN2at6native12_GLOBAL__N_124unique_dim_cuda_templateIiEESt5tupleIJNSH_6TensorESM_SM_EERKSM_lbbbEUlllE0_EEPmJS6_EEE10hipError_tPvRmT3_T4_T5_T6_T7_T9_mT8_P12ihipStream_tbDpT10_ENKUlT_T0_E_clISt17integral_constantIbLb0EES1C_EEDaS17_S18_EUlS17_E_NS1_11comp_targetILNS1_3genE10ELNS1_11target_archE1200ELNS1_3gpuE4ELNS1_3repE0EEENS1_30default_config_static_selectorELNS0_4arch9wavefront6targetE0EEEvT1_
                                        ; -- End function
	.section	.AMDGPU.csdata,"",@progbits
; Kernel info:
; codeLenInByte = 0
; NumSgprs: 0
; NumVgprs: 0
; ScratchSize: 0
; MemoryBound: 0
; FloatMode: 240
; IeeeMode: 1
; LDSByteSize: 0 bytes/workgroup (compile time only)
; SGPRBlocks: 0
; VGPRBlocks: 0
; NumSGPRsForWavesPerEU: 1
; NumVGPRsForWavesPerEU: 1
; Occupancy: 15
; WaveLimiterHint : 0
; COMPUTE_PGM_RSRC2:SCRATCH_EN: 0
; COMPUTE_PGM_RSRC2:USER_SGPR: 15
; COMPUTE_PGM_RSRC2:TRAP_HANDLER: 0
; COMPUTE_PGM_RSRC2:TGID_X_EN: 1
; COMPUTE_PGM_RSRC2:TGID_Y_EN: 0
; COMPUTE_PGM_RSRC2:TGID_Z_EN: 0
; COMPUTE_PGM_RSRC2:TIDIG_COMP_CNT: 0
	.section	.text._ZN7rocprim17ROCPRIM_400000_NS6detail17trampoline_kernelINS0_14default_configENS1_25partition_config_selectorILNS1_17partition_subalgoE8ElNS0_10empty_typeEbEEZZNS1_14partition_implILS5_8ELb0ES3_jPlPS6_PKS6_NS0_5tupleIJS9_S6_EEENSD_IJSA_SA_EEENS0_18inequality_wrapperIZN2at6native12_GLOBAL__N_124unique_dim_cuda_templateIiEESt5tupleIJNSH_6TensorESM_SM_EERKSM_lbbbEUlllE0_EEPmJS6_EEE10hipError_tPvRmT3_T4_T5_T6_T7_T9_mT8_P12ihipStream_tbDpT10_ENKUlT_T0_E_clISt17integral_constantIbLb0EES1C_EEDaS17_S18_EUlS17_E_NS1_11comp_targetILNS1_3genE9ELNS1_11target_archE1100ELNS1_3gpuE3ELNS1_3repE0EEENS1_30default_config_static_selectorELNS0_4arch9wavefront6targetE0EEEvT1_,"axG",@progbits,_ZN7rocprim17ROCPRIM_400000_NS6detail17trampoline_kernelINS0_14default_configENS1_25partition_config_selectorILNS1_17partition_subalgoE8ElNS0_10empty_typeEbEEZZNS1_14partition_implILS5_8ELb0ES3_jPlPS6_PKS6_NS0_5tupleIJS9_S6_EEENSD_IJSA_SA_EEENS0_18inequality_wrapperIZN2at6native12_GLOBAL__N_124unique_dim_cuda_templateIiEESt5tupleIJNSH_6TensorESM_SM_EERKSM_lbbbEUlllE0_EEPmJS6_EEE10hipError_tPvRmT3_T4_T5_T6_T7_T9_mT8_P12ihipStream_tbDpT10_ENKUlT_T0_E_clISt17integral_constantIbLb0EES1C_EEDaS17_S18_EUlS17_E_NS1_11comp_targetILNS1_3genE9ELNS1_11target_archE1100ELNS1_3gpuE3ELNS1_3repE0EEENS1_30default_config_static_selectorELNS0_4arch9wavefront6targetE0EEEvT1_,comdat
	.globl	_ZN7rocprim17ROCPRIM_400000_NS6detail17trampoline_kernelINS0_14default_configENS1_25partition_config_selectorILNS1_17partition_subalgoE8ElNS0_10empty_typeEbEEZZNS1_14partition_implILS5_8ELb0ES3_jPlPS6_PKS6_NS0_5tupleIJS9_S6_EEENSD_IJSA_SA_EEENS0_18inequality_wrapperIZN2at6native12_GLOBAL__N_124unique_dim_cuda_templateIiEESt5tupleIJNSH_6TensorESM_SM_EERKSM_lbbbEUlllE0_EEPmJS6_EEE10hipError_tPvRmT3_T4_T5_T6_T7_T9_mT8_P12ihipStream_tbDpT10_ENKUlT_T0_E_clISt17integral_constantIbLb0EES1C_EEDaS17_S18_EUlS17_E_NS1_11comp_targetILNS1_3genE9ELNS1_11target_archE1100ELNS1_3gpuE3ELNS1_3repE0EEENS1_30default_config_static_selectorELNS0_4arch9wavefront6targetE0EEEvT1_ ; -- Begin function _ZN7rocprim17ROCPRIM_400000_NS6detail17trampoline_kernelINS0_14default_configENS1_25partition_config_selectorILNS1_17partition_subalgoE8ElNS0_10empty_typeEbEEZZNS1_14partition_implILS5_8ELb0ES3_jPlPS6_PKS6_NS0_5tupleIJS9_S6_EEENSD_IJSA_SA_EEENS0_18inequality_wrapperIZN2at6native12_GLOBAL__N_124unique_dim_cuda_templateIiEESt5tupleIJNSH_6TensorESM_SM_EERKSM_lbbbEUlllE0_EEPmJS6_EEE10hipError_tPvRmT3_T4_T5_T6_T7_T9_mT8_P12ihipStream_tbDpT10_ENKUlT_T0_E_clISt17integral_constantIbLb0EES1C_EEDaS17_S18_EUlS17_E_NS1_11comp_targetILNS1_3genE9ELNS1_11target_archE1100ELNS1_3gpuE3ELNS1_3repE0EEENS1_30default_config_static_selectorELNS0_4arch9wavefront6targetE0EEEvT1_
	.p2align	8
	.type	_ZN7rocprim17ROCPRIM_400000_NS6detail17trampoline_kernelINS0_14default_configENS1_25partition_config_selectorILNS1_17partition_subalgoE8ElNS0_10empty_typeEbEEZZNS1_14partition_implILS5_8ELb0ES3_jPlPS6_PKS6_NS0_5tupleIJS9_S6_EEENSD_IJSA_SA_EEENS0_18inequality_wrapperIZN2at6native12_GLOBAL__N_124unique_dim_cuda_templateIiEESt5tupleIJNSH_6TensorESM_SM_EERKSM_lbbbEUlllE0_EEPmJS6_EEE10hipError_tPvRmT3_T4_T5_T6_T7_T9_mT8_P12ihipStream_tbDpT10_ENKUlT_T0_E_clISt17integral_constantIbLb0EES1C_EEDaS17_S18_EUlS17_E_NS1_11comp_targetILNS1_3genE9ELNS1_11target_archE1100ELNS1_3gpuE3ELNS1_3repE0EEENS1_30default_config_static_selectorELNS0_4arch9wavefront6targetE0EEEvT1_,@function
_ZN7rocprim17ROCPRIM_400000_NS6detail17trampoline_kernelINS0_14default_configENS1_25partition_config_selectorILNS1_17partition_subalgoE8ElNS0_10empty_typeEbEEZZNS1_14partition_implILS5_8ELb0ES3_jPlPS6_PKS6_NS0_5tupleIJS9_S6_EEENSD_IJSA_SA_EEENS0_18inequality_wrapperIZN2at6native12_GLOBAL__N_124unique_dim_cuda_templateIiEESt5tupleIJNSH_6TensorESM_SM_EERKSM_lbbbEUlllE0_EEPmJS6_EEE10hipError_tPvRmT3_T4_T5_T6_T7_T9_mT8_P12ihipStream_tbDpT10_ENKUlT_T0_E_clISt17integral_constantIbLb0EES1C_EEDaS17_S18_EUlS17_E_NS1_11comp_targetILNS1_3genE9ELNS1_11target_archE1100ELNS1_3gpuE3ELNS1_3repE0EEENS1_30default_config_static_selectorELNS0_4arch9wavefront6targetE0EEEvT1_: ; @_ZN7rocprim17ROCPRIM_400000_NS6detail17trampoline_kernelINS0_14default_configENS1_25partition_config_selectorILNS1_17partition_subalgoE8ElNS0_10empty_typeEbEEZZNS1_14partition_implILS5_8ELb0ES3_jPlPS6_PKS6_NS0_5tupleIJS9_S6_EEENSD_IJSA_SA_EEENS0_18inequality_wrapperIZN2at6native12_GLOBAL__N_124unique_dim_cuda_templateIiEESt5tupleIJNSH_6TensorESM_SM_EERKSM_lbbbEUlllE0_EEPmJS6_EEE10hipError_tPvRmT3_T4_T5_T6_T7_T9_mT8_P12ihipStream_tbDpT10_ENKUlT_T0_E_clISt17integral_constantIbLb0EES1C_EEDaS17_S18_EUlS17_E_NS1_11comp_targetILNS1_3genE9ELNS1_11target_archE1100ELNS1_3gpuE3ELNS1_3repE0EEENS1_30default_config_static_selectorELNS0_4arch9wavefront6targetE0EEEvT1_
; %bb.0:
	s_clause 0x3
	s_load_b128 s[4:7], s[0:1], 0x8
	s_load_b256 s[16:23], s[0:1], 0x40
	s_load_b32 s14, s[0:1], 0x70
	s_load_b128 s[8:11], s[0:1], 0x60
	s_mov_b32 s3, 0
	v_lshlrev_b32_e32 v39, 3, v0
	v_lshrrev_b32_e32 v17, 2, v0
	v_or_b32_e32 v24, 0x200, v0
	v_or_b32_e32 v22, 0x400, v0
	;; [unrolled: 1-line block ×7, first 2 shown]
	s_waitcnt lgkmcnt(0)
	s_lshl_b64 s[24:25], s[6:7], 3
	s_load_b64 s[12:13], s[18:19], 0x0
	s_add_u32 s26, s4, s24
	s_addc_u32 s5, s5, s25
	s_add_i32 s24, s14, -1
	s_lshl_b32 s14, s14, 12
	s_lshl_b32 s4, s24, 12
	;; [unrolled: 1-line block ×3, first 2 shown]
	s_add_i32 s4, s6, s4
	s_add_u32 s18, s6, s14
	s_addc_u32 s19, s7, 0
	s_cmp_eq_u32 s15, s24
	v_cmp_ge_u64_e64 s18, s[18:19], s[20:21]
	s_cselect_b32 s14, -1, 0
	s_lshl_b64 s[2:3], s[2:3], 3
	s_delay_alu instid0(VALU_DEP_1) | instskip(NEXT) | instid1(SALU_CYCLE_1)
	s_and_b32 s24, s14, s18
	s_xor_b32 s21, s24, -1
	s_add_u32 s2, s26, s2
	s_addc_u32 s3, s5, s3
	s_and_b32 vcc_lo, exec_lo, s21
	s_mov_b32 s5, -1
	s_cbranch_vccz .LBB447_2
; %bb.1:
	v_add_co_u32 v9, s5, s2, v39
	s_delay_alu instid0(VALU_DEP_1)
	v_add_co_ci_u32_e64 v10, null, s3, 0, s5
	global_load_b64 v[1:2], v39, s[2:3]
	v_add_co_u32 v3, vcc_lo, v9, 0x2000
	v_add_co_ci_u32_e32 v4, vcc_lo, 0, v10, vcc_lo
	v_add_co_u32 v5, vcc_lo, v9, 0x4000
	v_add_co_ci_u32_e32 v6, vcc_lo, 0, v10, vcc_lo
	;; [unrolled: 2-line block ×4, first 2 shown]
	s_clause 0x6
	global_load_b64 v[11:12], v[3:4], off offset:-4096
	global_load_b64 v[3:4], v[3:4], off
	global_load_b64 v[13:14], v[5:6], off offset:-4096
	global_load_b64 v[5:6], v[5:6], off
	;; [unrolled: 2-line block ×3, first 2 shown]
	global_load_b64 v[9:10], v[9:10], off
	v_lshrrev_b32_e32 v26, 2, v24
	v_lshrrev_b32_e32 v27, 2, v22
	;; [unrolled: 1-line block ×4, first 2 shown]
	v_and_b32_e32 v25, 0x78, v17
	v_lshrrev_b32_e32 v30, 2, v20
	v_lshrrev_b32_e32 v31, 2, v19
	;; [unrolled: 1-line block ×3, first 2 shown]
	v_and_b32_e32 v26, 0xf8, v26
	v_and_b32_e32 v27, 0x178, v27
	;; [unrolled: 1-line block ×4, first 2 shown]
	v_add_nc_u32_e32 v25, v25, v39
	v_and_b32_e32 v30, 0x2f8, v30
	v_and_b32_e32 v31, 0x378, v31
	;; [unrolled: 1-line block ×3, first 2 shown]
	v_add_nc_u32_e32 v26, v26, v39
	v_add_nc_u32_e32 v27, v27, v39
	;; [unrolled: 1-line block ×4, first 2 shown]
	s_mov_b32 s5, 0
	v_add_nc_u32_e32 v30, v30, v39
	v_add_nc_u32_e32 v31, v31, v39
	;; [unrolled: 1-line block ×3, first 2 shown]
	s_waitcnt vmcnt(7)
	ds_store_b64 v25, v[1:2]
	s_waitcnt vmcnt(6)
	ds_store_b64 v26, v[11:12] offset:4096
	s_waitcnt vmcnt(5)
	ds_store_b64 v27, v[3:4] offset:8192
	;; [unrolled: 2-line block ×7, first 2 shown]
	s_waitcnt lgkmcnt(0)
	s_barrier
.LBB447_2:
	s_and_not1_b32 vcc_lo, exec_lo, s5
	s_sub_i32 s20, s20, s4
	s_cbranch_vccnz .LBB447_13
; %bb.3:
	s_mov_b32 s4, exec_lo
                                        ; implicit-def: $vgpr1_vgpr2_vgpr3_vgpr4_vgpr5_vgpr6_vgpr7_vgpr8_vgpr9_vgpr10_vgpr11_vgpr12_vgpr13_vgpr14_vgpr15_vgpr16
	v_cmpx_gt_u32_e64 s20, v0
	s_cbranch_execnz .LBB447_23
; %bb.4:
	s_or_b32 exec_lo, exec_lo, s4
	s_delay_alu instid0(SALU_CYCLE_1)
	s_mov_b32 s4, exec_lo
	v_cmpx_gt_u32_e64 s20, v24
	s_cbranch_execnz .LBB447_24
.LBB447_5:
	s_or_b32 exec_lo, exec_lo, s4
	s_delay_alu instid0(SALU_CYCLE_1)
	s_mov_b32 s4, exec_lo
	v_cmpx_gt_u32_e64 s20, v22
	s_cbranch_execnz .LBB447_25
.LBB447_6:
	s_or_b32 exec_lo, exec_lo, s4
	s_delay_alu instid0(SALU_CYCLE_1)
	s_mov_b32 s4, exec_lo
	v_cmpx_gt_u32_e64 s20, v23
	s_cbranch_execnz .LBB447_26
.LBB447_7:
	s_or_b32 exec_lo, exec_lo, s4
	s_delay_alu instid0(SALU_CYCLE_1)
	s_mov_b32 s4, exec_lo
	v_cmpx_gt_u32_e64 s20, v21
	s_cbranch_execnz .LBB447_27
.LBB447_8:
	s_or_b32 exec_lo, exec_lo, s4
	s_delay_alu instid0(SALU_CYCLE_1)
	s_mov_b32 s4, exec_lo
	v_cmpx_gt_u32_e64 s20, v20
	s_cbranch_execnz .LBB447_28
.LBB447_9:
	s_or_b32 exec_lo, exec_lo, s4
	s_delay_alu instid0(SALU_CYCLE_1)
	s_mov_b32 s4, exec_lo
	v_cmpx_gt_u32_e64 s20, v19
	s_cbranch_execnz .LBB447_29
.LBB447_10:
	s_or_b32 exec_lo, exec_lo, s4
	s_delay_alu instid0(SALU_CYCLE_1)
	s_mov_b32 s4, exec_lo
	v_cmpx_gt_u32_e64 s20, v18
	s_cbranch_execz .LBB447_12
.LBB447_11:
	v_lshlrev_b32_e32 v15, 3, v18
	global_load_b64 v[15:16], v15, s[2:3]
.LBB447_12:
	s_or_b32 exec_lo, exec_lo, s4
	v_lshrrev_b32_e32 v24, 2, v24
	v_lshrrev_b32_e32 v22, 2, v22
	;; [unrolled: 1-line block ×4, first 2 shown]
	v_and_b32_e32 v25, 0x78, v17
	v_lshrrev_b32_e32 v20, 2, v20
	v_lshrrev_b32_e32 v19, 2, v19
	;; [unrolled: 1-line block ×3, first 2 shown]
	v_and_b32_e32 v24, 0xf8, v24
	v_and_b32_e32 v22, 0x1f8, v22
	;; [unrolled: 1-line block ×4, first 2 shown]
	v_add_nc_u32_e32 v25, v25, v39
	v_and_b32_e32 v20, 0x3f8, v20
	v_and_b32_e32 v19, 0x3f8, v19
	;; [unrolled: 1-line block ×3, first 2 shown]
	v_add_nc_u32_e32 v24, v24, v39
	v_add_nc_u32_e32 v22, v22, v39
	;; [unrolled: 1-line block ×7, first 2 shown]
	s_waitcnt vmcnt(0)
	ds_store_b64 v25, v[1:2]
	ds_store_b64 v24, v[3:4] offset:4096
	ds_store_b64 v22, v[5:6] offset:8192
	;; [unrolled: 1-line block ×7, first 2 shown]
	s_waitcnt lgkmcnt(0)
	s_barrier
.LBB447_13:
	v_add_lshl_u32 v1, v17, v39, 3
	s_waitcnt lgkmcnt(0)
	buffer_gl0_inv
	s_cmp_lg_u32 s15, 0
	v_cmp_gt_i64_e64 s26, s[22:23], 0
	s_cselect_b32 s25, -1, 0
	ds_load_2addr_b64 v[13:16], v1 offset1:1
	ds_load_2addr_b64 v[9:12], v1 offset0:2 offset1:3
	ds_load_2addr_b64 v[5:8], v1 offset0:4 offset1:5
	;; [unrolled: 1-line block ×3, first 2 shown]
	s_cmp_lg_u64 s[6:7], 0
	s_mov_b32 s18, 0
	s_cselect_b32 s4, -1, 0
	s_waitcnt lgkmcnt(0)
	s_or_b32 s4, s25, s4
	s_barrier
	s_and_b32 vcc_lo, exec_lo, s4
	buffer_gl0_inv
	s_cbranch_vccz .LBB447_22
; %bb.14:
	s_add_u32 s2, s2, -8
	s_addc_u32 s3, s3, -1
	v_cndmask_b32_e64 v25, 0, 1, s26
	s_load_b64 s[4:5], s[2:3], 0x0
	s_and_b32 vcc_lo, exec_lo, s21
	ds_store_b64 v39, v[3:4]
	v_cmp_ne_u32_e64 s2, 1, v25
	s_cbranch_vccz .LBB447_30
; %bb.15:
	v_mul_lo_u32 v19, v2, s22
	v_mul_lo_u32 v20, v1, s23
	v_mad_u64_u32 v[17:18], null, v1, s22, 0
	s_mov_b32 s3, 0
	s_and_b32 vcc_lo, exec_lo, s2
	s_mov_b32 s27, 0
	s_delay_alu instid0(VALU_DEP_1) | instskip(NEXT) | instid1(VALU_DEP_1)
	v_add3_u32 v18, v18, v20, v19
	v_lshlrev_b64 v[17:18], 2, v[17:18]
	s_cbranch_vccnz .LBB447_33
; %bb.16:
	v_mul_lo_u32 v21, v4, s22
	v_mul_lo_u32 v22, v3, s23
	v_mad_u64_u32 v[19:20], null, v3, s22, 0
	s_mov_b32 s27, -1
	s_mov_b32 s28, exec_lo
	s_delay_alu instid0(VALU_DEP_1) | instskip(SKIP_2) | instid1(VALU_DEP_3)
	v_add3_u32 v20, v20, v22, v21
	v_add_co_u32 v21, vcc_lo, s8, v17
	v_add_co_ci_u32_e32 v22, vcc_lo, s9, v18, vcc_lo
	v_lshlrev_b64 v[19:20], 2, v[19:20]
	s_delay_alu instid0(VALU_DEP_1) | instskip(NEXT) | instid1(VALU_DEP_2)
	v_add_co_u32 v19, vcc_lo, s8, v19
	v_add_co_ci_u32_e32 v20, vcc_lo, s9, v20, vcc_lo
	s_clause 0x1
	global_load_b32 v23, v[21:22], off
	global_load_b32 v24, v[19:20], off
	s_waitcnt vmcnt(0)
	v_cmpx_eq_u32_e64 v23, v24
	s_cbranch_execz .LBB447_32
; %bb.17:
	v_add_co_u32 v19, vcc_lo, v19, 4
	v_add_co_ci_u32_e32 v20, vcc_lo, 0, v20, vcc_lo
	v_add_co_u32 v21, vcc_lo, v21, 4
	v_add_co_ci_u32_e32 v22, vcc_lo, 0, v22, vcc_lo
	s_add_u32 s6, s22, -1
	s_addc_u32 s7, s23, -1
	s_mov_b64 s[18:19], 0
	s_mov_b32 s27, 0
                                        ; implicit-def: $sgpr29
	s_set_inst_prefetch_distance 0x1
	s_branch .LBB447_20
	.p2align	6
.LBB447_18:                             ;   in Loop: Header=BB447_20 Depth=1
	global_load_b32 v23, v[21:22], off
	global_load_b32 v24, v[19:20], off
	v_add_co_u32 v19, vcc_lo, v19, 4
	v_add_co_ci_u32_e32 v20, vcc_lo, 0, v20, vcc_lo
	v_add_co_u32 v21, s2, v21, 4
	s_delay_alu instid0(VALU_DEP_1)
	v_add_co_ci_u32_e64 v22, s2, 0, v22, s2
	s_add_u32 s18, s18, 1
	s_addc_u32 s19, s19, 0
	s_and_not1_b32 s2, s29, exec_lo
	s_waitcnt vmcnt(0)
	v_cmp_ne_u32_e32 vcc_lo, v23, v24
	s_and_b32 s29, vcc_lo, exec_lo
	s_delay_alu instid0(SALU_CYCLE_1)
	s_or_b32 s29, s2, s29
.LBB447_19:                             ;   in Loop: Header=BB447_20 Depth=1
	v_dual_mov_b32 v24, s19 :: v_dual_mov_b32 v23, s18
	s_and_b32 s2, exec_lo, s29
	s_delay_alu instid0(SALU_CYCLE_1) | instskip(NEXT) | instid1(SALU_CYCLE_1)
	s_or_b32 s27, s2, s27
	s_and_not1_b32 exec_lo, exec_lo, s27
	s_cbranch_execz .LBB447_31
.LBB447_20:                             ; =>This Inner Loop Header: Depth=1
	s_or_b32 s29, s29, exec_lo
	s_cmp_eq_u64 s[6:7], s[18:19]
	s_cbranch_scc0 .LBB447_18
; %bb.21:                               ;   in Loop: Header=BB447_20 Depth=1
	s_mov_b64 s[18:19], s[22:23]
                                        ; implicit-def: $vgpr19_vgpr20
                                        ; implicit-def: $vgpr21_vgpr22
	s_branch .LBB447_19
.LBB447_22:
                                        ; implicit-def: $sgpr2
                                        ; implicit-def: $vgpr18
	s_branch .LBB447_191
.LBB447_23:
	global_load_b64 v[1:2], v39, s[2:3]
	s_or_b32 exec_lo, exec_lo, s4
	s_delay_alu instid0(SALU_CYCLE_1)
	s_mov_b32 s4, exec_lo
	v_cmpx_gt_u32_e64 s20, v24
	s_cbranch_execz .LBB447_5
.LBB447_24:
	v_lshlrev_b32_e32 v3, 3, v24
	global_load_b64 v[3:4], v3, s[2:3]
	s_or_b32 exec_lo, exec_lo, s4
	s_delay_alu instid0(SALU_CYCLE_1)
	s_mov_b32 s4, exec_lo
	v_cmpx_gt_u32_e64 s20, v22
	s_cbranch_execz .LBB447_6
.LBB447_25:
	v_lshlrev_b32_e32 v5, 3, v22
	global_load_b64 v[5:6], v5, s[2:3]
	s_or_b32 exec_lo, exec_lo, s4
	s_delay_alu instid0(SALU_CYCLE_1)
	s_mov_b32 s4, exec_lo
	v_cmpx_gt_u32_e64 s20, v23
	s_cbranch_execz .LBB447_7
.LBB447_26:
	v_lshlrev_b32_e32 v7, 3, v23
	global_load_b64 v[7:8], v7, s[2:3]
	s_or_b32 exec_lo, exec_lo, s4
	s_delay_alu instid0(SALU_CYCLE_1)
	s_mov_b32 s4, exec_lo
	v_cmpx_gt_u32_e64 s20, v21
	s_cbranch_execz .LBB447_8
.LBB447_27:
	v_lshlrev_b32_e32 v9, 3, v21
	global_load_b64 v[9:10], v9, s[2:3]
	s_or_b32 exec_lo, exec_lo, s4
	s_delay_alu instid0(SALU_CYCLE_1)
	s_mov_b32 s4, exec_lo
	v_cmpx_gt_u32_e64 s20, v20
	s_cbranch_execz .LBB447_9
.LBB447_28:
	v_lshlrev_b32_e32 v11, 3, v20
	global_load_b64 v[11:12], v11, s[2:3]
	s_or_b32 exec_lo, exec_lo, s4
	s_delay_alu instid0(SALU_CYCLE_1)
	s_mov_b32 s4, exec_lo
	v_cmpx_gt_u32_e64 s20, v19
	s_cbranch_execz .LBB447_10
.LBB447_29:
	v_lshlrev_b32_e32 v13, 3, v19
	global_load_b64 v[13:14], v13, s[2:3]
	s_or_b32 exec_lo, exec_lo, s4
	s_delay_alu instid0(SALU_CYCLE_1)
	s_mov_b32 s4, exec_lo
	v_cmpx_gt_u32_e64 s20, v18
	s_cbranch_execnz .LBB447_11
	s_branch .LBB447_12
.LBB447_30:
                                        ; implicit-def: $sgpr2
                                        ; implicit-def: $vgpr18
	s_cbranch_execnz .LBB447_99
	s_branch .LBB447_190
.LBB447_31:
	s_set_inst_prefetch_distance 0x2
	s_or_b32 exec_lo, exec_lo, s27
	v_cmp_gt_i64_e32 vcc_lo, s[22:23], v[23:24]
	s_or_not1_b32 s27, vcc_lo, exec_lo
.LBB447_32:
	s_or_b32 exec_lo, exec_lo, s28
.LBB447_33:
	v_mul_lo_u32 v21, v8, s22
	v_mul_lo_u32 v22, v7, s23
	v_mad_u64_u32 v[19:20], null, v7, s22, 0
	s_and_not1_b32 vcc_lo, exec_lo, s26
	s_delay_alu instid0(VALU_DEP_1) | instskip(NEXT) | instid1(VALU_DEP_1)
	v_add3_u32 v20, v20, v22, v21
	v_lshlrev_b64 v[19:20], 2, v[19:20]
	s_cbranch_vccnz .LBB447_42
; %bb.34:
	s_delay_alu instid0(VALU_DEP_1) | instskip(NEXT) | instid1(VALU_DEP_2)
	v_add_co_u32 v21, vcc_lo, s8, v19
	v_add_co_ci_u32_e32 v22, vcc_lo, s9, v20, vcc_lo
	v_add_co_u32 v17, vcc_lo, s8, v17
	v_add_co_ci_u32_e32 v18, vcc_lo, s9, v18, vcc_lo
	s_mov_b32 s3, -1
	s_clause 0x1
	global_load_b32 v23, v[21:22], off
	global_load_b32 v24, v[17:18], off
	s_mov_b32 s28, exec_lo
	s_waitcnt vmcnt(0)
	v_cmpx_eq_u32_e64 v23, v24
	s_cbranch_execz .LBB447_41
; %bb.35:
	v_add_co_u32 v17, vcc_lo, v17, 4
	v_add_co_ci_u32_e32 v18, vcc_lo, 0, v18, vcc_lo
	v_add_co_u32 v21, vcc_lo, v21, 4
	v_add_co_ci_u32_e32 v22, vcc_lo, 0, v22, vcc_lo
	s_add_u32 s6, s22, -1
	s_addc_u32 s7, s23, -1
	s_mov_b64 s[18:19], 0
	s_mov_b32 s3, 0
                                        ; implicit-def: $sgpr29
	s_set_inst_prefetch_distance 0x1
	s_branch .LBB447_38
	.p2align	6
.LBB447_36:                             ;   in Loop: Header=BB447_38 Depth=1
	global_load_b32 v23, v[21:22], off
	global_load_b32 v24, v[17:18], off
	v_add_co_u32 v17, vcc_lo, v17, 4
	v_add_co_ci_u32_e32 v18, vcc_lo, 0, v18, vcc_lo
	v_add_co_u32 v21, s2, v21, 4
	s_delay_alu instid0(VALU_DEP_1)
	v_add_co_ci_u32_e64 v22, s2, 0, v22, s2
	s_add_u32 s18, s18, 1
	s_addc_u32 s19, s19, 0
	s_and_not1_b32 s2, s29, exec_lo
	s_waitcnt vmcnt(0)
	v_cmp_ne_u32_e32 vcc_lo, v23, v24
	s_and_b32 s29, vcc_lo, exec_lo
	s_delay_alu instid0(SALU_CYCLE_1)
	s_or_b32 s29, s2, s29
.LBB447_37:                             ;   in Loop: Header=BB447_38 Depth=1
	v_dual_mov_b32 v24, s19 :: v_dual_mov_b32 v23, s18
	s_and_b32 s2, exec_lo, s29
	s_delay_alu instid0(SALU_CYCLE_1) | instskip(NEXT) | instid1(SALU_CYCLE_1)
	s_or_b32 s3, s2, s3
	s_and_not1_b32 exec_lo, exec_lo, s3
	s_cbranch_execz .LBB447_40
.LBB447_38:                             ; =>This Inner Loop Header: Depth=1
	s_or_b32 s29, s29, exec_lo
	s_cmp_eq_u64 s[6:7], s[18:19]
	s_cbranch_scc0 .LBB447_36
; %bb.39:                               ;   in Loop: Header=BB447_38 Depth=1
	s_mov_b64 s[18:19], s[22:23]
                                        ; implicit-def: $vgpr17_vgpr18
                                        ; implicit-def: $vgpr21_vgpr22
	s_branch .LBB447_37
.LBB447_40:
	s_set_inst_prefetch_distance 0x2
	s_or_b32 exec_lo, exec_lo, s3
	v_cmp_gt_i64_e32 vcc_lo, s[22:23], v[23:24]
	s_or_not1_b32 s3, vcc_lo, exec_lo
.LBB447_41:
	s_or_b32 exec_lo, exec_lo, s28
.LBB447_42:
	v_mul_lo_u32 v21, v6, s22
	v_mul_lo_u32 v22, v5, s23
	v_mad_u64_u32 v[17:18], null, v5, s22, 0
	s_mov_b32 s28, 0
	s_and_not1_b32 vcc_lo, exec_lo, s26
	s_mov_b32 s29, 0
	s_delay_alu instid0(VALU_DEP_1) | instskip(NEXT) | instid1(VALU_DEP_1)
	v_add3_u32 v18, v18, v22, v21
	v_lshlrev_b64 v[21:22], 2, v[17:18]
	s_cbranch_vccnz .LBB447_51
; %bb.43:
	s_delay_alu instid0(VALU_DEP_1) | instskip(NEXT) | instid1(VALU_DEP_2)
	v_add_co_u32 v23, vcc_lo, s8, v21
	v_add_co_ci_u32_e32 v24, vcc_lo, s9, v22, vcc_lo
	v_add_co_u32 v17, vcc_lo, s8, v19
	v_add_co_ci_u32_e32 v18, vcc_lo, s9, v20, vcc_lo
	s_mov_b32 s29, -1
	s_clause 0x1
	global_load_b32 v19, v[23:24], off
	global_load_b32 v20, v[17:18], off
	s_mov_b32 s30, exec_lo
	s_waitcnt vmcnt(0)
	v_cmpx_eq_u32_e64 v19, v20
	s_cbranch_execz .LBB447_50
; %bb.44:
	v_add_co_u32 v17, vcc_lo, v17, 4
	v_add_co_ci_u32_e32 v18, vcc_lo, 0, v18, vcc_lo
	v_add_co_u32 v19, vcc_lo, v23, 4
	v_add_co_ci_u32_e32 v20, vcc_lo, 0, v24, vcc_lo
	s_add_u32 s6, s22, -1
	s_addc_u32 s7, s23, -1
	s_mov_b64 s[18:19], 0
	s_mov_b32 s29, 0
                                        ; implicit-def: $sgpr31
	s_set_inst_prefetch_distance 0x1
	s_branch .LBB447_47
	.p2align	6
.LBB447_45:                             ;   in Loop: Header=BB447_47 Depth=1
	global_load_b32 v23, v[19:20], off
	global_load_b32 v24, v[17:18], off
	v_add_co_u32 v17, vcc_lo, v17, 4
	v_add_co_ci_u32_e32 v18, vcc_lo, 0, v18, vcc_lo
	v_add_co_u32 v19, s2, v19, 4
	s_delay_alu instid0(VALU_DEP_1)
	v_add_co_ci_u32_e64 v20, s2, 0, v20, s2
	s_add_u32 s18, s18, 1
	s_addc_u32 s19, s19, 0
	s_and_not1_b32 s2, s31, exec_lo
	s_waitcnt vmcnt(0)
	v_cmp_ne_u32_e32 vcc_lo, v23, v24
	s_and_b32 s31, vcc_lo, exec_lo
	s_delay_alu instid0(SALU_CYCLE_1)
	s_or_b32 s31, s2, s31
.LBB447_46:                             ;   in Loop: Header=BB447_47 Depth=1
	v_dual_mov_b32 v24, s19 :: v_dual_mov_b32 v23, s18
	s_and_b32 s2, exec_lo, s31
	s_delay_alu instid0(SALU_CYCLE_1) | instskip(NEXT) | instid1(SALU_CYCLE_1)
	s_or_b32 s29, s2, s29
	s_and_not1_b32 exec_lo, exec_lo, s29
	s_cbranch_execz .LBB447_49
.LBB447_47:                             ; =>This Inner Loop Header: Depth=1
	s_or_b32 s31, s31, exec_lo
	s_cmp_eq_u64 s[6:7], s[18:19]
	s_cbranch_scc0 .LBB447_45
; %bb.48:                               ;   in Loop: Header=BB447_47 Depth=1
	s_mov_b64 s[18:19], s[22:23]
                                        ; implicit-def: $vgpr17_vgpr18
                                        ; implicit-def: $vgpr19_vgpr20
	s_branch .LBB447_46
.LBB447_49:
	s_set_inst_prefetch_distance 0x2
	s_or_b32 exec_lo, exec_lo, s29
	v_cmp_gt_i64_e32 vcc_lo, s[22:23], v[23:24]
	s_or_not1_b32 s29, vcc_lo, exec_lo
.LBB447_50:
	s_or_b32 exec_lo, exec_lo, s30
.LBB447_51:
	v_mul_lo_u32 v19, v12, s22
	v_mul_lo_u32 v20, v11, s23
	v_mad_u64_u32 v[17:18], null, v11, s22, 0
	s_and_not1_b32 vcc_lo, exec_lo, s26
	s_delay_alu instid0(VALU_DEP_1) | instskip(NEXT) | instid1(VALU_DEP_1)
	v_add3_u32 v18, v18, v20, v19
	v_lshlrev_b64 v[17:18], 2, v[17:18]
	s_cbranch_vccnz .LBB447_60
; %bb.52:
	s_delay_alu instid0(VALU_DEP_1) | instskip(NEXT) | instid1(VALU_DEP_2)
	v_add_co_u32 v23, vcc_lo, s8, v17
	v_add_co_ci_u32_e32 v24, vcc_lo, s9, v18, vcc_lo
	v_add_co_u32 v19, vcc_lo, s8, v21
	v_add_co_ci_u32_e32 v20, vcc_lo, s9, v22, vcc_lo
	s_mov_b32 s28, -1
	s_clause 0x1
	global_load_b32 v21, v[23:24], off
	global_load_b32 v22, v[19:20], off
	s_mov_b32 s30, exec_lo
	s_waitcnt vmcnt(0)
	v_cmpx_eq_u32_e64 v21, v22
	s_cbranch_execz .LBB447_59
; %bb.53:
	v_add_co_u32 v19, vcc_lo, v19, 4
	v_add_co_ci_u32_e32 v20, vcc_lo, 0, v20, vcc_lo
	v_add_co_u32 v21, vcc_lo, v23, 4
	v_add_co_ci_u32_e32 v22, vcc_lo, 0, v24, vcc_lo
	s_add_u32 s6, s22, -1
	s_addc_u32 s7, s23, -1
	s_mov_b64 s[18:19], 0
	s_mov_b32 s28, 0
                                        ; implicit-def: $sgpr31
	s_set_inst_prefetch_distance 0x1
	s_branch .LBB447_56
	.p2align	6
.LBB447_54:                             ;   in Loop: Header=BB447_56 Depth=1
	global_load_b32 v23, v[21:22], off
	global_load_b32 v24, v[19:20], off
	v_add_co_u32 v19, vcc_lo, v19, 4
	v_add_co_ci_u32_e32 v20, vcc_lo, 0, v20, vcc_lo
	v_add_co_u32 v21, s2, v21, 4
	s_delay_alu instid0(VALU_DEP_1)
	v_add_co_ci_u32_e64 v22, s2, 0, v22, s2
	s_add_u32 s18, s18, 1
	s_addc_u32 s19, s19, 0
	s_and_not1_b32 s2, s31, exec_lo
	s_waitcnt vmcnt(0)
	v_cmp_ne_u32_e32 vcc_lo, v23, v24
	s_and_b32 s31, vcc_lo, exec_lo
	s_delay_alu instid0(SALU_CYCLE_1)
	s_or_b32 s31, s2, s31
.LBB447_55:                             ;   in Loop: Header=BB447_56 Depth=1
	v_dual_mov_b32 v24, s19 :: v_dual_mov_b32 v23, s18
	s_and_b32 s2, exec_lo, s31
	s_delay_alu instid0(SALU_CYCLE_1) | instskip(NEXT) | instid1(SALU_CYCLE_1)
	s_or_b32 s28, s2, s28
	s_and_not1_b32 exec_lo, exec_lo, s28
	s_cbranch_execz .LBB447_58
.LBB447_56:                             ; =>This Inner Loop Header: Depth=1
	s_or_b32 s31, s31, exec_lo
	s_cmp_eq_u64 s[6:7], s[18:19]
	s_cbranch_scc0 .LBB447_54
; %bb.57:                               ;   in Loop: Header=BB447_56 Depth=1
	s_mov_b64 s[18:19], s[22:23]
                                        ; implicit-def: $vgpr19_vgpr20
                                        ; implicit-def: $vgpr21_vgpr22
	s_branch .LBB447_55
.LBB447_58:
	s_set_inst_prefetch_distance 0x2
	s_or_b32 exec_lo, exec_lo, s28
	v_cmp_gt_i64_e32 vcc_lo, s[22:23], v[23:24]
	s_or_not1_b32 s28, vcc_lo, exec_lo
.LBB447_59:
	s_or_b32 exec_lo, exec_lo, s30
.LBB447_60:
	v_mul_lo_u32 v21, v10, s22
	v_mul_lo_u32 v22, v9, s23
	v_mad_u64_u32 v[19:20], null, v9, s22, 0
	s_mov_b32 s30, 0
	s_and_not1_b32 vcc_lo, exec_lo, s26
	s_mov_b32 s31, 0
	s_delay_alu instid0(VALU_DEP_1) | instskip(NEXT) | instid1(VALU_DEP_1)
	v_add3_u32 v20, v20, v22, v21
	v_lshlrev_b64 v[21:22], 2, v[19:20]
	s_cbranch_vccnz .LBB447_69
; %bb.61:
	s_delay_alu instid0(VALU_DEP_1) | instskip(NEXT) | instid1(VALU_DEP_2)
	v_add_co_u32 v19, vcc_lo, s8, v21
	v_add_co_ci_u32_e32 v20, vcc_lo, s9, v22, vcc_lo
	v_add_co_u32 v17, vcc_lo, s8, v17
	v_add_co_ci_u32_e32 v18, vcc_lo, s9, v18, vcc_lo
	s_mov_b32 s31, -1
	s_clause 0x1
	global_load_b32 v23, v[19:20], off
	global_load_b32 v24, v[17:18], off
	s_mov_b32 s33, exec_lo
	s_waitcnt vmcnt(0)
	v_cmpx_eq_u32_e64 v23, v24
	s_cbranch_execz .LBB447_68
; %bb.62:
	v_add_co_u32 v17, vcc_lo, v17, 4
	v_add_co_ci_u32_e32 v18, vcc_lo, 0, v18, vcc_lo
	v_add_co_u32 v19, vcc_lo, v19, 4
	v_add_co_ci_u32_e32 v20, vcc_lo, 0, v20, vcc_lo
	s_add_u32 s6, s22, -1
	s_addc_u32 s7, s23, -1
	s_mov_b64 s[18:19], 0
	s_mov_b32 s31, 0
                                        ; implicit-def: $sgpr34
	s_set_inst_prefetch_distance 0x1
	s_branch .LBB447_65
	.p2align	6
.LBB447_63:                             ;   in Loop: Header=BB447_65 Depth=1
	global_load_b32 v23, v[19:20], off
	global_load_b32 v24, v[17:18], off
	v_add_co_u32 v17, vcc_lo, v17, 4
	v_add_co_ci_u32_e32 v18, vcc_lo, 0, v18, vcc_lo
	v_add_co_u32 v19, s2, v19, 4
	s_delay_alu instid0(VALU_DEP_1)
	v_add_co_ci_u32_e64 v20, s2, 0, v20, s2
	s_add_u32 s18, s18, 1
	s_addc_u32 s19, s19, 0
	s_and_not1_b32 s2, s34, exec_lo
	s_waitcnt vmcnt(0)
	v_cmp_ne_u32_e32 vcc_lo, v23, v24
	s_and_b32 s34, vcc_lo, exec_lo
	s_delay_alu instid0(SALU_CYCLE_1)
	s_or_b32 s34, s2, s34
.LBB447_64:                             ;   in Loop: Header=BB447_65 Depth=1
	v_dual_mov_b32 v24, s19 :: v_dual_mov_b32 v23, s18
	s_and_b32 s2, exec_lo, s34
	s_delay_alu instid0(SALU_CYCLE_1) | instskip(NEXT) | instid1(SALU_CYCLE_1)
	s_or_b32 s31, s2, s31
	s_and_not1_b32 exec_lo, exec_lo, s31
	s_cbranch_execz .LBB447_67
.LBB447_65:                             ; =>This Inner Loop Header: Depth=1
	s_or_b32 s34, s34, exec_lo
	s_cmp_eq_u64 s[6:7], s[18:19]
	s_cbranch_scc0 .LBB447_63
; %bb.66:                               ;   in Loop: Header=BB447_65 Depth=1
	s_mov_b64 s[18:19], s[22:23]
                                        ; implicit-def: $vgpr17_vgpr18
                                        ; implicit-def: $vgpr19_vgpr20
	s_branch .LBB447_64
.LBB447_67:
	s_set_inst_prefetch_distance 0x2
	s_or_b32 exec_lo, exec_lo, s31
	v_cmp_gt_i64_e32 vcc_lo, s[22:23], v[23:24]
	s_or_not1_b32 s31, vcc_lo, exec_lo
.LBB447_68:
	s_or_b32 exec_lo, exec_lo, s33
.LBB447_69:
	v_mul_lo_u32 v19, v16, s22
	v_mul_lo_u32 v20, v15, s23
	v_mad_u64_u32 v[17:18], null, v15, s22, 0
	s_and_not1_b32 vcc_lo, exec_lo, s26
	s_delay_alu instid0(VALU_DEP_1) | instskip(NEXT) | instid1(VALU_DEP_1)
	v_add3_u32 v18, v18, v20, v19
	v_lshlrev_b64 v[19:20], 2, v[17:18]
	s_cbranch_vccnz .LBB447_78
; %bb.70:
	s_delay_alu instid0(VALU_DEP_1) | instskip(NEXT) | instid1(VALU_DEP_2)
	v_add_co_u32 v23, vcc_lo, s8, v19
	v_add_co_ci_u32_e32 v24, vcc_lo, s9, v20, vcc_lo
	v_add_co_u32 v17, vcc_lo, s8, v21
	v_add_co_ci_u32_e32 v18, vcc_lo, s9, v22, vcc_lo
	s_mov_b32 s30, -1
	s_clause 0x1
	global_load_b32 v21, v[23:24], off
	global_load_b32 v22, v[17:18], off
	s_mov_b32 s33, exec_lo
	s_waitcnt vmcnt(0)
	v_cmpx_eq_u32_e64 v21, v22
	s_cbranch_execz .LBB447_77
; %bb.71:
	v_add_co_u32 v17, vcc_lo, v17, 4
	v_add_co_ci_u32_e32 v18, vcc_lo, 0, v18, vcc_lo
	v_add_co_u32 v21, vcc_lo, v23, 4
	v_add_co_ci_u32_e32 v22, vcc_lo, 0, v24, vcc_lo
	s_add_u32 s6, s22, -1
	s_addc_u32 s7, s23, -1
	s_mov_b64 s[18:19], 0
	s_mov_b32 s30, 0
                                        ; implicit-def: $sgpr34
	s_set_inst_prefetch_distance 0x1
	s_branch .LBB447_74
	.p2align	6
.LBB447_72:                             ;   in Loop: Header=BB447_74 Depth=1
	global_load_b32 v23, v[21:22], off
	global_load_b32 v24, v[17:18], off
	v_add_co_u32 v17, vcc_lo, v17, 4
	v_add_co_ci_u32_e32 v18, vcc_lo, 0, v18, vcc_lo
	v_add_co_u32 v21, s2, v21, 4
	s_delay_alu instid0(VALU_DEP_1)
	v_add_co_ci_u32_e64 v22, s2, 0, v22, s2
	s_add_u32 s18, s18, 1
	s_addc_u32 s19, s19, 0
	s_and_not1_b32 s2, s34, exec_lo
	s_waitcnt vmcnt(0)
	v_cmp_ne_u32_e32 vcc_lo, v23, v24
	s_and_b32 s34, vcc_lo, exec_lo
	s_delay_alu instid0(SALU_CYCLE_1)
	s_or_b32 s34, s2, s34
.LBB447_73:                             ;   in Loop: Header=BB447_74 Depth=1
	v_dual_mov_b32 v24, s19 :: v_dual_mov_b32 v23, s18
	s_and_b32 s2, exec_lo, s34
	s_delay_alu instid0(SALU_CYCLE_1) | instskip(NEXT) | instid1(SALU_CYCLE_1)
	s_or_b32 s30, s2, s30
	s_and_not1_b32 exec_lo, exec_lo, s30
	s_cbranch_execz .LBB447_76
.LBB447_74:                             ; =>This Inner Loop Header: Depth=1
	s_or_b32 s34, s34, exec_lo
	s_cmp_eq_u64 s[6:7], s[18:19]
	s_cbranch_scc0 .LBB447_72
; %bb.75:                               ;   in Loop: Header=BB447_74 Depth=1
	s_mov_b64 s[18:19], s[22:23]
                                        ; implicit-def: $vgpr17_vgpr18
                                        ; implicit-def: $vgpr21_vgpr22
	s_branch .LBB447_73
.LBB447_76:
	s_set_inst_prefetch_distance 0x2
	s_or_b32 exec_lo, exec_lo, s30
	v_cmp_gt_i64_e32 vcc_lo, s[22:23], v[23:24]
	s_or_not1_b32 s30, vcc_lo, exec_lo
.LBB447_77:
	s_or_b32 exec_lo, exec_lo, s33
.LBB447_78:
	v_mul_lo_u32 v21, v14, s22
	v_mul_lo_u32 v22, v13, s23
	v_mad_u64_u32 v[17:18], null, v13, s22, 0
	s_and_not1_b32 vcc_lo, exec_lo, s26
	s_mov_b32 s2, 0
	s_delay_alu instid0(VALU_DEP_1) | instskip(NEXT) | instid1(VALU_DEP_1)
	v_add3_u32 v18, v18, v22, v21
	v_lshlrev_b64 v[17:18], 2, v[17:18]
	s_cbranch_vccnz .LBB447_87
; %bb.79:
	s_delay_alu instid0(VALU_DEP_1) | instskip(NEXT) | instid1(VALU_DEP_2)
	v_add_co_u32 v21, vcc_lo, s8, v17
	v_add_co_ci_u32_e32 v22, vcc_lo, s9, v18, vcc_lo
	v_add_co_u32 v19, vcc_lo, s8, v19
	v_add_co_ci_u32_e32 v20, vcc_lo, s9, v20, vcc_lo
	s_mov_b32 s2, -1
	s_clause 0x1
	global_load_b32 v23, v[21:22], off
	global_load_b32 v24, v[19:20], off
	s_mov_b32 s33, exec_lo
	s_waitcnt vmcnt(0)
	v_cmpx_eq_u32_e64 v23, v24
	s_cbranch_execz .LBB447_86
; %bb.80:
	v_add_co_u32 v19, vcc_lo, v19, 4
	v_add_co_ci_u32_e32 v20, vcc_lo, 0, v20, vcc_lo
	v_add_co_u32 v21, vcc_lo, v21, 4
	v_add_co_ci_u32_e32 v22, vcc_lo, 0, v22, vcc_lo
	s_add_u32 s6, s22, -1
	s_addc_u32 s7, s23, -1
	s_mov_b64 s[18:19], 0
	s_mov_b32 s34, 0
                                        ; implicit-def: $sgpr35
	s_set_inst_prefetch_distance 0x1
	s_branch .LBB447_83
	.p2align	6
.LBB447_81:                             ;   in Loop: Header=BB447_83 Depth=1
	global_load_b32 v23, v[21:22], off
	global_load_b32 v24, v[19:20], off
	v_add_co_u32 v19, vcc_lo, v19, 4
	v_add_co_ci_u32_e32 v20, vcc_lo, 0, v20, vcc_lo
	v_add_co_u32 v21, s2, v21, 4
	s_delay_alu instid0(VALU_DEP_1)
	v_add_co_ci_u32_e64 v22, s2, 0, v22, s2
	s_add_u32 s18, s18, 1
	s_addc_u32 s19, s19, 0
	s_and_not1_b32 s2, s35, exec_lo
	s_waitcnt vmcnt(0)
	v_cmp_ne_u32_e32 vcc_lo, v23, v24
	s_and_b32 s35, vcc_lo, exec_lo
	s_delay_alu instid0(SALU_CYCLE_1)
	s_or_b32 s35, s2, s35
.LBB447_82:                             ;   in Loop: Header=BB447_83 Depth=1
	v_dual_mov_b32 v24, s19 :: v_dual_mov_b32 v23, s18
	s_and_b32 s2, exec_lo, s35
	s_delay_alu instid0(SALU_CYCLE_1) | instskip(NEXT) | instid1(SALU_CYCLE_1)
	s_or_b32 s34, s2, s34
	s_and_not1_b32 exec_lo, exec_lo, s34
	s_cbranch_execz .LBB447_85
.LBB447_83:                             ; =>This Inner Loop Header: Depth=1
	s_or_b32 s35, s35, exec_lo
	s_cmp_eq_u64 s[6:7], s[18:19]
	s_cbranch_scc0 .LBB447_81
; %bb.84:                               ;   in Loop: Header=BB447_83 Depth=1
	s_mov_b64 s[18:19], s[22:23]
                                        ; implicit-def: $vgpr19_vgpr20
                                        ; implicit-def: $vgpr21_vgpr22
	s_branch .LBB447_82
.LBB447_85:
	s_set_inst_prefetch_distance 0x2
	s_or_b32 exec_lo, exec_lo, s34
	v_cmp_gt_i64_e32 vcc_lo, s[22:23], v[23:24]
	s_or_not1_b32 s2, vcc_lo, exec_lo
.LBB447_86:
	s_or_b32 exec_lo, exec_lo, s33
.LBB447_87:
	s_waitcnt lgkmcnt(0)
	v_dual_mov_b32 v20, s5 :: v_dual_mov_b32 v19, s4
	s_mov_b32 s6, exec_lo
	s_barrier
	buffer_gl0_inv
	v_cmpx_ne_u32_e32 0, v0
	s_cbranch_execz .LBB447_89
; %bb.88:
	v_add_nc_u32_e32 v19, -8, v39
	ds_load_b64 v[19:20], v19
.LBB447_89:
	s_or_b32 exec_lo, exec_lo, s6
	v_cndmask_b32_e64 v22, 0, 1, s31
	v_cndmask_b32_e64 v24, 0, 1, s29
	;; [unrolled: 1-line block ×7, first 2 shown]
	v_lshlrev_b16 v22, 8, v22
	v_lshlrev_b16 v24, 8, v24
	;; [unrolled: 1-line block ×4, first 2 shown]
	s_mov_b32 s3, 0
	v_or_b32_e32 v21, v21, v22
	v_or_b32_e32 v22, v23, v24
	;; [unrolled: 1-line block ×3, first 2 shown]
	v_and_b32_e32 v23, 0xffff, v27
	s_and_not1_b32 vcc_lo, exec_lo, s26
	v_lshlrev_b32_e32 v24, 16, v21
	v_and_b32_e32 v26, 0xffff, v22
	v_lshlrev_b32_e32 v27, 16, v28
	s_mov_b32 s2, 0
	s_cbranch_vccnz .LBB447_98
; %bb.90:
	s_waitcnt lgkmcnt(0)
	v_mul_lo_u32 v22, v20, s22
	v_mul_lo_u32 v28, v19, s23
	v_mad_u64_u32 v[20:21], null, v19, s22, 0
	s_mov_b32 s2, -1
	s_mov_b32 s27, exec_lo
	s_delay_alu instid0(VALU_DEP_1) | instskip(NEXT) | instid1(VALU_DEP_1)
	v_add3_u32 v21, v21, v28, v22
	v_lshlrev_b64 v[19:20], 2, v[20:21]
	s_delay_alu instid0(VALU_DEP_1) | instskip(NEXT) | instid1(VALU_DEP_2)
	v_add_co_u32 v19, vcc_lo, s8, v19
	v_add_co_ci_u32_e32 v20, vcc_lo, s9, v20, vcc_lo
	v_add_co_u32 v17, vcc_lo, s8, v17
	v_add_co_ci_u32_e32 v18, vcc_lo, s9, v18, vcc_lo
	s_clause 0x1
	global_load_b32 v21, v[19:20], off
	global_load_b32 v22, v[17:18], off
	s_waitcnt vmcnt(0)
	v_cmpx_eq_u32_e64 v21, v22
	s_cbranch_execz .LBB447_97
; %bb.91:
	v_add_co_u32 v17, vcc_lo, v17, 4
	v_add_co_ci_u32_e32 v18, vcc_lo, 0, v18, vcc_lo
	v_add_co_u32 v19, vcc_lo, v19, 4
	v_add_co_ci_u32_e32 v20, vcc_lo, 0, v20, vcc_lo
	s_add_u32 s6, s22, -1
	s_addc_u32 s7, s23, -1
	s_mov_b64 s[18:19], 0
	s_mov_b32 s28, 0
                                        ; implicit-def: $sgpr29
	s_set_inst_prefetch_distance 0x1
	s_branch .LBB447_94
	.p2align	6
.LBB447_92:                             ;   in Loop: Header=BB447_94 Depth=1
	global_load_b32 v21, v[19:20], off
	global_load_b32 v22, v[17:18], off
	v_add_co_u32 v17, vcc_lo, v17, 4
	v_add_co_ci_u32_e32 v18, vcc_lo, 0, v18, vcc_lo
	v_add_co_u32 v19, s2, v19, 4
	s_delay_alu instid0(VALU_DEP_1)
	v_add_co_ci_u32_e64 v20, s2, 0, v20, s2
	s_add_u32 s18, s18, 1
	s_addc_u32 s19, s19, 0
	s_and_not1_b32 s2, s29, exec_lo
	s_waitcnt vmcnt(0)
	v_cmp_ne_u32_e32 vcc_lo, v21, v22
	s_and_b32 s29, vcc_lo, exec_lo
	s_delay_alu instid0(SALU_CYCLE_1)
	s_or_b32 s29, s2, s29
.LBB447_93:                             ;   in Loop: Header=BB447_94 Depth=1
	v_dual_mov_b32 v22, s19 :: v_dual_mov_b32 v21, s18
	s_and_b32 s2, exec_lo, s29
	s_delay_alu instid0(SALU_CYCLE_1) | instskip(NEXT) | instid1(SALU_CYCLE_1)
	s_or_b32 s28, s2, s28
	s_and_not1_b32 exec_lo, exec_lo, s28
	s_cbranch_execz .LBB447_96
.LBB447_94:                             ; =>This Inner Loop Header: Depth=1
	s_or_b32 s29, s29, exec_lo
	s_cmp_eq_u64 s[6:7], s[18:19]
	s_cbranch_scc0 .LBB447_92
; %bb.95:                               ;   in Loop: Header=BB447_94 Depth=1
	s_mov_b64 s[18:19], s[22:23]
                                        ; implicit-def: $vgpr17_vgpr18
                                        ; implicit-def: $vgpr19_vgpr20
	s_branch .LBB447_93
.LBB447_96:
	s_set_inst_prefetch_distance 0x2
	s_or_b32 exec_lo, exec_lo, s28
	v_cmp_gt_i64_e32 vcc_lo, s[22:23], v[21:22]
	s_or_not1_b32 s2, vcc_lo, exec_lo
.LBB447_97:
	s_or_b32 exec_lo, exec_lo, s27
.LBB447_98:
	v_or_b32_e32 v17, v23, v24
	s_delay_alu instid0(VALU_DEP_2)
	v_or_b32_e32 v18, v26, v27
	s_and_b32 vcc_lo, exec_lo, s3
	s_cbranch_vccz .LBB447_190
.LBB447_99:
	v_or_b32_e32 v17, 7, v39
	s_mov_b32 s3, 0
	s_mov_b32 s27, 0
	s_mov_b32 s28, exec_lo
	s_delay_alu instid0(VALU_DEP_1)
	v_cmpx_gt_u32_e64 s20, v17
	s_cbranch_execz .LBB447_110
; %bb.100:
	s_and_not1_b32 vcc_lo, exec_lo, s26
	s_mov_b32 s2, 0
	s_cbranch_vccnz .LBB447_109
; %bb.101:
	v_mul_lo_u32 v21, v2, s22
	v_mul_lo_u32 v22, v1, s23
	v_mad_u64_u32 v[17:18], null, v1, s22, 0
	v_mul_lo_u32 v23, v4, s22
	v_mul_lo_u32 v24, v3, s23
	s_waitcnt lgkmcnt(0)
	v_mad_u64_u32 v[19:20], null, v3, s22, 0
	s_mov_b32 s2, -1
	s_mov_b32 s26, exec_lo
	s_delay_alu instid0(VALU_DEP_4) | instskip(NEXT) | instid1(VALU_DEP_2)
	v_add3_u32 v18, v18, v22, v21
	v_add3_u32 v20, v20, v24, v23
	s_delay_alu instid0(VALU_DEP_2) | instskip(NEXT) | instid1(VALU_DEP_2)
	v_lshlrev_b64 v[17:18], 2, v[17:18]
	v_lshlrev_b64 v[21:22], 2, v[19:20]
	s_delay_alu instid0(VALU_DEP_2) | instskip(NEXT) | instid1(VALU_DEP_3)
	v_add_co_u32 v19, vcc_lo, s8, v17
	v_add_co_ci_u32_e32 v20, vcc_lo, s9, v18, vcc_lo
	s_delay_alu instid0(VALU_DEP_3) | instskip(NEXT) | instid1(VALU_DEP_4)
	v_add_co_u32 v17, vcc_lo, s8, v21
	v_add_co_ci_u32_e32 v18, vcc_lo, s9, v22, vcc_lo
	s_clause 0x1
	global_load_b32 v21, v[19:20], off
	global_load_b32 v22, v[17:18], off
	s_waitcnt vmcnt(0)
	v_cmpx_eq_u32_e64 v21, v22
	s_cbranch_execz .LBB447_108
; %bb.102:
	v_add_co_u32 v17, vcc_lo, v17, 4
	v_add_co_ci_u32_e32 v18, vcc_lo, 0, v18, vcc_lo
	v_add_co_u32 v19, vcc_lo, v19, 4
	v_add_co_ci_u32_e32 v20, vcc_lo, 0, v20, vcc_lo
	s_add_u32 s6, s22, -1
	s_addc_u32 s7, s23, -1
	s_mov_b64 s[18:19], 0
                                        ; implicit-def: $sgpr29
	s_set_inst_prefetch_distance 0x1
	s_branch .LBB447_105
	.p2align	6
.LBB447_103:                            ;   in Loop: Header=BB447_105 Depth=1
	global_load_b32 v21, v[19:20], off
	global_load_b32 v22, v[17:18], off
	v_add_co_u32 v17, vcc_lo, v17, 4
	v_add_co_ci_u32_e32 v18, vcc_lo, 0, v18, vcc_lo
	v_add_co_u32 v19, s2, v19, 4
	s_delay_alu instid0(VALU_DEP_1)
	v_add_co_ci_u32_e64 v20, s2, 0, v20, s2
	s_add_u32 s18, s18, 1
	s_addc_u32 s19, s19, 0
	s_and_not1_b32 s2, s29, exec_lo
	s_waitcnt vmcnt(0)
	v_cmp_ne_u32_e32 vcc_lo, v21, v22
	s_and_b32 s29, vcc_lo, exec_lo
	s_delay_alu instid0(SALU_CYCLE_1)
	s_or_b32 s29, s2, s29
.LBB447_104:                            ;   in Loop: Header=BB447_105 Depth=1
	v_dual_mov_b32 v22, s19 :: v_dual_mov_b32 v21, s18
	s_and_b32 s2, exec_lo, s29
	s_delay_alu instid0(SALU_CYCLE_1) | instskip(NEXT) | instid1(SALU_CYCLE_1)
	s_or_b32 s27, s2, s27
	s_and_not1_b32 exec_lo, exec_lo, s27
	s_cbranch_execz .LBB447_107
.LBB447_105:                            ; =>This Inner Loop Header: Depth=1
	s_or_b32 s29, s29, exec_lo
	s_cmp_eq_u64 s[6:7], s[18:19]
	s_cbranch_scc0 .LBB447_103
; %bb.106:                              ;   in Loop: Header=BB447_105 Depth=1
	s_mov_b64 s[18:19], s[22:23]
                                        ; implicit-def: $vgpr17_vgpr18
                                        ; implicit-def: $vgpr19_vgpr20
	s_branch .LBB447_104
.LBB447_107:
	s_set_inst_prefetch_distance 0x2
	s_or_b32 exec_lo, exec_lo, s27
	v_cmp_gt_i64_e32 vcc_lo, s[22:23], v[21:22]
	s_or_not1_b32 s2, vcc_lo, exec_lo
.LBB447_108:
	s_or_b32 exec_lo, exec_lo, s26
.LBB447_109:
	s_delay_alu instid0(SALU_CYCLE_1)
	s_and_b32 s27, s2, exec_lo
.LBB447_110:
	s_or_b32 exec_lo, exec_lo, s28
	v_or_b32_e32 v17, 6, v39
	s_mov_b32 s26, exec_lo
	s_delay_alu instid0(VALU_DEP_1)
	v_cmpx_gt_u32_e64 s20, v17
	s_cbranch_execz .LBB447_121
; %bb.111:
	v_cmp_ne_u32_e32 vcc_lo, 1, v25
	s_mov_b32 s2, 0
	s_cbranch_vccnz .LBB447_120
; %bb.112:
	v_mul_lo_u32 v21, v8, s22
	v_mul_lo_u32 v22, v7, s23
	v_mad_u64_u32 v[17:18], null, v7, s22, 0
	v_mul_lo_u32 v23, v2, s22
	v_mul_lo_u32 v24, v1, s23
	s_waitcnt lgkmcnt(0)
	v_mad_u64_u32 v[19:20], null, v1, s22, 0
	s_mov_b32 s2, -1
	s_mov_b32 s3, exec_lo
	s_delay_alu instid0(VALU_DEP_4) | instskip(NEXT) | instid1(VALU_DEP_2)
	v_add3_u32 v18, v18, v22, v21
	v_add3_u32 v20, v20, v24, v23
	s_delay_alu instid0(VALU_DEP_2) | instskip(NEXT) | instid1(VALU_DEP_2)
	v_lshlrev_b64 v[17:18], 2, v[17:18]
	v_lshlrev_b64 v[21:22], 2, v[19:20]
	s_delay_alu instid0(VALU_DEP_2) | instskip(NEXT) | instid1(VALU_DEP_3)
	v_add_co_u32 v19, vcc_lo, s8, v17
	v_add_co_ci_u32_e32 v20, vcc_lo, s9, v18, vcc_lo
	s_delay_alu instid0(VALU_DEP_3) | instskip(NEXT) | instid1(VALU_DEP_4)
	v_add_co_u32 v17, vcc_lo, s8, v21
	v_add_co_ci_u32_e32 v18, vcc_lo, s9, v22, vcc_lo
	s_clause 0x1
	global_load_b32 v21, v[19:20], off
	global_load_b32 v22, v[17:18], off
	s_waitcnt vmcnt(0)
	v_cmpx_eq_u32_e64 v21, v22
	s_cbranch_execz .LBB447_119
; %bb.113:
	v_add_co_u32 v17, vcc_lo, v17, 4
	v_add_co_ci_u32_e32 v18, vcc_lo, 0, v18, vcc_lo
	v_add_co_u32 v19, vcc_lo, v19, 4
	v_add_co_ci_u32_e32 v20, vcc_lo, 0, v20, vcc_lo
	s_add_u32 s6, s22, -1
	s_addc_u32 s7, s23, -1
	s_mov_b64 s[18:19], 0
	s_mov_b32 s28, 0
                                        ; implicit-def: $sgpr29
	s_set_inst_prefetch_distance 0x1
	s_branch .LBB447_116
	.p2align	6
.LBB447_114:                            ;   in Loop: Header=BB447_116 Depth=1
	global_load_b32 v21, v[19:20], off
	global_load_b32 v22, v[17:18], off
	v_add_co_u32 v17, vcc_lo, v17, 4
	v_add_co_ci_u32_e32 v18, vcc_lo, 0, v18, vcc_lo
	v_add_co_u32 v19, s2, v19, 4
	s_delay_alu instid0(VALU_DEP_1)
	v_add_co_ci_u32_e64 v20, s2, 0, v20, s2
	s_add_u32 s18, s18, 1
	s_addc_u32 s19, s19, 0
	s_and_not1_b32 s2, s29, exec_lo
	s_waitcnt vmcnt(0)
	v_cmp_ne_u32_e32 vcc_lo, v21, v22
	s_and_b32 s29, vcc_lo, exec_lo
	s_delay_alu instid0(SALU_CYCLE_1)
	s_or_b32 s29, s2, s29
.LBB447_115:                            ;   in Loop: Header=BB447_116 Depth=1
	v_dual_mov_b32 v22, s19 :: v_dual_mov_b32 v21, s18
	s_and_b32 s2, exec_lo, s29
	s_delay_alu instid0(SALU_CYCLE_1) | instskip(NEXT) | instid1(SALU_CYCLE_1)
	s_or_b32 s28, s2, s28
	s_and_not1_b32 exec_lo, exec_lo, s28
	s_cbranch_execz .LBB447_118
.LBB447_116:                            ; =>This Inner Loop Header: Depth=1
	s_or_b32 s29, s29, exec_lo
	s_cmp_eq_u64 s[6:7], s[18:19]
	s_cbranch_scc0 .LBB447_114
; %bb.117:                              ;   in Loop: Header=BB447_116 Depth=1
	s_mov_b64 s[18:19], s[22:23]
                                        ; implicit-def: $vgpr17_vgpr18
                                        ; implicit-def: $vgpr19_vgpr20
	s_branch .LBB447_115
.LBB447_118:
	s_set_inst_prefetch_distance 0x2
	s_or_b32 exec_lo, exec_lo, s28
	v_cmp_gt_i64_e32 vcc_lo, s[22:23], v[21:22]
	s_or_not1_b32 s2, vcc_lo, exec_lo
.LBB447_119:
	s_or_b32 exec_lo, exec_lo, s3
.LBB447_120:
	s_delay_alu instid0(SALU_CYCLE_1)
	s_and_b32 s3, s2, exec_lo
.LBB447_121:
	s_or_b32 exec_lo, exec_lo, s26
	v_or_b32_e32 v17, 5, v39
	s_mov_b32 s28, 0
	s_mov_b32 s26, 0
	s_mov_b32 s29, exec_lo
	s_delay_alu instid0(VALU_DEP_1)
	v_cmpx_gt_u32_e64 s20, v17
	s_cbranch_execz .LBB447_132
; %bb.122:
	v_cmp_ne_u32_e32 vcc_lo, 1, v25
	s_mov_b32 s2, 0
	s_cbranch_vccnz .LBB447_131
; %bb.123:
	v_mul_lo_u32 v21, v6, s22
	v_mul_lo_u32 v22, v5, s23
	v_mad_u64_u32 v[17:18], null, v5, s22, 0
	v_mul_lo_u32 v23, v8, s22
	v_mul_lo_u32 v24, v7, s23
	s_waitcnt lgkmcnt(0)
	v_mad_u64_u32 v[19:20], null, v7, s22, 0
	s_mov_b32 s2, -1
	s_mov_b32 s26, exec_lo
	s_delay_alu instid0(VALU_DEP_4) | instskip(NEXT) | instid1(VALU_DEP_2)
	v_add3_u32 v18, v18, v22, v21
	v_add3_u32 v20, v20, v24, v23
	s_delay_alu instid0(VALU_DEP_2) | instskip(NEXT) | instid1(VALU_DEP_2)
	v_lshlrev_b64 v[17:18], 2, v[17:18]
	v_lshlrev_b64 v[21:22], 2, v[19:20]
	s_delay_alu instid0(VALU_DEP_2) | instskip(NEXT) | instid1(VALU_DEP_3)
	v_add_co_u32 v19, vcc_lo, s8, v17
	v_add_co_ci_u32_e32 v20, vcc_lo, s9, v18, vcc_lo
	s_delay_alu instid0(VALU_DEP_3) | instskip(NEXT) | instid1(VALU_DEP_4)
	v_add_co_u32 v17, vcc_lo, s8, v21
	v_add_co_ci_u32_e32 v18, vcc_lo, s9, v22, vcc_lo
	s_clause 0x1
	global_load_b32 v21, v[19:20], off
	global_load_b32 v22, v[17:18], off
	s_waitcnt vmcnt(0)
	v_cmpx_eq_u32_e64 v21, v22
	s_cbranch_execz .LBB447_130
; %bb.124:
	v_add_co_u32 v17, vcc_lo, v17, 4
	v_add_co_ci_u32_e32 v18, vcc_lo, 0, v18, vcc_lo
	v_add_co_u32 v19, vcc_lo, v19, 4
	v_add_co_ci_u32_e32 v20, vcc_lo, 0, v20, vcc_lo
	s_add_u32 s6, s22, -1
	s_addc_u32 s7, s23, -1
	s_mov_b64 s[18:19], 0
	s_mov_b32 s30, 0
                                        ; implicit-def: $sgpr31
	s_set_inst_prefetch_distance 0x1
	s_branch .LBB447_127
	.p2align	6
.LBB447_125:                            ;   in Loop: Header=BB447_127 Depth=1
	global_load_b32 v21, v[19:20], off
	global_load_b32 v22, v[17:18], off
	v_add_co_u32 v17, vcc_lo, v17, 4
	v_add_co_ci_u32_e32 v18, vcc_lo, 0, v18, vcc_lo
	v_add_co_u32 v19, s2, v19, 4
	s_delay_alu instid0(VALU_DEP_1)
	v_add_co_ci_u32_e64 v20, s2, 0, v20, s2
	s_add_u32 s18, s18, 1
	s_addc_u32 s19, s19, 0
	s_and_not1_b32 s2, s31, exec_lo
	s_waitcnt vmcnt(0)
	v_cmp_ne_u32_e32 vcc_lo, v21, v22
	s_and_b32 s31, vcc_lo, exec_lo
	s_delay_alu instid0(SALU_CYCLE_1)
	s_or_b32 s31, s2, s31
.LBB447_126:                            ;   in Loop: Header=BB447_127 Depth=1
	v_dual_mov_b32 v22, s19 :: v_dual_mov_b32 v21, s18
	s_and_b32 s2, exec_lo, s31
	s_delay_alu instid0(SALU_CYCLE_1) | instskip(NEXT) | instid1(SALU_CYCLE_1)
	s_or_b32 s30, s2, s30
	s_and_not1_b32 exec_lo, exec_lo, s30
	s_cbranch_execz .LBB447_129
.LBB447_127:                            ; =>This Inner Loop Header: Depth=1
	s_or_b32 s31, s31, exec_lo
	s_cmp_eq_u64 s[6:7], s[18:19]
	s_cbranch_scc0 .LBB447_125
; %bb.128:                              ;   in Loop: Header=BB447_127 Depth=1
	s_mov_b64 s[18:19], s[22:23]
                                        ; implicit-def: $vgpr17_vgpr18
                                        ; implicit-def: $vgpr19_vgpr20
	s_branch .LBB447_126
.LBB447_129:
	s_set_inst_prefetch_distance 0x2
	s_or_b32 exec_lo, exec_lo, s30
	v_cmp_gt_i64_e32 vcc_lo, s[22:23], v[21:22]
	s_or_not1_b32 s2, vcc_lo, exec_lo
.LBB447_130:
	s_or_b32 exec_lo, exec_lo, s26
.LBB447_131:
	s_delay_alu instid0(SALU_CYCLE_1)
	s_and_b32 s26, s2, exec_lo
.LBB447_132:
	s_or_b32 exec_lo, exec_lo, s29
	v_or_b32_e32 v17, 4, v39
	s_mov_b32 s29, exec_lo
	s_delay_alu instid0(VALU_DEP_1)
	v_cmpx_gt_u32_e64 s20, v17
	s_cbranch_execz .LBB447_143
; %bb.133:
	v_cmp_ne_u32_e32 vcc_lo, 1, v25
	s_mov_b32 s2, 0
	s_cbranch_vccnz .LBB447_142
; %bb.134:
	v_mul_lo_u32 v21, v12, s22
	v_mul_lo_u32 v22, v11, s23
	v_mad_u64_u32 v[17:18], null, v11, s22, 0
	v_mul_lo_u32 v23, v6, s22
	v_mul_lo_u32 v24, v5, s23
	s_waitcnt lgkmcnt(0)
	v_mad_u64_u32 v[19:20], null, v5, s22, 0
	s_mov_b32 s2, -1
	s_mov_b32 s28, exec_lo
	s_delay_alu instid0(VALU_DEP_4) | instskip(NEXT) | instid1(VALU_DEP_2)
	v_add3_u32 v18, v18, v22, v21
	v_add3_u32 v20, v20, v24, v23
	s_delay_alu instid0(VALU_DEP_2) | instskip(NEXT) | instid1(VALU_DEP_2)
	v_lshlrev_b64 v[17:18], 2, v[17:18]
	v_lshlrev_b64 v[21:22], 2, v[19:20]
	s_delay_alu instid0(VALU_DEP_2) | instskip(NEXT) | instid1(VALU_DEP_3)
	v_add_co_u32 v19, vcc_lo, s8, v17
	v_add_co_ci_u32_e32 v20, vcc_lo, s9, v18, vcc_lo
	s_delay_alu instid0(VALU_DEP_3) | instskip(NEXT) | instid1(VALU_DEP_4)
	v_add_co_u32 v17, vcc_lo, s8, v21
	v_add_co_ci_u32_e32 v18, vcc_lo, s9, v22, vcc_lo
	s_clause 0x1
	global_load_b32 v21, v[19:20], off
	global_load_b32 v22, v[17:18], off
	s_waitcnt vmcnt(0)
	v_cmpx_eq_u32_e64 v21, v22
	s_cbranch_execz .LBB447_141
; %bb.135:
	v_add_co_u32 v17, vcc_lo, v17, 4
	v_add_co_ci_u32_e32 v18, vcc_lo, 0, v18, vcc_lo
	v_add_co_u32 v19, vcc_lo, v19, 4
	v_add_co_ci_u32_e32 v20, vcc_lo, 0, v20, vcc_lo
	s_add_u32 s6, s22, -1
	s_addc_u32 s7, s23, -1
	s_mov_b64 s[18:19], 0
	s_mov_b32 s30, 0
                                        ; implicit-def: $sgpr31
	s_set_inst_prefetch_distance 0x1
	s_branch .LBB447_138
	.p2align	6
.LBB447_136:                            ;   in Loop: Header=BB447_138 Depth=1
	global_load_b32 v21, v[19:20], off
	global_load_b32 v22, v[17:18], off
	v_add_co_u32 v17, vcc_lo, v17, 4
	v_add_co_ci_u32_e32 v18, vcc_lo, 0, v18, vcc_lo
	v_add_co_u32 v19, s2, v19, 4
	s_delay_alu instid0(VALU_DEP_1)
	v_add_co_ci_u32_e64 v20, s2, 0, v20, s2
	s_add_u32 s18, s18, 1
	s_addc_u32 s19, s19, 0
	s_and_not1_b32 s2, s31, exec_lo
	s_waitcnt vmcnt(0)
	v_cmp_ne_u32_e32 vcc_lo, v21, v22
	s_and_b32 s31, vcc_lo, exec_lo
	s_delay_alu instid0(SALU_CYCLE_1)
	s_or_b32 s31, s2, s31
.LBB447_137:                            ;   in Loop: Header=BB447_138 Depth=1
	v_dual_mov_b32 v22, s19 :: v_dual_mov_b32 v21, s18
	s_and_b32 s2, exec_lo, s31
	s_delay_alu instid0(SALU_CYCLE_1) | instskip(NEXT) | instid1(SALU_CYCLE_1)
	s_or_b32 s30, s2, s30
	s_and_not1_b32 exec_lo, exec_lo, s30
	s_cbranch_execz .LBB447_140
.LBB447_138:                            ; =>This Inner Loop Header: Depth=1
	s_or_b32 s31, s31, exec_lo
	s_cmp_eq_u64 s[6:7], s[18:19]
	s_cbranch_scc0 .LBB447_136
; %bb.139:                              ;   in Loop: Header=BB447_138 Depth=1
	s_mov_b64 s[18:19], s[22:23]
                                        ; implicit-def: $vgpr17_vgpr18
                                        ; implicit-def: $vgpr19_vgpr20
	s_branch .LBB447_137
.LBB447_140:
	s_set_inst_prefetch_distance 0x2
	s_or_b32 exec_lo, exec_lo, s30
	v_cmp_gt_i64_e32 vcc_lo, s[22:23], v[21:22]
	s_or_not1_b32 s2, vcc_lo, exec_lo
.LBB447_141:
	s_or_b32 exec_lo, exec_lo, s28
.LBB447_142:
	s_delay_alu instid0(SALU_CYCLE_1)
	s_and_b32 s28, s2, exec_lo
.LBB447_143:
	s_or_b32 exec_lo, exec_lo, s29
	v_or_b32_e32 v17, 3, v39
	s_mov_b32 s30, 0
	s_mov_b32 s29, 0
	s_mov_b32 s31, exec_lo
	s_delay_alu instid0(VALU_DEP_1)
	v_cmpx_gt_u32_e64 s20, v17
	s_cbranch_execz .LBB447_154
; %bb.144:
	v_cmp_ne_u32_e32 vcc_lo, 1, v25
	s_mov_b32 s2, 0
	s_cbranch_vccnz .LBB447_153
; %bb.145:
	v_mul_lo_u32 v21, v10, s22
	v_mul_lo_u32 v22, v9, s23
	v_mad_u64_u32 v[17:18], null, v9, s22, 0
	v_mul_lo_u32 v23, v12, s22
	v_mul_lo_u32 v24, v11, s23
	s_waitcnt lgkmcnt(0)
	v_mad_u64_u32 v[19:20], null, v11, s22, 0
	s_mov_b32 s2, -1
	s_mov_b32 s29, exec_lo
	s_delay_alu instid0(VALU_DEP_4) | instskip(NEXT) | instid1(VALU_DEP_2)
	v_add3_u32 v18, v18, v22, v21
	v_add3_u32 v20, v20, v24, v23
	s_delay_alu instid0(VALU_DEP_2) | instskip(NEXT) | instid1(VALU_DEP_2)
	v_lshlrev_b64 v[17:18], 2, v[17:18]
	v_lshlrev_b64 v[21:22], 2, v[19:20]
	s_delay_alu instid0(VALU_DEP_2) | instskip(NEXT) | instid1(VALU_DEP_3)
	v_add_co_u32 v19, vcc_lo, s8, v17
	v_add_co_ci_u32_e32 v20, vcc_lo, s9, v18, vcc_lo
	s_delay_alu instid0(VALU_DEP_3) | instskip(NEXT) | instid1(VALU_DEP_4)
	v_add_co_u32 v17, vcc_lo, s8, v21
	v_add_co_ci_u32_e32 v18, vcc_lo, s9, v22, vcc_lo
	s_clause 0x1
	global_load_b32 v21, v[19:20], off
	global_load_b32 v22, v[17:18], off
	s_waitcnt vmcnt(0)
	v_cmpx_eq_u32_e64 v21, v22
	s_cbranch_execz .LBB447_152
; %bb.146:
	v_add_co_u32 v17, vcc_lo, v17, 4
	v_add_co_ci_u32_e32 v18, vcc_lo, 0, v18, vcc_lo
	v_add_co_u32 v19, vcc_lo, v19, 4
	v_add_co_ci_u32_e32 v20, vcc_lo, 0, v20, vcc_lo
	s_add_u32 s6, s22, -1
	s_addc_u32 s7, s23, -1
	s_mov_b64 s[18:19], 0
	s_mov_b32 s33, 0
                                        ; implicit-def: $sgpr34
	s_set_inst_prefetch_distance 0x1
	s_branch .LBB447_149
	.p2align	6
.LBB447_147:                            ;   in Loop: Header=BB447_149 Depth=1
	global_load_b32 v21, v[19:20], off
	global_load_b32 v22, v[17:18], off
	v_add_co_u32 v17, vcc_lo, v17, 4
	v_add_co_ci_u32_e32 v18, vcc_lo, 0, v18, vcc_lo
	v_add_co_u32 v19, s2, v19, 4
	s_delay_alu instid0(VALU_DEP_1)
	v_add_co_ci_u32_e64 v20, s2, 0, v20, s2
	s_add_u32 s18, s18, 1
	s_addc_u32 s19, s19, 0
	s_and_not1_b32 s2, s34, exec_lo
	s_waitcnt vmcnt(0)
	v_cmp_ne_u32_e32 vcc_lo, v21, v22
	s_and_b32 s34, vcc_lo, exec_lo
	s_delay_alu instid0(SALU_CYCLE_1)
	s_or_b32 s34, s2, s34
.LBB447_148:                            ;   in Loop: Header=BB447_149 Depth=1
	v_dual_mov_b32 v22, s19 :: v_dual_mov_b32 v21, s18
	s_and_b32 s2, exec_lo, s34
	s_delay_alu instid0(SALU_CYCLE_1) | instskip(NEXT) | instid1(SALU_CYCLE_1)
	s_or_b32 s33, s2, s33
	s_and_not1_b32 exec_lo, exec_lo, s33
	s_cbranch_execz .LBB447_151
.LBB447_149:                            ; =>This Inner Loop Header: Depth=1
	s_or_b32 s34, s34, exec_lo
	s_cmp_eq_u64 s[6:7], s[18:19]
	s_cbranch_scc0 .LBB447_147
; %bb.150:                              ;   in Loop: Header=BB447_149 Depth=1
	s_mov_b64 s[18:19], s[22:23]
                                        ; implicit-def: $vgpr17_vgpr18
                                        ; implicit-def: $vgpr19_vgpr20
	s_branch .LBB447_148
.LBB447_151:
	s_set_inst_prefetch_distance 0x2
	s_or_b32 exec_lo, exec_lo, s33
	v_cmp_gt_i64_e32 vcc_lo, s[22:23], v[21:22]
	s_or_not1_b32 s2, vcc_lo, exec_lo
.LBB447_152:
	s_or_b32 exec_lo, exec_lo, s29
.LBB447_153:
	s_delay_alu instid0(SALU_CYCLE_1)
	s_and_b32 s29, s2, exec_lo
.LBB447_154:
	s_or_b32 exec_lo, exec_lo, s31
	v_or_b32_e32 v17, 2, v39
	s_mov_b32 s31, exec_lo
	s_delay_alu instid0(VALU_DEP_1)
	v_cmpx_gt_u32_e64 s20, v17
	s_cbranch_execz .LBB447_165
; %bb.155:
	v_cmp_ne_u32_e32 vcc_lo, 1, v25
	s_mov_b32 s2, 0
	s_cbranch_vccnz .LBB447_164
; %bb.156:
	v_mul_lo_u32 v21, v16, s22
	v_mul_lo_u32 v22, v15, s23
	v_mad_u64_u32 v[17:18], null, v15, s22, 0
	v_mul_lo_u32 v23, v10, s22
	v_mul_lo_u32 v24, v9, s23
	s_waitcnt lgkmcnt(0)
	v_mad_u64_u32 v[19:20], null, v9, s22, 0
	s_mov_b32 s2, -1
	s_mov_b32 s30, exec_lo
	s_delay_alu instid0(VALU_DEP_4) | instskip(NEXT) | instid1(VALU_DEP_2)
	v_add3_u32 v18, v18, v22, v21
	v_add3_u32 v20, v20, v24, v23
	s_delay_alu instid0(VALU_DEP_2) | instskip(NEXT) | instid1(VALU_DEP_2)
	v_lshlrev_b64 v[17:18], 2, v[17:18]
	v_lshlrev_b64 v[21:22], 2, v[19:20]
	s_delay_alu instid0(VALU_DEP_2) | instskip(NEXT) | instid1(VALU_DEP_3)
	v_add_co_u32 v19, vcc_lo, s8, v17
	v_add_co_ci_u32_e32 v20, vcc_lo, s9, v18, vcc_lo
	s_delay_alu instid0(VALU_DEP_3) | instskip(NEXT) | instid1(VALU_DEP_4)
	v_add_co_u32 v17, vcc_lo, s8, v21
	v_add_co_ci_u32_e32 v18, vcc_lo, s9, v22, vcc_lo
	s_clause 0x1
	global_load_b32 v21, v[19:20], off
	global_load_b32 v22, v[17:18], off
	s_waitcnt vmcnt(0)
	v_cmpx_eq_u32_e64 v21, v22
	s_cbranch_execz .LBB447_163
; %bb.157:
	v_add_co_u32 v17, vcc_lo, v17, 4
	v_add_co_ci_u32_e32 v18, vcc_lo, 0, v18, vcc_lo
	v_add_co_u32 v19, vcc_lo, v19, 4
	v_add_co_ci_u32_e32 v20, vcc_lo, 0, v20, vcc_lo
	s_add_u32 s6, s22, -1
	s_addc_u32 s7, s23, -1
	s_mov_b64 s[18:19], 0
	s_mov_b32 s33, 0
                                        ; implicit-def: $sgpr34
	s_set_inst_prefetch_distance 0x1
	s_branch .LBB447_160
	.p2align	6
.LBB447_158:                            ;   in Loop: Header=BB447_160 Depth=1
	global_load_b32 v21, v[19:20], off
	global_load_b32 v22, v[17:18], off
	v_add_co_u32 v17, vcc_lo, v17, 4
	v_add_co_ci_u32_e32 v18, vcc_lo, 0, v18, vcc_lo
	v_add_co_u32 v19, s2, v19, 4
	s_delay_alu instid0(VALU_DEP_1)
	v_add_co_ci_u32_e64 v20, s2, 0, v20, s2
	s_add_u32 s18, s18, 1
	s_addc_u32 s19, s19, 0
	s_and_not1_b32 s2, s34, exec_lo
	s_waitcnt vmcnt(0)
	v_cmp_ne_u32_e32 vcc_lo, v21, v22
	s_and_b32 s34, vcc_lo, exec_lo
	s_delay_alu instid0(SALU_CYCLE_1)
	s_or_b32 s34, s2, s34
.LBB447_159:                            ;   in Loop: Header=BB447_160 Depth=1
	v_dual_mov_b32 v22, s19 :: v_dual_mov_b32 v21, s18
	s_and_b32 s2, exec_lo, s34
	s_delay_alu instid0(SALU_CYCLE_1) | instskip(NEXT) | instid1(SALU_CYCLE_1)
	s_or_b32 s33, s2, s33
	s_and_not1_b32 exec_lo, exec_lo, s33
	s_cbranch_execz .LBB447_162
.LBB447_160:                            ; =>This Inner Loop Header: Depth=1
	s_or_b32 s34, s34, exec_lo
	s_cmp_eq_u64 s[6:7], s[18:19]
	s_cbranch_scc0 .LBB447_158
; %bb.161:                              ;   in Loop: Header=BB447_160 Depth=1
	s_mov_b64 s[18:19], s[22:23]
                                        ; implicit-def: $vgpr17_vgpr18
                                        ; implicit-def: $vgpr19_vgpr20
	s_branch .LBB447_159
.LBB447_162:
	s_set_inst_prefetch_distance 0x2
	s_or_b32 exec_lo, exec_lo, s33
	v_cmp_gt_i64_e32 vcc_lo, s[22:23], v[21:22]
	s_or_not1_b32 s2, vcc_lo, exec_lo
.LBB447_163:
	s_or_b32 exec_lo, exec_lo, s30
.LBB447_164:
	s_delay_alu instid0(SALU_CYCLE_1)
	s_and_b32 s30, s2, exec_lo
.LBB447_165:
	s_or_b32 exec_lo, exec_lo, s31
	v_or_b32_e32 v17, 1, v39
	s_mov_b32 s2, 0
	s_mov_b32 s31, exec_lo
	s_delay_alu instid0(VALU_DEP_1)
	v_cmpx_gt_u32_e64 s20, v17
	s_cbranch_execz .LBB447_176
; %bb.166:
	v_cmp_ne_u32_e32 vcc_lo, 1, v25
	s_cbranch_vccnz .LBB447_175
; %bb.167:
	v_mul_lo_u32 v21, v14, s22
	v_mul_lo_u32 v22, v13, s23
	v_mad_u64_u32 v[17:18], null, v13, s22, 0
	v_mul_lo_u32 v23, v16, s22
	v_mul_lo_u32 v24, v15, s23
	s_waitcnt lgkmcnt(0)
	v_mad_u64_u32 v[19:20], null, v15, s22, 0
	s_mov_b32 s2, -1
	s_mov_b32 s33, exec_lo
	s_delay_alu instid0(VALU_DEP_4) | instskip(NEXT) | instid1(VALU_DEP_2)
	v_add3_u32 v18, v18, v22, v21
	v_add3_u32 v20, v20, v24, v23
	s_delay_alu instid0(VALU_DEP_2) | instskip(NEXT) | instid1(VALU_DEP_2)
	v_lshlrev_b64 v[17:18], 2, v[17:18]
	v_lshlrev_b64 v[21:22], 2, v[19:20]
	s_delay_alu instid0(VALU_DEP_2) | instskip(NEXT) | instid1(VALU_DEP_3)
	v_add_co_u32 v19, vcc_lo, s8, v17
	v_add_co_ci_u32_e32 v20, vcc_lo, s9, v18, vcc_lo
	s_delay_alu instid0(VALU_DEP_3) | instskip(NEXT) | instid1(VALU_DEP_4)
	v_add_co_u32 v17, vcc_lo, s8, v21
	v_add_co_ci_u32_e32 v18, vcc_lo, s9, v22, vcc_lo
	s_clause 0x1
	global_load_b32 v21, v[19:20], off
	global_load_b32 v22, v[17:18], off
	s_waitcnt vmcnt(0)
	v_cmpx_eq_u32_e64 v21, v22
	s_cbranch_execz .LBB447_174
; %bb.168:
	v_add_co_u32 v17, vcc_lo, v17, 4
	v_add_co_ci_u32_e32 v18, vcc_lo, 0, v18, vcc_lo
	v_add_co_u32 v19, vcc_lo, v19, 4
	v_add_co_ci_u32_e32 v20, vcc_lo, 0, v20, vcc_lo
	s_add_u32 s6, s22, -1
	s_addc_u32 s7, s23, -1
	s_mov_b64 s[18:19], 0
	s_mov_b32 s34, 0
                                        ; implicit-def: $sgpr35
	s_set_inst_prefetch_distance 0x1
	s_branch .LBB447_171
	.p2align	6
.LBB447_169:                            ;   in Loop: Header=BB447_171 Depth=1
	global_load_b32 v21, v[19:20], off
	global_load_b32 v22, v[17:18], off
	v_add_co_u32 v17, vcc_lo, v17, 4
	v_add_co_ci_u32_e32 v18, vcc_lo, 0, v18, vcc_lo
	v_add_co_u32 v19, s2, v19, 4
	s_delay_alu instid0(VALU_DEP_1)
	v_add_co_ci_u32_e64 v20, s2, 0, v20, s2
	s_add_u32 s18, s18, 1
	s_addc_u32 s19, s19, 0
	s_and_not1_b32 s2, s35, exec_lo
	s_waitcnt vmcnt(0)
	v_cmp_ne_u32_e32 vcc_lo, v21, v22
	s_and_b32 s35, vcc_lo, exec_lo
	s_delay_alu instid0(SALU_CYCLE_1)
	s_or_b32 s35, s2, s35
.LBB447_170:                            ;   in Loop: Header=BB447_171 Depth=1
	v_dual_mov_b32 v22, s19 :: v_dual_mov_b32 v21, s18
	s_and_b32 s2, exec_lo, s35
	s_delay_alu instid0(SALU_CYCLE_1) | instskip(NEXT) | instid1(SALU_CYCLE_1)
	s_or_b32 s34, s2, s34
	s_and_not1_b32 exec_lo, exec_lo, s34
	s_cbranch_execz .LBB447_173
.LBB447_171:                            ; =>This Inner Loop Header: Depth=1
	s_or_b32 s35, s35, exec_lo
	s_cmp_eq_u64 s[6:7], s[18:19]
	s_cbranch_scc0 .LBB447_169
; %bb.172:                              ;   in Loop: Header=BB447_171 Depth=1
	s_mov_b64 s[18:19], s[22:23]
                                        ; implicit-def: $vgpr17_vgpr18
                                        ; implicit-def: $vgpr19_vgpr20
	s_branch .LBB447_170
.LBB447_173:
	s_set_inst_prefetch_distance 0x2
	s_or_b32 exec_lo, exec_lo, s34
	v_cmp_gt_i64_e32 vcc_lo, s[22:23], v[21:22]
	s_or_not1_b32 s2, vcc_lo, exec_lo
.LBB447_174:
	s_or_b32 exec_lo, exec_lo, s33
.LBB447_175:
	s_delay_alu instid0(SALU_CYCLE_1)
	s_and_b32 s2, s2, exec_lo
.LBB447_176:
	s_or_b32 exec_lo, exec_lo, s31
	s_waitcnt lgkmcnt(0)
	v_dual_mov_b32 v18, s5 :: v_dual_mov_b32 v17, s4
	s_mov_b32 s4, exec_lo
	s_barrier
	buffer_gl0_inv
	v_cmpx_ne_u32_e32 0, v0
	s_cbranch_execz .LBB447_178
; %bb.177:
	v_add_nc_u32_e32 v17, -8, v39
	ds_load_b64 v[17:18], v17
.LBB447_178:
	s_or_b32 exec_lo, exec_lo, s4
	v_cndmask_b32_e64 v20, 0, 1, s29
	v_cndmask_b32_e64 v22, 0, 1, s26
	;; [unrolled: 1-line block ×7, first 2 shown]
	v_lshlrev_b16 v20, 8, v20
	v_lshlrev_b16 v22, 8, v22
	;; [unrolled: 1-line block ×3, first 2 shown]
	s_mov_b32 s2, 0
	v_lshlrev_b16 v26, 8, v26
	v_or_b32_e32 v19, v19, v20
	v_or_b32_e32 v20, v21, v22
	;; [unrolled: 1-line block ×3, first 2 shown]
	s_mov_b32 s3, exec_lo
	v_and_b32_e32 v23, 0xffff, v26
	v_lshlrev_b32_e32 v24, 16, v19
	v_and_b32_e32 v26, 0xffff, v20
	v_lshlrev_b32_e32 v27, 16, v21
	v_cmpx_gt_u32_e64 s20, v39
	s_cbranch_execz .LBB447_189
; %bb.179:
	v_cmp_ne_u32_e32 vcc_lo, 1, v25
	s_cbranch_vccnz .LBB447_188
; %bb.180:
	s_waitcnt lgkmcnt(0)
	v_mul_lo_u32 v22, v18, s22
	v_mul_lo_u32 v25, v17, s23
	v_mad_u64_u32 v[18:19], null, v17, s22, 0
	v_mul_lo_u32 v17, v14, s22
	v_mul_lo_u32 v28, v13, s23
	v_mad_u64_u32 v[20:21], null, v13, s22, 0
	s_mov_b32 s2, -1
	s_mov_b32 s18, exec_lo
	s_delay_alu instid0(VALU_DEP_4) | instskip(NEXT) | instid1(VALU_DEP_2)
	v_add3_u32 v19, v19, v25, v22
	v_add3_u32 v21, v21, v28, v17
	s_delay_alu instid0(VALU_DEP_2) | instskip(NEXT) | instid1(VALU_DEP_2)
	v_lshlrev_b64 v[17:18], 2, v[18:19]
	v_lshlrev_b64 v[21:22], 2, v[20:21]
	s_delay_alu instid0(VALU_DEP_2) | instskip(NEXT) | instid1(VALU_DEP_3)
	v_add_co_u32 v19, vcc_lo, s8, v17
	v_add_co_ci_u32_e32 v20, vcc_lo, s9, v18, vcc_lo
	s_delay_alu instid0(VALU_DEP_3) | instskip(NEXT) | instid1(VALU_DEP_4)
	v_add_co_u32 v17, vcc_lo, s8, v21
	v_add_co_ci_u32_e32 v18, vcc_lo, s9, v22, vcc_lo
	s_clause 0x1
	global_load_b32 v21, v[19:20], off
	global_load_b32 v22, v[17:18], off
	s_waitcnt vmcnt(0)
	v_cmpx_eq_u32_e64 v21, v22
	s_cbranch_execz .LBB447_187
; %bb.181:
	v_add_co_u32 v17, vcc_lo, v17, 4
	v_add_co_ci_u32_e32 v18, vcc_lo, 0, v18, vcc_lo
	v_add_co_u32 v19, vcc_lo, v19, 4
	v_add_co_ci_u32_e32 v20, vcc_lo, 0, v20, vcc_lo
	s_add_u32 s4, s22, -1
	s_addc_u32 s5, s23, -1
	s_mov_b64 s[6:7], 0
	s_mov_b32 s19, 0
                                        ; implicit-def: $sgpr26
	s_set_inst_prefetch_distance 0x1
	s_branch .LBB447_184
	.p2align	6
.LBB447_182:                            ;   in Loop: Header=BB447_184 Depth=1
	global_load_b32 v21, v[19:20], off
	global_load_b32 v22, v[17:18], off
	v_add_co_u32 v17, vcc_lo, v17, 4
	v_add_co_ci_u32_e32 v18, vcc_lo, 0, v18, vcc_lo
	v_add_co_u32 v19, s2, v19, 4
	s_delay_alu instid0(VALU_DEP_1)
	v_add_co_ci_u32_e64 v20, s2, 0, v20, s2
	s_add_u32 s6, s6, 1
	s_addc_u32 s7, s7, 0
	s_and_not1_b32 s2, s26, exec_lo
	s_waitcnt vmcnt(0)
	v_cmp_ne_u32_e32 vcc_lo, v21, v22
	s_and_b32 s26, vcc_lo, exec_lo
	s_delay_alu instid0(SALU_CYCLE_1)
	s_or_b32 s26, s2, s26
.LBB447_183:                            ;   in Loop: Header=BB447_184 Depth=1
	v_dual_mov_b32 v22, s7 :: v_dual_mov_b32 v21, s6
	s_and_b32 s2, exec_lo, s26
	s_delay_alu instid0(SALU_CYCLE_1) | instskip(NEXT) | instid1(SALU_CYCLE_1)
	s_or_b32 s19, s2, s19
	s_and_not1_b32 exec_lo, exec_lo, s19
	s_cbranch_execz .LBB447_186
.LBB447_184:                            ; =>This Inner Loop Header: Depth=1
	s_or_b32 s26, s26, exec_lo
	s_cmp_eq_u64 s[4:5], s[6:7]
	s_cbranch_scc0 .LBB447_182
; %bb.185:                              ;   in Loop: Header=BB447_184 Depth=1
	s_mov_b64 s[6:7], s[22:23]
                                        ; implicit-def: $vgpr17_vgpr18
                                        ; implicit-def: $vgpr19_vgpr20
	s_branch .LBB447_183
.LBB447_186:
	s_set_inst_prefetch_distance 0x2
	s_or_b32 exec_lo, exec_lo, s19
	v_cmp_gt_i64_e32 vcc_lo, s[22:23], v[21:22]
	s_or_not1_b32 s2, vcc_lo, exec_lo
.LBB447_187:
	s_or_b32 exec_lo, exec_lo, s18
.LBB447_188:
	s_delay_alu instid0(SALU_CYCLE_1)
	s_and_b32 s2, s2, exec_lo
.LBB447_189:
	s_or_b32 exec_lo, exec_lo, s3
	s_waitcnt lgkmcnt(0)
	v_or_b32_e32 v17, v23, v24
	v_or_b32_e32 v18, v26, v27
.LBB447_190:
	s_mov_b32 s18, -1
	s_cbranch_execnz .LBB447_359
.LBB447_191:
	v_cmp_gt_i64_e64 s3, s[22:23], 0
	s_and_b32 vcc_lo, exec_lo, s21
	ds_store_b64 v39, v[3:4]
	s_cbranch_vccz .LBB447_199
; %bb.192:
	s_waitcnt lgkmcnt(0)
	v_mul_lo_u32 v19, v2, s22
	v_mul_lo_u32 v20, v1, s23
	v_mad_u64_u32 v[17:18], null, v1, s22, 0
	s_mov_b32 s19, 0
	s_and_not1_b32 vcc_lo, exec_lo, s3
	s_mov_b32 s26, 0
	s_delay_alu instid0(VALU_DEP_1) | instskip(NEXT) | instid1(VALU_DEP_1)
	v_add3_u32 v18, v18, v20, v19
	v_lshlrev_b64 v[17:18], 2, v[17:18]
	s_cbranch_vccnz .LBB447_202
; %bb.193:
	v_mul_lo_u32 v21, v4, s22
	v_mul_lo_u32 v22, v3, s23
	v_mad_u64_u32 v[19:20], null, v3, s22, 0
	s_mov_b32 s26, -1
	s_mov_b32 s27, exec_lo
	s_delay_alu instid0(VALU_DEP_1) | instskip(SKIP_2) | instid1(VALU_DEP_3)
	v_add3_u32 v20, v20, v22, v21
	v_add_co_u32 v21, vcc_lo, s8, v17
	v_add_co_ci_u32_e32 v22, vcc_lo, s9, v18, vcc_lo
	v_lshlrev_b64 v[19:20], 2, v[19:20]
	s_delay_alu instid0(VALU_DEP_1) | instskip(NEXT) | instid1(VALU_DEP_2)
	v_add_co_u32 v19, vcc_lo, s8, v19
	v_add_co_ci_u32_e32 v20, vcc_lo, s9, v20, vcc_lo
	s_clause 0x1
	global_load_b32 v23, v[21:22], off
	global_load_b32 v24, v[19:20], off
	s_waitcnt vmcnt(0)
	v_cmpx_eq_u32_e64 v23, v24
	s_cbranch_execz .LBB447_201
; %bb.194:
	v_add_co_u32 v19, vcc_lo, v19, 4
	v_add_co_ci_u32_e32 v20, vcc_lo, 0, v20, vcc_lo
	v_add_co_u32 v21, vcc_lo, v21, 4
	v_add_co_ci_u32_e32 v22, vcc_lo, 0, v22, vcc_lo
	s_add_u32 s4, s22, -1
	s_addc_u32 s5, s23, -1
	s_mov_b64 s[6:7], 0
	s_mov_b32 s26, 0
                                        ; implicit-def: $sgpr28
	s_set_inst_prefetch_distance 0x1
	s_branch .LBB447_197
	.p2align	6
.LBB447_195:                            ;   in Loop: Header=BB447_197 Depth=1
	global_load_b32 v23, v[21:22], off
	global_load_b32 v24, v[19:20], off
	v_add_co_u32 v19, vcc_lo, v19, 4
	v_add_co_ci_u32_e32 v20, vcc_lo, 0, v20, vcc_lo
	v_add_co_u32 v21, s2, v21, 4
	s_delay_alu instid0(VALU_DEP_1)
	v_add_co_ci_u32_e64 v22, s2, 0, v22, s2
	s_add_u32 s6, s6, 1
	s_addc_u32 s7, s7, 0
	s_and_not1_b32 s2, s28, exec_lo
	s_waitcnt vmcnt(0)
	v_cmp_ne_u32_e32 vcc_lo, v23, v24
	s_and_b32 s28, vcc_lo, exec_lo
	s_delay_alu instid0(SALU_CYCLE_1)
	s_or_b32 s28, s2, s28
.LBB447_196:                            ;   in Loop: Header=BB447_197 Depth=1
	v_dual_mov_b32 v24, s7 :: v_dual_mov_b32 v23, s6
	s_and_b32 s2, exec_lo, s28
	s_delay_alu instid0(SALU_CYCLE_1) | instskip(NEXT) | instid1(SALU_CYCLE_1)
	s_or_b32 s26, s2, s26
	s_and_not1_b32 exec_lo, exec_lo, s26
	s_cbranch_execz .LBB447_200
.LBB447_197:                            ; =>This Inner Loop Header: Depth=1
	s_or_b32 s28, s28, exec_lo
	s_cmp_eq_u64 s[4:5], s[6:7]
	s_cbranch_scc0 .LBB447_195
; %bb.198:                              ;   in Loop: Header=BB447_197 Depth=1
	s_mov_b64 s[6:7], s[22:23]
                                        ; implicit-def: $vgpr19_vgpr20
                                        ; implicit-def: $vgpr21_vgpr22
	s_branch .LBB447_196
.LBB447_199:
	s_waitcnt lgkmcnt(0)
                                        ; implicit-def: $sgpr2
                                        ; implicit-def: $vgpr18
	s_cbranch_execnz .LBB447_268
	s_branch .LBB447_359
.LBB447_200:
	s_set_inst_prefetch_distance 0x2
	s_or_b32 exec_lo, exec_lo, s26
	v_cmp_gt_i64_e32 vcc_lo, s[22:23], v[23:24]
	s_or_not1_b32 s26, vcc_lo, exec_lo
.LBB447_201:
	s_or_b32 exec_lo, exec_lo, s27
.LBB447_202:
	v_mul_lo_u32 v21, v8, s22
	v_mul_lo_u32 v22, v7, s23
	v_mad_u64_u32 v[19:20], null, v7, s22, 0
	s_and_not1_b32 vcc_lo, exec_lo, s3
	s_delay_alu instid0(VALU_DEP_1) | instskip(NEXT) | instid1(VALU_DEP_1)
	v_add3_u32 v20, v20, v22, v21
	v_lshlrev_b64 v[19:20], 2, v[19:20]
	s_cbranch_vccnz .LBB447_211
; %bb.203:
	s_delay_alu instid0(VALU_DEP_1) | instskip(NEXT) | instid1(VALU_DEP_2)
	v_add_co_u32 v21, vcc_lo, s8, v19
	v_add_co_ci_u32_e32 v22, vcc_lo, s9, v20, vcc_lo
	v_add_co_u32 v17, vcc_lo, s8, v17
	v_add_co_ci_u32_e32 v18, vcc_lo, s9, v18, vcc_lo
	s_mov_b32 s19, -1
	s_clause 0x1
	global_load_b32 v23, v[21:22], off
	global_load_b32 v24, v[17:18], off
	s_mov_b32 s27, exec_lo
	s_waitcnt vmcnt(0)
	v_cmpx_eq_u32_e64 v23, v24
	s_cbranch_execz .LBB447_210
; %bb.204:
	v_add_co_u32 v17, vcc_lo, v17, 4
	v_add_co_ci_u32_e32 v18, vcc_lo, 0, v18, vcc_lo
	v_add_co_u32 v21, vcc_lo, v21, 4
	v_add_co_ci_u32_e32 v22, vcc_lo, 0, v22, vcc_lo
	s_add_u32 s4, s22, -1
	s_addc_u32 s5, s23, -1
	s_mov_b64 s[6:7], 0
	s_mov_b32 s19, 0
                                        ; implicit-def: $sgpr28
	s_set_inst_prefetch_distance 0x1
	s_branch .LBB447_207
	.p2align	6
.LBB447_205:                            ;   in Loop: Header=BB447_207 Depth=1
	global_load_b32 v23, v[21:22], off
	global_load_b32 v24, v[17:18], off
	v_add_co_u32 v17, vcc_lo, v17, 4
	v_add_co_ci_u32_e32 v18, vcc_lo, 0, v18, vcc_lo
	v_add_co_u32 v21, s2, v21, 4
	s_delay_alu instid0(VALU_DEP_1)
	v_add_co_ci_u32_e64 v22, s2, 0, v22, s2
	s_add_u32 s6, s6, 1
	s_addc_u32 s7, s7, 0
	s_and_not1_b32 s2, s28, exec_lo
	s_waitcnt vmcnt(0)
	v_cmp_ne_u32_e32 vcc_lo, v23, v24
	s_and_b32 s28, vcc_lo, exec_lo
	s_delay_alu instid0(SALU_CYCLE_1)
	s_or_b32 s28, s2, s28
.LBB447_206:                            ;   in Loop: Header=BB447_207 Depth=1
	v_dual_mov_b32 v24, s7 :: v_dual_mov_b32 v23, s6
	s_and_b32 s2, exec_lo, s28
	s_delay_alu instid0(SALU_CYCLE_1) | instskip(NEXT) | instid1(SALU_CYCLE_1)
	s_or_b32 s19, s2, s19
	s_and_not1_b32 exec_lo, exec_lo, s19
	s_cbranch_execz .LBB447_209
.LBB447_207:                            ; =>This Inner Loop Header: Depth=1
	s_or_b32 s28, s28, exec_lo
	s_cmp_eq_u64 s[4:5], s[6:7]
	s_cbranch_scc0 .LBB447_205
; %bb.208:                              ;   in Loop: Header=BB447_207 Depth=1
	s_mov_b64 s[6:7], s[22:23]
                                        ; implicit-def: $vgpr17_vgpr18
                                        ; implicit-def: $vgpr21_vgpr22
	s_branch .LBB447_206
.LBB447_209:
	s_set_inst_prefetch_distance 0x2
	s_or_b32 exec_lo, exec_lo, s19
	v_cmp_gt_i64_e32 vcc_lo, s[22:23], v[23:24]
	s_or_not1_b32 s19, vcc_lo, exec_lo
.LBB447_210:
	s_or_b32 exec_lo, exec_lo, s27
.LBB447_211:
	v_mul_lo_u32 v21, v6, s22
	v_mul_lo_u32 v22, v5, s23
	v_mad_u64_u32 v[17:18], null, v5, s22, 0
	s_mov_b32 s27, 0
	s_and_not1_b32 vcc_lo, exec_lo, s3
	s_mov_b32 s28, 0
	s_delay_alu instid0(VALU_DEP_1) | instskip(NEXT) | instid1(VALU_DEP_1)
	v_add3_u32 v18, v18, v22, v21
	v_lshlrev_b64 v[21:22], 2, v[17:18]
	s_cbranch_vccnz .LBB447_220
; %bb.212:
	s_delay_alu instid0(VALU_DEP_1) | instskip(NEXT) | instid1(VALU_DEP_2)
	v_add_co_u32 v23, vcc_lo, s8, v21
	v_add_co_ci_u32_e32 v24, vcc_lo, s9, v22, vcc_lo
	v_add_co_u32 v17, vcc_lo, s8, v19
	v_add_co_ci_u32_e32 v18, vcc_lo, s9, v20, vcc_lo
	s_mov_b32 s28, -1
	s_clause 0x1
	global_load_b32 v19, v[23:24], off
	global_load_b32 v20, v[17:18], off
	s_mov_b32 s29, exec_lo
	s_waitcnt vmcnt(0)
	v_cmpx_eq_u32_e64 v19, v20
	s_cbranch_execz .LBB447_219
; %bb.213:
	v_add_co_u32 v17, vcc_lo, v17, 4
	v_add_co_ci_u32_e32 v18, vcc_lo, 0, v18, vcc_lo
	v_add_co_u32 v19, vcc_lo, v23, 4
	v_add_co_ci_u32_e32 v20, vcc_lo, 0, v24, vcc_lo
	s_add_u32 s4, s22, -1
	s_addc_u32 s5, s23, -1
	s_mov_b64 s[6:7], 0
	s_mov_b32 s28, 0
                                        ; implicit-def: $sgpr30
	s_set_inst_prefetch_distance 0x1
	s_branch .LBB447_216
	.p2align	6
.LBB447_214:                            ;   in Loop: Header=BB447_216 Depth=1
	global_load_b32 v23, v[19:20], off
	global_load_b32 v24, v[17:18], off
	v_add_co_u32 v17, vcc_lo, v17, 4
	v_add_co_ci_u32_e32 v18, vcc_lo, 0, v18, vcc_lo
	v_add_co_u32 v19, s2, v19, 4
	s_delay_alu instid0(VALU_DEP_1)
	v_add_co_ci_u32_e64 v20, s2, 0, v20, s2
	s_add_u32 s6, s6, 1
	s_addc_u32 s7, s7, 0
	s_and_not1_b32 s2, s30, exec_lo
	s_waitcnt vmcnt(0)
	v_cmp_ne_u32_e32 vcc_lo, v23, v24
	s_and_b32 s30, vcc_lo, exec_lo
	s_delay_alu instid0(SALU_CYCLE_1)
	s_or_b32 s30, s2, s30
.LBB447_215:                            ;   in Loop: Header=BB447_216 Depth=1
	v_dual_mov_b32 v24, s7 :: v_dual_mov_b32 v23, s6
	s_and_b32 s2, exec_lo, s30
	s_delay_alu instid0(SALU_CYCLE_1) | instskip(NEXT) | instid1(SALU_CYCLE_1)
	s_or_b32 s28, s2, s28
	s_and_not1_b32 exec_lo, exec_lo, s28
	s_cbranch_execz .LBB447_218
.LBB447_216:                            ; =>This Inner Loop Header: Depth=1
	s_or_b32 s30, s30, exec_lo
	s_cmp_eq_u64 s[4:5], s[6:7]
	s_cbranch_scc0 .LBB447_214
; %bb.217:                              ;   in Loop: Header=BB447_216 Depth=1
	s_mov_b64 s[6:7], s[22:23]
                                        ; implicit-def: $vgpr17_vgpr18
                                        ; implicit-def: $vgpr19_vgpr20
	s_branch .LBB447_215
.LBB447_218:
	s_set_inst_prefetch_distance 0x2
	s_or_b32 exec_lo, exec_lo, s28
	v_cmp_gt_i64_e32 vcc_lo, s[22:23], v[23:24]
	s_or_not1_b32 s28, vcc_lo, exec_lo
.LBB447_219:
	s_or_b32 exec_lo, exec_lo, s29
.LBB447_220:
	v_mul_lo_u32 v19, v12, s22
	v_mul_lo_u32 v20, v11, s23
	v_mad_u64_u32 v[17:18], null, v11, s22, 0
	s_and_not1_b32 vcc_lo, exec_lo, s3
	s_delay_alu instid0(VALU_DEP_1) | instskip(NEXT) | instid1(VALU_DEP_1)
	v_add3_u32 v18, v18, v20, v19
	v_lshlrev_b64 v[17:18], 2, v[17:18]
	s_cbranch_vccnz .LBB447_229
; %bb.221:
	s_delay_alu instid0(VALU_DEP_1) | instskip(NEXT) | instid1(VALU_DEP_2)
	v_add_co_u32 v23, vcc_lo, s8, v17
	v_add_co_ci_u32_e32 v24, vcc_lo, s9, v18, vcc_lo
	v_add_co_u32 v19, vcc_lo, s8, v21
	v_add_co_ci_u32_e32 v20, vcc_lo, s9, v22, vcc_lo
	s_mov_b32 s27, -1
	s_clause 0x1
	global_load_b32 v21, v[23:24], off
	global_load_b32 v22, v[19:20], off
	s_mov_b32 s29, exec_lo
	s_waitcnt vmcnt(0)
	v_cmpx_eq_u32_e64 v21, v22
	s_cbranch_execz .LBB447_228
; %bb.222:
	v_add_co_u32 v19, vcc_lo, v19, 4
	v_add_co_ci_u32_e32 v20, vcc_lo, 0, v20, vcc_lo
	v_add_co_u32 v21, vcc_lo, v23, 4
	v_add_co_ci_u32_e32 v22, vcc_lo, 0, v24, vcc_lo
	s_add_u32 s4, s22, -1
	s_addc_u32 s5, s23, -1
	s_mov_b64 s[6:7], 0
	s_mov_b32 s27, 0
                                        ; implicit-def: $sgpr30
	s_set_inst_prefetch_distance 0x1
	s_branch .LBB447_225
	.p2align	6
.LBB447_223:                            ;   in Loop: Header=BB447_225 Depth=1
	global_load_b32 v23, v[21:22], off
	global_load_b32 v24, v[19:20], off
	v_add_co_u32 v19, vcc_lo, v19, 4
	v_add_co_ci_u32_e32 v20, vcc_lo, 0, v20, vcc_lo
	v_add_co_u32 v21, s2, v21, 4
	s_delay_alu instid0(VALU_DEP_1)
	v_add_co_ci_u32_e64 v22, s2, 0, v22, s2
	s_add_u32 s6, s6, 1
	s_addc_u32 s7, s7, 0
	s_and_not1_b32 s2, s30, exec_lo
	s_waitcnt vmcnt(0)
	v_cmp_ne_u32_e32 vcc_lo, v23, v24
	s_and_b32 s30, vcc_lo, exec_lo
	s_delay_alu instid0(SALU_CYCLE_1)
	s_or_b32 s30, s2, s30
.LBB447_224:                            ;   in Loop: Header=BB447_225 Depth=1
	v_dual_mov_b32 v24, s7 :: v_dual_mov_b32 v23, s6
	s_and_b32 s2, exec_lo, s30
	s_delay_alu instid0(SALU_CYCLE_1) | instskip(NEXT) | instid1(SALU_CYCLE_1)
	s_or_b32 s27, s2, s27
	s_and_not1_b32 exec_lo, exec_lo, s27
	s_cbranch_execz .LBB447_227
.LBB447_225:                            ; =>This Inner Loop Header: Depth=1
	s_or_b32 s30, s30, exec_lo
	s_cmp_eq_u64 s[4:5], s[6:7]
	s_cbranch_scc0 .LBB447_223
; %bb.226:                              ;   in Loop: Header=BB447_225 Depth=1
	s_mov_b64 s[6:7], s[22:23]
                                        ; implicit-def: $vgpr19_vgpr20
                                        ; implicit-def: $vgpr21_vgpr22
	s_branch .LBB447_224
.LBB447_227:
	s_set_inst_prefetch_distance 0x2
	s_or_b32 exec_lo, exec_lo, s27
	v_cmp_gt_i64_e32 vcc_lo, s[22:23], v[23:24]
	s_or_not1_b32 s27, vcc_lo, exec_lo
.LBB447_228:
	s_or_b32 exec_lo, exec_lo, s29
.LBB447_229:
	v_mul_lo_u32 v21, v10, s22
	v_mul_lo_u32 v22, v9, s23
	v_mad_u64_u32 v[19:20], null, v9, s22, 0
	s_mov_b32 s29, 0
	s_and_not1_b32 vcc_lo, exec_lo, s3
	s_mov_b32 s30, 0
	s_delay_alu instid0(VALU_DEP_1) | instskip(NEXT) | instid1(VALU_DEP_1)
	v_add3_u32 v20, v20, v22, v21
	v_lshlrev_b64 v[19:20], 2, v[19:20]
	s_cbranch_vccnz .LBB447_238
; %bb.230:
	s_delay_alu instid0(VALU_DEP_1) | instskip(NEXT) | instid1(VALU_DEP_2)
	v_add_co_u32 v21, vcc_lo, s8, v19
	v_add_co_ci_u32_e32 v22, vcc_lo, s9, v20, vcc_lo
	v_add_co_u32 v17, vcc_lo, s8, v17
	v_add_co_ci_u32_e32 v18, vcc_lo, s9, v18, vcc_lo
	s_mov_b32 s30, -1
	s_clause 0x1
	global_load_b32 v23, v[21:22], off
	global_load_b32 v24, v[17:18], off
	s_mov_b32 s31, exec_lo
	s_waitcnt vmcnt(0)
	v_cmpx_eq_u32_e64 v23, v24
	s_cbranch_execz .LBB447_237
; %bb.231:
	v_add_co_u32 v17, vcc_lo, v17, 4
	v_add_co_ci_u32_e32 v18, vcc_lo, 0, v18, vcc_lo
	v_add_co_u32 v21, vcc_lo, v21, 4
	v_add_co_ci_u32_e32 v22, vcc_lo, 0, v22, vcc_lo
	s_add_u32 s4, s22, -1
	s_addc_u32 s5, s23, -1
	s_mov_b64 s[6:7], 0
	s_mov_b32 s30, 0
                                        ; implicit-def: $sgpr33
	s_set_inst_prefetch_distance 0x1
	s_branch .LBB447_234
	.p2align	6
.LBB447_232:                            ;   in Loop: Header=BB447_234 Depth=1
	global_load_b32 v23, v[21:22], off
	global_load_b32 v24, v[17:18], off
	v_add_co_u32 v17, vcc_lo, v17, 4
	v_add_co_ci_u32_e32 v18, vcc_lo, 0, v18, vcc_lo
	v_add_co_u32 v21, s2, v21, 4
	s_delay_alu instid0(VALU_DEP_1)
	v_add_co_ci_u32_e64 v22, s2, 0, v22, s2
	s_add_u32 s6, s6, 1
	s_addc_u32 s7, s7, 0
	s_and_not1_b32 s2, s33, exec_lo
	s_waitcnt vmcnt(0)
	v_cmp_ne_u32_e32 vcc_lo, v23, v24
	s_and_b32 s33, vcc_lo, exec_lo
	s_delay_alu instid0(SALU_CYCLE_1)
	s_or_b32 s33, s2, s33
.LBB447_233:                            ;   in Loop: Header=BB447_234 Depth=1
	v_dual_mov_b32 v24, s7 :: v_dual_mov_b32 v23, s6
	s_and_b32 s2, exec_lo, s33
	s_delay_alu instid0(SALU_CYCLE_1) | instskip(NEXT) | instid1(SALU_CYCLE_1)
	s_or_b32 s30, s2, s30
	s_and_not1_b32 exec_lo, exec_lo, s30
	s_cbranch_execz .LBB447_236
.LBB447_234:                            ; =>This Inner Loop Header: Depth=1
	s_or_b32 s33, s33, exec_lo
	s_cmp_eq_u64 s[4:5], s[6:7]
	s_cbranch_scc0 .LBB447_232
; %bb.235:                              ;   in Loop: Header=BB447_234 Depth=1
	s_mov_b64 s[6:7], s[22:23]
                                        ; implicit-def: $vgpr17_vgpr18
                                        ; implicit-def: $vgpr21_vgpr22
	s_branch .LBB447_233
.LBB447_236:
	s_set_inst_prefetch_distance 0x2
	s_or_b32 exec_lo, exec_lo, s30
	v_cmp_gt_i64_e32 vcc_lo, s[22:23], v[23:24]
	s_or_not1_b32 s30, vcc_lo, exec_lo
.LBB447_237:
	s_or_b32 exec_lo, exec_lo, s31
.LBB447_238:
	v_mul_lo_u32 v21, v16, s22
	v_mul_lo_u32 v22, v15, s23
	v_mad_u64_u32 v[17:18], null, v15, s22, 0
	s_and_not1_b32 vcc_lo, exec_lo, s3
	s_delay_alu instid0(VALU_DEP_1) | instskip(NEXT) | instid1(VALU_DEP_1)
	v_add3_u32 v18, v18, v22, v21
	v_lshlrev_b64 v[17:18], 2, v[17:18]
	s_cbranch_vccnz .LBB447_247
; %bb.239:
	s_delay_alu instid0(VALU_DEP_1) | instskip(NEXT) | instid1(VALU_DEP_2)
	v_add_co_u32 v21, vcc_lo, s8, v17
	v_add_co_ci_u32_e32 v22, vcc_lo, s9, v18, vcc_lo
	v_add_co_u32 v19, vcc_lo, s8, v19
	v_add_co_ci_u32_e32 v20, vcc_lo, s9, v20, vcc_lo
	s_mov_b32 s29, -1
	s_clause 0x1
	global_load_b32 v23, v[21:22], off
	global_load_b32 v24, v[19:20], off
	s_mov_b32 s31, exec_lo
	s_waitcnt vmcnt(0)
	v_cmpx_eq_u32_e64 v23, v24
	s_cbranch_execz .LBB447_246
; %bb.240:
	v_add_co_u32 v19, vcc_lo, v19, 4
	v_add_co_ci_u32_e32 v20, vcc_lo, 0, v20, vcc_lo
	v_add_co_u32 v21, vcc_lo, v21, 4
	v_add_co_ci_u32_e32 v22, vcc_lo, 0, v22, vcc_lo
	s_add_u32 s4, s22, -1
	s_addc_u32 s5, s23, -1
	s_mov_b64 s[6:7], 0
	s_mov_b32 s29, 0
                                        ; implicit-def: $sgpr33
	s_set_inst_prefetch_distance 0x1
	s_branch .LBB447_243
	.p2align	6
.LBB447_241:                            ;   in Loop: Header=BB447_243 Depth=1
	global_load_b32 v23, v[21:22], off
	global_load_b32 v24, v[19:20], off
	v_add_co_u32 v19, vcc_lo, v19, 4
	v_add_co_ci_u32_e32 v20, vcc_lo, 0, v20, vcc_lo
	v_add_co_u32 v21, s2, v21, 4
	s_delay_alu instid0(VALU_DEP_1)
	v_add_co_ci_u32_e64 v22, s2, 0, v22, s2
	s_add_u32 s6, s6, 1
	s_addc_u32 s7, s7, 0
	s_and_not1_b32 s2, s33, exec_lo
	s_waitcnt vmcnt(0)
	v_cmp_ne_u32_e32 vcc_lo, v23, v24
	s_and_b32 s33, vcc_lo, exec_lo
	s_delay_alu instid0(SALU_CYCLE_1)
	s_or_b32 s33, s2, s33
.LBB447_242:                            ;   in Loop: Header=BB447_243 Depth=1
	v_dual_mov_b32 v24, s7 :: v_dual_mov_b32 v23, s6
	s_and_b32 s2, exec_lo, s33
	s_delay_alu instid0(SALU_CYCLE_1) | instskip(NEXT) | instid1(SALU_CYCLE_1)
	s_or_b32 s29, s2, s29
	s_and_not1_b32 exec_lo, exec_lo, s29
	s_cbranch_execz .LBB447_245
.LBB447_243:                            ; =>This Inner Loop Header: Depth=1
	s_or_b32 s33, s33, exec_lo
	s_cmp_eq_u64 s[4:5], s[6:7]
	s_cbranch_scc0 .LBB447_241
; %bb.244:                              ;   in Loop: Header=BB447_243 Depth=1
	s_mov_b64 s[6:7], s[22:23]
                                        ; implicit-def: $vgpr19_vgpr20
                                        ; implicit-def: $vgpr21_vgpr22
	s_branch .LBB447_242
.LBB447_245:
	s_set_inst_prefetch_distance 0x2
	s_or_b32 exec_lo, exec_lo, s29
	v_cmp_gt_i64_e32 vcc_lo, s[22:23], v[23:24]
	s_or_not1_b32 s29, vcc_lo, exec_lo
.LBB447_246:
	s_or_b32 exec_lo, exec_lo, s31
.LBB447_247:
	v_mul_lo_u32 v21, v14, s22
	v_mul_lo_u32 v22, v13, s23
	v_mad_u64_u32 v[19:20], null, v13, s22, 0
	s_and_not1_b32 vcc_lo, exec_lo, s3
	s_mov_b32 s2, 0
	s_delay_alu instid0(VALU_DEP_1)
	v_add3_u32 v20, v20, v22, v21
	s_cbranch_vccnz .LBB447_256
; %bb.248:
	s_delay_alu instid0(VALU_DEP_1) | instskip(SKIP_2) | instid1(VALU_DEP_1)
	v_lshlrev_b64 v[21:22], 2, v[19:20]
	s_mov_b32 s2, -1
	s_mov_b32 s31, exec_lo
	v_add_co_u32 v21, vcc_lo, s8, v21
	s_delay_alu instid0(VALU_DEP_2)
	v_add_co_ci_u32_e32 v22, vcc_lo, s9, v22, vcc_lo
	v_add_co_u32 v17, vcc_lo, s8, v17
	v_add_co_ci_u32_e32 v18, vcc_lo, s9, v18, vcc_lo
	s_clause 0x1
	global_load_b32 v23, v[21:22], off
	global_load_b32 v24, v[17:18], off
	s_waitcnt vmcnt(0)
	v_cmpx_eq_u32_e64 v23, v24
	s_cbranch_execz .LBB447_255
; %bb.249:
	v_add_co_u32 v17, vcc_lo, v17, 4
	v_add_co_ci_u32_e32 v18, vcc_lo, 0, v18, vcc_lo
	v_add_co_u32 v21, vcc_lo, v21, 4
	v_add_co_ci_u32_e32 v22, vcc_lo, 0, v22, vcc_lo
	s_add_u32 s4, s22, -1
	s_addc_u32 s5, s23, -1
	s_mov_b64 s[6:7], 0
	s_mov_b32 s33, 0
                                        ; implicit-def: $sgpr34
	s_set_inst_prefetch_distance 0x1
	s_branch .LBB447_252
	.p2align	6
.LBB447_250:                            ;   in Loop: Header=BB447_252 Depth=1
	global_load_b32 v23, v[21:22], off
	global_load_b32 v24, v[17:18], off
	v_add_co_u32 v17, vcc_lo, v17, 4
	v_add_co_ci_u32_e32 v18, vcc_lo, 0, v18, vcc_lo
	v_add_co_u32 v21, s2, v21, 4
	s_delay_alu instid0(VALU_DEP_1)
	v_add_co_ci_u32_e64 v22, s2, 0, v22, s2
	s_add_u32 s6, s6, 1
	s_addc_u32 s7, s7, 0
	s_and_not1_b32 s2, s34, exec_lo
	s_waitcnt vmcnt(0)
	v_cmp_ne_u32_e32 vcc_lo, v23, v24
	s_and_b32 s34, vcc_lo, exec_lo
	s_delay_alu instid0(SALU_CYCLE_1)
	s_or_b32 s34, s2, s34
.LBB447_251:                            ;   in Loop: Header=BB447_252 Depth=1
	v_dual_mov_b32 v24, s7 :: v_dual_mov_b32 v23, s6
	s_and_b32 s2, exec_lo, s34
	s_delay_alu instid0(SALU_CYCLE_1) | instskip(NEXT) | instid1(SALU_CYCLE_1)
	s_or_b32 s33, s2, s33
	s_and_not1_b32 exec_lo, exec_lo, s33
	s_cbranch_execz .LBB447_254
.LBB447_252:                            ; =>This Inner Loop Header: Depth=1
	s_or_b32 s34, s34, exec_lo
	s_cmp_eq_u64 s[4:5], s[6:7]
	s_cbranch_scc0 .LBB447_250
; %bb.253:                              ;   in Loop: Header=BB447_252 Depth=1
	s_mov_b64 s[6:7], s[22:23]
                                        ; implicit-def: $vgpr17_vgpr18
                                        ; implicit-def: $vgpr21_vgpr22
	s_branch .LBB447_251
.LBB447_254:
	s_set_inst_prefetch_distance 0x2
	s_or_b32 exec_lo, exec_lo, s33
	v_cmp_gt_i64_e32 vcc_lo, s[22:23], v[23:24]
	s_or_not1_b32 s2, vcc_lo, exec_lo
.LBB447_255:
	s_or_b32 exec_lo, exec_lo, s31
.LBB447_256:
	v_cndmask_b32_e64 v18, 0, 1, s30
	v_cndmask_b32_e64 v21, 0, 1, s28
	;; [unrolled: 1-line block ×7, first 2 shown]
	v_lshlrev_b16 v21, 8, v21
	v_lshlrev_b16 v22, 8, v22
	;; [unrolled: 1-line block ×4, first 2 shown]
	s_delay_alu instid0(VALU_DEP_4) | instskip(NEXT) | instid1(VALU_DEP_4)
	v_or_b32_e32 v21, v24, v21
	v_or_b32_e32 v22, v25, v22
	s_delay_alu instid0(VALU_DEP_4) | instskip(NEXT) | instid1(VALU_DEP_4)
	v_or_b32_e32 v23, 1, v23
	v_or_b32_e32 v17, v17, v18
	s_barrier
	v_and_b32_e32 v18, 0xffff, v21
	v_lshlrev_b32_e32 v21, 16, v22
	v_and_b32_e32 v22, 0xffff, v23
	v_lshlrev_b32_e32 v17, 16, v17
	buffer_gl0_inv
                                        ; implicit-def: $sgpr2
	s_mov_b32 s4, exec_lo
	v_or_b32_e32 v18, v18, v21
	v_or_b32_e32 v17, v22, v17
	v_cmpx_ne_u32_e32 0, v0
	s_xor_b32 s19, exec_lo, s4
	s_cbranch_execz .LBB447_267
; %bb.257:
	s_and_not1_b32 vcc_lo, exec_lo, s3
	s_mov_b32 s2, 0
	s_cbranch_vccnz .LBB447_266
; %bb.258:
	v_add_nc_u32_e32 v21, -8, v39
	v_lshlrev_b64 v[19:20], 2, v[19:20]
	s_mov_b32 s2, -1
	s_mov_b32 s26, exec_lo
	ds_load_b64 v[21:22], v21
	s_waitcnt lgkmcnt(0)
	v_mul_lo_u32 v24, v22, s22
	v_mul_lo_u32 v25, v21, s23
	v_mad_u64_u32 v[22:23], null, v21, s22, 0
	s_delay_alu instid0(VALU_DEP_1) | instskip(NEXT) | instid1(VALU_DEP_1)
	v_add3_u32 v23, v23, v25, v24
	v_lshlrev_b64 v[21:22], 2, v[22:23]
	s_delay_alu instid0(VALU_DEP_1) | instskip(NEXT) | instid1(VALU_DEP_2)
	v_add_co_u32 v21, vcc_lo, s8, v21
	v_add_co_ci_u32_e32 v22, vcc_lo, s9, v22, vcc_lo
	v_add_co_u32 v19, vcc_lo, s8, v19
	v_add_co_ci_u32_e32 v20, vcc_lo, s9, v20, vcc_lo
	s_clause 0x1
	global_load_b32 v23, v[21:22], off
	global_load_b32 v24, v[19:20], off
	s_waitcnt vmcnt(0)
	v_cmpx_eq_u32_e64 v23, v24
	s_cbranch_execz .LBB447_265
; %bb.259:
	v_add_co_u32 v19, vcc_lo, v19, 4
	v_add_co_ci_u32_e32 v20, vcc_lo, 0, v20, vcc_lo
	v_add_co_u32 v21, vcc_lo, v21, 4
	v_add_co_ci_u32_e32 v22, vcc_lo, 0, v22, vcc_lo
	s_add_u32 s4, s22, -1
	s_addc_u32 s5, s23, -1
	s_mov_b64 s[6:7], 0
	s_mov_b32 s27, 0
                                        ; implicit-def: $sgpr28
	s_set_inst_prefetch_distance 0x1
	s_branch .LBB447_262
	.p2align	6
.LBB447_260:                            ;   in Loop: Header=BB447_262 Depth=1
	global_load_b32 v23, v[21:22], off
	global_load_b32 v24, v[19:20], off
	v_add_co_u32 v19, vcc_lo, v19, 4
	v_add_co_ci_u32_e32 v20, vcc_lo, 0, v20, vcc_lo
	v_add_co_u32 v21, s2, v21, 4
	s_delay_alu instid0(VALU_DEP_1)
	v_add_co_ci_u32_e64 v22, s2, 0, v22, s2
	s_add_u32 s6, s6, 1
	s_addc_u32 s7, s7, 0
	s_and_not1_b32 s2, s28, exec_lo
	s_waitcnt vmcnt(0)
	v_cmp_ne_u32_e32 vcc_lo, v23, v24
	s_and_b32 s28, vcc_lo, exec_lo
	s_delay_alu instid0(SALU_CYCLE_1)
	s_or_b32 s28, s2, s28
.LBB447_261:                            ;   in Loop: Header=BB447_262 Depth=1
	v_dual_mov_b32 v24, s7 :: v_dual_mov_b32 v23, s6
	s_and_b32 s2, exec_lo, s28
	s_delay_alu instid0(SALU_CYCLE_1) | instskip(NEXT) | instid1(SALU_CYCLE_1)
	s_or_b32 s27, s2, s27
	s_and_not1_b32 exec_lo, exec_lo, s27
	s_cbranch_execz .LBB447_264
.LBB447_262:                            ; =>This Inner Loop Header: Depth=1
	s_or_b32 s28, s28, exec_lo
	s_cmp_eq_u64 s[4:5], s[6:7]
	s_cbranch_scc0 .LBB447_260
; %bb.263:                              ;   in Loop: Header=BB447_262 Depth=1
	s_mov_b64 s[6:7], s[22:23]
                                        ; implicit-def: $vgpr19_vgpr20
                                        ; implicit-def: $vgpr21_vgpr22
	s_branch .LBB447_261
.LBB447_264:
	s_set_inst_prefetch_distance 0x2
	s_or_b32 exec_lo, exec_lo, s27
	v_cmp_gt_i64_e32 vcc_lo, s[22:23], v[23:24]
	s_or_not1_b32 s2, vcc_lo, exec_lo
.LBB447_265:
	s_or_b32 exec_lo, exec_lo, s26
.LBB447_266:
	s_delay_alu instid0(SALU_CYCLE_1)
	s_and_b32 s2, s2, exec_lo
	s_or_b32 s18, s18, exec_lo
.LBB447_267:
	s_or_b32 exec_lo, exec_lo, s19
	s_branch .LBB447_359
.LBB447_268:
	v_or_b32_e32 v17, 7, v39
	s_mov_b32 s19, 0
	s_mov_b32 s26, 0
	s_mov_b32 s27, exec_lo
	s_delay_alu instid0(VALU_DEP_1)
	v_cmpx_gt_u32_e64 s20, v17
	s_cbranch_execz .LBB447_279
; %bb.269:
	s_and_not1_b32 vcc_lo, exec_lo, s3
	s_mov_b32 s2, 0
	s_cbranch_vccnz .LBB447_278
; %bb.270:
	v_mul_lo_u32 v21, v2, s22
	v_mul_lo_u32 v22, v1, s23
	v_mad_u64_u32 v[17:18], null, v1, s22, 0
	v_mul_lo_u32 v23, v4, s22
	v_mul_lo_u32 v24, v3, s23
	v_mad_u64_u32 v[19:20], null, v3, s22, 0
	s_mov_b32 s2, -1
	s_mov_b32 s26, exec_lo
	s_delay_alu instid0(VALU_DEP_4) | instskip(NEXT) | instid1(VALU_DEP_2)
	v_add3_u32 v18, v18, v22, v21
	v_add3_u32 v20, v20, v24, v23
	s_delay_alu instid0(VALU_DEP_2) | instskip(NEXT) | instid1(VALU_DEP_2)
	v_lshlrev_b64 v[17:18], 2, v[17:18]
	v_lshlrev_b64 v[21:22], 2, v[19:20]
	s_delay_alu instid0(VALU_DEP_2) | instskip(NEXT) | instid1(VALU_DEP_3)
	v_add_co_u32 v19, vcc_lo, s8, v17
	v_add_co_ci_u32_e32 v20, vcc_lo, s9, v18, vcc_lo
	s_delay_alu instid0(VALU_DEP_3) | instskip(NEXT) | instid1(VALU_DEP_4)
	v_add_co_u32 v17, vcc_lo, s8, v21
	v_add_co_ci_u32_e32 v18, vcc_lo, s9, v22, vcc_lo
	s_clause 0x1
	global_load_b32 v21, v[19:20], off
	global_load_b32 v22, v[17:18], off
	s_waitcnt vmcnt(0)
	v_cmpx_eq_u32_e64 v21, v22
	s_cbranch_execz .LBB447_277
; %bb.271:
	v_add_co_u32 v17, vcc_lo, v17, 4
	v_add_co_ci_u32_e32 v18, vcc_lo, 0, v18, vcc_lo
	v_add_co_u32 v19, vcc_lo, v19, 4
	v_add_co_ci_u32_e32 v20, vcc_lo, 0, v20, vcc_lo
	s_add_u32 s4, s22, -1
	s_addc_u32 s5, s23, -1
	s_mov_b64 s[6:7], 0
	s_mov_b32 s28, 0
                                        ; implicit-def: $sgpr29
	s_set_inst_prefetch_distance 0x1
	s_branch .LBB447_274
	.p2align	6
.LBB447_272:                            ;   in Loop: Header=BB447_274 Depth=1
	global_load_b32 v21, v[19:20], off
	global_load_b32 v22, v[17:18], off
	v_add_co_u32 v17, vcc_lo, v17, 4
	v_add_co_ci_u32_e32 v18, vcc_lo, 0, v18, vcc_lo
	v_add_co_u32 v19, s2, v19, 4
	s_delay_alu instid0(VALU_DEP_1)
	v_add_co_ci_u32_e64 v20, s2, 0, v20, s2
	s_add_u32 s6, s6, 1
	s_addc_u32 s7, s7, 0
	s_and_not1_b32 s2, s29, exec_lo
	s_waitcnt vmcnt(0)
	v_cmp_ne_u32_e32 vcc_lo, v21, v22
	s_and_b32 s29, vcc_lo, exec_lo
	s_delay_alu instid0(SALU_CYCLE_1)
	s_or_b32 s29, s2, s29
.LBB447_273:                            ;   in Loop: Header=BB447_274 Depth=1
	v_dual_mov_b32 v22, s7 :: v_dual_mov_b32 v21, s6
	s_and_b32 s2, exec_lo, s29
	s_delay_alu instid0(SALU_CYCLE_1) | instskip(NEXT) | instid1(SALU_CYCLE_1)
	s_or_b32 s28, s2, s28
	s_and_not1_b32 exec_lo, exec_lo, s28
	s_cbranch_execz .LBB447_276
.LBB447_274:                            ; =>This Inner Loop Header: Depth=1
	s_or_b32 s29, s29, exec_lo
	s_cmp_eq_u64 s[4:5], s[6:7]
	s_cbranch_scc0 .LBB447_272
; %bb.275:                              ;   in Loop: Header=BB447_274 Depth=1
	s_mov_b64 s[6:7], s[22:23]
                                        ; implicit-def: $vgpr17_vgpr18
                                        ; implicit-def: $vgpr19_vgpr20
	s_branch .LBB447_273
.LBB447_276:
	s_set_inst_prefetch_distance 0x2
	s_or_b32 exec_lo, exec_lo, s28
	v_cmp_gt_i64_e32 vcc_lo, s[22:23], v[21:22]
	s_or_not1_b32 s2, vcc_lo, exec_lo
.LBB447_277:
	s_or_b32 exec_lo, exec_lo, s26
.LBB447_278:
	s_delay_alu instid0(SALU_CYCLE_1)
	s_and_b32 s26, s2, exec_lo
.LBB447_279:
	s_or_b32 exec_lo, exec_lo, s27
	v_or_b32_e32 v17, 6, v39
	s_mov_b32 s27, exec_lo
	s_delay_alu instid0(VALU_DEP_1)
	v_cmpx_gt_u32_e64 s20, v17
	s_cbranch_execz .LBB447_290
; %bb.280:
	s_and_not1_b32 vcc_lo, exec_lo, s3
	s_mov_b32 s2, 0
	s_cbranch_vccnz .LBB447_289
; %bb.281:
	v_mul_lo_u32 v21, v8, s22
	v_mul_lo_u32 v22, v7, s23
	v_mad_u64_u32 v[17:18], null, v7, s22, 0
	v_mul_lo_u32 v23, v2, s22
	v_mul_lo_u32 v24, v1, s23
	v_mad_u64_u32 v[19:20], null, v1, s22, 0
	s_mov_b32 s2, -1
	s_mov_b32 s19, exec_lo
	s_delay_alu instid0(VALU_DEP_4) | instskip(NEXT) | instid1(VALU_DEP_2)
	v_add3_u32 v18, v18, v22, v21
	v_add3_u32 v20, v20, v24, v23
	s_delay_alu instid0(VALU_DEP_2) | instskip(NEXT) | instid1(VALU_DEP_2)
	v_lshlrev_b64 v[17:18], 2, v[17:18]
	v_lshlrev_b64 v[21:22], 2, v[19:20]
	s_delay_alu instid0(VALU_DEP_2) | instskip(NEXT) | instid1(VALU_DEP_3)
	v_add_co_u32 v19, vcc_lo, s8, v17
	v_add_co_ci_u32_e32 v20, vcc_lo, s9, v18, vcc_lo
	s_delay_alu instid0(VALU_DEP_3) | instskip(NEXT) | instid1(VALU_DEP_4)
	v_add_co_u32 v17, vcc_lo, s8, v21
	v_add_co_ci_u32_e32 v18, vcc_lo, s9, v22, vcc_lo
	s_clause 0x1
	global_load_b32 v21, v[19:20], off
	global_load_b32 v22, v[17:18], off
	s_waitcnt vmcnt(0)
	v_cmpx_eq_u32_e64 v21, v22
	s_cbranch_execz .LBB447_288
; %bb.282:
	v_add_co_u32 v17, vcc_lo, v17, 4
	v_add_co_ci_u32_e32 v18, vcc_lo, 0, v18, vcc_lo
	v_add_co_u32 v19, vcc_lo, v19, 4
	v_add_co_ci_u32_e32 v20, vcc_lo, 0, v20, vcc_lo
	s_add_u32 s4, s22, -1
	s_addc_u32 s5, s23, -1
	s_mov_b64 s[6:7], 0
	s_mov_b32 s28, 0
                                        ; implicit-def: $sgpr29
	s_set_inst_prefetch_distance 0x1
	s_branch .LBB447_285
	.p2align	6
.LBB447_283:                            ;   in Loop: Header=BB447_285 Depth=1
	global_load_b32 v21, v[19:20], off
	global_load_b32 v22, v[17:18], off
	v_add_co_u32 v17, vcc_lo, v17, 4
	v_add_co_ci_u32_e32 v18, vcc_lo, 0, v18, vcc_lo
	v_add_co_u32 v19, s2, v19, 4
	s_delay_alu instid0(VALU_DEP_1)
	v_add_co_ci_u32_e64 v20, s2, 0, v20, s2
	s_add_u32 s6, s6, 1
	s_addc_u32 s7, s7, 0
	s_and_not1_b32 s2, s29, exec_lo
	s_waitcnt vmcnt(0)
	v_cmp_ne_u32_e32 vcc_lo, v21, v22
	s_and_b32 s29, vcc_lo, exec_lo
	s_delay_alu instid0(SALU_CYCLE_1)
	s_or_b32 s29, s2, s29
.LBB447_284:                            ;   in Loop: Header=BB447_285 Depth=1
	v_dual_mov_b32 v22, s7 :: v_dual_mov_b32 v21, s6
	s_and_b32 s2, exec_lo, s29
	s_delay_alu instid0(SALU_CYCLE_1) | instskip(NEXT) | instid1(SALU_CYCLE_1)
	s_or_b32 s28, s2, s28
	s_and_not1_b32 exec_lo, exec_lo, s28
	s_cbranch_execz .LBB447_287
.LBB447_285:                            ; =>This Inner Loop Header: Depth=1
	s_or_b32 s29, s29, exec_lo
	s_cmp_eq_u64 s[4:5], s[6:7]
	s_cbranch_scc0 .LBB447_283
; %bb.286:                              ;   in Loop: Header=BB447_285 Depth=1
	s_mov_b64 s[6:7], s[22:23]
                                        ; implicit-def: $vgpr17_vgpr18
                                        ; implicit-def: $vgpr19_vgpr20
	s_branch .LBB447_284
.LBB447_287:
	s_set_inst_prefetch_distance 0x2
	s_or_b32 exec_lo, exec_lo, s28
	v_cmp_gt_i64_e32 vcc_lo, s[22:23], v[21:22]
	s_or_not1_b32 s2, vcc_lo, exec_lo
.LBB447_288:
	s_or_b32 exec_lo, exec_lo, s19
.LBB447_289:
	s_delay_alu instid0(SALU_CYCLE_1)
	s_and_b32 s19, s2, exec_lo
.LBB447_290:
	s_or_b32 exec_lo, exec_lo, s27
	v_or_b32_e32 v17, 5, v39
	s_mov_b32 s27, 0
	s_mov_b32 s28, 0
	s_mov_b32 s29, exec_lo
	s_delay_alu instid0(VALU_DEP_1)
	v_cmpx_gt_u32_e64 s20, v17
	s_cbranch_execz .LBB447_301
; %bb.291:
	s_and_not1_b32 vcc_lo, exec_lo, s3
	s_mov_b32 s2, 0
	s_cbranch_vccnz .LBB447_300
; %bb.292:
	v_mul_lo_u32 v21, v6, s22
	v_mul_lo_u32 v22, v5, s23
	v_mad_u64_u32 v[17:18], null, v5, s22, 0
	v_mul_lo_u32 v23, v8, s22
	v_mul_lo_u32 v24, v7, s23
	v_mad_u64_u32 v[19:20], null, v7, s22, 0
	s_mov_b32 s2, -1
	s_mov_b32 s28, exec_lo
	s_delay_alu instid0(VALU_DEP_4) | instskip(NEXT) | instid1(VALU_DEP_2)
	v_add3_u32 v18, v18, v22, v21
	v_add3_u32 v20, v20, v24, v23
	s_delay_alu instid0(VALU_DEP_2) | instskip(NEXT) | instid1(VALU_DEP_2)
	v_lshlrev_b64 v[17:18], 2, v[17:18]
	v_lshlrev_b64 v[21:22], 2, v[19:20]
	s_delay_alu instid0(VALU_DEP_2) | instskip(NEXT) | instid1(VALU_DEP_3)
	v_add_co_u32 v19, vcc_lo, s8, v17
	v_add_co_ci_u32_e32 v20, vcc_lo, s9, v18, vcc_lo
	s_delay_alu instid0(VALU_DEP_3) | instskip(NEXT) | instid1(VALU_DEP_4)
	v_add_co_u32 v17, vcc_lo, s8, v21
	v_add_co_ci_u32_e32 v18, vcc_lo, s9, v22, vcc_lo
	s_clause 0x1
	global_load_b32 v21, v[19:20], off
	global_load_b32 v22, v[17:18], off
	s_waitcnt vmcnt(0)
	v_cmpx_eq_u32_e64 v21, v22
	s_cbranch_execz .LBB447_299
; %bb.293:
	v_add_co_u32 v17, vcc_lo, v17, 4
	v_add_co_ci_u32_e32 v18, vcc_lo, 0, v18, vcc_lo
	v_add_co_u32 v19, vcc_lo, v19, 4
	v_add_co_ci_u32_e32 v20, vcc_lo, 0, v20, vcc_lo
	s_add_u32 s4, s22, -1
	s_addc_u32 s5, s23, -1
	s_mov_b64 s[6:7], 0
	s_mov_b32 s30, 0
                                        ; implicit-def: $sgpr31
	s_set_inst_prefetch_distance 0x1
	s_branch .LBB447_296
	.p2align	6
.LBB447_294:                            ;   in Loop: Header=BB447_296 Depth=1
	global_load_b32 v21, v[19:20], off
	global_load_b32 v22, v[17:18], off
	v_add_co_u32 v17, vcc_lo, v17, 4
	v_add_co_ci_u32_e32 v18, vcc_lo, 0, v18, vcc_lo
	v_add_co_u32 v19, s2, v19, 4
	s_delay_alu instid0(VALU_DEP_1)
	v_add_co_ci_u32_e64 v20, s2, 0, v20, s2
	s_add_u32 s6, s6, 1
	s_addc_u32 s7, s7, 0
	s_and_not1_b32 s2, s31, exec_lo
	s_waitcnt vmcnt(0)
	v_cmp_ne_u32_e32 vcc_lo, v21, v22
	s_and_b32 s31, vcc_lo, exec_lo
	s_delay_alu instid0(SALU_CYCLE_1)
	s_or_b32 s31, s2, s31
.LBB447_295:                            ;   in Loop: Header=BB447_296 Depth=1
	v_dual_mov_b32 v22, s7 :: v_dual_mov_b32 v21, s6
	s_and_b32 s2, exec_lo, s31
	s_delay_alu instid0(SALU_CYCLE_1) | instskip(NEXT) | instid1(SALU_CYCLE_1)
	s_or_b32 s30, s2, s30
	s_and_not1_b32 exec_lo, exec_lo, s30
	s_cbranch_execz .LBB447_298
.LBB447_296:                            ; =>This Inner Loop Header: Depth=1
	s_or_b32 s31, s31, exec_lo
	s_cmp_eq_u64 s[4:5], s[6:7]
	s_cbranch_scc0 .LBB447_294
; %bb.297:                              ;   in Loop: Header=BB447_296 Depth=1
	s_mov_b64 s[6:7], s[22:23]
                                        ; implicit-def: $vgpr17_vgpr18
                                        ; implicit-def: $vgpr19_vgpr20
	s_branch .LBB447_295
.LBB447_298:
	s_set_inst_prefetch_distance 0x2
	s_or_b32 exec_lo, exec_lo, s30
	v_cmp_gt_i64_e32 vcc_lo, s[22:23], v[21:22]
	s_or_not1_b32 s2, vcc_lo, exec_lo
.LBB447_299:
	s_or_b32 exec_lo, exec_lo, s28
.LBB447_300:
	s_delay_alu instid0(SALU_CYCLE_1)
	s_and_b32 s28, s2, exec_lo
.LBB447_301:
	s_or_b32 exec_lo, exec_lo, s29
	v_or_b32_e32 v17, 4, v39
	s_mov_b32 s29, exec_lo
	s_delay_alu instid0(VALU_DEP_1)
	v_cmpx_gt_u32_e64 s20, v17
	s_cbranch_execz .LBB447_312
; %bb.302:
	s_and_not1_b32 vcc_lo, exec_lo, s3
	s_mov_b32 s2, 0
	s_cbranch_vccnz .LBB447_311
; %bb.303:
	v_mul_lo_u32 v21, v12, s22
	v_mul_lo_u32 v22, v11, s23
	v_mad_u64_u32 v[17:18], null, v11, s22, 0
	v_mul_lo_u32 v23, v6, s22
	v_mul_lo_u32 v24, v5, s23
	v_mad_u64_u32 v[19:20], null, v5, s22, 0
	s_mov_b32 s2, -1
	s_mov_b32 s27, exec_lo
	s_delay_alu instid0(VALU_DEP_4) | instskip(NEXT) | instid1(VALU_DEP_2)
	v_add3_u32 v18, v18, v22, v21
	v_add3_u32 v20, v20, v24, v23
	s_delay_alu instid0(VALU_DEP_2) | instskip(NEXT) | instid1(VALU_DEP_2)
	v_lshlrev_b64 v[17:18], 2, v[17:18]
	v_lshlrev_b64 v[21:22], 2, v[19:20]
	s_delay_alu instid0(VALU_DEP_2) | instskip(NEXT) | instid1(VALU_DEP_3)
	v_add_co_u32 v19, vcc_lo, s8, v17
	v_add_co_ci_u32_e32 v20, vcc_lo, s9, v18, vcc_lo
	s_delay_alu instid0(VALU_DEP_3) | instskip(NEXT) | instid1(VALU_DEP_4)
	v_add_co_u32 v17, vcc_lo, s8, v21
	v_add_co_ci_u32_e32 v18, vcc_lo, s9, v22, vcc_lo
	s_clause 0x1
	global_load_b32 v21, v[19:20], off
	global_load_b32 v22, v[17:18], off
	s_waitcnt vmcnt(0)
	v_cmpx_eq_u32_e64 v21, v22
	s_cbranch_execz .LBB447_310
; %bb.304:
	v_add_co_u32 v17, vcc_lo, v17, 4
	v_add_co_ci_u32_e32 v18, vcc_lo, 0, v18, vcc_lo
	v_add_co_u32 v19, vcc_lo, v19, 4
	v_add_co_ci_u32_e32 v20, vcc_lo, 0, v20, vcc_lo
	s_add_u32 s4, s22, -1
	s_addc_u32 s5, s23, -1
	s_mov_b64 s[6:7], 0
	s_mov_b32 s30, 0
                                        ; implicit-def: $sgpr31
	s_set_inst_prefetch_distance 0x1
	s_branch .LBB447_307
	.p2align	6
.LBB447_305:                            ;   in Loop: Header=BB447_307 Depth=1
	global_load_b32 v21, v[19:20], off
	global_load_b32 v22, v[17:18], off
	v_add_co_u32 v17, vcc_lo, v17, 4
	v_add_co_ci_u32_e32 v18, vcc_lo, 0, v18, vcc_lo
	v_add_co_u32 v19, s2, v19, 4
	s_delay_alu instid0(VALU_DEP_1)
	v_add_co_ci_u32_e64 v20, s2, 0, v20, s2
	s_add_u32 s6, s6, 1
	s_addc_u32 s7, s7, 0
	s_and_not1_b32 s2, s31, exec_lo
	s_waitcnt vmcnt(0)
	v_cmp_ne_u32_e32 vcc_lo, v21, v22
	s_and_b32 s31, vcc_lo, exec_lo
	s_delay_alu instid0(SALU_CYCLE_1)
	s_or_b32 s31, s2, s31
.LBB447_306:                            ;   in Loop: Header=BB447_307 Depth=1
	v_dual_mov_b32 v22, s7 :: v_dual_mov_b32 v21, s6
	s_and_b32 s2, exec_lo, s31
	s_delay_alu instid0(SALU_CYCLE_1) | instskip(NEXT) | instid1(SALU_CYCLE_1)
	s_or_b32 s30, s2, s30
	s_and_not1_b32 exec_lo, exec_lo, s30
	s_cbranch_execz .LBB447_309
.LBB447_307:                            ; =>This Inner Loop Header: Depth=1
	s_or_b32 s31, s31, exec_lo
	s_cmp_eq_u64 s[4:5], s[6:7]
	s_cbranch_scc0 .LBB447_305
; %bb.308:                              ;   in Loop: Header=BB447_307 Depth=1
	s_mov_b64 s[6:7], s[22:23]
                                        ; implicit-def: $vgpr17_vgpr18
                                        ; implicit-def: $vgpr19_vgpr20
	s_branch .LBB447_306
.LBB447_309:
	s_set_inst_prefetch_distance 0x2
	s_or_b32 exec_lo, exec_lo, s30
	v_cmp_gt_i64_e32 vcc_lo, s[22:23], v[21:22]
	s_or_not1_b32 s2, vcc_lo, exec_lo
.LBB447_310:
	s_or_b32 exec_lo, exec_lo, s27
.LBB447_311:
	s_delay_alu instid0(SALU_CYCLE_1)
	s_and_b32 s27, s2, exec_lo
.LBB447_312:
	s_or_b32 exec_lo, exec_lo, s29
	v_or_b32_e32 v17, 3, v39
	s_mov_b32 s30, 0
	s_mov_b32 s29, 0
	s_mov_b32 s31, exec_lo
	s_delay_alu instid0(VALU_DEP_1)
	v_cmpx_gt_u32_e64 s20, v17
	s_cbranch_execz .LBB447_323
; %bb.313:
	s_and_not1_b32 vcc_lo, exec_lo, s3
	s_mov_b32 s2, 0
	s_cbranch_vccnz .LBB447_322
; %bb.314:
	v_mul_lo_u32 v21, v10, s22
	v_mul_lo_u32 v22, v9, s23
	v_mad_u64_u32 v[17:18], null, v9, s22, 0
	v_mul_lo_u32 v23, v12, s22
	v_mul_lo_u32 v24, v11, s23
	v_mad_u64_u32 v[19:20], null, v11, s22, 0
	s_mov_b32 s2, -1
	s_mov_b32 s29, exec_lo
	s_delay_alu instid0(VALU_DEP_4) | instskip(NEXT) | instid1(VALU_DEP_2)
	v_add3_u32 v18, v18, v22, v21
	v_add3_u32 v20, v20, v24, v23
	s_delay_alu instid0(VALU_DEP_2) | instskip(NEXT) | instid1(VALU_DEP_2)
	v_lshlrev_b64 v[17:18], 2, v[17:18]
	v_lshlrev_b64 v[21:22], 2, v[19:20]
	s_delay_alu instid0(VALU_DEP_2) | instskip(NEXT) | instid1(VALU_DEP_3)
	v_add_co_u32 v19, vcc_lo, s8, v17
	v_add_co_ci_u32_e32 v20, vcc_lo, s9, v18, vcc_lo
	s_delay_alu instid0(VALU_DEP_3) | instskip(NEXT) | instid1(VALU_DEP_4)
	v_add_co_u32 v17, vcc_lo, s8, v21
	v_add_co_ci_u32_e32 v18, vcc_lo, s9, v22, vcc_lo
	s_clause 0x1
	global_load_b32 v21, v[19:20], off
	global_load_b32 v22, v[17:18], off
	s_waitcnt vmcnt(0)
	v_cmpx_eq_u32_e64 v21, v22
	s_cbranch_execz .LBB447_321
; %bb.315:
	v_add_co_u32 v17, vcc_lo, v17, 4
	v_add_co_ci_u32_e32 v18, vcc_lo, 0, v18, vcc_lo
	v_add_co_u32 v19, vcc_lo, v19, 4
	v_add_co_ci_u32_e32 v20, vcc_lo, 0, v20, vcc_lo
	s_add_u32 s4, s22, -1
	s_addc_u32 s5, s23, -1
	s_mov_b64 s[6:7], 0
	s_mov_b32 s33, 0
                                        ; implicit-def: $sgpr34
	s_set_inst_prefetch_distance 0x1
	s_branch .LBB447_318
	.p2align	6
.LBB447_316:                            ;   in Loop: Header=BB447_318 Depth=1
	global_load_b32 v21, v[19:20], off
	global_load_b32 v22, v[17:18], off
	v_add_co_u32 v17, vcc_lo, v17, 4
	v_add_co_ci_u32_e32 v18, vcc_lo, 0, v18, vcc_lo
	v_add_co_u32 v19, s2, v19, 4
	s_delay_alu instid0(VALU_DEP_1)
	v_add_co_ci_u32_e64 v20, s2, 0, v20, s2
	s_add_u32 s6, s6, 1
	s_addc_u32 s7, s7, 0
	s_and_not1_b32 s2, s34, exec_lo
	s_waitcnt vmcnt(0)
	v_cmp_ne_u32_e32 vcc_lo, v21, v22
	s_and_b32 s34, vcc_lo, exec_lo
	s_delay_alu instid0(SALU_CYCLE_1)
	s_or_b32 s34, s2, s34
.LBB447_317:                            ;   in Loop: Header=BB447_318 Depth=1
	v_dual_mov_b32 v22, s7 :: v_dual_mov_b32 v21, s6
	s_and_b32 s2, exec_lo, s34
	s_delay_alu instid0(SALU_CYCLE_1) | instskip(NEXT) | instid1(SALU_CYCLE_1)
	s_or_b32 s33, s2, s33
	s_and_not1_b32 exec_lo, exec_lo, s33
	s_cbranch_execz .LBB447_320
.LBB447_318:                            ; =>This Inner Loop Header: Depth=1
	s_or_b32 s34, s34, exec_lo
	s_cmp_eq_u64 s[4:5], s[6:7]
	s_cbranch_scc0 .LBB447_316
; %bb.319:                              ;   in Loop: Header=BB447_318 Depth=1
	s_mov_b64 s[6:7], s[22:23]
                                        ; implicit-def: $vgpr17_vgpr18
                                        ; implicit-def: $vgpr19_vgpr20
	s_branch .LBB447_317
.LBB447_320:
	s_set_inst_prefetch_distance 0x2
	s_or_b32 exec_lo, exec_lo, s33
	v_cmp_gt_i64_e32 vcc_lo, s[22:23], v[21:22]
	s_or_not1_b32 s2, vcc_lo, exec_lo
.LBB447_321:
	s_or_b32 exec_lo, exec_lo, s29
.LBB447_322:
	s_delay_alu instid0(SALU_CYCLE_1)
	s_and_b32 s29, s2, exec_lo
.LBB447_323:
	s_or_b32 exec_lo, exec_lo, s31
	v_or_b32_e32 v17, 2, v39
	s_mov_b32 s31, exec_lo
	s_delay_alu instid0(VALU_DEP_1)
	v_cmpx_gt_u32_e64 s20, v17
	s_cbranch_execz .LBB447_334
; %bb.324:
	s_and_not1_b32 vcc_lo, exec_lo, s3
	s_mov_b32 s2, 0
	s_cbranch_vccnz .LBB447_333
; %bb.325:
	v_mul_lo_u32 v21, v16, s22
	v_mul_lo_u32 v22, v15, s23
	v_mad_u64_u32 v[17:18], null, v15, s22, 0
	v_mul_lo_u32 v23, v10, s22
	v_mul_lo_u32 v24, v9, s23
	v_mad_u64_u32 v[19:20], null, v9, s22, 0
	s_mov_b32 s2, -1
	s_mov_b32 s30, exec_lo
	s_delay_alu instid0(VALU_DEP_4) | instskip(NEXT) | instid1(VALU_DEP_2)
	v_add3_u32 v18, v18, v22, v21
	v_add3_u32 v20, v20, v24, v23
	s_delay_alu instid0(VALU_DEP_2) | instskip(NEXT) | instid1(VALU_DEP_2)
	v_lshlrev_b64 v[17:18], 2, v[17:18]
	v_lshlrev_b64 v[21:22], 2, v[19:20]
	s_delay_alu instid0(VALU_DEP_2) | instskip(NEXT) | instid1(VALU_DEP_3)
	v_add_co_u32 v19, vcc_lo, s8, v17
	v_add_co_ci_u32_e32 v20, vcc_lo, s9, v18, vcc_lo
	s_delay_alu instid0(VALU_DEP_3) | instskip(NEXT) | instid1(VALU_DEP_4)
	v_add_co_u32 v17, vcc_lo, s8, v21
	v_add_co_ci_u32_e32 v18, vcc_lo, s9, v22, vcc_lo
	s_clause 0x1
	global_load_b32 v21, v[19:20], off
	global_load_b32 v22, v[17:18], off
	s_waitcnt vmcnt(0)
	v_cmpx_eq_u32_e64 v21, v22
	s_cbranch_execz .LBB447_332
; %bb.326:
	v_add_co_u32 v17, vcc_lo, v17, 4
	v_add_co_ci_u32_e32 v18, vcc_lo, 0, v18, vcc_lo
	v_add_co_u32 v19, vcc_lo, v19, 4
	v_add_co_ci_u32_e32 v20, vcc_lo, 0, v20, vcc_lo
	s_add_u32 s4, s22, -1
	s_addc_u32 s5, s23, -1
	s_mov_b64 s[6:7], 0
	s_mov_b32 s33, 0
                                        ; implicit-def: $sgpr34
	s_set_inst_prefetch_distance 0x1
	s_branch .LBB447_329
	.p2align	6
.LBB447_327:                            ;   in Loop: Header=BB447_329 Depth=1
	global_load_b32 v21, v[19:20], off
	global_load_b32 v22, v[17:18], off
	v_add_co_u32 v17, vcc_lo, v17, 4
	v_add_co_ci_u32_e32 v18, vcc_lo, 0, v18, vcc_lo
	v_add_co_u32 v19, s2, v19, 4
	s_delay_alu instid0(VALU_DEP_1)
	v_add_co_ci_u32_e64 v20, s2, 0, v20, s2
	s_add_u32 s6, s6, 1
	s_addc_u32 s7, s7, 0
	s_and_not1_b32 s2, s34, exec_lo
	s_waitcnt vmcnt(0)
	v_cmp_ne_u32_e32 vcc_lo, v21, v22
	s_and_b32 s34, vcc_lo, exec_lo
	s_delay_alu instid0(SALU_CYCLE_1)
	s_or_b32 s34, s2, s34
.LBB447_328:                            ;   in Loop: Header=BB447_329 Depth=1
	v_dual_mov_b32 v22, s7 :: v_dual_mov_b32 v21, s6
	s_and_b32 s2, exec_lo, s34
	s_delay_alu instid0(SALU_CYCLE_1) | instskip(NEXT) | instid1(SALU_CYCLE_1)
	s_or_b32 s33, s2, s33
	s_and_not1_b32 exec_lo, exec_lo, s33
	s_cbranch_execz .LBB447_331
.LBB447_329:                            ; =>This Inner Loop Header: Depth=1
	s_or_b32 s34, s34, exec_lo
	s_cmp_eq_u64 s[4:5], s[6:7]
	s_cbranch_scc0 .LBB447_327
; %bb.330:                              ;   in Loop: Header=BB447_329 Depth=1
	s_mov_b64 s[6:7], s[22:23]
                                        ; implicit-def: $vgpr17_vgpr18
                                        ; implicit-def: $vgpr19_vgpr20
	s_branch .LBB447_328
.LBB447_331:
	s_set_inst_prefetch_distance 0x2
	s_or_b32 exec_lo, exec_lo, s33
	v_cmp_gt_i64_e32 vcc_lo, s[22:23], v[21:22]
	s_or_not1_b32 s2, vcc_lo, exec_lo
.LBB447_332:
	s_or_b32 exec_lo, exec_lo, s30
.LBB447_333:
	s_delay_alu instid0(SALU_CYCLE_1)
	s_and_b32 s30, s2, exec_lo
.LBB447_334:
	s_or_b32 exec_lo, exec_lo, s31
	v_or_b32_e32 v17, 1, v39
	s_mov_b32 s2, 0
	s_mov_b32 s31, exec_lo
	s_delay_alu instid0(VALU_DEP_1)
	v_cmpx_gt_u32_e64 s20, v17
	s_cbranch_execz .LBB447_345
; %bb.335:
	s_and_not1_b32 vcc_lo, exec_lo, s3
	s_cbranch_vccnz .LBB447_344
; %bb.336:
	v_mul_lo_u32 v21, v14, s22
	v_mul_lo_u32 v22, v13, s23
	v_mad_u64_u32 v[17:18], null, v13, s22, 0
	v_mul_lo_u32 v23, v16, s22
	v_mul_lo_u32 v24, v15, s23
	v_mad_u64_u32 v[19:20], null, v15, s22, 0
	s_mov_b32 s2, -1
	s_mov_b32 s33, exec_lo
	s_delay_alu instid0(VALU_DEP_4) | instskip(NEXT) | instid1(VALU_DEP_2)
	v_add3_u32 v18, v18, v22, v21
	v_add3_u32 v20, v20, v24, v23
	s_delay_alu instid0(VALU_DEP_2) | instskip(NEXT) | instid1(VALU_DEP_2)
	v_lshlrev_b64 v[17:18], 2, v[17:18]
	v_lshlrev_b64 v[21:22], 2, v[19:20]
	s_delay_alu instid0(VALU_DEP_2) | instskip(NEXT) | instid1(VALU_DEP_3)
	v_add_co_u32 v19, vcc_lo, s8, v17
	v_add_co_ci_u32_e32 v20, vcc_lo, s9, v18, vcc_lo
	s_delay_alu instid0(VALU_DEP_3) | instskip(NEXT) | instid1(VALU_DEP_4)
	v_add_co_u32 v17, vcc_lo, s8, v21
	v_add_co_ci_u32_e32 v18, vcc_lo, s9, v22, vcc_lo
	s_clause 0x1
	global_load_b32 v21, v[19:20], off
	global_load_b32 v22, v[17:18], off
	s_waitcnt vmcnt(0)
	v_cmpx_eq_u32_e64 v21, v22
	s_cbranch_execz .LBB447_343
; %bb.337:
	v_add_co_u32 v17, vcc_lo, v17, 4
	v_add_co_ci_u32_e32 v18, vcc_lo, 0, v18, vcc_lo
	v_add_co_u32 v19, vcc_lo, v19, 4
	v_add_co_ci_u32_e32 v20, vcc_lo, 0, v20, vcc_lo
	s_add_u32 s4, s22, -1
	s_addc_u32 s5, s23, -1
	s_mov_b64 s[6:7], 0
	s_mov_b32 s34, 0
                                        ; implicit-def: $sgpr35
	s_set_inst_prefetch_distance 0x1
	s_branch .LBB447_340
	.p2align	6
.LBB447_338:                            ;   in Loop: Header=BB447_340 Depth=1
	global_load_b32 v21, v[19:20], off
	global_load_b32 v22, v[17:18], off
	v_add_co_u32 v17, vcc_lo, v17, 4
	v_add_co_ci_u32_e32 v18, vcc_lo, 0, v18, vcc_lo
	v_add_co_u32 v19, s2, v19, 4
	s_delay_alu instid0(VALU_DEP_1)
	v_add_co_ci_u32_e64 v20, s2, 0, v20, s2
	s_add_u32 s6, s6, 1
	s_addc_u32 s7, s7, 0
	s_and_not1_b32 s2, s35, exec_lo
	s_waitcnt vmcnt(0)
	v_cmp_ne_u32_e32 vcc_lo, v21, v22
	s_and_b32 s35, vcc_lo, exec_lo
	s_delay_alu instid0(SALU_CYCLE_1)
	s_or_b32 s35, s2, s35
.LBB447_339:                            ;   in Loop: Header=BB447_340 Depth=1
	v_dual_mov_b32 v22, s7 :: v_dual_mov_b32 v21, s6
	s_and_b32 s2, exec_lo, s35
	s_delay_alu instid0(SALU_CYCLE_1) | instskip(NEXT) | instid1(SALU_CYCLE_1)
	s_or_b32 s34, s2, s34
	s_and_not1_b32 exec_lo, exec_lo, s34
	s_cbranch_execz .LBB447_342
.LBB447_340:                            ; =>This Inner Loop Header: Depth=1
	s_or_b32 s35, s35, exec_lo
	s_cmp_eq_u64 s[4:5], s[6:7]
	s_cbranch_scc0 .LBB447_338
; %bb.341:                              ;   in Loop: Header=BB447_340 Depth=1
	s_mov_b64 s[6:7], s[22:23]
                                        ; implicit-def: $vgpr17_vgpr18
                                        ; implicit-def: $vgpr19_vgpr20
	s_branch .LBB447_339
.LBB447_342:
	s_set_inst_prefetch_distance 0x2
	s_or_b32 exec_lo, exec_lo, s34
	v_cmp_gt_i64_e32 vcc_lo, s[22:23], v[21:22]
	s_or_not1_b32 s2, vcc_lo, exec_lo
.LBB447_343:
	s_or_b32 exec_lo, exec_lo, s33
.LBB447_344:
	s_delay_alu instid0(SALU_CYCLE_1)
	s_and_b32 s2, s2, exec_lo
.LBB447_345:
	s_or_b32 exec_lo, exec_lo, s31
	v_cndmask_b32_e64 v18, 0, 1, s29
	v_cndmask_b32_e64 v19, 0, 1, s28
	;; [unrolled: 1-line block ×7, first 2 shown]
	v_lshlrev_b16 v19, 8, v19
	v_lshlrev_b16 v20, 8, v20
	;; [unrolled: 1-line block ×4, first 2 shown]
	s_mov_b32 s19, exec_lo
	v_or_b32_e32 v19, v22, v19
	v_or_b32_e32 v20, v23, v20
	;; [unrolled: 1-line block ×4, first 2 shown]
	s_delay_alu instid0(VALU_DEP_4) | instskip(NEXT) | instid1(VALU_DEP_4)
	v_and_b32_e32 v18, 0xffff, v19
	v_lshlrev_b32_e32 v19, 16, v20
	s_delay_alu instid0(VALU_DEP_4) | instskip(NEXT) | instid1(VALU_DEP_4)
	v_and_b32_e32 v20, 0xffff, v21
	v_lshlrev_b32_e32 v17, 16, v17
	s_barrier
	buffer_gl0_inv
	v_or_b32_e32 v18, v18, v19
                                        ; implicit-def: $sgpr2
	v_or_b32_e32 v17, v20, v17
	v_cmpx_ne_u32_e32 0, v0
	s_cbranch_execz .LBB447_358
; %bb.346:
	s_mov_b32 s2, 0
	s_mov_b32 s26, exec_lo
	v_cmpx_gt_u32_e64 s20, v39
	s_cbranch_execz .LBB447_357
; %bb.347:
	s_and_not1_b32 vcc_lo, exec_lo, s3
	s_cbranch_vccnz .LBB447_356
; %bb.348:
	v_add_nc_u32_e32 v19, -8, v39
	v_mul_lo_u32 v26, v13, s23
	v_mad_u64_u32 v[22:23], null, v13, s22, 0
	s_mov_b32 s2, -1
	ds_load_b64 v[19:20], v19
	s_mov_b32 s3, exec_lo
	s_waitcnt lgkmcnt(0)
	v_mul_lo_u32 v24, v20, s22
	v_mul_lo_u32 v25, v19, s23
	v_mad_u64_u32 v[20:21], null, v19, s22, 0
	v_mul_lo_u32 v19, v14, s22
	s_delay_alu instid0(VALU_DEP_2) | instskip(NEXT) | instid1(VALU_DEP_2)
	v_add3_u32 v21, v21, v25, v24
	v_add3_u32 v23, v23, v26, v19
	s_delay_alu instid0(VALU_DEP_2) | instskip(NEXT) | instid1(VALU_DEP_2)
	v_lshlrev_b64 v[19:20], 2, v[20:21]
	v_lshlrev_b64 v[23:24], 2, v[22:23]
	s_delay_alu instid0(VALU_DEP_2) | instskip(NEXT) | instid1(VALU_DEP_3)
	v_add_co_u32 v21, vcc_lo, s8, v19
	v_add_co_ci_u32_e32 v22, vcc_lo, s9, v20, vcc_lo
	s_delay_alu instid0(VALU_DEP_3) | instskip(NEXT) | instid1(VALU_DEP_4)
	v_add_co_u32 v19, vcc_lo, s8, v23
	v_add_co_ci_u32_e32 v20, vcc_lo, s9, v24, vcc_lo
	s_clause 0x1
	global_load_b32 v23, v[21:22], off
	global_load_b32 v24, v[19:20], off
	s_waitcnt vmcnt(0)
	v_cmpx_eq_u32_e64 v23, v24
	s_cbranch_execz .LBB447_355
; %bb.349:
	v_add_co_u32 v19, vcc_lo, v19, 4
	v_add_co_ci_u32_e32 v20, vcc_lo, 0, v20, vcc_lo
	v_add_co_u32 v21, vcc_lo, v21, 4
	v_add_co_ci_u32_e32 v22, vcc_lo, 0, v22, vcc_lo
	s_add_u32 s4, s22, -1
	s_addc_u32 s5, s23, -1
	s_mov_b64 s[6:7], 0
	s_mov_b32 s8, 0
                                        ; implicit-def: $sgpr9
	s_set_inst_prefetch_distance 0x1
	s_branch .LBB447_352
	.p2align	6
.LBB447_350:                            ;   in Loop: Header=BB447_352 Depth=1
	global_load_b32 v23, v[21:22], off
	global_load_b32 v24, v[19:20], off
	v_add_co_u32 v19, vcc_lo, v19, 4
	v_add_co_ci_u32_e32 v20, vcc_lo, 0, v20, vcc_lo
	v_add_co_u32 v21, s2, v21, 4
	s_delay_alu instid0(VALU_DEP_1)
	v_add_co_ci_u32_e64 v22, s2, 0, v22, s2
	s_add_u32 s6, s6, 1
	s_addc_u32 s7, s7, 0
	s_and_not1_b32 s2, s9, exec_lo
	s_waitcnt vmcnt(0)
	v_cmp_ne_u32_e32 vcc_lo, v23, v24
	s_and_b32 s9, vcc_lo, exec_lo
	s_delay_alu instid0(SALU_CYCLE_1)
	s_or_b32 s9, s2, s9
.LBB447_351:                            ;   in Loop: Header=BB447_352 Depth=1
	v_dual_mov_b32 v24, s7 :: v_dual_mov_b32 v23, s6
	s_and_b32 s2, exec_lo, s9
	s_delay_alu instid0(SALU_CYCLE_1) | instskip(NEXT) | instid1(SALU_CYCLE_1)
	s_or_b32 s8, s2, s8
	s_and_not1_b32 exec_lo, exec_lo, s8
	s_cbranch_execz .LBB447_354
.LBB447_352:                            ; =>This Inner Loop Header: Depth=1
	s_or_b32 s9, s9, exec_lo
	s_cmp_eq_u64 s[4:5], s[6:7]
	s_cbranch_scc0 .LBB447_350
; %bb.353:                              ;   in Loop: Header=BB447_352 Depth=1
	s_mov_b64 s[6:7], s[22:23]
                                        ; implicit-def: $vgpr19_vgpr20
                                        ; implicit-def: $vgpr21_vgpr22
	s_branch .LBB447_351
.LBB447_354:
	s_set_inst_prefetch_distance 0x2
	s_or_b32 exec_lo, exec_lo, s8
	v_cmp_gt_i64_e32 vcc_lo, s[22:23], v[23:24]
	s_or_not1_b32 s2, vcc_lo, exec_lo
.LBB447_355:
	s_or_b32 exec_lo, exec_lo, s3
.LBB447_356:
	s_delay_alu instid0(SALU_CYCLE_1)
	s_and_b32 s2, s2, exec_lo
.LBB447_357:
	s_or_b32 exec_lo, exec_lo, s26
	s_delay_alu instid0(SALU_CYCLE_1)
	s_and_b32 s2, s2, exec_lo
	s_or_b32 s18, s18, exec_lo
.LBB447_358:
	s_or_b32 exec_lo, exec_lo, s19
.LBB447_359:
	s_and_saveexec_b32 s3, s18
	s_cbranch_execz .LBB447_361
; %bb.360:
	s_waitcnt lgkmcnt(0)
	v_and_b32_e32 v19, 0xffffff00, v17
	v_cndmask_b32_e64 v20, 0, 1, s2
	s_delay_alu instid0(VALU_DEP_1) | instskip(NEXT) | instid1(VALU_DEP_1)
	v_or_b32_e32 v19, v20, v19
	v_and_b32_e32 v19, 0xffff, v19
	s_delay_alu instid0(VALU_DEP_1)
	v_and_or_b32 v17, 0xffff0000, v17, v19
.LBB447_361:
	s_or_b32 exec_lo, exec_lo, s3
	s_delay_alu instid0(SALU_CYCLE_1)
	s_and_not1_b32 vcc_lo, exec_lo, s24
	s_cbranch_vccnz .LBB447_363
; %bb.362:
	v_cmp_gt_u32_e32 vcc_lo, s20, v39
	s_waitcnt lgkmcnt(0)
	v_or_b32_e32 v20, 1, v39
	v_and_b32_e32 v21, 0xffffff00, v18
	v_or_b32_e32 v22, 2, v39
	v_cndmask_b32_e32 v19, 0, v17, vcc_lo
	s_delay_alu instid0(VALU_DEP_4) | instskip(SKIP_1) | instid1(VALU_DEP_4)
	v_cmp_gt_u32_e32 vcc_lo, s20, v20
	v_or_b32_e32 v20, 4, v39
	v_cmp_gt_u32_e64 s2, s20, v22
	v_or_b32_e32 v22, 3, v39
	v_and_b32_e32 v19, 0xff, v19
	s_delay_alu instid0(VALU_DEP_2) | instskip(NEXT) | instid1(VALU_DEP_2)
	v_cmp_gt_u32_e64 s3, s20, v22
	v_cndmask_b32_e32 v19, v19, v17, vcc_lo
	v_cmp_gt_u32_e32 vcc_lo, s20, v20
	v_cndmask_b32_e32 v20, v21, v18, vcc_lo
	v_or_b32_e32 v21, 5, v39
	s_delay_alu instid0(VALU_DEP_2) | instskip(SKIP_1) | instid1(VALU_DEP_1)
	v_and_b32_e32 v20, 0xffff00ff, v20
	v_and_b32_e32 v19, 0xffff, v19
	v_cndmask_b32_e64 v19, v19, v17, s2
	s_delay_alu instid0(VALU_DEP_4) | instskip(SKIP_1) | instid1(VALU_DEP_3)
	v_cmp_gt_u32_e64 s2, s20, v21
	v_or_b32_e32 v21, 6, v39
	v_and_b32_e32 v19, 0xffffff, v19
	s_delay_alu instid0(VALU_DEP_3) | instskip(NEXT) | instid1(VALU_DEP_2)
	v_cndmask_b32_e64 v20, v20, v18, s2
	v_cndmask_b32_e64 v19, v19, v17, s3
	s_delay_alu instid0(VALU_DEP_1) | instskip(SKIP_2) | instid1(VALU_DEP_3)
	v_dual_cndmask_b32 v19, v19, v17 :: v_dual_and_b32 v20, 0xff00ffff, v20
	v_cmp_gt_u32_e32 vcc_lo, s20, v21
	v_or_b32_e32 v21, 7, v39
	v_cndmask_b32_e64 v19, v19, v17, s2
	s_delay_alu instid0(VALU_DEP_1) | instskip(NEXT) | instid1(VALU_DEP_1)
	v_dual_cndmask_b32 v20, v20, v18 :: v_dual_cndmask_b32 v19, v19, v17
	v_and_b32_e32 v20, 0xffffff, v20
	s_delay_alu instid0(VALU_DEP_4) | instskip(NEXT) | instid1(VALU_DEP_2)
	v_cmp_gt_u32_e32 vcc_lo, s20, v21
	v_dual_cndmask_b32 v18, v20, v18 :: v_dual_cndmask_b32 v17, v19, v17
.LBB447_363:
	s_delay_alu instid0(VALU_DEP_1) | instskip(SKIP_1) | instid1(VALU_DEP_2)
	v_and_b32_e32 v26, 0xff, v17
	s_waitcnt lgkmcnt(0)
	v_alignbit_b32 v19, v18, v17, 24
	v_bfe_u32 v28, v17, 8, 8
	v_bfe_u32 v30, v17, 16, 8
	v_and_b32_e32 v34, 0xff, v18
	v_bfe_u32 v36, v18, 8, 8
	v_and_b32_e32 v32, 0xff, v19
	v_add_nc_u32_e32 v19, v28, v26
	v_mbcnt_lo_u32_b32 v41, -1, 0
	v_bfe_u32 v38, v18, 16, 8
	v_lshrrev_b32_e32 v40, 24, v18
	v_lshrrev_b32_e32 v42, 5, v0
	v_add3_u32 v19, v19, v30, v32
	v_and_b32_e32 v20, 15, v41
	v_and_b32_e32 v21, 16, v41
	s_and_b32 vcc_lo, exec_lo, s25
	s_mov_b32 s18, -1
	v_add3_u32 v19, v19, v34, v36
	v_cmp_eq_u32_e64 s4, 0, v20
	v_cmp_lt_u32_e64 s2, 1, v20
	v_cmp_lt_u32_e64 s5, 3, v20
	;; [unrolled: 1-line block ×3, first 2 shown]
	v_add3_u32 v43, v19, v38, v40
	v_or_b32_e32 v19, 31, v0
	v_cmp_eq_u32_e64 s7, 0, v21
	s_barrier
	buffer_gl0_inv
	v_cmp_eq_u32_e64 s6, v19, v0
	s_cbranch_vccz .LBB447_389
; %bb.364:
	v_mov_b32_dpp v19, v43 row_shr:1 row_mask:0xf bank_mask:0xf
	s_delay_alu instid0(VALU_DEP_1) | instskip(NEXT) | instid1(VALU_DEP_1)
	v_cndmask_b32_e64 v19, v19, 0, s4
	v_add_nc_u32_e32 v19, v19, v43
	s_delay_alu instid0(VALU_DEP_1) | instskip(NEXT) | instid1(VALU_DEP_1)
	v_mov_b32_dpp v20, v19 row_shr:2 row_mask:0xf bank_mask:0xf
	v_cndmask_b32_e64 v20, 0, v20, s2
	s_delay_alu instid0(VALU_DEP_1) | instskip(NEXT) | instid1(VALU_DEP_1)
	v_add_nc_u32_e32 v19, v19, v20
	v_mov_b32_dpp v20, v19 row_shr:4 row_mask:0xf bank_mask:0xf
	s_delay_alu instid0(VALU_DEP_1) | instskip(NEXT) | instid1(VALU_DEP_1)
	v_cndmask_b32_e64 v20, 0, v20, s5
	v_add_nc_u32_e32 v19, v19, v20
	s_delay_alu instid0(VALU_DEP_1) | instskip(NEXT) | instid1(VALU_DEP_1)
	v_mov_b32_dpp v20, v19 row_shr:8 row_mask:0xf bank_mask:0xf
	v_cndmask_b32_e64 v20, 0, v20, s3
	s_delay_alu instid0(VALU_DEP_1) | instskip(SKIP_3) | instid1(VALU_DEP_1)
	v_add_nc_u32_e32 v19, v19, v20
	ds_swizzle_b32 v20, v19 offset:swizzle(BROADCAST,32,15)
	s_waitcnt lgkmcnt(0)
	v_cndmask_b32_e64 v20, v20, 0, s7
	v_add_nc_u32_e32 v19, v19, v20
	s_and_saveexec_b32 s8, s6
	s_cbranch_execz .LBB447_366
; %bb.365:
	v_lshlrev_b32_e32 v20, 2, v42
	ds_store_b32 v20, v19
.LBB447_366:
	s_or_b32 exec_lo, exec_lo, s8
	s_delay_alu instid0(SALU_CYCLE_1)
	s_mov_b32 s8, exec_lo
	s_waitcnt lgkmcnt(0)
	s_barrier
	buffer_gl0_inv
	v_cmpx_gt_u32_e32 16, v0
	s_cbranch_execz .LBB447_368
; %bb.367:
	v_lshlrev_b32_e32 v20, 2, v0
	ds_load_b32 v21, v20
	s_waitcnt lgkmcnt(0)
	v_mov_b32_dpp v22, v21 row_shr:1 row_mask:0xf bank_mask:0xf
	s_delay_alu instid0(VALU_DEP_1) | instskip(NEXT) | instid1(VALU_DEP_1)
	v_cndmask_b32_e64 v22, v22, 0, s4
	v_add_nc_u32_e32 v21, v22, v21
	s_delay_alu instid0(VALU_DEP_1) | instskip(NEXT) | instid1(VALU_DEP_1)
	v_mov_b32_dpp v22, v21 row_shr:2 row_mask:0xf bank_mask:0xf
	v_cndmask_b32_e64 v22, 0, v22, s2
	s_delay_alu instid0(VALU_DEP_1) | instskip(NEXT) | instid1(VALU_DEP_1)
	v_add_nc_u32_e32 v21, v21, v22
	v_mov_b32_dpp v22, v21 row_shr:4 row_mask:0xf bank_mask:0xf
	s_delay_alu instid0(VALU_DEP_1) | instskip(NEXT) | instid1(VALU_DEP_1)
	v_cndmask_b32_e64 v22, 0, v22, s5
	v_add_nc_u32_e32 v21, v21, v22
	s_delay_alu instid0(VALU_DEP_1) | instskip(NEXT) | instid1(VALU_DEP_1)
	v_mov_b32_dpp v22, v21 row_shr:8 row_mask:0xf bank_mask:0xf
	v_cndmask_b32_e64 v22, 0, v22, s3
	s_delay_alu instid0(VALU_DEP_1)
	v_add_nc_u32_e32 v21, v21, v22
	ds_store_b32 v20, v21
.LBB447_368:
	s_or_b32 exec_lo, exec_lo, s8
	v_cmp_gt_u32_e32 vcc_lo, 32, v0
	s_mov_b32 s9, exec_lo
	s_waitcnt lgkmcnt(0)
	s_barrier
	buffer_gl0_inv
                                        ; implicit-def: $vgpr27
	v_cmpx_lt_u32_e32 31, v0
	s_cbranch_execz .LBB447_370
; %bb.369:
	v_lshl_add_u32 v20, v42, 2, -4
	ds_load_b32 v27, v20
	s_waitcnt lgkmcnt(0)
	v_add_nc_u32_e32 v19, v27, v19
.LBB447_370:
	s_or_b32 exec_lo, exec_lo, s9
	v_add_nc_u32_e32 v20, -1, v41
	s_delay_alu instid0(VALU_DEP_1) | instskip(NEXT) | instid1(VALU_DEP_1)
	v_cmp_gt_i32_e64 s8, 0, v20
	v_cndmask_b32_e64 v20, v20, v41, s8
	v_cmp_eq_u32_e64 s8, 0, v41
	s_delay_alu instid0(VALU_DEP_2)
	v_lshlrev_b32_e32 v20, 2, v20
	ds_bpermute_b32 v29, v20, v19
	s_and_saveexec_b32 s9, vcc_lo
	s_cbranch_execz .LBB447_388
; %bb.371:
	v_mov_b32_e32 v22, 0
	ds_load_b32 v19, v22 offset:60
	s_and_saveexec_b32 s18, s8
	s_cbranch_execz .LBB447_373
; %bb.372:
	s_add_i32 s22, s15, 32
	s_mov_b32 s23, 0
	v_mov_b32_e32 v20, 1
	s_lshl_b64 s[22:23], s[22:23], 3
	s_delay_alu instid0(SALU_CYCLE_1)
	s_add_u32 s22, s10, s22
	s_addc_u32 s23, s11, s23
	s_waitcnt lgkmcnt(0)
	global_store_b64 v22, v[19:20], s[22:23]
.LBB447_373:
	s_or_b32 exec_lo, exec_lo, s18
	v_xad_u32 v20, v41, -1, s15
	s_mov_b32 s19, 0
	s_mov_b32 s18, exec_lo
	s_delay_alu instid0(VALU_DEP_1) | instskip(NEXT) | instid1(VALU_DEP_1)
	v_add_nc_u32_e32 v21, 32, v20
	v_lshlrev_b64 v[21:22], 3, v[21:22]
	s_delay_alu instid0(VALU_DEP_1) | instskip(NEXT) | instid1(VALU_DEP_2)
	v_add_co_u32 v24, vcc_lo, s10, v21
	v_add_co_ci_u32_e32 v25, vcc_lo, s11, v22, vcc_lo
	global_load_b64 v[22:23], v[24:25], off glc
	s_waitcnt vmcnt(0)
	v_and_b32_e32 v21, 0xff, v23
	s_delay_alu instid0(VALU_DEP_1)
	v_cmpx_eq_u16_e32 0, v21
	s_cbranch_execz .LBB447_376
.LBB447_374:                            ; =>This Inner Loop Header: Depth=1
	global_load_b64 v[22:23], v[24:25], off glc
	s_waitcnt vmcnt(0)
	v_and_b32_e32 v21, 0xff, v23
	s_delay_alu instid0(VALU_DEP_1) | instskip(SKIP_1) | instid1(SALU_CYCLE_1)
	v_cmp_ne_u16_e32 vcc_lo, 0, v21
	s_or_b32 s19, vcc_lo, s19
	s_and_not1_b32 exec_lo, exec_lo, s19
	s_cbranch_execnz .LBB447_374
; %bb.375:
	s_or_b32 exec_lo, exec_lo, s19
.LBB447_376:
	s_delay_alu instid0(SALU_CYCLE_1)
	s_or_b32 exec_lo, exec_lo, s18
	v_cmp_ne_u32_e32 vcc_lo, 31, v41
	v_lshlrev_b32_e64 v33, v41, -1
	v_add_nc_u32_e32 v37, 2, v41
	v_add_nc_u32_e32 v46, 4, v41
	;; [unrolled: 1-line block ×3, first 2 shown]
	v_add_co_ci_u32_e32 v21, vcc_lo, 0, v41, vcc_lo
	v_add_nc_u32_e32 v50, 16, v41
	s_delay_alu instid0(VALU_DEP_2)
	v_lshlrev_b32_e32 v31, 2, v21
	v_and_b32_e32 v21, 0xff, v23
	ds_bpermute_b32 v24, v31, v22
	v_cmp_eq_u16_e32 vcc_lo, 2, v21
	v_and_or_b32 v21, vcc_lo, v33, 0x80000000
	v_cmp_gt_u32_e32 vcc_lo, 30, v41
	s_delay_alu instid0(VALU_DEP_2) | instskip(SKIP_1) | instid1(VALU_DEP_2)
	v_ctz_i32_b32_e32 v21, v21
	v_cndmask_b32_e64 v25, 0, 1, vcc_lo
	v_cmp_lt_u32_e32 vcc_lo, v41, v21
	s_waitcnt lgkmcnt(0)
	s_delay_alu instid0(VALU_DEP_2) | instskip(NEXT) | instid1(VALU_DEP_1)
	v_dual_cndmask_b32 v24, 0, v24 :: v_dual_lshlrev_b32 v25, 1, v25
	v_add_lshl_u32 v35, v25, v41, 2
	v_cmp_gt_u32_e32 vcc_lo, 28, v41
	s_delay_alu instid0(VALU_DEP_3) | instskip(SKIP_4) | instid1(VALU_DEP_1)
	v_add_nc_u32_e32 v22, v24, v22
	v_cndmask_b32_e64 v25, 0, 1, vcc_lo
	v_cmp_le_u32_e32 vcc_lo, v37, v21
	ds_bpermute_b32 v24, v35, v22
	v_lshlrev_b32_e32 v25, 2, v25
	v_add_lshl_u32 v44, v25, v41, 2
	s_waitcnt lgkmcnt(0)
	v_cndmask_b32_e32 v24, 0, v24, vcc_lo
	v_cmp_gt_u32_e32 vcc_lo, 24, v41
	s_delay_alu instid0(VALU_DEP_2) | instskip(SKIP_4) | instid1(VALU_DEP_1)
	v_add_nc_u32_e32 v22, v22, v24
	v_cndmask_b32_e64 v25, 0, 1, vcc_lo
	v_cmp_le_u32_e32 vcc_lo, v46, v21
	ds_bpermute_b32 v24, v44, v22
	v_lshlrev_b32_e32 v25, 3, v25
	v_add_lshl_u32 v47, v25, v41, 2
	s_waitcnt lgkmcnt(0)
	v_cndmask_b32_e32 v24, 0, v24, vcc_lo
	v_cmp_gt_u32_e32 vcc_lo, 16, v41
	s_delay_alu instid0(VALU_DEP_2) | instskip(SKIP_4) | instid1(VALU_DEP_1)
	v_add_nc_u32_e32 v22, v22, v24
	v_cndmask_b32_e64 v25, 0, 1, vcc_lo
	v_cmp_le_u32_e32 vcc_lo, v48, v21
	ds_bpermute_b32 v24, v47, v22
	v_lshlrev_b32_e32 v25, 4, v25
	v_add_lshl_u32 v49, v25, v41, 2
	s_waitcnt lgkmcnt(0)
	v_cndmask_b32_e32 v24, 0, v24, vcc_lo
	v_cmp_le_u32_e32 vcc_lo, v50, v21
	s_delay_alu instid0(VALU_DEP_2) | instskip(SKIP_3) | instid1(VALU_DEP_1)
	v_add_nc_u32_e32 v22, v22, v24
	ds_bpermute_b32 v24, v49, v22
	s_waitcnt lgkmcnt(0)
	v_cndmask_b32_e32 v21, 0, v24, vcc_lo
	v_dual_mov_b32 v21, 0 :: v_dual_add_nc_u32 v22, v22, v21
	s_branch .LBB447_378
.LBB447_377:                            ;   in Loop: Header=BB447_378 Depth=1
	s_or_b32 exec_lo, exec_lo, s18
	ds_bpermute_b32 v25, v31, v22
	v_and_b32_e32 v24, 0xff, v23
	v_subrev_nc_u32_e32 v20, 32, v20
	s_delay_alu instid0(VALU_DEP_2) | instskip(SKIP_1) | instid1(VALU_DEP_1)
	v_cmp_eq_u16_e32 vcc_lo, 2, v24
	v_and_or_b32 v24, vcc_lo, v33, 0x80000000
	v_ctz_i32_b32_e32 v24, v24
	s_delay_alu instid0(VALU_DEP_1) | instskip(SKIP_3) | instid1(VALU_DEP_2)
	v_cmp_lt_u32_e32 vcc_lo, v41, v24
	s_waitcnt lgkmcnt(0)
	v_cndmask_b32_e32 v25, 0, v25, vcc_lo
	v_cmp_le_u32_e32 vcc_lo, v37, v24
	v_add_nc_u32_e32 v22, v25, v22
	ds_bpermute_b32 v25, v35, v22
	s_waitcnt lgkmcnt(0)
	v_cndmask_b32_e32 v25, 0, v25, vcc_lo
	v_cmp_le_u32_e32 vcc_lo, v46, v24
	s_delay_alu instid0(VALU_DEP_2) | instskip(SKIP_4) | instid1(VALU_DEP_2)
	v_add_nc_u32_e32 v22, v22, v25
	ds_bpermute_b32 v25, v44, v22
	s_waitcnt lgkmcnt(0)
	v_cndmask_b32_e32 v25, 0, v25, vcc_lo
	v_cmp_le_u32_e32 vcc_lo, v48, v24
	v_add_nc_u32_e32 v22, v22, v25
	ds_bpermute_b32 v25, v47, v22
	s_waitcnt lgkmcnt(0)
	v_cndmask_b32_e32 v25, 0, v25, vcc_lo
	v_cmp_le_u32_e32 vcc_lo, v50, v24
	s_delay_alu instid0(VALU_DEP_2) | instskip(SKIP_3) | instid1(VALU_DEP_1)
	v_add_nc_u32_e32 v22, v22, v25
	ds_bpermute_b32 v25, v49, v22
	s_waitcnt lgkmcnt(0)
	v_cndmask_b32_e32 v24, 0, v25, vcc_lo
	v_add3_u32 v22, v24, v45, v22
.LBB447_378:                            ; =>This Loop Header: Depth=1
                                        ;     Child Loop BB447_381 Depth 2
	v_and_b32_e32 v23, 0xff, v23
	s_delay_alu instid0(VALU_DEP_2) | instskip(NEXT) | instid1(VALU_DEP_2)
	v_mov_b32_e32 v45, v22
	v_cmp_ne_u16_e32 vcc_lo, 2, v23
	v_cndmask_b32_e64 v23, 0, 1, vcc_lo
	;;#ASMSTART
	;;#ASMEND
	s_delay_alu instid0(VALU_DEP_1)
	v_cmp_ne_u32_e32 vcc_lo, 0, v23
	s_cmp_lg_u32 vcc_lo, exec_lo
	s_cbranch_scc1 .LBB447_383
; %bb.379:                              ;   in Loop: Header=BB447_378 Depth=1
	v_lshlrev_b64 v[22:23], 3, v[20:21]
	s_mov_b32 s18, exec_lo
	s_delay_alu instid0(VALU_DEP_1) | instskip(NEXT) | instid1(VALU_DEP_2)
	v_add_co_u32 v24, vcc_lo, s10, v22
	v_add_co_ci_u32_e32 v25, vcc_lo, s11, v23, vcc_lo
	global_load_b64 v[22:23], v[24:25], off glc
	s_waitcnt vmcnt(0)
	v_and_b32_e32 v51, 0xff, v23
	s_delay_alu instid0(VALU_DEP_1)
	v_cmpx_eq_u16_e32 0, v51
	s_cbranch_execz .LBB447_377
; %bb.380:                              ;   in Loop: Header=BB447_378 Depth=1
	s_mov_b32 s19, 0
.LBB447_381:                            ;   Parent Loop BB447_378 Depth=1
                                        ; =>  This Inner Loop Header: Depth=2
	global_load_b64 v[22:23], v[24:25], off glc
	s_waitcnt vmcnt(0)
	v_and_b32_e32 v51, 0xff, v23
	s_delay_alu instid0(VALU_DEP_1) | instskip(SKIP_1) | instid1(SALU_CYCLE_1)
	v_cmp_ne_u16_e32 vcc_lo, 0, v51
	s_or_b32 s19, vcc_lo, s19
	s_and_not1_b32 exec_lo, exec_lo, s19
	s_cbranch_execnz .LBB447_381
; %bb.382:                              ;   in Loop: Header=BB447_378 Depth=1
	s_or_b32 exec_lo, exec_lo, s19
	s_branch .LBB447_377
.LBB447_383:                            ;   in Loop: Header=BB447_378 Depth=1
                                        ; implicit-def: $vgpr22
                                        ; implicit-def: $vgpr23
	s_cbranch_execz .LBB447_378
; %bb.384:
	s_and_saveexec_b32 s18, s8
	s_cbranch_execz .LBB447_386
; %bb.385:
	s_add_i32 s22, s15, 32
	s_mov_b32 s23, 0
	v_dual_mov_b32 v21, 2 :: v_dual_add_nc_u32 v20, v45, v19
	s_lshl_b64 s[22:23], s[22:23], 3
	v_mov_b32_e32 v22, 0
	v_add_nc_u32_e64 v23, 0x8400, 0
	s_add_u32 s22, s10, s22
	s_addc_u32 s23, s11, s23
	global_store_b64 v22, v[20:21], s[22:23]
	ds_store_2addr_b32 v23, v19, v45 offset1:2
.LBB447_386:
	s_or_b32 exec_lo, exec_lo, s18
	v_cmp_eq_u32_e32 vcc_lo, 0, v0
	s_and_b32 exec_lo, exec_lo, vcc_lo
	s_cbranch_execz .LBB447_388
; %bb.387:
	v_mov_b32_e32 v19, 0
	ds_store_b32 v19, v45 offset:60
.LBB447_388:
	s_or_b32 exec_lo, exec_lo, s9
	s_waitcnt lgkmcnt(0)
	v_cndmask_b32_e64 v20, v29, v27, s8
	v_cmp_ne_u32_e32 vcc_lo, 0, v0
	v_mov_b32_e32 v19, 0
	s_waitcnt_vscnt null, 0x0
	s_barrier
	buffer_gl0_inv
	v_cndmask_b32_e32 v20, 0, v20, vcc_lo
	ds_load_b32 v19, v19 offset:60
	s_waitcnt lgkmcnt(0)
	s_barrier
	buffer_gl0_inv
	v_add_nc_u32_e32 v37, v19, v20
	v_add_nc_u32_e64 v19, 0x8400, 0
	s_delay_alu instid0(VALU_DEP_2) | instskip(SKIP_2) | instid1(VALU_DEP_1)
	v_add_nc_u32_e32 v35, v37, v26
	ds_load_2addr_b32 v[19:20], v19 offset1:2
	v_add_nc_u32_e32 v33, v35, v28
	v_add_nc_u32_e32 v31, v33, v30
	s_delay_alu instid0(VALU_DEP_1) | instskip(NEXT) | instid1(VALU_DEP_1)
	v_add_nc_u32_e32 v29, v31, v32
	v_add_nc_u32_e32 v27, v29, v34
	s_delay_alu instid0(VALU_DEP_1) | instskip(NEXT) | instid1(VALU_DEP_1)
	v_add_nc_u32_e32 v25, v27, v36
	v_add_nc_u32_e32 v23, v25, v38
	s_load_b64 s[8:9], s[0:1], 0x28
	v_lshrrev_b64 v[21:22], 24, v[17:18]
	s_branch .LBB447_399
.LBB447_389:
                                        ; implicit-def: $vgpr23
                                        ; implicit-def: $vgpr25
                                        ; implicit-def: $vgpr27
                                        ; implicit-def: $vgpr29
                                        ; implicit-def: $vgpr31
                                        ; implicit-def: $vgpr33
                                        ; implicit-def: $vgpr35
                                        ; implicit-def: $vgpr37
                                        ; implicit-def: $vgpr20
	s_load_b64 s[8:9], s[0:1], 0x28
	v_lshrrev_b64 v[21:22], 24, v[17:18]
	s_and_b32 vcc_lo, exec_lo, s18
	s_cbranch_vccz .LBB447_399
; %bb.390:
	s_waitcnt lgkmcnt(0)
	v_mov_b32_dpp v19, v43 row_shr:1 row_mask:0xf bank_mask:0xf
	s_delay_alu instid0(VALU_DEP_1) | instskip(NEXT) | instid1(VALU_DEP_1)
	v_cndmask_b32_e64 v19, v19, 0, s4
	v_add_nc_u32_e32 v19, v19, v43
	s_delay_alu instid0(VALU_DEP_1) | instskip(NEXT) | instid1(VALU_DEP_1)
	v_mov_b32_dpp v20, v19 row_shr:2 row_mask:0xf bank_mask:0xf
	v_cndmask_b32_e64 v20, 0, v20, s2
	s_delay_alu instid0(VALU_DEP_1) | instskip(NEXT) | instid1(VALU_DEP_1)
	v_add_nc_u32_e32 v19, v19, v20
	v_mov_b32_dpp v20, v19 row_shr:4 row_mask:0xf bank_mask:0xf
	s_delay_alu instid0(VALU_DEP_1) | instskip(NEXT) | instid1(VALU_DEP_1)
	v_cndmask_b32_e64 v20, 0, v20, s5
	v_add_nc_u32_e32 v19, v19, v20
	s_delay_alu instid0(VALU_DEP_1) | instskip(NEXT) | instid1(VALU_DEP_1)
	v_mov_b32_dpp v20, v19 row_shr:8 row_mask:0xf bank_mask:0xf
	v_cndmask_b32_e64 v20, 0, v20, s3
	s_delay_alu instid0(VALU_DEP_1) | instskip(SKIP_3) | instid1(VALU_DEP_1)
	v_add_nc_u32_e32 v19, v19, v20
	ds_swizzle_b32 v20, v19 offset:swizzle(BROADCAST,32,15)
	s_waitcnt lgkmcnt(0)
	v_cndmask_b32_e64 v20, v20, 0, s7
	v_add_nc_u32_e32 v19, v19, v20
	s_and_saveexec_b32 s0, s6
	s_cbranch_execz .LBB447_392
; %bb.391:
	v_lshlrev_b32_e32 v20, 2, v42
	ds_store_b32 v20, v19
.LBB447_392:
	s_or_b32 exec_lo, exec_lo, s0
	s_delay_alu instid0(SALU_CYCLE_1)
	s_mov_b32 s0, exec_lo
	s_waitcnt lgkmcnt(0)
	s_barrier
	buffer_gl0_inv
	v_cmpx_gt_u32_e32 16, v0
	s_cbranch_execz .LBB447_394
; %bb.393:
	v_lshlrev_b32_e32 v20, 2, v0
	ds_load_b32 v22, v20
	s_waitcnt lgkmcnt(0)
	v_mov_b32_dpp v23, v22 row_shr:1 row_mask:0xf bank_mask:0xf
	s_delay_alu instid0(VALU_DEP_1) | instskip(NEXT) | instid1(VALU_DEP_1)
	v_cndmask_b32_e64 v23, v23, 0, s4
	v_add_nc_u32_e32 v22, v23, v22
	s_delay_alu instid0(VALU_DEP_1) | instskip(NEXT) | instid1(VALU_DEP_1)
	v_mov_b32_dpp v23, v22 row_shr:2 row_mask:0xf bank_mask:0xf
	v_cndmask_b32_e64 v23, 0, v23, s2
	s_delay_alu instid0(VALU_DEP_1) | instskip(NEXT) | instid1(VALU_DEP_1)
	v_add_nc_u32_e32 v22, v22, v23
	v_mov_b32_dpp v23, v22 row_shr:4 row_mask:0xf bank_mask:0xf
	s_delay_alu instid0(VALU_DEP_1) | instskip(NEXT) | instid1(VALU_DEP_1)
	v_cndmask_b32_e64 v23, 0, v23, s5
	v_add_nc_u32_e32 v22, v22, v23
	s_delay_alu instid0(VALU_DEP_1) | instskip(NEXT) | instid1(VALU_DEP_1)
	v_mov_b32_dpp v23, v22 row_shr:8 row_mask:0xf bank_mask:0xf
	v_cndmask_b32_e64 v23, 0, v23, s3
	s_delay_alu instid0(VALU_DEP_1)
	v_add_nc_u32_e32 v22, v22, v23
	ds_store_b32 v20, v22
.LBB447_394:
	s_or_b32 exec_lo, exec_lo, s0
	v_mov_b32_e32 v20, 0
	v_mov_b32_e32 v22, 0
	s_mov_b32 s0, exec_lo
	s_waitcnt lgkmcnt(0)
	s_barrier
	buffer_gl0_inv
	v_cmpx_lt_u32_e32 31, v0
	s_cbranch_execz .LBB447_396
; %bb.395:
	v_lshl_add_u32 v22, v42, 2, -4
	ds_load_b32 v22, v22
.LBB447_396:
	s_or_b32 exec_lo, exec_lo, s0
	v_add_nc_u32_e32 v23, -1, v41
	s_waitcnt lgkmcnt(0)
	v_add_nc_u32_e32 v19, v22, v19
	s_delay_alu instid0(VALU_DEP_2) | instskip(SKIP_2) | instid1(VALU_DEP_2)
	v_cmp_gt_i32_e32 vcc_lo, 0, v23
	v_cndmask_b32_e32 v23, v23, v41, vcc_lo
	v_cmp_eq_u32_e32 vcc_lo, 0, v0
	v_lshlrev_b32_e32 v23, 2, v23
	ds_bpermute_b32 v23, v23, v19
	ds_load_b32 v19, v20 offset:60
	s_and_saveexec_b32 s0, vcc_lo
	s_cbranch_execz .LBB447_398
; %bb.397:
	v_mov_b32_e32 v24, 0
	v_mov_b32_e32 v20, 2
	s_waitcnt lgkmcnt(0)
	global_store_b64 v24, v[19:20], s[10:11] offset:256
.LBB447_398:
	s_or_b32 exec_lo, exec_lo, s0
	v_cmp_eq_u32_e64 s0, 0, v41
	s_waitcnt lgkmcnt(0)
	s_waitcnt_vscnt null, 0x0
	s_barrier
	buffer_gl0_inv
	v_cndmask_b32_e64 v20, v23, v22, s0
	s_delay_alu instid0(VALU_DEP_1) | instskip(NEXT) | instid1(VALU_DEP_1)
	v_cndmask_b32_e64 v37, v20, 0, vcc_lo
	v_dual_mov_b32 v20, 0 :: v_dual_add_nc_u32 v35, v37, v26
	s_delay_alu instid0(VALU_DEP_1) | instskip(NEXT) | instid1(VALU_DEP_1)
	v_add_nc_u32_e32 v33, v35, v28
	v_add_nc_u32_e32 v31, v33, v30
	s_delay_alu instid0(VALU_DEP_1) | instskip(NEXT) | instid1(VALU_DEP_1)
	v_add_nc_u32_e32 v29, v31, v32
	v_add_nc_u32_e32 v27, v29, v34
	s_delay_alu instid0(VALU_DEP_1) | instskip(NEXT) | instid1(VALU_DEP_1)
	v_add_nc_u32_e32 v25, v27, v36
	v_add_nc_u32_e32 v23, v25, v38
.LBB447_399:
	s_waitcnt lgkmcnt(0)
	v_cmp_gt_u32_e32 vcc_lo, 0x201, v19
	v_lshrrev_b32_e32 v43, 8, v17
	v_lshrrev_b32_e32 v42, 16, v17
	v_lshrrev_b32_e32 v41, 8, v18
	v_lshrrev_b32_e32 v22, 16, v18
	s_mov_b32 s0, -1
	s_cbranch_vccnz .LBB447_403
; %bb.400:
	s_and_b32 vcc_lo, exec_lo, s0
	s_cbranch_vccnz .LBB447_428
.LBB447_401:
	v_cmp_eq_u32_e32 vcc_lo, 0, v0
	s_and_b32 s0, vcc_lo, s14
	s_delay_alu instid0(SALU_CYCLE_1)
	s_and_saveexec_b32 s1, s0
	s_cbranch_execnz .LBB447_448
.LBB447_402:
	s_nop 0
	s_sendmsg sendmsg(MSG_DEALLOC_VGPRS)
	s_endpgm
.LBB447_403:
	v_add_nc_u32_e32 v24, v20, v19
	s_delay_alu instid0(VALU_DEP_1) | instskip(SKIP_1) | instid1(SALU_CYCLE_1)
	v_cmp_lt_u32_e32 vcc_lo, v37, v24
	s_or_b32 s1, s21, vcc_lo
	s_and_saveexec_b32 s0, s1
	s_cbranch_execz .LBB447_406
; %bb.404:
	v_and_b32_e32 v26, 1, v17
	s_delay_alu instid0(VALU_DEP_1)
	v_cmp_eq_u32_e32 vcc_lo, 1, v26
	s_and_b32 exec_lo, exec_lo, vcc_lo
	s_cbranch_execz .LBB447_406
; %bb.405:
	v_mov_b32_e32 v38, 0
	s_lshl_b64 s[2:3], s[12:13], 3
	s_delay_alu instid0(SALU_CYCLE_1) | instskip(SKIP_1) | instid1(VALU_DEP_1)
	s_add_u32 s1, s8, s2
	s_addc_u32 s2, s9, s3
	v_lshlrev_b64 v[44:45], 3, v[37:38]
	s_delay_alu instid0(VALU_DEP_1) | instskip(NEXT) | instid1(VALU_DEP_2)
	v_add_co_u32 v44, vcc_lo, s1, v44
	v_add_co_ci_u32_e32 v45, vcc_lo, s2, v45, vcc_lo
	global_store_b64 v[44:45], v[13:14], off
.LBB447_406:
	s_or_b32 exec_lo, exec_lo, s0
	v_cmp_lt_u32_e32 vcc_lo, v35, v24
	s_or_b32 s1, s21, vcc_lo
	s_delay_alu instid0(SALU_CYCLE_1)
	s_and_saveexec_b32 s0, s1
	s_cbranch_execz .LBB447_409
; %bb.407:
	v_and_b32_e32 v26, 1, v43
	s_delay_alu instid0(VALU_DEP_1)
	v_cmp_eq_u32_e32 vcc_lo, 1, v26
	s_and_b32 exec_lo, exec_lo, vcc_lo
	s_cbranch_execz .LBB447_409
; %bb.408:
	v_mov_b32_e32 v36, 0
	s_lshl_b64 s[2:3], s[12:13], 3
	s_delay_alu instid0(SALU_CYCLE_1) | instskip(SKIP_1) | instid1(VALU_DEP_1)
	s_add_u32 s1, s8, s2
	s_addc_u32 s2, s9, s3
	v_lshlrev_b64 v[44:45], 3, v[35:36]
	s_delay_alu instid0(VALU_DEP_1) | instskip(NEXT) | instid1(VALU_DEP_2)
	v_add_co_u32 v44, vcc_lo, s1, v44
	v_add_co_ci_u32_e32 v45, vcc_lo, s2, v45, vcc_lo
	global_store_b64 v[44:45], v[15:16], off
.LBB447_409:
	s_or_b32 exec_lo, exec_lo, s0
	v_cmp_lt_u32_e32 vcc_lo, v33, v24
	s_or_b32 s1, s21, vcc_lo
	s_delay_alu instid0(SALU_CYCLE_1)
	;; [unrolled: 24-line block ×7, first 2 shown]
	s_and_saveexec_b32 s0, s1
	s_cbranch_execz .LBB447_427
; %bb.425:
	v_and_b32_e32 v24, 1, v40
	s_delay_alu instid0(VALU_DEP_1)
	v_cmp_eq_u32_e32 vcc_lo, 1, v24
	s_and_b32 exec_lo, exec_lo, vcc_lo
	s_cbranch_execz .LBB447_427
; %bb.426:
	v_mov_b32_e32 v24, 0
	s_lshl_b64 s[2:3], s[12:13], 3
	s_delay_alu instid0(SALU_CYCLE_1) | instskip(SKIP_1) | instid1(VALU_DEP_1)
	s_add_u32 s1, s8, s2
	s_addc_u32 s2, s9, s3
	v_lshlrev_b64 v[44:45], 3, v[23:24]
	s_delay_alu instid0(VALU_DEP_1) | instskip(NEXT) | instid1(VALU_DEP_2)
	v_add_co_u32 v44, vcc_lo, s1, v44
	v_add_co_ci_u32_e32 v45, vcc_lo, s2, v45, vcc_lo
	global_store_b64 v[44:45], v[3:4], off
.LBB447_427:
	s_or_b32 exec_lo, exec_lo, s0
	s_branch .LBB447_401
.LBB447_428:
	v_and_b32_e32 v17, 1, v17
	s_mov_b32 s0, exec_lo
	s_delay_alu instid0(VALU_DEP_1)
	v_cmpx_eq_u32_e32 1, v17
	s_cbranch_execz .LBB447_430
; %bb.429:
	v_sub_nc_u32_e32 v17, v37, v20
	s_delay_alu instid0(VALU_DEP_1)
	v_lshlrev_b32_e32 v17, 3, v17
	ds_store_b64 v17, v[13:14]
.LBB447_430:
	s_or_b32 exec_lo, exec_lo, s0
	v_and_b32_e32 v13, 1, v43
	s_mov_b32 s0, exec_lo
	s_delay_alu instid0(VALU_DEP_1)
	v_cmpx_eq_u32_e32 1, v13
	s_cbranch_execz .LBB447_432
; %bb.431:
	v_sub_nc_u32_e32 v13, v35, v20
	s_delay_alu instid0(VALU_DEP_1)
	v_lshlrev_b32_e32 v13, 3, v13
	ds_store_b64 v13, v[15:16]
.LBB447_432:
	s_or_b32 exec_lo, exec_lo, s0
	v_and_b32_e32 v13, 1, v42
	s_mov_b32 s0, exec_lo
	s_delay_alu instid0(VALU_DEP_1)
	v_cmpx_eq_u32_e32 1, v13
	s_cbranch_execz .LBB447_434
; %bb.433:
	v_sub_nc_u32_e32 v13, v33, v20
	s_delay_alu instid0(VALU_DEP_1)
	v_lshlrev_b32_e32 v13, 3, v13
	ds_store_b64 v13, v[9:10]
.LBB447_434:
	s_or_b32 exec_lo, exec_lo, s0
	v_and_b32_e32 v9, 1, v21
	s_mov_b32 s0, exec_lo
	s_delay_alu instid0(VALU_DEP_1)
	v_cmpx_eq_u32_e32 1, v9
	s_cbranch_execz .LBB447_436
; %bb.435:
	v_sub_nc_u32_e32 v9, v31, v20
	s_delay_alu instid0(VALU_DEP_1)
	v_lshlrev_b32_e32 v9, 3, v9
	ds_store_b64 v9, v[11:12]
.LBB447_436:
	s_or_b32 exec_lo, exec_lo, s0
	v_and_b32_e32 v9, 1, v18
	s_mov_b32 s0, exec_lo
	s_delay_alu instid0(VALU_DEP_1)
	v_cmpx_eq_u32_e32 1, v9
	s_cbranch_execz .LBB447_438
; %bb.437:
	v_sub_nc_u32_e32 v9, v29, v20
	s_delay_alu instid0(VALU_DEP_1)
	v_lshlrev_b32_e32 v9, 3, v9
	ds_store_b64 v9, v[5:6]
.LBB447_438:
	s_or_b32 exec_lo, exec_lo, s0
	v_and_b32_e32 v5, 1, v41
	s_mov_b32 s0, exec_lo
	s_delay_alu instid0(VALU_DEP_1)
	v_cmpx_eq_u32_e32 1, v5
	s_cbranch_execz .LBB447_440
; %bb.439:
	v_sub_nc_u32_e32 v5, v27, v20
	s_delay_alu instid0(VALU_DEP_1)
	v_lshlrev_b32_e32 v5, 3, v5
	ds_store_b64 v5, v[7:8]
.LBB447_440:
	s_or_b32 exec_lo, exec_lo, s0
	v_and_b32_e32 v5, 1, v22
	s_mov_b32 s0, exec_lo
	s_delay_alu instid0(VALU_DEP_1)
	v_cmpx_eq_u32_e32 1, v5
	s_cbranch_execz .LBB447_442
; %bb.441:
	v_sub_nc_u32_e32 v5, v25, v20
	s_delay_alu instid0(VALU_DEP_1)
	v_lshlrev_b32_e32 v5, 3, v5
	ds_store_b64 v5, v[1:2]
.LBB447_442:
	s_or_b32 exec_lo, exec_lo, s0
	v_and_b32_e32 v1, 1, v40
	s_mov_b32 s0, exec_lo
	s_delay_alu instid0(VALU_DEP_1)
	v_cmpx_eq_u32_e32 1, v1
	s_cbranch_execz .LBB447_444
; %bb.443:
	v_sub_nc_u32_e32 v1, v23, v20
	s_delay_alu instid0(VALU_DEP_1)
	v_lshlrev_b32_e32 v1, 3, v1
	ds_store_b64 v1, v[3:4]
.LBB447_444:
	s_or_b32 exec_lo, exec_lo, s0
	s_delay_alu instid0(SALU_CYCLE_1)
	s_mov_b32 s1, exec_lo
	s_waitcnt lgkmcnt(0)
	s_waitcnt_vscnt null, 0x0
	s_barrier
	buffer_gl0_inv
	v_cmpx_lt_u32_e64 v0, v19
	s_cbranch_execz .LBB447_447
; %bb.445:
	v_dual_mov_b32 v2, 0 :: v_dual_mov_b32 v1, v20
	s_lshl_b64 s[2:3], s[12:13], 3
	v_mov_b32_e32 v3, v0
	s_delay_alu instid0(VALU_DEP_2) | instskip(NEXT) | instid1(VALU_DEP_1)
	v_lshlrev_b64 v[1:2], 3, v[1:2]
	v_add_co_u32 v1, vcc_lo, s2, v1
	s_delay_alu instid0(VALU_DEP_2) | instskip(SKIP_1) | instid1(VALU_DEP_2)
	v_add_co_ci_u32_e32 v2, vcc_lo, s3, v2, vcc_lo
	s_mov_b32 s2, 0
	v_add_co_u32 v1, vcc_lo, s8, v1
	s_delay_alu instid0(VALU_DEP_2) | instskip(NEXT) | instid1(VALU_DEP_2)
	v_add_co_ci_u32_e32 v2, vcc_lo, s9, v2, vcc_lo
	v_add_co_u32 v1, vcc_lo, v1, v39
	s_delay_alu instid0(VALU_DEP_2)
	v_add_co_ci_u32_e32 v2, vcc_lo, 0, v2, vcc_lo
	.p2align	6
.LBB447_446:                            ; =>This Inner Loop Header: Depth=1
	ds_load_b64 v[4:5], v39
	v_add_nc_u32_e32 v3, 0x200, v3
	v_add_nc_u32_e32 v39, 0x1000, v39
	s_delay_alu instid0(VALU_DEP_2) | instskip(SKIP_4) | instid1(VALU_DEP_1)
	v_cmp_ge_u32_e32 vcc_lo, v3, v19
	s_or_b32 s2, vcc_lo, s2
	s_waitcnt lgkmcnt(0)
	global_store_b64 v[1:2], v[4:5], off
	v_add_co_u32 v1, s0, 0x1000, v1
	v_add_co_ci_u32_e64 v2, s0, 0, v2, s0
	s_and_not1_b32 exec_lo, exec_lo, s2
	s_cbranch_execnz .LBB447_446
.LBB447_447:
	s_or_b32 exec_lo, exec_lo, s1
	v_cmp_eq_u32_e32 vcc_lo, 0, v0
	s_and_b32 s0, vcc_lo, s14
	s_delay_alu instid0(SALU_CYCLE_1)
	s_and_saveexec_b32 s1, s0
	s_cbranch_execz .LBB447_402
.LBB447_448:
	v_add_co_u32 v0, s0, s12, v19
	s_delay_alu instid0(VALU_DEP_1) | instskip(SKIP_1) | instid1(VALU_DEP_3)
	v_add_co_ci_u32_e64 v1, null, s13, 0, s0
	v_mov_b32_e32 v2, 0
	v_add_co_u32 v0, vcc_lo, v0, v20
	s_delay_alu instid0(VALU_DEP_3)
	v_add_co_ci_u32_e32 v1, vcc_lo, 0, v1, vcc_lo
	global_store_b64 v2, v[0:1], s[16:17]
	s_nop 0
	s_sendmsg sendmsg(MSG_DEALLOC_VGPRS)
	s_endpgm
	.section	.rodata,"a",@progbits
	.p2align	6, 0x0
	.amdhsa_kernel _ZN7rocprim17ROCPRIM_400000_NS6detail17trampoline_kernelINS0_14default_configENS1_25partition_config_selectorILNS1_17partition_subalgoE8ElNS0_10empty_typeEbEEZZNS1_14partition_implILS5_8ELb0ES3_jPlPS6_PKS6_NS0_5tupleIJS9_S6_EEENSD_IJSA_SA_EEENS0_18inequality_wrapperIZN2at6native12_GLOBAL__N_124unique_dim_cuda_templateIiEESt5tupleIJNSH_6TensorESM_SM_EERKSM_lbbbEUlllE0_EEPmJS6_EEE10hipError_tPvRmT3_T4_T5_T6_T7_T9_mT8_P12ihipStream_tbDpT10_ENKUlT_T0_E_clISt17integral_constantIbLb0EES1C_EEDaS17_S18_EUlS17_E_NS1_11comp_targetILNS1_3genE9ELNS1_11target_archE1100ELNS1_3gpuE3ELNS1_3repE0EEENS1_30default_config_static_selectorELNS0_4arch9wavefront6targetE0EEEvT1_
		.amdhsa_group_segment_fixed_size 33804
		.amdhsa_private_segment_fixed_size 0
		.amdhsa_kernarg_size 120
		.amdhsa_user_sgpr_count 15
		.amdhsa_user_sgpr_dispatch_ptr 0
		.amdhsa_user_sgpr_queue_ptr 0
		.amdhsa_user_sgpr_kernarg_segment_ptr 1
		.amdhsa_user_sgpr_dispatch_id 0
		.amdhsa_user_sgpr_private_segment_size 0
		.amdhsa_wavefront_size32 1
		.amdhsa_uses_dynamic_stack 0
		.amdhsa_enable_private_segment 0
		.amdhsa_system_sgpr_workgroup_id_x 1
		.amdhsa_system_sgpr_workgroup_id_y 0
		.amdhsa_system_sgpr_workgroup_id_z 0
		.amdhsa_system_sgpr_workgroup_info 0
		.amdhsa_system_vgpr_workitem_id 0
		.amdhsa_next_free_vgpr 52
		.amdhsa_next_free_sgpr 36
		.amdhsa_reserve_vcc 1
		.amdhsa_float_round_mode_32 0
		.amdhsa_float_round_mode_16_64 0
		.amdhsa_float_denorm_mode_32 3
		.amdhsa_float_denorm_mode_16_64 3
		.amdhsa_dx10_clamp 1
		.amdhsa_ieee_mode 1
		.amdhsa_fp16_overflow 0
		.amdhsa_workgroup_processor_mode 1
		.amdhsa_memory_ordered 1
		.amdhsa_forward_progress 0
		.amdhsa_shared_vgpr_count 0
		.amdhsa_exception_fp_ieee_invalid_op 0
		.amdhsa_exception_fp_denorm_src 0
		.amdhsa_exception_fp_ieee_div_zero 0
		.amdhsa_exception_fp_ieee_overflow 0
		.amdhsa_exception_fp_ieee_underflow 0
		.amdhsa_exception_fp_ieee_inexact 0
		.amdhsa_exception_int_div_zero 0
	.end_amdhsa_kernel
	.section	.text._ZN7rocprim17ROCPRIM_400000_NS6detail17trampoline_kernelINS0_14default_configENS1_25partition_config_selectorILNS1_17partition_subalgoE8ElNS0_10empty_typeEbEEZZNS1_14partition_implILS5_8ELb0ES3_jPlPS6_PKS6_NS0_5tupleIJS9_S6_EEENSD_IJSA_SA_EEENS0_18inequality_wrapperIZN2at6native12_GLOBAL__N_124unique_dim_cuda_templateIiEESt5tupleIJNSH_6TensorESM_SM_EERKSM_lbbbEUlllE0_EEPmJS6_EEE10hipError_tPvRmT3_T4_T5_T6_T7_T9_mT8_P12ihipStream_tbDpT10_ENKUlT_T0_E_clISt17integral_constantIbLb0EES1C_EEDaS17_S18_EUlS17_E_NS1_11comp_targetILNS1_3genE9ELNS1_11target_archE1100ELNS1_3gpuE3ELNS1_3repE0EEENS1_30default_config_static_selectorELNS0_4arch9wavefront6targetE0EEEvT1_,"axG",@progbits,_ZN7rocprim17ROCPRIM_400000_NS6detail17trampoline_kernelINS0_14default_configENS1_25partition_config_selectorILNS1_17partition_subalgoE8ElNS0_10empty_typeEbEEZZNS1_14partition_implILS5_8ELb0ES3_jPlPS6_PKS6_NS0_5tupleIJS9_S6_EEENSD_IJSA_SA_EEENS0_18inequality_wrapperIZN2at6native12_GLOBAL__N_124unique_dim_cuda_templateIiEESt5tupleIJNSH_6TensorESM_SM_EERKSM_lbbbEUlllE0_EEPmJS6_EEE10hipError_tPvRmT3_T4_T5_T6_T7_T9_mT8_P12ihipStream_tbDpT10_ENKUlT_T0_E_clISt17integral_constantIbLb0EES1C_EEDaS17_S18_EUlS17_E_NS1_11comp_targetILNS1_3genE9ELNS1_11target_archE1100ELNS1_3gpuE3ELNS1_3repE0EEENS1_30default_config_static_selectorELNS0_4arch9wavefront6targetE0EEEvT1_,comdat
.Lfunc_end447:
	.size	_ZN7rocprim17ROCPRIM_400000_NS6detail17trampoline_kernelINS0_14default_configENS1_25partition_config_selectorILNS1_17partition_subalgoE8ElNS0_10empty_typeEbEEZZNS1_14partition_implILS5_8ELb0ES3_jPlPS6_PKS6_NS0_5tupleIJS9_S6_EEENSD_IJSA_SA_EEENS0_18inequality_wrapperIZN2at6native12_GLOBAL__N_124unique_dim_cuda_templateIiEESt5tupleIJNSH_6TensorESM_SM_EERKSM_lbbbEUlllE0_EEPmJS6_EEE10hipError_tPvRmT3_T4_T5_T6_T7_T9_mT8_P12ihipStream_tbDpT10_ENKUlT_T0_E_clISt17integral_constantIbLb0EES1C_EEDaS17_S18_EUlS17_E_NS1_11comp_targetILNS1_3genE9ELNS1_11target_archE1100ELNS1_3gpuE3ELNS1_3repE0EEENS1_30default_config_static_selectorELNS0_4arch9wavefront6targetE0EEEvT1_, .Lfunc_end447-_ZN7rocprim17ROCPRIM_400000_NS6detail17trampoline_kernelINS0_14default_configENS1_25partition_config_selectorILNS1_17partition_subalgoE8ElNS0_10empty_typeEbEEZZNS1_14partition_implILS5_8ELb0ES3_jPlPS6_PKS6_NS0_5tupleIJS9_S6_EEENSD_IJSA_SA_EEENS0_18inequality_wrapperIZN2at6native12_GLOBAL__N_124unique_dim_cuda_templateIiEESt5tupleIJNSH_6TensorESM_SM_EERKSM_lbbbEUlllE0_EEPmJS6_EEE10hipError_tPvRmT3_T4_T5_T6_T7_T9_mT8_P12ihipStream_tbDpT10_ENKUlT_T0_E_clISt17integral_constantIbLb0EES1C_EEDaS17_S18_EUlS17_E_NS1_11comp_targetILNS1_3genE9ELNS1_11target_archE1100ELNS1_3gpuE3ELNS1_3repE0EEENS1_30default_config_static_selectorELNS0_4arch9wavefront6targetE0EEEvT1_
                                        ; -- End function
	.section	.AMDGPU.csdata,"",@progbits
; Kernel info:
; codeLenInByte = 18232
; NumSgprs: 38
; NumVgprs: 52
; ScratchSize: 0
; MemoryBound: 0
; FloatMode: 240
; IeeeMode: 1
; LDSByteSize: 33804 bytes/workgroup (compile time only)
; SGPRBlocks: 4
; VGPRBlocks: 6
; NumSGPRsForWavesPerEU: 38
; NumVGPRsForWavesPerEU: 52
; Occupancy: 12
; WaveLimiterHint : 1
; COMPUTE_PGM_RSRC2:SCRATCH_EN: 0
; COMPUTE_PGM_RSRC2:USER_SGPR: 15
; COMPUTE_PGM_RSRC2:TRAP_HANDLER: 0
; COMPUTE_PGM_RSRC2:TGID_X_EN: 1
; COMPUTE_PGM_RSRC2:TGID_Y_EN: 0
; COMPUTE_PGM_RSRC2:TGID_Z_EN: 0
; COMPUTE_PGM_RSRC2:TIDIG_COMP_CNT: 0
	.section	.text._ZN7rocprim17ROCPRIM_400000_NS6detail17trampoline_kernelINS0_14default_configENS1_25partition_config_selectorILNS1_17partition_subalgoE8ElNS0_10empty_typeEbEEZZNS1_14partition_implILS5_8ELb0ES3_jPlPS6_PKS6_NS0_5tupleIJS9_S6_EEENSD_IJSA_SA_EEENS0_18inequality_wrapperIZN2at6native12_GLOBAL__N_124unique_dim_cuda_templateIiEESt5tupleIJNSH_6TensorESM_SM_EERKSM_lbbbEUlllE0_EEPmJS6_EEE10hipError_tPvRmT3_T4_T5_T6_T7_T9_mT8_P12ihipStream_tbDpT10_ENKUlT_T0_E_clISt17integral_constantIbLb0EES1C_EEDaS17_S18_EUlS17_E_NS1_11comp_targetILNS1_3genE8ELNS1_11target_archE1030ELNS1_3gpuE2ELNS1_3repE0EEENS1_30default_config_static_selectorELNS0_4arch9wavefront6targetE0EEEvT1_,"axG",@progbits,_ZN7rocprim17ROCPRIM_400000_NS6detail17trampoline_kernelINS0_14default_configENS1_25partition_config_selectorILNS1_17partition_subalgoE8ElNS0_10empty_typeEbEEZZNS1_14partition_implILS5_8ELb0ES3_jPlPS6_PKS6_NS0_5tupleIJS9_S6_EEENSD_IJSA_SA_EEENS0_18inequality_wrapperIZN2at6native12_GLOBAL__N_124unique_dim_cuda_templateIiEESt5tupleIJNSH_6TensorESM_SM_EERKSM_lbbbEUlllE0_EEPmJS6_EEE10hipError_tPvRmT3_T4_T5_T6_T7_T9_mT8_P12ihipStream_tbDpT10_ENKUlT_T0_E_clISt17integral_constantIbLb0EES1C_EEDaS17_S18_EUlS17_E_NS1_11comp_targetILNS1_3genE8ELNS1_11target_archE1030ELNS1_3gpuE2ELNS1_3repE0EEENS1_30default_config_static_selectorELNS0_4arch9wavefront6targetE0EEEvT1_,comdat
	.globl	_ZN7rocprim17ROCPRIM_400000_NS6detail17trampoline_kernelINS0_14default_configENS1_25partition_config_selectorILNS1_17partition_subalgoE8ElNS0_10empty_typeEbEEZZNS1_14partition_implILS5_8ELb0ES3_jPlPS6_PKS6_NS0_5tupleIJS9_S6_EEENSD_IJSA_SA_EEENS0_18inequality_wrapperIZN2at6native12_GLOBAL__N_124unique_dim_cuda_templateIiEESt5tupleIJNSH_6TensorESM_SM_EERKSM_lbbbEUlllE0_EEPmJS6_EEE10hipError_tPvRmT3_T4_T5_T6_T7_T9_mT8_P12ihipStream_tbDpT10_ENKUlT_T0_E_clISt17integral_constantIbLb0EES1C_EEDaS17_S18_EUlS17_E_NS1_11comp_targetILNS1_3genE8ELNS1_11target_archE1030ELNS1_3gpuE2ELNS1_3repE0EEENS1_30default_config_static_selectorELNS0_4arch9wavefront6targetE0EEEvT1_ ; -- Begin function _ZN7rocprim17ROCPRIM_400000_NS6detail17trampoline_kernelINS0_14default_configENS1_25partition_config_selectorILNS1_17partition_subalgoE8ElNS0_10empty_typeEbEEZZNS1_14partition_implILS5_8ELb0ES3_jPlPS6_PKS6_NS0_5tupleIJS9_S6_EEENSD_IJSA_SA_EEENS0_18inequality_wrapperIZN2at6native12_GLOBAL__N_124unique_dim_cuda_templateIiEESt5tupleIJNSH_6TensorESM_SM_EERKSM_lbbbEUlllE0_EEPmJS6_EEE10hipError_tPvRmT3_T4_T5_T6_T7_T9_mT8_P12ihipStream_tbDpT10_ENKUlT_T0_E_clISt17integral_constantIbLb0EES1C_EEDaS17_S18_EUlS17_E_NS1_11comp_targetILNS1_3genE8ELNS1_11target_archE1030ELNS1_3gpuE2ELNS1_3repE0EEENS1_30default_config_static_selectorELNS0_4arch9wavefront6targetE0EEEvT1_
	.p2align	8
	.type	_ZN7rocprim17ROCPRIM_400000_NS6detail17trampoline_kernelINS0_14default_configENS1_25partition_config_selectorILNS1_17partition_subalgoE8ElNS0_10empty_typeEbEEZZNS1_14partition_implILS5_8ELb0ES3_jPlPS6_PKS6_NS0_5tupleIJS9_S6_EEENSD_IJSA_SA_EEENS0_18inequality_wrapperIZN2at6native12_GLOBAL__N_124unique_dim_cuda_templateIiEESt5tupleIJNSH_6TensorESM_SM_EERKSM_lbbbEUlllE0_EEPmJS6_EEE10hipError_tPvRmT3_T4_T5_T6_T7_T9_mT8_P12ihipStream_tbDpT10_ENKUlT_T0_E_clISt17integral_constantIbLb0EES1C_EEDaS17_S18_EUlS17_E_NS1_11comp_targetILNS1_3genE8ELNS1_11target_archE1030ELNS1_3gpuE2ELNS1_3repE0EEENS1_30default_config_static_selectorELNS0_4arch9wavefront6targetE0EEEvT1_,@function
_ZN7rocprim17ROCPRIM_400000_NS6detail17trampoline_kernelINS0_14default_configENS1_25partition_config_selectorILNS1_17partition_subalgoE8ElNS0_10empty_typeEbEEZZNS1_14partition_implILS5_8ELb0ES3_jPlPS6_PKS6_NS0_5tupleIJS9_S6_EEENSD_IJSA_SA_EEENS0_18inequality_wrapperIZN2at6native12_GLOBAL__N_124unique_dim_cuda_templateIiEESt5tupleIJNSH_6TensorESM_SM_EERKSM_lbbbEUlllE0_EEPmJS6_EEE10hipError_tPvRmT3_T4_T5_T6_T7_T9_mT8_P12ihipStream_tbDpT10_ENKUlT_T0_E_clISt17integral_constantIbLb0EES1C_EEDaS17_S18_EUlS17_E_NS1_11comp_targetILNS1_3genE8ELNS1_11target_archE1030ELNS1_3gpuE2ELNS1_3repE0EEENS1_30default_config_static_selectorELNS0_4arch9wavefront6targetE0EEEvT1_: ; @_ZN7rocprim17ROCPRIM_400000_NS6detail17trampoline_kernelINS0_14default_configENS1_25partition_config_selectorILNS1_17partition_subalgoE8ElNS0_10empty_typeEbEEZZNS1_14partition_implILS5_8ELb0ES3_jPlPS6_PKS6_NS0_5tupleIJS9_S6_EEENSD_IJSA_SA_EEENS0_18inequality_wrapperIZN2at6native12_GLOBAL__N_124unique_dim_cuda_templateIiEESt5tupleIJNSH_6TensorESM_SM_EERKSM_lbbbEUlllE0_EEPmJS6_EEE10hipError_tPvRmT3_T4_T5_T6_T7_T9_mT8_P12ihipStream_tbDpT10_ENKUlT_T0_E_clISt17integral_constantIbLb0EES1C_EEDaS17_S18_EUlS17_E_NS1_11comp_targetILNS1_3genE8ELNS1_11target_archE1030ELNS1_3gpuE2ELNS1_3repE0EEENS1_30default_config_static_selectorELNS0_4arch9wavefront6targetE0EEEvT1_
; %bb.0:
	.section	.rodata,"a",@progbits
	.p2align	6, 0x0
	.amdhsa_kernel _ZN7rocprim17ROCPRIM_400000_NS6detail17trampoline_kernelINS0_14default_configENS1_25partition_config_selectorILNS1_17partition_subalgoE8ElNS0_10empty_typeEbEEZZNS1_14partition_implILS5_8ELb0ES3_jPlPS6_PKS6_NS0_5tupleIJS9_S6_EEENSD_IJSA_SA_EEENS0_18inequality_wrapperIZN2at6native12_GLOBAL__N_124unique_dim_cuda_templateIiEESt5tupleIJNSH_6TensorESM_SM_EERKSM_lbbbEUlllE0_EEPmJS6_EEE10hipError_tPvRmT3_T4_T5_T6_T7_T9_mT8_P12ihipStream_tbDpT10_ENKUlT_T0_E_clISt17integral_constantIbLb0EES1C_EEDaS17_S18_EUlS17_E_NS1_11comp_targetILNS1_3genE8ELNS1_11target_archE1030ELNS1_3gpuE2ELNS1_3repE0EEENS1_30default_config_static_selectorELNS0_4arch9wavefront6targetE0EEEvT1_
		.amdhsa_group_segment_fixed_size 0
		.amdhsa_private_segment_fixed_size 0
		.amdhsa_kernarg_size 120
		.amdhsa_user_sgpr_count 15
		.amdhsa_user_sgpr_dispatch_ptr 0
		.amdhsa_user_sgpr_queue_ptr 0
		.amdhsa_user_sgpr_kernarg_segment_ptr 1
		.amdhsa_user_sgpr_dispatch_id 0
		.amdhsa_user_sgpr_private_segment_size 0
		.amdhsa_wavefront_size32 1
		.amdhsa_uses_dynamic_stack 0
		.amdhsa_enable_private_segment 0
		.amdhsa_system_sgpr_workgroup_id_x 1
		.amdhsa_system_sgpr_workgroup_id_y 0
		.amdhsa_system_sgpr_workgroup_id_z 0
		.amdhsa_system_sgpr_workgroup_info 0
		.amdhsa_system_vgpr_workitem_id 0
		.amdhsa_next_free_vgpr 1
		.amdhsa_next_free_sgpr 1
		.amdhsa_reserve_vcc 0
		.amdhsa_float_round_mode_32 0
		.amdhsa_float_round_mode_16_64 0
		.amdhsa_float_denorm_mode_32 3
		.amdhsa_float_denorm_mode_16_64 3
		.amdhsa_dx10_clamp 1
		.amdhsa_ieee_mode 1
		.amdhsa_fp16_overflow 0
		.amdhsa_workgroup_processor_mode 1
		.amdhsa_memory_ordered 1
		.amdhsa_forward_progress 0
		.amdhsa_shared_vgpr_count 0
		.amdhsa_exception_fp_ieee_invalid_op 0
		.amdhsa_exception_fp_denorm_src 0
		.amdhsa_exception_fp_ieee_div_zero 0
		.amdhsa_exception_fp_ieee_overflow 0
		.amdhsa_exception_fp_ieee_underflow 0
		.amdhsa_exception_fp_ieee_inexact 0
		.amdhsa_exception_int_div_zero 0
	.end_amdhsa_kernel
	.section	.text._ZN7rocprim17ROCPRIM_400000_NS6detail17trampoline_kernelINS0_14default_configENS1_25partition_config_selectorILNS1_17partition_subalgoE8ElNS0_10empty_typeEbEEZZNS1_14partition_implILS5_8ELb0ES3_jPlPS6_PKS6_NS0_5tupleIJS9_S6_EEENSD_IJSA_SA_EEENS0_18inequality_wrapperIZN2at6native12_GLOBAL__N_124unique_dim_cuda_templateIiEESt5tupleIJNSH_6TensorESM_SM_EERKSM_lbbbEUlllE0_EEPmJS6_EEE10hipError_tPvRmT3_T4_T5_T6_T7_T9_mT8_P12ihipStream_tbDpT10_ENKUlT_T0_E_clISt17integral_constantIbLb0EES1C_EEDaS17_S18_EUlS17_E_NS1_11comp_targetILNS1_3genE8ELNS1_11target_archE1030ELNS1_3gpuE2ELNS1_3repE0EEENS1_30default_config_static_selectorELNS0_4arch9wavefront6targetE0EEEvT1_,"axG",@progbits,_ZN7rocprim17ROCPRIM_400000_NS6detail17trampoline_kernelINS0_14default_configENS1_25partition_config_selectorILNS1_17partition_subalgoE8ElNS0_10empty_typeEbEEZZNS1_14partition_implILS5_8ELb0ES3_jPlPS6_PKS6_NS0_5tupleIJS9_S6_EEENSD_IJSA_SA_EEENS0_18inequality_wrapperIZN2at6native12_GLOBAL__N_124unique_dim_cuda_templateIiEESt5tupleIJNSH_6TensorESM_SM_EERKSM_lbbbEUlllE0_EEPmJS6_EEE10hipError_tPvRmT3_T4_T5_T6_T7_T9_mT8_P12ihipStream_tbDpT10_ENKUlT_T0_E_clISt17integral_constantIbLb0EES1C_EEDaS17_S18_EUlS17_E_NS1_11comp_targetILNS1_3genE8ELNS1_11target_archE1030ELNS1_3gpuE2ELNS1_3repE0EEENS1_30default_config_static_selectorELNS0_4arch9wavefront6targetE0EEEvT1_,comdat
.Lfunc_end448:
	.size	_ZN7rocprim17ROCPRIM_400000_NS6detail17trampoline_kernelINS0_14default_configENS1_25partition_config_selectorILNS1_17partition_subalgoE8ElNS0_10empty_typeEbEEZZNS1_14partition_implILS5_8ELb0ES3_jPlPS6_PKS6_NS0_5tupleIJS9_S6_EEENSD_IJSA_SA_EEENS0_18inequality_wrapperIZN2at6native12_GLOBAL__N_124unique_dim_cuda_templateIiEESt5tupleIJNSH_6TensorESM_SM_EERKSM_lbbbEUlllE0_EEPmJS6_EEE10hipError_tPvRmT3_T4_T5_T6_T7_T9_mT8_P12ihipStream_tbDpT10_ENKUlT_T0_E_clISt17integral_constantIbLb0EES1C_EEDaS17_S18_EUlS17_E_NS1_11comp_targetILNS1_3genE8ELNS1_11target_archE1030ELNS1_3gpuE2ELNS1_3repE0EEENS1_30default_config_static_selectorELNS0_4arch9wavefront6targetE0EEEvT1_, .Lfunc_end448-_ZN7rocprim17ROCPRIM_400000_NS6detail17trampoline_kernelINS0_14default_configENS1_25partition_config_selectorILNS1_17partition_subalgoE8ElNS0_10empty_typeEbEEZZNS1_14partition_implILS5_8ELb0ES3_jPlPS6_PKS6_NS0_5tupleIJS9_S6_EEENSD_IJSA_SA_EEENS0_18inequality_wrapperIZN2at6native12_GLOBAL__N_124unique_dim_cuda_templateIiEESt5tupleIJNSH_6TensorESM_SM_EERKSM_lbbbEUlllE0_EEPmJS6_EEE10hipError_tPvRmT3_T4_T5_T6_T7_T9_mT8_P12ihipStream_tbDpT10_ENKUlT_T0_E_clISt17integral_constantIbLb0EES1C_EEDaS17_S18_EUlS17_E_NS1_11comp_targetILNS1_3genE8ELNS1_11target_archE1030ELNS1_3gpuE2ELNS1_3repE0EEENS1_30default_config_static_selectorELNS0_4arch9wavefront6targetE0EEEvT1_
                                        ; -- End function
	.section	.AMDGPU.csdata,"",@progbits
; Kernel info:
; codeLenInByte = 0
; NumSgprs: 0
; NumVgprs: 0
; ScratchSize: 0
; MemoryBound: 0
; FloatMode: 240
; IeeeMode: 1
; LDSByteSize: 0 bytes/workgroup (compile time only)
; SGPRBlocks: 0
; VGPRBlocks: 0
; NumSGPRsForWavesPerEU: 1
; NumVGPRsForWavesPerEU: 1
; Occupancy: 16
; WaveLimiterHint : 0
; COMPUTE_PGM_RSRC2:SCRATCH_EN: 0
; COMPUTE_PGM_RSRC2:USER_SGPR: 15
; COMPUTE_PGM_RSRC2:TRAP_HANDLER: 0
; COMPUTE_PGM_RSRC2:TGID_X_EN: 1
; COMPUTE_PGM_RSRC2:TGID_Y_EN: 0
; COMPUTE_PGM_RSRC2:TGID_Z_EN: 0
; COMPUTE_PGM_RSRC2:TIDIG_COMP_CNT: 0
	.section	.text._ZN7rocprim17ROCPRIM_400000_NS6detail17trampoline_kernelINS0_14default_configENS1_25partition_config_selectorILNS1_17partition_subalgoE8ElNS0_10empty_typeEbEEZZNS1_14partition_implILS5_8ELb0ES3_jPlPS6_PKS6_NS0_5tupleIJS9_S6_EEENSD_IJSA_SA_EEENS0_18inequality_wrapperIZN2at6native12_GLOBAL__N_124unique_dim_cuda_templateIiEESt5tupleIJNSH_6TensorESM_SM_EERKSM_lbbbEUlllE0_EEPmJS6_EEE10hipError_tPvRmT3_T4_T5_T6_T7_T9_mT8_P12ihipStream_tbDpT10_ENKUlT_T0_E_clISt17integral_constantIbLb1EES1C_EEDaS17_S18_EUlS17_E_NS1_11comp_targetILNS1_3genE0ELNS1_11target_archE4294967295ELNS1_3gpuE0ELNS1_3repE0EEENS1_30default_config_static_selectorELNS0_4arch9wavefront6targetE0EEEvT1_,"axG",@progbits,_ZN7rocprim17ROCPRIM_400000_NS6detail17trampoline_kernelINS0_14default_configENS1_25partition_config_selectorILNS1_17partition_subalgoE8ElNS0_10empty_typeEbEEZZNS1_14partition_implILS5_8ELb0ES3_jPlPS6_PKS6_NS0_5tupleIJS9_S6_EEENSD_IJSA_SA_EEENS0_18inequality_wrapperIZN2at6native12_GLOBAL__N_124unique_dim_cuda_templateIiEESt5tupleIJNSH_6TensorESM_SM_EERKSM_lbbbEUlllE0_EEPmJS6_EEE10hipError_tPvRmT3_T4_T5_T6_T7_T9_mT8_P12ihipStream_tbDpT10_ENKUlT_T0_E_clISt17integral_constantIbLb1EES1C_EEDaS17_S18_EUlS17_E_NS1_11comp_targetILNS1_3genE0ELNS1_11target_archE4294967295ELNS1_3gpuE0ELNS1_3repE0EEENS1_30default_config_static_selectorELNS0_4arch9wavefront6targetE0EEEvT1_,comdat
	.globl	_ZN7rocprim17ROCPRIM_400000_NS6detail17trampoline_kernelINS0_14default_configENS1_25partition_config_selectorILNS1_17partition_subalgoE8ElNS0_10empty_typeEbEEZZNS1_14partition_implILS5_8ELb0ES3_jPlPS6_PKS6_NS0_5tupleIJS9_S6_EEENSD_IJSA_SA_EEENS0_18inequality_wrapperIZN2at6native12_GLOBAL__N_124unique_dim_cuda_templateIiEESt5tupleIJNSH_6TensorESM_SM_EERKSM_lbbbEUlllE0_EEPmJS6_EEE10hipError_tPvRmT3_T4_T5_T6_T7_T9_mT8_P12ihipStream_tbDpT10_ENKUlT_T0_E_clISt17integral_constantIbLb1EES1C_EEDaS17_S18_EUlS17_E_NS1_11comp_targetILNS1_3genE0ELNS1_11target_archE4294967295ELNS1_3gpuE0ELNS1_3repE0EEENS1_30default_config_static_selectorELNS0_4arch9wavefront6targetE0EEEvT1_ ; -- Begin function _ZN7rocprim17ROCPRIM_400000_NS6detail17trampoline_kernelINS0_14default_configENS1_25partition_config_selectorILNS1_17partition_subalgoE8ElNS0_10empty_typeEbEEZZNS1_14partition_implILS5_8ELb0ES3_jPlPS6_PKS6_NS0_5tupleIJS9_S6_EEENSD_IJSA_SA_EEENS0_18inequality_wrapperIZN2at6native12_GLOBAL__N_124unique_dim_cuda_templateIiEESt5tupleIJNSH_6TensorESM_SM_EERKSM_lbbbEUlllE0_EEPmJS6_EEE10hipError_tPvRmT3_T4_T5_T6_T7_T9_mT8_P12ihipStream_tbDpT10_ENKUlT_T0_E_clISt17integral_constantIbLb1EES1C_EEDaS17_S18_EUlS17_E_NS1_11comp_targetILNS1_3genE0ELNS1_11target_archE4294967295ELNS1_3gpuE0ELNS1_3repE0EEENS1_30default_config_static_selectorELNS0_4arch9wavefront6targetE0EEEvT1_
	.p2align	8
	.type	_ZN7rocprim17ROCPRIM_400000_NS6detail17trampoline_kernelINS0_14default_configENS1_25partition_config_selectorILNS1_17partition_subalgoE8ElNS0_10empty_typeEbEEZZNS1_14partition_implILS5_8ELb0ES3_jPlPS6_PKS6_NS0_5tupleIJS9_S6_EEENSD_IJSA_SA_EEENS0_18inequality_wrapperIZN2at6native12_GLOBAL__N_124unique_dim_cuda_templateIiEESt5tupleIJNSH_6TensorESM_SM_EERKSM_lbbbEUlllE0_EEPmJS6_EEE10hipError_tPvRmT3_T4_T5_T6_T7_T9_mT8_P12ihipStream_tbDpT10_ENKUlT_T0_E_clISt17integral_constantIbLb1EES1C_EEDaS17_S18_EUlS17_E_NS1_11comp_targetILNS1_3genE0ELNS1_11target_archE4294967295ELNS1_3gpuE0ELNS1_3repE0EEENS1_30default_config_static_selectorELNS0_4arch9wavefront6targetE0EEEvT1_,@function
_ZN7rocprim17ROCPRIM_400000_NS6detail17trampoline_kernelINS0_14default_configENS1_25partition_config_selectorILNS1_17partition_subalgoE8ElNS0_10empty_typeEbEEZZNS1_14partition_implILS5_8ELb0ES3_jPlPS6_PKS6_NS0_5tupleIJS9_S6_EEENSD_IJSA_SA_EEENS0_18inequality_wrapperIZN2at6native12_GLOBAL__N_124unique_dim_cuda_templateIiEESt5tupleIJNSH_6TensorESM_SM_EERKSM_lbbbEUlllE0_EEPmJS6_EEE10hipError_tPvRmT3_T4_T5_T6_T7_T9_mT8_P12ihipStream_tbDpT10_ENKUlT_T0_E_clISt17integral_constantIbLb1EES1C_EEDaS17_S18_EUlS17_E_NS1_11comp_targetILNS1_3genE0ELNS1_11target_archE4294967295ELNS1_3gpuE0ELNS1_3repE0EEENS1_30default_config_static_selectorELNS0_4arch9wavefront6targetE0EEEvT1_: ; @_ZN7rocprim17ROCPRIM_400000_NS6detail17trampoline_kernelINS0_14default_configENS1_25partition_config_selectorILNS1_17partition_subalgoE8ElNS0_10empty_typeEbEEZZNS1_14partition_implILS5_8ELb0ES3_jPlPS6_PKS6_NS0_5tupleIJS9_S6_EEENSD_IJSA_SA_EEENS0_18inequality_wrapperIZN2at6native12_GLOBAL__N_124unique_dim_cuda_templateIiEESt5tupleIJNSH_6TensorESM_SM_EERKSM_lbbbEUlllE0_EEPmJS6_EEE10hipError_tPvRmT3_T4_T5_T6_T7_T9_mT8_P12ihipStream_tbDpT10_ENKUlT_T0_E_clISt17integral_constantIbLb1EES1C_EEDaS17_S18_EUlS17_E_NS1_11comp_targetILNS1_3genE0ELNS1_11target_archE4294967295ELNS1_3gpuE0ELNS1_3repE0EEENS1_30default_config_static_selectorELNS0_4arch9wavefront6targetE0EEEvT1_
; %bb.0:
	.section	.rodata,"a",@progbits
	.p2align	6, 0x0
	.amdhsa_kernel _ZN7rocprim17ROCPRIM_400000_NS6detail17trampoline_kernelINS0_14default_configENS1_25partition_config_selectorILNS1_17partition_subalgoE8ElNS0_10empty_typeEbEEZZNS1_14partition_implILS5_8ELb0ES3_jPlPS6_PKS6_NS0_5tupleIJS9_S6_EEENSD_IJSA_SA_EEENS0_18inequality_wrapperIZN2at6native12_GLOBAL__N_124unique_dim_cuda_templateIiEESt5tupleIJNSH_6TensorESM_SM_EERKSM_lbbbEUlllE0_EEPmJS6_EEE10hipError_tPvRmT3_T4_T5_T6_T7_T9_mT8_P12ihipStream_tbDpT10_ENKUlT_T0_E_clISt17integral_constantIbLb1EES1C_EEDaS17_S18_EUlS17_E_NS1_11comp_targetILNS1_3genE0ELNS1_11target_archE4294967295ELNS1_3gpuE0ELNS1_3repE0EEENS1_30default_config_static_selectorELNS0_4arch9wavefront6targetE0EEEvT1_
		.amdhsa_group_segment_fixed_size 0
		.amdhsa_private_segment_fixed_size 0
		.amdhsa_kernarg_size 136
		.amdhsa_user_sgpr_count 15
		.amdhsa_user_sgpr_dispatch_ptr 0
		.amdhsa_user_sgpr_queue_ptr 0
		.amdhsa_user_sgpr_kernarg_segment_ptr 1
		.amdhsa_user_sgpr_dispatch_id 0
		.amdhsa_user_sgpr_private_segment_size 0
		.amdhsa_wavefront_size32 1
		.amdhsa_uses_dynamic_stack 0
		.amdhsa_enable_private_segment 0
		.amdhsa_system_sgpr_workgroup_id_x 1
		.amdhsa_system_sgpr_workgroup_id_y 0
		.amdhsa_system_sgpr_workgroup_id_z 0
		.amdhsa_system_sgpr_workgroup_info 0
		.amdhsa_system_vgpr_workitem_id 0
		.amdhsa_next_free_vgpr 1
		.amdhsa_next_free_sgpr 1
		.amdhsa_reserve_vcc 0
		.amdhsa_float_round_mode_32 0
		.amdhsa_float_round_mode_16_64 0
		.amdhsa_float_denorm_mode_32 3
		.amdhsa_float_denorm_mode_16_64 3
		.amdhsa_dx10_clamp 1
		.amdhsa_ieee_mode 1
		.amdhsa_fp16_overflow 0
		.amdhsa_workgroup_processor_mode 1
		.amdhsa_memory_ordered 1
		.amdhsa_forward_progress 0
		.amdhsa_shared_vgpr_count 0
		.amdhsa_exception_fp_ieee_invalid_op 0
		.amdhsa_exception_fp_denorm_src 0
		.amdhsa_exception_fp_ieee_div_zero 0
		.amdhsa_exception_fp_ieee_overflow 0
		.amdhsa_exception_fp_ieee_underflow 0
		.amdhsa_exception_fp_ieee_inexact 0
		.amdhsa_exception_int_div_zero 0
	.end_amdhsa_kernel
	.section	.text._ZN7rocprim17ROCPRIM_400000_NS6detail17trampoline_kernelINS0_14default_configENS1_25partition_config_selectorILNS1_17partition_subalgoE8ElNS0_10empty_typeEbEEZZNS1_14partition_implILS5_8ELb0ES3_jPlPS6_PKS6_NS0_5tupleIJS9_S6_EEENSD_IJSA_SA_EEENS0_18inequality_wrapperIZN2at6native12_GLOBAL__N_124unique_dim_cuda_templateIiEESt5tupleIJNSH_6TensorESM_SM_EERKSM_lbbbEUlllE0_EEPmJS6_EEE10hipError_tPvRmT3_T4_T5_T6_T7_T9_mT8_P12ihipStream_tbDpT10_ENKUlT_T0_E_clISt17integral_constantIbLb1EES1C_EEDaS17_S18_EUlS17_E_NS1_11comp_targetILNS1_3genE0ELNS1_11target_archE4294967295ELNS1_3gpuE0ELNS1_3repE0EEENS1_30default_config_static_selectorELNS0_4arch9wavefront6targetE0EEEvT1_,"axG",@progbits,_ZN7rocprim17ROCPRIM_400000_NS6detail17trampoline_kernelINS0_14default_configENS1_25partition_config_selectorILNS1_17partition_subalgoE8ElNS0_10empty_typeEbEEZZNS1_14partition_implILS5_8ELb0ES3_jPlPS6_PKS6_NS0_5tupleIJS9_S6_EEENSD_IJSA_SA_EEENS0_18inequality_wrapperIZN2at6native12_GLOBAL__N_124unique_dim_cuda_templateIiEESt5tupleIJNSH_6TensorESM_SM_EERKSM_lbbbEUlllE0_EEPmJS6_EEE10hipError_tPvRmT3_T4_T5_T6_T7_T9_mT8_P12ihipStream_tbDpT10_ENKUlT_T0_E_clISt17integral_constantIbLb1EES1C_EEDaS17_S18_EUlS17_E_NS1_11comp_targetILNS1_3genE0ELNS1_11target_archE4294967295ELNS1_3gpuE0ELNS1_3repE0EEENS1_30default_config_static_selectorELNS0_4arch9wavefront6targetE0EEEvT1_,comdat
.Lfunc_end449:
	.size	_ZN7rocprim17ROCPRIM_400000_NS6detail17trampoline_kernelINS0_14default_configENS1_25partition_config_selectorILNS1_17partition_subalgoE8ElNS0_10empty_typeEbEEZZNS1_14partition_implILS5_8ELb0ES3_jPlPS6_PKS6_NS0_5tupleIJS9_S6_EEENSD_IJSA_SA_EEENS0_18inequality_wrapperIZN2at6native12_GLOBAL__N_124unique_dim_cuda_templateIiEESt5tupleIJNSH_6TensorESM_SM_EERKSM_lbbbEUlllE0_EEPmJS6_EEE10hipError_tPvRmT3_T4_T5_T6_T7_T9_mT8_P12ihipStream_tbDpT10_ENKUlT_T0_E_clISt17integral_constantIbLb1EES1C_EEDaS17_S18_EUlS17_E_NS1_11comp_targetILNS1_3genE0ELNS1_11target_archE4294967295ELNS1_3gpuE0ELNS1_3repE0EEENS1_30default_config_static_selectorELNS0_4arch9wavefront6targetE0EEEvT1_, .Lfunc_end449-_ZN7rocprim17ROCPRIM_400000_NS6detail17trampoline_kernelINS0_14default_configENS1_25partition_config_selectorILNS1_17partition_subalgoE8ElNS0_10empty_typeEbEEZZNS1_14partition_implILS5_8ELb0ES3_jPlPS6_PKS6_NS0_5tupleIJS9_S6_EEENSD_IJSA_SA_EEENS0_18inequality_wrapperIZN2at6native12_GLOBAL__N_124unique_dim_cuda_templateIiEESt5tupleIJNSH_6TensorESM_SM_EERKSM_lbbbEUlllE0_EEPmJS6_EEE10hipError_tPvRmT3_T4_T5_T6_T7_T9_mT8_P12ihipStream_tbDpT10_ENKUlT_T0_E_clISt17integral_constantIbLb1EES1C_EEDaS17_S18_EUlS17_E_NS1_11comp_targetILNS1_3genE0ELNS1_11target_archE4294967295ELNS1_3gpuE0ELNS1_3repE0EEENS1_30default_config_static_selectorELNS0_4arch9wavefront6targetE0EEEvT1_
                                        ; -- End function
	.section	.AMDGPU.csdata,"",@progbits
; Kernel info:
; codeLenInByte = 0
; NumSgprs: 0
; NumVgprs: 0
; ScratchSize: 0
; MemoryBound: 0
; FloatMode: 240
; IeeeMode: 1
; LDSByteSize: 0 bytes/workgroup (compile time only)
; SGPRBlocks: 0
; VGPRBlocks: 0
; NumSGPRsForWavesPerEU: 1
; NumVGPRsForWavesPerEU: 1
; Occupancy: 16
; WaveLimiterHint : 0
; COMPUTE_PGM_RSRC2:SCRATCH_EN: 0
; COMPUTE_PGM_RSRC2:USER_SGPR: 15
; COMPUTE_PGM_RSRC2:TRAP_HANDLER: 0
; COMPUTE_PGM_RSRC2:TGID_X_EN: 1
; COMPUTE_PGM_RSRC2:TGID_Y_EN: 0
; COMPUTE_PGM_RSRC2:TGID_Z_EN: 0
; COMPUTE_PGM_RSRC2:TIDIG_COMP_CNT: 0
	.section	.text._ZN7rocprim17ROCPRIM_400000_NS6detail17trampoline_kernelINS0_14default_configENS1_25partition_config_selectorILNS1_17partition_subalgoE8ElNS0_10empty_typeEbEEZZNS1_14partition_implILS5_8ELb0ES3_jPlPS6_PKS6_NS0_5tupleIJS9_S6_EEENSD_IJSA_SA_EEENS0_18inequality_wrapperIZN2at6native12_GLOBAL__N_124unique_dim_cuda_templateIiEESt5tupleIJNSH_6TensorESM_SM_EERKSM_lbbbEUlllE0_EEPmJS6_EEE10hipError_tPvRmT3_T4_T5_T6_T7_T9_mT8_P12ihipStream_tbDpT10_ENKUlT_T0_E_clISt17integral_constantIbLb1EES1C_EEDaS17_S18_EUlS17_E_NS1_11comp_targetILNS1_3genE5ELNS1_11target_archE942ELNS1_3gpuE9ELNS1_3repE0EEENS1_30default_config_static_selectorELNS0_4arch9wavefront6targetE0EEEvT1_,"axG",@progbits,_ZN7rocprim17ROCPRIM_400000_NS6detail17trampoline_kernelINS0_14default_configENS1_25partition_config_selectorILNS1_17partition_subalgoE8ElNS0_10empty_typeEbEEZZNS1_14partition_implILS5_8ELb0ES3_jPlPS6_PKS6_NS0_5tupleIJS9_S6_EEENSD_IJSA_SA_EEENS0_18inequality_wrapperIZN2at6native12_GLOBAL__N_124unique_dim_cuda_templateIiEESt5tupleIJNSH_6TensorESM_SM_EERKSM_lbbbEUlllE0_EEPmJS6_EEE10hipError_tPvRmT3_T4_T5_T6_T7_T9_mT8_P12ihipStream_tbDpT10_ENKUlT_T0_E_clISt17integral_constantIbLb1EES1C_EEDaS17_S18_EUlS17_E_NS1_11comp_targetILNS1_3genE5ELNS1_11target_archE942ELNS1_3gpuE9ELNS1_3repE0EEENS1_30default_config_static_selectorELNS0_4arch9wavefront6targetE0EEEvT1_,comdat
	.globl	_ZN7rocprim17ROCPRIM_400000_NS6detail17trampoline_kernelINS0_14default_configENS1_25partition_config_selectorILNS1_17partition_subalgoE8ElNS0_10empty_typeEbEEZZNS1_14partition_implILS5_8ELb0ES3_jPlPS6_PKS6_NS0_5tupleIJS9_S6_EEENSD_IJSA_SA_EEENS0_18inequality_wrapperIZN2at6native12_GLOBAL__N_124unique_dim_cuda_templateIiEESt5tupleIJNSH_6TensorESM_SM_EERKSM_lbbbEUlllE0_EEPmJS6_EEE10hipError_tPvRmT3_T4_T5_T6_T7_T9_mT8_P12ihipStream_tbDpT10_ENKUlT_T0_E_clISt17integral_constantIbLb1EES1C_EEDaS17_S18_EUlS17_E_NS1_11comp_targetILNS1_3genE5ELNS1_11target_archE942ELNS1_3gpuE9ELNS1_3repE0EEENS1_30default_config_static_selectorELNS0_4arch9wavefront6targetE0EEEvT1_ ; -- Begin function _ZN7rocprim17ROCPRIM_400000_NS6detail17trampoline_kernelINS0_14default_configENS1_25partition_config_selectorILNS1_17partition_subalgoE8ElNS0_10empty_typeEbEEZZNS1_14partition_implILS5_8ELb0ES3_jPlPS6_PKS6_NS0_5tupleIJS9_S6_EEENSD_IJSA_SA_EEENS0_18inequality_wrapperIZN2at6native12_GLOBAL__N_124unique_dim_cuda_templateIiEESt5tupleIJNSH_6TensorESM_SM_EERKSM_lbbbEUlllE0_EEPmJS6_EEE10hipError_tPvRmT3_T4_T5_T6_T7_T9_mT8_P12ihipStream_tbDpT10_ENKUlT_T0_E_clISt17integral_constantIbLb1EES1C_EEDaS17_S18_EUlS17_E_NS1_11comp_targetILNS1_3genE5ELNS1_11target_archE942ELNS1_3gpuE9ELNS1_3repE0EEENS1_30default_config_static_selectorELNS0_4arch9wavefront6targetE0EEEvT1_
	.p2align	8
	.type	_ZN7rocprim17ROCPRIM_400000_NS6detail17trampoline_kernelINS0_14default_configENS1_25partition_config_selectorILNS1_17partition_subalgoE8ElNS0_10empty_typeEbEEZZNS1_14partition_implILS5_8ELb0ES3_jPlPS6_PKS6_NS0_5tupleIJS9_S6_EEENSD_IJSA_SA_EEENS0_18inequality_wrapperIZN2at6native12_GLOBAL__N_124unique_dim_cuda_templateIiEESt5tupleIJNSH_6TensorESM_SM_EERKSM_lbbbEUlllE0_EEPmJS6_EEE10hipError_tPvRmT3_T4_T5_T6_T7_T9_mT8_P12ihipStream_tbDpT10_ENKUlT_T0_E_clISt17integral_constantIbLb1EES1C_EEDaS17_S18_EUlS17_E_NS1_11comp_targetILNS1_3genE5ELNS1_11target_archE942ELNS1_3gpuE9ELNS1_3repE0EEENS1_30default_config_static_selectorELNS0_4arch9wavefront6targetE0EEEvT1_,@function
_ZN7rocprim17ROCPRIM_400000_NS6detail17trampoline_kernelINS0_14default_configENS1_25partition_config_selectorILNS1_17partition_subalgoE8ElNS0_10empty_typeEbEEZZNS1_14partition_implILS5_8ELb0ES3_jPlPS6_PKS6_NS0_5tupleIJS9_S6_EEENSD_IJSA_SA_EEENS0_18inequality_wrapperIZN2at6native12_GLOBAL__N_124unique_dim_cuda_templateIiEESt5tupleIJNSH_6TensorESM_SM_EERKSM_lbbbEUlllE0_EEPmJS6_EEE10hipError_tPvRmT3_T4_T5_T6_T7_T9_mT8_P12ihipStream_tbDpT10_ENKUlT_T0_E_clISt17integral_constantIbLb1EES1C_EEDaS17_S18_EUlS17_E_NS1_11comp_targetILNS1_3genE5ELNS1_11target_archE942ELNS1_3gpuE9ELNS1_3repE0EEENS1_30default_config_static_selectorELNS0_4arch9wavefront6targetE0EEEvT1_: ; @_ZN7rocprim17ROCPRIM_400000_NS6detail17trampoline_kernelINS0_14default_configENS1_25partition_config_selectorILNS1_17partition_subalgoE8ElNS0_10empty_typeEbEEZZNS1_14partition_implILS5_8ELb0ES3_jPlPS6_PKS6_NS0_5tupleIJS9_S6_EEENSD_IJSA_SA_EEENS0_18inequality_wrapperIZN2at6native12_GLOBAL__N_124unique_dim_cuda_templateIiEESt5tupleIJNSH_6TensorESM_SM_EERKSM_lbbbEUlllE0_EEPmJS6_EEE10hipError_tPvRmT3_T4_T5_T6_T7_T9_mT8_P12ihipStream_tbDpT10_ENKUlT_T0_E_clISt17integral_constantIbLb1EES1C_EEDaS17_S18_EUlS17_E_NS1_11comp_targetILNS1_3genE5ELNS1_11target_archE942ELNS1_3gpuE9ELNS1_3repE0EEENS1_30default_config_static_selectorELNS0_4arch9wavefront6targetE0EEEvT1_
; %bb.0:
	.section	.rodata,"a",@progbits
	.p2align	6, 0x0
	.amdhsa_kernel _ZN7rocprim17ROCPRIM_400000_NS6detail17trampoline_kernelINS0_14default_configENS1_25partition_config_selectorILNS1_17partition_subalgoE8ElNS0_10empty_typeEbEEZZNS1_14partition_implILS5_8ELb0ES3_jPlPS6_PKS6_NS0_5tupleIJS9_S6_EEENSD_IJSA_SA_EEENS0_18inequality_wrapperIZN2at6native12_GLOBAL__N_124unique_dim_cuda_templateIiEESt5tupleIJNSH_6TensorESM_SM_EERKSM_lbbbEUlllE0_EEPmJS6_EEE10hipError_tPvRmT3_T4_T5_T6_T7_T9_mT8_P12ihipStream_tbDpT10_ENKUlT_T0_E_clISt17integral_constantIbLb1EES1C_EEDaS17_S18_EUlS17_E_NS1_11comp_targetILNS1_3genE5ELNS1_11target_archE942ELNS1_3gpuE9ELNS1_3repE0EEENS1_30default_config_static_selectorELNS0_4arch9wavefront6targetE0EEEvT1_
		.amdhsa_group_segment_fixed_size 0
		.amdhsa_private_segment_fixed_size 0
		.amdhsa_kernarg_size 136
		.amdhsa_user_sgpr_count 15
		.amdhsa_user_sgpr_dispatch_ptr 0
		.amdhsa_user_sgpr_queue_ptr 0
		.amdhsa_user_sgpr_kernarg_segment_ptr 1
		.amdhsa_user_sgpr_dispatch_id 0
		.amdhsa_user_sgpr_private_segment_size 0
		.amdhsa_wavefront_size32 1
		.amdhsa_uses_dynamic_stack 0
		.amdhsa_enable_private_segment 0
		.amdhsa_system_sgpr_workgroup_id_x 1
		.amdhsa_system_sgpr_workgroup_id_y 0
		.amdhsa_system_sgpr_workgroup_id_z 0
		.amdhsa_system_sgpr_workgroup_info 0
		.amdhsa_system_vgpr_workitem_id 0
		.amdhsa_next_free_vgpr 1
		.amdhsa_next_free_sgpr 1
		.amdhsa_reserve_vcc 0
		.amdhsa_float_round_mode_32 0
		.amdhsa_float_round_mode_16_64 0
		.amdhsa_float_denorm_mode_32 3
		.amdhsa_float_denorm_mode_16_64 3
		.amdhsa_dx10_clamp 1
		.amdhsa_ieee_mode 1
		.amdhsa_fp16_overflow 0
		.amdhsa_workgroup_processor_mode 1
		.amdhsa_memory_ordered 1
		.amdhsa_forward_progress 0
		.amdhsa_shared_vgpr_count 0
		.amdhsa_exception_fp_ieee_invalid_op 0
		.amdhsa_exception_fp_denorm_src 0
		.amdhsa_exception_fp_ieee_div_zero 0
		.amdhsa_exception_fp_ieee_overflow 0
		.amdhsa_exception_fp_ieee_underflow 0
		.amdhsa_exception_fp_ieee_inexact 0
		.amdhsa_exception_int_div_zero 0
	.end_amdhsa_kernel
	.section	.text._ZN7rocprim17ROCPRIM_400000_NS6detail17trampoline_kernelINS0_14default_configENS1_25partition_config_selectorILNS1_17partition_subalgoE8ElNS0_10empty_typeEbEEZZNS1_14partition_implILS5_8ELb0ES3_jPlPS6_PKS6_NS0_5tupleIJS9_S6_EEENSD_IJSA_SA_EEENS0_18inequality_wrapperIZN2at6native12_GLOBAL__N_124unique_dim_cuda_templateIiEESt5tupleIJNSH_6TensorESM_SM_EERKSM_lbbbEUlllE0_EEPmJS6_EEE10hipError_tPvRmT3_T4_T5_T6_T7_T9_mT8_P12ihipStream_tbDpT10_ENKUlT_T0_E_clISt17integral_constantIbLb1EES1C_EEDaS17_S18_EUlS17_E_NS1_11comp_targetILNS1_3genE5ELNS1_11target_archE942ELNS1_3gpuE9ELNS1_3repE0EEENS1_30default_config_static_selectorELNS0_4arch9wavefront6targetE0EEEvT1_,"axG",@progbits,_ZN7rocprim17ROCPRIM_400000_NS6detail17trampoline_kernelINS0_14default_configENS1_25partition_config_selectorILNS1_17partition_subalgoE8ElNS0_10empty_typeEbEEZZNS1_14partition_implILS5_8ELb0ES3_jPlPS6_PKS6_NS0_5tupleIJS9_S6_EEENSD_IJSA_SA_EEENS0_18inequality_wrapperIZN2at6native12_GLOBAL__N_124unique_dim_cuda_templateIiEESt5tupleIJNSH_6TensorESM_SM_EERKSM_lbbbEUlllE0_EEPmJS6_EEE10hipError_tPvRmT3_T4_T5_T6_T7_T9_mT8_P12ihipStream_tbDpT10_ENKUlT_T0_E_clISt17integral_constantIbLb1EES1C_EEDaS17_S18_EUlS17_E_NS1_11comp_targetILNS1_3genE5ELNS1_11target_archE942ELNS1_3gpuE9ELNS1_3repE0EEENS1_30default_config_static_selectorELNS0_4arch9wavefront6targetE0EEEvT1_,comdat
.Lfunc_end450:
	.size	_ZN7rocprim17ROCPRIM_400000_NS6detail17trampoline_kernelINS0_14default_configENS1_25partition_config_selectorILNS1_17partition_subalgoE8ElNS0_10empty_typeEbEEZZNS1_14partition_implILS5_8ELb0ES3_jPlPS6_PKS6_NS0_5tupleIJS9_S6_EEENSD_IJSA_SA_EEENS0_18inequality_wrapperIZN2at6native12_GLOBAL__N_124unique_dim_cuda_templateIiEESt5tupleIJNSH_6TensorESM_SM_EERKSM_lbbbEUlllE0_EEPmJS6_EEE10hipError_tPvRmT3_T4_T5_T6_T7_T9_mT8_P12ihipStream_tbDpT10_ENKUlT_T0_E_clISt17integral_constantIbLb1EES1C_EEDaS17_S18_EUlS17_E_NS1_11comp_targetILNS1_3genE5ELNS1_11target_archE942ELNS1_3gpuE9ELNS1_3repE0EEENS1_30default_config_static_selectorELNS0_4arch9wavefront6targetE0EEEvT1_, .Lfunc_end450-_ZN7rocprim17ROCPRIM_400000_NS6detail17trampoline_kernelINS0_14default_configENS1_25partition_config_selectorILNS1_17partition_subalgoE8ElNS0_10empty_typeEbEEZZNS1_14partition_implILS5_8ELb0ES3_jPlPS6_PKS6_NS0_5tupleIJS9_S6_EEENSD_IJSA_SA_EEENS0_18inequality_wrapperIZN2at6native12_GLOBAL__N_124unique_dim_cuda_templateIiEESt5tupleIJNSH_6TensorESM_SM_EERKSM_lbbbEUlllE0_EEPmJS6_EEE10hipError_tPvRmT3_T4_T5_T6_T7_T9_mT8_P12ihipStream_tbDpT10_ENKUlT_T0_E_clISt17integral_constantIbLb1EES1C_EEDaS17_S18_EUlS17_E_NS1_11comp_targetILNS1_3genE5ELNS1_11target_archE942ELNS1_3gpuE9ELNS1_3repE0EEENS1_30default_config_static_selectorELNS0_4arch9wavefront6targetE0EEEvT1_
                                        ; -- End function
	.section	.AMDGPU.csdata,"",@progbits
; Kernel info:
; codeLenInByte = 0
; NumSgprs: 0
; NumVgprs: 0
; ScratchSize: 0
; MemoryBound: 0
; FloatMode: 240
; IeeeMode: 1
; LDSByteSize: 0 bytes/workgroup (compile time only)
; SGPRBlocks: 0
; VGPRBlocks: 0
; NumSGPRsForWavesPerEU: 1
; NumVGPRsForWavesPerEU: 1
; Occupancy: 16
; WaveLimiterHint : 0
; COMPUTE_PGM_RSRC2:SCRATCH_EN: 0
; COMPUTE_PGM_RSRC2:USER_SGPR: 15
; COMPUTE_PGM_RSRC2:TRAP_HANDLER: 0
; COMPUTE_PGM_RSRC2:TGID_X_EN: 1
; COMPUTE_PGM_RSRC2:TGID_Y_EN: 0
; COMPUTE_PGM_RSRC2:TGID_Z_EN: 0
; COMPUTE_PGM_RSRC2:TIDIG_COMP_CNT: 0
	.section	.text._ZN7rocprim17ROCPRIM_400000_NS6detail17trampoline_kernelINS0_14default_configENS1_25partition_config_selectorILNS1_17partition_subalgoE8ElNS0_10empty_typeEbEEZZNS1_14partition_implILS5_8ELb0ES3_jPlPS6_PKS6_NS0_5tupleIJS9_S6_EEENSD_IJSA_SA_EEENS0_18inequality_wrapperIZN2at6native12_GLOBAL__N_124unique_dim_cuda_templateIiEESt5tupleIJNSH_6TensorESM_SM_EERKSM_lbbbEUlllE0_EEPmJS6_EEE10hipError_tPvRmT3_T4_T5_T6_T7_T9_mT8_P12ihipStream_tbDpT10_ENKUlT_T0_E_clISt17integral_constantIbLb1EES1C_EEDaS17_S18_EUlS17_E_NS1_11comp_targetILNS1_3genE4ELNS1_11target_archE910ELNS1_3gpuE8ELNS1_3repE0EEENS1_30default_config_static_selectorELNS0_4arch9wavefront6targetE0EEEvT1_,"axG",@progbits,_ZN7rocprim17ROCPRIM_400000_NS6detail17trampoline_kernelINS0_14default_configENS1_25partition_config_selectorILNS1_17partition_subalgoE8ElNS0_10empty_typeEbEEZZNS1_14partition_implILS5_8ELb0ES3_jPlPS6_PKS6_NS0_5tupleIJS9_S6_EEENSD_IJSA_SA_EEENS0_18inequality_wrapperIZN2at6native12_GLOBAL__N_124unique_dim_cuda_templateIiEESt5tupleIJNSH_6TensorESM_SM_EERKSM_lbbbEUlllE0_EEPmJS6_EEE10hipError_tPvRmT3_T4_T5_T6_T7_T9_mT8_P12ihipStream_tbDpT10_ENKUlT_T0_E_clISt17integral_constantIbLb1EES1C_EEDaS17_S18_EUlS17_E_NS1_11comp_targetILNS1_3genE4ELNS1_11target_archE910ELNS1_3gpuE8ELNS1_3repE0EEENS1_30default_config_static_selectorELNS0_4arch9wavefront6targetE0EEEvT1_,comdat
	.globl	_ZN7rocprim17ROCPRIM_400000_NS6detail17trampoline_kernelINS0_14default_configENS1_25partition_config_selectorILNS1_17partition_subalgoE8ElNS0_10empty_typeEbEEZZNS1_14partition_implILS5_8ELb0ES3_jPlPS6_PKS6_NS0_5tupleIJS9_S6_EEENSD_IJSA_SA_EEENS0_18inequality_wrapperIZN2at6native12_GLOBAL__N_124unique_dim_cuda_templateIiEESt5tupleIJNSH_6TensorESM_SM_EERKSM_lbbbEUlllE0_EEPmJS6_EEE10hipError_tPvRmT3_T4_T5_T6_T7_T9_mT8_P12ihipStream_tbDpT10_ENKUlT_T0_E_clISt17integral_constantIbLb1EES1C_EEDaS17_S18_EUlS17_E_NS1_11comp_targetILNS1_3genE4ELNS1_11target_archE910ELNS1_3gpuE8ELNS1_3repE0EEENS1_30default_config_static_selectorELNS0_4arch9wavefront6targetE0EEEvT1_ ; -- Begin function _ZN7rocprim17ROCPRIM_400000_NS6detail17trampoline_kernelINS0_14default_configENS1_25partition_config_selectorILNS1_17partition_subalgoE8ElNS0_10empty_typeEbEEZZNS1_14partition_implILS5_8ELb0ES3_jPlPS6_PKS6_NS0_5tupleIJS9_S6_EEENSD_IJSA_SA_EEENS0_18inequality_wrapperIZN2at6native12_GLOBAL__N_124unique_dim_cuda_templateIiEESt5tupleIJNSH_6TensorESM_SM_EERKSM_lbbbEUlllE0_EEPmJS6_EEE10hipError_tPvRmT3_T4_T5_T6_T7_T9_mT8_P12ihipStream_tbDpT10_ENKUlT_T0_E_clISt17integral_constantIbLb1EES1C_EEDaS17_S18_EUlS17_E_NS1_11comp_targetILNS1_3genE4ELNS1_11target_archE910ELNS1_3gpuE8ELNS1_3repE0EEENS1_30default_config_static_selectorELNS0_4arch9wavefront6targetE0EEEvT1_
	.p2align	8
	.type	_ZN7rocprim17ROCPRIM_400000_NS6detail17trampoline_kernelINS0_14default_configENS1_25partition_config_selectorILNS1_17partition_subalgoE8ElNS0_10empty_typeEbEEZZNS1_14partition_implILS5_8ELb0ES3_jPlPS6_PKS6_NS0_5tupleIJS9_S6_EEENSD_IJSA_SA_EEENS0_18inequality_wrapperIZN2at6native12_GLOBAL__N_124unique_dim_cuda_templateIiEESt5tupleIJNSH_6TensorESM_SM_EERKSM_lbbbEUlllE0_EEPmJS6_EEE10hipError_tPvRmT3_T4_T5_T6_T7_T9_mT8_P12ihipStream_tbDpT10_ENKUlT_T0_E_clISt17integral_constantIbLb1EES1C_EEDaS17_S18_EUlS17_E_NS1_11comp_targetILNS1_3genE4ELNS1_11target_archE910ELNS1_3gpuE8ELNS1_3repE0EEENS1_30default_config_static_selectorELNS0_4arch9wavefront6targetE0EEEvT1_,@function
_ZN7rocprim17ROCPRIM_400000_NS6detail17trampoline_kernelINS0_14default_configENS1_25partition_config_selectorILNS1_17partition_subalgoE8ElNS0_10empty_typeEbEEZZNS1_14partition_implILS5_8ELb0ES3_jPlPS6_PKS6_NS0_5tupleIJS9_S6_EEENSD_IJSA_SA_EEENS0_18inequality_wrapperIZN2at6native12_GLOBAL__N_124unique_dim_cuda_templateIiEESt5tupleIJNSH_6TensorESM_SM_EERKSM_lbbbEUlllE0_EEPmJS6_EEE10hipError_tPvRmT3_T4_T5_T6_T7_T9_mT8_P12ihipStream_tbDpT10_ENKUlT_T0_E_clISt17integral_constantIbLb1EES1C_EEDaS17_S18_EUlS17_E_NS1_11comp_targetILNS1_3genE4ELNS1_11target_archE910ELNS1_3gpuE8ELNS1_3repE0EEENS1_30default_config_static_selectorELNS0_4arch9wavefront6targetE0EEEvT1_: ; @_ZN7rocprim17ROCPRIM_400000_NS6detail17trampoline_kernelINS0_14default_configENS1_25partition_config_selectorILNS1_17partition_subalgoE8ElNS0_10empty_typeEbEEZZNS1_14partition_implILS5_8ELb0ES3_jPlPS6_PKS6_NS0_5tupleIJS9_S6_EEENSD_IJSA_SA_EEENS0_18inequality_wrapperIZN2at6native12_GLOBAL__N_124unique_dim_cuda_templateIiEESt5tupleIJNSH_6TensorESM_SM_EERKSM_lbbbEUlllE0_EEPmJS6_EEE10hipError_tPvRmT3_T4_T5_T6_T7_T9_mT8_P12ihipStream_tbDpT10_ENKUlT_T0_E_clISt17integral_constantIbLb1EES1C_EEDaS17_S18_EUlS17_E_NS1_11comp_targetILNS1_3genE4ELNS1_11target_archE910ELNS1_3gpuE8ELNS1_3repE0EEENS1_30default_config_static_selectorELNS0_4arch9wavefront6targetE0EEEvT1_
; %bb.0:
	.section	.rodata,"a",@progbits
	.p2align	6, 0x0
	.amdhsa_kernel _ZN7rocprim17ROCPRIM_400000_NS6detail17trampoline_kernelINS0_14default_configENS1_25partition_config_selectorILNS1_17partition_subalgoE8ElNS0_10empty_typeEbEEZZNS1_14partition_implILS5_8ELb0ES3_jPlPS6_PKS6_NS0_5tupleIJS9_S6_EEENSD_IJSA_SA_EEENS0_18inequality_wrapperIZN2at6native12_GLOBAL__N_124unique_dim_cuda_templateIiEESt5tupleIJNSH_6TensorESM_SM_EERKSM_lbbbEUlllE0_EEPmJS6_EEE10hipError_tPvRmT3_T4_T5_T6_T7_T9_mT8_P12ihipStream_tbDpT10_ENKUlT_T0_E_clISt17integral_constantIbLb1EES1C_EEDaS17_S18_EUlS17_E_NS1_11comp_targetILNS1_3genE4ELNS1_11target_archE910ELNS1_3gpuE8ELNS1_3repE0EEENS1_30default_config_static_selectorELNS0_4arch9wavefront6targetE0EEEvT1_
		.amdhsa_group_segment_fixed_size 0
		.amdhsa_private_segment_fixed_size 0
		.amdhsa_kernarg_size 136
		.amdhsa_user_sgpr_count 15
		.amdhsa_user_sgpr_dispatch_ptr 0
		.amdhsa_user_sgpr_queue_ptr 0
		.amdhsa_user_sgpr_kernarg_segment_ptr 1
		.amdhsa_user_sgpr_dispatch_id 0
		.amdhsa_user_sgpr_private_segment_size 0
		.amdhsa_wavefront_size32 1
		.amdhsa_uses_dynamic_stack 0
		.amdhsa_enable_private_segment 0
		.amdhsa_system_sgpr_workgroup_id_x 1
		.amdhsa_system_sgpr_workgroup_id_y 0
		.amdhsa_system_sgpr_workgroup_id_z 0
		.amdhsa_system_sgpr_workgroup_info 0
		.amdhsa_system_vgpr_workitem_id 0
		.amdhsa_next_free_vgpr 1
		.amdhsa_next_free_sgpr 1
		.amdhsa_reserve_vcc 0
		.amdhsa_float_round_mode_32 0
		.amdhsa_float_round_mode_16_64 0
		.amdhsa_float_denorm_mode_32 3
		.amdhsa_float_denorm_mode_16_64 3
		.amdhsa_dx10_clamp 1
		.amdhsa_ieee_mode 1
		.amdhsa_fp16_overflow 0
		.amdhsa_workgroup_processor_mode 1
		.amdhsa_memory_ordered 1
		.amdhsa_forward_progress 0
		.amdhsa_shared_vgpr_count 0
		.amdhsa_exception_fp_ieee_invalid_op 0
		.amdhsa_exception_fp_denorm_src 0
		.amdhsa_exception_fp_ieee_div_zero 0
		.amdhsa_exception_fp_ieee_overflow 0
		.amdhsa_exception_fp_ieee_underflow 0
		.amdhsa_exception_fp_ieee_inexact 0
		.amdhsa_exception_int_div_zero 0
	.end_amdhsa_kernel
	.section	.text._ZN7rocprim17ROCPRIM_400000_NS6detail17trampoline_kernelINS0_14default_configENS1_25partition_config_selectorILNS1_17partition_subalgoE8ElNS0_10empty_typeEbEEZZNS1_14partition_implILS5_8ELb0ES3_jPlPS6_PKS6_NS0_5tupleIJS9_S6_EEENSD_IJSA_SA_EEENS0_18inequality_wrapperIZN2at6native12_GLOBAL__N_124unique_dim_cuda_templateIiEESt5tupleIJNSH_6TensorESM_SM_EERKSM_lbbbEUlllE0_EEPmJS6_EEE10hipError_tPvRmT3_T4_T5_T6_T7_T9_mT8_P12ihipStream_tbDpT10_ENKUlT_T0_E_clISt17integral_constantIbLb1EES1C_EEDaS17_S18_EUlS17_E_NS1_11comp_targetILNS1_3genE4ELNS1_11target_archE910ELNS1_3gpuE8ELNS1_3repE0EEENS1_30default_config_static_selectorELNS0_4arch9wavefront6targetE0EEEvT1_,"axG",@progbits,_ZN7rocprim17ROCPRIM_400000_NS6detail17trampoline_kernelINS0_14default_configENS1_25partition_config_selectorILNS1_17partition_subalgoE8ElNS0_10empty_typeEbEEZZNS1_14partition_implILS5_8ELb0ES3_jPlPS6_PKS6_NS0_5tupleIJS9_S6_EEENSD_IJSA_SA_EEENS0_18inequality_wrapperIZN2at6native12_GLOBAL__N_124unique_dim_cuda_templateIiEESt5tupleIJNSH_6TensorESM_SM_EERKSM_lbbbEUlllE0_EEPmJS6_EEE10hipError_tPvRmT3_T4_T5_T6_T7_T9_mT8_P12ihipStream_tbDpT10_ENKUlT_T0_E_clISt17integral_constantIbLb1EES1C_EEDaS17_S18_EUlS17_E_NS1_11comp_targetILNS1_3genE4ELNS1_11target_archE910ELNS1_3gpuE8ELNS1_3repE0EEENS1_30default_config_static_selectorELNS0_4arch9wavefront6targetE0EEEvT1_,comdat
.Lfunc_end451:
	.size	_ZN7rocprim17ROCPRIM_400000_NS6detail17trampoline_kernelINS0_14default_configENS1_25partition_config_selectorILNS1_17partition_subalgoE8ElNS0_10empty_typeEbEEZZNS1_14partition_implILS5_8ELb0ES3_jPlPS6_PKS6_NS0_5tupleIJS9_S6_EEENSD_IJSA_SA_EEENS0_18inequality_wrapperIZN2at6native12_GLOBAL__N_124unique_dim_cuda_templateIiEESt5tupleIJNSH_6TensorESM_SM_EERKSM_lbbbEUlllE0_EEPmJS6_EEE10hipError_tPvRmT3_T4_T5_T6_T7_T9_mT8_P12ihipStream_tbDpT10_ENKUlT_T0_E_clISt17integral_constantIbLb1EES1C_EEDaS17_S18_EUlS17_E_NS1_11comp_targetILNS1_3genE4ELNS1_11target_archE910ELNS1_3gpuE8ELNS1_3repE0EEENS1_30default_config_static_selectorELNS0_4arch9wavefront6targetE0EEEvT1_, .Lfunc_end451-_ZN7rocprim17ROCPRIM_400000_NS6detail17trampoline_kernelINS0_14default_configENS1_25partition_config_selectorILNS1_17partition_subalgoE8ElNS0_10empty_typeEbEEZZNS1_14partition_implILS5_8ELb0ES3_jPlPS6_PKS6_NS0_5tupleIJS9_S6_EEENSD_IJSA_SA_EEENS0_18inequality_wrapperIZN2at6native12_GLOBAL__N_124unique_dim_cuda_templateIiEESt5tupleIJNSH_6TensorESM_SM_EERKSM_lbbbEUlllE0_EEPmJS6_EEE10hipError_tPvRmT3_T4_T5_T6_T7_T9_mT8_P12ihipStream_tbDpT10_ENKUlT_T0_E_clISt17integral_constantIbLb1EES1C_EEDaS17_S18_EUlS17_E_NS1_11comp_targetILNS1_3genE4ELNS1_11target_archE910ELNS1_3gpuE8ELNS1_3repE0EEENS1_30default_config_static_selectorELNS0_4arch9wavefront6targetE0EEEvT1_
                                        ; -- End function
	.section	.AMDGPU.csdata,"",@progbits
; Kernel info:
; codeLenInByte = 0
; NumSgprs: 0
; NumVgprs: 0
; ScratchSize: 0
; MemoryBound: 0
; FloatMode: 240
; IeeeMode: 1
; LDSByteSize: 0 bytes/workgroup (compile time only)
; SGPRBlocks: 0
; VGPRBlocks: 0
; NumSGPRsForWavesPerEU: 1
; NumVGPRsForWavesPerEU: 1
; Occupancy: 16
; WaveLimiterHint : 0
; COMPUTE_PGM_RSRC2:SCRATCH_EN: 0
; COMPUTE_PGM_RSRC2:USER_SGPR: 15
; COMPUTE_PGM_RSRC2:TRAP_HANDLER: 0
; COMPUTE_PGM_RSRC2:TGID_X_EN: 1
; COMPUTE_PGM_RSRC2:TGID_Y_EN: 0
; COMPUTE_PGM_RSRC2:TGID_Z_EN: 0
; COMPUTE_PGM_RSRC2:TIDIG_COMP_CNT: 0
	.section	.text._ZN7rocprim17ROCPRIM_400000_NS6detail17trampoline_kernelINS0_14default_configENS1_25partition_config_selectorILNS1_17partition_subalgoE8ElNS0_10empty_typeEbEEZZNS1_14partition_implILS5_8ELb0ES3_jPlPS6_PKS6_NS0_5tupleIJS9_S6_EEENSD_IJSA_SA_EEENS0_18inequality_wrapperIZN2at6native12_GLOBAL__N_124unique_dim_cuda_templateIiEESt5tupleIJNSH_6TensorESM_SM_EERKSM_lbbbEUlllE0_EEPmJS6_EEE10hipError_tPvRmT3_T4_T5_T6_T7_T9_mT8_P12ihipStream_tbDpT10_ENKUlT_T0_E_clISt17integral_constantIbLb1EES1C_EEDaS17_S18_EUlS17_E_NS1_11comp_targetILNS1_3genE3ELNS1_11target_archE908ELNS1_3gpuE7ELNS1_3repE0EEENS1_30default_config_static_selectorELNS0_4arch9wavefront6targetE0EEEvT1_,"axG",@progbits,_ZN7rocprim17ROCPRIM_400000_NS6detail17trampoline_kernelINS0_14default_configENS1_25partition_config_selectorILNS1_17partition_subalgoE8ElNS0_10empty_typeEbEEZZNS1_14partition_implILS5_8ELb0ES3_jPlPS6_PKS6_NS0_5tupleIJS9_S6_EEENSD_IJSA_SA_EEENS0_18inequality_wrapperIZN2at6native12_GLOBAL__N_124unique_dim_cuda_templateIiEESt5tupleIJNSH_6TensorESM_SM_EERKSM_lbbbEUlllE0_EEPmJS6_EEE10hipError_tPvRmT3_T4_T5_T6_T7_T9_mT8_P12ihipStream_tbDpT10_ENKUlT_T0_E_clISt17integral_constantIbLb1EES1C_EEDaS17_S18_EUlS17_E_NS1_11comp_targetILNS1_3genE3ELNS1_11target_archE908ELNS1_3gpuE7ELNS1_3repE0EEENS1_30default_config_static_selectorELNS0_4arch9wavefront6targetE0EEEvT1_,comdat
	.globl	_ZN7rocprim17ROCPRIM_400000_NS6detail17trampoline_kernelINS0_14default_configENS1_25partition_config_selectorILNS1_17partition_subalgoE8ElNS0_10empty_typeEbEEZZNS1_14partition_implILS5_8ELb0ES3_jPlPS6_PKS6_NS0_5tupleIJS9_S6_EEENSD_IJSA_SA_EEENS0_18inequality_wrapperIZN2at6native12_GLOBAL__N_124unique_dim_cuda_templateIiEESt5tupleIJNSH_6TensorESM_SM_EERKSM_lbbbEUlllE0_EEPmJS6_EEE10hipError_tPvRmT3_T4_T5_T6_T7_T9_mT8_P12ihipStream_tbDpT10_ENKUlT_T0_E_clISt17integral_constantIbLb1EES1C_EEDaS17_S18_EUlS17_E_NS1_11comp_targetILNS1_3genE3ELNS1_11target_archE908ELNS1_3gpuE7ELNS1_3repE0EEENS1_30default_config_static_selectorELNS0_4arch9wavefront6targetE0EEEvT1_ ; -- Begin function _ZN7rocprim17ROCPRIM_400000_NS6detail17trampoline_kernelINS0_14default_configENS1_25partition_config_selectorILNS1_17partition_subalgoE8ElNS0_10empty_typeEbEEZZNS1_14partition_implILS5_8ELb0ES3_jPlPS6_PKS6_NS0_5tupleIJS9_S6_EEENSD_IJSA_SA_EEENS0_18inequality_wrapperIZN2at6native12_GLOBAL__N_124unique_dim_cuda_templateIiEESt5tupleIJNSH_6TensorESM_SM_EERKSM_lbbbEUlllE0_EEPmJS6_EEE10hipError_tPvRmT3_T4_T5_T6_T7_T9_mT8_P12ihipStream_tbDpT10_ENKUlT_T0_E_clISt17integral_constantIbLb1EES1C_EEDaS17_S18_EUlS17_E_NS1_11comp_targetILNS1_3genE3ELNS1_11target_archE908ELNS1_3gpuE7ELNS1_3repE0EEENS1_30default_config_static_selectorELNS0_4arch9wavefront6targetE0EEEvT1_
	.p2align	8
	.type	_ZN7rocprim17ROCPRIM_400000_NS6detail17trampoline_kernelINS0_14default_configENS1_25partition_config_selectorILNS1_17partition_subalgoE8ElNS0_10empty_typeEbEEZZNS1_14partition_implILS5_8ELb0ES3_jPlPS6_PKS6_NS0_5tupleIJS9_S6_EEENSD_IJSA_SA_EEENS0_18inequality_wrapperIZN2at6native12_GLOBAL__N_124unique_dim_cuda_templateIiEESt5tupleIJNSH_6TensorESM_SM_EERKSM_lbbbEUlllE0_EEPmJS6_EEE10hipError_tPvRmT3_T4_T5_T6_T7_T9_mT8_P12ihipStream_tbDpT10_ENKUlT_T0_E_clISt17integral_constantIbLb1EES1C_EEDaS17_S18_EUlS17_E_NS1_11comp_targetILNS1_3genE3ELNS1_11target_archE908ELNS1_3gpuE7ELNS1_3repE0EEENS1_30default_config_static_selectorELNS0_4arch9wavefront6targetE0EEEvT1_,@function
_ZN7rocprim17ROCPRIM_400000_NS6detail17trampoline_kernelINS0_14default_configENS1_25partition_config_selectorILNS1_17partition_subalgoE8ElNS0_10empty_typeEbEEZZNS1_14partition_implILS5_8ELb0ES3_jPlPS6_PKS6_NS0_5tupleIJS9_S6_EEENSD_IJSA_SA_EEENS0_18inequality_wrapperIZN2at6native12_GLOBAL__N_124unique_dim_cuda_templateIiEESt5tupleIJNSH_6TensorESM_SM_EERKSM_lbbbEUlllE0_EEPmJS6_EEE10hipError_tPvRmT3_T4_T5_T6_T7_T9_mT8_P12ihipStream_tbDpT10_ENKUlT_T0_E_clISt17integral_constantIbLb1EES1C_EEDaS17_S18_EUlS17_E_NS1_11comp_targetILNS1_3genE3ELNS1_11target_archE908ELNS1_3gpuE7ELNS1_3repE0EEENS1_30default_config_static_selectorELNS0_4arch9wavefront6targetE0EEEvT1_: ; @_ZN7rocprim17ROCPRIM_400000_NS6detail17trampoline_kernelINS0_14default_configENS1_25partition_config_selectorILNS1_17partition_subalgoE8ElNS0_10empty_typeEbEEZZNS1_14partition_implILS5_8ELb0ES3_jPlPS6_PKS6_NS0_5tupleIJS9_S6_EEENSD_IJSA_SA_EEENS0_18inequality_wrapperIZN2at6native12_GLOBAL__N_124unique_dim_cuda_templateIiEESt5tupleIJNSH_6TensorESM_SM_EERKSM_lbbbEUlllE0_EEPmJS6_EEE10hipError_tPvRmT3_T4_T5_T6_T7_T9_mT8_P12ihipStream_tbDpT10_ENKUlT_T0_E_clISt17integral_constantIbLb1EES1C_EEDaS17_S18_EUlS17_E_NS1_11comp_targetILNS1_3genE3ELNS1_11target_archE908ELNS1_3gpuE7ELNS1_3repE0EEENS1_30default_config_static_selectorELNS0_4arch9wavefront6targetE0EEEvT1_
; %bb.0:
	.section	.rodata,"a",@progbits
	.p2align	6, 0x0
	.amdhsa_kernel _ZN7rocprim17ROCPRIM_400000_NS6detail17trampoline_kernelINS0_14default_configENS1_25partition_config_selectorILNS1_17partition_subalgoE8ElNS0_10empty_typeEbEEZZNS1_14partition_implILS5_8ELb0ES3_jPlPS6_PKS6_NS0_5tupleIJS9_S6_EEENSD_IJSA_SA_EEENS0_18inequality_wrapperIZN2at6native12_GLOBAL__N_124unique_dim_cuda_templateIiEESt5tupleIJNSH_6TensorESM_SM_EERKSM_lbbbEUlllE0_EEPmJS6_EEE10hipError_tPvRmT3_T4_T5_T6_T7_T9_mT8_P12ihipStream_tbDpT10_ENKUlT_T0_E_clISt17integral_constantIbLb1EES1C_EEDaS17_S18_EUlS17_E_NS1_11comp_targetILNS1_3genE3ELNS1_11target_archE908ELNS1_3gpuE7ELNS1_3repE0EEENS1_30default_config_static_selectorELNS0_4arch9wavefront6targetE0EEEvT1_
		.amdhsa_group_segment_fixed_size 0
		.amdhsa_private_segment_fixed_size 0
		.amdhsa_kernarg_size 136
		.amdhsa_user_sgpr_count 15
		.amdhsa_user_sgpr_dispatch_ptr 0
		.amdhsa_user_sgpr_queue_ptr 0
		.amdhsa_user_sgpr_kernarg_segment_ptr 1
		.amdhsa_user_sgpr_dispatch_id 0
		.amdhsa_user_sgpr_private_segment_size 0
		.amdhsa_wavefront_size32 1
		.amdhsa_uses_dynamic_stack 0
		.amdhsa_enable_private_segment 0
		.amdhsa_system_sgpr_workgroup_id_x 1
		.amdhsa_system_sgpr_workgroup_id_y 0
		.amdhsa_system_sgpr_workgroup_id_z 0
		.amdhsa_system_sgpr_workgroup_info 0
		.amdhsa_system_vgpr_workitem_id 0
		.amdhsa_next_free_vgpr 1
		.amdhsa_next_free_sgpr 1
		.amdhsa_reserve_vcc 0
		.amdhsa_float_round_mode_32 0
		.amdhsa_float_round_mode_16_64 0
		.amdhsa_float_denorm_mode_32 3
		.amdhsa_float_denorm_mode_16_64 3
		.amdhsa_dx10_clamp 1
		.amdhsa_ieee_mode 1
		.amdhsa_fp16_overflow 0
		.amdhsa_workgroup_processor_mode 1
		.amdhsa_memory_ordered 1
		.amdhsa_forward_progress 0
		.amdhsa_shared_vgpr_count 0
		.amdhsa_exception_fp_ieee_invalid_op 0
		.amdhsa_exception_fp_denorm_src 0
		.amdhsa_exception_fp_ieee_div_zero 0
		.amdhsa_exception_fp_ieee_overflow 0
		.amdhsa_exception_fp_ieee_underflow 0
		.amdhsa_exception_fp_ieee_inexact 0
		.amdhsa_exception_int_div_zero 0
	.end_amdhsa_kernel
	.section	.text._ZN7rocprim17ROCPRIM_400000_NS6detail17trampoline_kernelINS0_14default_configENS1_25partition_config_selectorILNS1_17partition_subalgoE8ElNS0_10empty_typeEbEEZZNS1_14partition_implILS5_8ELb0ES3_jPlPS6_PKS6_NS0_5tupleIJS9_S6_EEENSD_IJSA_SA_EEENS0_18inequality_wrapperIZN2at6native12_GLOBAL__N_124unique_dim_cuda_templateIiEESt5tupleIJNSH_6TensorESM_SM_EERKSM_lbbbEUlllE0_EEPmJS6_EEE10hipError_tPvRmT3_T4_T5_T6_T7_T9_mT8_P12ihipStream_tbDpT10_ENKUlT_T0_E_clISt17integral_constantIbLb1EES1C_EEDaS17_S18_EUlS17_E_NS1_11comp_targetILNS1_3genE3ELNS1_11target_archE908ELNS1_3gpuE7ELNS1_3repE0EEENS1_30default_config_static_selectorELNS0_4arch9wavefront6targetE0EEEvT1_,"axG",@progbits,_ZN7rocprim17ROCPRIM_400000_NS6detail17trampoline_kernelINS0_14default_configENS1_25partition_config_selectorILNS1_17partition_subalgoE8ElNS0_10empty_typeEbEEZZNS1_14partition_implILS5_8ELb0ES3_jPlPS6_PKS6_NS0_5tupleIJS9_S6_EEENSD_IJSA_SA_EEENS0_18inequality_wrapperIZN2at6native12_GLOBAL__N_124unique_dim_cuda_templateIiEESt5tupleIJNSH_6TensorESM_SM_EERKSM_lbbbEUlllE0_EEPmJS6_EEE10hipError_tPvRmT3_T4_T5_T6_T7_T9_mT8_P12ihipStream_tbDpT10_ENKUlT_T0_E_clISt17integral_constantIbLb1EES1C_EEDaS17_S18_EUlS17_E_NS1_11comp_targetILNS1_3genE3ELNS1_11target_archE908ELNS1_3gpuE7ELNS1_3repE0EEENS1_30default_config_static_selectorELNS0_4arch9wavefront6targetE0EEEvT1_,comdat
.Lfunc_end452:
	.size	_ZN7rocprim17ROCPRIM_400000_NS6detail17trampoline_kernelINS0_14default_configENS1_25partition_config_selectorILNS1_17partition_subalgoE8ElNS0_10empty_typeEbEEZZNS1_14partition_implILS5_8ELb0ES3_jPlPS6_PKS6_NS0_5tupleIJS9_S6_EEENSD_IJSA_SA_EEENS0_18inequality_wrapperIZN2at6native12_GLOBAL__N_124unique_dim_cuda_templateIiEESt5tupleIJNSH_6TensorESM_SM_EERKSM_lbbbEUlllE0_EEPmJS6_EEE10hipError_tPvRmT3_T4_T5_T6_T7_T9_mT8_P12ihipStream_tbDpT10_ENKUlT_T0_E_clISt17integral_constantIbLb1EES1C_EEDaS17_S18_EUlS17_E_NS1_11comp_targetILNS1_3genE3ELNS1_11target_archE908ELNS1_3gpuE7ELNS1_3repE0EEENS1_30default_config_static_selectorELNS0_4arch9wavefront6targetE0EEEvT1_, .Lfunc_end452-_ZN7rocprim17ROCPRIM_400000_NS6detail17trampoline_kernelINS0_14default_configENS1_25partition_config_selectorILNS1_17partition_subalgoE8ElNS0_10empty_typeEbEEZZNS1_14partition_implILS5_8ELb0ES3_jPlPS6_PKS6_NS0_5tupleIJS9_S6_EEENSD_IJSA_SA_EEENS0_18inequality_wrapperIZN2at6native12_GLOBAL__N_124unique_dim_cuda_templateIiEESt5tupleIJNSH_6TensorESM_SM_EERKSM_lbbbEUlllE0_EEPmJS6_EEE10hipError_tPvRmT3_T4_T5_T6_T7_T9_mT8_P12ihipStream_tbDpT10_ENKUlT_T0_E_clISt17integral_constantIbLb1EES1C_EEDaS17_S18_EUlS17_E_NS1_11comp_targetILNS1_3genE3ELNS1_11target_archE908ELNS1_3gpuE7ELNS1_3repE0EEENS1_30default_config_static_selectorELNS0_4arch9wavefront6targetE0EEEvT1_
                                        ; -- End function
	.section	.AMDGPU.csdata,"",@progbits
; Kernel info:
; codeLenInByte = 0
; NumSgprs: 0
; NumVgprs: 0
; ScratchSize: 0
; MemoryBound: 0
; FloatMode: 240
; IeeeMode: 1
; LDSByteSize: 0 bytes/workgroup (compile time only)
; SGPRBlocks: 0
; VGPRBlocks: 0
; NumSGPRsForWavesPerEU: 1
; NumVGPRsForWavesPerEU: 1
; Occupancy: 16
; WaveLimiterHint : 0
; COMPUTE_PGM_RSRC2:SCRATCH_EN: 0
; COMPUTE_PGM_RSRC2:USER_SGPR: 15
; COMPUTE_PGM_RSRC2:TRAP_HANDLER: 0
; COMPUTE_PGM_RSRC2:TGID_X_EN: 1
; COMPUTE_PGM_RSRC2:TGID_Y_EN: 0
; COMPUTE_PGM_RSRC2:TGID_Z_EN: 0
; COMPUTE_PGM_RSRC2:TIDIG_COMP_CNT: 0
	.section	.text._ZN7rocprim17ROCPRIM_400000_NS6detail17trampoline_kernelINS0_14default_configENS1_25partition_config_selectorILNS1_17partition_subalgoE8ElNS0_10empty_typeEbEEZZNS1_14partition_implILS5_8ELb0ES3_jPlPS6_PKS6_NS0_5tupleIJS9_S6_EEENSD_IJSA_SA_EEENS0_18inequality_wrapperIZN2at6native12_GLOBAL__N_124unique_dim_cuda_templateIiEESt5tupleIJNSH_6TensorESM_SM_EERKSM_lbbbEUlllE0_EEPmJS6_EEE10hipError_tPvRmT3_T4_T5_T6_T7_T9_mT8_P12ihipStream_tbDpT10_ENKUlT_T0_E_clISt17integral_constantIbLb1EES1C_EEDaS17_S18_EUlS17_E_NS1_11comp_targetILNS1_3genE2ELNS1_11target_archE906ELNS1_3gpuE6ELNS1_3repE0EEENS1_30default_config_static_selectorELNS0_4arch9wavefront6targetE0EEEvT1_,"axG",@progbits,_ZN7rocprim17ROCPRIM_400000_NS6detail17trampoline_kernelINS0_14default_configENS1_25partition_config_selectorILNS1_17partition_subalgoE8ElNS0_10empty_typeEbEEZZNS1_14partition_implILS5_8ELb0ES3_jPlPS6_PKS6_NS0_5tupleIJS9_S6_EEENSD_IJSA_SA_EEENS0_18inequality_wrapperIZN2at6native12_GLOBAL__N_124unique_dim_cuda_templateIiEESt5tupleIJNSH_6TensorESM_SM_EERKSM_lbbbEUlllE0_EEPmJS6_EEE10hipError_tPvRmT3_T4_T5_T6_T7_T9_mT8_P12ihipStream_tbDpT10_ENKUlT_T0_E_clISt17integral_constantIbLb1EES1C_EEDaS17_S18_EUlS17_E_NS1_11comp_targetILNS1_3genE2ELNS1_11target_archE906ELNS1_3gpuE6ELNS1_3repE0EEENS1_30default_config_static_selectorELNS0_4arch9wavefront6targetE0EEEvT1_,comdat
	.globl	_ZN7rocprim17ROCPRIM_400000_NS6detail17trampoline_kernelINS0_14default_configENS1_25partition_config_selectorILNS1_17partition_subalgoE8ElNS0_10empty_typeEbEEZZNS1_14partition_implILS5_8ELb0ES3_jPlPS6_PKS6_NS0_5tupleIJS9_S6_EEENSD_IJSA_SA_EEENS0_18inequality_wrapperIZN2at6native12_GLOBAL__N_124unique_dim_cuda_templateIiEESt5tupleIJNSH_6TensorESM_SM_EERKSM_lbbbEUlllE0_EEPmJS6_EEE10hipError_tPvRmT3_T4_T5_T6_T7_T9_mT8_P12ihipStream_tbDpT10_ENKUlT_T0_E_clISt17integral_constantIbLb1EES1C_EEDaS17_S18_EUlS17_E_NS1_11comp_targetILNS1_3genE2ELNS1_11target_archE906ELNS1_3gpuE6ELNS1_3repE0EEENS1_30default_config_static_selectorELNS0_4arch9wavefront6targetE0EEEvT1_ ; -- Begin function _ZN7rocprim17ROCPRIM_400000_NS6detail17trampoline_kernelINS0_14default_configENS1_25partition_config_selectorILNS1_17partition_subalgoE8ElNS0_10empty_typeEbEEZZNS1_14partition_implILS5_8ELb0ES3_jPlPS6_PKS6_NS0_5tupleIJS9_S6_EEENSD_IJSA_SA_EEENS0_18inequality_wrapperIZN2at6native12_GLOBAL__N_124unique_dim_cuda_templateIiEESt5tupleIJNSH_6TensorESM_SM_EERKSM_lbbbEUlllE0_EEPmJS6_EEE10hipError_tPvRmT3_T4_T5_T6_T7_T9_mT8_P12ihipStream_tbDpT10_ENKUlT_T0_E_clISt17integral_constantIbLb1EES1C_EEDaS17_S18_EUlS17_E_NS1_11comp_targetILNS1_3genE2ELNS1_11target_archE906ELNS1_3gpuE6ELNS1_3repE0EEENS1_30default_config_static_selectorELNS0_4arch9wavefront6targetE0EEEvT1_
	.p2align	8
	.type	_ZN7rocprim17ROCPRIM_400000_NS6detail17trampoline_kernelINS0_14default_configENS1_25partition_config_selectorILNS1_17partition_subalgoE8ElNS0_10empty_typeEbEEZZNS1_14partition_implILS5_8ELb0ES3_jPlPS6_PKS6_NS0_5tupleIJS9_S6_EEENSD_IJSA_SA_EEENS0_18inequality_wrapperIZN2at6native12_GLOBAL__N_124unique_dim_cuda_templateIiEESt5tupleIJNSH_6TensorESM_SM_EERKSM_lbbbEUlllE0_EEPmJS6_EEE10hipError_tPvRmT3_T4_T5_T6_T7_T9_mT8_P12ihipStream_tbDpT10_ENKUlT_T0_E_clISt17integral_constantIbLb1EES1C_EEDaS17_S18_EUlS17_E_NS1_11comp_targetILNS1_3genE2ELNS1_11target_archE906ELNS1_3gpuE6ELNS1_3repE0EEENS1_30default_config_static_selectorELNS0_4arch9wavefront6targetE0EEEvT1_,@function
_ZN7rocprim17ROCPRIM_400000_NS6detail17trampoline_kernelINS0_14default_configENS1_25partition_config_selectorILNS1_17partition_subalgoE8ElNS0_10empty_typeEbEEZZNS1_14partition_implILS5_8ELb0ES3_jPlPS6_PKS6_NS0_5tupleIJS9_S6_EEENSD_IJSA_SA_EEENS0_18inequality_wrapperIZN2at6native12_GLOBAL__N_124unique_dim_cuda_templateIiEESt5tupleIJNSH_6TensorESM_SM_EERKSM_lbbbEUlllE0_EEPmJS6_EEE10hipError_tPvRmT3_T4_T5_T6_T7_T9_mT8_P12ihipStream_tbDpT10_ENKUlT_T0_E_clISt17integral_constantIbLb1EES1C_EEDaS17_S18_EUlS17_E_NS1_11comp_targetILNS1_3genE2ELNS1_11target_archE906ELNS1_3gpuE6ELNS1_3repE0EEENS1_30default_config_static_selectorELNS0_4arch9wavefront6targetE0EEEvT1_: ; @_ZN7rocprim17ROCPRIM_400000_NS6detail17trampoline_kernelINS0_14default_configENS1_25partition_config_selectorILNS1_17partition_subalgoE8ElNS0_10empty_typeEbEEZZNS1_14partition_implILS5_8ELb0ES3_jPlPS6_PKS6_NS0_5tupleIJS9_S6_EEENSD_IJSA_SA_EEENS0_18inequality_wrapperIZN2at6native12_GLOBAL__N_124unique_dim_cuda_templateIiEESt5tupleIJNSH_6TensorESM_SM_EERKSM_lbbbEUlllE0_EEPmJS6_EEE10hipError_tPvRmT3_T4_T5_T6_T7_T9_mT8_P12ihipStream_tbDpT10_ENKUlT_T0_E_clISt17integral_constantIbLb1EES1C_EEDaS17_S18_EUlS17_E_NS1_11comp_targetILNS1_3genE2ELNS1_11target_archE906ELNS1_3gpuE6ELNS1_3repE0EEENS1_30default_config_static_selectorELNS0_4arch9wavefront6targetE0EEEvT1_
; %bb.0:
	.section	.rodata,"a",@progbits
	.p2align	6, 0x0
	.amdhsa_kernel _ZN7rocprim17ROCPRIM_400000_NS6detail17trampoline_kernelINS0_14default_configENS1_25partition_config_selectorILNS1_17partition_subalgoE8ElNS0_10empty_typeEbEEZZNS1_14partition_implILS5_8ELb0ES3_jPlPS6_PKS6_NS0_5tupleIJS9_S6_EEENSD_IJSA_SA_EEENS0_18inequality_wrapperIZN2at6native12_GLOBAL__N_124unique_dim_cuda_templateIiEESt5tupleIJNSH_6TensorESM_SM_EERKSM_lbbbEUlllE0_EEPmJS6_EEE10hipError_tPvRmT3_T4_T5_T6_T7_T9_mT8_P12ihipStream_tbDpT10_ENKUlT_T0_E_clISt17integral_constantIbLb1EES1C_EEDaS17_S18_EUlS17_E_NS1_11comp_targetILNS1_3genE2ELNS1_11target_archE906ELNS1_3gpuE6ELNS1_3repE0EEENS1_30default_config_static_selectorELNS0_4arch9wavefront6targetE0EEEvT1_
		.amdhsa_group_segment_fixed_size 0
		.amdhsa_private_segment_fixed_size 0
		.amdhsa_kernarg_size 136
		.amdhsa_user_sgpr_count 15
		.amdhsa_user_sgpr_dispatch_ptr 0
		.amdhsa_user_sgpr_queue_ptr 0
		.amdhsa_user_sgpr_kernarg_segment_ptr 1
		.amdhsa_user_sgpr_dispatch_id 0
		.amdhsa_user_sgpr_private_segment_size 0
		.amdhsa_wavefront_size32 1
		.amdhsa_uses_dynamic_stack 0
		.amdhsa_enable_private_segment 0
		.amdhsa_system_sgpr_workgroup_id_x 1
		.amdhsa_system_sgpr_workgroup_id_y 0
		.amdhsa_system_sgpr_workgroup_id_z 0
		.amdhsa_system_sgpr_workgroup_info 0
		.amdhsa_system_vgpr_workitem_id 0
		.amdhsa_next_free_vgpr 1
		.amdhsa_next_free_sgpr 1
		.amdhsa_reserve_vcc 0
		.amdhsa_float_round_mode_32 0
		.amdhsa_float_round_mode_16_64 0
		.amdhsa_float_denorm_mode_32 3
		.amdhsa_float_denorm_mode_16_64 3
		.amdhsa_dx10_clamp 1
		.amdhsa_ieee_mode 1
		.amdhsa_fp16_overflow 0
		.amdhsa_workgroup_processor_mode 1
		.amdhsa_memory_ordered 1
		.amdhsa_forward_progress 0
		.amdhsa_shared_vgpr_count 0
		.amdhsa_exception_fp_ieee_invalid_op 0
		.amdhsa_exception_fp_denorm_src 0
		.amdhsa_exception_fp_ieee_div_zero 0
		.amdhsa_exception_fp_ieee_overflow 0
		.amdhsa_exception_fp_ieee_underflow 0
		.amdhsa_exception_fp_ieee_inexact 0
		.amdhsa_exception_int_div_zero 0
	.end_amdhsa_kernel
	.section	.text._ZN7rocprim17ROCPRIM_400000_NS6detail17trampoline_kernelINS0_14default_configENS1_25partition_config_selectorILNS1_17partition_subalgoE8ElNS0_10empty_typeEbEEZZNS1_14partition_implILS5_8ELb0ES3_jPlPS6_PKS6_NS0_5tupleIJS9_S6_EEENSD_IJSA_SA_EEENS0_18inequality_wrapperIZN2at6native12_GLOBAL__N_124unique_dim_cuda_templateIiEESt5tupleIJNSH_6TensorESM_SM_EERKSM_lbbbEUlllE0_EEPmJS6_EEE10hipError_tPvRmT3_T4_T5_T6_T7_T9_mT8_P12ihipStream_tbDpT10_ENKUlT_T0_E_clISt17integral_constantIbLb1EES1C_EEDaS17_S18_EUlS17_E_NS1_11comp_targetILNS1_3genE2ELNS1_11target_archE906ELNS1_3gpuE6ELNS1_3repE0EEENS1_30default_config_static_selectorELNS0_4arch9wavefront6targetE0EEEvT1_,"axG",@progbits,_ZN7rocprim17ROCPRIM_400000_NS6detail17trampoline_kernelINS0_14default_configENS1_25partition_config_selectorILNS1_17partition_subalgoE8ElNS0_10empty_typeEbEEZZNS1_14partition_implILS5_8ELb0ES3_jPlPS6_PKS6_NS0_5tupleIJS9_S6_EEENSD_IJSA_SA_EEENS0_18inequality_wrapperIZN2at6native12_GLOBAL__N_124unique_dim_cuda_templateIiEESt5tupleIJNSH_6TensorESM_SM_EERKSM_lbbbEUlllE0_EEPmJS6_EEE10hipError_tPvRmT3_T4_T5_T6_T7_T9_mT8_P12ihipStream_tbDpT10_ENKUlT_T0_E_clISt17integral_constantIbLb1EES1C_EEDaS17_S18_EUlS17_E_NS1_11comp_targetILNS1_3genE2ELNS1_11target_archE906ELNS1_3gpuE6ELNS1_3repE0EEENS1_30default_config_static_selectorELNS0_4arch9wavefront6targetE0EEEvT1_,comdat
.Lfunc_end453:
	.size	_ZN7rocprim17ROCPRIM_400000_NS6detail17trampoline_kernelINS0_14default_configENS1_25partition_config_selectorILNS1_17partition_subalgoE8ElNS0_10empty_typeEbEEZZNS1_14partition_implILS5_8ELb0ES3_jPlPS6_PKS6_NS0_5tupleIJS9_S6_EEENSD_IJSA_SA_EEENS0_18inequality_wrapperIZN2at6native12_GLOBAL__N_124unique_dim_cuda_templateIiEESt5tupleIJNSH_6TensorESM_SM_EERKSM_lbbbEUlllE0_EEPmJS6_EEE10hipError_tPvRmT3_T4_T5_T6_T7_T9_mT8_P12ihipStream_tbDpT10_ENKUlT_T0_E_clISt17integral_constantIbLb1EES1C_EEDaS17_S18_EUlS17_E_NS1_11comp_targetILNS1_3genE2ELNS1_11target_archE906ELNS1_3gpuE6ELNS1_3repE0EEENS1_30default_config_static_selectorELNS0_4arch9wavefront6targetE0EEEvT1_, .Lfunc_end453-_ZN7rocprim17ROCPRIM_400000_NS6detail17trampoline_kernelINS0_14default_configENS1_25partition_config_selectorILNS1_17partition_subalgoE8ElNS0_10empty_typeEbEEZZNS1_14partition_implILS5_8ELb0ES3_jPlPS6_PKS6_NS0_5tupleIJS9_S6_EEENSD_IJSA_SA_EEENS0_18inequality_wrapperIZN2at6native12_GLOBAL__N_124unique_dim_cuda_templateIiEESt5tupleIJNSH_6TensorESM_SM_EERKSM_lbbbEUlllE0_EEPmJS6_EEE10hipError_tPvRmT3_T4_T5_T6_T7_T9_mT8_P12ihipStream_tbDpT10_ENKUlT_T0_E_clISt17integral_constantIbLb1EES1C_EEDaS17_S18_EUlS17_E_NS1_11comp_targetILNS1_3genE2ELNS1_11target_archE906ELNS1_3gpuE6ELNS1_3repE0EEENS1_30default_config_static_selectorELNS0_4arch9wavefront6targetE0EEEvT1_
                                        ; -- End function
	.section	.AMDGPU.csdata,"",@progbits
; Kernel info:
; codeLenInByte = 0
; NumSgprs: 0
; NumVgprs: 0
; ScratchSize: 0
; MemoryBound: 0
; FloatMode: 240
; IeeeMode: 1
; LDSByteSize: 0 bytes/workgroup (compile time only)
; SGPRBlocks: 0
; VGPRBlocks: 0
; NumSGPRsForWavesPerEU: 1
; NumVGPRsForWavesPerEU: 1
; Occupancy: 16
; WaveLimiterHint : 0
; COMPUTE_PGM_RSRC2:SCRATCH_EN: 0
; COMPUTE_PGM_RSRC2:USER_SGPR: 15
; COMPUTE_PGM_RSRC2:TRAP_HANDLER: 0
; COMPUTE_PGM_RSRC2:TGID_X_EN: 1
; COMPUTE_PGM_RSRC2:TGID_Y_EN: 0
; COMPUTE_PGM_RSRC2:TGID_Z_EN: 0
; COMPUTE_PGM_RSRC2:TIDIG_COMP_CNT: 0
	.section	.text._ZN7rocprim17ROCPRIM_400000_NS6detail17trampoline_kernelINS0_14default_configENS1_25partition_config_selectorILNS1_17partition_subalgoE8ElNS0_10empty_typeEbEEZZNS1_14partition_implILS5_8ELb0ES3_jPlPS6_PKS6_NS0_5tupleIJS9_S6_EEENSD_IJSA_SA_EEENS0_18inequality_wrapperIZN2at6native12_GLOBAL__N_124unique_dim_cuda_templateIiEESt5tupleIJNSH_6TensorESM_SM_EERKSM_lbbbEUlllE0_EEPmJS6_EEE10hipError_tPvRmT3_T4_T5_T6_T7_T9_mT8_P12ihipStream_tbDpT10_ENKUlT_T0_E_clISt17integral_constantIbLb1EES1C_EEDaS17_S18_EUlS17_E_NS1_11comp_targetILNS1_3genE10ELNS1_11target_archE1200ELNS1_3gpuE4ELNS1_3repE0EEENS1_30default_config_static_selectorELNS0_4arch9wavefront6targetE0EEEvT1_,"axG",@progbits,_ZN7rocprim17ROCPRIM_400000_NS6detail17trampoline_kernelINS0_14default_configENS1_25partition_config_selectorILNS1_17partition_subalgoE8ElNS0_10empty_typeEbEEZZNS1_14partition_implILS5_8ELb0ES3_jPlPS6_PKS6_NS0_5tupleIJS9_S6_EEENSD_IJSA_SA_EEENS0_18inequality_wrapperIZN2at6native12_GLOBAL__N_124unique_dim_cuda_templateIiEESt5tupleIJNSH_6TensorESM_SM_EERKSM_lbbbEUlllE0_EEPmJS6_EEE10hipError_tPvRmT3_T4_T5_T6_T7_T9_mT8_P12ihipStream_tbDpT10_ENKUlT_T0_E_clISt17integral_constantIbLb1EES1C_EEDaS17_S18_EUlS17_E_NS1_11comp_targetILNS1_3genE10ELNS1_11target_archE1200ELNS1_3gpuE4ELNS1_3repE0EEENS1_30default_config_static_selectorELNS0_4arch9wavefront6targetE0EEEvT1_,comdat
	.globl	_ZN7rocprim17ROCPRIM_400000_NS6detail17trampoline_kernelINS0_14default_configENS1_25partition_config_selectorILNS1_17partition_subalgoE8ElNS0_10empty_typeEbEEZZNS1_14partition_implILS5_8ELb0ES3_jPlPS6_PKS6_NS0_5tupleIJS9_S6_EEENSD_IJSA_SA_EEENS0_18inequality_wrapperIZN2at6native12_GLOBAL__N_124unique_dim_cuda_templateIiEESt5tupleIJNSH_6TensorESM_SM_EERKSM_lbbbEUlllE0_EEPmJS6_EEE10hipError_tPvRmT3_T4_T5_T6_T7_T9_mT8_P12ihipStream_tbDpT10_ENKUlT_T0_E_clISt17integral_constantIbLb1EES1C_EEDaS17_S18_EUlS17_E_NS1_11comp_targetILNS1_3genE10ELNS1_11target_archE1200ELNS1_3gpuE4ELNS1_3repE0EEENS1_30default_config_static_selectorELNS0_4arch9wavefront6targetE0EEEvT1_ ; -- Begin function _ZN7rocprim17ROCPRIM_400000_NS6detail17trampoline_kernelINS0_14default_configENS1_25partition_config_selectorILNS1_17partition_subalgoE8ElNS0_10empty_typeEbEEZZNS1_14partition_implILS5_8ELb0ES3_jPlPS6_PKS6_NS0_5tupleIJS9_S6_EEENSD_IJSA_SA_EEENS0_18inequality_wrapperIZN2at6native12_GLOBAL__N_124unique_dim_cuda_templateIiEESt5tupleIJNSH_6TensorESM_SM_EERKSM_lbbbEUlllE0_EEPmJS6_EEE10hipError_tPvRmT3_T4_T5_T6_T7_T9_mT8_P12ihipStream_tbDpT10_ENKUlT_T0_E_clISt17integral_constantIbLb1EES1C_EEDaS17_S18_EUlS17_E_NS1_11comp_targetILNS1_3genE10ELNS1_11target_archE1200ELNS1_3gpuE4ELNS1_3repE0EEENS1_30default_config_static_selectorELNS0_4arch9wavefront6targetE0EEEvT1_
	.p2align	8
	.type	_ZN7rocprim17ROCPRIM_400000_NS6detail17trampoline_kernelINS0_14default_configENS1_25partition_config_selectorILNS1_17partition_subalgoE8ElNS0_10empty_typeEbEEZZNS1_14partition_implILS5_8ELb0ES3_jPlPS6_PKS6_NS0_5tupleIJS9_S6_EEENSD_IJSA_SA_EEENS0_18inequality_wrapperIZN2at6native12_GLOBAL__N_124unique_dim_cuda_templateIiEESt5tupleIJNSH_6TensorESM_SM_EERKSM_lbbbEUlllE0_EEPmJS6_EEE10hipError_tPvRmT3_T4_T5_T6_T7_T9_mT8_P12ihipStream_tbDpT10_ENKUlT_T0_E_clISt17integral_constantIbLb1EES1C_EEDaS17_S18_EUlS17_E_NS1_11comp_targetILNS1_3genE10ELNS1_11target_archE1200ELNS1_3gpuE4ELNS1_3repE0EEENS1_30default_config_static_selectorELNS0_4arch9wavefront6targetE0EEEvT1_,@function
_ZN7rocprim17ROCPRIM_400000_NS6detail17trampoline_kernelINS0_14default_configENS1_25partition_config_selectorILNS1_17partition_subalgoE8ElNS0_10empty_typeEbEEZZNS1_14partition_implILS5_8ELb0ES3_jPlPS6_PKS6_NS0_5tupleIJS9_S6_EEENSD_IJSA_SA_EEENS0_18inequality_wrapperIZN2at6native12_GLOBAL__N_124unique_dim_cuda_templateIiEESt5tupleIJNSH_6TensorESM_SM_EERKSM_lbbbEUlllE0_EEPmJS6_EEE10hipError_tPvRmT3_T4_T5_T6_T7_T9_mT8_P12ihipStream_tbDpT10_ENKUlT_T0_E_clISt17integral_constantIbLb1EES1C_EEDaS17_S18_EUlS17_E_NS1_11comp_targetILNS1_3genE10ELNS1_11target_archE1200ELNS1_3gpuE4ELNS1_3repE0EEENS1_30default_config_static_selectorELNS0_4arch9wavefront6targetE0EEEvT1_: ; @_ZN7rocprim17ROCPRIM_400000_NS6detail17trampoline_kernelINS0_14default_configENS1_25partition_config_selectorILNS1_17partition_subalgoE8ElNS0_10empty_typeEbEEZZNS1_14partition_implILS5_8ELb0ES3_jPlPS6_PKS6_NS0_5tupleIJS9_S6_EEENSD_IJSA_SA_EEENS0_18inequality_wrapperIZN2at6native12_GLOBAL__N_124unique_dim_cuda_templateIiEESt5tupleIJNSH_6TensorESM_SM_EERKSM_lbbbEUlllE0_EEPmJS6_EEE10hipError_tPvRmT3_T4_T5_T6_T7_T9_mT8_P12ihipStream_tbDpT10_ENKUlT_T0_E_clISt17integral_constantIbLb1EES1C_EEDaS17_S18_EUlS17_E_NS1_11comp_targetILNS1_3genE10ELNS1_11target_archE1200ELNS1_3gpuE4ELNS1_3repE0EEENS1_30default_config_static_selectorELNS0_4arch9wavefront6targetE0EEEvT1_
; %bb.0:
	.section	.rodata,"a",@progbits
	.p2align	6, 0x0
	.amdhsa_kernel _ZN7rocprim17ROCPRIM_400000_NS6detail17trampoline_kernelINS0_14default_configENS1_25partition_config_selectorILNS1_17partition_subalgoE8ElNS0_10empty_typeEbEEZZNS1_14partition_implILS5_8ELb0ES3_jPlPS6_PKS6_NS0_5tupleIJS9_S6_EEENSD_IJSA_SA_EEENS0_18inequality_wrapperIZN2at6native12_GLOBAL__N_124unique_dim_cuda_templateIiEESt5tupleIJNSH_6TensorESM_SM_EERKSM_lbbbEUlllE0_EEPmJS6_EEE10hipError_tPvRmT3_T4_T5_T6_T7_T9_mT8_P12ihipStream_tbDpT10_ENKUlT_T0_E_clISt17integral_constantIbLb1EES1C_EEDaS17_S18_EUlS17_E_NS1_11comp_targetILNS1_3genE10ELNS1_11target_archE1200ELNS1_3gpuE4ELNS1_3repE0EEENS1_30default_config_static_selectorELNS0_4arch9wavefront6targetE0EEEvT1_
		.amdhsa_group_segment_fixed_size 0
		.amdhsa_private_segment_fixed_size 0
		.amdhsa_kernarg_size 136
		.amdhsa_user_sgpr_count 15
		.amdhsa_user_sgpr_dispatch_ptr 0
		.amdhsa_user_sgpr_queue_ptr 0
		.amdhsa_user_sgpr_kernarg_segment_ptr 1
		.amdhsa_user_sgpr_dispatch_id 0
		.amdhsa_user_sgpr_private_segment_size 0
		.amdhsa_wavefront_size32 1
		.amdhsa_uses_dynamic_stack 0
		.amdhsa_enable_private_segment 0
		.amdhsa_system_sgpr_workgroup_id_x 1
		.amdhsa_system_sgpr_workgroup_id_y 0
		.amdhsa_system_sgpr_workgroup_id_z 0
		.amdhsa_system_sgpr_workgroup_info 0
		.amdhsa_system_vgpr_workitem_id 0
		.amdhsa_next_free_vgpr 1
		.amdhsa_next_free_sgpr 1
		.amdhsa_reserve_vcc 0
		.amdhsa_float_round_mode_32 0
		.amdhsa_float_round_mode_16_64 0
		.amdhsa_float_denorm_mode_32 3
		.amdhsa_float_denorm_mode_16_64 3
		.amdhsa_dx10_clamp 1
		.amdhsa_ieee_mode 1
		.amdhsa_fp16_overflow 0
		.amdhsa_workgroup_processor_mode 1
		.amdhsa_memory_ordered 1
		.amdhsa_forward_progress 0
		.amdhsa_shared_vgpr_count 0
		.amdhsa_exception_fp_ieee_invalid_op 0
		.amdhsa_exception_fp_denorm_src 0
		.amdhsa_exception_fp_ieee_div_zero 0
		.amdhsa_exception_fp_ieee_overflow 0
		.amdhsa_exception_fp_ieee_underflow 0
		.amdhsa_exception_fp_ieee_inexact 0
		.amdhsa_exception_int_div_zero 0
	.end_amdhsa_kernel
	.section	.text._ZN7rocprim17ROCPRIM_400000_NS6detail17trampoline_kernelINS0_14default_configENS1_25partition_config_selectorILNS1_17partition_subalgoE8ElNS0_10empty_typeEbEEZZNS1_14partition_implILS5_8ELb0ES3_jPlPS6_PKS6_NS0_5tupleIJS9_S6_EEENSD_IJSA_SA_EEENS0_18inequality_wrapperIZN2at6native12_GLOBAL__N_124unique_dim_cuda_templateIiEESt5tupleIJNSH_6TensorESM_SM_EERKSM_lbbbEUlllE0_EEPmJS6_EEE10hipError_tPvRmT3_T4_T5_T6_T7_T9_mT8_P12ihipStream_tbDpT10_ENKUlT_T0_E_clISt17integral_constantIbLb1EES1C_EEDaS17_S18_EUlS17_E_NS1_11comp_targetILNS1_3genE10ELNS1_11target_archE1200ELNS1_3gpuE4ELNS1_3repE0EEENS1_30default_config_static_selectorELNS0_4arch9wavefront6targetE0EEEvT1_,"axG",@progbits,_ZN7rocprim17ROCPRIM_400000_NS6detail17trampoline_kernelINS0_14default_configENS1_25partition_config_selectorILNS1_17partition_subalgoE8ElNS0_10empty_typeEbEEZZNS1_14partition_implILS5_8ELb0ES3_jPlPS6_PKS6_NS0_5tupleIJS9_S6_EEENSD_IJSA_SA_EEENS0_18inequality_wrapperIZN2at6native12_GLOBAL__N_124unique_dim_cuda_templateIiEESt5tupleIJNSH_6TensorESM_SM_EERKSM_lbbbEUlllE0_EEPmJS6_EEE10hipError_tPvRmT3_T4_T5_T6_T7_T9_mT8_P12ihipStream_tbDpT10_ENKUlT_T0_E_clISt17integral_constantIbLb1EES1C_EEDaS17_S18_EUlS17_E_NS1_11comp_targetILNS1_3genE10ELNS1_11target_archE1200ELNS1_3gpuE4ELNS1_3repE0EEENS1_30default_config_static_selectorELNS0_4arch9wavefront6targetE0EEEvT1_,comdat
.Lfunc_end454:
	.size	_ZN7rocprim17ROCPRIM_400000_NS6detail17trampoline_kernelINS0_14default_configENS1_25partition_config_selectorILNS1_17partition_subalgoE8ElNS0_10empty_typeEbEEZZNS1_14partition_implILS5_8ELb0ES3_jPlPS6_PKS6_NS0_5tupleIJS9_S6_EEENSD_IJSA_SA_EEENS0_18inequality_wrapperIZN2at6native12_GLOBAL__N_124unique_dim_cuda_templateIiEESt5tupleIJNSH_6TensorESM_SM_EERKSM_lbbbEUlllE0_EEPmJS6_EEE10hipError_tPvRmT3_T4_T5_T6_T7_T9_mT8_P12ihipStream_tbDpT10_ENKUlT_T0_E_clISt17integral_constantIbLb1EES1C_EEDaS17_S18_EUlS17_E_NS1_11comp_targetILNS1_3genE10ELNS1_11target_archE1200ELNS1_3gpuE4ELNS1_3repE0EEENS1_30default_config_static_selectorELNS0_4arch9wavefront6targetE0EEEvT1_, .Lfunc_end454-_ZN7rocprim17ROCPRIM_400000_NS6detail17trampoline_kernelINS0_14default_configENS1_25partition_config_selectorILNS1_17partition_subalgoE8ElNS0_10empty_typeEbEEZZNS1_14partition_implILS5_8ELb0ES3_jPlPS6_PKS6_NS0_5tupleIJS9_S6_EEENSD_IJSA_SA_EEENS0_18inequality_wrapperIZN2at6native12_GLOBAL__N_124unique_dim_cuda_templateIiEESt5tupleIJNSH_6TensorESM_SM_EERKSM_lbbbEUlllE0_EEPmJS6_EEE10hipError_tPvRmT3_T4_T5_T6_T7_T9_mT8_P12ihipStream_tbDpT10_ENKUlT_T0_E_clISt17integral_constantIbLb1EES1C_EEDaS17_S18_EUlS17_E_NS1_11comp_targetILNS1_3genE10ELNS1_11target_archE1200ELNS1_3gpuE4ELNS1_3repE0EEENS1_30default_config_static_selectorELNS0_4arch9wavefront6targetE0EEEvT1_
                                        ; -- End function
	.section	.AMDGPU.csdata,"",@progbits
; Kernel info:
; codeLenInByte = 0
; NumSgprs: 0
; NumVgprs: 0
; ScratchSize: 0
; MemoryBound: 0
; FloatMode: 240
; IeeeMode: 1
; LDSByteSize: 0 bytes/workgroup (compile time only)
; SGPRBlocks: 0
; VGPRBlocks: 0
; NumSGPRsForWavesPerEU: 1
; NumVGPRsForWavesPerEU: 1
; Occupancy: 15
; WaveLimiterHint : 0
; COMPUTE_PGM_RSRC2:SCRATCH_EN: 0
; COMPUTE_PGM_RSRC2:USER_SGPR: 15
; COMPUTE_PGM_RSRC2:TRAP_HANDLER: 0
; COMPUTE_PGM_RSRC2:TGID_X_EN: 1
; COMPUTE_PGM_RSRC2:TGID_Y_EN: 0
; COMPUTE_PGM_RSRC2:TGID_Z_EN: 0
; COMPUTE_PGM_RSRC2:TIDIG_COMP_CNT: 0
	.section	.text._ZN7rocprim17ROCPRIM_400000_NS6detail17trampoline_kernelINS0_14default_configENS1_25partition_config_selectorILNS1_17partition_subalgoE8ElNS0_10empty_typeEbEEZZNS1_14partition_implILS5_8ELb0ES3_jPlPS6_PKS6_NS0_5tupleIJS9_S6_EEENSD_IJSA_SA_EEENS0_18inequality_wrapperIZN2at6native12_GLOBAL__N_124unique_dim_cuda_templateIiEESt5tupleIJNSH_6TensorESM_SM_EERKSM_lbbbEUlllE0_EEPmJS6_EEE10hipError_tPvRmT3_T4_T5_T6_T7_T9_mT8_P12ihipStream_tbDpT10_ENKUlT_T0_E_clISt17integral_constantIbLb1EES1C_EEDaS17_S18_EUlS17_E_NS1_11comp_targetILNS1_3genE9ELNS1_11target_archE1100ELNS1_3gpuE3ELNS1_3repE0EEENS1_30default_config_static_selectorELNS0_4arch9wavefront6targetE0EEEvT1_,"axG",@progbits,_ZN7rocprim17ROCPRIM_400000_NS6detail17trampoline_kernelINS0_14default_configENS1_25partition_config_selectorILNS1_17partition_subalgoE8ElNS0_10empty_typeEbEEZZNS1_14partition_implILS5_8ELb0ES3_jPlPS6_PKS6_NS0_5tupleIJS9_S6_EEENSD_IJSA_SA_EEENS0_18inequality_wrapperIZN2at6native12_GLOBAL__N_124unique_dim_cuda_templateIiEESt5tupleIJNSH_6TensorESM_SM_EERKSM_lbbbEUlllE0_EEPmJS6_EEE10hipError_tPvRmT3_T4_T5_T6_T7_T9_mT8_P12ihipStream_tbDpT10_ENKUlT_T0_E_clISt17integral_constantIbLb1EES1C_EEDaS17_S18_EUlS17_E_NS1_11comp_targetILNS1_3genE9ELNS1_11target_archE1100ELNS1_3gpuE3ELNS1_3repE0EEENS1_30default_config_static_selectorELNS0_4arch9wavefront6targetE0EEEvT1_,comdat
	.globl	_ZN7rocprim17ROCPRIM_400000_NS6detail17trampoline_kernelINS0_14default_configENS1_25partition_config_selectorILNS1_17partition_subalgoE8ElNS0_10empty_typeEbEEZZNS1_14partition_implILS5_8ELb0ES3_jPlPS6_PKS6_NS0_5tupleIJS9_S6_EEENSD_IJSA_SA_EEENS0_18inequality_wrapperIZN2at6native12_GLOBAL__N_124unique_dim_cuda_templateIiEESt5tupleIJNSH_6TensorESM_SM_EERKSM_lbbbEUlllE0_EEPmJS6_EEE10hipError_tPvRmT3_T4_T5_T6_T7_T9_mT8_P12ihipStream_tbDpT10_ENKUlT_T0_E_clISt17integral_constantIbLb1EES1C_EEDaS17_S18_EUlS17_E_NS1_11comp_targetILNS1_3genE9ELNS1_11target_archE1100ELNS1_3gpuE3ELNS1_3repE0EEENS1_30default_config_static_selectorELNS0_4arch9wavefront6targetE0EEEvT1_ ; -- Begin function _ZN7rocprim17ROCPRIM_400000_NS6detail17trampoline_kernelINS0_14default_configENS1_25partition_config_selectorILNS1_17partition_subalgoE8ElNS0_10empty_typeEbEEZZNS1_14partition_implILS5_8ELb0ES3_jPlPS6_PKS6_NS0_5tupleIJS9_S6_EEENSD_IJSA_SA_EEENS0_18inequality_wrapperIZN2at6native12_GLOBAL__N_124unique_dim_cuda_templateIiEESt5tupleIJNSH_6TensorESM_SM_EERKSM_lbbbEUlllE0_EEPmJS6_EEE10hipError_tPvRmT3_T4_T5_T6_T7_T9_mT8_P12ihipStream_tbDpT10_ENKUlT_T0_E_clISt17integral_constantIbLb1EES1C_EEDaS17_S18_EUlS17_E_NS1_11comp_targetILNS1_3genE9ELNS1_11target_archE1100ELNS1_3gpuE3ELNS1_3repE0EEENS1_30default_config_static_selectorELNS0_4arch9wavefront6targetE0EEEvT1_
	.p2align	8
	.type	_ZN7rocprim17ROCPRIM_400000_NS6detail17trampoline_kernelINS0_14default_configENS1_25partition_config_selectorILNS1_17partition_subalgoE8ElNS0_10empty_typeEbEEZZNS1_14partition_implILS5_8ELb0ES3_jPlPS6_PKS6_NS0_5tupleIJS9_S6_EEENSD_IJSA_SA_EEENS0_18inequality_wrapperIZN2at6native12_GLOBAL__N_124unique_dim_cuda_templateIiEESt5tupleIJNSH_6TensorESM_SM_EERKSM_lbbbEUlllE0_EEPmJS6_EEE10hipError_tPvRmT3_T4_T5_T6_T7_T9_mT8_P12ihipStream_tbDpT10_ENKUlT_T0_E_clISt17integral_constantIbLb1EES1C_EEDaS17_S18_EUlS17_E_NS1_11comp_targetILNS1_3genE9ELNS1_11target_archE1100ELNS1_3gpuE3ELNS1_3repE0EEENS1_30default_config_static_selectorELNS0_4arch9wavefront6targetE0EEEvT1_,@function
_ZN7rocprim17ROCPRIM_400000_NS6detail17trampoline_kernelINS0_14default_configENS1_25partition_config_selectorILNS1_17partition_subalgoE8ElNS0_10empty_typeEbEEZZNS1_14partition_implILS5_8ELb0ES3_jPlPS6_PKS6_NS0_5tupleIJS9_S6_EEENSD_IJSA_SA_EEENS0_18inequality_wrapperIZN2at6native12_GLOBAL__N_124unique_dim_cuda_templateIiEESt5tupleIJNSH_6TensorESM_SM_EERKSM_lbbbEUlllE0_EEPmJS6_EEE10hipError_tPvRmT3_T4_T5_T6_T7_T9_mT8_P12ihipStream_tbDpT10_ENKUlT_T0_E_clISt17integral_constantIbLb1EES1C_EEDaS17_S18_EUlS17_E_NS1_11comp_targetILNS1_3genE9ELNS1_11target_archE1100ELNS1_3gpuE3ELNS1_3repE0EEENS1_30default_config_static_selectorELNS0_4arch9wavefront6targetE0EEEvT1_: ; @_ZN7rocprim17ROCPRIM_400000_NS6detail17trampoline_kernelINS0_14default_configENS1_25partition_config_selectorILNS1_17partition_subalgoE8ElNS0_10empty_typeEbEEZZNS1_14partition_implILS5_8ELb0ES3_jPlPS6_PKS6_NS0_5tupleIJS9_S6_EEENSD_IJSA_SA_EEENS0_18inequality_wrapperIZN2at6native12_GLOBAL__N_124unique_dim_cuda_templateIiEESt5tupleIJNSH_6TensorESM_SM_EERKSM_lbbbEUlllE0_EEPmJS6_EEE10hipError_tPvRmT3_T4_T5_T6_T7_T9_mT8_P12ihipStream_tbDpT10_ENKUlT_T0_E_clISt17integral_constantIbLb1EES1C_EEDaS17_S18_EUlS17_E_NS1_11comp_targetILNS1_3genE9ELNS1_11target_archE1100ELNS1_3gpuE3ELNS1_3repE0EEENS1_30default_config_static_selectorELNS0_4arch9wavefront6targetE0EEEvT1_
; %bb.0:
	s_clause 0x2
	s_load_b64 s[20:21], s[0:1], 0x28
	s_load_b256 s[8:15], s[0:1], 0x40
	s_load_b128 s[16:19], s[0:1], 0x60
	v_cmp_ne_u32_e64 s3, 0, v0
	v_cmp_eq_u32_e64 s2, 0, v0
	s_delay_alu instid0(VALU_DEP_1)
	s_and_saveexec_b32 s4, s2
	s_cbranch_execz .LBB455_4
; %bb.1:
	s_mov_b32 s6, exec_lo
	s_mov_b32 s5, exec_lo
	v_mbcnt_lo_u32_b32 v1, s6, 0
                                        ; implicit-def: $vgpr2
	s_delay_alu instid0(VALU_DEP_1)
	v_cmpx_eq_u32_e32 0, v1
	s_cbranch_execz .LBB455_3
; %bb.2:
	s_load_b64 s[22:23], s[0:1], 0x78
	s_bcnt1_i32_b32 s6, s6
	s_delay_alu instid0(SALU_CYCLE_1)
	v_dual_mov_b32 v2, 0 :: v_dual_mov_b32 v3, s6
	s_waitcnt lgkmcnt(0)
	global_atomic_add_u32 v2, v2, v3, s[22:23] glc
.LBB455_3:
	s_or_b32 exec_lo, exec_lo, s5
	s_waitcnt vmcnt(0)
	v_readfirstlane_b32 s5, v2
	s_delay_alu instid0(VALU_DEP_1)
	v_dual_mov_b32 v2, 0 :: v_dual_add_nc_u32 v1, s5, v1
	ds_store_b32 v2, v1
.LBB455_4:
	s_or_b32 exec_lo, exec_lo, s4
	v_dual_mov_b32 v2, 0 :: v_dual_lshlrev_b32 v39, 3, v0
	s_clause 0x1
	s_load_b128 s[4:7], s[0:1], 0x8
	s_load_b32 s0, s[0:1], 0x70
	s_waitcnt lgkmcnt(0)
	s_barrier
	buffer_gl0_inv
	ds_load_b32 v1, v2
	s_waitcnt lgkmcnt(0)
	s_barrier
	buffer_gl0_inv
	global_load_b64 v[3:4], v2, s[10:11]
	v_lshrrev_b32_e32 v19, 2, v0
	v_or_b32_e32 v26, 0x200, v0
	v_or_b32_e32 v25, 0x400, v0
	;; [unrolled: 1-line block ×7, first 2 shown]
	s_lshl_b64 s[10:11], s[6:7], 3
	s_delay_alu instid0(SALU_CYCLE_1)
	s_add_u32 s10, s4, s10
	s_addc_u32 s11, s5, s11
	s_add_i32 s1, s0, -1
	v_readfirstlane_b32 s23, v1
	s_lshl_b32 s4, s1, 12
	v_lshlrev_b32_e32 v1, 12, v1
	s_lshl_b32 s5, s0, 12
	s_add_i32 s0, s6, s4
	s_add_u32 s4, s6, s5
	s_addc_u32 s5, s7, 0
	v_lshlrev_b64 v[1:2], 3, v[1:2]
	v_cmp_ge_u64_e64 s4, s[4:5], s[12:13]
	s_cmp_eq_u32 s23, s1
	s_cselect_b32 s13, -1, 0
	s_delay_alu instid0(VALU_DEP_2) | instskip(NEXT) | instid1(VALU_DEP_2)
	v_add_co_u32 v17, vcc_lo, s10, v1
	s_and_b32 s1, s4, s13
	v_add_co_ci_u32_e32 v18, vcc_lo, s11, v2, vcc_lo
	s_xor_b32 s22, s1, -1
	s_mov_b32 s4, -1
	s_and_b32 vcc_lo, exec_lo, s22
	s_waitcnt vmcnt(0)
	v_readfirstlane_b32 s10, v3
	v_readfirstlane_b32 s11, v4
	s_cbranch_vccz .LBB455_6
; %bb.5:
	v_add_co_u32 v9, vcc_lo, v17, v39
	v_add_co_ci_u32_e32 v10, vcc_lo, 0, v18, vcc_lo
	v_readfirstlane_b32 s4, v17
	s_delay_alu instid0(VALU_DEP_3) | instskip(NEXT) | instid1(VALU_DEP_3)
	v_add_co_u32 v3, vcc_lo, v9, 0x2000
	v_add_co_ci_u32_e32 v4, vcc_lo, 0, v10, vcc_lo
	v_add_co_u32 v5, vcc_lo, v9, 0x4000
	v_add_co_ci_u32_e32 v6, vcc_lo, 0, v10, vcc_lo
	v_add_co_u32 v7, vcc_lo, v9, 0x6000
	v_readfirstlane_b32 s5, v18
	v_add_co_ci_u32_e32 v8, vcc_lo, 0, v10, vcc_lo
	v_add_co_u32 v9, vcc_lo, 0x7000, v9
	v_add_co_ci_u32_e32 v10, vcc_lo, 0, v10, vcc_lo
	s_clause 0x7
	global_load_b64 v[1:2], v39, s[4:5]
	global_load_b64 v[11:12], v[3:4], off offset:-4096
	global_load_b64 v[3:4], v[3:4], off
	global_load_b64 v[13:14], v[5:6], off offset:-4096
	global_load_b64 v[5:6], v[5:6], off
	;; [unrolled: 2-line block ×3, first 2 shown]
	global_load_b64 v[9:10], v[9:10], off
	v_lshrrev_b32_e32 v28, 2, v26
	v_lshrrev_b32_e32 v29, 2, v25
	;; [unrolled: 1-line block ×4, first 2 shown]
	v_and_b32_e32 v27, 0x78, v19
	v_lshrrev_b32_e32 v32, 2, v22
	v_lshrrev_b32_e32 v33, 2, v21
	;; [unrolled: 1-line block ×3, first 2 shown]
	v_and_b32_e32 v28, 0xf8, v28
	v_and_b32_e32 v29, 0x178, v29
	;; [unrolled: 1-line block ×4, first 2 shown]
	v_add_nc_u32_e32 v27, v27, v39
	v_and_b32_e32 v32, 0x2f8, v32
	v_and_b32_e32 v33, 0x378, v33
	;; [unrolled: 1-line block ×3, first 2 shown]
	v_add_nc_u32_e32 v28, v28, v39
	v_add_nc_u32_e32 v29, v29, v39
	;; [unrolled: 1-line block ×4, first 2 shown]
	s_mov_b32 s4, 0
	v_add_nc_u32_e32 v32, v32, v39
	v_add_nc_u32_e32 v33, v33, v39
	;; [unrolled: 1-line block ×3, first 2 shown]
	s_waitcnt vmcnt(7)
	ds_store_b64 v27, v[1:2]
	s_waitcnt vmcnt(6)
	ds_store_b64 v28, v[11:12] offset:4096
	s_waitcnt vmcnt(5)
	ds_store_b64 v29, v[3:4] offset:8192
	;; [unrolled: 2-line block ×7, first 2 shown]
	s_waitcnt lgkmcnt(0)
	s_barrier
.LBB455_6:
	s_and_not1_b32 vcc_lo, exec_lo, s4
	s_sub_i32 s12, s12, s0
	s_cbranch_vccnz .LBB455_17
; %bb.7:
	s_mov_b32 s0, exec_lo
                                        ; implicit-def: $vgpr1_vgpr2_vgpr3_vgpr4_vgpr5_vgpr6_vgpr7_vgpr8_vgpr9_vgpr10_vgpr11_vgpr12_vgpr13_vgpr14_vgpr15_vgpr16
	v_cmpx_gt_u32_e64 s12, v0
	s_cbranch_execnz .LBB455_27
; %bb.8:
	s_or_b32 exec_lo, exec_lo, s0
	s_delay_alu instid0(SALU_CYCLE_1)
	s_mov_b32 s0, exec_lo
	v_cmpx_gt_u32_e64 s12, v26
	s_cbranch_execnz .LBB455_28
.LBB455_9:
	s_or_b32 exec_lo, exec_lo, s0
	s_delay_alu instid0(SALU_CYCLE_1)
	s_mov_b32 s0, exec_lo
	v_cmpx_gt_u32_e64 s12, v25
	s_cbranch_execnz .LBB455_29
.LBB455_10:
	s_or_b32 exec_lo, exec_lo, s0
	s_delay_alu instid0(SALU_CYCLE_1)
	s_mov_b32 s0, exec_lo
	v_cmpx_gt_u32_e64 s12, v24
	s_cbranch_execnz .LBB455_30
.LBB455_11:
	s_or_b32 exec_lo, exec_lo, s0
	s_delay_alu instid0(SALU_CYCLE_1)
	s_mov_b32 s0, exec_lo
	v_cmpx_gt_u32_e64 s12, v23
	s_cbranch_execnz .LBB455_31
.LBB455_12:
	s_or_b32 exec_lo, exec_lo, s0
	s_delay_alu instid0(SALU_CYCLE_1)
	s_mov_b32 s0, exec_lo
	v_cmpx_gt_u32_e64 s12, v22
	s_cbranch_execnz .LBB455_32
.LBB455_13:
	s_or_b32 exec_lo, exec_lo, s0
	s_delay_alu instid0(SALU_CYCLE_1)
	s_mov_b32 s0, exec_lo
	v_cmpx_gt_u32_e64 s12, v21
	s_cbranch_execnz .LBB455_33
.LBB455_14:
	s_or_b32 exec_lo, exec_lo, s0
	s_delay_alu instid0(SALU_CYCLE_1)
	s_mov_b32 s0, exec_lo
	v_cmpx_gt_u32_e64 s12, v20
	s_cbranch_execz .LBB455_16
.LBB455_15:
	v_lshlrev_b32_e32 v15, 3, v20
	v_readfirstlane_b32 s4, v17
	v_readfirstlane_b32 s5, v18
	global_load_b64 v[15:16], v15, s[4:5]
.LBB455_16:
	s_or_b32 exec_lo, exec_lo, s0
	v_lshrrev_b32_e32 v26, 2, v26
	v_lshrrev_b32_e32 v25, 2, v25
	v_lshrrev_b32_e32 v24, 2, v24
	v_lshrrev_b32_e32 v23, 2, v23
	v_and_b32_e32 v27, 0x78, v19
	v_lshrrev_b32_e32 v22, 2, v22
	v_lshrrev_b32_e32 v21, 2, v21
	;; [unrolled: 1-line block ×3, first 2 shown]
	v_and_b32_e32 v26, 0xf8, v26
	v_and_b32_e32 v25, 0x1f8, v25
	;; [unrolled: 1-line block ×4, first 2 shown]
	v_add_nc_u32_e32 v27, v27, v39
	v_and_b32_e32 v22, 0x3f8, v22
	v_and_b32_e32 v21, 0x3f8, v21
	;; [unrolled: 1-line block ×3, first 2 shown]
	v_add_nc_u32_e32 v26, v26, v39
	v_add_nc_u32_e32 v25, v25, v39
	;; [unrolled: 1-line block ×7, first 2 shown]
	s_waitcnt vmcnt(0)
	ds_store_b64 v27, v[1:2]
	ds_store_b64 v26, v[3:4] offset:4096
	ds_store_b64 v25, v[5:6] offset:8192
	;; [unrolled: 1-line block ×7, first 2 shown]
	s_waitcnt lgkmcnt(0)
	s_barrier
.LBB455_17:
	v_add_lshl_u32 v1, v19, v39, 3
	buffer_gl0_inv
	s_cmp_lg_u32 s23, 0
	v_cmp_gt_i64_e64 s26, s[14:15], 0
	s_cselect_b32 s24, -1, 0
	ds_load_2addr_b64 v[13:16], v1 offset1:1
	ds_load_2addr_b64 v[9:12], v1 offset0:2 offset1:3
	ds_load_2addr_b64 v[5:8], v1 offset0:4 offset1:5
	ds_load_2addr_b64 v[1:4], v1 offset0:6 offset1:7
	s_cmp_lg_u64 s[6:7], 0
	s_mov_b32 s25, 0
	s_cselect_b32 s0, -1, 0
	s_waitcnt lgkmcnt(0)
	s_or_b32 s0, s0, s24
	s_barrier
	s_and_b32 vcc_lo, exec_lo, s0
	buffer_gl0_inv
	s_cbranch_vccz .LBB455_26
; %bb.18:
	global_load_b64 v[17:18], v[17:18], off offset:-8
	v_cndmask_b32_e64 v27, 0, 1, s26
	s_and_b32 vcc_lo, exec_lo, s22
	ds_store_b64 v39, v[3:4]
	v_cmp_ne_u32_e64 s0, 1, v27
	s_cbranch_vccz .LBB455_34
; %bb.19:
	v_mul_lo_u32 v21, v2, s14
	v_mul_lo_u32 v22, v1, s15
	v_mad_u64_u32 v[19:20], null, v1, s14, 0
	s_and_b32 vcc_lo, exec_lo, s0
	s_mov_b32 s27, 0
	s_delay_alu instid0(VALU_DEP_1) | instskip(NEXT) | instid1(VALU_DEP_1)
	v_add3_u32 v20, v20, v22, v21
	v_lshlrev_b64 v[19:20], 2, v[19:20]
	s_cbranch_vccnz .LBB455_37
; %bb.20:
	v_mul_lo_u32 v23, v4, s14
	v_mul_lo_u32 v24, v3, s15
	v_mad_u64_u32 v[21:22], null, v3, s14, 0
	s_mov_b32 s27, -1
	s_mov_b32 s28, exec_lo
	s_delay_alu instid0(VALU_DEP_1) | instskip(SKIP_2) | instid1(VALU_DEP_3)
	v_add3_u32 v22, v22, v24, v23
	v_add_co_u32 v23, vcc_lo, s16, v19
	v_add_co_ci_u32_e32 v24, vcc_lo, s17, v20, vcc_lo
	v_lshlrev_b64 v[21:22], 2, v[21:22]
	s_delay_alu instid0(VALU_DEP_1) | instskip(NEXT) | instid1(VALU_DEP_2)
	v_add_co_u32 v21, vcc_lo, s16, v21
	v_add_co_ci_u32_e32 v22, vcc_lo, s17, v22, vcc_lo
	s_clause 0x1
	global_load_b32 v25, v[23:24], off
	global_load_b32 v26, v[21:22], off
	s_waitcnt vmcnt(0)
	v_cmpx_eq_u32_e64 v25, v26
	s_cbranch_execz .LBB455_36
; %bb.21:
	v_add_co_u32 v21, vcc_lo, v21, 4
	v_add_co_ci_u32_e32 v22, vcc_lo, 0, v22, vcc_lo
	v_add_co_u32 v23, vcc_lo, v23, 4
	v_add_co_ci_u32_e32 v24, vcc_lo, 0, v24, vcc_lo
	s_add_u32 s4, s14, -1
	s_addc_u32 s5, s15, -1
	s_mov_b64 s[6:7], 0
	s_mov_b32 s27, 0
                                        ; implicit-def: $sgpr29
	s_set_inst_prefetch_distance 0x1
	s_branch .LBB455_24
	.p2align	6
.LBB455_22:                             ;   in Loop: Header=BB455_24 Depth=1
	global_load_b32 v25, v[23:24], off
	global_load_b32 v26, v[21:22], off
	v_add_co_u32 v21, vcc_lo, v21, 4
	v_add_co_ci_u32_e32 v22, vcc_lo, 0, v22, vcc_lo
	v_add_co_u32 v23, s0, v23, 4
	s_delay_alu instid0(VALU_DEP_1)
	v_add_co_ci_u32_e64 v24, s0, 0, v24, s0
	s_add_u32 s6, s6, 1
	s_addc_u32 s7, s7, 0
	s_and_not1_b32 s0, s29, exec_lo
	s_waitcnt vmcnt(0)
	v_cmp_ne_u32_e32 vcc_lo, v25, v26
	s_and_b32 s29, vcc_lo, exec_lo
	s_delay_alu instid0(SALU_CYCLE_1)
	s_or_b32 s29, s0, s29
.LBB455_23:                             ;   in Loop: Header=BB455_24 Depth=1
	v_dual_mov_b32 v26, s7 :: v_dual_mov_b32 v25, s6
	s_and_b32 s0, exec_lo, s29
	s_delay_alu instid0(SALU_CYCLE_1) | instskip(NEXT) | instid1(SALU_CYCLE_1)
	s_or_b32 s27, s0, s27
	s_and_not1_b32 exec_lo, exec_lo, s27
	s_cbranch_execz .LBB455_35
.LBB455_24:                             ; =>This Inner Loop Header: Depth=1
	s_or_b32 s29, s29, exec_lo
	s_cmp_eq_u64 s[4:5], s[6:7]
	s_cbranch_scc0 .LBB455_22
; %bb.25:                               ;   in Loop: Header=BB455_24 Depth=1
	s_mov_b64 s[6:7], s[14:15]
                                        ; implicit-def: $vgpr21_vgpr22
                                        ; implicit-def: $vgpr23_vgpr24
	s_branch .LBB455_23
.LBB455_26:
                                        ; implicit-def: $sgpr0
                                        ; implicit-def: $vgpr20
	s_branch .LBB455_195
.LBB455_27:
	v_readfirstlane_b32 s4, v17
	v_readfirstlane_b32 s5, v18
	global_load_b64 v[1:2], v39, s[4:5]
	s_or_b32 exec_lo, exec_lo, s0
	s_delay_alu instid0(SALU_CYCLE_1)
	s_mov_b32 s0, exec_lo
	v_cmpx_gt_u32_e64 s12, v26
	s_cbranch_execz .LBB455_9
.LBB455_28:
	v_lshlrev_b32_e32 v3, 3, v26
	v_readfirstlane_b32 s4, v17
	v_readfirstlane_b32 s5, v18
	global_load_b64 v[3:4], v3, s[4:5]
	s_or_b32 exec_lo, exec_lo, s0
	s_delay_alu instid0(SALU_CYCLE_1)
	s_mov_b32 s0, exec_lo
	v_cmpx_gt_u32_e64 s12, v25
	s_cbranch_execz .LBB455_10
.LBB455_29:
	v_lshlrev_b32_e32 v5, 3, v25
	v_readfirstlane_b32 s4, v17
	v_readfirstlane_b32 s5, v18
	global_load_b64 v[5:6], v5, s[4:5]
	s_or_b32 exec_lo, exec_lo, s0
	s_delay_alu instid0(SALU_CYCLE_1)
	s_mov_b32 s0, exec_lo
	v_cmpx_gt_u32_e64 s12, v24
	s_cbranch_execz .LBB455_11
.LBB455_30:
	v_lshlrev_b32_e32 v7, 3, v24
	v_readfirstlane_b32 s4, v17
	v_readfirstlane_b32 s5, v18
	global_load_b64 v[7:8], v7, s[4:5]
	s_or_b32 exec_lo, exec_lo, s0
	s_delay_alu instid0(SALU_CYCLE_1)
	s_mov_b32 s0, exec_lo
	v_cmpx_gt_u32_e64 s12, v23
	s_cbranch_execz .LBB455_12
.LBB455_31:
	v_lshlrev_b32_e32 v9, 3, v23
	v_readfirstlane_b32 s4, v17
	v_readfirstlane_b32 s5, v18
	global_load_b64 v[9:10], v9, s[4:5]
	s_or_b32 exec_lo, exec_lo, s0
	s_delay_alu instid0(SALU_CYCLE_1)
	s_mov_b32 s0, exec_lo
	v_cmpx_gt_u32_e64 s12, v22
	s_cbranch_execz .LBB455_13
.LBB455_32:
	v_lshlrev_b32_e32 v11, 3, v22
	v_readfirstlane_b32 s4, v17
	v_readfirstlane_b32 s5, v18
	global_load_b64 v[11:12], v11, s[4:5]
	s_or_b32 exec_lo, exec_lo, s0
	s_delay_alu instid0(SALU_CYCLE_1)
	s_mov_b32 s0, exec_lo
	v_cmpx_gt_u32_e64 s12, v21
	s_cbranch_execz .LBB455_14
.LBB455_33:
	v_lshlrev_b32_e32 v13, 3, v21
	v_readfirstlane_b32 s4, v17
	v_readfirstlane_b32 s5, v18
	global_load_b64 v[13:14], v13, s[4:5]
	s_or_b32 exec_lo, exec_lo, s0
	s_delay_alu instid0(SALU_CYCLE_1)
	s_mov_b32 s0, exec_lo
	v_cmpx_gt_u32_e64 s12, v20
	s_cbranch_execnz .LBB455_15
	s_branch .LBB455_16
.LBB455_34:
                                        ; implicit-def: $sgpr0
                                        ; implicit-def: $vgpr20
	s_cbranch_execnz .LBB455_103
	s_branch .LBB455_194
.LBB455_35:
	s_set_inst_prefetch_distance 0x2
	s_or_b32 exec_lo, exec_lo, s27
	v_cmp_gt_i64_e32 vcc_lo, s[14:15], v[25:26]
	s_or_not1_b32 s27, vcc_lo, exec_lo
.LBB455_36:
	s_or_b32 exec_lo, exec_lo, s28
.LBB455_37:
	v_mul_lo_u32 v23, v8, s14
	v_mul_lo_u32 v24, v7, s15
	v_mad_u64_u32 v[21:22], null, v7, s14, 0
	s_and_not1_b32 vcc_lo, exec_lo, s26
	s_delay_alu instid0(VALU_DEP_1) | instskip(NEXT) | instid1(VALU_DEP_1)
	v_add3_u32 v22, v22, v24, v23
	v_lshlrev_b64 v[21:22], 2, v[21:22]
	s_cbranch_vccnz .LBB455_46
; %bb.38:
	s_delay_alu instid0(VALU_DEP_1) | instskip(NEXT) | instid1(VALU_DEP_2)
	v_add_co_u32 v23, vcc_lo, s16, v21
	v_add_co_ci_u32_e32 v24, vcc_lo, s17, v22, vcc_lo
	v_add_co_u32 v19, vcc_lo, s16, v19
	v_add_co_ci_u32_e32 v20, vcc_lo, s17, v20, vcc_lo
	s_mov_b32 s25, -1
	s_clause 0x1
	global_load_b32 v25, v[23:24], off
	global_load_b32 v26, v[19:20], off
	s_mov_b32 s28, exec_lo
	s_waitcnt vmcnt(0)
	v_cmpx_eq_u32_e64 v25, v26
	s_cbranch_execz .LBB455_45
; %bb.39:
	v_add_co_u32 v19, vcc_lo, v19, 4
	v_add_co_ci_u32_e32 v20, vcc_lo, 0, v20, vcc_lo
	v_add_co_u32 v23, vcc_lo, v23, 4
	v_add_co_ci_u32_e32 v24, vcc_lo, 0, v24, vcc_lo
	s_add_u32 s4, s14, -1
	s_addc_u32 s5, s15, -1
	s_mov_b64 s[6:7], 0
	s_mov_b32 s25, 0
                                        ; implicit-def: $sgpr29
	s_set_inst_prefetch_distance 0x1
	s_branch .LBB455_42
	.p2align	6
.LBB455_40:                             ;   in Loop: Header=BB455_42 Depth=1
	global_load_b32 v25, v[23:24], off
	global_load_b32 v26, v[19:20], off
	v_add_co_u32 v19, vcc_lo, v19, 4
	v_add_co_ci_u32_e32 v20, vcc_lo, 0, v20, vcc_lo
	v_add_co_u32 v23, s0, v23, 4
	s_delay_alu instid0(VALU_DEP_1)
	v_add_co_ci_u32_e64 v24, s0, 0, v24, s0
	s_add_u32 s6, s6, 1
	s_addc_u32 s7, s7, 0
	s_and_not1_b32 s0, s29, exec_lo
	s_waitcnt vmcnt(0)
	v_cmp_ne_u32_e32 vcc_lo, v25, v26
	s_and_b32 s29, vcc_lo, exec_lo
	s_delay_alu instid0(SALU_CYCLE_1)
	s_or_b32 s29, s0, s29
.LBB455_41:                             ;   in Loop: Header=BB455_42 Depth=1
	v_dual_mov_b32 v26, s7 :: v_dual_mov_b32 v25, s6
	s_and_b32 s0, exec_lo, s29
	s_delay_alu instid0(SALU_CYCLE_1) | instskip(NEXT) | instid1(SALU_CYCLE_1)
	s_or_b32 s25, s0, s25
	s_and_not1_b32 exec_lo, exec_lo, s25
	s_cbranch_execz .LBB455_44
.LBB455_42:                             ; =>This Inner Loop Header: Depth=1
	s_or_b32 s29, s29, exec_lo
	s_cmp_eq_u64 s[4:5], s[6:7]
	s_cbranch_scc0 .LBB455_40
; %bb.43:                               ;   in Loop: Header=BB455_42 Depth=1
	s_mov_b64 s[6:7], s[14:15]
                                        ; implicit-def: $vgpr19_vgpr20
                                        ; implicit-def: $vgpr23_vgpr24
	s_branch .LBB455_41
.LBB455_44:
	s_set_inst_prefetch_distance 0x2
	s_or_b32 exec_lo, exec_lo, s25
	v_cmp_gt_i64_e32 vcc_lo, s[14:15], v[25:26]
	s_or_not1_b32 s25, vcc_lo, exec_lo
.LBB455_45:
	s_or_b32 exec_lo, exec_lo, s28
.LBB455_46:
	v_mul_lo_u32 v23, v6, s14
	v_mul_lo_u32 v24, v5, s15
	v_mad_u64_u32 v[19:20], null, v5, s14, 0
	s_mov_b32 s28, 0
	s_and_not1_b32 vcc_lo, exec_lo, s26
	s_mov_b32 s29, 0
	s_delay_alu instid0(VALU_DEP_1) | instskip(NEXT) | instid1(VALU_DEP_1)
	v_add3_u32 v20, v20, v24, v23
	v_lshlrev_b64 v[23:24], 2, v[19:20]
	s_cbranch_vccnz .LBB455_55
; %bb.47:
	s_delay_alu instid0(VALU_DEP_1) | instskip(NEXT) | instid1(VALU_DEP_2)
	v_add_co_u32 v25, vcc_lo, s16, v23
	v_add_co_ci_u32_e32 v26, vcc_lo, s17, v24, vcc_lo
	v_add_co_u32 v19, vcc_lo, s16, v21
	v_add_co_ci_u32_e32 v20, vcc_lo, s17, v22, vcc_lo
	s_mov_b32 s29, -1
	s_clause 0x1
	global_load_b32 v21, v[25:26], off
	global_load_b32 v22, v[19:20], off
	s_mov_b32 s30, exec_lo
	s_waitcnt vmcnt(0)
	v_cmpx_eq_u32_e64 v21, v22
	s_cbranch_execz .LBB455_54
; %bb.48:
	v_add_co_u32 v19, vcc_lo, v19, 4
	v_add_co_ci_u32_e32 v20, vcc_lo, 0, v20, vcc_lo
	v_add_co_u32 v21, vcc_lo, v25, 4
	v_add_co_ci_u32_e32 v22, vcc_lo, 0, v26, vcc_lo
	s_add_u32 s4, s14, -1
	s_addc_u32 s5, s15, -1
	s_mov_b64 s[6:7], 0
	s_mov_b32 s29, 0
                                        ; implicit-def: $sgpr31
	s_set_inst_prefetch_distance 0x1
	s_branch .LBB455_51
	.p2align	6
.LBB455_49:                             ;   in Loop: Header=BB455_51 Depth=1
	global_load_b32 v25, v[21:22], off
	global_load_b32 v26, v[19:20], off
	v_add_co_u32 v19, vcc_lo, v19, 4
	v_add_co_ci_u32_e32 v20, vcc_lo, 0, v20, vcc_lo
	v_add_co_u32 v21, s0, v21, 4
	s_delay_alu instid0(VALU_DEP_1)
	v_add_co_ci_u32_e64 v22, s0, 0, v22, s0
	s_add_u32 s6, s6, 1
	s_addc_u32 s7, s7, 0
	s_and_not1_b32 s0, s31, exec_lo
	s_waitcnt vmcnt(0)
	v_cmp_ne_u32_e32 vcc_lo, v25, v26
	s_and_b32 s31, vcc_lo, exec_lo
	s_delay_alu instid0(SALU_CYCLE_1)
	s_or_b32 s31, s0, s31
.LBB455_50:                             ;   in Loop: Header=BB455_51 Depth=1
	v_dual_mov_b32 v26, s7 :: v_dual_mov_b32 v25, s6
	s_and_b32 s0, exec_lo, s31
	s_delay_alu instid0(SALU_CYCLE_1) | instskip(NEXT) | instid1(SALU_CYCLE_1)
	s_or_b32 s29, s0, s29
	s_and_not1_b32 exec_lo, exec_lo, s29
	s_cbranch_execz .LBB455_53
.LBB455_51:                             ; =>This Inner Loop Header: Depth=1
	s_or_b32 s31, s31, exec_lo
	s_cmp_eq_u64 s[4:5], s[6:7]
	s_cbranch_scc0 .LBB455_49
; %bb.52:                               ;   in Loop: Header=BB455_51 Depth=1
	s_mov_b64 s[6:7], s[14:15]
                                        ; implicit-def: $vgpr19_vgpr20
                                        ; implicit-def: $vgpr21_vgpr22
	s_branch .LBB455_50
.LBB455_53:
	s_set_inst_prefetch_distance 0x2
	s_or_b32 exec_lo, exec_lo, s29
	v_cmp_gt_i64_e32 vcc_lo, s[14:15], v[25:26]
	s_or_not1_b32 s29, vcc_lo, exec_lo
.LBB455_54:
	s_or_b32 exec_lo, exec_lo, s30
.LBB455_55:
	v_mul_lo_u32 v21, v12, s14
	v_mul_lo_u32 v22, v11, s15
	v_mad_u64_u32 v[19:20], null, v11, s14, 0
	s_and_not1_b32 vcc_lo, exec_lo, s26
	s_delay_alu instid0(VALU_DEP_1) | instskip(NEXT) | instid1(VALU_DEP_1)
	v_add3_u32 v20, v20, v22, v21
	v_lshlrev_b64 v[19:20], 2, v[19:20]
	s_cbranch_vccnz .LBB455_64
; %bb.56:
	s_delay_alu instid0(VALU_DEP_1) | instskip(NEXT) | instid1(VALU_DEP_2)
	v_add_co_u32 v25, vcc_lo, s16, v19
	v_add_co_ci_u32_e32 v26, vcc_lo, s17, v20, vcc_lo
	v_add_co_u32 v21, vcc_lo, s16, v23
	v_add_co_ci_u32_e32 v22, vcc_lo, s17, v24, vcc_lo
	s_mov_b32 s28, -1
	s_clause 0x1
	global_load_b32 v23, v[25:26], off
	global_load_b32 v24, v[21:22], off
	s_mov_b32 s30, exec_lo
	s_waitcnt vmcnt(0)
	v_cmpx_eq_u32_e64 v23, v24
	s_cbranch_execz .LBB455_63
; %bb.57:
	v_add_co_u32 v21, vcc_lo, v21, 4
	v_add_co_ci_u32_e32 v22, vcc_lo, 0, v22, vcc_lo
	v_add_co_u32 v23, vcc_lo, v25, 4
	v_add_co_ci_u32_e32 v24, vcc_lo, 0, v26, vcc_lo
	s_add_u32 s4, s14, -1
	s_addc_u32 s5, s15, -1
	s_mov_b64 s[6:7], 0
	s_mov_b32 s28, 0
                                        ; implicit-def: $sgpr31
	s_set_inst_prefetch_distance 0x1
	s_branch .LBB455_60
	.p2align	6
.LBB455_58:                             ;   in Loop: Header=BB455_60 Depth=1
	global_load_b32 v25, v[23:24], off
	global_load_b32 v26, v[21:22], off
	v_add_co_u32 v21, vcc_lo, v21, 4
	v_add_co_ci_u32_e32 v22, vcc_lo, 0, v22, vcc_lo
	v_add_co_u32 v23, s0, v23, 4
	s_delay_alu instid0(VALU_DEP_1)
	v_add_co_ci_u32_e64 v24, s0, 0, v24, s0
	s_add_u32 s6, s6, 1
	s_addc_u32 s7, s7, 0
	s_and_not1_b32 s0, s31, exec_lo
	s_waitcnt vmcnt(0)
	v_cmp_ne_u32_e32 vcc_lo, v25, v26
	s_and_b32 s31, vcc_lo, exec_lo
	s_delay_alu instid0(SALU_CYCLE_1)
	s_or_b32 s31, s0, s31
.LBB455_59:                             ;   in Loop: Header=BB455_60 Depth=1
	v_dual_mov_b32 v26, s7 :: v_dual_mov_b32 v25, s6
	s_and_b32 s0, exec_lo, s31
	s_delay_alu instid0(SALU_CYCLE_1) | instskip(NEXT) | instid1(SALU_CYCLE_1)
	s_or_b32 s28, s0, s28
	s_and_not1_b32 exec_lo, exec_lo, s28
	s_cbranch_execz .LBB455_62
.LBB455_60:                             ; =>This Inner Loop Header: Depth=1
	s_or_b32 s31, s31, exec_lo
	s_cmp_eq_u64 s[4:5], s[6:7]
	s_cbranch_scc0 .LBB455_58
; %bb.61:                               ;   in Loop: Header=BB455_60 Depth=1
	s_mov_b64 s[6:7], s[14:15]
                                        ; implicit-def: $vgpr21_vgpr22
                                        ; implicit-def: $vgpr23_vgpr24
	s_branch .LBB455_59
.LBB455_62:
	s_set_inst_prefetch_distance 0x2
	s_or_b32 exec_lo, exec_lo, s28
	v_cmp_gt_i64_e32 vcc_lo, s[14:15], v[25:26]
	s_or_not1_b32 s28, vcc_lo, exec_lo
.LBB455_63:
	s_or_b32 exec_lo, exec_lo, s30
.LBB455_64:
	v_mul_lo_u32 v23, v10, s14
	v_mul_lo_u32 v24, v9, s15
	v_mad_u64_u32 v[21:22], null, v9, s14, 0
	s_mov_b32 s30, 0
	s_and_not1_b32 vcc_lo, exec_lo, s26
	s_mov_b32 s31, 0
	s_delay_alu instid0(VALU_DEP_1) | instskip(NEXT) | instid1(VALU_DEP_1)
	v_add3_u32 v22, v22, v24, v23
	v_lshlrev_b64 v[23:24], 2, v[21:22]
	s_cbranch_vccnz .LBB455_73
; %bb.65:
	s_delay_alu instid0(VALU_DEP_1) | instskip(NEXT) | instid1(VALU_DEP_2)
	v_add_co_u32 v21, vcc_lo, s16, v23
	v_add_co_ci_u32_e32 v22, vcc_lo, s17, v24, vcc_lo
	v_add_co_u32 v19, vcc_lo, s16, v19
	v_add_co_ci_u32_e32 v20, vcc_lo, s17, v20, vcc_lo
	s_mov_b32 s31, -1
	s_clause 0x1
	global_load_b32 v25, v[21:22], off
	global_load_b32 v26, v[19:20], off
	s_mov_b32 s33, exec_lo
	s_waitcnt vmcnt(0)
	v_cmpx_eq_u32_e64 v25, v26
	s_cbranch_execz .LBB455_72
; %bb.66:
	v_add_co_u32 v19, vcc_lo, v19, 4
	v_add_co_ci_u32_e32 v20, vcc_lo, 0, v20, vcc_lo
	v_add_co_u32 v21, vcc_lo, v21, 4
	v_add_co_ci_u32_e32 v22, vcc_lo, 0, v22, vcc_lo
	s_add_u32 s4, s14, -1
	s_addc_u32 s5, s15, -1
	s_mov_b64 s[6:7], 0
	s_mov_b32 s31, 0
                                        ; implicit-def: $sgpr34
	s_set_inst_prefetch_distance 0x1
	s_branch .LBB455_69
	.p2align	6
.LBB455_67:                             ;   in Loop: Header=BB455_69 Depth=1
	global_load_b32 v25, v[21:22], off
	global_load_b32 v26, v[19:20], off
	v_add_co_u32 v19, vcc_lo, v19, 4
	v_add_co_ci_u32_e32 v20, vcc_lo, 0, v20, vcc_lo
	v_add_co_u32 v21, s0, v21, 4
	s_delay_alu instid0(VALU_DEP_1)
	v_add_co_ci_u32_e64 v22, s0, 0, v22, s0
	s_add_u32 s6, s6, 1
	s_addc_u32 s7, s7, 0
	s_and_not1_b32 s0, s34, exec_lo
	s_waitcnt vmcnt(0)
	v_cmp_ne_u32_e32 vcc_lo, v25, v26
	s_and_b32 s34, vcc_lo, exec_lo
	s_delay_alu instid0(SALU_CYCLE_1)
	s_or_b32 s34, s0, s34
.LBB455_68:                             ;   in Loop: Header=BB455_69 Depth=1
	v_dual_mov_b32 v26, s7 :: v_dual_mov_b32 v25, s6
	s_and_b32 s0, exec_lo, s34
	s_delay_alu instid0(SALU_CYCLE_1) | instskip(NEXT) | instid1(SALU_CYCLE_1)
	s_or_b32 s31, s0, s31
	s_and_not1_b32 exec_lo, exec_lo, s31
	s_cbranch_execz .LBB455_71
.LBB455_69:                             ; =>This Inner Loop Header: Depth=1
	s_or_b32 s34, s34, exec_lo
	s_cmp_eq_u64 s[4:5], s[6:7]
	s_cbranch_scc0 .LBB455_67
; %bb.70:                               ;   in Loop: Header=BB455_69 Depth=1
	s_mov_b64 s[6:7], s[14:15]
                                        ; implicit-def: $vgpr19_vgpr20
                                        ; implicit-def: $vgpr21_vgpr22
	s_branch .LBB455_68
.LBB455_71:
	s_set_inst_prefetch_distance 0x2
	s_or_b32 exec_lo, exec_lo, s31
	v_cmp_gt_i64_e32 vcc_lo, s[14:15], v[25:26]
	s_or_not1_b32 s31, vcc_lo, exec_lo
.LBB455_72:
	s_or_b32 exec_lo, exec_lo, s33
.LBB455_73:
	v_mul_lo_u32 v21, v16, s14
	v_mul_lo_u32 v22, v15, s15
	v_mad_u64_u32 v[19:20], null, v15, s14, 0
	s_and_not1_b32 vcc_lo, exec_lo, s26
	s_delay_alu instid0(VALU_DEP_1) | instskip(NEXT) | instid1(VALU_DEP_1)
	v_add3_u32 v20, v20, v22, v21
	v_lshlrev_b64 v[21:22], 2, v[19:20]
	s_cbranch_vccnz .LBB455_82
; %bb.74:
	s_delay_alu instid0(VALU_DEP_1) | instskip(NEXT) | instid1(VALU_DEP_2)
	v_add_co_u32 v25, vcc_lo, s16, v21
	v_add_co_ci_u32_e32 v26, vcc_lo, s17, v22, vcc_lo
	v_add_co_u32 v19, vcc_lo, s16, v23
	v_add_co_ci_u32_e32 v20, vcc_lo, s17, v24, vcc_lo
	s_mov_b32 s30, -1
	s_clause 0x1
	global_load_b32 v23, v[25:26], off
	global_load_b32 v24, v[19:20], off
	s_mov_b32 s33, exec_lo
	s_waitcnt vmcnt(0)
	v_cmpx_eq_u32_e64 v23, v24
	s_cbranch_execz .LBB455_81
; %bb.75:
	v_add_co_u32 v19, vcc_lo, v19, 4
	v_add_co_ci_u32_e32 v20, vcc_lo, 0, v20, vcc_lo
	v_add_co_u32 v23, vcc_lo, v25, 4
	v_add_co_ci_u32_e32 v24, vcc_lo, 0, v26, vcc_lo
	s_add_u32 s4, s14, -1
	s_addc_u32 s5, s15, -1
	s_mov_b64 s[6:7], 0
	s_mov_b32 s30, 0
                                        ; implicit-def: $sgpr34
	s_set_inst_prefetch_distance 0x1
	s_branch .LBB455_78
	.p2align	6
.LBB455_76:                             ;   in Loop: Header=BB455_78 Depth=1
	global_load_b32 v25, v[23:24], off
	global_load_b32 v26, v[19:20], off
	v_add_co_u32 v19, vcc_lo, v19, 4
	v_add_co_ci_u32_e32 v20, vcc_lo, 0, v20, vcc_lo
	v_add_co_u32 v23, s0, v23, 4
	s_delay_alu instid0(VALU_DEP_1)
	v_add_co_ci_u32_e64 v24, s0, 0, v24, s0
	s_add_u32 s6, s6, 1
	s_addc_u32 s7, s7, 0
	s_and_not1_b32 s0, s34, exec_lo
	s_waitcnt vmcnt(0)
	v_cmp_ne_u32_e32 vcc_lo, v25, v26
	s_and_b32 s34, vcc_lo, exec_lo
	s_delay_alu instid0(SALU_CYCLE_1)
	s_or_b32 s34, s0, s34
.LBB455_77:                             ;   in Loop: Header=BB455_78 Depth=1
	v_dual_mov_b32 v26, s7 :: v_dual_mov_b32 v25, s6
	s_and_b32 s0, exec_lo, s34
	s_delay_alu instid0(SALU_CYCLE_1) | instskip(NEXT) | instid1(SALU_CYCLE_1)
	s_or_b32 s30, s0, s30
	s_and_not1_b32 exec_lo, exec_lo, s30
	s_cbranch_execz .LBB455_80
.LBB455_78:                             ; =>This Inner Loop Header: Depth=1
	s_or_b32 s34, s34, exec_lo
	s_cmp_eq_u64 s[4:5], s[6:7]
	s_cbranch_scc0 .LBB455_76
; %bb.79:                               ;   in Loop: Header=BB455_78 Depth=1
	s_mov_b64 s[6:7], s[14:15]
                                        ; implicit-def: $vgpr19_vgpr20
                                        ; implicit-def: $vgpr23_vgpr24
	s_branch .LBB455_77
.LBB455_80:
	s_set_inst_prefetch_distance 0x2
	s_or_b32 exec_lo, exec_lo, s30
	v_cmp_gt_i64_e32 vcc_lo, s[14:15], v[25:26]
	s_or_not1_b32 s30, vcc_lo, exec_lo
.LBB455_81:
	s_or_b32 exec_lo, exec_lo, s33
.LBB455_82:
	v_mul_lo_u32 v23, v14, s14
	v_mul_lo_u32 v24, v13, s15
	v_mad_u64_u32 v[19:20], null, v13, s14, 0
	s_and_not1_b32 vcc_lo, exec_lo, s26
	s_mov_b32 s0, 0
	s_delay_alu instid0(VALU_DEP_1) | instskip(NEXT) | instid1(VALU_DEP_1)
	v_add3_u32 v20, v20, v24, v23
	v_lshlrev_b64 v[19:20], 2, v[19:20]
	s_cbranch_vccnz .LBB455_91
; %bb.83:
	s_delay_alu instid0(VALU_DEP_1) | instskip(NEXT) | instid1(VALU_DEP_2)
	v_add_co_u32 v23, vcc_lo, s16, v19
	v_add_co_ci_u32_e32 v24, vcc_lo, s17, v20, vcc_lo
	v_add_co_u32 v21, vcc_lo, s16, v21
	v_add_co_ci_u32_e32 v22, vcc_lo, s17, v22, vcc_lo
	s_mov_b32 s0, -1
	s_clause 0x1
	global_load_b32 v25, v[23:24], off
	global_load_b32 v26, v[21:22], off
	s_mov_b32 s33, exec_lo
	s_waitcnt vmcnt(0)
	v_cmpx_eq_u32_e64 v25, v26
	s_cbranch_execz .LBB455_90
; %bb.84:
	v_add_co_u32 v21, vcc_lo, v21, 4
	v_add_co_ci_u32_e32 v22, vcc_lo, 0, v22, vcc_lo
	v_add_co_u32 v23, vcc_lo, v23, 4
	v_add_co_ci_u32_e32 v24, vcc_lo, 0, v24, vcc_lo
	s_add_u32 s4, s14, -1
	s_addc_u32 s5, s15, -1
	s_mov_b64 s[6:7], 0
	s_mov_b32 s34, 0
                                        ; implicit-def: $sgpr35
	s_set_inst_prefetch_distance 0x1
	s_branch .LBB455_87
	.p2align	6
.LBB455_85:                             ;   in Loop: Header=BB455_87 Depth=1
	global_load_b32 v25, v[23:24], off
	global_load_b32 v26, v[21:22], off
	v_add_co_u32 v21, vcc_lo, v21, 4
	v_add_co_ci_u32_e32 v22, vcc_lo, 0, v22, vcc_lo
	v_add_co_u32 v23, s0, v23, 4
	s_delay_alu instid0(VALU_DEP_1)
	v_add_co_ci_u32_e64 v24, s0, 0, v24, s0
	s_add_u32 s6, s6, 1
	s_addc_u32 s7, s7, 0
	s_and_not1_b32 s0, s35, exec_lo
	s_waitcnt vmcnt(0)
	v_cmp_ne_u32_e32 vcc_lo, v25, v26
	s_and_b32 s35, vcc_lo, exec_lo
	s_delay_alu instid0(SALU_CYCLE_1)
	s_or_b32 s35, s0, s35
.LBB455_86:                             ;   in Loop: Header=BB455_87 Depth=1
	v_dual_mov_b32 v26, s7 :: v_dual_mov_b32 v25, s6
	s_and_b32 s0, exec_lo, s35
	s_delay_alu instid0(SALU_CYCLE_1) | instskip(NEXT) | instid1(SALU_CYCLE_1)
	s_or_b32 s34, s0, s34
	s_and_not1_b32 exec_lo, exec_lo, s34
	s_cbranch_execz .LBB455_89
.LBB455_87:                             ; =>This Inner Loop Header: Depth=1
	s_or_b32 s35, s35, exec_lo
	s_cmp_eq_u64 s[4:5], s[6:7]
	s_cbranch_scc0 .LBB455_85
; %bb.88:                               ;   in Loop: Header=BB455_87 Depth=1
	s_mov_b64 s[6:7], s[14:15]
                                        ; implicit-def: $vgpr21_vgpr22
                                        ; implicit-def: $vgpr23_vgpr24
	s_branch .LBB455_86
.LBB455_89:
	s_set_inst_prefetch_distance 0x2
	s_or_b32 exec_lo, exec_lo, s34
	v_cmp_gt_i64_e32 vcc_lo, s[14:15], v[25:26]
	s_or_not1_b32 s0, vcc_lo, exec_lo
.LBB455_90:
	s_or_b32 exec_lo, exec_lo, s33
.LBB455_91:
	s_waitcnt vmcnt(0)
	v_dual_mov_b32 v22, v18 :: v_dual_mov_b32 v21, v17
	s_waitcnt lgkmcnt(0)
	s_barrier
	buffer_gl0_inv
	s_and_saveexec_b32 s4, s3
	s_cbranch_execz .LBB455_93
; %bb.92:
	v_add_nc_u32_e32 v21, -8, v39
	ds_load_b64 v[21:22], v21
.LBB455_93:
	s_or_b32 exec_lo, exec_lo, s4
	v_cndmask_b32_e64 v24, 0, 1, s31
	v_cndmask_b32_e64 v26, 0, 1, s29
	;; [unrolled: 1-line block ×7, first 2 shown]
	v_lshlrev_b16 v24, 8, v24
	v_lshlrev_b16 v26, 8, v26
	;; [unrolled: 1-line block ×4, first 2 shown]
	s_mov_b32 s25, 0
	v_or_b32_e32 v23, v23, v24
	v_or_b32_e32 v24, v25, v26
	;; [unrolled: 1-line block ×3, first 2 shown]
	v_and_b32_e32 v25, 0xffff, v29
	s_and_not1_b32 vcc_lo, exec_lo, s26
	v_lshlrev_b32_e32 v26, 16, v23
	v_and_b32_e32 v28, 0xffff, v24
	v_lshlrev_b32_e32 v29, 16, v30
	s_mov_b32 s0, 0
	s_cbranch_vccnz .LBB455_102
; %bb.94:
	s_waitcnt lgkmcnt(0)
	v_mul_lo_u32 v24, v22, s14
	v_mul_lo_u32 v30, v21, s15
	v_mad_u64_u32 v[22:23], null, v21, s14, 0
	s_mov_b32 s0, -1
	s_mov_b32 s27, exec_lo
	s_delay_alu instid0(VALU_DEP_1) | instskip(NEXT) | instid1(VALU_DEP_1)
	v_add3_u32 v23, v23, v30, v24
	v_lshlrev_b64 v[21:22], 2, v[22:23]
	s_delay_alu instid0(VALU_DEP_1) | instskip(NEXT) | instid1(VALU_DEP_2)
	v_add_co_u32 v21, vcc_lo, s16, v21
	v_add_co_ci_u32_e32 v22, vcc_lo, s17, v22, vcc_lo
	v_add_co_u32 v19, vcc_lo, s16, v19
	v_add_co_ci_u32_e32 v20, vcc_lo, s17, v20, vcc_lo
	s_clause 0x1
	global_load_b32 v23, v[21:22], off
	global_load_b32 v24, v[19:20], off
	s_waitcnt vmcnt(0)
	v_cmpx_eq_u32_e64 v23, v24
	s_cbranch_execz .LBB455_101
; %bb.95:
	v_add_co_u32 v19, vcc_lo, v19, 4
	v_add_co_ci_u32_e32 v20, vcc_lo, 0, v20, vcc_lo
	v_add_co_u32 v21, vcc_lo, v21, 4
	v_add_co_ci_u32_e32 v22, vcc_lo, 0, v22, vcc_lo
	s_add_u32 s4, s14, -1
	s_addc_u32 s5, s15, -1
	s_mov_b64 s[6:7], 0
	s_mov_b32 s28, 0
                                        ; implicit-def: $sgpr29
	s_set_inst_prefetch_distance 0x1
	s_branch .LBB455_98
	.p2align	6
.LBB455_96:                             ;   in Loop: Header=BB455_98 Depth=1
	global_load_b32 v23, v[21:22], off
	global_load_b32 v24, v[19:20], off
	v_add_co_u32 v19, vcc_lo, v19, 4
	v_add_co_ci_u32_e32 v20, vcc_lo, 0, v20, vcc_lo
	v_add_co_u32 v21, s0, v21, 4
	s_delay_alu instid0(VALU_DEP_1)
	v_add_co_ci_u32_e64 v22, s0, 0, v22, s0
	s_add_u32 s6, s6, 1
	s_addc_u32 s7, s7, 0
	s_and_not1_b32 s0, s29, exec_lo
	s_waitcnt vmcnt(0)
	v_cmp_ne_u32_e32 vcc_lo, v23, v24
	s_and_b32 s29, vcc_lo, exec_lo
	s_delay_alu instid0(SALU_CYCLE_1)
	s_or_b32 s29, s0, s29
.LBB455_97:                             ;   in Loop: Header=BB455_98 Depth=1
	v_dual_mov_b32 v24, s7 :: v_dual_mov_b32 v23, s6
	s_and_b32 s0, exec_lo, s29
	s_delay_alu instid0(SALU_CYCLE_1) | instskip(NEXT) | instid1(SALU_CYCLE_1)
	s_or_b32 s28, s0, s28
	s_and_not1_b32 exec_lo, exec_lo, s28
	s_cbranch_execz .LBB455_100
.LBB455_98:                             ; =>This Inner Loop Header: Depth=1
	s_or_b32 s29, s29, exec_lo
	s_cmp_eq_u64 s[4:5], s[6:7]
	s_cbranch_scc0 .LBB455_96
; %bb.99:                               ;   in Loop: Header=BB455_98 Depth=1
	s_mov_b64 s[6:7], s[14:15]
                                        ; implicit-def: $vgpr19_vgpr20
                                        ; implicit-def: $vgpr21_vgpr22
	s_branch .LBB455_97
.LBB455_100:
	s_set_inst_prefetch_distance 0x2
	s_or_b32 exec_lo, exec_lo, s28
	v_cmp_gt_i64_e32 vcc_lo, s[14:15], v[23:24]
	s_or_not1_b32 s0, vcc_lo, exec_lo
.LBB455_101:
	s_or_b32 exec_lo, exec_lo, s27
.LBB455_102:
	v_or_b32_e32 v19, v25, v26
	s_delay_alu instid0(VALU_DEP_2)
	v_or_b32_e32 v20, v28, v29
	s_and_b32 vcc_lo, exec_lo, s25
	s_cbranch_vccz .LBB455_194
.LBB455_103:
	v_or_b32_e32 v19, 7, v39
	s_mov_b32 s25, 0
	s_mov_b32 s27, 0
	s_mov_b32 s28, exec_lo
	s_delay_alu instid0(VALU_DEP_1)
	v_cmpx_gt_u32_e64 s12, v19
	s_cbranch_execz .LBB455_114
; %bb.104:
	s_and_not1_b32 vcc_lo, exec_lo, s26
	s_mov_b32 s0, 0
	s_cbranch_vccnz .LBB455_113
; %bb.105:
	v_mul_lo_u32 v23, v2, s14
	v_mul_lo_u32 v24, v1, s15
	v_mad_u64_u32 v[19:20], null, v1, s14, 0
	v_mul_lo_u32 v25, v4, s14
	v_mul_lo_u32 v26, v3, s15
	s_waitcnt lgkmcnt(0)
	v_mad_u64_u32 v[21:22], null, v3, s14, 0
	s_mov_b32 s0, -1
	s_mov_b32 s26, exec_lo
	s_delay_alu instid0(VALU_DEP_4) | instskip(NEXT) | instid1(VALU_DEP_2)
	v_add3_u32 v20, v20, v24, v23
	v_add3_u32 v22, v22, v26, v25
	s_delay_alu instid0(VALU_DEP_2) | instskip(NEXT) | instid1(VALU_DEP_2)
	v_lshlrev_b64 v[19:20], 2, v[19:20]
	v_lshlrev_b64 v[23:24], 2, v[21:22]
	s_delay_alu instid0(VALU_DEP_2) | instskip(NEXT) | instid1(VALU_DEP_3)
	v_add_co_u32 v21, vcc_lo, s16, v19
	v_add_co_ci_u32_e32 v22, vcc_lo, s17, v20, vcc_lo
	s_delay_alu instid0(VALU_DEP_3) | instskip(NEXT) | instid1(VALU_DEP_4)
	v_add_co_u32 v19, vcc_lo, s16, v23
	v_add_co_ci_u32_e32 v20, vcc_lo, s17, v24, vcc_lo
	s_clause 0x1
	global_load_b32 v23, v[21:22], off
	global_load_b32 v24, v[19:20], off
	s_waitcnt vmcnt(0)
	v_cmpx_eq_u32_e64 v23, v24
	s_cbranch_execz .LBB455_112
; %bb.106:
	v_add_co_u32 v19, vcc_lo, v19, 4
	v_add_co_ci_u32_e32 v20, vcc_lo, 0, v20, vcc_lo
	v_add_co_u32 v21, vcc_lo, v21, 4
	v_add_co_ci_u32_e32 v22, vcc_lo, 0, v22, vcc_lo
	s_add_u32 s4, s14, -1
	s_addc_u32 s5, s15, -1
	s_mov_b64 s[6:7], 0
                                        ; implicit-def: $sgpr29
	s_set_inst_prefetch_distance 0x1
	s_branch .LBB455_109
	.p2align	6
.LBB455_107:                            ;   in Loop: Header=BB455_109 Depth=1
	global_load_b32 v23, v[21:22], off
	global_load_b32 v24, v[19:20], off
	v_add_co_u32 v19, vcc_lo, v19, 4
	v_add_co_ci_u32_e32 v20, vcc_lo, 0, v20, vcc_lo
	v_add_co_u32 v21, s0, v21, 4
	s_delay_alu instid0(VALU_DEP_1)
	v_add_co_ci_u32_e64 v22, s0, 0, v22, s0
	s_add_u32 s6, s6, 1
	s_addc_u32 s7, s7, 0
	s_and_not1_b32 s0, s29, exec_lo
	s_waitcnt vmcnt(0)
	v_cmp_ne_u32_e32 vcc_lo, v23, v24
	s_and_b32 s29, vcc_lo, exec_lo
	s_delay_alu instid0(SALU_CYCLE_1)
	s_or_b32 s29, s0, s29
.LBB455_108:                            ;   in Loop: Header=BB455_109 Depth=1
	v_dual_mov_b32 v24, s7 :: v_dual_mov_b32 v23, s6
	s_and_b32 s0, exec_lo, s29
	s_delay_alu instid0(SALU_CYCLE_1) | instskip(NEXT) | instid1(SALU_CYCLE_1)
	s_or_b32 s27, s0, s27
	s_and_not1_b32 exec_lo, exec_lo, s27
	s_cbranch_execz .LBB455_111
.LBB455_109:                            ; =>This Inner Loop Header: Depth=1
	s_or_b32 s29, s29, exec_lo
	s_cmp_eq_u64 s[4:5], s[6:7]
	s_cbranch_scc0 .LBB455_107
; %bb.110:                              ;   in Loop: Header=BB455_109 Depth=1
	s_mov_b64 s[6:7], s[14:15]
                                        ; implicit-def: $vgpr19_vgpr20
                                        ; implicit-def: $vgpr21_vgpr22
	s_branch .LBB455_108
.LBB455_111:
	s_set_inst_prefetch_distance 0x2
	s_or_b32 exec_lo, exec_lo, s27
	v_cmp_gt_i64_e32 vcc_lo, s[14:15], v[23:24]
	s_or_not1_b32 s0, vcc_lo, exec_lo
.LBB455_112:
	s_or_b32 exec_lo, exec_lo, s26
.LBB455_113:
	s_delay_alu instid0(SALU_CYCLE_1)
	s_and_b32 s27, s0, exec_lo
.LBB455_114:
	s_or_b32 exec_lo, exec_lo, s28
	v_or_b32_e32 v19, 6, v39
	s_mov_b32 s26, exec_lo
	s_delay_alu instid0(VALU_DEP_1)
	v_cmpx_gt_u32_e64 s12, v19
	s_cbranch_execz .LBB455_125
; %bb.115:
	v_cmp_ne_u32_e32 vcc_lo, 1, v27
	s_mov_b32 s0, 0
	s_cbranch_vccnz .LBB455_124
; %bb.116:
	v_mul_lo_u32 v23, v8, s14
	v_mul_lo_u32 v24, v7, s15
	v_mad_u64_u32 v[19:20], null, v7, s14, 0
	v_mul_lo_u32 v25, v2, s14
	v_mul_lo_u32 v26, v1, s15
	s_waitcnt lgkmcnt(0)
	v_mad_u64_u32 v[21:22], null, v1, s14, 0
	s_mov_b32 s0, -1
	s_mov_b32 s25, exec_lo
	s_delay_alu instid0(VALU_DEP_4) | instskip(NEXT) | instid1(VALU_DEP_2)
	v_add3_u32 v20, v20, v24, v23
	v_add3_u32 v22, v22, v26, v25
	s_delay_alu instid0(VALU_DEP_2) | instskip(NEXT) | instid1(VALU_DEP_2)
	v_lshlrev_b64 v[19:20], 2, v[19:20]
	v_lshlrev_b64 v[23:24], 2, v[21:22]
	s_delay_alu instid0(VALU_DEP_2) | instskip(NEXT) | instid1(VALU_DEP_3)
	v_add_co_u32 v21, vcc_lo, s16, v19
	v_add_co_ci_u32_e32 v22, vcc_lo, s17, v20, vcc_lo
	s_delay_alu instid0(VALU_DEP_3) | instskip(NEXT) | instid1(VALU_DEP_4)
	v_add_co_u32 v19, vcc_lo, s16, v23
	v_add_co_ci_u32_e32 v20, vcc_lo, s17, v24, vcc_lo
	s_clause 0x1
	global_load_b32 v23, v[21:22], off
	global_load_b32 v24, v[19:20], off
	s_waitcnt vmcnt(0)
	v_cmpx_eq_u32_e64 v23, v24
	s_cbranch_execz .LBB455_123
; %bb.117:
	v_add_co_u32 v19, vcc_lo, v19, 4
	v_add_co_ci_u32_e32 v20, vcc_lo, 0, v20, vcc_lo
	v_add_co_u32 v21, vcc_lo, v21, 4
	v_add_co_ci_u32_e32 v22, vcc_lo, 0, v22, vcc_lo
	s_add_u32 s4, s14, -1
	s_addc_u32 s5, s15, -1
	s_mov_b64 s[6:7], 0
	s_mov_b32 s28, 0
                                        ; implicit-def: $sgpr29
	s_set_inst_prefetch_distance 0x1
	s_branch .LBB455_120
	.p2align	6
.LBB455_118:                            ;   in Loop: Header=BB455_120 Depth=1
	global_load_b32 v23, v[21:22], off
	global_load_b32 v24, v[19:20], off
	v_add_co_u32 v19, vcc_lo, v19, 4
	v_add_co_ci_u32_e32 v20, vcc_lo, 0, v20, vcc_lo
	v_add_co_u32 v21, s0, v21, 4
	s_delay_alu instid0(VALU_DEP_1)
	v_add_co_ci_u32_e64 v22, s0, 0, v22, s0
	s_add_u32 s6, s6, 1
	s_addc_u32 s7, s7, 0
	s_and_not1_b32 s0, s29, exec_lo
	s_waitcnt vmcnt(0)
	v_cmp_ne_u32_e32 vcc_lo, v23, v24
	s_and_b32 s29, vcc_lo, exec_lo
	s_delay_alu instid0(SALU_CYCLE_1)
	s_or_b32 s29, s0, s29
.LBB455_119:                            ;   in Loop: Header=BB455_120 Depth=1
	v_dual_mov_b32 v24, s7 :: v_dual_mov_b32 v23, s6
	s_and_b32 s0, exec_lo, s29
	s_delay_alu instid0(SALU_CYCLE_1) | instskip(NEXT) | instid1(SALU_CYCLE_1)
	s_or_b32 s28, s0, s28
	s_and_not1_b32 exec_lo, exec_lo, s28
	s_cbranch_execz .LBB455_122
.LBB455_120:                            ; =>This Inner Loop Header: Depth=1
	s_or_b32 s29, s29, exec_lo
	s_cmp_eq_u64 s[4:5], s[6:7]
	s_cbranch_scc0 .LBB455_118
; %bb.121:                              ;   in Loop: Header=BB455_120 Depth=1
	s_mov_b64 s[6:7], s[14:15]
                                        ; implicit-def: $vgpr19_vgpr20
                                        ; implicit-def: $vgpr21_vgpr22
	s_branch .LBB455_119
.LBB455_122:
	s_set_inst_prefetch_distance 0x2
	s_or_b32 exec_lo, exec_lo, s28
	v_cmp_gt_i64_e32 vcc_lo, s[14:15], v[23:24]
	s_or_not1_b32 s0, vcc_lo, exec_lo
.LBB455_123:
	s_or_b32 exec_lo, exec_lo, s25
.LBB455_124:
	s_delay_alu instid0(SALU_CYCLE_1)
	s_and_b32 s25, s0, exec_lo
.LBB455_125:
	s_or_b32 exec_lo, exec_lo, s26
	v_or_b32_e32 v19, 5, v39
	s_mov_b32 s28, 0
	s_mov_b32 s26, 0
	s_mov_b32 s29, exec_lo
	s_delay_alu instid0(VALU_DEP_1)
	v_cmpx_gt_u32_e64 s12, v19
	s_cbranch_execz .LBB455_136
; %bb.126:
	v_cmp_ne_u32_e32 vcc_lo, 1, v27
	s_mov_b32 s0, 0
	s_cbranch_vccnz .LBB455_135
; %bb.127:
	v_mul_lo_u32 v23, v6, s14
	v_mul_lo_u32 v24, v5, s15
	v_mad_u64_u32 v[19:20], null, v5, s14, 0
	v_mul_lo_u32 v25, v8, s14
	v_mul_lo_u32 v26, v7, s15
	s_waitcnt lgkmcnt(0)
	v_mad_u64_u32 v[21:22], null, v7, s14, 0
	s_mov_b32 s0, -1
	s_mov_b32 s26, exec_lo
	s_delay_alu instid0(VALU_DEP_4) | instskip(NEXT) | instid1(VALU_DEP_2)
	v_add3_u32 v20, v20, v24, v23
	v_add3_u32 v22, v22, v26, v25
	s_delay_alu instid0(VALU_DEP_2) | instskip(NEXT) | instid1(VALU_DEP_2)
	v_lshlrev_b64 v[19:20], 2, v[19:20]
	v_lshlrev_b64 v[23:24], 2, v[21:22]
	s_delay_alu instid0(VALU_DEP_2) | instskip(NEXT) | instid1(VALU_DEP_3)
	v_add_co_u32 v21, vcc_lo, s16, v19
	v_add_co_ci_u32_e32 v22, vcc_lo, s17, v20, vcc_lo
	s_delay_alu instid0(VALU_DEP_3) | instskip(NEXT) | instid1(VALU_DEP_4)
	v_add_co_u32 v19, vcc_lo, s16, v23
	v_add_co_ci_u32_e32 v20, vcc_lo, s17, v24, vcc_lo
	s_clause 0x1
	global_load_b32 v23, v[21:22], off
	global_load_b32 v24, v[19:20], off
	s_waitcnt vmcnt(0)
	v_cmpx_eq_u32_e64 v23, v24
	s_cbranch_execz .LBB455_134
; %bb.128:
	v_add_co_u32 v19, vcc_lo, v19, 4
	v_add_co_ci_u32_e32 v20, vcc_lo, 0, v20, vcc_lo
	v_add_co_u32 v21, vcc_lo, v21, 4
	v_add_co_ci_u32_e32 v22, vcc_lo, 0, v22, vcc_lo
	s_add_u32 s4, s14, -1
	s_addc_u32 s5, s15, -1
	s_mov_b64 s[6:7], 0
	s_mov_b32 s30, 0
                                        ; implicit-def: $sgpr31
	s_set_inst_prefetch_distance 0x1
	s_branch .LBB455_131
	.p2align	6
.LBB455_129:                            ;   in Loop: Header=BB455_131 Depth=1
	global_load_b32 v23, v[21:22], off
	global_load_b32 v24, v[19:20], off
	v_add_co_u32 v19, vcc_lo, v19, 4
	v_add_co_ci_u32_e32 v20, vcc_lo, 0, v20, vcc_lo
	v_add_co_u32 v21, s0, v21, 4
	s_delay_alu instid0(VALU_DEP_1)
	v_add_co_ci_u32_e64 v22, s0, 0, v22, s0
	s_add_u32 s6, s6, 1
	s_addc_u32 s7, s7, 0
	s_and_not1_b32 s0, s31, exec_lo
	s_waitcnt vmcnt(0)
	v_cmp_ne_u32_e32 vcc_lo, v23, v24
	s_and_b32 s31, vcc_lo, exec_lo
	s_delay_alu instid0(SALU_CYCLE_1)
	s_or_b32 s31, s0, s31
.LBB455_130:                            ;   in Loop: Header=BB455_131 Depth=1
	v_dual_mov_b32 v24, s7 :: v_dual_mov_b32 v23, s6
	s_and_b32 s0, exec_lo, s31
	s_delay_alu instid0(SALU_CYCLE_1) | instskip(NEXT) | instid1(SALU_CYCLE_1)
	s_or_b32 s30, s0, s30
	s_and_not1_b32 exec_lo, exec_lo, s30
	s_cbranch_execz .LBB455_133
.LBB455_131:                            ; =>This Inner Loop Header: Depth=1
	s_or_b32 s31, s31, exec_lo
	s_cmp_eq_u64 s[4:5], s[6:7]
	s_cbranch_scc0 .LBB455_129
; %bb.132:                              ;   in Loop: Header=BB455_131 Depth=1
	s_mov_b64 s[6:7], s[14:15]
                                        ; implicit-def: $vgpr19_vgpr20
                                        ; implicit-def: $vgpr21_vgpr22
	s_branch .LBB455_130
.LBB455_133:
	s_set_inst_prefetch_distance 0x2
	s_or_b32 exec_lo, exec_lo, s30
	v_cmp_gt_i64_e32 vcc_lo, s[14:15], v[23:24]
	s_or_not1_b32 s0, vcc_lo, exec_lo
.LBB455_134:
	s_or_b32 exec_lo, exec_lo, s26
.LBB455_135:
	s_delay_alu instid0(SALU_CYCLE_1)
	s_and_b32 s26, s0, exec_lo
.LBB455_136:
	s_or_b32 exec_lo, exec_lo, s29
	v_or_b32_e32 v19, 4, v39
	s_mov_b32 s29, exec_lo
	s_delay_alu instid0(VALU_DEP_1)
	v_cmpx_gt_u32_e64 s12, v19
	s_cbranch_execz .LBB455_147
; %bb.137:
	v_cmp_ne_u32_e32 vcc_lo, 1, v27
	s_mov_b32 s0, 0
	s_cbranch_vccnz .LBB455_146
; %bb.138:
	v_mul_lo_u32 v23, v12, s14
	v_mul_lo_u32 v24, v11, s15
	v_mad_u64_u32 v[19:20], null, v11, s14, 0
	v_mul_lo_u32 v25, v6, s14
	v_mul_lo_u32 v26, v5, s15
	s_waitcnt lgkmcnt(0)
	v_mad_u64_u32 v[21:22], null, v5, s14, 0
	s_mov_b32 s0, -1
	s_mov_b32 s28, exec_lo
	s_delay_alu instid0(VALU_DEP_4) | instskip(NEXT) | instid1(VALU_DEP_2)
	v_add3_u32 v20, v20, v24, v23
	v_add3_u32 v22, v22, v26, v25
	s_delay_alu instid0(VALU_DEP_2) | instskip(NEXT) | instid1(VALU_DEP_2)
	v_lshlrev_b64 v[19:20], 2, v[19:20]
	v_lshlrev_b64 v[23:24], 2, v[21:22]
	s_delay_alu instid0(VALU_DEP_2) | instskip(NEXT) | instid1(VALU_DEP_3)
	v_add_co_u32 v21, vcc_lo, s16, v19
	v_add_co_ci_u32_e32 v22, vcc_lo, s17, v20, vcc_lo
	s_delay_alu instid0(VALU_DEP_3) | instskip(NEXT) | instid1(VALU_DEP_4)
	v_add_co_u32 v19, vcc_lo, s16, v23
	v_add_co_ci_u32_e32 v20, vcc_lo, s17, v24, vcc_lo
	s_clause 0x1
	global_load_b32 v23, v[21:22], off
	global_load_b32 v24, v[19:20], off
	s_waitcnt vmcnt(0)
	v_cmpx_eq_u32_e64 v23, v24
	s_cbranch_execz .LBB455_145
; %bb.139:
	v_add_co_u32 v19, vcc_lo, v19, 4
	v_add_co_ci_u32_e32 v20, vcc_lo, 0, v20, vcc_lo
	v_add_co_u32 v21, vcc_lo, v21, 4
	v_add_co_ci_u32_e32 v22, vcc_lo, 0, v22, vcc_lo
	s_add_u32 s4, s14, -1
	s_addc_u32 s5, s15, -1
	s_mov_b64 s[6:7], 0
	s_mov_b32 s30, 0
                                        ; implicit-def: $sgpr31
	s_set_inst_prefetch_distance 0x1
	s_branch .LBB455_142
	.p2align	6
.LBB455_140:                            ;   in Loop: Header=BB455_142 Depth=1
	global_load_b32 v23, v[21:22], off
	global_load_b32 v24, v[19:20], off
	v_add_co_u32 v19, vcc_lo, v19, 4
	v_add_co_ci_u32_e32 v20, vcc_lo, 0, v20, vcc_lo
	v_add_co_u32 v21, s0, v21, 4
	s_delay_alu instid0(VALU_DEP_1)
	v_add_co_ci_u32_e64 v22, s0, 0, v22, s0
	s_add_u32 s6, s6, 1
	s_addc_u32 s7, s7, 0
	s_and_not1_b32 s0, s31, exec_lo
	s_waitcnt vmcnt(0)
	v_cmp_ne_u32_e32 vcc_lo, v23, v24
	s_and_b32 s31, vcc_lo, exec_lo
	s_delay_alu instid0(SALU_CYCLE_1)
	s_or_b32 s31, s0, s31
.LBB455_141:                            ;   in Loop: Header=BB455_142 Depth=1
	v_dual_mov_b32 v24, s7 :: v_dual_mov_b32 v23, s6
	s_and_b32 s0, exec_lo, s31
	s_delay_alu instid0(SALU_CYCLE_1) | instskip(NEXT) | instid1(SALU_CYCLE_1)
	s_or_b32 s30, s0, s30
	s_and_not1_b32 exec_lo, exec_lo, s30
	s_cbranch_execz .LBB455_144
.LBB455_142:                            ; =>This Inner Loop Header: Depth=1
	s_or_b32 s31, s31, exec_lo
	s_cmp_eq_u64 s[4:5], s[6:7]
	s_cbranch_scc0 .LBB455_140
; %bb.143:                              ;   in Loop: Header=BB455_142 Depth=1
	s_mov_b64 s[6:7], s[14:15]
                                        ; implicit-def: $vgpr19_vgpr20
                                        ; implicit-def: $vgpr21_vgpr22
	s_branch .LBB455_141
.LBB455_144:
	s_set_inst_prefetch_distance 0x2
	s_or_b32 exec_lo, exec_lo, s30
	v_cmp_gt_i64_e32 vcc_lo, s[14:15], v[23:24]
	s_or_not1_b32 s0, vcc_lo, exec_lo
.LBB455_145:
	s_or_b32 exec_lo, exec_lo, s28
.LBB455_146:
	s_delay_alu instid0(SALU_CYCLE_1)
	s_and_b32 s28, s0, exec_lo
.LBB455_147:
	s_or_b32 exec_lo, exec_lo, s29
	v_or_b32_e32 v19, 3, v39
	s_mov_b32 s30, 0
	s_mov_b32 s29, 0
	s_mov_b32 s31, exec_lo
	s_delay_alu instid0(VALU_DEP_1)
	v_cmpx_gt_u32_e64 s12, v19
	s_cbranch_execz .LBB455_158
; %bb.148:
	v_cmp_ne_u32_e32 vcc_lo, 1, v27
	s_mov_b32 s0, 0
	s_cbranch_vccnz .LBB455_157
; %bb.149:
	v_mul_lo_u32 v23, v10, s14
	v_mul_lo_u32 v24, v9, s15
	v_mad_u64_u32 v[19:20], null, v9, s14, 0
	v_mul_lo_u32 v25, v12, s14
	v_mul_lo_u32 v26, v11, s15
	s_waitcnt lgkmcnt(0)
	v_mad_u64_u32 v[21:22], null, v11, s14, 0
	s_mov_b32 s0, -1
	s_mov_b32 s29, exec_lo
	s_delay_alu instid0(VALU_DEP_4) | instskip(NEXT) | instid1(VALU_DEP_2)
	v_add3_u32 v20, v20, v24, v23
	v_add3_u32 v22, v22, v26, v25
	s_delay_alu instid0(VALU_DEP_2) | instskip(NEXT) | instid1(VALU_DEP_2)
	v_lshlrev_b64 v[19:20], 2, v[19:20]
	v_lshlrev_b64 v[23:24], 2, v[21:22]
	s_delay_alu instid0(VALU_DEP_2) | instskip(NEXT) | instid1(VALU_DEP_3)
	v_add_co_u32 v21, vcc_lo, s16, v19
	v_add_co_ci_u32_e32 v22, vcc_lo, s17, v20, vcc_lo
	s_delay_alu instid0(VALU_DEP_3) | instskip(NEXT) | instid1(VALU_DEP_4)
	v_add_co_u32 v19, vcc_lo, s16, v23
	v_add_co_ci_u32_e32 v20, vcc_lo, s17, v24, vcc_lo
	s_clause 0x1
	global_load_b32 v23, v[21:22], off
	global_load_b32 v24, v[19:20], off
	s_waitcnt vmcnt(0)
	v_cmpx_eq_u32_e64 v23, v24
	s_cbranch_execz .LBB455_156
; %bb.150:
	v_add_co_u32 v19, vcc_lo, v19, 4
	v_add_co_ci_u32_e32 v20, vcc_lo, 0, v20, vcc_lo
	v_add_co_u32 v21, vcc_lo, v21, 4
	v_add_co_ci_u32_e32 v22, vcc_lo, 0, v22, vcc_lo
	s_add_u32 s4, s14, -1
	s_addc_u32 s5, s15, -1
	s_mov_b64 s[6:7], 0
	s_mov_b32 s33, 0
                                        ; implicit-def: $sgpr34
	s_set_inst_prefetch_distance 0x1
	s_branch .LBB455_153
	.p2align	6
.LBB455_151:                            ;   in Loop: Header=BB455_153 Depth=1
	global_load_b32 v23, v[21:22], off
	global_load_b32 v24, v[19:20], off
	v_add_co_u32 v19, vcc_lo, v19, 4
	v_add_co_ci_u32_e32 v20, vcc_lo, 0, v20, vcc_lo
	v_add_co_u32 v21, s0, v21, 4
	s_delay_alu instid0(VALU_DEP_1)
	v_add_co_ci_u32_e64 v22, s0, 0, v22, s0
	s_add_u32 s6, s6, 1
	s_addc_u32 s7, s7, 0
	s_and_not1_b32 s0, s34, exec_lo
	s_waitcnt vmcnt(0)
	v_cmp_ne_u32_e32 vcc_lo, v23, v24
	s_and_b32 s34, vcc_lo, exec_lo
	s_delay_alu instid0(SALU_CYCLE_1)
	s_or_b32 s34, s0, s34
.LBB455_152:                            ;   in Loop: Header=BB455_153 Depth=1
	v_dual_mov_b32 v24, s7 :: v_dual_mov_b32 v23, s6
	s_and_b32 s0, exec_lo, s34
	s_delay_alu instid0(SALU_CYCLE_1) | instskip(NEXT) | instid1(SALU_CYCLE_1)
	s_or_b32 s33, s0, s33
	s_and_not1_b32 exec_lo, exec_lo, s33
	s_cbranch_execz .LBB455_155
.LBB455_153:                            ; =>This Inner Loop Header: Depth=1
	s_or_b32 s34, s34, exec_lo
	s_cmp_eq_u64 s[4:5], s[6:7]
	s_cbranch_scc0 .LBB455_151
; %bb.154:                              ;   in Loop: Header=BB455_153 Depth=1
	s_mov_b64 s[6:7], s[14:15]
                                        ; implicit-def: $vgpr19_vgpr20
                                        ; implicit-def: $vgpr21_vgpr22
	s_branch .LBB455_152
.LBB455_155:
	s_set_inst_prefetch_distance 0x2
	s_or_b32 exec_lo, exec_lo, s33
	v_cmp_gt_i64_e32 vcc_lo, s[14:15], v[23:24]
	s_or_not1_b32 s0, vcc_lo, exec_lo
.LBB455_156:
	s_or_b32 exec_lo, exec_lo, s29
.LBB455_157:
	s_delay_alu instid0(SALU_CYCLE_1)
	s_and_b32 s29, s0, exec_lo
.LBB455_158:
	s_or_b32 exec_lo, exec_lo, s31
	v_or_b32_e32 v19, 2, v39
	s_mov_b32 s31, exec_lo
	s_delay_alu instid0(VALU_DEP_1)
	v_cmpx_gt_u32_e64 s12, v19
	s_cbranch_execz .LBB455_169
; %bb.159:
	v_cmp_ne_u32_e32 vcc_lo, 1, v27
	s_mov_b32 s0, 0
	s_cbranch_vccnz .LBB455_168
; %bb.160:
	v_mul_lo_u32 v23, v16, s14
	v_mul_lo_u32 v24, v15, s15
	v_mad_u64_u32 v[19:20], null, v15, s14, 0
	v_mul_lo_u32 v25, v10, s14
	v_mul_lo_u32 v26, v9, s15
	s_waitcnt lgkmcnt(0)
	v_mad_u64_u32 v[21:22], null, v9, s14, 0
	s_mov_b32 s0, -1
	s_mov_b32 s30, exec_lo
	s_delay_alu instid0(VALU_DEP_4) | instskip(NEXT) | instid1(VALU_DEP_2)
	v_add3_u32 v20, v20, v24, v23
	v_add3_u32 v22, v22, v26, v25
	s_delay_alu instid0(VALU_DEP_2) | instskip(NEXT) | instid1(VALU_DEP_2)
	v_lshlrev_b64 v[19:20], 2, v[19:20]
	v_lshlrev_b64 v[23:24], 2, v[21:22]
	s_delay_alu instid0(VALU_DEP_2) | instskip(NEXT) | instid1(VALU_DEP_3)
	v_add_co_u32 v21, vcc_lo, s16, v19
	v_add_co_ci_u32_e32 v22, vcc_lo, s17, v20, vcc_lo
	s_delay_alu instid0(VALU_DEP_3) | instskip(NEXT) | instid1(VALU_DEP_4)
	v_add_co_u32 v19, vcc_lo, s16, v23
	v_add_co_ci_u32_e32 v20, vcc_lo, s17, v24, vcc_lo
	s_clause 0x1
	global_load_b32 v23, v[21:22], off
	global_load_b32 v24, v[19:20], off
	s_waitcnt vmcnt(0)
	v_cmpx_eq_u32_e64 v23, v24
	s_cbranch_execz .LBB455_167
; %bb.161:
	v_add_co_u32 v19, vcc_lo, v19, 4
	v_add_co_ci_u32_e32 v20, vcc_lo, 0, v20, vcc_lo
	v_add_co_u32 v21, vcc_lo, v21, 4
	v_add_co_ci_u32_e32 v22, vcc_lo, 0, v22, vcc_lo
	s_add_u32 s4, s14, -1
	s_addc_u32 s5, s15, -1
	s_mov_b64 s[6:7], 0
	s_mov_b32 s33, 0
                                        ; implicit-def: $sgpr34
	s_set_inst_prefetch_distance 0x1
	s_branch .LBB455_164
	.p2align	6
.LBB455_162:                            ;   in Loop: Header=BB455_164 Depth=1
	global_load_b32 v23, v[21:22], off
	global_load_b32 v24, v[19:20], off
	v_add_co_u32 v19, vcc_lo, v19, 4
	v_add_co_ci_u32_e32 v20, vcc_lo, 0, v20, vcc_lo
	v_add_co_u32 v21, s0, v21, 4
	s_delay_alu instid0(VALU_DEP_1)
	v_add_co_ci_u32_e64 v22, s0, 0, v22, s0
	s_add_u32 s6, s6, 1
	s_addc_u32 s7, s7, 0
	s_and_not1_b32 s0, s34, exec_lo
	s_waitcnt vmcnt(0)
	v_cmp_ne_u32_e32 vcc_lo, v23, v24
	s_and_b32 s34, vcc_lo, exec_lo
	s_delay_alu instid0(SALU_CYCLE_1)
	s_or_b32 s34, s0, s34
.LBB455_163:                            ;   in Loop: Header=BB455_164 Depth=1
	v_dual_mov_b32 v24, s7 :: v_dual_mov_b32 v23, s6
	s_and_b32 s0, exec_lo, s34
	s_delay_alu instid0(SALU_CYCLE_1) | instskip(NEXT) | instid1(SALU_CYCLE_1)
	s_or_b32 s33, s0, s33
	s_and_not1_b32 exec_lo, exec_lo, s33
	s_cbranch_execz .LBB455_166
.LBB455_164:                            ; =>This Inner Loop Header: Depth=1
	s_or_b32 s34, s34, exec_lo
	s_cmp_eq_u64 s[4:5], s[6:7]
	s_cbranch_scc0 .LBB455_162
; %bb.165:                              ;   in Loop: Header=BB455_164 Depth=1
	s_mov_b64 s[6:7], s[14:15]
                                        ; implicit-def: $vgpr19_vgpr20
                                        ; implicit-def: $vgpr21_vgpr22
	s_branch .LBB455_163
.LBB455_166:
	s_set_inst_prefetch_distance 0x2
	s_or_b32 exec_lo, exec_lo, s33
	v_cmp_gt_i64_e32 vcc_lo, s[14:15], v[23:24]
	s_or_not1_b32 s0, vcc_lo, exec_lo
.LBB455_167:
	s_or_b32 exec_lo, exec_lo, s30
.LBB455_168:
	s_delay_alu instid0(SALU_CYCLE_1)
	s_and_b32 s30, s0, exec_lo
.LBB455_169:
	s_or_b32 exec_lo, exec_lo, s31
	v_or_b32_e32 v19, 1, v39
	s_mov_b32 s0, 0
	s_mov_b32 s31, exec_lo
	s_delay_alu instid0(VALU_DEP_1)
	v_cmpx_gt_u32_e64 s12, v19
	s_cbranch_execz .LBB455_180
; %bb.170:
	v_cmp_ne_u32_e32 vcc_lo, 1, v27
	s_cbranch_vccnz .LBB455_179
; %bb.171:
	v_mul_lo_u32 v23, v14, s14
	v_mul_lo_u32 v24, v13, s15
	v_mad_u64_u32 v[19:20], null, v13, s14, 0
	v_mul_lo_u32 v25, v16, s14
	v_mul_lo_u32 v26, v15, s15
	s_waitcnt lgkmcnt(0)
	v_mad_u64_u32 v[21:22], null, v15, s14, 0
	s_mov_b32 s0, -1
	s_mov_b32 s33, exec_lo
	s_delay_alu instid0(VALU_DEP_4) | instskip(NEXT) | instid1(VALU_DEP_2)
	v_add3_u32 v20, v20, v24, v23
	v_add3_u32 v22, v22, v26, v25
	s_delay_alu instid0(VALU_DEP_2) | instskip(NEXT) | instid1(VALU_DEP_2)
	v_lshlrev_b64 v[19:20], 2, v[19:20]
	v_lshlrev_b64 v[23:24], 2, v[21:22]
	s_delay_alu instid0(VALU_DEP_2) | instskip(NEXT) | instid1(VALU_DEP_3)
	v_add_co_u32 v21, vcc_lo, s16, v19
	v_add_co_ci_u32_e32 v22, vcc_lo, s17, v20, vcc_lo
	s_delay_alu instid0(VALU_DEP_3) | instskip(NEXT) | instid1(VALU_DEP_4)
	v_add_co_u32 v19, vcc_lo, s16, v23
	v_add_co_ci_u32_e32 v20, vcc_lo, s17, v24, vcc_lo
	s_clause 0x1
	global_load_b32 v23, v[21:22], off
	global_load_b32 v24, v[19:20], off
	s_waitcnt vmcnt(0)
	v_cmpx_eq_u32_e64 v23, v24
	s_cbranch_execz .LBB455_178
; %bb.172:
	v_add_co_u32 v19, vcc_lo, v19, 4
	v_add_co_ci_u32_e32 v20, vcc_lo, 0, v20, vcc_lo
	v_add_co_u32 v21, vcc_lo, v21, 4
	v_add_co_ci_u32_e32 v22, vcc_lo, 0, v22, vcc_lo
	s_add_u32 s4, s14, -1
	s_addc_u32 s5, s15, -1
	s_mov_b64 s[6:7], 0
	s_mov_b32 s34, 0
                                        ; implicit-def: $sgpr35
	s_set_inst_prefetch_distance 0x1
	s_branch .LBB455_175
	.p2align	6
.LBB455_173:                            ;   in Loop: Header=BB455_175 Depth=1
	global_load_b32 v23, v[21:22], off
	global_load_b32 v24, v[19:20], off
	v_add_co_u32 v19, vcc_lo, v19, 4
	v_add_co_ci_u32_e32 v20, vcc_lo, 0, v20, vcc_lo
	v_add_co_u32 v21, s0, v21, 4
	s_delay_alu instid0(VALU_DEP_1)
	v_add_co_ci_u32_e64 v22, s0, 0, v22, s0
	s_add_u32 s6, s6, 1
	s_addc_u32 s7, s7, 0
	s_and_not1_b32 s0, s35, exec_lo
	s_waitcnt vmcnt(0)
	v_cmp_ne_u32_e32 vcc_lo, v23, v24
	s_and_b32 s35, vcc_lo, exec_lo
	s_delay_alu instid0(SALU_CYCLE_1)
	s_or_b32 s35, s0, s35
.LBB455_174:                            ;   in Loop: Header=BB455_175 Depth=1
	v_dual_mov_b32 v24, s7 :: v_dual_mov_b32 v23, s6
	s_and_b32 s0, exec_lo, s35
	s_delay_alu instid0(SALU_CYCLE_1) | instskip(NEXT) | instid1(SALU_CYCLE_1)
	s_or_b32 s34, s0, s34
	s_and_not1_b32 exec_lo, exec_lo, s34
	s_cbranch_execz .LBB455_177
.LBB455_175:                            ; =>This Inner Loop Header: Depth=1
	s_or_b32 s35, s35, exec_lo
	s_cmp_eq_u64 s[4:5], s[6:7]
	s_cbranch_scc0 .LBB455_173
; %bb.176:                              ;   in Loop: Header=BB455_175 Depth=1
	s_mov_b64 s[6:7], s[14:15]
                                        ; implicit-def: $vgpr19_vgpr20
                                        ; implicit-def: $vgpr21_vgpr22
	s_branch .LBB455_174
.LBB455_177:
	s_set_inst_prefetch_distance 0x2
	s_or_b32 exec_lo, exec_lo, s34
	v_cmp_gt_i64_e32 vcc_lo, s[14:15], v[23:24]
	s_or_not1_b32 s0, vcc_lo, exec_lo
.LBB455_178:
	s_or_b32 exec_lo, exec_lo, s33
.LBB455_179:
	s_delay_alu instid0(SALU_CYCLE_1)
	s_and_b32 s0, s0, exec_lo
.LBB455_180:
	s_or_b32 exec_lo, exec_lo, s31
	s_waitcnt vmcnt(0) lgkmcnt(0)
	s_barrier
	buffer_gl0_inv
	s_and_saveexec_b32 s4, s3
	s_cbranch_execz .LBB455_182
; %bb.181:
	v_add_nc_u32_e32 v17, -8, v39
	ds_load_b64 v[17:18], v17
.LBB455_182:
	s_or_b32 exec_lo, exec_lo, s4
	v_cndmask_b32_e64 v20, 0, 1, s29
	v_cndmask_b32_e64 v22, 0, 1, s26
	;; [unrolled: 1-line block ×7, first 2 shown]
	v_lshlrev_b16 v20, 8, v20
	v_lshlrev_b16 v22, 8, v22
	;; [unrolled: 1-line block ×3, first 2 shown]
	s_mov_b32 s0, 0
	v_lshlrev_b16 v25, 8, v25
	v_or_b32_e32 v19, v19, v20
	v_or_b32_e32 v20, v21, v22
	;; [unrolled: 1-line block ×3, first 2 shown]
	s_mov_b32 s25, exec_lo
	v_and_b32_e32 v23, 0xffff, v25
	v_lshlrev_b32_e32 v24, 16, v19
	v_and_b32_e32 v25, 0xffff, v20
	v_lshlrev_b32_e32 v26, 16, v21
	v_cmpx_gt_u32_e64 s12, v39
	s_cbranch_execz .LBB455_193
; %bb.183:
	v_cmp_ne_u32_e32 vcc_lo, 1, v27
	s_cbranch_vccnz .LBB455_192
; %bb.184:
	s_waitcnt lgkmcnt(0)
	v_mul_lo_u32 v22, v18, s14
	v_mul_lo_u32 v27, v17, s15
	v_mad_u64_u32 v[18:19], null, v17, s14, 0
	v_mul_lo_u32 v17, v14, s14
	v_mul_lo_u32 v28, v13, s15
	v_mad_u64_u32 v[20:21], null, v13, s14, 0
	s_mov_b32 s0, -1
	s_mov_b32 s26, exec_lo
	s_delay_alu instid0(VALU_DEP_4) | instskip(NEXT) | instid1(VALU_DEP_2)
	v_add3_u32 v19, v19, v27, v22
	v_add3_u32 v21, v21, v28, v17
	s_delay_alu instid0(VALU_DEP_2) | instskip(NEXT) | instid1(VALU_DEP_2)
	v_lshlrev_b64 v[17:18], 2, v[18:19]
	v_lshlrev_b64 v[21:22], 2, v[20:21]
	s_delay_alu instid0(VALU_DEP_2) | instskip(NEXT) | instid1(VALU_DEP_3)
	v_add_co_u32 v19, vcc_lo, s16, v17
	v_add_co_ci_u32_e32 v20, vcc_lo, s17, v18, vcc_lo
	s_delay_alu instid0(VALU_DEP_3) | instskip(NEXT) | instid1(VALU_DEP_4)
	v_add_co_u32 v17, vcc_lo, s16, v21
	v_add_co_ci_u32_e32 v18, vcc_lo, s17, v22, vcc_lo
	s_clause 0x1
	global_load_b32 v21, v[19:20], off
	global_load_b32 v22, v[17:18], off
	s_waitcnt vmcnt(0)
	v_cmpx_eq_u32_e64 v21, v22
	s_cbranch_execz .LBB455_191
; %bb.185:
	v_add_co_u32 v17, vcc_lo, v17, 4
	v_add_co_ci_u32_e32 v18, vcc_lo, 0, v18, vcc_lo
	v_add_co_u32 v19, vcc_lo, v19, 4
	v_add_co_ci_u32_e32 v20, vcc_lo, 0, v20, vcc_lo
	s_add_u32 s4, s14, -1
	s_addc_u32 s5, s15, -1
	s_mov_b64 s[6:7], 0
	s_mov_b32 s27, 0
                                        ; implicit-def: $sgpr28
	s_set_inst_prefetch_distance 0x1
	s_branch .LBB455_188
	.p2align	6
.LBB455_186:                            ;   in Loop: Header=BB455_188 Depth=1
	global_load_b32 v21, v[19:20], off
	global_load_b32 v22, v[17:18], off
	v_add_co_u32 v17, vcc_lo, v17, 4
	v_add_co_ci_u32_e32 v18, vcc_lo, 0, v18, vcc_lo
	v_add_co_u32 v19, s0, v19, 4
	s_delay_alu instid0(VALU_DEP_1)
	v_add_co_ci_u32_e64 v20, s0, 0, v20, s0
	s_add_u32 s6, s6, 1
	s_addc_u32 s7, s7, 0
	s_and_not1_b32 s0, s28, exec_lo
	s_waitcnt vmcnt(0)
	v_cmp_ne_u32_e32 vcc_lo, v21, v22
	s_and_b32 s28, vcc_lo, exec_lo
	s_delay_alu instid0(SALU_CYCLE_1)
	s_or_b32 s28, s0, s28
.LBB455_187:                            ;   in Loop: Header=BB455_188 Depth=1
	v_dual_mov_b32 v22, s7 :: v_dual_mov_b32 v21, s6
	s_and_b32 s0, exec_lo, s28
	s_delay_alu instid0(SALU_CYCLE_1) | instskip(NEXT) | instid1(SALU_CYCLE_1)
	s_or_b32 s27, s0, s27
	s_and_not1_b32 exec_lo, exec_lo, s27
	s_cbranch_execz .LBB455_190
.LBB455_188:                            ; =>This Inner Loop Header: Depth=1
	s_or_b32 s28, s28, exec_lo
	s_cmp_eq_u64 s[4:5], s[6:7]
	s_cbranch_scc0 .LBB455_186
; %bb.189:                              ;   in Loop: Header=BB455_188 Depth=1
	s_mov_b64 s[6:7], s[14:15]
                                        ; implicit-def: $vgpr17_vgpr18
                                        ; implicit-def: $vgpr19_vgpr20
	s_branch .LBB455_187
.LBB455_190:
	s_set_inst_prefetch_distance 0x2
	s_or_b32 exec_lo, exec_lo, s27
	v_cmp_gt_i64_e32 vcc_lo, s[14:15], v[21:22]
	s_or_not1_b32 s0, vcc_lo, exec_lo
.LBB455_191:
	s_or_b32 exec_lo, exec_lo, s26
.LBB455_192:
	s_delay_alu instid0(SALU_CYCLE_1)
	s_and_b32 s0, s0, exec_lo
.LBB455_193:
	s_or_b32 exec_lo, exec_lo, s25
	v_or_b32_e32 v19, v23, v24
	v_or_b32_e32 v20, v25, v26
.LBB455_194:
	s_mov_b32 s25, -1
	s_cbranch_execnz .LBB455_363
.LBB455_195:
	v_cmp_gt_i64_e64 s26, s[14:15], 0
	s_and_b32 vcc_lo, exec_lo, s22
	ds_store_b64 v39, v[3:4]
	s_cbranch_vccz .LBB455_203
; %bb.196:
	v_mul_lo_u32 v19, v2, s14
	v_mul_lo_u32 v20, v1, s15
	s_waitcnt vmcnt(0) lgkmcnt(1)
	v_mad_u64_u32 v[17:18], null, v1, s14, 0
	s_mov_b32 s27, 0
	s_and_not1_b32 vcc_lo, exec_lo, s26
	s_mov_b32 s28, 0
	s_delay_alu instid0(VALU_DEP_1) | instskip(NEXT) | instid1(VALU_DEP_1)
	v_add3_u32 v18, v18, v20, v19
	v_lshlrev_b64 v[17:18], 2, v[17:18]
	s_cbranch_vccnz .LBB455_206
; %bb.197:
	v_mul_lo_u32 v21, v4, s14
	v_mul_lo_u32 v22, v3, s15
	v_mad_u64_u32 v[19:20], null, v3, s14, 0
	s_mov_b32 s28, -1
	s_mov_b32 s29, exec_lo
	s_delay_alu instid0(VALU_DEP_1) | instskip(SKIP_2) | instid1(VALU_DEP_3)
	v_add3_u32 v20, v20, v22, v21
	v_add_co_u32 v21, vcc_lo, s16, v17
	v_add_co_ci_u32_e32 v22, vcc_lo, s17, v18, vcc_lo
	v_lshlrev_b64 v[19:20], 2, v[19:20]
	s_delay_alu instid0(VALU_DEP_1) | instskip(NEXT) | instid1(VALU_DEP_2)
	v_add_co_u32 v19, vcc_lo, s16, v19
	v_add_co_ci_u32_e32 v20, vcc_lo, s17, v20, vcc_lo
	s_clause 0x1
	global_load_b32 v23, v[21:22], off
	global_load_b32 v24, v[19:20], off
	s_waitcnt vmcnt(0)
	v_cmpx_eq_u32_e64 v23, v24
	s_cbranch_execz .LBB455_205
; %bb.198:
	v_add_co_u32 v19, vcc_lo, v19, 4
	v_add_co_ci_u32_e32 v20, vcc_lo, 0, v20, vcc_lo
	v_add_co_u32 v21, vcc_lo, v21, 4
	v_add_co_ci_u32_e32 v22, vcc_lo, 0, v22, vcc_lo
	s_add_u32 s4, s14, -1
	s_addc_u32 s5, s15, -1
	s_mov_b64 s[6:7], 0
	s_mov_b32 s28, 0
                                        ; implicit-def: $sgpr30
	s_set_inst_prefetch_distance 0x1
	s_branch .LBB455_201
	.p2align	6
.LBB455_199:                            ;   in Loop: Header=BB455_201 Depth=1
	global_load_b32 v23, v[21:22], off
	global_load_b32 v24, v[19:20], off
	v_add_co_u32 v19, vcc_lo, v19, 4
	v_add_co_ci_u32_e32 v20, vcc_lo, 0, v20, vcc_lo
	v_add_co_u32 v21, s0, v21, 4
	s_delay_alu instid0(VALU_DEP_1)
	v_add_co_ci_u32_e64 v22, s0, 0, v22, s0
	s_add_u32 s6, s6, 1
	s_addc_u32 s7, s7, 0
	s_and_not1_b32 s0, s30, exec_lo
	s_waitcnt vmcnt(0)
	v_cmp_ne_u32_e32 vcc_lo, v23, v24
	s_and_b32 s30, vcc_lo, exec_lo
	s_delay_alu instid0(SALU_CYCLE_1)
	s_or_b32 s30, s0, s30
.LBB455_200:                            ;   in Loop: Header=BB455_201 Depth=1
	v_dual_mov_b32 v24, s7 :: v_dual_mov_b32 v23, s6
	s_and_b32 s0, exec_lo, s30
	s_delay_alu instid0(SALU_CYCLE_1) | instskip(NEXT) | instid1(SALU_CYCLE_1)
	s_or_b32 s28, s0, s28
	s_and_not1_b32 exec_lo, exec_lo, s28
	s_cbranch_execz .LBB455_204
.LBB455_201:                            ; =>This Inner Loop Header: Depth=1
	s_or_b32 s30, s30, exec_lo
	s_cmp_eq_u64 s[4:5], s[6:7]
	s_cbranch_scc0 .LBB455_199
; %bb.202:                              ;   in Loop: Header=BB455_201 Depth=1
	s_mov_b64 s[6:7], s[14:15]
                                        ; implicit-def: $vgpr19_vgpr20
                                        ; implicit-def: $vgpr21_vgpr22
	s_branch .LBB455_200
.LBB455_203:
                                        ; implicit-def: $sgpr0
                                        ; implicit-def: $vgpr20
	s_cbranch_execnz .LBB455_272
	s_branch .LBB455_363
.LBB455_204:
	s_set_inst_prefetch_distance 0x2
	s_or_b32 exec_lo, exec_lo, s28
	v_cmp_gt_i64_e32 vcc_lo, s[14:15], v[23:24]
	s_or_not1_b32 s28, vcc_lo, exec_lo
.LBB455_205:
	s_or_b32 exec_lo, exec_lo, s29
.LBB455_206:
	v_mul_lo_u32 v21, v8, s14
	v_mul_lo_u32 v22, v7, s15
	v_mad_u64_u32 v[19:20], null, v7, s14, 0
	s_and_not1_b32 vcc_lo, exec_lo, s26
	s_delay_alu instid0(VALU_DEP_1) | instskip(NEXT) | instid1(VALU_DEP_1)
	v_add3_u32 v20, v20, v22, v21
	v_lshlrev_b64 v[19:20], 2, v[19:20]
	s_cbranch_vccnz .LBB455_215
; %bb.207:
	s_delay_alu instid0(VALU_DEP_1) | instskip(NEXT) | instid1(VALU_DEP_2)
	v_add_co_u32 v21, vcc_lo, s16, v19
	v_add_co_ci_u32_e32 v22, vcc_lo, s17, v20, vcc_lo
	v_add_co_u32 v17, vcc_lo, s16, v17
	v_add_co_ci_u32_e32 v18, vcc_lo, s17, v18, vcc_lo
	s_mov_b32 s27, -1
	s_clause 0x1
	global_load_b32 v23, v[21:22], off
	global_load_b32 v24, v[17:18], off
	s_mov_b32 s29, exec_lo
	s_waitcnt vmcnt(0)
	v_cmpx_eq_u32_e64 v23, v24
	s_cbranch_execz .LBB455_214
; %bb.208:
	v_add_co_u32 v17, vcc_lo, v17, 4
	v_add_co_ci_u32_e32 v18, vcc_lo, 0, v18, vcc_lo
	v_add_co_u32 v21, vcc_lo, v21, 4
	v_add_co_ci_u32_e32 v22, vcc_lo, 0, v22, vcc_lo
	s_add_u32 s4, s14, -1
	s_addc_u32 s5, s15, -1
	s_mov_b64 s[6:7], 0
	s_mov_b32 s27, 0
                                        ; implicit-def: $sgpr30
	s_set_inst_prefetch_distance 0x1
	s_branch .LBB455_211
	.p2align	6
.LBB455_209:                            ;   in Loop: Header=BB455_211 Depth=1
	global_load_b32 v23, v[21:22], off
	global_load_b32 v24, v[17:18], off
	v_add_co_u32 v17, vcc_lo, v17, 4
	v_add_co_ci_u32_e32 v18, vcc_lo, 0, v18, vcc_lo
	v_add_co_u32 v21, s0, v21, 4
	s_delay_alu instid0(VALU_DEP_1)
	v_add_co_ci_u32_e64 v22, s0, 0, v22, s0
	s_add_u32 s6, s6, 1
	s_addc_u32 s7, s7, 0
	s_and_not1_b32 s0, s30, exec_lo
	s_waitcnt vmcnt(0)
	v_cmp_ne_u32_e32 vcc_lo, v23, v24
	s_and_b32 s30, vcc_lo, exec_lo
	s_delay_alu instid0(SALU_CYCLE_1)
	s_or_b32 s30, s0, s30
.LBB455_210:                            ;   in Loop: Header=BB455_211 Depth=1
	v_dual_mov_b32 v24, s7 :: v_dual_mov_b32 v23, s6
	s_and_b32 s0, exec_lo, s30
	s_delay_alu instid0(SALU_CYCLE_1) | instskip(NEXT) | instid1(SALU_CYCLE_1)
	s_or_b32 s27, s0, s27
	s_and_not1_b32 exec_lo, exec_lo, s27
	s_cbranch_execz .LBB455_213
.LBB455_211:                            ; =>This Inner Loop Header: Depth=1
	s_or_b32 s30, s30, exec_lo
	s_cmp_eq_u64 s[4:5], s[6:7]
	s_cbranch_scc0 .LBB455_209
; %bb.212:                              ;   in Loop: Header=BB455_211 Depth=1
	s_mov_b64 s[6:7], s[14:15]
                                        ; implicit-def: $vgpr17_vgpr18
                                        ; implicit-def: $vgpr21_vgpr22
	s_branch .LBB455_210
.LBB455_213:
	s_set_inst_prefetch_distance 0x2
	s_or_b32 exec_lo, exec_lo, s27
	v_cmp_gt_i64_e32 vcc_lo, s[14:15], v[23:24]
	s_or_not1_b32 s27, vcc_lo, exec_lo
.LBB455_214:
	s_or_b32 exec_lo, exec_lo, s29
.LBB455_215:
	v_mul_lo_u32 v21, v6, s14
	v_mul_lo_u32 v22, v5, s15
	v_mad_u64_u32 v[17:18], null, v5, s14, 0
	s_mov_b32 s29, 0
	s_and_not1_b32 vcc_lo, exec_lo, s26
	s_mov_b32 s30, 0
	s_delay_alu instid0(VALU_DEP_1) | instskip(NEXT) | instid1(VALU_DEP_1)
	v_add3_u32 v18, v18, v22, v21
	v_lshlrev_b64 v[21:22], 2, v[17:18]
	s_cbranch_vccnz .LBB455_224
; %bb.216:
	s_delay_alu instid0(VALU_DEP_1) | instskip(NEXT) | instid1(VALU_DEP_2)
	v_add_co_u32 v23, vcc_lo, s16, v21
	v_add_co_ci_u32_e32 v24, vcc_lo, s17, v22, vcc_lo
	v_add_co_u32 v17, vcc_lo, s16, v19
	v_add_co_ci_u32_e32 v18, vcc_lo, s17, v20, vcc_lo
	s_mov_b32 s30, -1
	s_clause 0x1
	global_load_b32 v19, v[23:24], off
	global_load_b32 v20, v[17:18], off
	s_mov_b32 s31, exec_lo
	s_waitcnt vmcnt(0)
	v_cmpx_eq_u32_e64 v19, v20
	s_cbranch_execz .LBB455_223
; %bb.217:
	v_add_co_u32 v17, vcc_lo, v17, 4
	v_add_co_ci_u32_e32 v18, vcc_lo, 0, v18, vcc_lo
	v_add_co_u32 v19, vcc_lo, v23, 4
	v_add_co_ci_u32_e32 v20, vcc_lo, 0, v24, vcc_lo
	s_add_u32 s4, s14, -1
	s_addc_u32 s5, s15, -1
	s_mov_b64 s[6:7], 0
	s_mov_b32 s30, 0
                                        ; implicit-def: $sgpr33
	s_set_inst_prefetch_distance 0x1
	s_branch .LBB455_220
	.p2align	6
.LBB455_218:                            ;   in Loop: Header=BB455_220 Depth=1
	global_load_b32 v23, v[19:20], off
	global_load_b32 v24, v[17:18], off
	v_add_co_u32 v17, vcc_lo, v17, 4
	v_add_co_ci_u32_e32 v18, vcc_lo, 0, v18, vcc_lo
	v_add_co_u32 v19, s0, v19, 4
	s_delay_alu instid0(VALU_DEP_1)
	v_add_co_ci_u32_e64 v20, s0, 0, v20, s0
	s_add_u32 s6, s6, 1
	s_addc_u32 s7, s7, 0
	s_and_not1_b32 s0, s33, exec_lo
	s_waitcnt vmcnt(0)
	v_cmp_ne_u32_e32 vcc_lo, v23, v24
	s_and_b32 s33, vcc_lo, exec_lo
	s_delay_alu instid0(SALU_CYCLE_1)
	s_or_b32 s33, s0, s33
.LBB455_219:                            ;   in Loop: Header=BB455_220 Depth=1
	v_dual_mov_b32 v24, s7 :: v_dual_mov_b32 v23, s6
	s_and_b32 s0, exec_lo, s33
	s_delay_alu instid0(SALU_CYCLE_1) | instskip(NEXT) | instid1(SALU_CYCLE_1)
	s_or_b32 s30, s0, s30
	s_and_not1_b32 exec_lo, exec_lo, s30
	s_cbranch_execz .LBB455_222
.LBB455_220:                            ; =>This Inner Loop Header: Depth=1
	s_or_b32 s33, s33, exec_lo
	s_cmp_eq_u64 s[4:5], s[6:7]
	s_cbranch_scc0 .LBB455_218
; %bb.221:                              ;   in Loop: Header=BB455_220 Depth=1
	s_mov_b64 s[6:7], s[14:15]
                                        ; implicit-def: $vgpr17_vgpr18
                                        ; implicit-def: $vgpr19_vgpr20
	s_branch .LBB455_219
.LBB455_222:
	s_set_inst_prefetch_distance 0x2
	s_or_b32 exec_lo, exec_lo, s30
	v_cmp_gt_i64_e32 vcc_lo, s[14:15], v[23:24]
	s_or_not1_b32 s30, vcc_lo, exec_lo
.LBB455_223:
	s_or_b32 exec_lo, exec_lo, s31
.LBB455_224:
	v_mul_lo_u32 v19, v12, s14
	v_mul_lo_u32 v20, v11, s15
	v_mad_u64_u32 v[17:18], null, v11, s14, 0
	s_and_not1_b32 vcc_lo, exec_lo, s26
	s_delay_alu instid0(VALU_DEP_1) | instskip(NEXT) | instid1(VALU_DEP_1)
	v_add3_u32 v18, v18, v20, v19
	v_lshlrev_b64 v[17:18], 2, v[17:18]
	s_cbranch_vccnz .LBB455_233
; %bb.225:
	s_delay_alu instid0(VALU_DEP_1) | instskip(NEXT) | instid1(VALU_DEP_2)
	v_add_co_u32 v23, vcc_lo, s16, v17
	v_add_co_ci_u32_e32 v24, vcc_lo, s17, v18, vcc_lo
	v_add_co_u32 v19, vcc_lo, s16, v21
	v_add_co_ci_u32_e32 v20, vcc_lo, s17, v22, vcc_lo
	s_mov_b32 s29, -1
	s_clause 0x1
	global_load_b32 v21, v[23:24], off
	global_load_b32 v22, v[19:20], off
	s_mov_b32 s31, exec_lo
	s_waitcnt vmcnt(0)
	v_cmpx_eq_u32_e64 v21, v22
	s_cbranch_execz .LBB455_232
; %bb.226:
	v_add_co_u32 v19, vcc_lo, v19, 4
	v_add_co_ci_u32_e32 v20, vcc_lo, 0, v20, vcc_lo
	v_add_co_u32 v21, vcc_lo, v23, 4
	v_add_co_ci_u32_e32 v22, vcc_lo, 0, v24, vcc_lo
	s_add_u32 s4, s14, -1
	s_addc_u32 s5, s15, -1
	s_mov_b64 s[6:7], 0
	s_mov_b32 s29, 0
                                        ; implicit-def: $sgpr33
	s_set_inst_prefetch_distance 0x1
	s_branch .LBB455_229
	.p2align	6
.LBB455_227:                            ;   in Loop: Header=BB455_229 Depth=1
	global_load_b32 v23, v[21:22], off
	global_load_b32 v24, v[19:20], off
	v_add_co_u32 v19, vcc_lo, v19, 4
	v_add_co_ci_u32_e32 v20, vcc_lo, 0, v20, vcc_lo
	v_add_co_u32 v21, s0, v21, 4
	s_delay_alu instid0(VALU_DEP_1)
	v_add_co_ci_u32_e64 v22, s0, 0, v22, s0
	s_add_u32 s6, s6, 1
	s_addc_u32 s7, s7, 0
	s_and_not1_b32 s0, s33, exec_lo
	s_waitcnt vmcnt(0)
	v_cmp_ne_u32_e32 vcc_lo, v23, v24
	s_and_b32 s33, vcc_lo, exec_lo
	s_delay_alu instid0(SALU_CYCLE_1)
	s_or_b32 s33, s0, s33
.LBB455_228:                            ;   in Loop: Header=BB455_229 Depth=1
	v_dual_mov_b32 v24, s7 :: v_dual_mov_b32 v23, s6
	s_and_b32 s0, exec_lo, s33
	s_delay_alu instid0(SALU_CYCLE_1) | instskip(NEXT) | instid1(SALU_CYCLE_1)
	s_or_b32 s29, s0, s29
	s_and_not1_b32 exec_lo, exec_lo, s29
	s_cbranch_execz .LBB455_231
.LBB455_229:                            ; =>This Inner Loop Header: Depth=1
	s_or_b32 s33, s33, exec_lo
	s_cmp_eq_u64 s[4:5], s[6:7]
	s_cbranch_scc0 .LBB455_227
; %bb.230:                              ;   in Loop: Header=BB455_229 Depth=1
	s_mov_b64 s[6:7], s[14:15]
                                        ; implicit-def: $vgpr19_vgpr20
                                        ; implicit-def: $vgpr21_vgpr22
	s_branch .LBB455_228
.LBB455_231:
	s_set_inst_prefetch_distance 0x2
	s_or_b32 exec_lo, exec_lo, s29
	v_cmp_gt_i64_e32 vcc_lo, s[14:15], v[23:24]
	s_or_not1_b32 s29, vcc_lo, exec_lo
.LBB455_232:
	s_or_b32 exec_lo, exec_lo, s31
.LBB455_233:
	v_mul_lo_u32 v21, v10, s14
	v_mul_lo_u32 v22, v9, s15
	v_mad_u64_u32 v[19:20], null, v9, s14, 0
	s_mov_b32 s31, 0
	s_and_not1_b32 vcc_lo, exec_lo, s26
	s_mov_b32 s33, 0
	s_delay_alu instid0(VALU_DEP_1) | instskip(NEXT) | instid1(VALU_DEP_1)
	v_add3_u32 v20, v20, v22, v21
	v_lshlrev_b64 v[21:22], 2, v[19:20]
	s_cbranch_vccnz .LBB455_242
; %bb.234:
	s_delay_alu instid0(VALU_DEP_1) | instskip(NEXT) | instid1(VALU_DEP_2)
	v_add_co_u32 v19, vcc_lo, s16, v21
	v_add_co_ci_u32_e32 v20, vcc_lo, s17, v22, vcc_lo
	v_add_co_u32 v17, vcc_lo, s16, v17
	v_add_co_ci_u32_e32 v18, vcc_lo, s17, v18, vcc_lo
	s_mov_b32 s33, -1
	s_clause 0x1
	global_load_b32 v23, v[19:20], off
	global_load_b32 v24, v[17:18], off
	s_mov_b32 s34, exec_lo
	s_waitcnt vmcnt(0)
	v_cmpx_eq_u32_e64 v23, v24
	s_cbranch_execz .LBB455_241
; %bb.235:
	v_add_co_u32 v17, vcc_lo, v17, 4
	v_add_co_ci_u32_e32 v18, vcc_lo, 0, v18, vcc_lo
	v_add_co_u32 v19, vcc_lo, v19, 4
	v_add_co_ci_u32_e32 v20, vcc_lo, 0, v20, vcc_lo
	s_add_u32 s4, s14, -1
	s_addc_u32 s5, s15, -1
	s_mov_b64 s[6:7], 0
	s_mov_b32 s33, 0
                                        ; implicit-def: $sgpr35
	s_set_inst_prefetch_distance 0x1
	s_branch .LBB455_238
	.p2align	6
.LBB455_236:                            ;   in Loop: Header=BB455_238 Depth=1
	global_load_b32 v23, v[19:20], off
	global_load_b32 v24, v[17:18], off
	v_add_co_u32 v17, vcc_lo, v17, 4
	v_add_co_ci_u32_e32 v18, vcc_lo, 0, v18, vcc_lo
	v_add_co_u32 v19, s0, v19, 4
	s_delay_alu instid0(VALU_DEP_1)
	v_add_co_ci_u32_e64 v20, s0, 0, v20, s0
	s_add_u32 s6, s6, 1
	s_addc_u32 s7, s7, 0
	s_and_not1_b32 s0, s35, exec_lo
	s_waitcnt vmcnt(0)
	v_cmp_ne_u32_e32 vcc_lo, v23, v24
	s_and_b32 s35, vcc_lo, exec_lo
	s_delay_alu instid0(SALU_CYCLE_1)
	s_or_b32 s35, s0, s35
.LBB455_237:                            ;   in Loop: Header=BB455_238 Depth=1
	v_dual_mov_b32 v24, s7 :: v_dual_mov_b32 v23, s6
	s_and_b32 s0, exec_lo, s35
	s_delay_alu instid0(SALU_CYCLE_1) | instskip(NEXT) | instid1(SALU_CYCLE_1)
	s_or_b32 s33, s0, s33
	s_and_not1_b32 exec_lo, exec_lo, s33
	s_cbranch_execz .LBB455_240
.LBB455_238:                            ; =>This Inner Loop Header: Depth=1
	s_or_b32 s35, s35, exec_lo
	s_cmp_eq_u64 s[4:5], s[6:7]
	s_cbranch_scc0 .LBB455_236
; %bb.239:                              ;   in Loop: Header=BB455_238 Depth=1
	s_mov_b64 s[6:7], s[14:15]
                                        ; implicit-def: $vgpr17_vgpr18
                                        ; implicit-def: $vgpr19_vgpr20
	s_branch .LBB455_237
.LBB455_240:
	s_set_inst_prefetch_distance 0x2
	s_or_b32 exec_lo, exec_lo, s33
	v_cmp_gt_i64_e32 vcc_lo, s[14:15], v[23:24]
	s_or_not1_b32 s33, vcc_lo, exec_lo
.LBB455_241:
	s_or_b32 exec_lo, exec_lo, s34
.LBB455_242:
	v_mul_lo_u32 v19, v16, s14
	v_mul_lo_u32 v20, v15, s15
	v_mad_u64_u32 v[17:18], null, v15, s14, 0
	s_and_not1_b32 vcc_lo, exec_lo, s26
	s_delay_alu instid0(VALU_DEP_1) | instskip(NEXT) | instid1(VALU_DEP_1)
	v_add3_u32 v18, v18, v20, v19
	v_lshlrev_b64 v[19:20], 2, v[17:18]
	s_cbranch_vccnz .LBB455_251
; %bb.243:
	s_delay_alu instid0(VALU_DEP_1) | instskip(NEXT) | instid1(VALU_DEP_2)
	v_add_co_u32 v23, vcc_lo, s16, v19
	v_add_co_ci_u32_e32 v24, vcc_lo, s17, v20, vcc_lo
	v_add_co_u32 v17, vcc_lo, s16, v21
	v_add_co_ci_u32_e32 v18, vcc_lo, s17, v22, vcc_lo
	s_mov_b32 s31, -1
	s_clause 0x1
	global_load_b32 v21, v[23:24], off
	global_load_b32 v22, v[17:18], off
	s_mov_b32 s34, exec_lo
	s_waitcnt vmcnt(0)
	v_cmpx_eq_u32_e64 v21, v22
	s_cbranch_execz .LBB455_250
; %bb.244:
	v_add_co_u32 v17, vcc_lo, v17, 4
	v_add_co_ci_u32_e32 v18, vcc_lo, 0, v18, vcc_lo
	v_add_co_u32 v21, vcc_lo, v23, 4
	v_add_co_ci_u32_e32 v22, vcc_lo, 0, v24, vcc_lo
	s_add_u32 s4, s14, -1
	s_addc_u32 s5, s15, -1
	s_mov_b64 s[6:7], 0
	s_mov_b32 s31, 0
                                        ; implicit-def: $sgpr35
	s_set_inst_prefetch_distance 0x1
	s_branch .LBB455_247
	.p2align	6
.LBB455_245:                            ;   in Loop: Header=BB455_247 Depth=1
	global_load_b32 v23, v[21:22], off
	global_load_b32 v24, v[17:18], off
	v_add_co_u32 v17, vcc_lo, v17, 4
	v_add_co_ci_u32_e32 v18, vcc_lo, 0, v18, vcc_lo
	v_add_co_u32 v21, s0, v21, 4
	s_delay_alu instid0(VALU_DEP_1)
	v_add_co_ci_u32_e64 v22, s0, 0, v22, s0
	s_add_u32 s6, s6, 1
	s_addc_u32 s7, s7, 0
	s_and_not1_b32 s0, s35, exec_lo
	s_waitcnt vmcnt(0)
	v_cmp_ne_u32_e32 vcc_lo, v23, v24
	s_and_b32 s35, vcc_lo, exec_lo
	s_delay_alu instid0(SALU_CYCLE_1)
	s_or_b32 s35, s0, s35
.LBB455_246:                            ;   in Loop: Header=BB455_247 Depth=1
	v_dual_mov_b32 v24, s7 :: v_dual_mov_b32 v23, s6
	s_and_b32 s0, exec_lo, s35
	s_delay_alu instid0(SALU_CYCLE_1) | instskip(NEXT) | instid1(SALU_CYCLE_1)
	s_or_b32 s31, s0, s31
	s_and_not1_b32 exec_lo, exec_lo, s31
	s_cbranch_execz .LBB455_249
.LBB455_247:                            ; =>This Inner Loop Header: Depth=1
	s_or_b32 s35, s35, exec_lo
	s_cmp_eq_u64 s[4:5], s[6:7]
	s_cbranch_scc0 .LBB455_245
; %bb.248:                              ;   in Loop: Header=BB455_247 Depth=1
	s_mov_b64 s[6:7], s[14:15]
                                        ; implicit-def: $vgpr17_vgpr18
                                        ; implicit-def: $vgpr21_vgpr22
	s_branch .LBB455_246
.LBB455_249:
	s_set_inst_prefetch_distance 0x2
	s_or_b32 exec_lo, exec_lo, s31
	v_cmp_gt_i64_e32 vcc_lo, s[14:15], v[23:24]
	s_or_not1_b32 s31, vcc_lo, exec_lo
.LBB455_250:
	s_or_b32 exec_lo, exec_lo, s34
.LBB455_251:
	v_mul_lo_u32 v21, v14, s14
	v_mul_lo_u32 v22, v13, s15
	v_mad_u64_u32 v[17:18], null, v13, s14, 0
	s_and_not1_b32 vcc_lo, exec_lo, s26
	s_mov_b32 s0, 0
	s_delay_alu instid0(VALU_DEP_1)
	v_add3_u32 v18, v18, v22, v21
	s_cbranch_vccnz .LBB455_260
; %bb.252:
	s_delay_alu instid0(VALU_DEP_1) | instskip(SKIP_2) | instid1(VALU_DEP_1)
	v_lshlrev_b64 v[21:22], 2, v[17:18]
	s_mov_b32 s0, -1
	s_mov_b32 s34, exec_lo
	v_add_co_u32 v21, vcc_lo, s16, v21
	s_delay_alu instid0(VALU_DEP_2)
	v_add_co_ci_u32_e32 v22, vcc_lo, s17, v22, vcc_lo
	v_add_co_u32 v19, vcc_lo, s16, v19
	v_add_co_ci_u32_e32 v20, vcc_lo, s17, v20, vcc_lo
	s_clause 0x1
	global_load_b32 v23, v[21:22], off
	global_load_b32 v24, v[19:20], off
	s_waitcnt vmcnt(0)
	v_cmpx_eq_u32_e64 v23, v24
	s_cbranch_execz .LBB455_259
; %bb.253:
	v_add_co_u32 v19, vcc_lo, v19, 4
	v_add_co_ci_u32_e32 v20, vcc_lo, 0, v20, vcc_lo
	v_add_co_u32 v21, vcc_lo, v21, 4
	v_add_co_ci_u32_e32 v22, vcc_lo, 0, v22, vcc_lo
	s_add_u32 s4, s14, -1
	s_addc_u32 s5, s15, -1
	s_mov_b64 s[6:7], 0
	s_mov_b32 s35, 0
                                        ; implicit-def: $sgpr36
	s_set_inst_prefetch_distance 0x1
	s_branch .LBB455_256
	.p2align	6
.LBB455_254:                            ;   in Loop: Header=BB455_256 Depth=1
	global_load_b32 v23, v[21:22], off
	global_load_b32 v24, v[19:20], off
	v_add_co_u32 v19, vcc_lo, v19, 4
	v_add_co_ci_u32_e32 v20, vcc_lo, 0, v20, vcc_lo
	v_add_co_u32 v21, s0, v21, 4
	s_delay_alu instid0(VALU_DEP_1)
	v_add_co_ci_u32_e64 v22, s0, 0, v22, s0
	s_add_u32 s6, s6, 1
	s_addc_u32 s7, s7, 0
	s_and_not1_b32 s0, s36, exec_lo
	s_waitcnt vmcnt(0)
	v_cmp_ne_u32_e32 vcc_lo, v23, v24
	s_and_b32 s36, vcc_lo, exec_lo
	s_delay_alu instid0(SALU_CYCLE_1)
	s_or_b32 s36, s0, s36
.LBB455_255:                            ;   in Loop: Header=BB455_256 Depth=1
	v_dual_mov_b32 v24, s7 :: v_dual_mov_b32 v23, s6
	s_and_b32 s0, exec_lo, s36
	s_delay_alu instid0(SALU_CYCLE_1) | instskip(NEXT) | instid1(SALU_CYCLE_1)
	s_or_b32 s35, s0, s35
	s_and_not1_b32 exec_lo, exec_lo, s35
	s_cbranch_execz .LBB455_258
.LBB455_256:                            ; =>This Inner Loop Header: Depth=1
	s_or_b32 s36, s36, exec_lo
	s_cmp_eq_u64 s[4:5], s[6:7]
	s_cbranch_scc0 .LBB455_254
; %bb.257:                              ;   in Loop: Header=BB455_256 Depth=1
	s_mov_b64 s[6:7], s[14:15]
                                        ; implicit-def: $vgpr19_vgpr20
                                        ; implicit-def: $vgpr21_vgpr22
	s_branch .LBB455_255
.LBB455_258:
	s_set_inst_prefetch_distance 0x2
	s_or_b32 exec_lo, exec_lo, s35
	v_cmp_gt_i64_e32 vcc_lo, s[14:15], v[23:24]
	s_or_not1_b32 s0, vcc_lo, exec_lo
.LBB455_259:
	s_or_b32 exec_lo, exec_lo, s34
.LBB455_260:
	v_cndmask_b32_e64 v20, 0, 1, s33
	v_cndmask_b32_e64 v21, 0, 1, s30
	;; [unrolled: 1-line block ×7, first 2 shown]
	v_lshlrev_b16 v21, 8, v21
	v_lshlrev_b16 v22, 8, v22
	;; [unrolled: 1-line block ×4, first 2 shown]
	s_waitcnt lgkmcnt(0)
	v_or_b32_e32 v21, v24, v21
	v_or_b32_e32 v22, v25, v22
	;; [unrolled: 1-line block ×4, first 2 shown]
	s_barrier
	v_and_b32_e32 v20, 0xffff, v21
	v_lshlrev_b32_e32 v21, 16, v22
	v_and_b32_e32 v22, 0xffff, v23
	v_lshlrev_b32_e32 v19, 16, v19
	buffer_gl0_inv
                                        ; implicit-def: $sgpr0
	v_or_b32_e32 v20, v20, v21
	v_or_b32_e32 v19, v22, v19
	s_and_saveexec_b32 s4, s3
	s_delay_alu instid0(SALU_CYCLE_1)
	s_xor_b32 s27, exec_lo, s4
	s_cbranch_execz .LBB455_271
; %bb.261:
	s_and_not1_b32 vcc_lo, exec_lo, s26
	s_mov_b32 s0, 0
	s_cbranch_vccnz .LBB455_270
; %bb.262:
	v_add_nc_u32_e32 v21, -8, v39
	v_lshlrev_b64 v[17:18], 2, v[17:18]
	s_mov_b32 s0, -1
	s_mov_b32 s28, exec_lo
	ds_load_b64 v[21:22], v21
	s_waitcnt lgkmcnt(0)
	v_mul_lo_u32 v24, v22, s14
	v_mul_lo_u32 v25, v21, s15
	v_mad_u64_u32 v[22:23], null, v21, s14, 0
	s_delay_alu instid0(VALU_DEP_1) | instskip(NEXT) | instid1(VALU_DEP_1)
	v_add3_u32 v23, v23, v25, v24
	v_lshlrev_b64 v[21:22], 2, v[22:23]
	s_delay_alu instid0(VALU_DEP_1) | instskip(NEXT) | instid1(VALU_DEP_2)
	v_add_co_u32 v21, vcc_lo, s16, v21
	v_add_co_ci_u32_e32 v22, vcc_lo, s17, v22, vcc_lo
	v_add_co_u32 v17, vcc_lo, s16, v17
	v_add_co_ci_u32_e32 v18, vcc_lo, s17, v18, vcc_lo
	s_clause 0x1
	global_load_b32 v23, v[21:22], off
	global_load_b32 v24, v[17:18], off
	s_waitcnt vmcnt(0)
	v_cmpx_eq_u32_e64 v23, v24
	s_cbranch_execz .LBB455_269
; %bb.263:
	v_add_co_u32 v17, vcc_lo, v17, 4
	v_add_co_ci_u32_e32 v18, vcc_lo, 0, v18, vcc_lo
	v_add_co_u32 v21, vcc_lo, v21, 4
	v_add_co_ci_u32_e32 v22, vcc_lo, 0, v22, vcc_lo
	s_add_u32 s4, s14, -1
	s_addc_u32 s5, s15, -1
	s_mov_b64 s[6:7], 0
	s_mov_b32 s29, 0
                                        ; implicit-def: $sgpr30
	s_set_inst_prefetch_distance 0x1
	s_branch .LBB455_266
	.p2align	6
.LBB455_264:                            ;   in Loop: Header=BB455_266 Depth=1
	global_load_b32 v23, v[21:22], off
	global_load_b32 v24, v[17:18], off
	v_add_co_u32 v17, vcc_lo, v17, 4
	v_add_co_ci_u32_e32 v18, vcc_lo, 0, v18, vcc_lo
	v_add_co_u32 v21, s0, v21, 4
	s_delay_alu instid0(VALU_DEP_1)
	v_add_co_ci_u32_e64 v22, s0, 0, v22, s0
	s_add_u32 s6, s6, 1
	s_addc_u32 s7, s7, 0
	s_and_not1_b32 s0, s30, exec_lo
	s_waitcnt vmcnt(0)
	v_cmp_ne_u32_e32 vcc_lo, v23, v24
	s_and_b32 s30, vcc_lo, exec_lo
	s_delay_alu instid0(SALU_CYCLE_1)
	s_or_b32 s30, s0, s30
.LBB455_265:                            ;   in Loop: Header=BB455_266 Depth=1
	v_dual_mov_b32 v24, s7 :: v_dual_mov_b32 v23, s6
	s_and_b32 s0, exec_lo, s30
	s_delay_alu instid0(SALU_CYCLE_1) | instskip(NEXT) | instid1(SALU_CYCLE_1)
	s_or_b32 s29, s0, s29
	s_and_not1_b32 exec_lo, exec_lo, s29
	s_cbranch_execz .LBB455_268
.LBB455_266:                            ; =>This Inner Loop Header: Depth=1
	s_or_b32 s30, s30, exec_lo
	s_cmp_eq_u64 s[4:5], s[6:7]
	s_cbranch_scc0 .LBB455_264
; %bb.267:                              ;   in Loop: Header=BB455_266 Depth=1
	s_mov_b64 s[6:7], s[14:15]
                                        ; implicit-def: $vgpr17_vgpr18
                                        ; implicit-def: $vgpr21_vgpr22
	s_branch .LBB455_265
.LBB455_268:
	s_set_inst_prefetch_distance 0x2
	s_or_b32 exec_lo, exec_lo, s29
	v_cmp_gt_i64_e32 vcc_lo, s[14:15], v[23:24]
	s_or_not1_b32 s0, vcc_lo, exec_lo
.LBB455_269:
	s_or_b32 exec_lo, exec_lo, s28
.LBB455_270:
	s_delay_alu instid0(SALU_CYCLE_1)
	s_and_b32 s0, s0, exec_lo
	s_or_b32 s25, s25, exec_lo
.LBB455_271:
	s_or_b32 exec_lo, exec_lo, s27
	s_branch .LBB455_363
.LBB455_272:
	s_waitcnt vmcnt(0) lgkmcnt(1)
	v_or_b32_e32 v17, 7, v39
	s_mov_b32 s27, 0
	s_mov_b32 s28, 0
	s_mov_b32 s29, exec_lo
	s_delay_alu instid0(VALU_DEP_1)
	v_cmpx_gt_u32_e64 s12, v17
	s_cbranch_execz .LBB455_283
; %bb.273:
	s_and_not1_b32 vcc_lo, exec_lo, s26
	s_mov_b32 s0, 0
	s_cbranch_vccnz .LBB455_282
; %bb.274:
	v_mul_lo_u32 v21, v2, s14
	v_mul_lo_u32 v22, v1, s15
	v_mad_u64_u32 v[17:18], null, v1, s14, 0
	v_mul_lo_u32 v23, v4, s14
	v_mul_lo_u32 v24, v3, s15
	v_mad_u64_u32 v[19:20], null, v3, s14, 0
	s_mov_b32 s0, -1
	s_mov_b32 s28, exec_lo
	s_delay_alu instid0(VALU_DEP_4) | instskip(NEXT) | instid1(VALU_DEP_2)
	v_add3_u32 v18, v18, v22, v21
	v_add3_u32 v20, v20, v24, v23
	s_delay_alu instid0(VALU_DEP_2) | instskip(NEXT) | instid1(VALU_DEP_2)
	v_lshlrev_b64 v[17:18], 2, v[17:18]
	v_lshlrev_b64 v[21:22], 2, v[19:20]
	s_delay_alu instid0(VALU_DEP_2) | instskip(NEXT) | instid1(VALU_DEP_3)
	v_add_co_u32 v19, vcc_lo, s16, v17
	v_add_co_ci_u32_e32 v20, vcc_lo, s17, v18, vcc_lo
	s_delay_alu instid0(VALU_DEP_3) | instskip(NEXT) | instid1(VALU_DEP_4)
	v_add_co_u32 v17, vcc_lo, s16, v21
	v_add_co_ci_u32_e32 v18, vcc_lo, s17, v22, vcc_lo
	s_clause 0x1
	global_load_b32 v21, v[19:20], off
	global_load_b32 v22, v[17:18], off
	s_waitcnt vmcnt(0)
	v_cmpx_eq_u32_e64 v21, v22
	s_cbranch_execz .LBB455_281
; %bb.275:
	v_add_co_u32 v17, vcc_lo, v17, 4
	v_add_co_ci_u32_e32 v18, vcc_lo, 0, v18, vcc_lo
	v_add_co_u32 v19, vcc_lo, v19, 4
	v_add_co_ci_u32_e32 v20, vcc_lo, 0, v20, vcc_lo
	s_add_u32 s4, s14, -1
	s_addc_u32 s5, s15, -1
	s_mov_b64 s[6:7], 0
	s_mov_b32 s30, 0
                                        ; implicit-def: $sgpr31
	s_set_inst_prefetch_distance 0x1
	s_branch .LBB455_278
	.p2align	6
.LBB455_276:                            ;   in Loop: Header=BB455_278 Depth=1
	global_load_b32 v21, v[19:20], off
	global_load_b32 v22, v[17:18], off
	v_add_co_u32 v17, vcc_lo, v17, 4
	v_add_co_ci_u32_e32 v18, vcc_lo, 0, v18, vcc_lo
	v_add_co_u32 v19, s0, v19, 4
	s_delay_alu instid0(VALU_DEP_1)
	v_add_co_ci_u32_e64 v20, s0, 0, v20, s0
	s_add_u32 s6, s6, 1
	s_addc_u32 s7, s7, 0
	s_and_not1_b32 s0, s31, exec_lo
	s_waitcnt vmcnt(0)
	v_cmp_ne_u32_e32 vcc_lo, v21, v22
	s_and_b32 s31, vcc_lo, exec_lo
	s_delay_alu instid0(SALU_CYCLE_1)
	s_or_b32 s31, s0, s31
.LBB455_277:                            ;   in Loop: Header=BB455_278 Depth=1
	v_dual_mov_b32 v22, s7 :: v_dual_mov_b32 v21, s6
	s_and_b32 s0, exec_lo, s31
	s_delay_alu instid0(SALU_CYCLE_1) | instskip(NEXT) | instid1(SALU_CYCLE_1)
	s_or_b32 s30, s0, s30
	s_and_not1_b32 exec_lo, exec_lo, s30
	s_cbranch_execz .LBB455_280
.LBB455_278:                            ; =>This Inner Loop Header: Depth=1
	s_or_b32 s31, s31, exec_lo
	s_cmp_eq_u64 s[4:5], s[6:7]
	s_cbranch_scc0 .LBB455_276
; %bb.279:                              ;   in Loop: Header=BB455_278 Depth=1
	s_mov_b64 s[6:7], s[14:15]
                                        ; implicit-def: $vgpr17_vgpr18
                                        ; implicit-def: $vgpr19_vgpr20
	s_branch .LBB455_277
.LBB455_280:
	s_set_inst_prefetch_distance 0x2
	s_or_b32 exec_lo, exec_lo, s30
	v_cmp_gt_i64_e32 vcc_lo, s[14:15], v[21:22]
	s_or_not1_b32 s0, vcc_lo, exec_lo
.LBB455_281:
	s_or_b32 exec_lo, exec_lo, s28
.LBB455_282:
	s_delay_alu instid0(SALU_CYCLE_1)
	s_and_b32 s28, s0, exec_lo
.LBB455_283:
	s_or_b32 exec_lo, exec_lo, s29
	v_or_b32_e32 v17, 6, v39
	s_mov_b32 s29, exec_lo
	s_delay_alu instid0(VALU_DEP_1)
	v_cmpx_gt_u32_e64 s12, v17
	s_cbranch_execz .LBB455_294
; %bb.284:
	s_and_not1_b32 vcc_lo, exec_lo, s26
	s_mov_b32 s0, 0
	s_cbranch_vccnz .LBB455_293
; %bb.285:
	v_mul_lo_u32 v21, v8, s14
	v_mul_lo_u32 v22, v7, s15
	v_mad_u64_u32 v[17:18], null, v7, s14, 0
	v_mul_lo_u32 v23, v2, s14
	v_mul_lo_u32 v24, v1, s15
	v_mad_u64_u32 v[19:20], null, v1, s14, 0
	s_mov_b32 s0, -1
	s_mov_b32 s27, exec_lo
	s_delay_alu instid0(VALU_DEP_4) | instskip(NEXT) | instid1(VALU_DEP_2)
	v_add3_u32 v18, v18, v22, v21
	v_add3_u32 v20, v20, v24, v23
	s_delay_alu instid0(VALU_DEP_2) | instskip(NEXT) | instid1(VALU_DEP_2)
	v_lshlrev_b64 v[17:18], 2, v[17:18]
	v_lshlrev_b64 v[21:22], 2, v[19:20]
	s_delay_alu instid0(VALU_DEP_2) | instskip(NEXT) | instid1(VALU_DEP_3)
	v_add_co_u32 v19, vcc_lo, s16, v17
	v_add_co_ci_u32_e32 v20, vcc_lo, s17, v18, vcc_lo
	s_delay_alu instid0(VALU_DEP_3) | instskip(NEXT) | instid1(VALU_DEP_4)
	v_add_co_u32 v17, vcc_lo, s16, v21
	v_add_co_ci_u32_e32 v18, vcc_lo, s17, v22, vcc_lo
	s_clause 0x1
	global_load_b32 v21, v[19:20], off
	global_load_b32 v22, v[17:18], off
	s_waitcnt vmcnt(0)
	v_cmpx_eq_u32_e64 v21, v22
	s_cbranch_execz .LBB455_292
; %bb.286:
	v_add_co_u32 v17, vcc_lo, v17, 4
	v_add_co_ci_u32_e32 v18, vcc_lo, 0, v18, vcc_lo
	v_add_co_u32 v19, vcc_lo, v19, 4
	v_add_co_ci_u32_e32 v20, vcc_lo, 0, v20, vcc_lo
	s_add_u32 s4, s14, -1
	s_addc_u32 s5, s15, -1
	s_mov_b64 s[6:7], 0
	s_mov_b32 s30, 0
                                        ; implicit-def: $sgpr31
	s_set_inst_prefetch_distance 0x1
	s_branch .LBB455_289
	.p2align	6
.LBB455_287:                            ;   in Loop: Header=BB455_289 Depth=1
	global_load_b32 v21, v[19:20], off
	global_load_b32 v22, v[17:18], off
	v_add_co_u32 v17, vcc_lo, v17, 4
	v_add_co_ci_u32_e32 v18, vcc_lo, 0, v18, vcc_lo
	v_add_co_u32 v19, s0, v19, 4
	s_delay_alu instid0(VALU_DEP_1)
	v_add_co_ci_u32_e64 v20, s0, 0, v20, s0
	s_add_u32 s6, s6, 1
	s_addc_u32 s7, s7, 0
	s_and_not1_b32 s0, s31, exec_lo
	s_waitcnt vmcnt(0)
	v_cmp_ne_u32_e32 vcc_lo, v21, v22
	s_and_b32 s31, vcc_lo, exec_lo
	s_delay_alu instid0(SALU_CYCLE_1)
	s_or_b32 s31, s0, s31
.LBB455_288:                            ;   in Loop: Header=BB455_289 Depth=1
	v_dual_mov_b32 v22, s7 :: v_dual_mov_b32 v21, s6
	s_and_b32 s0, exec_lo, s31
	s_delay_alu instid0(SALU_CYCLE_1) | instskip(NEXT) | instid1(SALU_CYCLE_1)
	s_or_b32 s30, s0, s30
	s_and_not1_b32 exec_lo, exec_lo, s30
	s_cbranch_execz .LBB455_291
.LBB455_289:                            ; =>This Inner Loop Header: Depth=1
	s_or_b32 s31, s31, exec_lo
	s_cmp_eq_u64 s[4:5], s[6:7]
	s_cbranch_scc0 .LBB455_287
; %bb.290:                              ;   in Loop: Header=BB455_289 Depth=1
	s_mov_b64 s[6:7], s[14:15]
                                        ; implicit-def: $vgpr17_vgpr18
                                        ; implicit-def: $vgpr19_vgpr20
	s_branch .LBB455_288
.LBB455_291:
	s_set_inst_prefetch_distance 0x2
	s_or_b32 exec_lo, exec_lo, s30
	v_cmp_gt_i64_e32 vcc_lo, s[14:15], v[21:22]
	s_or_not1_b32 s0, vcc_lo, exec_lo
.LBB455_292:
	s_or_b32 exec_lo, exec_lo, s27
.LBB455_293:
	s_delay_alu instid0(SALU_CYCLE_1)
	s_and_b32 s27, s0, exec_lo
.LBB455_294:
	s_or_b32 exec_lo, exec_lo, s29
	v_or_b32_e32 v17, 5, v39
	s_mov_b32 s29, 0
	s_mov_b32 s30, 0
	s_mov_b32 s31, exec_lo
	s_delay_alu instid0(VALU_DEP_1)
	v_cmpx_gt_u32_e64 s12, v17
	s_cbranch_execz .LBB455_305
; %bb.295:
	s_and_not1_b32 vcc_lo, exec_lo, s26
	s_mov_b32 s0, 0
	s_cbranch_vccnz .LBB455_304
; %bb.296:
	v_mul_lo_u32 v21, v6, s14
	v_mul_lo_u32 v22, v5, s15
	v_mad_u64_u32 v[17:18], null, v5, s14, 0
	v_mul_lo_u32 v23, v8, s14
	v_mul_lo_u32 v24, v7, s15
	v_mad_u64_u32 v[19:20], null, v7, s14, 0
	s_mov_b32 s0, -1
	s_mov_b32 s30, exec_lo
	s_delay_alu instid0(VALU_DEP_4) | instskip(NEXT) | instid1(VALU_DEP_2)
	v_add3_u32 v18, v18, v22, v21
	v_add3_u32 v20, v20, v24, v23
	s_delay_alu instid0(VALU_DEP_2) | instskip(NEXT) | instid1(VALU_DEP_2)
	v_lshlrev_b64 v[17:18], 2, v[17:18]
	v_lshlrev_b64 v[21:22], 2, v[19:20]
	s_delay_alu instid0(VALU_DEP_2) | instskip(NEXT) | instid1(VALU_DEP_3)
	v_add_co_u32 v19, vcc_lo, s16, v17
	v_add_co_ci_u32_e32 v20, vcc_lo, s17, v18, vcc_lo
	s_delay_alu instid0(VALU_DEP_3) | instskip(NEXT) | instid1(VALU_DEP_4)
	v_add_co_u32 v17, vcc_lo, s16, v21
	v_add_co_ci_u32_e32 v18, vcc_lo, s17, v22, vcc_lo
	s_clause 0x1
	global_load_b32 v21, v[19:20], off
	global_load_b32 v22, v[17:18], off
	s_waitcnt vmcnt(0)
	v_cmpx_eq_u32_e64 v21, v22
	s_cbranch_execz .LBB455_303
; %bb.297:
	v_add_co_u32 v17, vcc_lo, v17, 4
	v_add_co_ci_u32_e32 v18, vcc_lo, 0, v18, vcc_lo
	v_add_co_u32 v19, vcc_lo, v19, 4
	v_add_co_ci_u32_e32 v20, vcc_lo, 0, v20, vcc_lo
	s_add_u32 s4, s14, -1
	s_addc_u32 s5, s15, -1
	s_mov_b64 s[6:7], 0
	s_mov_b32 s33, 0
                                        ; implicit-def: $sgpr34
	s_set_inst_prefetch_distance 0x1
	s_branch .LBB455_300
	.p2align	6
.LBB455_298:                            ;   in Loop: Header=BB455_300 Depth=1
	global_load_b32 v21, v[19:20], off
	global_load_b32 v22, v[17:18], off
	v_add_co_u32 v17, vcc_lo, v17, 4
	v_add_co_ci_u32_e32 v18, vcc_lo, 0, v18, vcc_lo
	v_add_co_u32 v19, s0, v19, 4
	s_delay_alu instid0(VALU_DEP_1)
	v_add_co_ci_u32_e64 v20, s0, 0, v20, s0
	s_add_u32 s6, s6, 1
	s_addc_u32 s7, s7, 0
	s_and_not1_b32 s0, s34, exec_lo
	s_waitcnt vmcnt(0)
	v_cmp_ne_u32_e32 vcc_lo, v21, v22
	s_and_b32 s34, vcc_lo, exec_lo
	s_delay_alu instid0(SALU_CYCLE_1)
	s_or_b32 s34, s0, s34
.LBB455_299:                            ;   in Loop: Header=BB455_300 Depth=1
	v_dual_mov_b32 v22, s7 :: v_dual_mov_b32 v21, s6
	s_and_b32 s0, exec_lo, s34
	s_delay_alu instid0(SALU_CYCLE_1) | instskip(NEXT) | instid1(SALU_CYCLE_1)
	s_or_b32 s33, s0, s33
	s_and_not1_b32 exec_lo, exec_lo, s33
	s_cbranch_execz .LBB455_302
.LBB455_300:                            ; =>This Inner Loop Header: Depth=1
	s_or_b32 s34, s34, exec_lo
	s_cmp_eq_u64 s[4:5], s[6:7]
	s_cbranch_scc0 .LBB455_298
; %bb.301:                              ;   in Loop: Header=BB455_300 Depth=1
	s_mov_b64 s[6:7], s[14:15]
                                        ; implicit-def: $vgpr17_vgpr18
                                        ; implicit-def: $vgpr19_vgpr20
	s_branch .LBB455_299
.LBB455_302:
	s_set_inst_prefetch_distance 0x2
	s_or_b32 exec_lo, exec_lo, s33
	v_cmp_gt_i64_e32 vcc_lo, s[14:15], v[21:22]
	s_or_not1_b32 s0, vcc_lo, exec_lo
.LBB455_303:
	s_or_b32 exec_lo, exec_lo, s30
.LBB455_304:
	s_delay_alu instid0(SALU_CYCLE_1)
	s_and_b32 s30, s0, exec_lo
.LBB455_305:
	s_or_b32 exec_lo, exec_lo, s31
	v_or_b32_e32 v17, 4, v39
	s_mov_b32 s31, exec_lo
	s_delay_alu instid0(VALU_DEP_1)
	v_cmpx_gt_u32_e64 s12, v17
	s_cbranch_execz .LBB455_316
; %bb.306:
	s_and_not1_b32 vcc_lo, exec_lo, s26
	s_mov_b32 s0, 0
	s_cbranch_vccnz .LBB455_315
; %bb.307:
	v_mul_lo_u32 v21, v12, s14
	v_mul_lo_u32 v22, v11, s15
	v_mad_u64_u32 v[17:18], null, v11, s14, 0
	v_mul_lo_u32 v23, v6, s14
	v_mul_lo_u32 v24, v5, s15
	v_mad_u64_u32 v[19:20], null, v5, s14, 0
	s_mov_b32 s0, -1
	s_mov_b32 s29, exec_lo
	s_delay_alu instid0(VALU_DEP_4) | instskip(NEXT) | instid1(VALU_DEP_2)
	v_add3_u32 v18, v18, v22, v21
	v_add3_u32 v20, v20, v24, v23
	s_delay_alu instid0(VALU_DEP_2) | instskip(NEXT) | instid1(VALU_DEP_2)
	v_lshlrev_b64 v[17:18], 2, v[17:18]
	v_lshlrev_b64 v[21:22], 2, v[19:20]
	s_delay_alu instid0(VALU_DEP_2) | instskip(NEXT) | instid1(VALU_DEP_3)
	v_add_co_u32 v19, vcc_lo, s16, v17
	v_add_co_ci_u32_e32 v20, vcc_lo, s17, v18, vcc_lo
	s_delay_alu instid0(VALU_DEP_3) | instskip(NEXT) | instid1(VALU_DEP_4)
	v_add_co_u32 v17, vcc_lo, s16, v21
	v_add_co_ci_u32_e32 v18, vcc_lo, s17, v22, vcc_lo
	s_clause 0x1
	global_load_b32 v21, v[19:20], off
	global_load_b32 v22, v[17:18], off
	s_waitcnt vmcnt(0)
	v_cmpx_eq_u32_e64 v21, v22
	s_cbranch_execz .LBB455_314
; %bb.308:
	v_add_co_u32 v17, vcc_lo, v17, 4
	v_add_co_ci_u32_e32 v18, vcc_lo, 0, v18, vcc_lo
	v_add_co_u32 v19, vcc_lo, v19, 4
	v_add_co_ci_u32_e32 v20, vcc_lo, 0, v20, vcc_lo
	s_add_u32 s4, s14, -1
	s_addc_u32 s5, s15, -1
	s_mov_b64 s[6:7], 0
	s_mov_b32 s33, 0
                                        ; implicit-def: $sgpr34
	s_set_inst_prefetch_distance 0x1
	s_branch .LBB455_311
	.p2align	6
.LBB455_309:                            ;   in Loop: Header=BB455_311 Depth=1
	global_load_b32 v21, v[19:20], off
	global_load_b32 v22, v[17:18], off
	v_add_co_u32 v17, vcc_lo, v17, 4
	v_add_co_ci_u32_e32 v18, vcc_lo, 0, v18, vcc_lo
	v_add_co_u32 v19, s0, v19, 4
	s_delay_alu instid0(VALU_DEP_1)
	v_add_co_ci_u32_e64 v20, s0, 0, v20, s0
	s_add_u32 s6, s6, 1
	s_addc_u32 s7, s7, 0
	s_and_not1_b32 s0, s34, exec_lo
	s_waitcnt vmcnt(0)
	v_cmp_ne_u32_e32 vcc_lo, v21, v22
	s_and_b32 s34, vcc_lo, exec_lo
	s_delay_alu instid0(SALU_CYCLE_1)
	s_or_b32 s34, s0, s34
.LBB455_310:                            ;   in Loop: Header=BB455_311 Depth=1
	v_dual_mov_b32 v22, s7 :: v_dual_mov_b32 v21, s6
	s_and_b32 s0, exec_lo, s34
	s_delay_alu instid0(SALU_CYCLE_1) | instskip(NEXT) | instid1(SALU_CYCLE_1)
	s_or_b32 s33, s0, s33
	s_and_not1_b32 exec_lo, exec_lo, s33
	s_cbranch_execz .LBB455_313
.LBB455_311:                            ; =>This Inner Loop Header: Depth=1
	s_or_b32 s34, s34, exec_lo
	s_cmp_eq_u64 s[4:5], s[6:7]
	s_cbranch_scc0 .LBB455_309
; %bb.312:                              ;   in Loop: Header=BB455_311 Depth=1
	s_mov_b64 s[6:7], s[14:15]
                                        ; implicit-def: $vgpr17_vgpr18
                                        ; implicit-def: $vgpr19_vgpr20
	s_branch .LBB455_310
.LBB455_313:
	s_set_inst_prefetch_distance 0x2
	s_or_b32 exec_lo, exec_lo, s33
	v_cmp_gt_i64_e32 vcc_lo, s[14:15], v[21:22]
	s_or_not1_b32 s0, vcc_lo, exec_lo
.LBB455_314:
	s_or_b32 exec_lo, exec_lo, s29
.LBB455_315:
	s_delay_alu instid0(SALU_CYCLE_1)
	s_and_b32 s29, s0, exec_lo
.LBB455_316:
	s_or_b32 exec_lo, exec_lo, s31
	v_or_b32_e32 v17, 3, v39
	s_mov_b32 s33, 0
	s_mov_b32 s31, 0
	s_mov_b32 s34, exec_lo
	s_delay_alu instid0(VALU_DEP_1)
	v_cmpx_gt_u32_e64 s12, v17
	s_cbranch_execz .LBB455_327
; %bb.317:
	s_and_not1_b32 vcc_lo, exec_lo, s26
	s_mov_b32 s0, 0
	s_cbranch_vccnz .LBB455_326
; %bb.318:
	v_mul_lo_u32 v21, v10, s14
	v_mul_lo_u32 v22, v9, s15
	v_mad_u64_u32 v[17:18], null, v9, s14, 0
	v_mul_lo_u32 v23, v12, s14
	v_mul_lo_u32 v24, v11, s15
	v_mad_u64_u32 v[19:20], null, v11, s14, 0
	s_mov_b32 s0, -1
	s_mov_b32 s31, exec_lo
	s_delay_alu instid0(VALU_DEP_4) | instskip(NEXT) | instid1(VALU_DEP_2)
	v_add3_u32 v18, v18, v22, v21
	v_add3_u32 v20, v20, v24, v23
	s_delay_alu instid0(VALU_DEP_2) | instskip(NEXT) | instid1(VALU_DEP_2)
	v_lshlrev_b64 v[17:18], 2, v[17:18]
	v_lshlrev_b64 v[21:22], 2, v[19:20]
	s_delay_alu instid0(VALU_DEP_2) | instskip(NEXT) | instid1(VALU_DEP_3)
	v_add_co_u32 v19, vcc_lo, s16, v17
	v_add_co_ci_u32_e32 v20, vcc_lo, s17, v18, vcc_lo
	s_delay_alu instid0(VALU_DEP_3) | instskip(NEXT) | instid1(VALU_DEP_4)
	v_add_co_u32 v17, vcc_lo, s16, v21
	v_add_co_ci_u32_e32 v18, vcc_lo, s17, v22, vcc_lo
	s_clause 0x1
	global_load_b32 v21, v[19:20], off
	global_load_b32 v22, v[17:18], off
	s_waitcnt vmcnt(0)
	v_cmpx_eq_u32_e64 v21, v22
	s_cbranch_execz .LBB455_325
; %bb.319:
	v_add_co_u32 v17, vcc_lo, v17, 4
	v_add_co_ci_u32_e32 v18, vcc_lo, 0, v18, vcc_lo
	v_add_co_u32 v19, vcc_lo, v19, 4
	v_add_co_ci_u32_e32 v20, vcc_lo, 0, v20, vcc_lo
	s_add_u32 s4, s14, -1
	s_addc_u32 s5, s15, -1
	s_mov_b64 s[6:7], 0
	s_mov_b32 s35, 0
                                        ; implicit-def: $sgpr36
	s_set_inst_prefetch_distance 0x1
	s_branch .LBB455_322
	.p2align	6
.LBB455_320:                            ;   in Loop: Header=BB455_322 Depth=1
	global_load_b32 v21, v[19:20], off
	global_load_b32 v22, v[17:18], off
	v_add_co_u32 v17, vcc_lo, v17, 4
	v_add_co_ci_u32_e32 v18, vcc_lo, 0, v18, vcc_lo
	v_add_co_u32 v19, s0, v19, 4
	s_delay_alu instid0(VALU_DEP_1)
	v_add_co_ci_u32_e64 v20, s0, 0, v20, s0
	s_add_u32 s6, s6, 1
	s_addc_u32 s7, s7, 0
	s_and_not1_b32 s0, s36, exec_lo
	s_waitcnt vmcnt(0)
	v_cmp_ne_u32_e32 vcc_lo, v21, v22
	s_and_b32 s36, vcc_lo, exec_lo
	s_delay_alu instid0(SALU_CYCLE_1)
	s_or_b32 s36, s0, s36
.LBB455_321:                            ;   in Loop: Header=BB455_322 Depth=1
	v_dual_mov_b32 v22, s7 :: v_dual_mov_b32 v21, s6
	s_and_b32 s0, exec_lo, s36
	s_delay_alu instid0(SALU_CYCLE_1) | instskip(NEXT) | instid1(SALU_CYCLE_1)
	s_or_b32 s35, s0, s35
	s_and_not1_b32 exec_lo, exec_lo, s35
	s_cbranch_execz .LBB455_324
.LBB455_322:                            ; =>This Inner Loop Header: Depth=1
	s_or_b32 s36, s36, exec_lo
	s_cmp_eq_u64 s[4:5], s[6:7]
	s_cbranch_scc0 .LBB455_320
; %bb.323:                              ;   in Loop: Header=BB455_322 Depth=1
	s_mov_b64 s[6:7], s[14:15]
                                        ; implicit-def: $vgpr17_vgpr18
                                        ; implicit-def: $vgpr19_vgpr20
	s_branch .LBB455_321
.LBB455_324:
	s_set_inst_prefetch_distance 0x2
	s_or_b32 exec_lo, exec_lo, s35
	v_cmp_gt_i64_e32 vcc_lo, s[14:15], v[21:22]
	s_or_not1_b32 s0, vcc_lo, exec_lo
.LBB455_325:
	s_or_b32 exec_lo, exec_lo, s31
.LBB455_326:
	s_delay_alu instid0(SALU_CYCLE_1)
	s_and_b32 s31, s0, exec_lo
.LBB455_327:
	s_or_b32 exec_lo, exec_lo, s34
	v_or_b32_e32 v17, 2, v39
	s_mov_b32 s34, exec_lo
	s_delay_alu instid0(VALU_DEP_1)
	v_cmpx_gt_u32_e64 s12, v17
	s_cbranch_execz .LBB455_338
; %bb.328:
	s_and_not1_b32 vcc_lo, exec_lo, s26
	s_mov_b32 s0, 0
	s_cbranch_vccnz .LBB455_337
; %bb.329:
	v_mul_lo_u32 v21, v16, s14
	v_mul_lo_u32 v22, v15, s15
	v_mad_u64_u32 v[17:18], null, v15, s14, 0
	v_mul_lo_u32 v23, v10, s14
	v_mul_lo_u32 v24, v9, s15
	v_mad_u64_u32 v[19:20], null, v9, s14, 0
	s_mov_b32 s0, -1
	s_mov_b32 s33, exec_lo
	s_delay_alu instid0(VALU_DEP_4) | instskip(NEXT) | instid1(VALU_DEP_2)
	v_add3_u32 v18, v18, v22, v21
	v_add3_u32 v20, v20, v24, v23
	s_delay_alu instid0(VALU_DEP_2) | instskip(NEXT) | instid1(VALU_DEP_2)
	v_lshlrev_b64 v[17:18], 2, v[17:18]
	v_lshlrev_b64 v[21:22], 2, v[19:20]
	s_delay_alu instid0(VALU_DEP_2) | instskip(NEXT) | instid1(VALU_DEP_3)
	v_add_co_u32 v19, vcc_lo, s16, v17
	v_add_co_ci_u32_e32 v20, vcc_lo, s17, v18, vcc_lo
	s_delay_alu instid0(VALU_DEP_3) | instskip(NEXT) | instid1(VALU_DEP_4)
	v_add_co_u32 v17, vcc_lo, s16, v21
	v_add_co_ci_u32_e32 v18, vcc_lo, s17, v22, vcc_lo
	s_clause 0x1
	global_load_b32 v21, v[19:20], off
	global_load_b32 v22, v[17:18], off
	s_waitcnt vmcnt(0)
	v_cmpx_eq_u32_e64 v21, v22
	s_cbranch_execz .LBB455_336
; %bb.330:
	v_add_co_u32 v17, vcc_lo, v17, 4
	v_add_co_ci_u32_e32 v18, vcc_lo, 0, v18, vcc_lo
	v_add_co_u32 v19, vcc_lo, v19, 4
	v_add_co_ci_u32_e32 v20, vcc_lo, 0, v20, vcc_lo
	s_add_u32 s4, s14, -1
	s_addc_u32 s5, s15, -1
	s_mov_b64 s[6:7], 0
	s_mov_b32 s35, 0
                                        ; implicit-def: $sgpr36
	s_set_inst_prefetch_distance 0x1
	s_branch .LBB455_333
	.p2align	6
.LBB455_331:                            ;   in Loop: Header=BB455_333 Depth=1
	global_load_b32 v21, v[19:20], off
	global_load_b32 v22, v[17:18], off
	v_add_co_u32 v17, vcc_lo, v17, 4
	v_add_co_ci_u32_e32 v18, vcc_lo, 0, v18, vcc_lo
	v_add_co_u32 v19, s0, v19, 4
	s_delay_alu instid0(VALU_DEP_1)
	v_add_co_ci_u32_e64 v20, s0, 0, v20, s0
	s_add_u32 s6, s6, 1
	s_addc_u32 s7, s7, 0
	s_and_not1_b32 s0, s36, exec_lo
	s_waitcnt vmcnt(0)
	v_cmp_ne_u32_e32 vcc_lo, v21, v22
	s_and_b32 s36, vcc_lo, exec_lo
	s_delay_alu instid0(SALU_CYCLE_1)
	s_or_b32 s36, s0, s36
.LBB455_332:                            ;   in Loop: Header=BB455_333 Depth=1
	v_dual_mov_b32 v22, s7 :: v_dual_mov_b32 v21, s6
	s_and_b32 s0, exec_lo, s36
	s_delay_alu instid0(SALU_CYCLE_1) | instskip(NEXT) | instid1(SALU_CYCLE_1)
	s_or_b32 s35, s0, s35
	s_and_not1_b32 exec_lo, exec_lo, s35
	s_cbranch_execz .LBB455_335
.LBB455_333:                            ; =>This Inner Loop Header: Depth=1
	s_or_b32 s36, s36, exec_lo
	s_cmp_eq_u64 s[4:5], s[6:7]
	s_cbranch_scc0 .LBB455_331
; %bb.334:                              ;   in Loop: Header=BB455_333 Depth=1
	s_mov_b64 s[6:7], s[14:15]
                                        ; implicit-def: $vgpr17_vgpr18
                                        ; implicit-def: $vgpr19_vgpr20
	s_branch .LBB455_332
.LBB455_335:
	s_set_inst_prefetch_distance 0x2
	s_or_b32 exec_lo, exec_lo, s35
	v_cmp_gt_i64_e32 vcc_lo, s[14:15], v[21:22]
	s_or_not1_b32 s0, vcc_lo, exec_lo
.LBB455_336:
	s_or_b32 exec_lo, exec_lo, s33
.LBB455_337:
	s_delay_alu instid0(SALU_CYCLE_1)
	s_and_b32 s33, s0, exec_lo
.LBB455_338:
	s_or_b32 exec_lo, exec_lo, s34
	v_or_b32_e32 v17, 1, v39
	s_mov_b32 s0, 0
	s_mov_b32 s34, exec_lo
	s_delay_alu instid0(VALU_DEP_1)
	v_cmpx_gt_u32_e64 s12, v17
	s_cbranch_execz .LBB455_349
; %bb.339:
	s_and_not1_b32 vcc_lo, exec_lo, s26
	s_cbranch_vccnz .LBB455_348
; %bb.340:
	v_mul_lo_u32 v21, v14, s14
	v_mul_lo_u32 v22, v13, s15
	v_mad_u64_u32 v[17:18], null, v13, s14, 0
	v_mul_lo_u32 v23, v16, s14
	v_mul_lo_u32 v24, v15, s15
	v_mad_u64_u32 v[19:20], null, v15, s14, 0
	s_mov_b32 s0, -1
	s_mov_b32 s35, exec_lo
	s_delay_alu instid0(VALU_DEP_4) | instskip(NEXT) | instid1(VALU_DEP_2)
	v_add3_u32 v18, v18, v22, v21
	v_add3_u32 v20, v20, v24, v23
	s_delay_alu instid0(VALU_DEP_2) | instskip(NEXT) | instid1(VALU_DEP_2)
	v_lshlrev_b64 v[17:18], 2, v[17:18]
	v_lshlrev_b64 v[21:22], 2, v[19:20]
	s_delay_alu instid0(VALU_DEP_2) | instskip(NEXT) | instid1(VALU_DEP_3)
	v_add_co_u32 v19, vcc_lo, s16, v17
	v_add_co_ci_u32_e32 v20, vcc_lo, s17, v18, vcc_lo
	s_delay_alu instid0(VALU_DEP_3) | instskip(NEXT) | instid1(VALU_DEP_4)
	v_add_co_u32 v17, vcc_lo, s16, v21
	v_add_co_ci_u32_e32 v18, vcc_lo, s17, v22, vcc_lo
	s_clause 0x1
	global_load_b32 v21, v[19:20], off
	global_load_b32 v22, v[17:18], off
	s_waitcnt vmcnt(0)
	v_cmpx_eq_u32_e64 v21, v22
	s_cbranch_execz .LBB455_347
; %bb.341:
	v_add_co_u32 v17, vcc_lo, v17, 4
	v_add_co_ci_u32_e32 v18, vcc_lo, 0, v18, vcc_lo
	v_add_co_u32 v19, vcc_lo, v19, 4
	v_add_co_ci_u32_e32 v20, vcc_lo, 0, v20, vcc_lo
	s_add_u32 s4, s14, -1
	s_addc_u32 s5, s15, -1
	s_mov_b64 s[6:7], 0
	s_mov_b32 s36, 0
                                        ; implicit-def: $sgpr37
	s_set_inst_prefetch_distance 0x1
	s_branch .LBB455_344
	.p2align	6
.LBB455_342:                            ;   in Loop: Header=BB455_344 Depth=1
	global_load_b32 v21, v[19:20], off
	global_load_b32 v22, v[17:18], off
	v_add_co_u32 v17, vcc_lo, v17, 4
	v_add_co_ci_u32_e32 v18, vcc_lo, 0, v18, vcc_lo
	v_add_co_u32 v19, s0, v19, 4
	s_delay_alu instid0(VALU_DEP_1)
	v_add_co_ci_u32_e64 v20, s0, 0, v20, s0
	s_add_u32 s6, s6, 1
	s_addc_u32 s7, s7, 0
	s_and_not1_b32 s0, s37, exec_lo
	s_waitcnt vmcnt(0)
	v_cmp_ne_u32_e32 vcc_lo, v21, v22
	s_and_b32 s37, vcc_lo, exec_lo
	s_delay_alu instid0(SALU_CYCLE_1)
	s_or_b32 s37, s0, s37
.LBB455_343:                            ;   in Loop: Header=BB455_344 Depth=1
	v_dual_mov_b32 v22, s7 :: v_dual_mov_b32 v21, s6
	s_and_b32 s0, exec_lo, s37
	s_delay_alu instid0(SALU_CYCLE_1) | instskip(NEXT) | instid1(SALU_CYCLE_1)
	s_or_b32 s36, s0, s36
	s_and_not1_b32 exec_lo, exec_lo, s36
	s_cbranch_execz .LBB455_346
.LBB455_344:                            ; =>This Inner Loop Header: Depth=1
	s_or_b32 s37, s37, exec_lo
	s_cmp_eq_u64 s[4:5], s[6:7]
	s_cbranch_scc0 .LBB455_342
; %bb.345:                              ;   in Loop: Header=BB455_344 Depth=1
	s_mov_b64 s[6:7], s[14:15]
                                        ; implicit-def: $vgpr17_vgpr18
                                        ; implicit-def: $vgpr19_vgpr20
	s_branch .LBB455_343
.LBB455_346:
	s_set_inst_prefetch_distance 0x2
	s_or_b32 exec_lo, exec_lo, s36
	v_cmp_gt_i64_e32 vcc_lo, s[14:15], v[21:22]
	s_or_not1_b32 s0, vcc_lo, exec_lo
.LBB455_347:
	s_or_b32 exec_lo, exec_lo, s35
.LBB455_348:
	s_delay_alu instid0(SALU_CYCLE_1)
	s_and_b32 s0, s0, exec_lo
.LBB455_349:
	s_or_b32 exec_lo, exec_lo, s34
	v_cndmask_b32_e64 v18, 0, 1, s31
	v_cndmask_b32_e64 v19, 0, 1, s30
	;; [unrolled: 1-line block ×7, first 2 shown]
	v_lshlrev_b16 v19, 8, v19
	v_lshlrev_b16 v20, 8, v20
	;; [unrolled: 1-line block ×4, first 2 shown]
	s_waitcnt lgkmcnt(0)
	v_or_b32_e32 v19, v22, v19
	v_or_b32_e32 v20, v23, v20
	;; [unrolled: 1-line block ×4, first 2 shown]
	s_barrier
	v_and_b32_e32 v18, 0xffff, v19
	v_lshlrev_b32_e32 v19, 16, v20
	v_and_b32_e32 v21, 0xffff, v21
	v_lshlrev_b32_e32 v17, 16, v17
	buffer_gl0_inv
                                        ; implicit-def: $sgpr0
	v_or_b32_e32 v20, v18, v19
	v_or_b32_e32 v19, v21, v17
	s_and_saveexec_b32 s27, s3
	s_cbranch_execz .LBB455_362
; %bb.350:
	s_mov_b32 s0, 0
	s_mov_b32 s3, exec_lo
	v_cmpx_gt_u32_e64 s12, v39
	s_cbranch_execz .LBB455_361
; %bb.351:
	s_and_not1_b32 vcc_lo, exec_lo, s26
	s_cbranch_vccnz .LBB455_360
; %bb.352:
	v_add_nc_u32_e32 v17, -8, v39
	v_mul_lo_u32 v25, v14, s14
	v_mul_lo_u32 v26, v13, s15
	s_mov_b32 s0, -1
	ds_load_b64 v[17:18], v17
	s_waitcnt lgkmcnt(0)
	v_mul_lo_u32 v23, v18, s14
	v_mul_lo_u32 v24, v17, s15
	v_mad_u64_u32 v[21:22], null, v17, s14, 0
	v_mad_u64_u32 v[17:18], null, v13, s14, 0
	s_delay_alu instid0(VALU_DEP_2) | instskip(NEXT) | instid1(VALU_DEP_2)
	v_add3_u32 v22, v22, v24, v23
	v_add3_u32 v18, v18, v26, v25
	s_delay_alu instid0(VALU_DEP_2) | instskip(NEXT) | instid1(VALU_DEP_2)
	v_lshlrev_b64 v[21:22], 2, v[21:22]
	v_lshlrev_b64 v[17:18], 2, v[17:18]
	s_delay_alu instid0(VALU_DEP_2) | instskip(NEXT) | instid1(VALU_DEP_3)
	v_add_co_u32 v21, vcc_lo, s16, v21
	v_add_co_ci_u32_e32 v22, vcc_lo, s17, v22, vcc_lo
	s_delay_alu instid0(VALU_DEP_3) | instskip(NEXT) | instid1(VALU_DEP_4)
	v_add_co_u32 v17, vcc_lo, s16, v17
	v_add_co_ci_u32_e32 v18, vcc_lo, s17, v18, vcc_lo
	s_clause 0x1
	global_load_b32 v23, v[21:22], off
	global_load_b32 v24, v[17:18], off
	s_mov_b32 s16, exec_lo
	s_waitcnt vmcnt(0)
	v_cmpx_eq_u32_e64 v23, v24
	s_cbranch_execz .LBB455_359
; %bb.353:
	v_add_co_u32 v17, vcc_lo, v17, 4
	v_add_co_ci_u32_e32 v18, vcc_lo, 0, v18, vcc_lo
	v_add_co_u32 v21, vcc_lo, v21, 4
	v_add_co_ci_u32_e32 v22, vcc_lo, 0, v22, vcc_lo
	s_add_u32 s4, s14, -1
	s_addc_u32 s5, s15, -1
	s_mov_b64 s[6:7], 0
	s_mov_b32 s17, 0
                                        ; implicit-def: $sgpr26
	s_set_inst_prefetch_distance 0x1
	s_branch .LBB455_356
	.p2align	6
.LBB455_354:                            ;   in Loop: Header=BB455_356 Depth=1
	global_load_b32 v23, v[21:22], off
	global_load_b32 v24, v[17:18], off
	v_add_co_u32 v17, vcc_lo, v17, 4
	v_add_co_ci_u32_e32 v18, vcc_lo, 0, v18, vcc_lo
	v_add_co_u32 v21, s0, v21, 4
	s_delay_alu instid0(VALU_DEP_1)
	v_add_co_ci_u32_e64 v22, s0, 0, v22, s0
	s_add_u32 s6, s6, 1
	s_addc_u32 s7, s7, 0
	s_and_not1_b32 s0, s26, exec_lo
	s_waitcnt vmcnt(0)
	v_cmp_ne_u32_e32 vcc_lo, v23, v24
	s_and_b32 s26, vcc_lo, exec_lo
	s_delay_alu instid0(SALU_CYCLE_1)
	s_or_b32 s26, s0, s26
.LBB455_355:                            ;   in Loop: Header=BB455_356 Depth=1
	v_dual_mov_b32 v24, s7 :: v_dual_mov_b32 v23, s6
	s_and_b32 s0, exec_lo, s26
	s_delay_alu instid0(SALU_CYCLE_1) | instskip(NEXT) | instid1(SALU_CYCLE_1)
	s_or_b32 s17, s0, s17
	s_and_not1_b32 exec_lo, exec_lo, s17
	s_cbranch_execz .LBB455_358
.LBB455_356:                            ; =>This Inner Loop Header: Depth=1
	s_or_b32 s26, s26, exec_lo
	s_cmp_eq_u64 s[4:5], s[6:7]
	s_cbranch_scc0 .LBB455_354
; %bb.357:                              ;   in Loop: Header=BB455_356 Depth=1
	s_mov_b64 s[6:7], s[14:15]
                                        ; implicit-def: $vgpr17_vgpr18
                                        ; implicit-def: $vgpr21_vgpr22
	s_branch .LBB455_355
.LBB455_358:
	s_set_inst_prefetch_distance 0x2
	s_or_b32 exec_lo, exec_lo, s17
	v_cmp_gt_i64_e32 vcc_lo, s[14:15], v[23:24]
	s_or_not1_b32 s0, vcc_lo, exec_lo
.LBB455_359:
	s_or_b32 exec_lo, exec_lo, s16
.LBB455_360:
	s_delay_alu instid0(SALU_CYCLE_1)
	s_and_b32 s0, s0, exec_lo
.LBB455_361:
	s_or_b32 exec_lo, exec_lo, s3
	s_delay_alu instid0(SALU_CYCLE_1)
	s_and_b32 s0, s0, exec_lo
	s_or_b32 s25, s25, exec_lo
.LBB455_362:
	s_or_b32 exec_lo, exec_lo, s27
.LBB455_363:
	s_and_saveexec_b32 s3, s25
	s_cbranch_execz .LBB455_365
; %bb.364:
	s_waitcnt vmcnt(0) lgkmcnt(0)
	v_and_b32_e32 v17, 0xffffff00, v19
	v_cndmask_b32_e64 v18, 0, 1, s0
	s_delay_alu instid0(VALU_DEP_1) | instskip(NEXT) | instid1(VALU_DEP_1)
	v_or_b32_e32 v17, v18, v17
	v_and_b32_e32 v17, 0xffff, v17
	s_delay_alu instid0(VALU_DEP_1)
	v_and_or_b32 v19, 0xffff0000, v19, v17
.LBB455_365:
	s_or_b32 exec_lo, exec_lo, s3
	s_delay_alu instid0(SALU_CYCLE_1)
	s_and_not1_b32 vcc_lo, exec_lo, s1
	s_cbranch_vccnz .LBB455_367
; %bb.366:
	v_cmp_gt_u32_e32 vcc_lo, s12, v39
	s_waitcnt vmcnt(0) lgkmcnt(0)
	v_or_b32_e32 v18, 1, v39
	v_and_b32_e32 v21, 0xffffff00, v20
	v_or_b32_e32 v22, 2, v39
	v_cndmask_b32_e32 v17, 0, v19, vcc_lo
	s_delay_alu instid0(VALU_DEP_4) | instskip(SKIP_1) | instid1(VALU_DEP_4)
	v_cmp_gt_u32_e32 vcc_lo, s12, v18
	v_or_b32_e32 v18, 4, v39
	v_cmp_gt_u32_e64 s0, s12, v22
	v_or_b32_e32 v22, 3, v39
	v_and_b32_e32 v17, 0xff, v17
	s_delay_alu instid0(VALU_DEP_2) | instskip(NEXT) | instid1(VALU_DEP_2)
	v_cmp_gt_u32_e64 s1, s12, v22
	v_cndmask_b32_e32 v17, v17, v19, vcc_lo
	v_cmp_gt_u32_e32 vcc_lo, s12, v18
	v_cndmask_b32_e32 v18, v21, v20, vcc_lo
	v_or_b32_e32 v21, 5, v39
	s_delay_alu instid0(VALU_DEP_2) | instskip(SKIP_1) | instid1(VALU_DEP_1)
	v_and_b32_e32 v18, 0xffff00ff, v18
	v_and_b32_e32 v17, 0xffff, v17
	v_cndmask_b32_e64 v17, v17, v19, s0
	s_delay_alu instid0(VALU_DEP_4) | instskip(SKIP_1) | instid1(VALU_DEP_3)
	v_cmp_gt_u32_e64 s0, s12, v21
	v_or_b32_e32 v21, 6, v39
	v_and_b32_e32 v17, 0xffffff, v17
	s_delay_alu instid0(VALU_DEP_3) | instskip(NEXT) | instid1(VALU_DEP_2)
	v_cndmask_b32_e64 v18, v18, v20, s0
	v_cndmask_b32_e64 v17, v17, v19, s1
	s_delay_alu instid0(VALU_DEP_1) | instskip(SKIP_2) | instid1(VALU_DEP_3)
	v_dual_cndmask_b32 v17, v17, v19 :: v_dual_and_b32 v18, 0xff00ffff, v18
	v_cmp_gt_u32_e32 vcc_lo, s12, v21
	v_or_b32_e32 v21, 7, v39
	v_cndmask_b32_e64 v17, v17, v19, s0
	s_delay_alu instid0(VALU_DEP_1) | instskip(NEXT) | instid1(VALU_DEP_1)
	v_dual_cndmask_b32 v18, v18, v20 :: v_dual_cndmask_b32 v17, v17, v19
	v_and_b32_e32 v18, 0xffffff, v18
	s_delay_alu instid0(VALU_DEP_4) | instskip(NEXT) | instid1(VALU_DEP_2)
	v_cmp_gt_u32_e32 vcc_lo, s12, v21
	v_dual_cndmask_b32 v20, v18, v20 :: v_dual_cndmask_b32 v19, v17, v19
.LBB455_367:
	s_delay_alu instid0(VALU_DEP_1) | instskip(SKIP_1) | instid1(VALU_DEP_2)
	v_and_b32_e32 v28, 0xff, v19
	s_waitcnt vmcnt(0) lgkmcnt(0)
	v_alignbit_b32 v17, v20, v19, 24
	v_bfe_u32 v30, v19, 8, 8
	v_bfe_u32 v32, v19, 16, 8
	v_and_b32_e32 v36, 0xff, v20
	v_bfe_u32 v38, v20, 8, 8
	v_and_b32_e32 v34, 0xff, v17
	v_add_nc_u32_e32 v17, v30, v28
	v_mbcnt_lo_u32_b32 v42, -1, 0
	v_bfe_u32 v41, v20, 16, 8
	v_lshrrev_b32_e32 v40, 24, v20
	v_lshrrev_b32_e32 v43, 5, v0
	v_add3_u32 v17, v17, v32, v34
	v_and_b32_e32 v18, 15, v42
	v_and_b32_e32 v21, 16, v42
	s_and_b32 vcc_lo, exec_lo, s24
	s_mov_b32 s7, -1
	v_add3_u32 v17, v17, v36, v38
	v_cmp_eq_u32_e64 s3, 0, v18
	v_cmp_lt_u32_e64 s0, 1, v18
	v_cmp_lt_u32_e64 s4, 3, v18
	;; [unrolled: 1-line block ×3, first 2 shown]
	v_add3_u32 v44, v17, v41, v40
	v_or_b32_e32 v17, 31, v0
	v_cmp_eq_u32_e64 s6, 0, v21
	s_barrier
	buffer_gl0_inv
	v_cmp_eq_u32_e64 s5, v17, v0
	s_cbranch_vccz .LBB455_398
; %bb.368:
	v_mov_b32_dpp v17, v44 row_shr:1 row_mask:0xf bank_mask:0xf
	s_delay_alu instid0(VALU_DEP_1) | instskip(NEXT) | instid1(VALU_DEP_1)
	v_cndmask_b32_e64 v17, v17, 0, s3
	v_add_nc_u32_e32 v17, v17, v44
	s_delay_alu instid0(VALU_DEP_1) | instskip(NEXT) | instid1(VALU_DEP_1)
	v_mov_b32_dpp v18, v17 row_shr:2 row_mask:0xf bank_mask:0xf
	v_cndmask_b32_e64 v18, 0, v18, s0
	s_delay_alu instid0(VALU_DEP_1) | instskip(NEXT) | instid1(VALU_DEP_1)
	v_add_nc_u32_e32 v17, v17, v18
	v_mov_b32_dpp v18, v17 row_shr:4 row_mask:0xf bank_mask:0xf
	s_delay_alu instid0(VALU_DEP_1) | instskip(NEXT) | instid1(VALU_DEP_1)
	v_cndmask_b32_e64 v18, 0, v18, s4
	v_add_nc_u32_e32 v17, v17, v18
	s_delay_alu instid0(VALU_DEP_1) | instskip(NEXT) | instid1(VALU_DEP_1)
	v_mov_b32_dpp v18, v17 row_shr:8 row_mask:0xf bank_mask:0xf
	v_cndmask_b32_e64 v18, 0, v18, s1
	s_delay_alu instid0(VALU_DEP_1) | instskip(SKIP_3) | instid1(VALU_DEP_1)
	v_add_nc_u32_e32 v17, v17, v18
	ds_swizzle_b32 v18, v17 offset:swizzle(BROADCAST,32,15)
	s_waitcnt lgkmcnt(0)
	v_cndmask_b32_e64 v18, v18, 0, s6
	v_add_nc_u32_e32 v17, v17, v18
	s_and_saveexec_b32 s7, s5
	s_cbranch_execz .LBB455_370
; %bb.369:
	v_lshlrev_b32_e32 v18, 2, v43
	ds_store_b32 v18, v17
.LBB455_370:
	s_or_b32 exec_lo, exec_lo, s7
	s_delay_alu instid0(SALU_CYCLE_1)
	s_mov_b32 s7, exec_lo
	s_waitcnt lgkmcnt(0)
	s_barrier
	buffer_gl0_inv
	v_cmpx_gt_u32_e32 16, v0
	s_cbranch_execz .LBB455_372
; %bb.371:
	v_lshlrev_b32_e32 v18, 2, v0
	ds_load_b32 v21, v18
	s_waitcnt lgkmcnt(0)
	v_mov_b32_dpp v22, v21 row_shr:1 row_mask:0xf bank_mask:0xf
	s_delay_alu instid0(VALU_DEP_1) | instskip(NEXT) | instid1(VALU_DEP_1)
	v_cndmask_b32_e64 v22, v22, 0, s3
	v_add_nc_u32_e32 v21, v22, v21
	s_delay_alu instid0(VALU_DEP_1) | instskip(NEXT) | instid1(VALU_DEP_1)
	v_mov_b32_dpp v22, v21 row_shr:2 row_mask:0xf bank_mask:0xf
	v_cndmask_b32_e64 v22, 0, v22, s0
	s_delay_alu instid0(VALU_DEP_1) | instskip(NEXT) | instid1(VALU_DEP_1)
	v_add_nc_u32_e32 v21, v21, v22
	v_mov_b32_dpp v22, v21 row_shr:4 row_mask:0xf bank_mask:0xf
	s_delay_alu instid0(VALU_DEP_1) | instskip(NEXT) | instid1(VALU_DEP_1)
	v_cndmask_b32_e64 v22, 0, v22, s4
	v_add_nc_u32_e32 v21, v21, v22
	s_delay_alu instid0(VALU_DEP_1) | instskip(NEXT) | instid1(VALU_DEP_1)
	v_mov_b32_dpp v22, v21 row_shr:8 row_mask:0xf bank_mask:0xf
	v_cndmask_b32_e64 v22, 0, v22, s1
	s_delay_alu instid0(VALU_DEP_1)
	v_add_nc_u32_e32 v21, v21, v22
	ds_store_b32 v18, v21
.LBB455_372:
	s_or_b32 exec_lo, exec_lo, s7
	v_cmp_gt_u32_e32 vcc_lo, 32, v0
	s_mov_b32 s12, exec_lo
	s_waitcnt lgkmcnt(0)
	s_barrier
	buffer_gl0_inv
                                        ; implicit-def: $vgpr27
	v_cmpx_lt_u32_e32 31, v0
	s_cbranch_execz .LBB455_374
; %bb.373:
	v_lshl_add_u32 v18, v43, 2, -4
	ds_load_b32 v27, v18
	s_waitcnt lgkmcnt(0)
	v_add_nc_u32_e32 v17, v27, v17
.LBB455_374:
	s_or_b32 exec_lo, exec_lo, s12
	v_add_nc_u32_e32 v18, -1, v42
	s_delay_alu instid0(VALU_DEP_1) | instskip(NEXT) | instid1(VALU_DEP_1)
	v_cmp_gt_i32_e64 s7, 0, v18
	v_cndmask_b32_e64 v18, v18, v42, s7
	v_cmp_eq_u32_e64 s7, 0, v42
	s_delay_alu instid0(VALU_DEP_2)
	v_lshlrev_b32_e32 v18, 2, v18
	ds_bpermute_b32 v29, v18, v17
	s_and_saveexec_b32 s12, vcc_lo
	s_cbranch_execz .LBB455_397
; %bb.375:
	v_mov_b32_e32 v23, 0
	ds_load_b32 v17, v23 offset:60
	s_and_saveexec_b32 s14, s7
	s_cbranch_execz .LBB455_377
; %bb.376:
	s_add_i32 s16, s23, 32
	s_mov_b32 s17, 0
	v_mov_b32_e32 v18, 1
	s_lshl_b64 s[16:17], s[16:17], 3
	s_delay_alu instid0(SALU_CYCLE_1)
	s_add_u32 s16, s18, s16
	s_addc_u32 s17, s19, s17
	s_waitcnt lgkmcnt(0)
	global_store_b64 v23, v[17:18], s[16:17]
.LBB455_377:
	s_or_b32 exec_lo, exec_lo, s14
	v_xad_u32 v21, v42, -1, s23
	s_mov_b32 s15, 0
	s_mov_b32 s14, exec_lo
	s_delay_alu instid0(VALU_DEP_1) | instskip(NEXT) | instid1(VALU_DEP_1)
	v_add_nc_u32_e32 v22, 32, v21
	v_lshlrev_b64 v[22:23], 3, v[22:23]
	s_delay_alu instid0(VALU_DEP_1) | instskip(NEXT) | instid1(VALU_DEP_2)
	v_add_co_u32 v25, vcc_lo, s18, v22
	v_add_co_ci_u32_e32 v26, vcc_lo, s19, v23, vcc_lo
	global_load_b64 v[23:24], v[25:26], off glc
	s_waitcnt vmcnt(0)
	v_and_b32_e32 v18, 0xff, v24
	s_delay_alu instid0(VALU_DEP_1)
	v_cmpx_eq_u16_e32 0, v18
	s_cbranch_execz .LBB455_383
; %bb.378:
	s_mov_b32 s16, 1
	.p2align	6
.LBB455_379:                            ; =>This Loop Header: Depth=1
                                        ;     Child Loop BB455_380 Depth 2
	s_delay_alu instid0(SALU_CYCLE_1)
	s_max_u32 s17, s16, 1
.LBB455_380:                            ;   Parent Loop BB455_379 Depth=1
                                        ; =>  This Inner Loop Header: Depth=2
	s_delay_alu instid0(SALU_CYCLE_1)
	s_add_i32 s17, s17, -1
	s_sleep 1
	s_cmp_eq_u32 s17, 0
	s_cbranch_scc0 .LBB455_380
; %bb.381:                              ;   in Loop: Header=BB455_379 Depth=1
	global_load_b64 v[23:24], v[25:26], off glc
	s_cmp_lt_u32 s16, 32
	s_cselect_b32 s17, -1, 0
	s_delay_alu instid0(SALU_CYCLE_1) | instskip(SKIP_3) | instid1(VALU_DEP_1)
	s_cmp_lg_u32 s17, 0
	s_addc_u32 s16, s16, 0
	s_waitcnt vmcnt(0)
	v_and_b32_e32 v18, 0xff, v24
	v_cmp_ne_u16_e32 vcc_lo, 0, v18
	s_or_b32 s15, vcc_lo, s15
	s_delay_alu instid0(SALU_CYCLE_1)
	s_and_not1_b32 exec_lo, exec_lo, s15
	s_cbranch_execnz .LBB455_379
; %bb.382:
	s_or_b32 exec_lo, exec_lo, s15
.LBB455_383:
	s_delay_alu instid0(SALU_CYCLE_1)
	s_or_b32 exec_lo, exec_lo, s14
	v_cmp_ne_u32_e32 vcc_lo, 31, v42
	v_and_b32_e32 v22, 0xff, v24
	v_lshlrev_b32_e64 v31, v42, -1
	v_add_nc_u32_e32 v35, 2, v42
	v_add_nc_u32_e32 v45, 4, v42
	v_add_co_ci_u32_e32 v18, vcc_lo, 0, v42, vcc_lo
	v_cmp_eq_u16_e32 vcc_lo, 2, v22
	v_add_nc_u32_e32 v48, 8, v42
	v_add_nc_u32_e32 v50, 16, v42
	v_and_or_b32 v22, vcc_lo, v31, 0x80000000
	v_cmp_gt_u32_e32 vcc_lo, 30, v42
	s_delay_alu instid0(VALU_DEP_2) | instskip(SKIP_1) | instid1(VALU_DEP_2)
	v_ctz_i32_b32_e32 v22, v22
	v_cndmask_b32_e64 v26, 0, 1, vcc_lo
	v_cmp_lt_u32_e32 vcc_lo, v42, v22
	v_lshlrev_b32_e32 v18, 2, v18
	s_delay_alu instid0(VALU_DEP_3)
	v_lshlrev_b32_e32 v26, 1, v26
	ds_bpermute_b32 v25, v18, v23
	v_add_lshl_u32 v33, v26, v42, 2
	s_waitcnt lgkmcnt(0)
	v_cndmask_b32_e32 v25, 0, v25, vcc_lo
	v_cmp_gt_u32_e32 vcc_lo, 28, v42
	s_delay_alu instid0(VALU_DEP_2) | instskip(SKIP_4) | instid1(VALU_DEP_1)
	v_add_nc_u32_e32 v23, v25, v23
	v_cndmask_b32_e64 v26, 0, 1, vcc_lo
	v_cmp_le_u32_e32 vcc_lo, v35, v22
	ds_bpermute_b32 v25, v33, v23
	v_lshlrev_b32_e32 v26, 2, v26
	v_add_lshl_u32 v37, v26, v42, 2
	s_waitcnt lgkmcnt(0)
	v_cndmask_b32_e32 v25, 0, v25, vcc_lo
	v_cmp_gt_u32_e32 vcc_lo, 24, v42
	s_delay_alu instid0(VALU_DEP_2) | instskip(SKIP_4) | instid1(VALU_DEP_1)
	v_add_nc_u32_e32 v23, v23, v25
	v_cndmask_b32_e64 v26, 0, 1, vcc_lo
	v_cmp_le_u32_e32 vcc_lo, v45, v22
	ds_bpermute_b32 v25, v37, v23
	v_lshlrev_b32_e32 v26, 3, v26
	;; [unrolled: 10-line block ×3, first 2 shown]
	v_add_lshl_u32 v49, v26, v42, 2
	s_waitcnt lgkmcnt(0)
	v_cndmask_b32_e32 v25, 0, v25, vcc_lo
	v_cmp_le_u32_e32 vcc_lo, v50, v22
	s_delay_alu instid0(VALU_DEP_2) | instskip(SKIP_3) | instid1(VALU_DEP_1)
	v_add_nc_u32_e32 v23, v23, v25
	ds_bpermute_b32 v25, v49, v23
	s_waitcnt lgkmcnt(0)
	v_cndmask_b32_e32 v22, 0, v25, vcc_lo
	v_dual_mov_b32 v22, 0 :: v_dual_add_nc_u32 v23, v23, v22
	s_branch .LBB455_385
.LBB455_384:                            ;   in Loop: Header=BB455_385 Depth=1
	s_or_b32 exec_lo, exec_lo, s14
	ds_bpermute_b32 v26, v18, v23
	v_and_b32_e32 v25, 0xff, v24
	v_subrev_nc_u32_e32 v21, 32, v21
	s_delay_alu instid0(VALU_DEP_2) | instskip(SKIP_1) | instid1(VALU_DEP_1)
	v_cmp_eq_u16_e32 vcc_lo, 2, v25
	v_and_or_b32 v25, vcc_lo, v31, 0x80000000
	v_ctz_i32_b32_e32 v25, v25
	s_delay_alu instid0(VALU_DEP_1) | instskip(SKIP_3) | instid1(VALU_DEP_2)
	v_cmp_lt_u32_e32 vcc_lo, v42, v25
	s_waitcnt lgkmcnt(0)
	v_cndmask_b32_e32 v26, 0, v26, vcc_lo
	v_cmp_le_u32_e32 vcc_lo, v35, v25
	v_add_nc_u32_e32 v23, v26, v23
	ds_bpermute_b32 v26, v33, v23
	s_waitcnt lgkmcnt(0)
	v_cndmask_b32_e32 v26, 0, v26, vcc_lo
	v_cmp_le_u32_e32 vcc_lo, v45, v25
	s_delay_alu instid0(VALU_DEP_2) | instskip(SKIP_4) | instid1(VALU_DEP_2)
	v_add_nc_u32_e32 v23, v23, v26
	ds_bpermute_b32 v26, v37, v23
	s_waitcnt lgkmcnt(0)
	v_cndmask_b32_e32 v26, 0, v26, vcc_lo
	v_cmp_le_u32_e32 vcc_lo, v48, v25
	v_add_nc_u32_e32 v23, v23, v26
	ds_bpermute_b32 v26, v47, v23
	s_waitcnt lgkmcnt(0)
	v_cndmask_b32_e32 v26, 0, v26, vcc_lo
	v_cmp_le_u32_e32 vcc_lo, v50, v25
	s_delay_alu instid0(VALU_DEP_2) | instskip(SKIP_3) | instid1(VALU_DEP_1)
	v_add_nc_u32_e32 v23, v23, v26
	ds_bpermute_b32 v26, v49, v23
	s_waitcnt lgkmcnt(0)
	v_cndmask_b32_e32 v25, 0, v26, vcc_lo
	v_add3_u32 v23, v25, v46, v23
.LBB455_385:                            ; =>This Loop Header: Depth=1
                                        ;     Child Loop BB455_388 Depth 2
                                        ;       Child Loop BB455_389 Depth 3
	v_and_b32_e32 v24, 0xff, v24
	s_delay_alu instid0(VALU_DEP_2) | instskip(NEXT) | instid1(VALU_DEP_2)
	v_mov_b32_e32 v46, v23
	v_cmp_ne_u16_e32 vcc_lo, 2, v24
	v_cndmask_b32_e64 v24, 0, 1, vcc_lo
	;;#ASMSTART
	;;#ASMEND
	s_delay_alu instid0(VALU_DEP_1)
	v_cmp_ne_u32_e32 vcc_lo, 0, v24
	s_cmp_lg_u32 vcc_lo, exec_lo
	s_cbranch_scc1 .LBB455_392
; %bb.386:                              ;   in Loop: Header=BB455_385 Depth=1
	v_lshlrev_b64 v[23:24], 3, v[21:22]
	s_mov_b32 s14, exec_lo
	s_delay_alu instid0(VALU_DEP_1) | instskip(NEXT) | instid1(VALU_DEP_2)
	v_add_co_u32 v25, vcc_lo, s18, v23
	v_add_co_ci_u32_e32 v26, vcc_lo, s19, v24, vcc_lo
	global_load_b64 v[23:24], v[25:26], off glc
	s_waitcnt vmcnt(0)
	v_and_b32_e32 v51, 0xff, v24
	s_delay_alu instid0(VALU_DEP_1)
	v_cmpx_eq_u16_e32 0, v51
	s_cbranch_execz .LBB455_384
; %bb.387:                              ;   in Loop: Header=BB455_385 Depth=1
	s_mov_b32 s16, 1
	s_mov_b32 s15, 0
	.p2align	6
.LBB455_388:                            ;   Parent Loop BB455_385 Depth=1
                                        ; =>  This Loop Header: Depth=2
                                        ;       Child Loop BB455_389 Depth 3
	s_max_u32 s17, s16, 1
.LBB455_389:                            ;   Parent Loop BB455_385 Depth=1
                                        ;     Parent Loop BB455_388 Depth=2
                                        ; =>    This Inner Loop Header: Depth=3
	s_delay_alu instid0(SALU_CYCLE_1)
	s_add_i32 s17, s17, -1
	s_sleep 1
	s_cmp_eq_u32 s17, 0
	s_cbranch_scc0 .LBB455_389
; %bb.390:                              ;   in Loop: Header=BB455_388 Depth=2
	global_load_b64 v[23:24], v[25:26], off glc
	s_cmp_lt_u32 s16, 32
	s_cselect_b32 s17, -1, 0
	s_delay_alu instid0(SALU_CYCLE_1) | instskip(SKIP_3) | instid1(VALU_DEP_1)
	s_cmp_lg_u32 s17, 0
	s_addc_u32 s16, s16, 0
	s_waitcnt vmcnt(0)
	v_and_b32_e32 v51, 0xff, v24
	v_cmp_ne_u16_e32 vcc_lo, 0, v51
	s_or_b32 s15, vcc_lo, s15
	s_delay_alu instid0(SALU_CYCLE_1)
	s_and_not1_b32 exec_lo, exec_lo, s15
	s_cbranch_execnz .LBB455_388
; %bb.391:                              ;   in Loop: Header=BB455_385 Depth=1
	s_or_b32 exec_lo, exec_lo, s15
	s_branch .LBB455_384
.LBB455_392:                            ;   in Loop: Header=BB455_385 Depth=1
                                        ; implicit-def: $vgpr23
                                        ; implicit-def: $vgpr24
	s_cbranch_execz .LBB455_385
; %bb.393:
	s_and_saveexec_b32 s14, s7
	s_cbranch_execz .LBB455_395
; %bb.394:
	s_add_i32 s16, s23, 32
	s_mov_b32 s17, 0
	v_dual_mov_b32 v22, 2 :: v_dual_add_nc_u32 v21, v46, v17
	s_lshl_b64 s[16:17], s[16:17], 3
	v_mov_b32_e32 v18, 0
	v_add_nc_u32_e64 v23, 0x8400, 0
	s_add_u32 s16, s18, s16
	s_addc_u32 s17, s19, s17
	global_store_b64 v18, v[21:22], s[16:17]
	ds_store_2addr_b32 v23, v17, v46 offset1:2
.LBB455_395:
	s_or_b32 exec_lo, exec_lo, s14
	s_delay_alu instid0(SALU_CYCLE_1)
	s_and_b32 exec_lo, exec_lo, s2
	s_cbranch_execz .LBB455_397
; %bb.396:
	v_mov_b32_e32 v17, 0
	ds_store_b32 v17, v46 offset:60
.LBB455_397:
	s_or_b32 exec_lo, exec_lo, s12
	v_mov_b32_e32 v17, 0
	s_waitcnt lgkmcnt(0)
	s_waitcnt_vscnt null, 0x0
	s_barrier
	buffer_gl0_inv
	v_cndmask_b32_e64 v18, v29, v27, s7
	ds_load_b32 v17, v17 offset:60
	s_waitcnt lgkmcnt(0)
	s_barrier
	buffer_gl0_inv
	v_cndmask_b32_e64 v18, v18, 0, s2
	s_delay_alu instid0(VALU_DEP_1) | instskip(SKIP_1) | instid1(VALU_DEP_2)
	v_add_nc_u32_e32 v37, v17, v18
	v_add_nc_u32_e64 v17, 0x8400, 0
	v_add_nc_u32_e32 v35, v37, v28
	ds_load_2addr_b32 v[17:18], v17 offset1:2
	v_add_nc_u32_e32 v33, v35, v30
	s_delay_alu instid0(VALU_DEP_1) | instskip(NEXT) | instid1(VALU_DEP_1)
	v_add_nc_u32_e32 v31, v33, v32
	v_add_nc_u32_e32 v29, v31, v34
	s_delay_alu instid0(VALU_DEP_1) | instskip(NEXT) | instid1(VALU_DEP_1)
	v_add_nc_u32_e32 v27, v29, v36
	v_add_nc_u32_e32 v25, v27, v38
	s_delay_alu instid0(VALU_DEP_1)
	v_add_nc_u32_e32 v23, v25, v41
	v_lshrrev_b64 v[21:22], 24, v[19:20]
	s_branch .LBB455_408
.LBB455_398:
                                        ; implicit-def: $vgpr23
                                        ; implicit-def: $vgpr25
                                        ; implicit-def: $vgpr27
                                        ; implicit-def: $vgpr29
                                        ; implicit-def: $vgpr31
                                        ; implicit-def: $vgpr33
                                        ; implicit-def: $vgpr35
                                        ; implicit-def: $vgpr37
                                        ; implicit-def: $vgpr18
	v_lshrrev_b64 v[21:22], 24, v[19:20]
	s_and_b32 vcc_lo, exec_lo, s7
	s_cbranch_vccz .LBB455_408
; %bb.399:
	s_waitcnt lgkmcnt(0)
	v_mov_b32_dpp v17, v44 row_shr:1 row_mask:0xf bank_mask:0xf
	s_delay_alu instid0(VALU_DEP_1) | instskip(NEXT) | instid1(VALU_DEP_1)
	v_cndmask_b32_e64 v17, v17, 0, s3
	v_add_nc_u32_e32 v17, v17, v44
	s_delay_alu instid0(VALU_DEP_1) | instskip(NEXT) | instid1(VALU_DEP_1)
	v_mov_b32_dpp v18, v17 row_shr:2 row_mask:0xf bank_mask:0xf
	v_cndmask_b32_e64 v18, 0, v18, s0
	s_delay_alu instid0(VALU_DEP_1) | instskip(NEXT) | instid1(VALU_DEP_1)
	v_add_nc_u32_e32 v17, v17, v18
	v_mov_b32_dpp v18, v17 row_shr:4 row_mask:0xf bank_mask:0xf
	s_delay_alu instid0(VALU_DEP_1) | instskip(NEXT) | instid1(VALU_DEP_1)
	v_cndmask_b32_e64 v18, 0, v18, s4
	v_add_nc_u32_e32 v17, v17, v18
	s_delay_alu instid0(VALU_DEP_1) | instskip(NEXT) | instid1(VALU_DEP_1)
	v_mov_b32_dpp v18, v17 row_shr:8 row_mask:0xf bank_mask:0xf
	v_cndmask_b32_e64 v18, 0, v18, s1
	s_delay_alu instid0(VALU_DEP_1) | instskip(SKIP_3) | instid1(VALU_DEP_1)
	v_add_nc_u32_e32 v17, v17, v18
	ds_swizzle_b32 v18, v17 offset:swizzle(BROADCAST,32,15)
	s_waitcnt lgkmcnt(0)
	v_cndmask_b32_e64 v18, v18, 0, s6
	v_add_nc_u32_e32 v17, v17, v18
	s_and_saveexec_b32 s6, s5
	s_cbranch_execz .LBB455_401
; %bb.400:
	v_lshlrev_b32_e32 v18, 2, v43
	ds_store_b32 v18, v17
.LBB455_401:
	s_or_b32 exec_lo, exec_lo, s6
	s_delay_alu instid0(SALU_CYCLE_1)
	s_mov_b32 s5, exec_lo
	s_waitcnt lgkmcnt(0)
	s_barrier
	buffer_gl0_inv
	v_cmpx_gt_u32_e32 16, v0
	s_cbranch_execz .LBB455_403
; %bb.402:
	v_lshlrev_b32_e32 v18, 2, v0
	ds_load_b32 v22, v18
	s_waitcnt lgkmcnt(0)
	v_mov_b32_dpp v23, v22 row_shr:1 row_mask:0xf bank_mask:0xf
	s_delay_alu instid0(VALU_DEP_1) | instskip(NEXT) | instid1(VALU_DEP_1)
	v_cndmask_b32_e64 v23, v23, 0, s3
	v_add_nc_u32_e32 v22, v23, v22
	s_delay_alu instid0(VALU_DEP_1) | instskip(NEXT) | instid1(VALU_DEP_1)
	v_mov_b32_dpp v23, v22 row_shr:2 row_mask:0xf bank_mask:0xf
	v_cndmask_b32_e64 v23, 0, v23, s0
	s_delay_alu instid0(VALU_DEP_1) | instskip(NEXT) | instid1(VALU_DEP_1)
	v_add_nc_u32_e32 v22, v22, v23
	v_mov_b32_dpp v23, v22 row_shr:4 row_mask:0xf bank_mask:0xf
	s_delay_alu instid0(VALU_DEP_1) | instskip(NEXT) | instid1(VALU_DEP_1)
	v_cndmask_b32_e64 v23, 0, v23, s4
	v_add_nc_u32_e32 v22, v22, v23
	s_delay_alu instid0(VALU_DEP_1) | instskip(NEXT) | instid1(VALU_DEP_1)
	v_mov_b32_dpp v23, v22 row_shr:8 row_mask:0xf bank_mask:0xf
	v_cndmask_b32_e64 v23, 0, v23, s1
	s_delay_alu instid0(VALU_DEP_1)
	v_add_nc_u32_e32 v22, v22, v23
	ds_store_b32 v18, v22
.LBB455_403:
	s_or_b32 exec_lo, exec_lo, s5
	v_mov_b32_e32 v18, 0
	v_mov_b32_e32 v22, 0
	s_mov_b32 s0, exec_lo
	s_waitcnt lgkmcnt(0)
	s_barrier
	buffer_gl0_inv
	v_cmpx_lt_u32_e32 31, v0
	s_cbranch_execz .LBB455_405
; %bb.404:
	v_lshl_add_u32 v22, v43, 2, -4
	ds_load_b32 v22, v22
.LBB455_405:
	s_or_b32 exec_lo, exec_lo, s0
	v_add_nc_u32_e32 v23, -1, v42
	s_waitcnt lgkmcnt(0)
	v_add_nc_u32_e32 v17, v22, v17
	s_delay_alu instid0(VALU_DEP_2) | instskip(SKIP_1) | instid1(VALU_DEP_1)
	v_cmp_gt_i32_e32 vcc_lo, 0, v23
	v_cndmask_b32_e32 v23, v23, v42, vcc_lo
	v_lshlrev_b32_e32 v23, 2, v23
	ds_bpermute_b32 v23, v23, v17
	ds_load_b32 v17, v18 offset:60
	s_and_saveexec_b32 s0, s2
	s_cbranch_execz .LBB455_407
; %bb.406:
	v_mov_b32_e32 v24, 0
	v_mov_b32_e32 v18, 2
	s_waitcnt lgkmcnt(0)
	global_store_b64 v24, v[17:18], s[18:19] offset:256
.LBB455_407:
	s_or_b32 exec_lo, exec_lo, s0
	v_cmp_eq_u32_e32 vcc_lo, 0, v42
	s_waitcnt lgkmcnt(0)
	s_waitcnt_vscnt null, 0x0
	s_barrier
	buffer_gl0_inv
	v_cndmask_b32_e32 v18, v23, v22, vcc_lo
	s_delay_alu instid0(VALU_DEP_1) | instskip(NEXT) | instid1(VALU_DEP_1)
	v_cndmask_b32_e64 v37, v18, 0, s2
	v_dual_mov_b32 v18, 0 :: v_dual_add_nc_u32 v35, v37, v28
	s_delay_alu instid0(VALU_DEP_1) | instskip(NEXT) | instid1(VALU_DEP_1)
	v_add_nc_u32_e32 v33, v35, v30
	v_add_nc_u32_e32 v31, v33, v32
	s_delay_alu instid0(VALU_DEP_1) | instskip(NEXT) | instid1(VALU_DEP_1)
	v_add_nc_u32_e32 v29, v31, v34
	v_add_nc_u32_e32 v27, v29, v36
	;; [unrolled: 3-line block ×3, first 2 shown]
.LBB455_408:
	s_waitcnt lgkmcnt(0)
	v_cmp_gt_u32_e32 vcc_lo, 0x201, v17
	v_lshrrev_b32_e32 v43, 8, v19
	v_lshrrev_b32_e32 v42, 16, v19
	;; [unrolled: 1-line block ×4, first 2 shown]
	s_mov_b32 s0, -1
	s_cbranch_vccnz .LBB455_412
; %bb.409:
	s_and_b32 vcc_lo, exec_lo, s0
	s_cbranch_vccnz .LBB455_437
.LBB455_410:
	s_and_b32 s0, s2, s13
	s_delay_alu instid0(SALU_CYCLE_1)
	s_and_saveexec_b32 s1, s0
	s_cbranch_execnz .LBB455_457
.LBB455_411:
	s_nop 0
	s_sendmsg sendmsg(MSG_DEALLOC_VGPRS)
	s_endpgm
.LBB455_412:
	v_add_nc_u32_e32 v24, v18, v17
	s_delay_alu instid0(VALU_DEP_1) | instskip(SKIP_1) | instid1(SALU_CYCLE_1)
	v_cmp_lt_u32_e32 vcc_lo, v37, v24
	s_or_b32 s1, s22, vcc_lo
	s_and_saveexec_b32 s0, s1
	s_cbranch_execz .LBB455_415
; %bb.413:
	v_and_b32_e32 v26, 1, v19
	s_delay_alu instid0(VALU_DEP_1)
	v_cmp_eq_u32_e32 vcc_lo, 1, v26
	s_and_b32 exec_lo, exec_lo, vcc_lo
	s_cbranch_execz .LBB455_415
; %bb.414:
	v_mov_b32_e32 v38, 0
	s_lshl_b64 s[4:5], s[10:11], 3
	s_delay_alu instid0(SALU_CYCLE_1) | instskip(SKIP_1) | instid1(VALU_DEP_1)
	s_add_u32 s1, s20, s4
	s_addc_u32 s3, s21, s5
	v_lshlrev_b64 v[44:45], 3, v[37:38]
	s_delay_alu instid0(VALU_DEP_1) | instskip(NEXT) | instid1(VALU_DEP_2)
	v_add_co_u32 v44, vcc_lo, s1, v44
	v_add_co_ci_u32_e32 v45, vcc_lo, s3, v45, vcc_lo
	global_store_b64 v[44:45], v[13:14], off
.LBB455_415:
	s_or_b32 exec_lo, exec_lo, s0
	v_cmp_lt_u32_e32 vcc_lo, v35, v24
	s_or_b32 s1, s22, vcc_lo
	s_delay_alu instid0(SALU_CYCLE_1)
	s_and_saveexec_b32 s0, s1
	s_cbranch_execz .LBB455_418
; %bb.416:
	v_and_b32_e32 v26, 1, v43
	s_delay_alu instid0(VALU_DEP_1)
	v_cmp_eq_u32_e32 vcc_lo, 1, v26
	s_and_b32 exec_lo, exec_lo, vcc_lo
	s_cbranch_execz .LBB455_418
; %bb.417:
	v_mov_b32_e32 v36, 0
	s_lshl_b64 s[4:5], s[10:11], 3
	s_delay_alu instid0(SALU_CYCLE_1) | instskip(SKIP_1) | instid1(VALU_DEP_1)
	s_add_u32 s1, s20, s4
	s_addc_u32 s3, s21, s5
	v_lshlrev_b64 v[44:45], 3, v[35:36]
	s_delay_alu instid0(VALU_DEP_1) | instskip(NEXT) | instid1(VALU_DEP_2)
	v_add_co_u32 v44, vcc_lo, s1, v44
	v_add_co_ci_u32_e32 v45, vcc_lo, s3, v45, vcc_lo
	global_store_b64 v[44:45], v[15:16], off
.LBB455_418:
	s_or_b32 exec_lo, exec_lo, s0
	v_cmp_lt_u32_e32 vcc_lo, v33, v24
	s_or_b32 s1, s22, vcc_lo
	s_delay_alu instid0(SALU_CYCLE_1)
	;; [unrolled: 24-line block ×7, first 2 shown]
	s_and_saveexec_b32 s0, s1
	s_cbranch_execz .LBB455_436
; %bb.434:
	v_and_b32_e32 v24, 1, v40
	s_delay_alu instid0(VALU_DEP_1)
	v_cmp_eq_u32_e32 vcc_lo, 1, v24
	s_and_b32 exec_lo, exec_lo, vcc_lo
	s_cbranch_execz .LBB455_436
; %bb.435:
	v_mov_b32_e32 v24, 0
	s_lshl_b64 s[4:5], s[10:11], 3
	s_delay_alu instid0(SALU_CYCLE_1) | instskip(SKIP_1) | instid1(VALU_DEP_1)
	s_add_u32 s1, s20, s4
	s_addc_u32 s3, s21, s5
	v_lshlrev_b64 v[44:45], 3, v[23:24]
	s_delay_alu instid0(VALU_DEP_1) | instskip(NEXT) | instid1(VALU_DEP_2)
	v_add_co_u32 v44, vcc_lo, s1, v44
	v_add_co_ci_u32_e32 v45, vcc_lo, s3, v45, vcc_lo
	global_store_b64 v[44:45], v[3:4], off
.LBB455_436:
	s_or_b32 exec_lo, exec_lo, s0
	s_branch .LBB455_410
.LBB455_437:
	v_and_b32_e32 v19, 1, v19
	s_mov_b32 s0, exec_lo
	s_delay_alu instid0(VALU_DEP_1)
	v_cmpx_eq_u32_e32 1, v19
	s_cbranch_execz .LBB455_439
; %bb.438:
	v_sub_nc_u32_e32 v19, v37, v18
	s_delay_alu instid0(VALU_DEP_1)
	v_lshlrev_b32_e32 v19, 3, v19
	ds_store_b64 v19, v[13:14]
.LBB455_439:
	s_or_b32 exec_lo, exec_lo, s0
	v_and_b32_e32 v13, 1, v43
	s_mov_b32 s0, exec_lo
	s_delay_alu instid0(VALU_DEP_1)
	v_cmpx_eq_u32_e32 1, v13
	s_cbranch_execz .LBB455_441
; %bb.440:
	v_sub_nc_u32_e32 v13, v35, v18
	s_delay_alu instid0(VALU_DEP_1)
	v_lshlrev_b32_e32 v13, 3, v13
	ds_store_b64 v13, v[15:16]
.LBB455_441:
	s_or_b32 exec_lo, exec_lo, s0
	;; [unrolled: 12-line block ×8, first 2 shown]
	s_delay_alu instid0(SALU_CYCLE_1)
	s_mov_b32 s1, exec_lo
	s_waitcnt lgkmcnt(0)
	s_waitcnt_vscnt null, 0x0
	s_barrier
	buffer_gl0_inv
	v_cmpx_lt_u32_e64 v0, v17
	s_cbranch_execz .LBB455_456
; %bb.454:
	v_dual_mov_b32 v2, 0 :: v_dual_mov_b32 v1, v18
	s_lshl_b64 s[4:5], s[10:11], 3
	s_mov_b32 s3, 0
	s_delay_alu instid0(VALU_DEP_1) | instskip(NEXT) | instid1(VALU_DEP_1)
	v_lshlrev_b64 v[1:2], 3, v[1:2]
	v_add_co_u32 v1, vcc_lo, s4, v1
	s_delay_alu instid0(VALU_DEP_2) | instskip(NEXT) | instid1(VALU_DEP_2)
	v_add_co_ci_u32_e32 v2, vcc_lo, s5, v2, vcc_lo
	v_add_co_u32 v1, vcc_lo, s20, v1
	s_delay_alu instid0(VALU_DEP_2) | instskip(NEXT) | instid1(VALU_DEP_2)
	v_add_co_ci_u32_e32 v2, vcc_lo, s21, v2, vcc_lo
	v_add_co_u32 v1, vcc_lo, v1, v39
	s_delay_alu instid0(VALU_DEP_2)
	v_add_co_ci_u32_e32 v2, vcc_lo, 0, v2, vcc_lo
	.p2align	6
.LBB455_455:                            ; =>This Inner Loop Header: Depth=1
	ds_load_b64 v[3:4], v39
	v_add_nc_u32_e32 v0, 0x200, v0
	v_add_nc_u32_e32 v39, 0x1000, v39
	s_delay_alu instid0(VALU_DEP_2) | instskip(SKIP_4) | instid1(VALU_DEP_1)
	v_cmp_ge_u32_e32 vcc_lo, v0, v17
	s_or_b32 s3, vcc_lo, s3
	s_waitcnt lgkmcnt(0)
	global_store_b64 v[1:2], v[3:4], off
	v_add_co_u32 v1, s0, 0x1000, v1
	v_add_co_ci_u32_e64 v2, s0, 0, v2, s0
	s_and_not1_b32 exec_lo, exec_lo, s3
	s_cbranch_execnz .LBB455_455
.LBB455_456:
	s_or_b32 exec_lo, exec_lo, s1
	s_and_b32 s0, s2, s13
	s_delay_alu instid0(SALU_CYCLE_1)
	s_and_saveexec_b32 s1, s0
	s_cbranch_execz .LBB455_411
.LBB455_457:
	v_add_co_u32 v0, s0, s10, v17
	s_delay_alu instid0(VALU_DEP_1) | instskip(SKIP_1) | instid1(VALU_DEP_3)
	v_add_co_ci_u32_e64 v1, null, s11, 0, s0
	v_mov_b32_e32 v2, 0
	v_add_co_u32 v0, vcc_lo, v0, v18
	s_delay_alu instid0(VALU_DEP_3)
	v_add_co_ci_u32_e32 v1, vcc_lo, 0, v1, vcc_lo
	global_store_b64 v2, v[0:1], s[8:9]
	s_nop 0
	s_sendmsg sendmsg(MSG_DEALLOC_VGPRS)
	s_endpgm
	.section	.rodata,"a",@progbits
	.p2align	6, 0x0
	.amdhsa_kernel _ZN7rocprim17ROCPRIM_400000_NS6detail17trampoline_kernelINS0_14default_configENS1_25partition_config_selectorILNS1_17partition_subalgoE8ElNS0_10empty_typeEbEEZZNS1_14partition_implILS5_8ELb0ES3_jPlPS6_PKS6_NS0_5tupleIJS9_S6_EEENSD_IJSA_SA_EEENS0_18inequality_wrapperIZN2at6native12_GLOBAL__N_124unique_dim_cuda_templateIiEESt5tupleIJNSH_6TensorESM_SM_EERKSM_lbbbEUlllE0_EEPmJS6_EEE10hipError_tPvRmT3_T4_T5_T6_T7_T9_mT8_P12ihipStream_tbDpT10_ENKUlT_T0_E_clISt17integral_constantIbLb1EES1C_EEDaS17_S18_EUlS17_E_NS1_11comp_targetILNS1_3genE9ELNS1_11target_archE1100ELNS1_3gpuE3ELNS1_3repE0EEENS1_30default_config_static_selectorELNS0_4arch9wavefront6targetE0EEEvT1_
		.amdhsa_group_segment_fixed_size 33804
		.amdhsa_private_segment_fixed_size 0
		.amdhsa_kernarg_size 136
		.amdhsa_user_sgpr_count 15
		.amdhsa_user_sgpr_dispatch_ptr 0
		.amdhsa_user_sgpr_queue_ptr 0
		.amdhsa_user_sgpr_kernarg_segment_ptr 1
		.amdhsa_user_sgpr_dispatch_id 0
		.amdhsa_user_sgpr_private_segment_size 0
		.amdhsa_wavefront_size32 1
		.amdhsa_uses_dynamic_stack 0
		.amdhsa_enable_private_segment 0
		.amdhsa_system_sgpr_workgroup_id_x 1
		.amdhsa_system_sgpr_workgroup_id_y 0
		.amdhsa_system_sgpr_workgroup_id_z 0
		.amdhsa_system_sgpr_workgroup_info 0
		.amdhsa_system_vgpr_workitem_id 0
		.amdhsa_next_free_vgpr 52
		.amdhsa_next_free_sgpr 38
		.amdhsa_reserve_vcc 1
		.amdhsa_float_round_mode_32 0
		.amdhsa_float_round_mode_16_64 0
		.amdhsa_float_denorm_mode_32 3
		.amdhsa_float_denorm_mode_16_64 3
		.amdhsa_dx10_clamp 1
		.amdhsa_ieee_mode 1
		.amdhsa_fp16_overflow 0
		.amdhsa_workgroup_processor_mode 1
		.amdhsa_memory_ordered 1
		.amdhsa_forward_progress 0
		.amdhsa_shared_vgpr_count 0
		.amdhsa_exception_fp_ieee_invalid_op 0
		.amdhsa_exception_fp_denorm_src 0
		.amdhsa_exception_fp_ieee_div_zero 0
		.amdhsa_exception_fp_ieee_overflow 0
		.amdhsa_exception_fp_ieee_underflow 0
		.amdhsa_exception_fp_ieee_inexact 0
		.amdhsa_exception_int_div_zero 0
	.end_amdhsa_kernel
	.section	.text._ZN7rocprim17ROCPRIM_400000_NS6detail17trampoline_kernelINS0_14default_configENS1_25partition_config_selectorILNS1_17partition_subalgoE8ElNS0_10empty_typeEbEEZZNS1_14partition_implILS5_8ELb0ES3_jPlPS6_PKS6_NS0_5tupleIJS9_S6_EEENSD_IJSA_SA_EEENS0_18inequality_wrapperIZN2at6native12_GLOBAL__N_124unique_dim_cuda_templateIiEESt5tupleIJNSH_6TensorESM_SM_EERKSM_lbbbEUlllE0_EEPmJS6_EEE10hipError_tPvRmT3_T4_T5_T6_T7_T9_mT8_P12ihipStream_tbDpT10_ENKUlT_T0_E_clISt17integral_constantIbLb1EES1C_EEDaS17_S18_EUlS17_E_NS1_11comp_targetILNS1_3genE9ELNS1_11target_archE1100ELNS1_3gpuE3ELNS1_3repE0EEENS1_30default_config_static_selectorELNS0_4arch9wavefront6targetE0EEEvT1_,"axG",@progbits,_ZN7rocprim17ROCPRIM_400000_NS6detail17trampoline_kernelINS0_14default_configENS1_25partition_config_selectorILNS1_17partition_subalgoE8ElNS0_10empty_typeEbEEZZNS1_14partition_implILS5_8ELb0ES3_jPlPS6_PKS6_NS0_5tupleIJS9_S6_EEENSD_IJSA_SA_EEENS0_18inequality_wrapperIZN2at6native12_GLOBAL__N_124unique_dim_cuda_templateIiEESt5tupleIJNSH_6TensorESM_SM_EERKSM_lbbbEUlllE0_EEPmJS6_EEE10hipError_tPvRmT3_T4_T5_T6_T7_T9_mT8_P12ihipStream_tbDpT10_ENKUlT_T0_E_clISt17integral_constantIbLb1EES1C_EEDaS17_S18_EUlS17_E_NS1_11comp_targetILNS1_3genE9ELNS1_11target_archE1100ELNS1_3gpuE3ELNS1_3repE0EEENS1_30default_config_static_selectorELNS0_4arch9wavefront6targetE0EEEvT1_,comdat
.Lfunc_end455:
	.size	_ZN7rocprim17ROCPRIM_400000_NS6detail17trampoline_kernelINS0_14default_configENS1_25partition_config_selectorILNS1_17partition_subalgoE8ElNS0_10empty_typeEbEEZZNS1_14partition_implILS5_8ELb0ES3_jPlPS6_PKS6_NS0_5tupleIJS9_S6_EEENSD_IJSA_SA_EEENS0_18inequality_wrapperIZN2at6native12_GLOBAL__N_124unique_dim_cuda_templateIiEESt5tupleIJNSH_6TensorESM_SM_EERKSM_lbbbEUlllE0_EEPmJS6_EEE10hipError_tPvRmT3_T4_T5_T6_T7_T9_mT8_P12ihipStream_tbDpT10_ENKUlT_T0_E_clISt17integral_constantIbLb1EES1C_EEDaS17_S18_EUlS17_E_NS1_11comp_targetILNS1_3genE9ELNS1_11target_archE1100ELNS1_3gpuE3ELNS1_3repE0EEENS1_30default_config_static_selectorELNS0_4arch9wavefront6targetE0EEEvT1_, .Lfunc_end455-_ZN7rocprim17ROCPRIM_400000_NS6detail17trampoline_kernelINS0_14default_configENS1_25partition_config_selectorILNS1_17partition_subalgoE8ElNS0_10empty_typeEbEEZZNS1_14partition_implILS5_8ELb0ES3_jPlPS6_PKS6_NS0_5tupleIJS9_S6_EEENSD_IJSA_SA_EEENS0_18inequality_wrapperIZN2at6native12_GLOBAL__N_124unique_dim_cuda_templateIiEESt5tupleIJNSH_6TensorESM_SM_EERKSM_lbbbEUlllE0_EEPmJS6_EEE10hipError_tPvRmT3_T4_T5_T6_T7_T9_mT8_P12ihipStream_tbDpT10_ENKUlT_T0_E_clISt17integral_constantIbLb1EES1C_EEDaS17_S18_EUlS17_E_NS1_11comp_targetILNS1_3genE9ELNS1_11target_archE1100ELNS1_3gpuE3ELNS1_3repE0EEENS1_30default_config_static_selectorELNS0_4arch9wavefront6targetE0EEEvT1_
                                        ; -- End function
	.section	.AMDGPU.csdata,"",@progbits
; Kernel info:
; codeLenInByte = 18520
; NumSgprs: 40
; NumVgprs: 52
; ScratchSize: 0
; MemoryBound: 0
; FloatMode: 240
; IeeeMode: 1
; LDSByteSize: 33804 bytes/workgroup (compile time only)
; SGPRBlocks: 4
; VGPRBlocks: 6
; NumSGPRsForWavesPerEU: 40
; NumVGPRsForWavesPerEU: 52
; Occupancy: 12
; WaveLimiterHint : 1
; COMPUTE_PGM_RSRC2:SCRATCH_EN: 0
; COMPUTE_PGM_RSRC2:USER_SGPR: 15
; COMPUTE_PGM_RSRC2:TRAP_HANDLER: 0
; COMPUTE_PGM_RSRC2:TGID_X_EN: 1
; COMPUTE_PGM_RSRC2:TGID_Y_EN: 0
; COMPUTE_PGM_RSRC2:TGID_Z_EN: 0
; COMPUTE_PGM_RSRC2:TIDIG_COMP_CNT: 0
	.section	.text._ZN7rocprim17ROCPRIM_400000_NS6detail17trampoline_kernelINS0_14default_configENS1_25partition_config_selectorILNS1_17partition_subalgoE8ElNS0_10empty_typeEbEEZZNS1_14partition_implILS5_8ELb0ES3_jPlPS6_PKS6_NS0_5tupleIJS9_S6_EEENSD_IJSA_SA_EEENS0_18inequality_wrapperIZN2at6native12_GLOBAL__N_124unique_dim_cuda_templateIiEESt5tupleIJNSH_6TensorESM_SM_EERKSM_lbbbEUlllE0_EEPmJS6_EEE10hipError_tPvRmT3_T4_T5_T6_T7_T9_mT8_P12ihipStream_tbDpT10_ENKUlT_T0_E_clISt17integral_constantIbLb1EES1C_EEDaS17_S18_EUlS17_E_NS1_11comp_targetILNS1_3genE8ELNS1_11target_archE1030ELNS1_3gpuE2ELNS1_3repE0EEENS1_30default_config_static_selectorELNS0_4arch9wavefront6targetE0EEEvT1_,"axG",@progbits,_ZN7rocprim17ROCPRIM_400000_NS6detail17trampoline_kernelINS0_14default_configENS1_25partition_config_selectorILNS1_17partition_subalgoE8ElNS0_10empty_typeEbEEZZNS1_14partition_implILS5_8ELb0ES3_jPlPS6_PKS6_NS0_5tupleIJS9_S6_EEENSD_IJSA_SA_EEENS0_18inequality_wrapperIZN2at6native12_GLOBAL__N_124unique_dim_cuda_templateIiEESt5tupleIJNSH_6TensorESM_SM_EERKSM_lbbbEUlllE0_EEPmJS6_EEE10hipError_tPvRmT3_T4_T5_T6_T7_T9_mT8_P12ihipStream_tbDpT10_ENKUlT_T0_E_clISt17integral_constantIbLb1EES1C_EEDaS17_S18_EUlS17_E_NS1_11comp_targetILNS1_3genE8ELNS1_11target_archE1030ELNS1_3gpuE2ELNS1_3repE0EEENS1_30default_config_static_selectorELNS0_4arch9wavefront6targetE0EEEvT1_,comdat
	.globl	_ZN7rocprim17ROCPRIM_400000_NS6detail17trampoline_kernelINS0_14default_configENS1_25partition_config_selectorILNS1_17partition_subalgoE8ElNS0_10empty_typeEbEEZZNS1_14partition_implILS5_8ELb0ES3_jPlPS6_PKS6_NS0_5tupleIJS9_S6_EEENSD_IJSA_SA_EEENS0_18inequality_wrapperIZN2at6native12_GLOBAL__N_124unique_dim_cuda_templateIiEESt5tupleIJNSH_6TensorESM_SM_EERKSM_lbbbEUlllE0_EEPmJS6_EEE10hipError_tPvRmT3_T4_T5_T6_T7_T9_mT8_P12ihipStream_tbDpT10_ENKUlT_T0_E_clISt17integral_constantIbLb1EES1C_EEDaS17_S18_EUlS17_E_NS1_11comp_targetILNS1_3genE8ELNS1_11target_archE1030ELNS1_3gpuE2ELNS1_3repE0EEENS1_30default_config_static_selectorELNS0_4arch9wavefront6targetE0EEEvT1_ ; -- Begin function _ZN7rocprim17ROCPRIM_400000_NS6detail17trampoline_kernelINS0_14default_configENS1_25partition_config_selectorILNS1_17partition_subalgoE8ElNS0_10empty_typeEbEEZZNS1_14partition_implILS5_8ELb0ES3_jPlPS6_PKS6_NS0_5tupleIJS9_S6_EEENSD_IJSA_SA_EEENS0_18inequality_wrapperIZN2at6native12_GLOBAL__N_124unique_dim_cuda_templateIiEESt5tupleIJNSH_6TensorESM_SM_EERKSM_lbbbEUlllE0_EEPmJS6_EEE10hipError_tPvRmT3_T4_T5_T6_T7_T9_mT8_P12ihipStream_tbDpT10_ENKUlT_T0_E_clISt17integral_constantIbLb1EES1C_EEDaS17_S18_EUlS17_E_NS1_11comp_targetILNS1_3genE8ELNS1_11target_archE1030ELNS1_3gpuE2ELNS1_3repE0EEENS1_30default_config_static_selectorELNS0_4arch9wavefront6targetE0EEEvT1_
	.p2align	8
	.type	_ZN7rocprim17ROCPRIM_400000_NS6detail17trampoline_kernelINS0_14default_configENS1_25partition_config_selectorILNS1_17partition_subalgoE8ElNS0_10empty_typeEbEEZZNS1_14partition_implILS5_8ELb0ES3_jPlPS6_PKS6_NS0_5tupleIJS9_S6_EEENSD_IJSA_SA_EEENS0_18inequality_wrapperIZN2at6native12_GLOBAL__N_124unique_dim_cuda_templateIiEESt5tupleIJNSH_6TensorESM_SM_EERKSM_lbbbEUlllE0_EEPmJS6_EEE10hipError_tPvRmT3_T4_T5_T6_T7_T9_mT8_P12ihipStream_tbDpT10_ENKUlT_T0_E_clISt17integral_constantIbLb1EES1C_EEDaS17_S18_EUlS17_E_NS1_11comp_targetILNS1_3genE8ELNS1_11target_archE1030ELNS1_3gpuE2ELNS1_3repE0EEENS1_30default_config_static_selectorELNS0_4arch9wavefront6targetE0EEEvT1_,@function
_ZN7rocprim17ROCPRIM_400000_NS6detail17trampoline_kernelINS0_14default_configENS1_25partition_config_selectorILNS1_17partition_subalgoE8ElNS0_10empty_typeEbEEZZNS1_14partition_implILS5_8ELb0ES3_jPlPS6_PKS6_NS0_5tupleIJS9_S6_EEENSD_IJSA_SA_EEENS0_18inequality_wrapperIZN2at6native12_GLOBAL__N_124unique_dim_cuda_templateIiEESt5tupleIJNSH_6TensorESM_SM_EERKSM_lbbbEUlllE0_EEPmJS6_EEE10hipError_tPvRmT3_T4_T5_T6_T7_T9_mT8_P12ihipStream_tbDpT10_ENKUlT_T0_E_clISt17integral_constantIbLb1EES1C_EEDaS17_S18_EUlS17_E_NS1_11comp_targetILNS1_3genE8ELNS1_11target_archE1030ELNS1_3gpuE2ELNS1_3repE0EEENS1_30default_config_static_selectorELNS0_4arch9wavefront6targetE0EEEvT1_: ; @_ZN7rocprim17ROCPRIM_400000_NS6detail17trampoline_kernelINS0_14default_configENS1_25partition_config_selectorILNS1_17partition_subalgoE8ElNS0_10empty_typeEbEEZZNS1_14partition_implILS5_8ELb0ES3_jPlPS6_PKS6_NS0_5tupleIJS9_S6_EEENSD_IJSA_SA_EEENS0_18inequality_wrapperIZN2at6native12_GLOBAL__N_124unique_dim_cuda_templateIiEESt5tupleIJNSH_6TensorESM_SM_EERKSM_lbbbEUlllE0_EEPmJS6_EEE10hipError_tPvRmT3_T4_T5_T6_T7_T9_mT8_P12ihipStream_tbDpT10_ENKUlT_T0_E_clISt17integral_constantIbLb1EES1C_EEDaS17_S18_EUlS17_E_NS1_11comp_targetILNS1_3genE8ELNS1_11target_archE1030ELNS1_3gpuE2ELNS1_3repE0EEENS1_30default_config_static_selectorELNS0_4arch9wavefront6targetE0EEEvT1_
; %bb.0:
	.section	.rodata,"a",@progbits
	.p2align	6, 0x0
	.amdhsa_kernel _ZN7rocprim17ROCPRIM_400000_NS6detail17trampoline_kernelINS0_14default_configENS1_25partition_config_selectorILNS1_17partition_subalgoE8ElNS0_10empty_typeEbEEZZNS1_14partition_implILS5_8ELb0ES3_jPlPS6_PKS6_NS0_5tupleIJS9_S6_EEENSD_IJSA_SA_EEENS0_18inequality_wrapperIZN2at6native12_GLOBAL__N_124unique_dim_cuda_templateIiEESt5tupleIJNSH_6TensorESM_SM_EERKSM_lbbbEUlllE0_EEPmJS6_EEE10hipError_tPvRmT3_T4_T5_T6_T7_T9_mT8_P12ihipStream_tbDpT10_ENKUlT_T0_E_clISt17integral_constantIbLb1EES1C_EEDaS17_S18_EUlS17_E_NS1_11comp_targetILNS1_3genE8ELNS1_11target_archE1030ELNS1_3gpuE2ELNS1_3repE0EEENS1_30default_config_static_selectorELNS0_4arch9wavefront6targetE0EEEvT1_
		.amdhsa_group_segment_fixed_size 0
		.amdhsa_private_segment_fixed_size 0
		.amdhsa_kernarg_size 136
		.amdhsa_user_sgpr_count 15
		.amdhsa_user_sgpr_dispatch_ptr 0
		.amdhsa_user_sgpr_queue_ptr 0
		.amdhsa_user_sgpr_kernarg_segment_ptr 1
		.amdhsa_user_sgpr_dispatch_id 0
		.amdhsa_user_sgpr_private_segment_size 0
		.amdhsa_wavefront_size32 1
		.amdhsa_uses_dynamic_stack 0
		.amdhsa_enable_private_segment 0
		.amdhsa_system_sgpr_workgroup_id_x 1
		.amdhsa_system_sgpr_workgroup_id_y 0
		.amdhsa_system_sgpr_workgroup_id_z 0
		.amdhsa_system_sgpr_workgroup_info 0
		.amdhsa_system_vgpr_workitem_id 0
		.amdhsa_next_free_vgpr 1
		.amdhsa_next_free_sgpr 1
		.amdhsa_reserve_vcc 0
		.amdhsa_float_round_mode_32 0
		.amdhsa_float_round_mode_16_64 0
		.amdhsa_float_denorm_mode_32 3
		.amdhsa_float_denorm_mode_16_64 3
		.amdhsa_dx10_clamp 1
		.amdhsa_ieee_mode 1
		.amdhsa_fp16_overflow 0
		.amdhsa_workgroup_processor_mode 1
		.amdhsa_memory_ordered 1
		.amdhsa_forward_progress 0
		.amdhsa_shared_vgpr_count 0
		.amdhsa_exception_fp_ieee_invalid_op 0
		.amdhsa_exception_fp_denorm_src 0
		.amdhsa_exception_fp_ieee_div_zero 0
		.amdhsa_exception_fp_ieee_overflow 0
		.amdhsa_exception_fp_ieee_underflow 0
		.amdhsa_exception_fp_ieee_inexact 0
		.amdhsa_exception_int_div_zero 0
	.end_amdhsa_kernel
	.section	.text._ZN7rocprim17ROCPRIM_400000_NS6detail17trampoline_kernelINS0_14default_configENS1_25partition_config_selectorILNS1_17partition_subalgoE8ElNS0_10empty_typeEbEEZZNS1_14partition_implILS5_8ELb0ES3_jPlPS6_PKS6_NS0_5tupleIJS9_S6_EEENSD_IJSA_SA_EEENS0_18inequality_wrapperIZN2at6native12_GLOBAL__N_124unique_dim_cuda_templateIiEESt5tupleIJNSH_6TensorESM_SM_EERKSM_lbbbEUlllE0_EEPmJS6_EEE10hipError_tPvRmT3_T4_T5_T6_T7_T9_mT8_P12ihipStream_tbDpT10_ENKUlT_T0_E_clISt17integral_constantIbLb1EES1C_EEDaS17_S18_EUlS17_E_NS1_11comp_targetILNS1_3genE8ELNS1_11target_archE1030ELNS1_3gpuE2ELNS1_3repE0EEENS1_30default_config_static_selectorELNS0_4arch9wavefront6targetE0EEEvT1_,"axG",@progbits,_ZN7rocprim17ROCPRIM_400000_NS6detail17trampoline_kernelINS0_14default_configENS1_25partition_config_selectorILNS1_17partition_subalgoE8ElNS0_10empty_typeEbEEZZNS1_14partition_implILS5_8ELb0ES3_jPlPS6_PKS6_NS0_5tupleIJS9_S6_EEENSD_IJSA_SA_EEENS0_18inequality_wrapperIZN2at6native12_GLOBAL__N_124unique_dim_cuda_templateIiEESt5tupleIJNSH_6TensorESM_SM_EERKSM_lbbbEUlllE0_EEPmJS6_EEE10hipError_tPvRmT3_T4_T5_T6_T7_T9_mT8_P12ihipStream_tbDpT10_ENKUlT_T0_E_clISt17integral_constantIbLb1EES1C_EEDaS17_S18_EUlS17_E_NS1_11comp_targetILNS1_3genE8ELNS1_11target_archE1030ELNS1_3gpuE2ELNS1_3repE0EEENS1_30default_config_static_selectorELNS0_4arch9wavefront6targetE0EEEvT1_,comdat
.Lfunc_end456:
	.size	_ZN7rocprim17ROCPRIM_400000_NS6detail17trampoline_kernelINS0_14default_configENS1_25partition_config_selectorILNS1_17partition_subalgoE8ElNS0_10empty_typeEbEEZZNS1_14partition_implILS5_8ELb0ES3_jPlPS6_PKS6_NS0_5tupleIJS9_S6_EEENSD_IJSA_SA_EEENS0_18inequality_wrapperIZN2at6native12_GLOBAL__N_124unique_dim_cuda_templateIiEESt5tupleIJNSH_6TensorESM_SM_EERKSM_lbbbEUlllE0_EEPmJS6_EEE10hipError_tPvRmT3_T4_T5_T6_T7_T9_mT8_P12ihipStream_tbDpT10_ENKUlT_T0_E_clISt17integral_constantIbLb1EES1C_EEDaS17_S18_EUlS17_E_NS1_11comp_targetILNS1_3genE8ELNS1_11target_archE1030ELNS1_3gpuE2ELNS1_3repE0EEENS1_30default_config_static_selectorELNS0_4arch9wavefront6targetE0EEEvT1_, .Lfunc_end456-_ZN7rocprim17ROCPRIM_400000_NS6detail17trampoline_kernelINS0_14default_configENS1_25partition_config_selectorILNS1_17partition_subalgoE8ElNS0_10empty_typeEbEEZZNS1_14partition_implILS5_8ELb0ES3_jPlPS6_PKS6_NS0_5tupleIJS9_S6_EEENSD_IJSA_SA_EEENS0_18inequality_wrapperIZN2at6native12_GLOBAL__N_124unique_dim_cuda_templateIiEESt5tupleIJNSH_6TensorESM_SM_EERKSM_lbbbEUlllE0_EEPmJS6_EEE10hipError_tPvRmT3_T4_T5_T6_T7_T9_mT8_P12ihipStream_tbDpT10_ENKUlT_T0_E_clISt17integral_constantIbLb1EES1C_EEDaS17_S18_EUlS17_E_NS1_11comp_targetILNS1_3genE8ELNS1_11target_archE1030ELNS1_3gpuE2ELNS1_3repE0EEENS1_30default_config_static_selectorELNS0_4arch9wavefront6targetE0EEEvT1_
                                        ; -- End function
	.section	.AMDGPU.csdata,"",@progbits
; Kernel info:
; codeLenInByte = 0
; NumSgprs: 0
; NumVgprs: 0
; ScratchSize: 0
; MemoryBound: 0
; FloatMode: 240
; IeeeMode: 1
; LDSByteSize: 0 bytes/workgroup (compile time only)
; SGPRBlocks: 0
; VGPRBlocks: 0
; NumSGPRsForWavesPerEU: 1
; NumVGPRsForWavesPerEU: 1
; Occupancy: 16
; WaveLimiterHint : 0
; COMPUTE_PGM_RSRC2:SCRATCH_EN: 0
; COMPUTE_PGM_RSRC2:USER_SGPR: 15
; COMPUTE_PGM_RSRC2:TRAP_HANDLER: 0
; COMPUTE_PGM_RSRC2:TGID_X_EN: 1
; COMPUTE_PGM_RSRC2:TGID_Y_EN: 0
; COMPUTE_PGM_RSRC2:TGID_Z_EN: 0
; COMPUTE_PGM_RSRC2:TIDIG_COMP_CNT: 0
	.section	.text._ZN7rocprim17ROCPRIM_400000_NS6detail17trampoline_kernelINS0_14default_configENS1_25partition_config_selectorILNS1_17partition_subalgoE8ElNS0_10empty_typeEbEEZZNS1_14partition_implILS5_8ELb0ES3_jPlPS6_PKS6_NS0_5tupleIJS9_S6_EEENSD_IJSA_SA_EEENS0_18inequality_wrapperIZN2at6native12_GLOBAL__N_124unique_dim_cuda_templateIiEESt5tupleIJNSH_6TensorESM_SM_EERKSM_lbbbEUlllE0_EEPmJS6_EEE10hipError_tPvRmT3_T4_T5_T6_T7_T9_mT8_P12ihipStream_tbDpT10_ENKUlT_T0_E_clISt17integral_constantIbLb1EES1B_IbLb0EEEEDaS17_S18_EUlS17_E_NS1_11comp_targetILNS1_3genE0ELNS1_11target_archE4294967295ELNS1_3gpuE0ELNS1_3repE0EEENS1_30default_config_static_selectorELNS0_4arch9wavefront6targetE0EEEvT1_,"axG",@progbits,_ZN7rocprim17ROCPRIM_400000_NS6detail17trampoline_kernelINS0_14default_configENS1_25partition_config_selectorILNS1_17partition_subalgoE8ElNS0_10empty_typeEbEEZZNS1_14partition_implILS5_8ELb0ES3_jPlPS6_PKS6_NS0_5tupleIJS9_S6_EEENSD_IJSA_SA_EEENS0_18inequality_wrapperIZN2at6native12_GLOBAL__N_124unique_dim_cuda_templateIiEESt5tupleIJNSH_6TensorESM_SM_EERKSM_lbbbEUlllE0_EEPmJS6_EEE10hipError_tPvRmT3_T4_T5_T6_T7_T9_mT8_P12ihipStream_tbDpT10_ENKUlT_T0_E_clISt17integral_constantIbLb1EES1B_IbLb0EEEEDaS17_S18_EUlS17_E_NS1_11comp_targetILNS1_3genE0ELNS1_11target_archE4294967295ELNS1_3gpuE0ELNS1_3repE0EEENS1_30default_config_static_selectorELNS0_4arch9wavefront6targetE0EEEvT1_,comdat
	.globl	_ZN7rocprim17ROCPRIM_400000_NS6detail17trampoline_kernelINS0_14default_configENS1_25partition_config_selectorILNS1_17partition_subalgoE8ElNS0_10empty_typeEbEEZZNS1_14partition_implILS5_8ELb0ES3_jPlPS6_PKS6_NS0_5tupleIJS9_S6_EEENSD_IJSA_SA_EEENS0_18inequality_wrapperIZN2at6native12_GLOBAL__N_124unique_dim_cuda_templateIiEESt5tupleIJNSH_6TensorESM_SM_EERKSM_lbbbEUlllE0_EEPmJS6_EEE10hipError_tPvRmT3_T4_T5_T6_T7_T9_mT8_P12ihipStream_tbDpT10_ENKUlT_T0_E_clISt17integral_constantIbLb1EES1B_IbLb0EEEEDaS17_S18_EUlS17_E_NS1_11comp_targetILNS1_3genE0ELNS1_11target_archE4294967295ELNS1_3gpuE0ELNS1_3repE0EEENS1_30default_config_static_selectorELNS0_4arch9wavefront6targetE0EEEvT1_ ; -- Begin function _ZN7rocprim17ROCPRIM_400000_NS6detail17trampoline_kernelINS0_14default_configENS1_25partition_config_selectorILNS1_17partition_subalgoE8ElNS0_10empty_typeEbEEZZNS1_14partition_implILS5_8ELb0ES3_jPlPS6_PKS6_NS0_5tupleIJS9_S6_EEENSD_IJSA_SA_EEENS0_18inequality_wrapperIZN2at6native12_GLOBAL__N_124unique_dim_cuda_templateIiEESt5tupleIJNSH_6TensorESM_SM_EERKSM_lbbbEUlllE0_EEPmJS6_EEE10hipError_tPvRmT3_T4_T5_T6_T7_T9_mT8_P12ihipStream_tbDpT10_ENKUlT_T0_E_clISt17integral_constantIbLb1EES1B_IbLb0EEEEDaS17_S18_EUlS17_E_NS1_11comp_targetILNS1_3genE0ELNS1_11target_archE4294967295ELNS1_3gpuE0ELNS1_3repE0EEENS1_30default_config_static_selectorELNS0_4arch9wavefront6targetE0EEEvT1_
	.p2align	8
	.type	_ZN7rocprim17ROCPRIM_400000_NS6detail17trampoline_kernelINS0_14default_configENS1_25partition_config_selectorILNS1_17partition_subalgoE8ElNS0_10empty_typeEbEEZZNS1_14partition_implILS5_8ELb0ES3_jPlPS6_PKS6_NS0_5tupleIJS9_S6_EEENSD_IJSA_SA_EEENS0_18inequality_wrapperIZN2at6native12_GLOBAL__N_124unique_dim_cuda_templateIiEESt5tupleIJNSH_6TensorESM_SM_EERKSM_lbbbEUlllE0_EEPmJS6_EEE10hipError_tPvRmT3_T4_T5_T6_T7_T9_mT8_P12ihipStream_tbDpT10_ENKUlT_T0_E_clISt17integral_constantIbLb1EES1B_IbLb0EEEEDaS17_S18_EUlS17_E_NS1_11comp_targetILNS1_3genE0ELNS1_11target_archE4294967295ELNS1_3gpuE0ELNS1_3repE0EEENS1_30default_config_static_selectorELNS0_4arch9wavefront6targetE0EEEvT1_,@function
_ZN7rocprim17ROCPRIM_400000_NS6detail17trampoline_kernelINS0_14default_configENS1_25partition_config_selectorILNS1_17partition_subalgoE8ElNS0_10empty_typeEbEEZZNS1_14partition_implILS5_8ELb0ES3_jPlPS6_PKS6_NS0_5tupleIJS9_S6_EEENSD_IJSA_SA_EEENS0_18inequality_wrapperIZN2at6native12_GLOBAL__N_124unique_dim_cuda_templateIiEESt5tupleIJNSH_6TensorESM_SM_EERKSM_lbbbEUlllE0_EEPmJS6_EEE10hipError_tPvRmT3_T4_T5_T6_T7_T9_mT8_P12ihipStream_tbDpT10_ENKUlT_T0_E_clISt17integral_constantIbLb1EES1B_IbLb0EEEEDaS17_S18_EUlS17_E_NS1_11comp_targetILNS1_3genE0ELNS1_11target_archE4294967295ELNS1_3gpuE0ELNS1_3repE0EEENS1_30default_config_static_selectorELNS0_4arch9wavefront6targetE0EEEvT1_: ; @_ZN7rocprim17ROCPRIM_400000_NS6detail17trampoline_kernelINS0_14default_configENS1_25partition_config_selectorILNS1_17partition_subalgoE8ElNS0_10empty_typeEbEEZZNS1_14partition_implILS5_8ELb0ES3_jPlPS6_PKS6_NS0_5tupleIJS9_S6_EEENSD_IJSA_SA_EEENS0_18inequality_wrapperIZN2at6native12_GLOBAL__N_124unique_dim_cuda_templateIiEESt5tupleIJNSH_6TensorESM_SM_EERKSM_lbbbEUlllE0_EEPmJS6_EEE10hipError_tPvRmT3_T4_T5_T6_T7_T9_mT8_P12ihipStream_tbDpT10_ENKUlT_T0_E_clISt17integral_constantIbLb1EES1B_IbLb0EEEEDaS17_S18_EUlS17_E_NS1_11comp_targetILNS1_3genE0ELNS1_11target_archE4294967295ELNS1_3gpuE0ELNS1_3repE0EEENS1_30default_config_static_selectorELNS0_4arch9wavefront6targetE0EEEvT1_
; %bb.0:
	.section	.rodata,"a",@progbits
	.p2align	6, 0x0
	.amdhsa_kernel _ZN7rocprim17ROCPRIM_400000_NS6detail17trampoline_kernelINS0_14default_configENS1_25partition_config_selectorILNS1_17partition_subalgoE8ElNS0_10empty_typeEbEEZZNS1_14partition_implILS5_8ELb0ES3_jPlPS6_PKS6_NS0_5tupleIJS9_S6_EEENSD_IJSA_SA_EEENS0_18inequality_wrapperIZN2at6native12_GLOBAL__N_124unique_dim_cuda_templateIiEESt5tupleIJNSH_6TensorESM_SM_EERKSM_lbbbEUlllE0_EEPmJS6_EEE10hipError_tPvRmT3_T4_T5_T6_T7_T9_mT8_P12ihipStream_tbDpT10_ENKUlT_T0_E_clISt17integral_constantIbLb1EES1B_IbLb0EEEEDaS17_S18_EUlS17_E_NS1_11comp_targetILNS1_3genE0ELNS1_11target_archE4294967295ELNS1_3gpuE0ELNS1_3repE0EEENS1_30default_config_static_selectorELNS0_4arch9wavefront6targetE0EEEvT1_
		.amdhsa_group_segment_fixed_size 0
		.amdhsa_private_segment_fixed_size 0
		.amdhsa_kernarg_size 120
		.amdhsa_user_sgpr_count 15
		.amdhsa_user_sgpr_dispatch_ptr 0
		.amdhsa_user_sgpr_queue_ptr 0
		.amdhsa_user_sgpr_kernarg_segment_ptr 1
		.amdhsa_user_sgpr_dispatch_id 0
		.amdhsa_user_sgpr_private_segment_size 0
		.amdhsa_wavefront_size32 1
		.amdhsa_uses_dynamic_stack 0
		.amdhsa_enable_private_segment 0
		.amdhsa_system_sgpr_workgroup_id_x 1
		.amdhsa_system_sgpr_workgroup_id_y 0
		.amdhsa_system_sgpr_workgroup_id_z 0
		.amdhsa_system_sgpr_workgroup_info 0
		.amdhsa_system_vgpr_workitem_id 0
		.amdhsa_next_free_vgpr 1
		.amdhsa_next_free_sgpr 1
		.amdhsa_reserve_vcc 0
		.amdhsa_float_round_mode_32 0
		.amdhsa_float_round_mode_16_64 0
		.amdhsa_float_denorm_mode_32 3
		.amdhsa_float_denorm_mode_16_64 3
		.amdhsa_dx10_clamp 1
		.amdhsa_ieee_mode 1
		.amdhsa_fp16_overflow 0
		.amdhsa_workgroup_processor_mode 1
		.amdhsa_memory_ordered 1
		.amdhsa_forward_progress 0
		.amdhsa_shared_vgpr_count 0
		.amdhsa_exception_fp_ieee_invalid_op 0
		.amdhsa_exception_fp_denorm_src 0
		.amdhsa_exception_fp_ieee_div_zero 0
		.amdhsa_exception_fp_ieee_overflow 0
		.amdhsa_exception_fp_ieee_underflow 0
		.amdhsa_exception_fp_ieee_inexact 0
		.amdhsa_exception_int_div_zero 0
	.end_amdhsa_kernel
	.section	.text._ZN7rocprim17ROCPRIM_400000_NS6detail17trampoline_kernelINS0_14default_configENS1_25partition_config_selectorILNS1_17partition_subalgoE8ElNS0_10empty_typeEbEEZZNS1_14partition_implILS5_8ELb0ES3_jPlPS6_PKS6_NS0_5tupleIJS9_S6_EEENSD_IJSA_SA_EEENS0_18inequality_wrapperIZN2at6native12_GLOBAL__N_124unique_dim_cuda_templateIiEESt5tupleIJNSH_6TensorESM_SM_EERKSM_lbbbEUlllE0_EEPmJS6_EEE10hipError_tPvRmT3_T4_T5_T6_T7_T9_mT8_P12ihipStream_tbDpT10_ENKUlT_T0_E_clISt17integral_constantIbLb1EES1B_IbLb0EEEEDaS17_S18_EUlS17_E_NS1_11comp_targetILNS1_3genE0ELNS1_11target_archE4294967295ELNS1_3gpuE0ELNS1_3repE0EEENS1_30default_config_static_selectorELNS0_4arch9wavefront6targetE0EEEvT1_,"axG",@progbits,_ZN7rocprim17ROCPRIM_400000_NS6detail17trampoline_kernelINS0_14default_configENS1_25partition_config_selectorILNS1_17partition_subalgoE8ElNS0_10empty_typeEbEEZZNS1_14partition_implILS5_8ELb0ES3_jPlPS6_PKS6_NS0_5tupleIJS9_S6_EEENSD_IJSA_SA_EEENS0_18inequality_wrapperIZN2at6native12_GLOBAL__N_124unique_dim_cuda_templateIiEESt5tupleIJNSH_6TensorESM_SM_EERKSM_lbbbEUlllE0_EEPmJS6_EEE10hipError_tPvRmT3_T4_T5_T6_T7_T9_mT8_P12ihipStream_tbDpT10_ENKUlT_T0_E_clISt17integral_constantIbLb1EES1B_IbLb0EEEEDaS17_S18_EUlS17_E_NS1_11comp_targetILNS1_3genE0ELNS1_11target_archE4294967295ELNS1_3gpuE0ELNS1_3repE0EEENS1_30default_config_static_selectorELNS0_4arch9wavefront6targetE0EEEvT1_,comdat
.Lfunc_end457:
	.size	_ZN7rocprim17ROCPRIM_400000_NS6detail17trampoline_kernelINS0_14default_configENS1_25partition_config_selectorILNS1_17partition_subalgoE8ElNS0_10empty_typeEbEEZZNS1_14partition_implILS5_8ELb0ES3_jPlPS6_PKS6_NS0_5tupleIJS9_S6_EEENSD_IJSA_SA_EEENS0_18inequality_wrapperIZN2at6native12_GLOBAL__N_124unique_dim_cuda_templateIiEESt5tupleIJNSH_6TensorESM_SM_EERKSM_lbbbEUlllE0_EEPmJS6_EEE10hipError_tPvRmT3_T4_T5_T6_T7_T9_mT8_P12ihipStream_tbDpT10_ENKUlT_T0_E_clISt17integral_constantIbLb1EES1B_IbLb0EEEEDaS17_S18_EUlS17_E_NS1_11comp_targetILNS1_3genE0ELNS1_11target_archE4294967295ELNS1_3gpuE0ELNS1_3repE0EEENS1_30default_config_static_selectorELNS0_4arch9wavefront6targetE0EEEvT1_, .Lfunc_end457-_ZN7rocprim17ROCPRIM_400000_NS6detail17trampoline_kernelINS0_14default_configENS1_25partition_config_selectorILNS1_17partition_subalgoE8ElNS0_10empty_typeEbEEZZNS1_14partition_implILS5_8ELb0ES3_jPlPS6_PKS6_NS0_5tupleIJS9_S6_EEENSD_IJSA_SA_EEENS0_18inequality_wrapperIZN2at6native12_GLOBAL__N_124unique_dim_cuda_templateIiEESt5tupleIJNSH_6TensorESM_SM_EERKSM_lbbbEUlllE0_EEPmJS6_EEE10hipError_tPvRmT3_T4_T5_T6_T7_T9_mT8_P12ihipStream_tbDpT10_ENKUlT_T0_E_clISt17integral_constantIbLb1EES1B_IbLb0EEEEDaS17_S18_EUlS17_E_NS1_11comp_targetILNS1_3genE0ELNS1_11target_archE4294967295ELNS1_3gpuE0ELNS1_3repE0EEENS1_30default_config_static_selectorELNS0_4arch9wavefront6targetE0EEEvT1_
                                        ; -- End function
	.section	.AMDGPU.csdata,"",@progbits
; Kernel info:
; codeLenInByte = 0
; NumSgprs: 0
; NumVgprs: 0
; ScratchSize: 0
; MemoryBound: 0
; FloatMode: 240
; IeeeMode: 1
; LDSByteSize: 0 bytes/workgroup (compile time only)
; SGPRBlocks: 0
; VGPRBlocks: 0
; NumSGPRsForWavesPerEU: 1
; NumVGPRsForWavesPerEU: 1
; Occupancy: 16
; WaveLimiterHint : 0
; COMPUTE_PGM_RSRC2:SCRATCH_EN: 0
; COMPUTE_PGM_RSRC2:USER_SGPR: 15
; COMPUTE_PGM_RSRC2:TRAP_HANDLER: 0
; COMPUTE_PGM_RSRC2:TGID_X_EN: 1
; COMPUTE_PGM_RSRC2:TGID_Y_EN: 0
; COMPUTE_PGM_RSRC2:TGID_Z_EN: 0
; COMPUTE_PGM_RSRC2:TIDIG_COMP_CNT: 0
	.section	.text._ZN7rocprim17ROCPRIM_400000_NS6detail17trampoline_kernelINS0_14default_configENS1_25partition_config_selectorILNS1_17partition_subalgoE8ElNS0_10empty_typeEbEEZZNS1_14partition_implILS5_8ELb0ES3_jPlPS6_PKS6_NS0_5tupleIJS9_S6_EEENSD_IJSA_SA_EEENS0_18inequality_wrapperIZN2at6native12_GLOBAL__N_124unique_dim_cuda_templateIiEESt5tupleIJNSH_6TensorESM_SM_EERKSM_lbbbEUlllE0_EEPmJS6_EEE10hipError_tPvRmT3_T4_T5_T6_T7_T9_mT8_P12ihipStream_tbDpT10_ENKUlT_T0_E_clISt17integral_constantIbLb1EES1B_IbLb0EEEEDaS17_S18_EUlS17_E_NS1_11comp_targetILNS1_3genE5ELNS1_11target_archE942ELNS1_3gpuE9ELNS1_3repE0EEENS1_30default_config_static_selectorELNS0_4arch9wavefront6targetE0EEEvT1_,"axG",@progbits,_ZN7rocprim17ROCPRIM_400000_NS6detail17trampoline_kernelINS0_14default_configENS1_25partition_config_selectorILNS1_17partition_subalgoE8ElNS0_10empty_typeEbEEZZNS1_14partition_implILS5_8ELb0ES3_jPlPS6_PKS6_NS0_5tupleIJS9_S6_EEENSD_IJSA_SA_EEENS0_18inequality_wrapperIZN2at6native12_GLOBAL__N_124unique_dim_cuda_templateIiEESt5tupleIJNSH_6TensorESM_SM_EERKSM_lbbbEUlllE0_EEPmJS6_EEE10hipError_tPvRmT3_T4_T5_T6_T7_T9_mT8_P12ihipStream_tbDpT10_ENKUlT_T0_E_clISt17integral_constantIbLb1EES1B_IbLb0EEEEDaS17_S18_EUlS17_E_NS1_11comp_targetILNS1_3genE5ELNS1_11target_archE942ELNS1_3gpuE9ELNS1_3repE0EEENS1_30default_config_static_selectorELNS0_4arch9wavefront6targetE0EEEvT1_,comdat
	.globl	_ZN7rocprim17ROCPRIM_400000_NS6detail17trampoline_kernelINS0_14default_configENS1_25partition_config_selectorILNS1_17partition_subalgoE8ElNS0_10empty_typeEbEEZZNS1_14partition_implILS5_8ELb0ES3_jPlPS6_PKS6_NS0_5tupleIJS9_S6_EEENSD_IJSA_SA_EEENS0_18inequality_wrapperIZN2at6native12_GLOBAL__N_124unique_dim_cuda_templateIiEESt5tupleIJNSH_6TensorESM_SM_EERKSM_lbbbEUlllE0_EEPmJS6_EEE10hipError_tPvRmT3_T4_T5_T6_T7_T9_mT8_P12ihipStream_tbDpT10_ENKUlT_T0_E_clISt17integral_constantIbLb1EES1B_IbLb0EEEEDaS17_S18_EUlS17_E_NS1_11comp_targetILNS1_3genE5ELNS1_11target_archE942ELNS1_3gpuE9ELNS1_3repE0EEENS1_30default_config_static_selectorELNS0_4arch9wavefront6targetE0EEEvT1_ ; -- Begin function _ZN7rocprim17ROCPRIM_400000_NS6detail17trampoline_kernelINS0_14default_configENS1_25partition_config_selectorILNS1_17partition_subalgoE8ElNS0_10empty_typeEbEEZZNS1_14partition_implILS5_8ELb0ES3_jPlPS6_PKS6_NS0_5tupleIJS9_S6_EEENSD_IJSA_SA_EEENS0_18inequality_wrapperIZN2at6native12_GLOBAL__N_124unique_dim_cuda_templateIiEESt5tupleIJNSH_6TensorESM_SM_EERKSM_lbbbEUlllE0_EEPmJS6_EEE10hipError_tPvRmT3_T4_T5_T6_T7_T9_mT8_P12ihipStream_tbDpT10_ENKUlT_T0_E_clISt17integral_constantIbLb1EES1B_IbLb0EEEEDaS17_S18_EUlS17_E_NS1_11comp_targetILNS1_3genE5ELNS1_11target_archE942ELNS1_3gpuE9ELNS1_3repE0EEENS1_30default_config_static_selectorELNS0_4arch9wavefront6targetE0EEEvT1_
	.p2align	8
	.type	_ZN7rocprim17ROCPRIM_400000_NS6detail17trampoline_kernelINS0_14default_configENS1_25partition_config_selectorILNS1_17partition_subalgoE8ElNS0_10empty_typeEbEEZZNS1_14partition_implILS5_8ELb0ES3_jPlPS6_PKS6_NS0_5tupleIJS9_S6_EEENSD_IJSA_SA_EEENS0_18inequality_wrapperIZN2at6native12_GLOBAL__N_124unique_dim_cuda_templateIiEESt5tupleIJNSH_6TensorESM_SM_EERKSM_lbbbEUlllE0_EEPmJS6_EEE10hipError_tPvRmT3_T4_T5_T6_T7_T9_mT8_P12ihipStream_tbDpT10_ENKUlT_T0_E_clISt17integral_constantIbLb1EES1B_IbLb0EEEEDaS17_S18_EUlS17_E_NS1_11comp_targetILNS1_3genE5ELNS1_11target_archE942ELNS1_3gpuE9ELNS1_3repE0EEENS1_30default_config_static_selectorELNS0_4arch9wavefront6targetE0EEEvT1_,@function
_ZN7rocprim17ROCPRIM_400000_NS6detail17trampoline_kernelINS0_14default_configENS1_25partition_config_selectorILNS1_17partition_subalgoE8ElNS0_10empty_typeEbEEZZNS1_14partition_implILS5_8ELb0ES3_jPlPS6_PKS6_NS0_5tupleIJS9_S6_EEENSD_IJSA_SA_EEENS0_18inequality_wrapperIZN2at6native12_GLOBAL__N_124unique_dim_cuda_templateIiEESt5tupleIJNSH_6TensorESM_SM_EERKSM_lbbbEUlllE0_EEPmJS6_EEE10hipError_tPvRmT3_T4_T5_T6_T7_T9_mT8_P12ihipStream_tbDpT10_ENKUlT_T0_E_clISt17integral_constantIbLb1EES1B_IbLb0EEEEDaS17_S18_EUlS17_E_NS1_11comp_targetILNS1_3genE5ELNS1_11target_archE942ELNS1_3gpuE9ELNS1_3repE0EEENS1_30default_config_static_selectorELNS0_4arch9wavefront6targetE0EEEvT1_: ; @_ZN7rocprim17ROCPRIM_400000_NS6detail17trampoline_kernelINS0_14default_configENS1_25partition_config_selectorILNS1_17partition_subalgoE8ElNS0_10empty_typeEbEEZZNS1_14partition_implILS5_8ELb0ES3_jPlPS6_PKS6_NS0_5tupleIJS9_S6_EEENSD_IJSA_SA_EEENS0_18inequality_wrapperIZN2at6native12_GLOBAL__N_124unique_dim_cuda_templateIiEESt5tupleIJNSH_6TensorESM_SM_EERKSM_lbbbEUlllE0_EEPmJS6_EEE10hipError_tPvRmT3_T4_T5_T6_T7_T9_mT8_P12ihipStream_tbDpT10_ENKUlT_T0_E_clISt17integral_constantIbLb1EES1B_IbLb0EEEEDaS17_S18_EUlS17_E_NS1_11comp_targetILNS1_3genE5ELNS1_11target_archE942ELNS1_3gpuE9ELNS1_3repE0EEENS1_30default_config_static_selectorELNS0_4arch9wavefront6targetE0EEEvT1_
; %bb.0:
	.section	.rodata,"a",@progbits
	.p2align	6, 0x0
	.amdhsa_kernel _ZN7rocprim17ROCPRIM_400000_NS6detail17trampoline_kernelINS0_14default_configENS1_25partition_config_selectorILNS1_17partition_subalgoE8ElNS0_10empty_typeEbEEZZNS1_14partition_implILS5_8ELb0ES3_jPlPS6_PKS6_NS0_5tupleIJS9_S6_EEENSD_IJSA_SA_EEENS0_18inequality_wrapperIZN2at6native12_GLOBAL__N_124unique_dim_cuda_templateIiEESt5tupleIJNSH_6TensorESM_SM_EERKSM_lbbbEUlllE0_EEPmJS6_EEE10hipError_tPvRmT3_T4_T5_T6_T7_T9_mT8_P12ihipStream_tbDpT10_ENKUlT_T0_E_clISt17integral_constantIbLb1EES1B_IbLb0EEEEDaS17_S18_EUlS17_E_NS1_11comp_targetILNS1_3genE5ELNS1_11target_archE942ELNS1_3gpuE9ELNS1_3repE0EEENS1_30default_config_static_selectorELNS0_4arch9wavefront6targetE0EEEvT1_
		.amdhsa_group_segment_fixed_size 0
		.amdhsa_private_segment_fixed_size 0
		.amdhsa_kernarg_size 120
		.amdhsa_user_sgpr_count 15
		.amdhsa_user_sgpr_dispatch_ptr 0
		.amdhsa_user_sgpr_queue_ptr 0
		.amdhsa_user_sgpr_kernarg_segment_ptr 1
		.amdhsa_user_sgpr_dispatch_id 0
		.amdhsa_user_sgpr_private_segment_size 0
		.amdhsa_wavefront_size32 1
		.amdhsa_uses_dynamic_stack 0
		.amdhsa_enable_private_segment 0
		.amdhsa_system_sgpr_workgroup_id_x 1
		.amdhsa_system_sgpr_workgroup_id_y 0
		.amdhsa_system_sgpr_workgroup_id_z 0
		.amdhsa_system_sgpr_workgroup_info 0
		.amdhsa_system_vgpr_workitem_id 0
		.amdhsa_next_free_vgpr 1
		.amdhsa_next_free_sgpr 1
		.amdhsa_reserve_vcc 0
		.amdhsa_float_round_mode_32 0
		.amdhsa_float_round_mode_16_64 0
		.amdhsa_float_denorm_mode_32 3
		.amdhsa_float_denorm_mode_16_64 3
		.amdhsa_dx10_clamp 1
		.amdhsa_ieee_mode 1
		.amdhsa_fp16_overflow 0
		.amdhsa_workgroup_processor_mode 1
		.amdhsa_memory_ordered 1
		.amdhsa_forward_progress 0
		.amdhsa_shared_vgpr_count 0
		.amdhsa_exception_fp_ieee_invalid_op 0
		.amdhsa_exception_fp_denorm_src 0
		.amdhsa_exception_fp_ieee_div_zero 0
		.amdhsa_exception_fp_ieee_overflow 0
		.amdhsa_exception_fp_ieee_underflow 0
		.amdhsa_exception_fp_ieee_inexact 0
		.amdhsa_exception_int_div_zero 0
	.end_amdhsa_kernel
	.section	.text._ZN7rocprim17ROCPRIM_400000_NS6detail17trampoline_kernelINS0_14default_configENS1_25partition_config_selectorILNS1_17partition_subalgoE8ElNS0_10empty_typeEbEEZZNS1_14partition_implILS5_8ELb0ES3_jPlPS6_PKS6_NS0_5tupleIJS9_S6_EEENSD_IJSA_SA_EEENS0_18inequality_wrapperIZN2at6native12_GLOBAL__N_124unique_dim_cuda_templateIiEESt5tupleIJNSH_6TensorESM_SM_EERKSM_lbbbEUlllE0_EEPmJS6_EEE10hipError_tPvRmT3_T4_T5_T6_T7_T9_mT8_P12ihipStream_tbDpT10_ENKUlT_T0_E_clISt17integral_constantIbLb1EES1B_IbLb0EEEEDaS17_S18_EUlS17_E_NS1_11comp_targetILNS1_3genE5ELNS1_11target_archE942ELNS1_3gpuE9ELNS1_3repE0EEENS1_30default_config_static_selectorELNS0_4arch9wavefront6targetE0EEEvT1_,"axG",@progbits,_ZN7rocprim17ROCPRIM_400000_NS6detail17trampoline_kernelINS0_14default_configENS1_25partition_config_selectorILNS1_17partition_subalgoE8ElNS0_10empty_typeEbEEZZNS1_14partition_implILS5_8ELb0ES3_jPlPS6_PKS6_NS0_5tupleIJS9_S6_EEENSD_IJSA_SA_EEENS0_18inequality_wrapperIZN2at6native12_GLOBAL__N_124unique_dim_cuda_templateIiEESt5tupleIJNSH_6TensorESM_SM_EERKSM_lbbbEUlllE0_EEPmJS6_EEE10hipError_tPvRmT3_T4_T5_T6_T7_T9_mT8_P12ihipStream_tbDpT10_ENKUlT_T0_E_clISt17integral_constantIbLb1EES1B_IbLb0EEEEDaS17_S18_EUlS17_E_NS1_11comp_targetILNS1_3genE5ELNS1_11target_archE942ELNS1_3gpuE9ELNS1_3repE0EEENS1_30default_config_static_selectorELNS0_4arch9wavefront6targetE0EEEvT1_,comdat
.Lfunc_end458:
	.size	_ZN7rocprim17ROCPRIM_400000_NS6detail17trampoline_kernelINS0_14default_configENS1_25partition_config_selectorILNS1_17partition_subalgoE8ElNS0_10empty_typeEbEEZZNS1_14partition_implILS5_8ELb0ES3_jPlPS6_PKS6_NS0_5tupleIJS9_S6_EEENSD_IJSA_SA_EEENS0_18inequality_wrapperIZN2at6native12_GLOBAL__N_124unique_dim_cuda_templateIiEESt5tupleIJNSH_6TensorESM_SM_EERKSM_lbbbEUlllE0_EEPmJS6_EEE10hipError_tPvRmT3_T4_T5_T6_T7_T9_mT8_P12ihipStream_tbDpT10_ENKUlT_T0_E_clISt17integral_constantIbLb1EES1B_IbLb0EEEEDaS17_S18_EUlS17_E_NS1_11comp_targetILNS1_3genE5ELNS1_11target_archE942ELNS1_3gpuE9ELNS1_3repE0EEENS1_30default_config_static_selectorELNS0_4arch9wavefront6targetE0EEEvT1_, .Lfunc_end458-_ZN7rocprim17ROCPRIM_400000_NS6detail17trampoline_kernelINS0_14default_configENS1_25partition_config_selectorILNS1_17partition_subalgoE8ElNS0_10empty_typeEbEEZZNS1_14partition_implILS5_8ELb0ES3_jPlPS6_PKS6_NS0_5tupleIJS9_S6_EEENSD_IJSA_SA_EEENS0_18inequality_wrapperIZN2at6native12_GLOBAL__N_124unique_dim_cuda_templateIiEESt5tupleIJNSH_6TensorESM_SM_EERKSM_lbbbEUlllE0_EEPmJS6_EEE10hipError_tPvRmT3_T4_T5_T6_T7_T9_mT8_P12ihipStream_tbDpT10_ENKUlT_T0_E_clISt17integral_constantIbLb1EES1B_IbLb0EEEEDaS17_S18_EUlS17_E_NS1_11comp_targetILNS1_3genE5ELNS1_11target_archE942ELNS1_3gpuE9ELNS1_3repE0EEENS1_30default_config_static_selectorELNS0_4arch9wavefront6targetE0EEEvT1_
                                        ; -- End function
	.section	.AMDGPU.csdata,"",@progbits
; Kernel info:
; codeLenInByte = 0
; NumSgprs: 0
; NumVgprs: 0
; ScratchSize: 0
; MemoryBound: 0
; FloatMode: 240
; IeeeMode: 1
; LDSByteSize: 0 bytes/workgroup (compile time only)
; SGPRBlocks: 0
; VGPRBlocks: 0
; NumSGPRsForWavesPerEU: 1
; NumVGPRsForWavesPerEU: 1
; Occupancy: 16
; WaveLimiterHint : 0
; COMPUTE_PGM_RSRC2:SCRATCH_EN: 0
; COMPUTE_PGM_RSRC2:USER_SGPR: 15
; COMPUTE_PGM_RSRC2:TRAP_HANDLER: 0
; COMPUTE_PGM_RSRC2:TGID_X_EN: 1
; COMPUTE_PGM_RSRC2:TGID_Y_EN: 0
; COMPUTE_PGM_RSRC2:TGID_Z_EN: 0
; COMPUTE_PGM_RSRC2:TIDIG_COMP_CNT: 0
	.section	.text._ZN7rocprim17ROCPRIM_400000_NS6detail17trampoline_kernelINS0_14default_configENS1_25partition_config_selectorILNS1_17partition_subalgoE8ElNS0_10empty_typeEbEEZZNS1_14partition_implILS5_8ELb0ES3_jPlPS6_PKS6_NS0_5tupleIJS9_S6_EEENSD_IJSA_SA_EEENS0_18inequality_wrapperIZN2at6native12_GLOBAL__N_124unique_dim_cuda_templateIiEESt5tupleIJNSH_6TensorESM_SM_EERKSM_lbbbEUlllE0_EEPmJS6_EEE10hipError_tPvRmT3_T4_T5_T6_T7_T9_mT8_P12ihipStream_tbDpT10_ENKUlT_T0_E_clISt17integral_constantIbLb1EES1B_IbLb0EEEEDaS17_S18_EUlS17_E_NS1_11comp_targetILNS1_3genE4ELNS1_11target_archE910ELNS1_3gpuE8ELNS1_3repE0EEENS1_30default_config_static_selectorELNS0_4arch9wavefront6targetE0EEEvT1_,"axG",@progbits,_ZN7rocprim17ROCPRIM_400000_NS6detail17trampoline_kernelINS0_14default_configENS1_25partition_config_selectorILNS1_17partition_subalgoE8ElNS0_10empty_typeEbEEZZNS1_14partition_implILS5_8ELb0ES3_jPlPS6_PKS6_NS0_5tupleIJS9_S6_EEENSD_IJSA_SA_EEENS0_18inequality_wrapperIZN2at6native12_GLOBAL__N_124unique_dim_cuda_templateIiEESt5tupleIJNSH_6TensorESM_SM_EERKSM_lbbbEUlllE0_EEPmJS6_EEE10hipError_tPvRmT3_T4_T5_T6_T7_T9_mT8_P12ihipStream_tbDpT10_ENKUlT_T0_E_clISt17integral_constantIbLb1EES1B_IbLb0EEEEDaS17_S18_EUlS17_E_NS1_11comp_targetILNS1_3genE4ELNS1_11target_archE910ELNS1_3gpuE8ELNS1_3repE0EEENS1_30default_config_static_selectorELNS0_4arch9wavefront6targetE0EEEvT1_,comdat
	.globl	_ZN7rocprim17ROCPRIM_400000_NS6detail17trampoline_kernelINS0_14default_configENS1_25partition_config_selectorILNS1_17partition_subalgoE8ElNS0_10empty_typeEbEEZZNS1_14partition_implILS5_8ELb0ES3_jPlPS6_PKS6_NS0_5tupleIJS9_S6_EEENSD_IJSA_SA_EEENS0_18inequality_wrapperIZN2at6native12_GLOBAL__N_124unique_dim_cuda_templateIiEESt5tupleIJNSH_6TensorESM_SM_EERKSM_lbbbEUlllE0_EEPmJS6_EEE10hipError_tPvRmT3_T4_T5_T6_T7_T9_mT8_P12ihipStream_tbDpT10_ENKUlT_T0_E_clISt17integral_constantIbLb1EES1B_IbLb0EEEEDaS17_S18_EUlS17_E_NS1_11comp_targetILNS1_3genE4ELNS1_11target_archE910ELNS1_3gpuE8ELNS1_3repE0EEENS1_30default_config_static_selectorELNS0_4arch9wavefront6targetE0EEEvT1_ ; -- Begin function _ZN7rocprim17ROCPRIM_400000_NS6detail17trampoline_kernelINS0_14default_configENS1_25partition_config_selectorILNS1_17partition_subalgoE8ElNS0_10empty_typeEbEEZZNS1_14partition_implILS5_8ELb0ES3_jPlPS6_PKS6_NS0_5tupleIJS9_S6_EEENSD_IJSA_SA_EEENS0_18inequality_wrapperIZN2at6native12_GLOBAL__N_124unique_dim_cuda_templateIiEESt5tupleIJNSH_6TensorESM_SM_EERKSM_lbbbEUlllE0_EEPmJS6_EEE10hipError_tPvRmT3_T4_T5_T6_T7_T9_mT8_P12ihipStream_tbDpT10_ENKUlT_T0_E_clISt17integral_constantIbLb1EES1B_IbLb0EEEEDaS17_S18_EUlS17_E_NS1_11comp_targetILNS1_3genE4ELNS1_11target_archE910ELNS1_3gpuE8ELNS1_3repE0EEENS1_30default_config_static_selectorELNS0_4arch9wavefront6targetE0EEEvT1_
	.p2align	8
	.type	_ZN7rocprim17ROCPRIM_400000_NS6detail17trampoline_kernelINS0_14default_configENS1_25partition_config_selectorILNS1_17partition_subalgoE8ElNS0_10empty_typeEbEEZZNS1_14partition_implILS5_8ELb0ES3_jPlPS6_PKS6_NS0_5tupleIJS9_S6_EEENSD_IJSA_SA_EEENS0_18inequality_wrapperIZN2at6native12_GLOBAL__N_124unique_dim_cuda_templateIiEESt5tupleIJNSH_6TensorESM_SM_EERKSM_lbbbEUlllE0_EEPmJS6_EEE10hipError_tPvRmT3_T4_T5_T6_T7_T9_mT8_P12ihipStream_tbDpT10_ENKUlT_T0_E_clISt17integral_constantIbLb1EES1B_IbLb0EEEEDaS17_S18_EUlS17_E_NS1_11comp_targetILNS1_3genE4ELNS1_11target_archE910ELNS1_3gpuE8ELNS1_3repE0EEENS1_30default_config_static_selectorELNS0_4arch9wavefront6targetE0EEEvT1_,@function
_ZN7rocprim17ROCPRIM_400000_NS6detail17trampoline_kernelINS0_14default_configENS1_25partition_config_selectorILNS1_17partition_subalgoE8ElNS0_10empty_typeEbEEZZNS1_14partition_implILS5_8ELb0ES3_jPlPS6_PKS6_NS0_5tupleIJS9_S6_EEENSD_IJSA_SA_EEENS0_18inequality_wrapperIZN2at6native12_GLOBAL__N_124unique_dim_cuda_templateIiEESt5tupleIJNSH_6TensorESM_SM_EERKSM_lbbbEUlllE0_EEPmJS6_EEE10hipError_tPvRmT3_T4_T5_T6_T7_T9_mT8_P12ihipStream_tbDpT10_ENKUlT_T0_E_clISt17integral_constantIbLb1EES1B_IbLb0EEEEDaS17_S18_EUlS17_E_NS1_11comp_targetILNS1_3genE4ELNS1_11target_archE910ELNS1_3gpuE8ELNS1_3repE0EEENS1_30default_config_static_selectorELNS0_4arch9wavefront6targetE0EEEvT1_: ; @_ZN7rocprim17ROCPRIM_400000_NS6detail17trampoline_kernelINS0_14default_configENS1_25partition_config_selectorILNS1_17partition_subalgoE8ElNS0_10empty_typeEbEEZZNS1_14partition_implILS5_8ELb0ES3_jPlPS6_PKS6_NS0_5tupleIJS9_S6_EEENSD_IJSA_SA_EEENS0_18inequality_wrapperIZN2at6native12_GLOBAL__N_124unique_dim_cuda_templateIiEESt5tupleIJNSH_6TensorESM_SM_EERKSM_lbbbEUlllE0_EEPmJS6_EEE10hipError_tPvRmT3_T4_T5_T6_T7_T9_mT8_P12ihipStream_tbDpT10_ENKUlT_T0_E_clISt17integral_constantIbLb1EES1B_IbLb0EEEEDaS17_S18_EUlS17_E_NS1_11comp_targetILNS1_3genE4ELNS1_11target_archE910ELNS1_3gpuE8ELNS1_3repE0EEENS1_30default_config_static_selectorELNS0_4arch9wavefront6targetE0EEEvT1_
; %bb.0:
	.section	.rodata,"a",@progbits
	.p2align	6, 0x0
	.amdhsa_kernel _ZN7rocprim17ROCPRIM_400000_NS6detail17trampoline_kernelINS0_14default_configENS1_25partition_config_selectorILNS1_17partition_subalgoE8ElNS0_10empty_typeEbEEZZNS1_14partition_implILS5_8ELb0ES3_jPlPS6_PKS6_NS0_5tupleIJS9_S6_EEENSD_IJSA_SA_EEENS0_18inequality_wrapperIZN2at6native12_GLOBAL__N_124unique_dim_cuda_templateIiEESt5tupleIJNSH_6TensorESM_SM_EERKSM_lbbbEUlllE0_EEPmJS6_EEE10hipError_tPvRmT3_T4_T5_T6_T7_T9_mT8_P12ihipStream_tbDpT10_ENKUlT_T0_E_clISt17integral_constantIbLb1EES1B_IbLb0EEEEDaS17_S18_EUlS17_E_NS1_11comp_targetILNS1_3genE4ELNS1_11target_archE910ELNS1_3gpuE8ELNS1_3repE0EEENS1_30default_config_static_selectorELNS0_4arch9wavefront6targetE0EEEvT1_
		.amdhsa_group_segment_fixed_size 0
		.amdhsa_private_segment_fixed_size 0
		.amdhsa_kernarg_size 120
		.amdhsa_user_sgpr_count 15
		.amdhsa_user_sgpr_dispatch_ptr 0
		.amdhsa_user_sgpr_queue_ptr 0
		.amdhsa_user_sgpr_kernarg_segment_ptr 1
		.amdhsa_user_sgpr_dispatch_id 0
		.amdhsa_user_sgpr_private_segment_size 0
		.amdhsa_wavefront_size32 1
		.amdhsa_uses_dynamic_stack 0
		.amdhsa_enable_private_segment 0
		.amdhsa_system_sgpr_workgroup_id_x 1
		.amdhsa_system_sgpr_workgroup_id_y 0
		.amdhsa_system_sgpr_workgroup_id_z 0
		.amdhsa_system_sgpr_workgroup_info 0
		.amdhsa_system_vgpr_workitem_id 0
		.amdhsa_next_free_vgpr 1
		.amdhsa_next_free_sgpr 1
		.amdhsa_reserve_vcc 0
		.amdhsa_float_round_mode_32 0
		.amdhsa_float_round_mode_16_64 0
		.amdhsa_float_denorm_mode_32 3
		.amdhsa_float_denorm_mode_16_64 3
		.amdhsa_dx10_clamp 1
		.amdhsa_ieee_mode 1
		.amdhsa_fp16_overflow 0
		.amdhsa_workgroup_processor_mode 1
		.amdhsa_memory_ordered 1
		.amdhsa_forward_progress 0
		.amdhsa_shared_vgpr_count 0
		.amdhsa_exception_fp_ieee_invalid_op 0
		.amdhsa_exception_fp_denorm_src 0
		.amdhsa_exception_fp_ieee_div_zero 0
		.amdhsa_exception_fp_ieee_overflow 0
		.amdhsa_exception_fp_ieee_underflow 0
		.amdhsa_exception_fp_ieee_inexact 0
		.amdhsa_exception_int_div_zero 0
	.end_amdhsa_kernel
	.section	.text._ZN7rocprim17ROCPRIM_400000_NS6detail17trampoline_kernelINS0_14default_configENS1_25partition_config_selectorILNS1_17partition_subalgoE8ElNS0_10empty_typeEbEEZZNS1_14partition_implILS5_8ELb0ES3_jPlPS6_PKS6_NS0_5tupleIJS9_S6_EEENSD_IJSA_SA_EEENS0_18inequality_wrapperIZN2at6native12_GLOBAL__N_124unique_dim_cuda_templateIiEESt5tupleIJNSH_6TensorESM_SM_EERKSM_lbbbEUlllE0_EEPmJS6_EEE10hipError_tPvRmT3_T4_T5_T6_T7_T9_mT8_P12ihipStream_tbDpT10_ENKUlT_T0_E_clISt17integral_constantIbLb1EES1B_IbLb0EEEEDaS17_S18_EUlS17_E_NS1_11comp_targetILNS1_3genE4ELNS1_11target_archE910ELNS1_3gpuE8ELNS1_3repE0EEENS1_30default_config_static_selectorELNS0_4arch9wavefront6targetE0EEEvT1_,"axG",@progbits,_ZN7rocprim17ROCPRIM_400000_NS6detail17trampoline_kernelINS0_14default_configENS1_25partition_config_selectorILNS1_17partition_subalgoE8ElNS0_10empty_typeEbEEZZNS1_14partition_implILS5_8ELb0ES3_jPlPS6_PKS6_NS0_5tupleIJS9_S6_EEENSD_IJSA_SA_EEENS0_18inequality_wrapperIZN2at6native12_GLOBAL__N_124unique_dim_cuda_templateIiEESt5tupleIJNSH_6TensorESM_SM_EERKSM_lbbbEUlllE0_EEPmJS6_EEE10hipError_tPvRmT3_T4_T5_T6_T7_T9_mT8_P12ihipStream_tbDpT10_ENKUlT_T0_E_clISt17integral_constantIbLb1EES1B_IbLb0EEEEDaS17_S18_EUlS17_E_NS1_11comp_targetILNS1_3genE4ELNS1_11target_archE910ELNS1_3gpuE8ELNS1_3repE0EEENS1_30default_config_static_selectorELNS0_4arch9wavefront6targetE0EEEvT1_,comdat
.Lfunc_end459:
	.size	_ZN7rocprim17ROCPRIM_400000_NS6detail17trampoline_kernelINS0_14default_configENS1_25partition_config_selectorILNS1_17partition_subalgoE8ElNS0_10empty_typeEbEEZZNS1_14partition_implILS5_8ELb0ES3_jPlPS6_PKS6_NS0_5tupleIJS9_S6_EEENSD_IJSA_SA_EEENS0_18inequality_wrapperIZN2at6native12_GLOBAL__N_124unique_dim_cuda_templateIiEESt5tupleIJNSH_6TensorESM_SM_EERKSM_lbbbEUlllE0_EEPmJS6_EEE10hipError_tPvRmT3_T4_T5_T6_T7_T9_mT8_P12ihipStream_tbDpT10_ENKUlT_T0_E_clISt17integral_constantIbLb1EES1B_IbLb0EEEEDaS17_S18_EUlS17_E_NS1_11comp_targetILNS1_3genE4ELNS1_11target_archE910ELNS1_3gpuE8ELNS1_3repE0EEENS1_30default_config_static_selectorELNS0_4arch9wavefront6targetE0EEEvT1_, .Lfunc_end459-_ZN7rocprim17ROCPRIM_400000_NS6detail17trampoline_kernelINS0_14default_configENS1_25partition_config_selectorILNS1_17partition_subalgoE8ElNS0_10empty_typeEbEEZZNS1_14partition_implILS5_8ELb0ES3_jPlPS6_PKS6_NS0_5tupleIJS9_S6_EEENSD_IJSA_SA_EEENS0_18inequality_wrapperIZN2at6native12_GLOBAL__N_124unique_dim_cuda_templateIiEESt5tupleIJNSH_6TensorESM_SM_EERKSM_lbbbEUlllE0_EEPmJS6_EEE10hipError_tPvRmT3_T4_T5_T6_T7_T9_mT8_P12ihipStream_tbDpT10_ENKUlT_T0_E_clISt17integral_constantIbLb1EES1B_IbLb0EEEEDaS17_S18_EUlS17_E_NS1_11comp_targetILNS1_3genE4ELNS1_11target_archE910ELNS1_3gpuE8ELNS1_3repE0EEENS1_30default_config_static_selectorELNS0_4arch9wavefront6targetE0EEEvT1_
                                        ; -- End function
	.section	.AMDGPU.csdata,"",@progbits
; Kernel info:
; codeLenInByte = 0
; NumSgprs: 0
; NumVgprs: 0
; ScratchSize: 0
; MemoryBound: 0
; FloatMode: 240
; IeeeMode: 1
; LDSByteSize: 0 bytes/workgroup (compile time only)
; SGPRBlocks: 0
; VGPRBlocks: 0
; NumSGPRsForWavesPerEU: 1
; NumVGPRsForWavesPerEU: 1
; Occupancy: 16
; WaveLimiterHint : 0
; COMPUTE_PGM_RSRC2:SCRATCH_EN: 0
; COMPUTE_PGM_RSRC2:USER_SGPR: 15
; COMPUTE_PGM_RSRC2:TRAP_HANDLER: 0
; COMPUTE_PGM_RSRC2:TGID_X_EN: 1
; COMPUTE_PGM_RSRC2:TGID_Y_EN: 0
; COMPUTE_PGM_RSRC2:TGID_Z_EN: 0
; COMPUTE_PGM_RSRC2:TIDIG_COMP_CNT: 0
	.section	.text._ZN7rocprim17ROCPRIM_400000_NS6detail17trampoline_kernelINS0_14default_configENS1_25partition_config_selectorILNS1_17partition_subalgoE8ElNS0_10empty_typeEbEEZZNS1_14partition_implILS5_8ELb0ES3_jPlPS6_PKS6_NS0_5tupleIJS9_S6_EEENSD_IJSA_SA_EEENS0_18inequality_wrapperIZN2at6native12_GLOBAL__N_124unique_dim_cuda_templateIiEESt5tupleIJNSH_6TensorESM_SM_EERKSM_lbbbEUlllE0_EEPmJS6_EEE10hipError_tPvRmT3_T4_T5_T6_T7_T9_mT8_P12ihipStream_tbDpT10_ENKUlT_T0_E_clISt17integral_constantIbLb1EES1B_IbLb0EEEEDaS17_S18_EUlS17_E_NS1_11comp_targetILNS1_3genE3ELNS1_11target_archE908ELNS1_3gpuE7ELNS1_3repE0EEENS1_30default_config_static_selectorELNS0_4arch9wavefront6targetE0EEEvT1_,"axG",@progbits,_ZN7rocprim17ROCPRIM_400000_NS6detail17trampoline_kernelINS0_14default_configENS1_25partition_config_selectorILNS1_17partition_subalgoE8ElNS0_10empty_typeEbEEZZNS1_14partition_implILS5_8ELb0ES3_jPlPS6_PKS6_NS0_5tupleIJS9_S6_EEENSD_IJSA_SA_EEENS0_18inequality_wrapperIZN2at6native12_GLOBAL__N_124unique_dim_cuda_templateIiEESt5tupleIJNSH_6TensorESM_SM_EERKSM_lbbbEUlllE0_EEPmJS6_EEE10hipError_tPvRmT3_T4_T5_T6_T7_T9_mT8_P12ihipStream_tbDpT10_ENKUlT_T0_E_clISt17integral_constantIbLb1EES1B_IbLb0EEEEDaS17_S18_EUlS17_E_NS1_11comp_targetILNS1_3genE3ELNS1_11target_archE908ELNS1_3gpuE7ELNS1_3repE0EEENS1_30default_config_static_selectorELNS0_4arch9wavefront6targetE0EEEvT1_,comdat
	.globl	_ZN7rocprim17ROCPRIM_400000_NS6detail17trampoline_kernelINS0_14default_configENS1_25partition_config_selectorILNS1_17partition_subalgoE8ElNS0_10empty_typeEbEEZZNS1_14partition_implILS5_8ELb0ES3_jPlPS6_PKS6_NS0_5tupleIJS9_S6_EEENSD_IJSA_SA_EEENS0_18inequality_wrapperIZN2at6native12_GLOBAL__N_124unique_dim_cuda_templateIiEESt5tupleIJNSH_6TensorESM_SM_EERKSM_lbbbEUlllE0_EEPmJS6_EEE10hipError_tPvRmT3_T4_T5_T6_T7_T9_mT8_P12ihipStream_tbDpT10_ENKUlT_T0_E_clISt17integral_constantIbLb1EES1B_IbLb0EEEEDaS17_S18_EUlS17_E_NS1_11comp_targetILNS1_3genE3ELNS1_11target_archE908ELNS1_3gpuE7ELNS1_3repE0EEENS1_30default_config_static_selectorELNS0_4arch9wavefront6targetE0EEEvT1_ ; -- Begin function _ZN7rocprim17ROCPRIM_400000_NS6detail17trampoline_kernelINS0_14default_configENS1_25partition_config_selectorILNS1_17partition_subalgoE8ElNS0_10empty_typeEbEEZZNS1_14partition_implILS5_8ELb0ES3_jPlPS6_PKS6_NS0_5tupleIJS9_S6_EEENSD_IJSA_SA_EEENS0_18inequality_wrapperIZN2at6native12_GLOBAL__N_124unique_dim_cuda_templateIiEESt5tupleIJNSH_6TensorESM_SM_EERKSM_lbbbEUlllE0_EEPmJS6_EEE10hipError_tPvRmT3_T4_T5_T6_T7_T9_mT8_P12ihipStream_tbDpT10_ENKUlT_T0_E_clISt17integral_constantIbLb1EES1B_IbLb0EEEEDaS17_S18_EUlS17_E_NS1_11comp_targetILNS1_3genE3ELNS1_11target_archE908ELNS1_3gpuE7ELNS1_3repE0EEENS1_30default_config_static_selectorELNS0_4arch9wavefront6targetE0EEEvT1_
	.p2align	8
	.type	_ZN7rocprim17ROCPRIM_400000_NS6detail17trampoline_kernelINS0_14default_configENS1_25partition_config_selectorILNS1_17partition_subalgoE8ElNS0_10empty_typeEbEEZZNS1_14partition_implILS5_8ELb0ES3_jPlPS6_PKS6_NS0_5tupleIJS9_S6_EEENSD_IJSA_SA_EEENS0_18inequality_wrapperIZN2at6native12_GLOBAL__N_124unique_dim_cuda_templateIiEESt5tupleIJNSH_6TensorESM_SM_EERKSM_lbbbEUlllE0_EEPmJS6_EEE10hipError_tPvRmT3_T4_T5_T6_T7_T9_mT8_P12ihipStream_tbDpT10_ENKUlT_T0_E_clISt17integral_constantIbLb1EES1B_IbLb0EEEEDaS17_S18_EUlS17_E_NS1_11comp_targetILNS1_3genE3ELNS1_11target_archE908ELNS1_3gpuE7ELNS1_3repE0EEENS1_30default_config_static_selectorELNS0_4arch9wavefront6targetE0EEEvT1_,@function
_ZN7rocprim17ROCPRIM_400000_NS6detail17trampoline_kernelINS0_14default_configENS1_25partition_config_selectorILNS1_17partition_subalgoE8ElNS0_10empty_typeEbEEZZNS1_14partition_implILS5_8ELb0ES3_jPlPS6_PKS6_NS0_5tupleIJS9_S6_EEENSD_IJSA_SA_EEENS0_18inequality_wrapperIZN2at6native12_GLOBAL__N_124unique_dim_cuda_templateIiEESt5tupleIJNSH_6TensorESM_SM_EERKSM_lbbbEUlllE0_EEPmJS6_EEE10hipError_tPvRmT3_T4_T5_T6_T7_T9_mT8_P12ihipStream_tbDpT10_ENKUlT_T0_E_clISt17integral_constantIbLb1EES1B_IbLb0EEEEDaS17_S18_EUlS17_E_NS1_11comp_targetILNS1_3genE3ELNS1_11target_archE908ELNS1_3gpuE7ELNS1_3repE0EEENS1_30default_config_static_selectorELNS0_4arch9wavefront6targetE0EEEvT1_: ; @_ZN7rocprim17ROCPRIM_400000_NS6detail17trampoline_kernelINS0_14default_configENS1_25partition_config_selectorILNS1_17partition_subalgoE8ElNS0_10empty_typeEbEEZZNS1_14partition_implILS5_8ELb0ES3_jPlPS6_PKS6_NS0_5tupleIJS9_S6_EEENSD_IJSA_SA_EEENS0_18inequality_wrapperIZN2at6native12_GLOBAL__N_124unique_dim_cuda_templateIiEESt5tupleIJNSH_6TensorESM_SM_EERKSM_lbbbEUlllE0_EEPmJS6_EEE10hipError_tPvRmT3_T4_T5_T6_T7_T9_mT8_P12ihipStream_tbDpT10_ENKUlT_T0_E_clISt17integral_constantIbLb1EES1B_IbLb0EEEEDaS17_S18_EUlS17_E_NS1_11comp_targetILNS1_3genE3ELNS1_11target_archE908ELNS1_3gpuE7ELNS1_3repE0EEENS1_30default_config_static_selectorELNS0_4arch9wavefront6targetE0EEEvT1_
; %bb.0:
	.section	.rodata,"a",@progbits
	.p2align	6, 0x0
	.amdhsa_kernel _ZN7rocprim17ROCPRIM_400000_NS6detail17trampoline_kernelINS0_14default_configENS1_25partition_config_selectorILNS1_17partition_subalgoE8ElNS0_10empty_typeEbEEZZNS1_14partition_implILS5_8ELb0ES3_jPlPS6_PKS6_NS0_5tupleIJS9_S6_EEENSD_IJSA_SA_EEENS0_18inequality_wrapperIZN2at6native12_GLOBAL__N_124unique_dim_cuda_templateIiEESt5tupleIJNSH_6TensorESM_SM_EERKSM_lbbbEUlllE0_EEPmJS6_EEE10hipError_tPvRmT3_T4_T5_T6_T7_T9_mT8_P12ihipStream_tbDpT10_ENKUlT_T0_E_clISt17integral_constantIbLb1EES1B_IbLb0EEEEDaS17_S18_EUlS17_E_NS1_11comp_targetILNS1_3genE3ELNS1_11target_archE908ELNS1_3gpuE7ELNS1_3repE0EEENS1_30default_config_static_selectorELNS0_4arch9wavefront6targetE0EEEvT1_
		.amdhsa_group_segment_fixed_size 0
		.amdhsa_private_segment_fixed_size 0
		.amdhsa_kernarg_size 120
		.amdhsa_user_sgpr_count 15
		.amdhsa_user_sgpr_dispatch_ptr 0
		.amdhsa_user_sgpr_queue_ptr 0
		.amdhsa_user_sgpr_kernarg_segment_ptr 1
		.amdhsa_user_sgpr_dispatch_id 0
		.amdhsa_user_sgpr_private_segment_size 0
		.amdhsa_wavefront_size32 1
		.amdhsa_uses_dynamic_stack 0
		.amdhsa_enable_private_segment 0
		.amdhsa_system_sgpr_workgroup_id_x 1
		.amdhsa_system_sgpr_workgroup_id_y 0
		.amdhsa_system_sgpr_workgroup_id_z 0
		.amdhsa_system_sgpr_workgroup_info 0
		.amdhsa_system_vgpr_workitem_id 0
		.amdhsa_next_free_vgpr 1
		.amdhsa_next_free_sgpr 1
		.amdhsa_reserve_vcc 0
		.amdhsa_float_round_mode_32 0
		.amdhsa_float_round_mode_16_64 0
		.amdhsa_float_denorm_mode_32 3
		.amdhsa_float_denorm_mode_16_64 3
		.amdhsa_dx10_clamp 1
		.amdhsa_ieee_mode 1
		.amdhsa_fp16_overflow 0
		.amdhsa_workgroup_processor_mode 1
		.amdhsa_memory_ordered 1
		.amdhsa_forward_progress 0
		.amdhsa_shared_vgpr_count 0
		.amdhsa_exception_fp_ieee_invalid_op 0
		.amdhsa_exception_fp_denorm_src 0
		.amdhsa_exception_fp_ieee_div_zero 0
		.amdhsa_exception_fp_ieee_overflow 0
		.amdhsa_exception_fp_ieee_underflow 0
		.amdhsa_exception_fp_ieee_inexact 0
		.amdhsa_exception_int_div_zero 0
	.end_amdhsa_kernel
	.section	.text._ZN7rocprim17ROCPRIM_400000_NS6detail17trampoline_kernelINS0_14default_configENS1_25partition_config_selectorILNS1_17partition_subalgoE8ElNS0_10empty_typeEbEEZZNS1_14partition_implILS5_8ELb0ES3_jPlPS6_PKS6_NS0_5tupleIJS9_S6_EEENSD_IJSA_SA_EEENS0_18inequality_wrapperIZN2at6native12_GLOBAL__N_124unique_dim_cuda_templateIiEESt5tupleIJNSH_6TensorESM_SM_EERKSM_lbbbEUlllE0_EEPmJS6_EEE10hipError_tPvRmT3_T4_T5_T6_T7_T9_mT8_P12ihipStream_tbDpT10_ENKUlT_T0_E_clISt17integral_constantIbLb1EES1B_IbLb0EEEEDaS17_S18_EUlS17_E_NS1_11comp_targetILNS1_3genE3ELNS1_11target_archE908ELNS1_3gpuE7ELNS1_3repE0EEENS1_30default_config_static_selectorELNS0_4arch9wavefront6targetE0EEEvT1_,"axG",@progbits,_ZN7rocprim17ROCPRIM_400000_NS6detail17trampoline_kernelINS0_14default_configENS1_25partition_config_selectorILNS1_17partition_subalgoE8ElNS0_10empty_typeEbEEZZNS1_14partition_implILS5_8ELb0ES3_jPlPS6_PKS6_NS0_5tupleIJS9_S6_EEENSD_IJSA_SA_EEENS0_18inequality_wrapperIZN2at6native12_GLOBAL__N_124unique_dim_cuda_templateIiEESt5tupleIJNSH_6TensorESM_SM_EERKSM_lbbbEUlllE0_EEPmJS6_EEE10hipError_tPvRmT3_T4_T5_T6_T7_T9_mT8_P12ihipStream_tbDpT10_ENKUlT_T0_E_clISt17integral_constantIbLb1EES1B_IbLb0EEEEDaS17_S18_EUlS17_E_NS1_11comp_targetILNS1_3genE3ELNS1_11target_archE908ELNS1_3gpuE7ELNS1_3repE0EEENS1_30default_config_static_selectorELNS0_4arch9wavefront6targetE0EEEvT1_,comdat
.Lfunc_end460:
	.size	_ZN7rocprim17ROCPRIM_400000_NS6detail17trampoline_kernelINS0_14default_configENS1_25partition_config_selectorILNS1_17partition_subalgoE8ElNS0_10empty_typeEbEEZZNS1_14partition_implILS5_8ELb0ES3_jPlPS6_PKS6_NS0_5tupleIJS9_S6_EEENSD_IJSA_SA_EEENS0_18inequality_wrapperIZN2at6native12_GLOBAL__N_124unique_dim_cuda_templateIiEESt5tupleIJNSH_6TensorESM_SM_EERKSM_lbbbEUlllE0_EEPmJS6_EEE10hipError_tPvRmT3_T4_T5_T6_T7_T9_mT8_P12ihipStream_tbDpT10_ENKUlT_T0_E_clISt17integral_constantIbLb1EES1B_IbLb0EEEEDaS17_S18_EUlS17_E_NS1_11comp_targetILNS1_3genE3ELNS1_11target_archE908ELNS1_3gpuE7ELNS1_3repE0EEENS1_30default_config_static_selectorELNS0_4arch9wavefront6targetE0EEEvT1_, .Lfunc_end460-_ZN7rocprim17ROCPRIM_400000_NS6detail17trampoline_kernelINS0_14default_configENS1_25partition_config_selectorILNS1_17partition_subalgoE8ElNS0_10empty_typeEbEEZZNS1_14partition_implILS5_8ELb0ES3_jPlPS6_PKS6_NS0_5tupleIJS9_S6_EEENSD_IJSA_SA_EEENS0_18inequality_wrapperIZN2at6native12_GLOBAL__N_124unique_dim_cuda_templateIiEESt5tupleIJNSH_6TensorESM_SM_EERKSM_lbbbEUlllE0_EEPmJS6_EEE10hipError_tPvRmT3_T4_T5_T6_T7_T9_mT8_P12ihipStream_tbDpT10_ENKUlT_T0_E_clISt17integral_constantIbLb1EES1B_IbLb0EEEEDaS17_S18_EUlS17_E_NS1_11comp_targetILNS1_3genE3ELNS1_11target_archE908ELNS1_3gpuE7ELNS1_3repE0EEENS1_30default_config_static_selectorELNS0_4arch9wavefront6targetE0EEEvT1_
                                        ; -- End function
	.section	.AMDGPU.csdata,"",@progbits
; Kernel info:
; codeLenInByte = 0
; NumSgprs: 0
; NumVgprs: 0
; ScratchSize: 0
; MemoryBound: 0
; FloatMode: 240
; IeeeMode: 1
; LDSByteSize: 0 bytes/workgroup (compile time only)
; SGPRBlocks: 0
; VGPRBlocks: 0
; NumSGPRsForWavesPerEU: 1
; NumVGPRsForWavesPerEU: 1
; Occupancy: 16
; WaveLimiterHint : 0
; COMPUTE_PGM_RSRC2:SCRATCH_EN: 0
; COMPUTE_PGM_RSRC2:USER_SGPR: 15
; COMPUTE_PGM_RSRC2:TRAP_HANDLER: 0
; COMPUTE_PGM_RSRC2:TGID_X_EN: 1
; COMPUTE_PGM_RSRC2:TGID_Y_EN: 0
; COMPUTE_PGM_RSRC2:TGID_Z_EN: 0
; COMPUTE_PGM_RSRC2:TIDIG_COMP_CNT: 0
	.section	.text._ZN7rocprim17ROCPRIM_400000_NS6detail17trampoline_kernelINS0_14default_configENS1_25partition_config_selectorILNS1_17partition_subalgoE8ElNS0_10empty_typeEbEEZZNS1_14partition_implILS5_8ELb0ES3_jPlPS6_PKS6_NS0_5tupleIJS9_S6_EEENSD_IJSA_SA_EEENS0_18inequality_wrapperIZN2at6native12_GLOBAL__N_124unique_dim_cuda_templateIiEESt5tupleIJNSH_6TensorESM_SM_EERKSM_lbbbEUlllE0_EEPmJS6_EEE10hipError_tPvRmT3_T4_T5_T6_T7_T9_mT8_P12ihipStream_tbDpT10_ENKUlT_T0_E_clISt17integral_constantIbLb1EES1B_IbLb0EEEEDaS17_S18_EUlS17_E_NS1_11comp_targetILNS1_3genE2ELNS1_11target_archE906ELNS1_3gpuE6ELNS1_3repE0EEENS1_30default_config_static_selectorELNS0_4arch9wavefront6targetE0EEEvT1_,"axG",@progbits,_ZN7rocprim17ROCPRIM_400000_NS6detail17trampoline_kernelINS0_14default_configENS1_25partition_config_selectorILNS1_17partition_subalgoE8ElNS0_10empty_typeEbEEZZNS1_14partition_implILS5_8ELb0ES3_jPlPS6_PKS6_NS0_5tupleIJS9_S6_EEENSD_IJSA_SA_EEENS0_18inequality_wrapperIZN2at6native12_GLOBAL__N_124unique_dim_cuda_templateIiEESt5tupleIJNSH_6TensorESM_SM_EERKSM_lbbbEUlllE0_EEPmJS6_EEE10hipError_tPvRmT3_T4_T5_T6_T7_T9_mT8_P12ihipStream_tbDpT10_ENKUlT_T0_E_clISt17integral_constantIbLb1EES1B_IbLb0EEEEDaS17_S18_EUlS17_E_NS1_11comp_targetILNS1_3genE2ELNS1_11target_archE906ELNS1_3gpuE6ELNS1_3repE0EEENS1_30default_config_static_selectorELNS0_4arch9wavefront6targetE0EEEvT1_,comdat
	.globl	_ZN7rocprim17ROCPRIM_400000_NS6detail17trampoline_kernelINS0_14default_configENS1_25partition_config_selectorILNS1_17partition_subalgoE8ElNS0_10empty_typeEbEEZZNS1_14partition_implILS5_8ELb0ES3_jPlPS6_PKS6_NS0_5tupleIJS9_S6_EEENSD_IJSA_SA_EEENS0_18inequality_wrapperIZN2at6native12_GLOBAL__N_124unique_dim_cuda_templateIiEESt5tupleIJNSH_6TensorESM_SM_EERKSM_lbbbEUlllE0_EEPmJS6_EEE10hipError_tPvRmT3_T4_T5_T6_T7_T9_mT8_P12ihipStream_tbDpT10_ENKUlT_T0_E_clISt17integral_constantIbLb1EES1B_IbLb0EEEEDaS17_S18_EUlS17_E_NS1_11comp_targetILNS1_3genE2ELNS1_11target_archE906ELNS1_3gpuE6ELNS1_3repE0EEENS1_30default_config_static_selectorELNS0_4arch9wavefront6targetE0EEEvT1_ ; -- Begin function _ZN7rocprim17ROCPRIM_400000_NS6detail17trampoline_kernelINS0_14default_configENS1_25partition_config_selectorILNS1_17partition_subalgoE8ElNS0_10empty_typeEbEEZZNS1_14partition_implILS5_8ELb0ES3_jPlPS6_PKS6_NS0_5tupleIJS9_S6_EEENSD_IJSA_SA_EEENS0_18inequality_wrapperIZN2at6native12_GLOBAL__N_124unique_dim_cuda_templateIiEESt5tupleIJNSH_6TensorESM_SM_EERKSM_lbbbEUlllE0_EEPmJS6_EEE10hipError_tPvRmT3_T4_T5_T6_T7_T9_mT8_P12ihipStream_tbDpT10_ENKUlT_T0_E_clISt17integral_constantIbLb1EES1B_IbLb0EEEEDaS17_S18_EUlS17_E_NS1_11comp_targetILNS1_3genE2ELNS1_11target_archE906ELNS1_3gpuE6ELNS1_3repE0EEENS1_30default_config_static_selectorELNS0_4arch9wavefront6targetE0EEEvT1_
	.p2align	8
	.type	_ZN7rocprim17ROCPRIM_400000_NS6detail17trampoline_kernelINS0_14default_configENS1_25partition_config_selectorILNS1_17partition_subalgoE8ElNS0_10empty_typeEbEEZZNS1_14partition_implILS5_8ELb0ES3_jPlPS6_PKS6_NS0_5tupleIJS9_S6_EEENSD_IJSA_SA_EEENS0_18inequality_wrapperIZN2at6native12_GLOBAL__N_124unique_dim_cuda_templateIiEESt5tupleIJNSH_6TensorESM_SM_EERKSM_lbbbEUlllE0_EEPmJS6_EEE10hipError_tPvRmT3_T4_T5_T6_T7_T9_mT8_P12ihipStream_tbDpT10_ENKUlT_T0_E_clISt17integral_constantIbLb1EES1B_IbLb0EEEEDaS17_S18_EUlS17_E_NS1_11comp_targetILNS1_3genE2ELNS1_11target_archE906ELNS1_3gpuE6ELNS1_3repE0EEENS1_30default_config_static_selectorELNS0_4arch9wavefront6targetE0EEEvT1_,@function
_ZN7rocprim17ROCPRIM_400000_NS6detail17trampoline_kernelINS0_14default_configENS1_25partition_config_selectorILNS1_17partition_subalgoE8ElNS0_10empty_typeEbEEZZNS1_14partition_implILS5_8ELb0ES3_jPlPS6_PKS6_NS0_5tupleIJS9_S6_EEENSD_IJSA_SA_EEENS0_18inequality_wrapperIZN2at6native12_GLOBAL__N_124unique_dim_cuda_templateIiEESt5tupleIJNSH_6TensorESM_SM_EERKSM_lbbbEUlllE0_EEPmJS6_EEE10hipError_tPvRmT3_T4_T5_T6_T7_T9_mT8_P12ihipStream_tbDpT10_ENKUlT_T0_E_clISt17integral_constantIbLb1EES1B_IbLb0EEEEDaS17_S18_EUlS17_E_NS1_11comp_targetILNS1_3genE2ELNS1_11target_archE906ELNS1_3gpuE6ELNS1_3repE0EEENS1_30default_config_static_selectorELNS0_4arch9wavefront6targetE0EEEvT1_: ; @_ZN7rocprim17ROCPRIM_400000_NS6detail17trampoline_kernelINS0_14default_configENS1_25partition_config_selectorILNS1_17partition_subalgoE8ElNS0_10empty_typeEbEEZZNS1_14partition_implILS5_8ELb0ES3_jPlPS6_PKS6_NS0_5tupleIJS9_S6_EEENSD_IJSA_SA_EEENS0_18inequality_wrapperIZN2at6native12_GLOBAL__N_124unique_dim_cuda_templateIiEESt5tupleIJNSH_6TensorESM_SM_EERKSM_lbbbEUlllE0_EEPmJS6_EEE10hipError_tPvRmT3_T4_T5_T6_T7_T9_mT8_P12ihipStream_tbDpT10_ENKUlT_T0_E_clISt17integral_constantIbLb1EES1B_IbLb0EEEEDaS17_S18_EUlS17_E_NS1_11comp_targetILNS1_3genE2ELNS1_11target_archE906ELNS1_3gpuE6ELNS1_3repE0EEENS1_30default_config_static_selectorELNS0_4arch9wavefront6targetE0EEEvT1_
; %bb.0:
	.section	.rodata,"a",@progbits
	.p2align	6, 0x0
	.amdhsa_kernel _ZN7rocprim17ROCPRIM_400000_NS6detail17trampoline_kernelINS0_14default_configENS1_25partition_config_selectorILNS1_17partition_subalgoE8ElNS0_10empty_typeEbEEZZNS1_14partition_implILS5_8ELb0ES3_jPlPS6_PKS6_NS0_5tupleIJS9_S6_EEENSD_IJSA_SA_EEENS0_18inequality_wrapperIZN2at6native12_GLOBAL__N_124unique_dim_cuda_templateIiEESt5tupleIJNSH_6TensorESM_SM_EERKSM_lbbbEUlllE0_EEPmJS6_EEE10hipError_tPvRmT3_T4_T5_T6_T7_T9_mT8_P12ihipStream_tbDpT10_ENKUlT_T0_E_clISt17integral_constantIbLb1EES1B_IbLb0EEEEDaS17_S18_EUlS17_E_NS1_11comp_targetILNS1_3genE2ELNS1_11target_archE906ELNS1_3gpuE6ELNS1_3repE0EEENS1_30default_config_static_selectorELNS0_4arch9wavefront6targetE0EEEvT1_
		.amdhsa_group_segment_fixed_size 0
		.amdhsa_private_segment_fixed_size 0
		.amdhsa_kernarg_size 120
		.amdhsa_user_sgpr_count 15
		.amdhsa_user_sgpr_dispatch_ptr 0
		.amdhsa_user_sgpr_queue_ptr 0
		.amdhsa_user_sgpr_kernarg_segment_ptr 1
		.amdhsa_user_sgpr_dispatch_id 0
		.amdhsa_user_sgpr_private_segment_size 0
		.amdhsa_wavefront_size32 1
		.amdhsa_uses_dynamic_stack 0
		.amdhsa_enable_private_segment 0
		.amdhsa_system_sgpr_workgroup_id_x 1
		.amdhsa_system_sgpr_workgroup_id_y 0
		.amdhsa_system_sgpr_workgroup_id_z 0
		.amdhsa_system_sgpr_workgroup_info 0
		.amdhsa_system_vgpr_workitem_id 0
		.amdhsa_next_free_vgpr 1
		.amdhsa_next_free_sgpr 1
		.amdhsa_reserve_vcc 0
		.amdhsa_float_round_mode_32 0
		.amdhsa_float_round_mode_16_64 0
		.amdhsa_float_denorm_mode_32 3
		.amdhsa_float_denorm_mode_16_64 3
		.amdhsa_dx10_clamp 1
		.amdhsa_ieee_mode 1
		.amdhsa_fp16_overflow 0
		.amdhsa_workgroup_processor_mode 1
		.amdhsa_memory_ordered 1
		.amdhsa_forward_progress 0
		.amdhsa_shared_vgpr_count 0
		.amdhsa_exception_fp_ieee_invalid_op 0
		.amdhsa_exception_fp_denorm_src 0
		.amdhsa_exception_fp_ieee_div_zero 0
		.amdhsa_exception_fp_ieee_overflow 0
		.amdhsa_exception_fp_ieee_underflow 0
		.amdhsa_exception_fp_ieee_inexact 0
		.amdhsa_exception_int_div_zero 0
	.end_amdhsa_kernel
	.section	.text._ZN7rocprim17ROCPRIM_400000_NS6detail17trampoline_kernelINS0_14default_configENS1_25partition_config_selectorILNS1_17partition_subalgoE8ElNS0_10empty_typeEbEEZZNS1_14partition_implILS5_8ELb0ES3_jPlPS6_PKS6_NS0_5tupleIJS9_S6_EEENSD_IJSA_SA_EEENS0_18inequality_wrapperIZN2at6native12_GLOBAL__N_124unique_dim_cuda_templateIiEESt5tupleIJNSH_6TensorESM_SM_EERKSM_lbbbEUlllE0_EEPmJS6_EEE10hipError_tPvRmT3_T4_T5_T6_T7_T9_mT8_P12ihipStream_tbDpT10_ENKUlT_T0_E_clISt17integral_constantIbLb1EES1B_IbLb0EEEEDaS17_S18_EUlS17_E_NS1_11comp_targetILNS1_3genE2ELNS1_11target_archE906ELNS1_3gpuE6ELNS1_3repE0EEENS1_30default_config_static_selectorELNS0_4arch9wavefront6targetE0EEEvT1_,"axG",@progbits,_ZN7rocprim17ROCPRIM_400000_NS6detail17trampoline_kernelINS0_14default_configENS1_25partition_config_selectorILNS1_17partition_subalgoE8ElNS0_10empty_typeEbEEZZNS1_14partition_implILS5_8ELb0ES3_jPlPS6_PKS6_NS0_5tupleIJS9_S6_EEENSD_IJSA_SA_EEENS0_18inequality_wrapperIZN2at6native12_GLOBAL__N_124unique_dim_cuda_templateIiEESt5tupleIJNSH_6TensorESM_SM_EERKSM_lbbbEUlllE0_EEPmJS6_EEE10hipError_tPvRmT3_T4_T5_T6_T7_T9_mT8_P12ihipStream_tbDpT10_ENKUlT_T0_E_clISt17integral_constantIbLb1EES1B_IbLb0EEEEDaS17_S18_EUlS17_E_NS1_11comp_targetILNS1_3genE2ELNS1_11target_archE906ELNS1_3gpuE6ELNS1_3repE0EEENS1_30default_config_static_selectorELNS0_4arch9wavefront6targetE0EEEvT1_,comdat
.Lfunc_end461:
	.size	_ZN7rocprim17ROCPRIM_400000_NS6detail17trampoline_kernelINS0_14default_configENS1_25partition_config_selectorILNS1_17partition_subalgoE8ElNS0_10empty_typeEbEEZZNS1_14partition_implILS5_8ELb0ES3_jPlPS6_PKS6_NS0_5tupleIJS9_S6_EEENSD_IJSA_SA_EEENS0_18inequality_wrapperIZN2at6native12_GLOBAL__N_124unique_dim_cuda_templateIiEESt5tupleIJNSH_6TensorESM_SM_EERKSM_lbbbEUlllE0_EEPmJS6_EEE10hipError_tPvRmT3_T4_T5_T6_T7_T9_mT8_P12ihipStream_tbDpT10_ENKUlT_T0_E_clISt17integral_constantIbLb1EES1B_IbLb0EEEEDaS17_S18_EUlS17_E_NS1_11comp_targetILNS1_3genE2ELNS1_11target_archE906ELNS1_3gpuE6ELNS1_3repE0EEENS1_30default_config_static_selectorELNS0_4arch9wavefront6targetE0EEEvT1_, .Lfunc_end461-_ZN7rocprim17ROCPRIM_400000_NS6detail17trampoline_kernelINS0_14default_configENS1_25partition_config_selectorILNS1_17partition_subalgoE8ElNS0_10empty_typeEbEEZZNS1_14partition_implILS5_8ELb0ES3_jPlPS6_PKS6_NS0_5tupleIJS9_S6_EEENSD_IJSA_SA_EEENS0_18inequality_wrapperIZN2at6native12_GLOBAL__N_124unique_dim_cuda_templateIiEESt5tupleIJNSH_6TensorESM_SM_EERKSM_lbbbEUlllE0_EEPmJS6_EEE10hipError_tPvRmT3_T4_T5_T6_T7_T9_mT8_P12ihipStream_tbDpT10_ENKUlT_T0_E_clISt17integral_constantIbLb1EES1B_IbLb0EEEEDaS17_S18_EUlS17_E_NS1_11comp_targetILNS1_3genE2ELNS1_11target_archE906ELNS1_3gpuE6ELNS1_3repE0EEENS1_30default_config_static_selectorELNS0_4arch9wavefront6targetE0EEEvT1_
                                        ; -- End function
	.section	.AMDGPU.csdata,"",@progbits
; Kernel info:
; codeLenInByte = 0
; NumSgprs: 0
; NumVgprs: 0
; ScratchSize: 0
; MemoryBound: 0
; FloatMode: 240
; IeeeMode: 1
; LDSByteSize: 0 bytes/workgroup (compile time only)
; SGPRBlocks: 0
; VGPRBlocks: 0
; NumSGPRsForWavesPerEU: 1
; NumVGPRsForWavesPerEU: 1
; Occupancy: 16
; WaveLimiterHint : 0
; COMPUTE_PGM_RSRC2:SCRATCH_EN: 0
; COMPUTE_PGM_RSRC2:USER_SGPR: 15
; COMPUTE_PGM_RSRC2:TRAP_HANDLER: 0
; COMPUTE_PGM_RSRC2:TGID_X_EN: 1
; COMPUTE_PGM_RSRC2:TGID_Y_EN: 0
; COMPUTE_PGM_RSRC2:TGID_Z_EN: 0
; COMPUTE_PGM_RSRC2:TIDIG_COMP_CNT: 0
	.section	.text._ZN7rocprim17ROCPRIM_400000_NS6detail17trampoline_kernelINS0_14default_configENS1_25partition_config_selectorILNS1_17partition_subalgoE8ElNS0_10empty_typeEbEEZZNS1_14partition_implILS5_8ELb0ES3_jPlPS6_PKS6_NS0_5tupleIJS9_S6_EEENSD_IJSA_SA_EEENS0_18inequality_wrapperIZN2at6native12_GLOBAL__N_124unique_dim_cuda_templateIiEESt5tupleIJNSH_6TensorESM_SM_EERKSM_lbbbEUlllE0_EEPmJS6_EEE10hipError_tPvRmT3_T4_T5_T6_T7_T9_mT8_P12ihipStream_tbDpT10_ENKUlT_T0_E_clISt17integral_constantIbLb1EES1B_IbLb0EEEEDaS17_S18_EUlS17_E_NS1_11comp_targetILNS1_3genE10ELNS1_11target_archE1200ELNS1_3gpuE4ELNS1_3repE0EEENS1_30default_config_static_selectorELNS0_4arch9wavefront6targetE0EEEvT1_,"axG",@progbits,_ZN7rocprim17ROCPRIM_400000_NS6detail17trampoline_kernelINS0_14default_configENS1_25partition_config_selectorILNS1_17partition_subalgoE8ElNS0_10empty_typeEbEEZZNS1_14partition_implILS5_8ELb0ES3_jPlPS6_PKS6_NS0_5tupleIJS9_S6_EEENSD_IJSA_SA_EEENS0_18inequality_wrapperIZN2at6native12_GLOBAL__N_124unique_dim_cuda_templateIiEESt5tupleIJNSH_6TensorESM_SM_EERKSM_lbbbEUlllE0_EEPmJS6_EEE10hipError_tPvRmT3_T4_T5_T6_T7_T9_mT8_P12ihipStream_tbDpT10_ENKUlT_T0_E_clISt17integral_constantIbLb1EES1B_IbLb0EEEEDaS17_S18_EUlS17_E_NS1_11comp_targetILNS1_3genE10ELNS1_11target_archE1200ELNS1_3gpuE4ELNS1_3repE0EEENS1_30default_config_static_selectorELNS0_4arch9wavefront6targetE0EEEvT1_,comdat
	.globl	_ZN7rocprim17ROCPRIM_400000_NS6detail17trampoline_kernelINS0_14default_configENS1_25partition_config_selectorILNS1_17partition_subalgoE8ElNS0_10empty_typeEbEEZZNS1_14partition_implILS5_8ELb0ES3_jPlPS6_PKS6_NS0_5tupleIJS9_S6_EEENSD_IJSA_SA_EEENS0_18inequality_wrapperIZN2at6native12_GLOBAL__N_124unique_dim_cuda_templateIiEESt5tupleIJNSH_6TensorESM_SM_EERKSM_lbbbEUlllE0_EEPmJS6_EEE10hipError_tPvRmT3_T4_T5_T6_T7_T9_mT8_P12ihipStream_tbDpT10_ENKUlT_T0_E_clISt17integral_constantIbLb1EES1B_IbLb0EEEEDaS17_S18_EUlS17_E_NS1_11comp_targetILNS1_3genE10ELNS1_11target_archE1200ELNS1_3gpuE4ELNS1_3repE0EEENS1_30default_config_static_selectorELNS0_4arch9wavefront6targetE0EEEvT1_ ; -- Begin function _ZN7rocprim17ROCPRIM_400000_NS6detail17trampoline_kernelINS0_14default_configENS1_25partition_config_selectorILNS1_17partition_subalgoE8ElNS0_10empty_typeEbEEZZNS1_14partition_implILS5_8ELb0ES3_jPlPS6_PKS6_NS0_5tupleIJS9_S6_EEENSD_IJSA_SA_EEENS0_18inequality_wrapperIZN2at6native12_GLOBAL__N_124unique_dim_cuda_templateIiEESt5tupleIJNSH_6TensorESM_SM_EERKSM_lbbbEUlllE0_EEPmJS6_EEE10hipError_tPvRmT3_T4_T5_T6_T7_T9_mT8_P12ihipStream_tbDpT10_ENKUlT_T0_E_clISt17integral_constantIbLb1EES1B_IbLb0EEEEDaS17_S18_EUlS17_E_NS1_11comp_targetILNS1_3genE10ELNS1_11target_archE1200ELNS1_3gpuE4ELNS1_3repE0EEENS1_30default_config_static_selectorELNS0_4arch9wavefront6targetE0EEEvT1_
	.p2align	8
	.type	_ZN7rocprim17ROCPRIM_400000_NS6detail17trampoline_kernelINS0_14default_configENS1_25partition_config_selectorILNS1_17partition_subalgoE8ElNS0_10empty_typeEbEEZZNS1_14partition_implILS5_8ELb0ES3_jPlPS6_PKS6_NS0_5tupleIJS9_S6_EEENSD_IJSA_SA_EEENS0_18inequality_wrapperIZN2at6native12_GLOBAL__N_124unique_dim_cuda_templateIiEESt5tupleIJNSH_6TensorESM_SM_EERKSM_lbbbEUlllE0_EEPmJS6_EEE10hipError_tPvRmT3_T4_T5_T6_T7_T9_mT8_P12ihipStream_tbDpT10_ENKUlT_T0_E_clISt17integral_constantIbLb1EES1B_IbLb0EEEEDaS17_S18_EUlS17_E_NS1_11comp_targetILNS1_3genE10ELNS1_11target_archE1200ELNS1_3gpuE4ELNS1_3repE0EEENS1_30default_config_static_selectorELNS0_4arch9wavefront6targetE0EEEvT1_,@function
_ZN7rocprim17ROCPRIM_400000_NS6detail17trampoline_kernelINS0_14default_configENS1_25partition_config_selectorILNS1_17partition_subalgoE8ElNS0_10empty_typeEbEEZZNS1_14partition_implILS5_8ELb0ES3_jPlPS6_PKS6_NS0_5tupleIJS9_S6_EEENSD_IJSA_SA_EEENS0_18inequality_wrapperIZN2at6native12_GLOBAL__N_124unique_dim_cuda_templateIiEESt5tupleIJNSH_6TensorESM_SM_EERKSM_lbbbEUlllE0_EEPmJS6_EEE10hipError_tPvRmT3_T4_T5_T6_T7_T9_mT8_P12ihipStream_tbDpT10_ENKUlT_T0_E_clISt17integral_constantIbLb1EES1B_IbLb0EEEEDaS17_S18_EUlS17_E_NS1_11comp_targetILNS1_3genE10ELNS1_11target_archE1200ELNS1_3gpuE4ELNS1_3repE0EEENS1_30default_config_static_selectorELNS0_4arch9wavefront6targetE0EEEvT1_: ; @_ZN7rocprim17ROCPRIM_400000_NS6detail17trampoline_kernelINS0_14default_configENS1_25partition_config_selectorILNS1_17partition_subalgoE8ElNS0_10empty_typeEbEEZZNS1_14partition_implILS5_8ELb0ES3_jPlPS6_PKS6_NS0_5tupleIJS9_S6_EEENSD_IJSA_SA_EEENS0_18inequality_wrapperIZN2at6native12_GLOBAL__N_124unique_dim_cuda_templateIiEESt5tupleIJNSH_6TensorESM_SM_EERKSM_lbbbEUlllE0_EEPmJS6_EEE10hipError_tPvRmT3_T4_T5_T6_T7_T9_mT8_P12ihipStream_tbDpT10_ENKUlT_T0_E_clISt17integral_constantIbLb1EES1B_IbLb0EEEEDaS17_S18_EUlS17_E_NS1_11comp_targetILNS1_3genE10ELNS1_11target_archE1200ELNS1_3gpuE4ELNS1_3repE0EEENS1_30default_config_static_selectorELNS0_4arch9wavefront6targetE0EEEvT1_
; %bb.0:
	.section	.rodata,"a",@progbits
	.p2align	6, 0x0
	.amdhsa_kernel _ZN7rocprim17ROCPRIM_400000_NS6detail17trampoline_kernelINS0_14default_configENS1_25partition_config_selectorILNS1_17partition_subalgoE8ElNS0_10empty_typeEbEEZZNS1_14partition_implILS5_8ELb0ES3_jPlPS6_PKS6_NS0_5tupleIJS9_S6_EEENSD_IJSA_SA_EEENS0_18inequality_wrapperIZN2at6native12_GLOBAL__N_124unique_dim_cuda_templateIiEESt5tupleIJNSH_6TensorESM_SM_EERKSM_lbbbEUlllE0_EEPmJS6_EEE10hipError_tPvRmT3_T4_T5_T6_T7_T9_mT8_P12ihipStream_tbDpT10_ENKUlT_T0_E_clISt17integral_constantIbLb1EES1B_IbLb0EEEEDaS17_S18_EUlS17_E_NS1_11comp_targetILNS1_3genE10ELNS1_11target_archE1200ELNS1_3gpuE4ELNS1_3repE0EEENS1_30default_config_static_selectorELNS0_4arch9wavefront6targetE0EEEvT1_
		.amdhsa_group_segment_fixed_size 0
		.amdhsa_private_segment_fixed_size 0
		.amdhsa_kernarg_size 120
		.amdhsa_user_sgpr_count 15
		.amdhsa_user_sgpr_dispatch_ptr 0
		.amdhsa_user_sgpr_queue_ptr 0
		.amdhsa_user_sgpr_kernarg_segment_ptr 1
		.amdhsa_user_sgpr_dispatch_id 0
		.amdhsa_user_sgpr_private_segment_size 0
		.amdhsa_wavefront_size32 1
		.amdhsa_uses_dynamic_stack 0
		.amdhsa_enable_private_segment 0
		.amdhsa_system_sgpr_workgroup_id_x 1
		.amdhsa_system_sgpr_workgroup_id_y 0
		.amdhsa_system_sgpr_workgroup_id_z 0
		.amdhsa_system_sgpr_workgroup_info 0
		.amdhsa_system_vgpr_workitem_id 0
		.amdhsa_next_free_vgpr 1
		.amdhsa_next_free_sgpr 1
		.amdhsa_reserve_vcc 0
		.amdhsa_float_round_mode_32 0
		.amdhsa_float_round_mode_16_64 0
		.amdhsa_float_denorm_mode_32 3
		.amdhsa_float_denorm_mode_16_64 3
		.amdhsa_dx10_clamp 1
		.amdhsa_ieee_mode 1
		.amdhsa_fp16_overflow 0
		.amdhsa_workgroup_processor_mode 1
		.amdhsa_memory_ordered 1
		.amdhsa_forward_progress 0
		.amdhsa_shared_vgpr_count 0
		.amdhsa_exception_fp_ieee_invalid_op 0
		.amdhsa_exception_fp_denorm_src 0
		.amdhsa_exception_fp_ieee_div_zero 0
		.amdhsa_exception_fp_ieee_overflow 0
		.amdhsa_exception_fp_ieee_underflow 0
		.amdhsa_exception_fp_ieee_inexact 0
		.amdhsa_exception_int_div_zero 0
	.end_amdhsa_kernel
	.section	.text._ZN7rocprim17ROCPRIM_400000_NS6detail17trampoline_kernelINS0_14default_configENS1_25partition_config_selectorILNS1_17partition_subalgoE8ElNS0_10empty_typeEbEEZZNS1_14partition_implILS5_8ELb0ES3_jPlPS6_PKS6_NS0_5tupleIJS9_S6_EEENSD_IJSA_SA_EEENS0_18inequality_wrapperIZN2at6native12_GLOBAL__N_124unique_dim_cuda_templateIiEESt5tupleIJNSH_6TensorESM_SM_EERKSM_lbbbEUlllE0_EEPmJS6_EEE10hipError_tPvRmT3_T4_T5_T6_T7_T9_mT8_P12ihipStream_tbDpT10_ENKUlT_T0_E_clISt17integral_constantIbLb1EES1B_IbLb0EEEEDaS17_S18_EUlS17_E_NS1_11comp_targetILNS1_3genE10ELNS1_11target_archE1200ELNS1_3gpuE4ELNS1_3repE0EEENS1_30default_config_static_selectorELNS0_4arch9wavefront6targetE0EEEvT1_,"axG",@progbits,_ZN7rocprim17ROCPRIM_400000_NS6detail17trampoline_kernelINS0_14default_configENS1_25partition_config_selectorILNS1_17partition_subalgoE8ElNS0_10empty_typeEbEEZZNS1_14partition_implILS5_8ELb0ES3_jPlPS6_PKS6_NS0_5tupleIJS9_S6_EEENSD_IJSA_SA_EEENS0_18inequality_wrapperIZN2at6native12_GLOBAL__N_124unique_dim_cuda_templateIiEESt5tupleIJNSH_6TensorESM_SM_EERKSM_lbbbEUlllE0_EEPmJS6_EEE10hipError_tPvRmT3_T4_T5_T6_T7_T9_mT8_P12ihipStream_tbDpT10_ENKUlT_T0_E_clISt17integral_constantIbLb1EES1B_IbLb0EEEEDaS17_S18_EUlS17_E_NS1_11comp_targetILNS1_3genE10ELNS1_11target_archE1200ELNS1_3gpuE4ELNS1_3repE0EEENS1_30default_config_static_selectorELNS0_4arch9wavefront6targetE0EEEvT1_,comdat
.Lfunc_end462:
	.size	_ZN7rocprim17ROCPRIM_400000_NS6detail17trampoline_kernelINS0_14default_configENS1_25partition_config_selectorILNS1_17partition_subalgoE8ElNS0_10empty_typeEbEEZZNS1_14partition_implILS5_8ELb0ES3_jPlPS6_PKS6_NS0_5tupleIJS9_S6_EEENSD_IJSA_SA_EEENS0_18inequality_wrapperIZN2at6native12_GLOBAL__N_124unique_dim_cuda_templateIiEESt5tupleIJNSH_6TensorESM_SM_EERKSM_lbbbEUlllE0_EEPmJS6_EEE10hipError_tPvRmT3_T4_T5_T6_T7_T9_mT8_P12ihipStream_tbDpT10_ENKUlT_T0_E_clISt17integral_constantIbLb1EES1B_IbLb0EEEEDaS17_S18_EUlS17_E_NS1_11comp_targetILNS1_3genE10ELNS1_11target_archE1200ELNS1_3gpuE4ELNS1_3repE0EEENS1_30default_config_static_selectorELNS0_4arch9wavefront6targetE0EEEvT1_, .Lfunc_end462-_ZN7rocprim17ROCPRIM_400000_NS6detail17trampoline_kernelINS0_14default_configENS1_25partition_config_selectorILNS1_17partition_subalgoE8ElNS0_10empty_typeEbEEZZNS1_14partition_implILS5_8ELb0ES3_jPlPS6_PKS6_NS0_5tupleIJS9_S6_EEENSD_IJSA_SA_EEENS0_18inequality_wrapperIZN2at6native12_GLOBAL__N_124unique_dim_cuda_templateIiEESt5tupleIJNSH_6TensorESM_SM_EERKSM_lbbbEUlllE0_EEPmJS6_EEE10hipError_tPvRmT3_T4_T5_T6_T7_T9_mT8_P12ihipStream_tbDpT10_ENKUlT_T0_E_clISt17integral_constantIbLb1EES1B_IbLb0EEEEDaS17_S18_EUlS17_E_NS1_11comp_targetILNS1_3genE10ELNS1_11target_archE1200ELNS1_3gpuE4ELNS1_3repE0EEENS1_30default_config_static_selectorELNS0_4arch9wavefront6targetE0EEEvT1_
                                        ; -- End function
	.section	.AMDGPU.csdata,"",@progbits
; Kernel info:
; codeLenInByte = 0
; NumSgprs: 0
; NumVgprs: 0
; ScratchSize: 0
; MemoryBound: 0
; FloatMode: 240
; IeeeMode: 1
; LDSByteSize: 0 bytes/workgroup (compile time only)
; SGPRBlocks: 0
; VGPRBlocks: 0
; NumSGPRsForWavesPerEU: 1
; NumVGPRsForWavesPerEU: 1
; Occupancy: 15
; WaveLimiterHint : 0
; COMPUTE_PGM_RSRC2:SCRATCH_EN: 0
; COMPUTE_PGM_RSRC2:USER_SGPR: 15
; COMPUTE_PGM_RSRC2:TRAP_HANDLER: 0
; COMPUTE_PGM_RSRC2:TGID_X_EN: 1
; COMPUTE_PGM_RSRC2:TGID_Y_EN: 0
; COMPUTE_PGM_RSRC2:TGID_Z_EN: 0
; COMPUTE_PGM_RSRC2:TIDIG_COMP_CNT: 0
	.section	.text._ZN7rocprim17ROCPRIM_400000_NS6detail17trampoline_kernelINS0_14default_configENS1_25partition_config_selectorILNS1_17partition_subalgoE8ElNS0_10empty_typeEbEEZZNS1_14partition_implILS5_8ELb0ES3_jPlPS6_PKS6_NS0_5tupleIJS9_S6_EEENSD_IJSA_SA_EEENS0_18inequality_wrapperIZN2at6native12_GLOBAL__N_124unique_dim_cuda_templateIiEESt5tupleIJNSH_6TensorESM_SM_EERKSM_lbbbEUlllE0_EEPmJS6_EEE10hipError_tPvRmT3_T4_T5_T6_T7_T9_mT8_P12ihipStream_tbDpT10_ENKUlT_T0_E_clISt17integral_constantIbLb1EES1B_IbLb0EEEEDaS17_S18_EUlS17_E_NS1_11comp_targetILNS1_3genE9ELNS1_11target_archE1100ELNS1_3gpuE3ELNS1_3repE0EEENS1_30default_config_static_selectorELNS0_4arch9wavefront6targetE0EEEvT1_,"axG",@progbits,_ZN7rocprim17ROCPRIM_400000_NS6detail17trampoline_kernelINS0_14default_configENS1_25partition_config_selectorILNS1_17partition_subalgoE8ElNS0_10empty_typeEbEEZZNS1_14partition_implILS5_8ELb0ES3_jPlPS6_PKS6_NS0_5tupleIJS9_S6_EEENSD_IJSA_SA_EEENS0_18inequality_wrapperIZN2at6native12_GLOBAL__N_124unique_dim_cuda_templateIiEESt5tupleIJNSH_6TensorESM_SM_EERKSM_lbbbEUlllE0_EEPmJS6_EEE10hipError_tPvRmT3_T4_T5_T6_T7_T9_mT8_P12ihipStream_tbDpT10_ENKUlT_T0_E_clISt17integral_constantIbLb1EES1B_IbLb0EEEEDaS17_S18_EUlS17_E_NS1_11comp_targetILNS1_3genE9ELNS1_11target_archE1100ELNS1_3gpuE3ELNS1_3repE0EEENS1_30default_config_static_selectorELNS0_4arch9wavefront6targetE0EEEvT1_,comdat
	.globl	_ZN7rocprim17ROCPRIM_400000_NS6detail17trampoline_kernelINS0_14default_configENS1_25partition_config_selectorILNS1_17partition_subalgoE8ElNS0_10empty_typeEbEEZZNS1_14partition_implILS5_8ELb0ES3_jPlPS6_PKS6_NS0_5tupleIJS9_S6_EEENSD_IJSA_SA_EEENS0_18inequality_wrapperIZN2at6native12_GLOBAL__N_124unique_dim_cuda_templateIiEESt5tupleIJNSH_6TensorESM_SM_EERKSM_lbbbEUlllE0_EEPmJS6_EEE10hipError_tPvRmT3_T4_T5_T6_T7_T9_mT8_P12ihipStream_tbDpT10_ENKUlT_T0_E_clISt17integral_constantIbLb1EES1B_IbLb0EEEEDaS17_S18_EUlS17_E_NS1_11comp_targetILNS1_3genE9ELNS1_11target_archE1100ELNS1_3gpuE3ELNS1_3repE0EEENS1_30default_config_static_selectorELNS0_4arch9wavefront6targetE0EEEvT1_ ; -- Begin function _ZN7rocprim17ROCPRIM_400000_NS6detail17trampoline_kernelINS0_14default_configENS1_25partition_config_selectorILNS1_17partition_subalgoE8ElNS0_10empty_typeEbEEZZNS1_14partition_implILS5_8ELb0ES3_jPlPS6_PKS6_NS0_5tupleIJS9_S6_EEENSD_IJSA_SA_EEENS0_18inequality_wrapperIZN2at6native12_GLOBAL__N_124unique_dim_cuda_templateIiEESt5tupleIJNSH_6TensorESM_SM_EERKSM_lbbbEUlllE0_EEPmJS6_EEE10hipError_tPvRmT3_T4_T5_T6_T7_T9_mT8_P12ihipStream_tbDpT10_ENKUlT_T0_E_clISt17integral_constantIbLb1EES1B_IbLb0EEEEDaS17_S18_EUlS17_E_NS1_11comp_targetILNS1_3genE9ELNS1_11target_archE1100ELNS1_3gpuE3ELNS1_3repE0EEENS1_30default_config_static_selectorELNS0_4arch9wavefront6targetE0EEEvT1_
	.p2align	8
	.type	_ZN7rocprim17ROCPRIM_400000_NS6detail17trampoline_kernelINS0_14default_configENS1_25partition_config_selectorILNS1_17partition_subalgoE8ElNS0_10empty_typeEbEEZZNS1_14partition_implILS5_8ELb0ES3_jPlPS6_PKS6_NS0_5tupleIJS9_S6_EEENSD_IJSA_SA_EEENS0_18inequality_wrapperIZN2at6native12_GLOBAL__N_124unique_dim_cuda_templateIiEESt5tupleIJNSH_6TensorESM_SM_EERKSM_lbbbEUlllE0_EEPmJS6_EEE10hipError_tPvRmT3_T4_T5_T6_T7_T9_mT8_P12ihipStream_tbDpT10_ENKUlT_T0_E_clISt17integral_constantIbLb1EES1B_IbLb0EEEEDaS17_S18_EUlS17_E_NS1_11comp_targetILNS1_3genE9ELNS1_11target_archE1100ELNS1_3gpuE3ELNS1_3repE0EEENS1_30default_config_static_selectorELNS0_4arch9wavefront6targetE0EEEvT1_,@function
_ZN7rocprim17ROCPRIM_400000_NS6detail17trampoline_kernelINS0_14default_configENS1_25partition_config_selectorILNS1_17partition_subalgoE8ElNS0_10empty_typeEbEEZZNS1_14partition_implILS5_8ELb0ES3_jPlPS6_PKS6_NS0_5tupleIJS9_S6_EEENSD_IJSA_SA_EEENS0_18inequality_wrapperIZN2at6native12_GLOBAL__N_124unique_dim_cuda_templateIiEESt5tupleIJNSH_6TensorESM_SM_EERKSM_lbbbEUlllE0_EEPmJS6_EEE10hipError_tPvRmT3_T4_T5_T6_T7_T9_mT8_P12ihipStream_tbDpT10_ENKUlT_T0_E_clISt17integral_constantIbLb1EES1B_IbLb0EEEEDaS17_S18_EUlS17_E_NS1_11comp_targetILNS1_3genE9ELNS1_11target_archE1100ELNS1_3gpuE3ELNS1_3repE0EEENS1_30default_config_static_selectorELNS0_4arch9wavefront6targetE0EEEvT1_: ; @_ZN7rocprim17ROCPRIM_400000_NS6detail17trampoline_kernelINS0_14default_configENS1_25partition_config_selectorILNS1_17partition_subalgoE8ElNS0_10empty_typeEbEEZZNS1_14partition_implILS5_8ELb0ES3_jPlPS6_PKS6_NS0_5tupleIJS9_S6_EEENSD_IJSA_SA_EEENS0_18inequality_wrapperIZN2at6native12_GLOBAL__N_124unique_dim_cuda_templateIiEESt5tupleIJNSH_6TensorESM_SM_EERKSM_lbbbEUlllE0_EEPmJS6_EEE10hipError_tPvRmT3_T4_T5_T6_T7_T9_mT8_P12ihipStream_tbDpT10_ENKUlT_T0_E_clISt17integral_constantIbLb1EES1B_IbLb0EEEEDaS17_S18_EUlS17_E_NS1_11comp_targetILNS1_3genE9ELNS1_11target_archE1100ELNS1_3gpuE3ELNS1_3repE0EEENS1_30default_config_static_selectorELNS0_4arch9wavefront6targetE0EEEvT1_
; %bb.0:
	s_clause 0x3
	s_load_b128 s[4:7], s[0:1], 0x8
	s_load_b256 s[16:23], s[0:1], 0x40
	s_load_b32 s14, s[0:1], 0x70
	s_load_b128 s[8:11], s[0:1], 0x60
	s_mov_b32 s3, 0
	v_lshlrev_b32_e32 v39, 3, v0
	v_lshrrev_b32_e32 v17, 2, v0
	v_or_b32_e32 v24, 0x200, v0
	v_or_b32_e32 v22, 0x400, v0
	;; [unrolled: 1-line block ×7, first 2 shown]
	s_waitcnt lgkmcnt(0)
	s_lshl_b64 s[24:25], s[6:7], 3
	s_load_b64 s[12:13], s[18:19], 0x0
	s_add_u32 s26, s4, s24
	s_addc_u32 s5, s5, s25
	s_add_i32 s24, s14, -1
	s_lshl_b32 s14, s14, 12
	s_lshl_b32 s4, s24, 12
	;; [unrolled: 1-line block ×3, first 2 shown]
	s_add_i32 s4, s6, s4
	s_add_u32 s18, s6, s14
	s_addc_u32 s19, s7, 0
	s_cmp_eq_u32 s15, s24
	v_cmp_ge_u64_e64 s18, s[18:19], s[20:21]
	s_cselect_b32 s14, -1, 0
	s_lshl_b64 s[2:3], s[2:3], 3
	s_delay_alu instid0(VALU_DEP_1) | instskip(NEXT) | instid1(SALU_CYCLE_1)
	s_and_b32 s24, s14, s18
	s_xor_b32 s21, s24, -1
	s_add_u32 s2, s26, s2
	s_addc_u32 s3, s5, s3
	s_and_b32 vcc_lo, exec_lo, s21
	s_mov_b32 s5, -1
	s_cbranch_vccz .LBB463_2
; %bb.1:
	v_add_co_u32 v9, s5, s2, v39
	s_delay_alu instid0(VALU_DEP_1)
	v_add_co_ci_u32_e64 v10, null, s3, 0, s5
	global_load_b64 v[1:2], v39, s[2:3]
	v_add_co_u32 v3, vcc_lo, v9, 0x2000
	v_add_co_ci_u32_e32 v4, vcc_lo, 0, v10, vcc_lo
	v_add_co_u32 v5, vcc_lo, v9, 0x4000
	v_add_co_ci_u32_e32 v6, vcc_lo, 0, v10, vcc_lo
	;; [unrolled: 2-line block ×4, first 2 shown]
	s_clause 0x6
	global_load_b64 v[11:12], v[3:4], off offset:-4096
	global_load_b64 v[3:4], v[3:4], off
	global_load_b64 v[13:14], v[5:6], off offset:-4096
	global_load_b64 v[5:6], v[5:6], off
	;; [unrolled: 2-line block ×3, first 2 shown]
	global_load_b64 v[9:10], v[9:10], off
	v_lshrrev_b32_e32 v26, 2, v24
	v_lshrrev_b32_e32 v27, 2, v22
	;; [unrolled: 1-line block ×4, first 2 shown]
	v_and_b32_e32 v25, 0x78, v17
	v_lshrrev_b32_e32 v30, 2, v20
	v_lshrrev_b32_e32 v31, 2, v19
	;; [unrolled: 1-line block ×3, first 2 shown]
	v_and_b32_e32 v26, 0xf8, v26
	v_and_b32_e32 v27, 0x178, v27
	;; [unrolled: 1-line block ×4, first 2 shown]
	v_add_nc_u32_e32 v25, v25, v39
	v_and_b32_e32 v30, 0x2f8, v30
	v_and_b32_e32 v31, 0x378, v31
	;; [unrolled: 1-line block ×3, first 2 shown]
	v_add_nc_u32_e32 v26, v26, v39
	v_add_nc_u32_e32 v27, v27, v39
	;; [unrolled: 1-line block ×4, first 2 shown]
	s_mov_b32 s5, 0
	v_add_nc_u32_e32 v30, v30, v39
	v_add_nc_u32_e32 v31, v31, v39
	;; [unrolled: 1-line block ×3, first 2 shown]
	s_waitcnt vmcnt(7)
	ds_store_b64 v25, v[1:2]
	s_waitcnt vmcnt(6)
	ds_store_b64 v26, v[11:12] offset:4096
	s_waitcnt vmcnt(5)
	ds_store_b64 v27, v[3:4] offset:8192
	s_waitcnt vmcnt(4)
	ds_store_b64 v28, v[13:14] offset:12288
	s_waitcnt vmcnt(3)
	ds_store_b64 v29, v[5:6] offset:16384
	s_waitcnt vmcnt(2)
	ds_store_b64 v30, v[15:16] offset:20480
	s_waitcnt vmcnt(1)
	ds_store_b64 v31, v[7:8] offset:24576
	s_waitcnt vmcnt(0)
	ds_store_b64 v32, v[9:10] offset:28672
	s_waitcnt lgkmcnt(0)
	s_barrier
.LBB463_2:
	s_and_not1_b32 vcc_lo, exec_lo, s5
	s_sub_i32 s20, s20, s4
	s_cbranch_vccnz .LBB463_13
; %bb.3:
	s_mov_b32 s4, exec_lo
                                        ; implicit-def: $vgpr1_vgpr2_vgpr3_vgpr4_vgpr5_vgpr6_vgpr7_vgpr8_vgpr9_vgpr10_vgpr11_vgpr12_vgpr13_vgpr14_vgpr15_vgpr16
	v_cmpx_gt_u32_e64 s20, v0
	s_cbranch_execnz .LBB463_23
; %bb.4:
	s_or_b32 exec_lo, exec_lo, s4
	s_delay_alu instid0(SALU_CYCLE_1)
	s_mov_b32 s4, exec_lo
	v_cmpx_gt_u32_e64 s20, v24
	s_cbranch_execnz .LBB463_24
.LBB463_5:
	s_or_b32 exec_lo, exec_lo, s4
	s_delay_alu instid0(SALU_CYCLE_1)
	s_mov_b32 s4, exec_lo
	v_cmpx_gt_u32_e64 s20, v22
	s_cbranch_execnz .LBB463_25
.LBB463_6:
	s_or_b32 exec_lo, exec_lo, s4
	s_delay_alu instid0(SALU_CYCLE_1)
	s_mov_b32 s4, exec_lo
	v_cmpx_gt_u32_e64 s20, v23
	s_cbranch_execnz .LBB463_26
.LBB463_7:
	s_or_b32 exec_lo, exec_lo, s4
	s_delay_alu instid0(SALU_CYCLE_1)
	s_mov_b32 s4, exec_lo
	v_cmpx_gt_u32_e64 s20, v21
	s_cbranch_execnz .LBB463_27
.LBB463_8:
	s_or_b32 exec_lo, exec_lo, s4
	s_delay_alu instid0(SALU_CYCLE_1)
	s_mov_b32 s4, exec_lo
	v_cmpx_gt_u32_e64 s20, v20
	s_cbranch_execnz .LBB463_28
.LBB463_9:
	s_or_b32 exec_lo, exec_lo, s4
	s_delay_alu instid0(SALU_CYCLE_1)
	s_mov_b32 s4, exec_lo
	v_cmpx_gt_u32_e64 s20, v19
	s_cbranch_execnz .LBB463_29
.LBB463_10:
	s_or_b32 exec_lo, exec_lo, s4
	s_delay_alu instid0(SALU_CYCLE_1)
	s_mov_b32 s4, exec_lo
	v_cmpx_gt_u32_e64 s20, v18
	s_cbranch_execz .LBB463_12
.LBB463_11:
	v_lshlrev_b32_e32 v15, 3, v18
	global_load_b64 v[15:16], v15, s[2:3]
.LBB463_12:
	s_or_b32 exec_lo, exec_lo, s4
	v_lshrrev_b32_e32 v24, 2, v24
	v_lshrrev_b32_e32 v22, 2, v22
	;; [unrolled: 1-line block ×4, first 2 shown]
	v_and_b32_e32 v25, 0x78, v17
	v_lshrrev_b32_e32 v20, 2, v20
	v_lshrrev_b32_e32 v19, 2, v19
	;; [unrolled: 1-line block ×3, first 2 shown]
	v_and_b32_e32 v24, 0xf8, v24
	v_and_b32_e32 v22, 0x1f8, v22
	;; [unrolled: 1-line block ×4, first 2 shown]
	v_add_nc_u32_e32 v25, v25, v39
	v_and_b32_e32 v20, 0x3f8, v20
	v_and_b32_e32 v19, 0x3f8, v19
	;; [unrolled: 1-line block ×3, first 2 shown]
	v_add_nc_u32_e32 v24, v24, v39
	v_add_nc_u32_e32 v22, v22, v39
	;; [unrolled: 1-line block ×7, first 2 shown]
	s_waitcnt vmcnt(0)
	ds_store_b64 v25, v[1:2]
	ds_store_b64 v24, v[3:4] offset:4096
	ds_store_b64 v22, v[5:6] offset:8192
	ds_store_b64 v23, v[7:8] offset:12288
	ds_store_b64 v21, v[9:10] offset:16384
	ds_store_b64 v20, v[11:12] offset:20480
	ds_store_b64 v19, v[13:14] offset:24576
	ds_store_b64 v18, v[15:16] offset:28672
	s_waitcnt lgkmcnt(0)
	s_barrier
.LBB463_13:
	v_add_lshl_u32 v1, v17, v39, 3
	s_waitcnt lgkmcnt(0)
	buffer_gl0_inv
	s_cmp_lg_u32 s15, 0
	v_cmp_gt_i64_e64 s26, s[22:23], 0
	s_cselect_b32 s25, -1, 0
	ds_load_2addr_b64 v[13:16], v1 offset1:1
	ds_load_2addr_b64 v[9:12], v1 offset0:2 offset1:3
	ds_load_2addr_b64 v[5:8], v1 offset0:4 offset1:5
	;; [unrolled: 1-line block ×3, first 2 shown]
	s_cmp_lg_u64 s[6:7], 0
	s_mov_b32 s18, 0
	s_cselect_b32 s4, -1, 0
	s_waitcnt lgkmcnt(0)
	s_or_b32 s4, s25, s4
	s_barrier
	s_and_b32 vcc_lo, exec_lo, s4
	buffer_gl0_inv
	s_cbranch_vccz .LBB463_22
; %bb.14:
	s_add_u32 s2, s2, -8
	s_addc_u32 s3, s3, -1
	v_cndmask_b32_e64 v25, 0, 1, s26
	s_load_b64 s[4:5], s[2:3], 0x0
	s_and_b32 vcc_lo, exec_lo, s21
	ds_store_b64 v39, v[3:4]
	v_cmp_ne_u32_e64 s2, 1, v25
	s_cbranch_vccz .LBB463_30
; %bb.15:
	v_mul_lo_u32 v19, v2, s22
	v_mul_lo_u32 v20, v1, s23
	v_mad_u64_u32 v[17:18], null, v1, s22, 0
	s_mov_b32 s3, 0
	s_and_b32 vcc_lo, exec_lo, s2
	s_mov_b32 s27, 0
	s_delay_alu instid0(VALU_DEP_1) | instskip(NEXT) | instid1(VALU_DEP_1)
	v_add3_u32 v18, v18, v20, v19
	v_lshlrev_b64 v[17:18], 2, v[17:18]
	s_cbranch_vccnz .LBB463_33
; %bb.16:
	v_mul_lo_u32 v21, v4, s22
	v_mul_lo_u32 v22, v3, s23
	v_mad_u64_u32 v[19:20], null, v3, s22, 0
	s_mov_b32 s27, -1
	s_mov_b32 s28, exec_lo
	s_delay_alu instid0(VALU_DEP_1) | instskip(SKIP_2) | instid1(VALU_DEP_3)
	v_add3_u32 v20, v20, v22, v21
	v_add_co_u32 v21, vcc_lo, s8, v17
	v_add_co_ci_u32_e32 v22, vcc_lo, s9, v18, vcc_lo
	v_lshlrev_b64 v[19:20], 2, v[19:20]
	s_delay_alu instid0(VALU_DEP_1) | instskip(NEXT) | instid1(VALU_DEP_2)
	v_add_co_u32 v19, vcc_lo, s8, v19
	v_add_co_ci_u32_e32 v20, vcc_lo, s9, v20, vcc_lo
	s_clause 0x1
	global_load_b32 v23, v[21:22], off
	global_load_b32 v24, v[19:20], off
	s_waitcnt vmcnt(0)
	v_cmpx_eq_u32_e64 v23, v24
	s_cbranch_execz .LBB463_32
; %bb.17:
	v_add_co_u32 v19, vcc_lo, v19, 4
	v_add_co_ci_u32_e32 v20, vcc_lo, 0, v20, vcc_lo
	v_add_co_u32 v21, vcc_lo, v21, 4
	v_add_co_ci_u32_e32 v22, vcc_lo, 0, v22, vcc_lo
	s_add_u32 s6, s22, -1
	s_addc_u32 s7, s23, -1
	s_mov_b64 s[18:19], 0
	s_mov_b32 s27, 0
                                        ; implicit-def: $sgpr29
	s_set_inst_prefetch_distance 0x1
	s_branch .LBB463_20
	.p2align	6
.LBB463_18:                             ;   in Loop: Header=BB463_20 Depth=1
	global_load_b32 v23, v[21:22], off
	global_load_b32 v24, v[19:20], off
	v_add_co_u32 v19, vcc_lo, v19, 4
	v_add_co_ci_u32_e32 v20, vcc_lo, 0, v20, vcc_lo
	v_add_co_u32 v21, s2, v21, 4
	s_delay_alu instid0(VALU_DEP_1)
	v_add_co_ci_u32_e64 v22, s2, 0, v22, s2
	s_add_u32 s18, s18, 1
	s_addc_u32 s19, s19, 0
	s_and_not1_b32 s2, s29, exec_lo
	s_waitcnt vmcnt(0)
	v_cmp_ne_u32_e32 vcc_lo, v23, v24
	s_and_b32 s29, vcc_lo, exec_lo
	s_delay_alu instid0(SALU_CYCLE_1)
	s_or_b32 s29, s2, s29
.LBB463_19:                             ;   in Loop: Header=BB463_20 Depth=1
	v_dual_mov_b32 v24, s19 :: v_dual_mov_b32 v23, s18
	s_and_b32 s2, exec_lo, s29
	s_delay_alu instid0(SALU_CYCLE_1) | instskip(NEXT) | instid1(SALU_CYCLE_1)
	s_or_b32 s27, s2, s27
	s_and_not1_b32 exec_lo, exec_lo, s27
	s_cbranch_execz .LBB463_31
.LBB463_20:                             ; =>This Inner Loop Header: Depth=1
	s_or_b32 s29, s29, exec_lo
	s_cmp_eq_u64 s[6:7], s[18:19]
	s_cbranch_scc0 .LBB463_18
; %bb.21:                               ;   in Loop: Header=BB463_20 Depth=1
	s_mov_b64 s[18:19], s[22:23]
                                        ; implicit-def: $vgpr19_vgpr20
                                        ; implicit-def: $vgpr21_vgpr22
	s_branch .LBB463_19
.LBB463_22:
                                        ; implicit-def: $sgpr2
                                        ; implicit-def: $vgpr18
	s_branch .LBB463_191
.LBB463_23:
	global_load_b64 v[1:2], v39, s[2:3]
	s_or_b32 exec_lo, exec_lo, s4
	s_delay_alu instid0(SALU_CYCLE_1)
	s_mov_b32 s4, exec_lo
	v_cmpx_gt_u32_e64 s20, v24
	s_cbranch_execz .LBB463_5
.LBB463_24:
	v_lshlrev_b32_e32 v3, 3, v24
	global_load_b64 v[3:4], v3, s[2:3]
	s_or_b32 exec_lo, exec_lo, s4
	s_delay_alu instid0(SALU_CYCLE_1)
	s_mov_b32 s4, exec_lo
	v_cmpx_gt_u32_e64 s20, v22
	s_cbranch_execz .LBB463_6
.LBB463_25:
	v_lshlrev_b32_e32 v5, 3, v22
	global_load_b64 v[5:6], v5, s[2:3]
	s_or_b32 exec_lo, exec_lo, s4
	s_delay_alu instid0(SALU_CYCLE_1)
	s_mov_b32 s4, exec_lo
	v_cmpx_gt_u32_e64 s20, v23
	s_cbranch_execz .LBB463_7
.LBB463_26:
	v_lshlrev_b32_e32 v7, 3, v23
	global_load_b64 v[7:8], v7, s[2:3]
	s_or_b32 exec_lo, exec_lo, s4
	s_delay_alu instid0(SALU_CYCLE_1)
	s_mov_b32 s4, exec_lo
	v_cmpx_gt_u32_e64 s20, v21
	s_cbranch_execz .LBB463_8
.LBB463_27:
	v_lshlrev_b32_e32 v9, 3, v21
	global_load_b64 v[9:10], v9, s[2:3]
	s_or_b32 exec_lo, exec_lo, s4
	s_delay_alu instid0(SALU_CYCLE_1)
	s_mov_b32 s4, exec_lo
	v_cmpx_gt_u32_e64 s20, v20
	s_cbranch_execz .LBB463_9
.LBB463_28:
	v_lshlrev_b32_e32 v11, 3, v20
	global_load_b64 v[11:12], v11, s[2:3]
	s_or_b32 exec_lo, exec_lo, s4
	s_delay_alu instid0(SALU_CYCLE_1)
	s_mov_b32 s4, exec_lo
	v_cmpx_gt_u32_e64 s20, v19
	s_cbranch_execz .LBB463_10
.LBB463_29:
	v_lshlrev_b32_e32 v13, 3, v19
	global_load_b64 v[13:14], v13, s[2:3]
	s_or_b32 exec_lo, exec_lo, s4
	s_delay_alu instid0(SALU_CYCLE_1)
	s_mov_b32 s4, exec_lo
	v_cmpx_gt_u32_e64 s20, v18
	s_cbranch_execnz .LBB463_11
	s_branch .LBB463_12
.LBB463_30:
                                        ; implicit-def: $sgpr2
                                        ; implicit-def: $vgpr18
	s_cbranch_execnz .LBB463_99
	s_branch .LBB463_190
.LBB463_31:
	s_set_inst_prefetch_distance 0x2
	s_or_b32 exec_lo, exec_lo, s27
	v_cmp_gt_i64_e32 vcc_lo, s[22:23], v[23:24]
	s_or_not1_b32 s27, vcc_lo, exec_lo
.LBB463_32:
	s_or_b32 exec_lo, exec_lo, s28
.LBB463_33:
	v_mul_lo_u32 v21, v8, s22
	v_mul_lo_u32 v22, v7, s23
	v_mad_u64_u32 v[19:20], null, v7, s22, 0
	s_and_not1_b32 vcc_lo, exec_lo, s26
	s_delay_alu instid0(VALU_DEP_1) | instskip(NEXT) | instid1(VALU_DEP_1)
	v_add3_u32 v20, v20, v22, v21
	v_lshlrev_b64 v[19:20], 2, v[19:20]
	s_cbranch_vccnz .LBB463_42
; %bb.34:
	s_delay_alu instid0(VALU_DEP_1) | instskip(NEXT) | instid1(VALU_DEP_2)
	v_add_co_u32 v21, vcc_lo, s8, v19
	v_add_co_ci_u32_e32 v22, vcc_lo, s9, v20, vcc_lo
	v_add_co_u32 v17, vcc_lo, s8, v17
	v_add_co_ci_u32_e32 v18, vcc_lo, s9, v18, vcc_lo
	s_mov_b32 s3, -1
	s_clause 0x1
	global_load_b32 v23, v[21:22], off
	global_load_b32 v24, v[17:18], off
	s_mov_b32 s28, exec_lo
	s_waitcnt vmcnt(0)
	v_cmpx_eq_u32_e64 v23, v24
	s_cbranch_execz .LBB463_41
; %bb.35:
	v_add_co_u32 v17, vcc_lo, v17, 4
	v_add_co_ci_u32_e32 v18, vcc_lo, 0, v18, vcc_lo
	v_add_co_u32 v21, vcc_lo, v21, 4
	v_add_co_ci_u32_e32 v22, vcc_lo, 0, v22, vcc_lo
	s_add_u32 s6, s22, -1
	s_addc_u32 s7, s23, -1
	s_mov_b64 s[18:19], 0
	s_mov_b32 s3, 0
                                        ; implicit-def: $sgpr29
	s_set_inst_prefetch_distance 0x1
	s_branch .LBB463_38
	.p2align	6
.LBB463_36:                             ;   in Loop: Header=BB463_38 Depth=1
	global_load_b32 v23, v[21:22], off
	global_load_b32 v24, v[17:18], off
	v_add_co_u32 v17, vcc_lo, v17, 4
	v_add_co_ci_u32_e32 v18, vcc_lo, 0, v18, vcc_lo
	v_add_co_u32 v21, s2, v21, 4
	s_delay_alu instid0(VALU_DEP_1)
	v_add_co_ci_u32_e64 v22, s2, 0, v22, s2
	s_add_u32 s18, s18, 1
	s_addc_u32 s19, s19, 0
	s_and_not1_b32 s2, s29, exec_lo
	s_waitcnt vmcnt(0)
	v_cmp_ne_u32_e32 vcc_lo, v23, v24
	s_and_b32 s29, vcc_lo, exec_lo
	s_delay_alu instid0(SALU_CYCLE_1)
	s_or_b32 s29, s2, s29
.LBB463_37:                             ;   in Loop: Header=BB463_38 Depth=1
	v_dual_mov_b32 v24, s19 :: v_dual_mov_b32 v23, s18
	s_and_b32 s2, exec_lo, s29
	s_delay_alu instid0(SALU_CYCLE_1) | instskip(NEXT) | instid1(SALU_CYCLE_1)
	s_or_b32 s3, s2, s3
	s_and_not1_b32 exec_lo, exec_lo, s3
	s_cbranch_execz .LBB463_40
.LBB463_38:                             ; =>This Inner Loop Header: Depth=1
	s_or_b32 s29, s29, exec_lo
	s_cmp_eq_u64 s[6:7], s[18:19]
	s_cbranch_scc0 .LBB463_36
; %bb.39:                               ;   in Loop: Header=BB463_38 Depth=1
	s_mov_b64 s[18:19], s[22:23]
                                        ; implicit-def: $vgpr17_vgpr18
                                        ; implicit-def: $vgpr21_vgpr22
	s_branch .LBB463_37
.LBB463_40:
	s_set_inst_prefetch_distance 0x2
	s_or_b32 exec_lo, exec_lo, s3
	v_cmp_gt_i64_e32 vcc_lo, s[22:23], v[23:24]
	s_or_not1_b32 s3, vcc_lo, exec_lo
.LBB463_41:
	s_or_b32 exec_lo, exec_lo, s28
.LBB463_42:
	v_mul_lo_u32 v21, v6, s22
	v_mul_lo_u32 v22, v5, s23
	v_mad_u64_u32 v[17:18], null, v5, s22, 0
	s_mov_b32 s28, 0
	s_and_not1_b32 vcc_lo, exec_lo, s26
	s_mov_b32 s29, 0
	s_delay_alu instid0(VALU_DEP_1) | instskip(NEXT) | instid1(VALU_DEP_1)
	v_add3_u32 v18, v18, v22, v21
	v_lshlrev_b64 v[21:22], 2, v[17:18]
	s_cbranch_vccnz .LBB463_51
; %bb.43:
	s_delay_alu instid0(VALU_DEP_1) | instskip(NEXT) | instid1(VALU_DEP_2)
	v_add_co_u32 v23, vcc_lo, s8, v21
	v_add_co_ci_u32_e32 v24, vcc_lo, s9, v22, vcc_lo
	v_add_co_u32 v17, vcc_lo, s8, v19
	v_add_co_ci_u32_e32 v18, vcc_lo, s9, v20, vcc_lo
	s_mov_b32 s29, -1
	s_clause 0x1
	global_load_b32 v19, v[23:24], off
	global_load_b32 v20, v[17:18], off
	s_mov_b32 s30, exec_lo
	s_waitcnt vmcnt(0)
	v_cmpx_eq_u32_e64 v19, v20
	s_cbranch_execz .LBB463_50
; %bb.44:
	v_add_co_u32 v17, vcc_lo, v17, 4
	v_add_co_ci_u32_e32 v18, vcc_lo, 0, v18, vcc_lo
	v_add_co_u32 v19, vcc_lo, v23, 4
	v_add_co_ci_u32_e32 v20, vcc_lo, 0, v24, vcc_lo
	s_add_u32 s6, s22, -1
	s_addc_u32 s7, s23, -1
	s_mov_b64 s[18:19], 0
	s_mov_b32 s29, 0
                                        ; implicit-def: $sgpr31
	s_set_inst_prefetch_distance 0x1
	s_branch .LBB463_47
	.p2align	6
.LBB463_45:                             ;   in Loop: Header=BB463_47 Depth=1
	global_load_b32 v23, v[19:20], off
	global_load_b32 v24, v[17:18], off
	v_add_co_u32 v17, vcc_lo, v17, 4
	v_add_co_ci_u32_e32 v18, vcc_lo, 0, v18, vcc_lo
	v_add_co_u32 v19, s2, v19, 4
	s_delay_alu instid0(VALU_DEP_1)
	v_add_co_ci_u32_e64 v20, s2, 0, v20, s2
	s_add_u32 s18, s18, 1
	s_addc_u32 s19, s19, 0
	s_and_not1_b32 s2, s31, exec_lo
	s_waitcnt vmcnt(0)
	v_cmp_ne_u32_e32 vcc_lo, v23, v24
	s_and_b32 s31, vcc_lo, exec_lo
	s_delay_alu instid0(SALU_CYCLE_1)
	s_or_b32 s31, s2, s31
.LBB463_46:                             ;   in Loop: Header=BB463_47 Depth=1
	v_dual_mov_b32 v24, s19 :: v_dual_mov_b32 v23, s18
	s_and_b32 s2, exec_lo, s31
	s_delay_alu instid0(SALU_CYCLE_1) | instskip(NEXT) | instid1(SALU_CYCLE_1)
	s_or_b32 s29, s2, s29
	s_and_not1_b32 exec_lo, exec_lo, s29
	s_cbranch_execz .LBB463_49
.LBB463_47:                             ; =>This Inner Loop Header: Depth=1
	s_or_b32 s31, s31, exec_lo
	s_cmp_eq_u64 s[6:7], s[18:19]
	s_cbranch_scc0 .LBB463_45
; %bb.48:                               ;   in Loop: Header=BB463_47 Depth=1
	s_mov_b64 s[18:19], s[22:23]
                                        ; implicit-def: $vgpr17_vgpr18
                                        ; implicit-def: $vgpr19_vgpr20
	s_branch .LBB463_46
.LBB463_49:
	s_set_inst_prefetch_distance 0x2
	s_or_b32 exec_lo, exec_lo, s29
	v_cmp_gt_i64_e32 vcc_lo, s[22:23], v[23:24]
	s_or_not1_b32 s29, vcc_lo, exec_lo
.LBB463_50:
	s_or_b32 exec_lo, exec_lo, s30
.LBB463_51:
	v_mul_lo_u32 v19, v12, s22
	v_mul_lo_u32 v20, v11, s23
	v_mad_u64_u32 v[17:18], null, v11, s22, 0
	s_and_not1_b32 vcc_lo, exec_lo, s26
	s_delay_alu instid0(VALU_DEP_1) | instskip(NEXT) | instid1(VALU_DEP_1)
	v_add3_u32 v18, v18, v20, v19
	v_lshlrev_b64 v[17:18], 2, v[17:18]
	s_cbranch_vccnz .LBB463_60
; %bb.52:
	s_delay_alu instid0(VALU_DEP_1) | instskip(NEXT) | instid1(VALU_DEP_2)
	v_add_co_u32 v23, vcc_lo, s8, v17
	v_add_co_ci_u32_e32 v24, vcc_lo, s9, v18, vcc_lo
	v_add_co_u32 v19, vcc_lo, s8, v21
	v_add_co_ci_u32_e32 v20, vcc_lo, s9, v22, vcc_lo
	s_mov_b32 s28, -1
	s_clause 0x1
	global_load_b32 v21, v[23:24], off
	global_load_b32 v22, v[19:20], off
	s_mov_b32 s30, exec_lo
	s_waitcnt vmcnt(0)
	v_cmpx_eq_u32_e64 v21, v22
	s_cbranch_execz .LBB463_59
; %bb.53:
	v_add_co_u32 v19, vcc_lo, v19, 4
	v_add_co_ci_u32_e32 v20, vcc_lo, 0, v20, vcc_lo
	v_add_co_u32 v21, vcc_lo, v23, 4
	v_add_co_ci_u32_e32 v22, vcc_lo, 0, v24, vcc_lo
	s_add_u32 s6, s22, -1
	s_addc_u32 s7, s23, -1
	s_mov_b64 s[18:19], 0
	s_mov_b32 s28, 0
                                        ; implicit-def: $sgpr31
	s_set_inst_prefetch_distance 0x1
	s_branch .LBB463_56
	.p2align	6
.LBB463_54:                             ;   in Loop: Header=BB463_56 Depth=1
	global_load_b32 v23, v[21:22], off
	global_load_b32 v24, v[19:20], off
	v_add_co_u32 v19, vcc_lo, v19, 4
	v_add_co_ci_u32_e32 v20, vcc_lo, 0, v20, vcc_lo
	v_add_co_u32 v21, s2, v21, 4
	s_delay_alu instid0(VALU_DEP_1)
	v_add_co_ci_u32_e64 v22, s2, 0, v22, s2
	s_add_u32 s18, s18, 1
	s_addc_u32 s19, s19, 0
	s_and_not1_b32 s2, s31, exec_lo
	s_waitcnt vmcnt(0)
	v_cmp_ne_u32_e32 vcc_lo, v23, v24
	s_and_b32 s31, vcc_lo, exec_lo
	s_delay_alu instid0(SALU_CYCLE_1)
	s_or_b32 s31, s2, s31
.LBB463_55:                             ;   in Loop: Header=BB463_56 Depth=1
	v_dual_mov_b32 v24, s19 :: v_dual_mov_b32 v23, s18
	s_and_b32 s2, exec_lo, s31
	s_delay_alu instid0(SALU_CYCLE_1) | instskip(NEXT) | instid1(SALU_CYCLE_1)
	s_or_b32 s28, s2, s28
	s_and_not1_b32 exec_lo, exec_lo, s28
	s_cbranch_execz .LBB463_58
.LBB463_56:                             ; =>This Inner Loop Header: Depth=1
	s_or_b32 s31, s31, exec_lo
	s_cmp_eq_u64 s[6:7], s[18:19]
	s_cbranch_scc0 .LBB463_54
; %bb.57:                               ;   in Loop: Header=BB463_56 Depth=1
	s_mov_b64 s[18:19], s[22:23]
                                        ; implicit-def: $vgpr19_vgpr20
                                        ; implicit-def: $vgpr21_vgpr22
	s_branch .LBB463_55
.LBB463_58:
	s_set_inst_prefetch_distance 0x2
	s_or_b32 exec_lo, exec_lo, s28
	v_cmp_gt_i64_e32 vcc_lo, s[22:23], v[23:24]
	s_or_not1_b32 s28, vcc_lo, exec_lo
.LBB463_59:
	s_or_b32 exec_lo, exec_lo, s30
.LBB463_60:
	v_mul_lo_u32 v21, v10, s22
	v_mul_lo_u32 v22, v9, s23
	v_mad_u64_u32 v[19:20], null, v9, s22, 0
	s_mov_b32 s30, 0
	s_and_not1_b32 vcc_lo, exec_lo, s26
	s_mov_b32 s31, 0
	s_delay_alu instid0(VALU_DEP_1) | instskip(NEXT) | instid1(VALU_DEP_1)
	v_add3_u32 v20, v20, v22, v21
	v_lshlrev_b64 v[21:22], 2, v[19:20]
	s_cbranch_vccnz .LBB463_69
; %bb.61:
	s_delay_alu instid0(VALU_DEP_1) | instskip(NEXT) | instid1(VALU_DEP_2)
	v_add_co_u32 v19, vcc_lo, s8, v21
	v_add_co_ci_u32_e32 v20, vcc_lo, s9, v22, vcc_lo
	v_add_co_u32 v17, vcc_lo, s8, v17
	v_add_co_ci_u32_e32 v18, vcc_lo, s9, v18, vcc_lo
	s_mov_b32 s31, -1
	s_clause 0x1
	global_load_b32 v23, v[19:20], off
	global_load_b32 v24, v[17:18], off
	s_mov_b32 s33, exec_lo
	s_waitcnt vmcnt(0)
	v_cmpx_eq_u32_e64 v23, v24
	s_cbranch_execz .LBB463_68
; %bb.62:
	v_add_co_u32 v17, vcc_lo, v17, 4
	v_add_co_ci_u32_e32 v18, vcc_lo, 0, v18, vcc_lo
	v_add_co_u32 v19, vcc_lo, v19, 4
	v_add_co_ci_u32_e32 v20, vcc_lo, 0, v20, vcc_lo
	s_add_u32 s6, s22, -1
	s_addc_u32 s7, s23, -1
	s_mov_b64 s[18:19], 0
	s_mov_b32 s31, 0
                                        ; implicit-def: $sgpr34
	s_set_inst_prefetch_distance 0x1
	s_branch .LBB463_65
	.p2align	6
.LBB463_63:                             ;   in Loop: Header=BB463_65 Depth=1
	global_load_b32 v23, v[19:20], off
	global_load_b32 v24, v[17:18], off
	v_add_co_u32 v17, vcc_lo, v17, 4
	v_add_co_ci_u32_e32 v18, vcc_lo, 0, v18, vcc_lo
	v_add_co_u32 v19, s2, v19, 4
	s_delay_alu instid0(VALU_DEP_1)
	v_add_co_ci_u32_e64 v20, s2, 0, v20, s2
	s_add_u32 s18, s18, 1
	s_addc_u32 s19, s19, 0
	s_and_not1_b32 s2, s34, exec_lo
	s_waitcnt vmcnt(0)
	v_cmp_ne_u32_e32 vcc_lo, v23, v24
	s_and_b32 s34, vcc_lo, exec_lo
	s_delay_alu instid0(SALU_CYCLE_1)
	s_or_b32 s34, s2, s34
.LBB463_64:                             ;   in Loop: Header=BB463_65 Depth=1
	v_dual_mov_b32 v24, s19 :: v_dual_mov_b32 v23, s18
	s_and_b32 s2, exec_lo, s34
	s_delay_alu instid0(SALU_CYCLE_1) | instskip(NEXT) | instid1(SALU_CYCLE_1)
	s_or_b32 s31, s2, s31
	s_and_not1_b32 exec_lo, exec_lo, s31
	s_cbranch_execz .LBB463_67
.LBB463_65:                             ; =>This Inner Loop Header: Depth=1
	s_or_b32 s34, s34, exec_lo
	s_cmp_eq_u64 s[6:7], s[18:19]
	s_cbranch_scc0 .LBB463_63
; %bb.66:                               ;   in Loop: Header=BB463_65 Depth=1
	s_mov_b64 s[18:19], s[22:23]
                                        ; implicit-def: $vgpr17_vgpr18
                                        ; implicit-def: $vgpr19_vgpr20
	s_branch .LBB463_64
.LBB463_67:
	s_set_inst_prefetch_distance 0x2
	s_or_b32 exec_lo, exec_lo, s31
	v_cmp_gt_i64_e32 vcc_lo, s[22:23], v[23:24]
	s_or_not1_b32 s31, vcc_lo, exec_lo
.LBB463_68:
	s_or_b32 exec_lo, exec_lo, s33
.LBB463_69:
	v_mul_lo_u32 v19, v16, s22
	v_mul_lo_u32 v20, v15, s23
	v_mad_u64_u32 v[17:18], null, v15, s22, 0
	s_and_not1_b32 vcc_lo, exec_lo, s26
	s_delay_alu instid0(VALU_DEP_1) | instskip(NEXT) | instid1(VALU_DEP_1)
	v_add3_u32 v18, v18, v20, v19
	v_lshlrev_b64 v[19:20], 2, v[17:18]
	s_cbranch_vccnz .LBB463_78
; %bb.70:
	s_delay_alu instid0(VALU_DEP_1) | instskip(NEXT) | instid1(VALU_DEP_2)
	v_add_co_u32 v23, vcc_lo, s8, v19
	v_add_co_ci_u32_e32 v24, vcc_lo, s9, v20, vcc_lo
	v_add_co_u32 v17, vcc_lo, s8, v21
	v_add_co_ci_u32_e32 v18, vcc_lo, s9, v22, vcc_lo
	s_mov_b32 s30, -1
	s_clause 0x1
	global_load_b32 v21, v[23:24], off
	global_load_b32 v22, v[17:18], off
	s_mov_b32 s33, exec_lo
	s_waitcnt vmcnt(0)
	v_cmpx_eq_u32_e64 v21, v22
	s_cbranch_execz .LBB463_77
; %bb.71:
	v_add_co_u32 v17, vcc_lo, v17, 4
	v_add_co_ci_u32_e32 v18, vcc_lo, 0, v18, vcc_lo
	v_add_co_u32 v21, vcc_lo, v23, 4
	v_add_co_ci_u32_e32 v22, vcc_lo, 0, v24, vcc_lo
	s_add_u32 s6, s22, -1
	s_addc_u32 s7, s23, -1
	s_mov_b64 s[18:19], 0
	s_mov_b32 s30, 0
                                        ; implicit-def: $sgpr34
	s_set_inst_prefetch_distance 0x1
	s_branch .LBB463_74
	.p2align	6
.LBB463_72:                             ;   in Loop: Header=BB463_74 Depth=1
	global_load_b32 v23, v[21:22], off
	global_load_b32 v24, v[17:18], off
	v_add_co_u32 v17, vcc_lo, v17, 4
	v_add_co_ci_u32_e32 v18, vcc_lo, 0, v18, vcc_lo
	v_add_co_u32 v21, s2, v21, 4
	s_delay_alu instid0(VALU_DEP_1)
	v_add_co_ci_u32_e64 v22, s2, 0, v22, s2
	s_add_u32 s18, s18, 1
	s_addc_u32 s19, s19, 0
	s_and_not1_b32 s2, s34, exec_lo
	s_waitcnt vmcnt(0)
	v_cmp_ne_u32_e32 vcc_lo, v23, v24
	s_and_b32 s34, vcc_lo, exec_lo
	s_delay_alu instid0(SALU_CYCLE_1)
	s_or_b32 s34, s2, s34
.LBB463_73:                             ;   in Loop: Header=BB463_74 Depth=1
	v_dual_mov_b32 v24, s19 :: v_dual_mov_b32 v23, s18
	s_and_b32 s2, exec_lo, s34
	s_delay_alu instid0(SALU_CYCLE_1) | instskip(NEXT) | instid1(SALU_CYCLE_1)
	s_or_b32 s30, s2, s30
	s_and_not1_b32 exec_lo, exec_lo, s30
	s_cbranch_execz .LBB463_76
.LBB463_74:                             ; =>This Inner Loop Header: Depth=1
	s_or_b32 s34, s34, exec_lo
	s_cmp_eq_u64 s[6:7], s[18:19]
	s_cbranch_scc0 .LBB463_72
; %bb.75:                               ;   in Loop: Header=BB463_74 Depth=1
	s_mov_b64 s[18:19], s[22:23]
                                        ; implicit-def: $vgpr17_vgpr18
                                        ; implicit-def: $vgpr21_vgpr22
	s_branch .LBB463_73
.LBB463_76:
	s_set_inst_prefetch_distance 0x2
	s_or_b32 exec_lo, exec_lo, s30
	v_cmp_gt_i64_e32 vcc_lo, s[22:23], v[23:24]
	s_or_not1_b32 s30, vcc_lo, exec_lo
.LBB463_77:
	s_or_b32 exec_lo, exec_lo, s33
.LBB463_78:
	v_mul_lo_u32 v21, v14, s22
	v_mul_lo_u32 v22, v13, s23
	v_mad_u64_u32 v[17:18], null, v13, s22, 0
	s_and_not1_b32 vcc_lo, exec_lo, s26
	s_mov_b32 s2, 0
	s_delay_alu instid0(VALU_DEP_1) | instskip(NEXT) | instid1(VALU_DEP_1)
	v_add3_u32 v18, v18, v22, v21
	v_lshlrev_b64 v[17:18], 2, v[17:18]
	s_cbranch_vccnz .LBB463_87
; %bb.79:
	s_delay_alu instid0(VALU_DEP_1) | instskip(NEXT) | instid1(VALU_DEP_2)
	v_add_co_u32 v21, vcc_lo, s8, v17
	v_add_co_ci_u32_e32 v22, vcc_lo, s9, v18, vcc_lo
	v_add_co_u32 v19, vcc_lo, s8, v19
	v_add_co_ci_u32_e32 v20, vcc_lo, s9, v20, vcc_lo
	s_mov_b32 s2, -1
	s_clause 0x1
	global_load_b32 v23, v[21:22], off
	global_load_b32 v24, v[19:20], off
	s_mov_b32 s33, exec_lo
	s_waitcnt vmcnt(0)
	v_cmpx_eq_u32_e64 v23, v24
	s_cbranch_execz .LBB463_86
; %bb.80:
	v_add_co_u32 v19, vcc_lo, v19, 4
	v_add_co_ci_u32_e32 v20, vcc_lo, 0, v20, vcc_lo
	v_add_co_u32 v21, vcc_lo, v21, 4
	v_add_co_ci_u32_e32 v22, vcc_lo, 0, v22, vcc_lo
	s_add_u32 s6, s22, -1
	s_addc_u32 s7, s23, -1
	s_mov_b64 s[18:19], 0
	s_mov_b32 s34, 0
                                        ; implicit-def: $sgpr35
	s_set_inst_prefetch_distance 0x1
	s_branch .LBB463_83
	.p2align	6
.LBB463_81:                             ;   in Loop: Header=BB463_83 Depth=1
	global_load_b32 v23, v[21:22], off
	global_load_b32 v24, v[19:20], off
	v_add_co_u32 v19, vcc_lo, v19, 4
	v_add_co_ci_u32_e32 v20, vcc_lo, 0, v20, vcc_lo
	v_add_co_u32 v21, s2, v21, 4
	s_delay_alu instid0(VALU_DEP_1)
	v_add_co_ci_u32_e64 v22, s2, 0, v22, s2
	s_add_u32 s18, s18, 1
	s_addc_u32 s19, s19, 0
	s_and_not1_b32 s2, s35, exec_lo
	s_waitcnt vmcnt(0)
	v_cmp_ne_u32_e32 vcc_lo, v23, v24
	s_and_b32 s35, vcc_lo, exec_lo
	s_delay_alu instid0(SALU_CYCLE_1)
	s_or_b32 s35, s2, s35
.LBB463_82:                             ;   in Loop: Header=BB463_83 Depth=1
	v_dual_mov_b32 v24, s19 :: v_dual_mov_b32 v23, s18
	s_and_b32 s2, exec_lo, s35
	s_delay_alu instid0(SALU_CYCLE_1) | instskip(NEXT) | instid1(SALU_CYCLE_1)
	s_or_b32 s34, s2, s34
	s_and_not1_b32 exec_lo, exec_lo, s34
	s_cbranch_execz .LBB463_85
.LBB463_83:                             ; =>This Inner Loop Header: Depth=1
	s_or_b32 s35, s35, exec_lo
	s_cmp_eq_u64 s[6:7], s[18:19]
	s_cbranch_scc0 .LBB463_81
; %bb.84:                               ;   in Loop: Header=BB463_83 Depth=1
	s_mov_b64 s[18:19], s[22:23]
                                        ; implicit-def: $vgpr19_vgpr20
                                        ; implicit-def: $vgpr21_vgpr22
	s_branch .LBB463_82
.LBB463_85:
	s_set_inst_prefetch_distance 0x2
	s_or_b32 exec_lo, exec_lo, s34
	v_cmp_gt_i64_e32 vcc_lo, s[22:23], v[23:24]
	s_or_not1_b32 s2, vcc_lo, exec_lo
.LBB463_86:
	s_or_b32 exec_lo, exec_lo, s33
.LBB463_87:
	s_waitcnt lgkmcnt(0)
	v_dual_mov_b32 v20, s5 :: v_dual_mov_b32 v19, s4
	s_mov_b32 s6, exec_lo
	s_barrier
	buffer_gl0_inv
	v_cmpx_ne_u32_e32 0, v0
	s_cbranch_execz .LBB463_89
; %bb.88:
	v_add_nc_u32_e32 v19, -8, v39
	ds_load_b64 v[19:20], v19
.LBB463_89:
	s_or_b32 exec_lo, exec_lo, s6
	v_cndmask_b32_e64 v22, 0, 1, s31
	v_cndmask_b32_e64 v24, 0, 1, s29
	;; [unrolled: 1-line block ×7, first 2 shown]
	v_lshlrev_b16 v22, 8, v22
	v_lshlrev_b16 v24, 8, v24
	;; [unrolled: 1-line block ×4, first 2 shown]
	s_mov_b32 s3, 0
	v_or_b32_e32 v21, v21, v22
	v_or_b32_e32 v22, v23, v24
	;; [unrolled: 1-line block ×3, first 2 shown]
	v_and_b32_e32 v23, 0xffff, v27
	s_and_not1_b32 vcc_lo, exec_lo, s26
	v_lshlrev_b32_e32 v24, 16, v21
	v_and_b32_e32 v26, 0xffff, v22
	v_lshlrev_b32_e32 v27, 16, v28
	s_mov_b32 s2, 0
	s_cbranch_vccnz .LBB463_98
; %bb.90:
	s_waitcnt lgkmcnt(0)
	v_mul_lo_u32 v22, v20, s22
	v_mul_lo_u32 v28, v19, s23
	v_mad_u64_u32 v[20:21], null, v19, s22, 0
	s_mov_b32 s2, -1
	s_mov_b32 s27, exec_lo
	s_delay_alu instid0(VALU_DEP_1) | instskip(NEXT) | instid1(VALU_DEP_1)
	v_add3_u32 v21, v21, v28, v22
	v_lshlrev_b64 v[19:20], 2, v[20:21]
	s_delay_alu instid0(VALU_DEP_1) | instskip(NEXT) | instid1(VALU_DEP_2)
	v_add_co_u32 v19, vcc_lo, s8, v19
	v_add_co_ci_u32_e32 v20, vcc_lo, s9, v20, vcc_lo
	v_add_co_u32 v17, vcc_lo, s8, v17
	v_add_co_ci_u32_e32 v18, vcc_lo, s9, v18, vcc_lo
	s_clause 0x1
	global_load_b32 v21, v[19:20], off
	global_load_b32 v22, v[17:18], off
	s_waitcnt vmcnt(0)
	v_cmpx_eq_u32_e64 v21, v22
	s_cbranch_execz .LBB463_97
; %bb.91:
	v_add_co_u32 v17, vcc_lo, v17, 4
	v_add_co_ci_u32_e32 v18, vcc_lo, 0, v18, vcc_lo
	v_add_co_u32 v19, vcc_lo, v19, 4
	v_add_co_ci_u32_e32 v20, vcc_lo, 0, v20, vcc_lo
	s_add_u32 s6, s22, -1
	s_addc_u32 s7, s23, -1
	s_mov_b64 s[18:19], 0
	s_mov_b32 s28, 0
                                        ; implicit-def: $sgpr29
	s_set_inst_prefetch_distance 0x1
	s_branch .LBB463_94
	.p2align	6
.LBB463_92:                             ;   in Loop: Header=BB463_94 Depth=1
	global_load_b32 v21, v[19:20], off
	global_load_b32 v22, v[17:18], off
	v_add_co_u32 v17, vcc_lo, v17, 4
	v_add_co_ci_u32_e32 v18, vcc_lo, 0, v18, vcc_lo
	v_add_co_u32 v19, s2, v19, 4
	s_delay_alu instid0(VALU_DEP_1)
	v_add_co_ci_u32_e64 v20, s2, 0, v20, s2
	s_add_u32 s18, s18, 1
	s_addc_u32 s19, s19, 0
	s_and_not1_b32 s2, s29, exec_lo
	s_waitcnt vmcnt(0)
	v_cmp_ne_u32_e32 vcc_lo, v21, v22
	s_and_b32 s29, vcc_lo, exec_lo
	s_delay_alu instid0(SALU_CYCLE_1)
	s_or_b32 s29, s2, s29
.LBB463_93:                             ;   in Loop: Header=BB463_94 Depth=1
	v_dual_mov_b32 v22, s19 :: v_dual_mov_b32 v21, s18
	s_and_b32 s2, exec_lo, s29
	s_delay_alu instid0(SALU_CYCLE_1) | instskip(NEXT) | instid1(SALU_CYCLE_1)
	s_or_b32 s28, s2, s28
	s_and_not1_b32 exec_lo, exec_lo, s28
	s_cbranch_execz .LBB463_96
.LBB463_94:                             ; =>This Inner Loop Header: Depth=1
	s_or_b32 s29, s29, exec_lo
	s_cmp_eq_u64 s[6:7], s[18:19]
	s_cbranch_scc0 .LBB463_92
; %bb.95:                               ;   in Loop: Header=BB463_94 Depth=1
	s_mov_b64 s[18:19], s[22:23]
                                        ; implicit-def: $vgpr17_vgpr18
                                        ; implicit-def: $vgpr19_vgpr20
	s_branch .LBB463_93
.LBB463_96:
	s_set_inst_prefetch_distance 0x2
	s_or_b32 exec_lo, exec_lo, s28
	v_cmp_gt_i64_e32 vcc_lo, s[22:23], v[21:22]
	s_or_not1_b32 s2, vcc_lo, exec_lo
.LBB463_97:
	s_or_b32 exec_lo, exec_lo, s27
.LBB463_98:
	v_or_b32_e32 v17, v23, v24
	s_delay_alu instid0(VALU_DEP_2)
	v_or_b32_e32 v18, v26, v27
	s_and_b32 vcc_lo, exec_lo, s3
	s_cbranch_vccz .LBB463_190
.LBB463_99:
	v_or_b32_e32 v17, 7, v39
	s_mov_b32 s3, 0
	s_mov_b32 s27, 0
	s_mov_b32 s28, exec_lo
	s_delay_alu instid0(VALU_DEP_1)
	v_cmpx_gt_u32_e64 s20, v17
	s_cbranch_execz .LBB463_110
; %bb.100:
	s_and_not1_b32 vcc_lo, exec_lo, s26
	s_mov_b32 s2, 0
	s_cbranch_vccnz .LBB463_109
; %bb.101:
	v_mul_lo_u32 v21, v2, s22
	v_mul_lo_u32 v22, v1, s23
	v_mad_u64_u32 v[17:18], null, v1, s22, 0
	v_mul_lo_u32 v23, v4, s22
	v_mul_lo_u32 v24, v3, s23
	s_waitcnt lgkmcnt(0)
	v_mad_u64_u32 v[19:20], null, v3, s22, 0
	s_mov_b32 s2, -1
	s_mov_b32 s26, exec_lo
	s_delay_alu instid0(VALU_DEP_4) | instskip(NEXT) | instid1(VALU_DEP_2)
	v_add3_u32 v18, v18, v22, v21
	v_add3_u32 v20, v20, v24, v23
	s_delay_alu instid0(VALU_DEP_2) | instskip(NEXT) | instid1(VALU_DEP_2)
	v_lshlrev_b64 v[17:18], 2, v[17:18]
	v_lshlrev_b64 v[21:22], 2, v[19:20]
	s_delay_alu instid0(VALU_DEP_2) | instskip(NEXT) | instid1(VALU_DEP_3)
	v_add_co_u32 v19, vcc_lo, s8, v17
	v_add_co_ci_u32_e32 v20, vcc_lo, s9, v18, vcc_lo
	s_delay_alu instid0(VALU_DEP_3) | instskip(NEXT) | instid1(VALU_DEP_4)
	v_add_co_u32 v17, vcc_lo, s8, v21
	v_add_co_ci_u32_e32 v18, vcc_lo, s9, v22, vcc_lo
	s_clause 0x1
	global_load_b32 v21, v[19:20], off
	global_load_b32 v22, v[17:18], off
	s_waitcnt vmcnt(0)
	v_cmpx_eq_u32_e64 v21, v22
	s_cbranch_execz .LBB463_108
; %bb.102:
	v_add_co_u32 v17, vcc_lo, v17, 4
	v_add_co_ci_u32_e32 v18, vcc_lo, 0, v18, vcc_lo
	v_add_co_u32 v19, vcc_lo, v19, 4
	v_add_co_ci_u32_e32 v20, vcc_lo, 0, v20, vcc_lo
	s_add_u32 s6, s22, -1
	s_addc_u32 s7, s23, -1
	s_mov_b64 s[18:19], 0
                                        ; implicit-def: $sgpr29
	s_set_inst_prefetch_distance 0x1
	s_branch .LBB463_105
	.p2align	6
.LBB463_103:                            ;   in Loop: Header=BB463_105 Depth=1
	global_load_b32 v21, v[19:20], off
	global_load_b32 v22, v[17:18], off
	v_add_co_u32 v17, vcc_lo, v17, 4
	v_add_co_ci_u32_e32 v18, vcc_lo, 0, v18, vcc_lo
	v_add_co_u32 v19, s2, v19, 4
	s_delay_alu instid0(VALU_DEP_1)
	v_add_co_ci_u32_e64 v20, s2, 0, v20, s2
	s_add_u32 s18, s18, 1
	s_addc_u32 s19, s19, 0
	s_and_not1_b32 s2, s29, exec_lo
	s_waitcnt vmcnt(0)
	v_cmp_ne_u32_e32 vcc_lo, v21, v22
	s_and_b32 s29, vcc_lo, exec_lo
	s_delay_alu instid0(SALU_CYCLE_1)
	s_or_b32 s29, s2, s29
.LBB463_104:                            ;   in Loop: Header=BB463_105 Depth=1
	v_dual_mov_b32 v22, s19 :: v_dual_mov_b32 v21, s18
	s_and_b32 s2, exec_lo, s29
	s_delay_alu instid0(SALU_CYCLE_1) | instskip(NEXT) | instid1(SALU_CYCLE_1)
	s_or_b32 s27, s2, s27
	s_and_not1_b32 exec_lo, exec_lo, s27
	s_cbranch_execz .LBB463_107
.LBB463_105:                            ; =>This Inner Loop Header: Depth=1
	s_or_b32 s29, s29, exec_lo
	s_cmp_eq_u64 s[6:7], s[18:19]
	s_cbranch_scc0 .LBB463_103
; %bb.106:                              ;   in Loop: Header=BB463_105 Depth=1
	s_mov_b64 s[18:19], s[22:23]
                                        ; implicit-def: $vgpr17_vgpr18
                                        ; implicit-def: $vgpr19_vgpr20
	s_branch .LBB463_104
.LBB463_107:
	s_set_inst_prefetch_distance 0x2
	s_or_b32 exec_lo, exec_lo, s27
	v_cmp_gt_i64_e32 vcc_lo, s[22:23], v[21:22]
	s_or_not1_b32 s2, vcc_lo, exec_lo
.LBB463_108:
	s_or_b32 exec_lo, exec_lo, s26
.LBB463_109:
	s_delay_alu instid0(SALU_CYCLE_1)
	s_and_b32 s27, s2, exec_lo
.LBB463_110:
	s_or_b32 exec_lo, exec_lo, s28
	v_or_b32_e32 v17, 6, v39
	s_mov_b32 s26, exec_lo
	s_delay_alu instid0(VALU_DEP_1)
	v_cmpx_gt_u32_e64 s20, v17
	s_cbranch_execz .LBB463_121
; %bb.111:
	v_cmp_ne_u32_e32 vcc_lo, 1, v25
	s_mov_b32 s2, 0
	s_cbranch_vccnz .LBB463_120
; %bb.112:
	v_mul_lo_u32 v21, v8, s22
	v_mul_lo_u32 v22, v7, s23
	v_mad_u64_u32 v[17:18], null, v7, s22, 0
	v_mul_lo_u32 v23, v2, s22
	v_mul_lo_u32 v24, v1, s23
	s_waitcnt lgkmcnt(0)
	v_mad_u64_u32 v[19:20], null, v1, s22, 0
	s_mov_b32 s2, -1
	s_mov_b32 s3, exec_lo
	s_delay_alu instid0(VALU_DEP_4) | instskip(NEXT) | instid1(VALU_DEP_2)
	v_add3_u32 v18, v18, v22, v21
	v_add3_u32 v20, v20, v24, v23
	s_delay_alu instid0(VALU_DEP_2) | instskip(NEXT) | instid1(VALU_DEP_2)
	v_lshlrev_b64 v[17:18], 2, v[17:18]
	v_lshlrev_b64 v[21:22], 2, v[19:20]
	s_delay_alu instid0(VALU_DEP_2) | instskip(NEXT) | instid1(VALU_DEP_3)
	v_add_co_u32 v19, vcc_lo, s8, v17
	v_add_co_ci_u32_e32 v20, vcc_lo, s9, v18, vcc_lo
	s_delay_alu instid0(VALU_DEP_3) | instskip(NEXT) | instid1(VALU_DEP_4)
	v_add_co_u32 v17, vcc_lo, s8, v21
	v_add_co_ci_u32_e32 v18, vcc_lo, s9, v22, vcc_lo
	s_clause 0x1
	global_load_b32 v21, v[19:20], off
	global_load_b32 v22, v[17:18], off
	s_waitcnt vmcnt(0)
	v_cmpx_eq_u32_e64 v21, v22
	s_cbranch_execz .LBB463_119
; %bb.113:
	v_add_co_u32 v17, vcc_lo, v17, 4
	v_add_co_ci_u32_e32 v18, vcc_lo, 0, v18, vcc_lo
	v_add_co_u32 v19, vcc_lo, v19, 4
	v_add_co_ci_u32_e32 v20, vcc_lo, 0, v20, vcc_lo
	s_add_u32 s6, s22, -1
	s_addc_u32 s7, s23, -1
	s_mov_b64 s[18:19], 0
	s_mov_b32 s28, 0
                                        ; implicit-def: $sgpr29
	s_set_inst_prefetch_distance 0x1
	s_branch .LBB463_116
	.p2align	6
.LBB463_114:                            ;   in Loop: Header=BB463_116 Depth=1
	global_load_b32 v21, v[19:20], off
	global_load_b32 v22, v[17:18], off
	v_add_co_u32 v17, vcc_lo, v17, 4
	v_add_co_ci_u32_e32 v18, vcc_lo, 0, v18, vcc_lo
	v_add_co_u32 v19, s2, v19, 4
	s_delay_alu instid0(VALU_DEP_1)
	v_add_co_ci_u32_e64 v20, s2, 0, v20, s2
	s_add_u32 s18, s18, 1
	s_addc_u32 s19, s19, 0
	s_and_not1_b32 s2, s29, exec_lo
	s_waitcnt vmcnt(0)
	v_cmp_ne_u32_e32 vcc_lo, v21, v22
	s_and_b32 s29, vcc_lo, exec_lo
	s_delay_alu instid0(SALU_CYCLE_1)
	s_or_b32 s29, s2, s29
.LBB463_115:                            ;   in Loop: Header=BB463_116 Depth=1
	v_dual_mov_b32 v22, s19 :: v_dual_mov_b32 v21, s18
	s_and_b32 s2, exec_lo, s29
	s_delay_alu instid0(SALU_CYCLE_1) | instskip(NEXT) | instid1(SALU_CYCLE_1)
	s_or_b32 s28, s2, s28
	s_and_not1_b32 exec_lo, exec_lo, s28
	s_cbranch_execz .LBB463_118
.LBB463_116:                            ; =>This Inner Loop Header: Depth=1
	s_or_b32 s29, s29, exec_lo
	s_cmp_eq_u64 s[6:7], s[18:19]
	s_cbranch_scc0 .LBB463_114
; %bb.117:                              ;   in Loop: Header=BB463_116 Depth=1
	s_mov_b64 s[18:19], s[22:23]
                                        ; implicit-def: $vgpr17_vgpr18
                                        ; implicit-def: $vgpr19_vgpr20
	s_branch .LBB463_115
.LBB463_118:
	s_set_inst_prefetch_distance 0x2
	s_or_b32 exec_lo, exec_lo, s28
	v_cmp_gt_i64_e32 vcc_lo, s[22:23], v[21:22]
	s_or_not1_b32 s2, vcc_lo, exec_lo
.LBB463_119:
	s_or_b32 exec_lo, exec_lo, s3
.LBB463_120:
	s_delay_alu instid0(SALU_CYCLE_1)
	s_and_b32 s3, s2, exec_lo
.LBB463_121:
	s_or_b32 exec_lo, exec_lo, s26
	v_or_b32_e32 v17, 5, v39
	s_mov_b32 s28, 0
	s_mov_b32 s26, 0
	s_mov_b32 s29, exec_lo
	s_delay_alu instid0(VALU_DEP_1)
	v_cmpx_gt_u32_e64 s20, v17
	s_cbranch_execz .LBB463_132
; %bb.122:
	v_cmp_ne_u32_e32 vcc_lo, 1, v25
	s_mov_b32 s2, 0
	s_cbranch_vccnz .LBB463_131
; %bb.123:
	v_mul_lo_u32 v21, v6, s22
	v_mul_lo_u32 v22, v5, s23
	v_mad_u64_u32 v[17:18], null, v5, s22, 0
	v_mul_lo_u32 v23, v8, s22
	v_mul_lo_u32 v24, v7, s23
	s_waitcnt lgkmcnt(0)
	v_mad_u64_u32 v[19:20], null, v7, s22, 0
	s_mov_b32 s2, -1
	s_mov_b32 s26, exec_lo
	s_delay_alu instid0(VALU_DEP_4) | instskip(NEXT) | instid1(VALU_DEP_2)
	v_add3_u32 v18, v18, v22, v21
	v_add3_u32 v20, v20, v24, v23
	s_delay_alu instid0(VALU_DEP_2) | instskip(NEXT) | instid1(VALU_DEP_2)
	v_lshlrev_b64 v[17:18], 2, v[17:18]
	v_lshlrev_b64 v[21:22], 2, v[19:20]
	s_delay_alu instid0(VALU_DEP_2) | instskip(NEXT) | instid1(VALU_DEP_3)
	v_add_co_u32 v19, vcc_lo, s8, v17
	v_add_co_ci_u32_e32 v20, vcc_lo, s9, v18, vcc_lo
	s_delay_alu instid0(VALU_DEP_3) | instskip(NEXT) | instid1(VALU_DEP_4)
	v_add_co_u32 v17, vcc_lo, s8, v21
	v_add_co_ci_u32_e32 v18, vcc_lo, s9, v22, vcc_lo
	s_clause 0x1
	global_load_b32 v21, v[19:20], off
	global_load_b32 v22, v[17:18], off
	s_waitcnt vmcnt(0)
	v_cmpx_eq_u32_e64 v21, v22
	s_cbranch_execz .LBB463_130
; %bb.124:
	v_add_co_u32 v17, vcc_lo, v17, 4
	v_add_co_ci_u32_e32 v18, vcc_lo, 0, v18, vcc_lo
	v_add_co_u32 v19, vcc_lo, v19, 4
	v_add_co_ci_u32_e32 v20, vcc_lo, 0, v20, vcc_lo
	s_add_u32 s6, s22, -1
	s_addc_u32 s7, s23, -1
	s_mov_b64 s[18:19], 0
	s_mov_b32 s30, 0
                                        ; implicit-def: $sgpr31
	s_set_inst_prefetch_distance 0x1
	s_branch .LBB463_127
	.p2align	6
.LBB463_125:                            ;   in Loop: Header=BB463_127 Depth=1
	global_load_b32 v21, v[19:20], off
	global_load_b32 v22, v[17:18], off
	v_add_co_u32 v17, vcc_lo, v17, 4
	v_add_co_ci_u32_e32 v18, vcc_lo, 0, v18, vcc_lo
	v_add_co_u32 v19, s2, v19, 4
	s_delay_alu instid0(VALU_DEP_1)
	v_add_co_ci_u32_e64 v20, s2, 0, v20, s2
	s_add_u32 s18, s18, 1
	s_addc_u32 s19, s19, 0
	s_and_not1_b32 s2, s31, exec_lo
	s_waitcnt vmcnt(0)
	v_cmp_ne_u32_e32 vcc_lo, v21, v22
	s_and_b32 s31, vcc_lo, exec_lo
	s_delay_alu instid0(SALU_CYCLE_1)
	s_or_b32 s31, s2, s31
.LBB463_126:                            ;   in Loop: Header=BB463_127 Depth=1
	v_dual_mov_b32 v22, s19 :: v_dual_mov_b32 v21, s18
	s_and_b32 s2, exec_lo, s31
	s_delay_alu instid0(SALU_CYCLE_1) | instskip(NEXT) | instid1(SALU_CYCLE_1)
	s_or_b32 s30, s2, s30
	s_and_not1_b32 exec_lo, exec_lo, s30
	s_cbranch_execz .LBB463_129
.LBB463_127:                            ; =>This Inner Loop Header: Depth=1
	s_or_b32 s31, s31, exec_lo
	s_cmp_eq_u64 s[6:7], s[18:19]
	s_cbranch_scc0 .LBB463_125
; %bb.128:                              ;   in Loop: Header=BB463_127 Depth=1
	s_mov_b64 s[18:19], s[22:23]
                                        ; implicit-def: $vgpr17_vgpr18
                                        ; implicit-def: $vgpr19_vgpr20
	s_branch .LBB463_126
.LBB463_129:
	s_set_inst_prefetch_distance 0x2
	s_or_b32 exec_lo, exec_lo, s30
	v_cmp_gt_i64_e32 vcc_lo, s[22:23], v[21:22]
	s_or_not1_b32 s2, vcc_lo, exec_lo
.LBB463_130:
	s_or_b32 exec_lo, exec_lo, s26
.LBB463_131:
	s_delay_alu instid0(SALU_CYCLE_1)
	s_and_b32 s26, s2, exec_lo
.LBB463_132:
	s_or_b32 exec_lo, exec_lo, s29
	v_or_b32_e32 v17, 4, v39
	s_mov_b32 s29, exec_lo
	s_delay_alu instid0(VALU_DEP_1)
	v_cmpx_gt_u32_e64 s20, v17
	s_cbranch_execz .LBB463_143
; %bb.133:
	v_cmp_ne_u32_e32 vcc_lo, 1, v25
	s_mov_b32 s2, 0
	s_cbranch_vccnz .LBB463_142
; %bb.134:
	v_mul_lo_u32 v21, v12, s22
	v_mul_lo_u32 v22, v11, s23
	v_mad_u64_u32 v[17:18], null, v11, s22, 0
	v_mul_lo_u32 v23, v6, s22
	v_mul_lo_u32 v24, v5, s23
	s_waitcnt lgkmcnt(0)
	v_mad_u64_u32 v[19:20], null, v5, s22, 0
	s_mov_b32 s2, -1
	s_mov_b32 s28, exec_lo
	s_delay_alu instid0(VALU_DEP_4) | instskip(NEXT) | instid1(VALU_DEP_2)
	v_add3_u32 v18, v18, v22, v21
	v_add3_u32 v20, v20, v24, v23
	s_delay_alu instid0(VALU_DEP_2) | instskip(NEXT) | instid1(VALU_DEP_2)
	v_lshlrev_b64 v[17:18], 2, v[17:18]
	v_lshlrev_b64 v[21:22], 2, v[19:20]
	s_delay_alu instid0(VALU_DEP_2) | instskip(NEXT) | instid1(VALU_DEP_3)
	v_add_co_u32 v19, vcc_lo, s8, v17
	v_add_co_ci_u32_e32 v20, vcc_lo, s9, v18, vcc_lo
	s_delay_alu instid0(VALU_DEP_3) | instskip(NEXT) | instid1(VALU_DEP_4)
	v_add_co_u32 v17, vcc_lo, s8, v21
	v_add_co_ci_u32_e32 v18, vcc_lo, s9, v22, vcc_lo
	s_clause 0x1
	global_load_b32 v21, v[19:20], off
	global_load_b32 v22, v[17:18], off
	s_waitcnt vmcnt(0)
	v_cmpx_eq_u32_e64 v21, v22
	s_cbranch_execz .LBB463_141
; %bb.135:
	v_add_co_u32 v17, vcc_lo, v17, 4
	v_add_co_ci_u32_e32 v18, vcc_lo, 0, v18, vcc_lo
	v_add_co_u32 v19, vcc_lo, v19, 4
	v_add_co_ci_u32_e32 v20, vcc_lo, 0, v20, vcc_lo
	s_add_u32 s6, s22, -1
	s_addc_u32 s7, s23, -1
	s_mov_b64 s[18:19], 0
	s_mov_b32 s30, 0
                                        ; implicit-def: $sgpr31
	s_set_inst_prefetch_distance 0x1
	s_branch .LBB463_138
	.p2align	6
.LBB463_136:                            ;   in Loop: Header=BB463_138 Depth=1
	global_load_b32 v21, v[19:20], off
	global_load_b32 v22, v[17:18], off
	v_add_co_u32 v17, vcc_lo, v17, 4
	v_add_co_ci_u32_e32 v18, vcc_lo, 0, v18, vcc_lo
	v_add_co_u32 v19, s2, v19, 4
	s_delay_alu instid0(VALU_DEP_1)
	v_add_co_ci_u32_e64 v20, s2, 0, v20, s2
	s_add_u32 s18, s18, 1
	s_addc_u32 s19, s19, 0
	s_and_not1_b32 s2, s31, exec_lo
	s_waitcnt vmcnt(0)
	v_cmp_ne_u32_e32 vcc_lo, v21, v22
	s_and_b32 s31, vcc_lo, exec_lo
	s_delay_alu instid0(SALU_CYCLE_1)
	s_or_b32 s31, s2, s31
.LBB463_137:                            ;   in Loop: Header=BB463_138 Depth=1
	v_dual_mov_b32 v22, s19 :: v_dual_mov_b32 v21, s18
	s_and_b32 s2, exec_lo, s31
	s_delay_alu instid0(SALU_CYCLE_1) | instskip(NEXT) | instid1(SALU_CYCLE_1)
	s_or_b32 s30, s2, s30
	s_and_not1_b32 exec_lo, exec_lo, s30
	s_cbranch_execz .LBB463_140
.LBB463_138:                            ; =>This Inner Loop Header: Depth=1
	s_or_b32 s31, s31, exec_lo
	s_cmp_eq_u64 s[6:7], s[18:19]
	s_cbranch_scc0 .LBB463_136
; %bb.139:                              ;   in Loop: Header=BB463_138 Depth=1
	s_mov_b64 s[18:19], s[22:23]
                                        ; implicit-def: $vgpr17_vgpr18
                                        ; implicit-def: $vgpr19_vgpr20
	s_branch .LBB463_137
.LBB463_140:
	s_set_inst_prefetch_distance 0x2
	s_or_b32 exec_lo, exec_lo, s30
	v_cmp_gt_i64_e32 vcc_lo, s[22:23], v[21:22]
	s_or_not1_b32 s2, vcc_lo, exec_lo
.LBB463_141:
	s_or_b32 exec_lo, exec_lo, s28
.LBB463_142:
	s_delay_alu instid0(SALU_CYCLE_1)
	s_and_b32 s28, s2, exec_lo
.LBB463_143:
	s_or_b32 exec_lo, exec_lo, s29
	v_or_b32_e32 v17, 3, v39
	s_mov_b32 s30, 0
	s_mov_b32 s29, 0
	s_mov_b32 s31, exec_lo
	s_delay_alu instid0(VALU_DEP_1)
	v_cmpx_gt_u32_e64 s20, v17
	s_cbranch_execz .LBB463_154
; %bb.144:
	v_cmp_ne_u32_e32 vcc_lo, 1, v25
	s_mov_b32 s2, 0
	s_cbranch_vccnz .LBB463_153
; %bb.145:
	v_mul_lo_u32 v21, v10, s22
	v_mul_lo_u32 v22, v9, s23
	v_mad_u64_u32 v[17:18], null, v9, s22, 0
	v_mul_lo_u32 v23, v12, s22
	v_mul_lo_u32 v24, v11, s23
	s_waitcnt lgkmcnt(0)
	v_mad_u64_u32 v[19:20], null, v11, s22, 0
	s_mov_b32 s2, -1
	s_mov_b32 s29, exec_lo
	s_delay_alu instid0(VALU_DEP_4) | instskip(NEXT) | instid1(VALU_DEP_2)
	v_add3_u32 v18, v18, v22, v21
	v_add3_u32 v20, v20, v24, v23
	s_delay_alu instid0(VALU_DEP_2) | instskip(NEXT) | instid1(VALU_DEP_2)
	v_lshlrev_b64 v[17:18], 2, v[17:18]
	v_lshlrev_b64 v[21:22], 2, v[19:20]
	s_delay_alu instid0(VALU_DEP_2) | instskip(NEXT) | instid1(VALU_DEP_3)
	v_add_co_u32 v19, vcc_lo, s8, v17
	v_add_co_ci_u32_e32 v20, vcc_lo, s9, v18, vcc_lo
	s_delay_alu instid0(VALU_DEP_3) | instskip(NEXT) | instid1(VALU_DEP_4)
	v_add_co_u32 v17, vcc_lo, s8, v21
	v_add_co_ci_u32_e32 v18, vcc_lo, s9, v22, vcc_lo
	s_clause 0x1
	global_load_b32 v21, v[19:20], off
	global_load_b32 v22, v[17:18], off
	s_waitcnt vmcnt(0)
	v_cmpx_eq_u32_e64 v21, v22
	s_cbranch_execz .LBB463_152
; %bb.146:
	v_add_co_u32 v17, vcc_lo, v17, 4
	v_add_co_ci_u32_e32 v18, vcc_lo, 0, v18, vcc_lo
	v_add_co_u32 v19, vcc_lo, v19, 4
	v_add_co_ci_u32_e32 v20, vcc_lo, 0, v20, vcc_lo
	s_add_u32 s6, s22, -1
	s_addc_u32 s7, s23, -1
	s_mov_b64 s[18:19], 0
	s_mov_b32 s33, 0
                                        ; implicit-def: $sgpr34
	s_set_inst_prefetch_distance 0x1
	s_branch .LBB463_149
	.p2align	6
.LBB463_147:                            ;   in Loop: Header=BB463_149 Depth=1
	global_load_b32 v21, v[19:20], off
	global_load_b32 v22, v[17:18], off
	v_add_co_u32 v17, vcc_lo, v17, 4
	v_add_co_ci_u32_e32 v18, vcc_lo, 0, v18, vcc_lo
	v_add_co_u32 v19, s2, v19, 4
	s_delay_alu instid0(VALU_DEP_1)
	v_add_co_ci_u32_e64 v20, s2, 0, v20, s2
	s_add_u32 s18, s18, 1
	s_addc_u32 s19, s19, 0
	s_and_not1_b32 s2, s34, exec_lo
	s_waitcnt vmcnt(0)
	v_cmp_ne_u32_e32 vcc_lo, v21, v22
	s_and_b32 s34, vcc_lo, exec_lo
	s_delay_alu instid0(SALU_CYCLE_1)
	s_or_b32 s34, s2, s34
.LBB463_148:                            ;   in Loop: Header=BB463_149 Depth=1
	v_dual_mov_b32 v22, s19 :: v_dual_mov_b32 v21, s18
	s_and_b32 s2, exec_lo, s34
	s_delay_alu instid0(SALU_CYCLE_1) | instskip(NEXT) | instid1(SALU_CYCLE_1)
	s_or_b32 s33, s2, s33
	s_and_not1_b32 exec_lo, exec_lo, s33
	s_cbranch_execz .LBB463_151
.LBB463_149:                            ; =>This Inner Loop Header: Depth=1
	s_or_b32 s34, s34, exec_lo
	s_cmp_eq_u64 s[6:7], s[18:19]
	s_cbranch_scc0 .LBB463_147
; %bb.150:                              ;   in Loop: Header=BB463_149 Depth=1
	s_mov_b64 s[18:19], s[22:23]
                                        ; implicit-def: $vgpr17_vgpr18
                                        ; implicit-def: $vgpr19_vgpr20
	s_branch .LBB463_148
.LBB463_151:
	s_set_inst_prefetch_distance 0x2
	s_or_b32 exec_lo, exec_lo, s33
	v_cmp_gt_i64_e32 vcc_lo, s[22:23], v[21:22]
	s_or_not1_b32 s2, vcc_lo, exec_lo
.LBB463_152:
	s_or_b32 exec_lo, exec_lo, s29
.LBB463_153:
	s_delay_alu instid0(SALU_CYCLE_1)
	s_and_b32 s29, s2, exec_lo
.LBB463_154:
	s_or_b32 exec_lo, exec_lo, s31
	v_or_b32_e32 v17, 2, v39
	s_mov_b32 s31, exec_lo
	s_delay_alu instid0(VALU_DEP_1)
	v_cmpx_gt_u32_e64 s20, v17
	s_cbranch_execz .LBB463_165
; %bb.155:
	v_cmp_ne_u32_e32 vcc_lo, 1, v25
	s_mov_b32 s2, 0
	s_cbranch_vccnz .LBB463_164
; %bb.156:
	v_mul_lo_u32 v21, v16, s22
	v_mul_lo_u32 v22, v15, s23
	v_mad_u64_u32 v[17:18], null, v15, s22, 0
	v_mul_lo_u32 v23, v10, s22
	v_mul_lo_u32 v24, v9, s23
	s_waitcnt lgkmcnt(0)
	v_mad_u64_u32 v[19:20], null, v9, s22, 0
	s_mov_b32 s2, -1
	s_mov_b32 s30, exec_lo
	s_delay_alu instid0(VALU_DEP_4) | instskip(NEXT) | instid1(VALU_DEP_2)
	v_add3_u32 v18, v18, v22, v21
	v_add3_u32 v20, v20, v24, v23
	s_delay_alu instid0(VALU_DEP_2) | instskip(NEXT) | instid1(VALU_DEP_2)
	v_lshlrev_b64 v[17:18], 2, v[17:18]
	v_lshlrev_b64 v[21:22], 2, v[19:20]
	s_delay_alu instid0(VALU_DEP_2) | instskip(NEXT) | instid1(VALU_DEP_3)
	v_add_co_u32 v19, vcc_lo, s8, v17
	v_add_co_ci_u32_e32 v20, vcc_lo, s9, v18, vcc_lo
	s_delay_alu instid0(VALU_DEP_3) | instskip(NEXT) | instid1(VALU_DEP_4)
	v_add_co_u32 v17, vcc_lo, s8, v21
	v_add_co_ci_u32_e32 v18, vcc_lo, s9, v22, vcc_lo
	s_clause 0x1
	global_load_b32 v21, v[19:20], off
	global_load_b32 v22, v[17:18], off
	s_waitcnt vmcnt(0)
	v_cmpx_eq_u32_e64 v21, v22
	s_cbranch_execz .LBB463_163
; %bb.157:
	v_add_co_u32 v17, vcc_lo, v17, 4
	v_add_co_ci_u32_e32 v18, vcc_lo, 0, v18, vcc_lo
	v_add_co_u32 v19, vcc_lo, v19, 4
	v_add_co_ci_u32_e32 v20, vcc_lo, 0, v20, vcc_lo
	s_add_u32 s6, s22, -1
	s_addc_u32 s7, s23, -1
	s_mov_b64 s[18:19], 0
	s_mov_b32 s33, 0
                                        ; implicit-def: $sgpr34
	s_set_inst_prefetch_distance 0x1
	s_branch .LBB463_160
	.p2align	6
.LBB463_158:                            ;   in Loop: Header=BB463_160 Depth=1
	global_load_b32 v21, v[19:20], off
	global_load_b32 v22, v[17:18], off
	v_add_co_u32 v17, vcc_lo, v17, 4
	v_add_co_ci_u32_e32 v18, vcc_lo, 0, v18, vcc_lo
	v_add_co_u32 v19, s2, v19, 4
	s_delay_alu instid0(VALU_DEP_1)
	v_add_co_ci_u32_e64 v20, s2, 0, v20, s2
	s_add_u32 s18, s18, 1
	s_addc_u32 s19, s19, 0
	s_and_not1_b32 s2, s34, exec_lo
	s_waitcnt vmcnt(0)
	v_cmp_ne_u32_e32 vcc_lo, v21, v22
	s_and_b32 s34, vcc_lo, exec_lo
	s_delay_alu instid0(SALU_CYCLE_1)
	s_or_b32 s34, s2, s34
.LBB463_159:                            ;   in Loop: Header=BB463_160 Depth=1
	v_dual_mov_b32 v22, s19 :: v_dual_mov_b32 v21, s18
	s_and_b32 s2, exec_lo, s34
	s_delay_alu instid0(SALU_CYCLE_1) | instskip(NEXT) | instid1(SALU_CYCLE_1)
	s_or_b32 s33, s2, s33
	s_and_not1_b32 exec_lo, exec_lo, s33
	s_cbranch_execz .LBB463_162
.LBB463_160:                            ; =>This Inner Loop Header: Depth=1
	s_or_b32 s34, s34, exec_lo
	s_cmp_eq_u64 s[6:7], s[18:19]
	s_cbranch_scc0 .LBB463_158
; %bb.161:                              ;   in Loop: Header=BB463_160 Depth=1
	s_mov_b64 s[18:19], s[22:23]
                                        ; implicit-def: $vgpr17_vgpr18
                                        ; implicit-def: $vgpr19_vgpr20
	s_branch .LBB463_159
.LBB463_162:
	s_set_inst_prefetch_distance 0x2
	s_or_b32 exec_lo, exec_lo, s33
	v_cmp_gt_i64_e32 vcc_lo, s[22:23], v[21:22]
	s_or_not1_b32 s2, vcc_lo, exec_lo
.LBB463_163:
	s_or_b32 exec_lo, exec_lo, s30
.LBB463_164:
	s_delay_alu instid0(SALU_CYCLE_1)
	s_and_b32 s30, s2, exec_lo
.LBB463_165:
	s_or_b32 exec_lo, exec_lo, s31
	v_or_b32_e32 v17, 1, v39
	s_mov_b32 s2, 0
	s_mov_b32 s31, exec_lo
	s_delay_alu instid0(VALU_DEP_1)
	v_cmpx_gt_u32_e64 s20, v17
	s_cbranch_execz .LBB463_176
; %bb.166:
	v_cmp_ne_u32_e32 vcc_lo, 1, v25
	s_cbranch_vccnz .LBB463_175
; %bb.167:
	v_mul_lo_u32 v21, v14, s22
	v_mul_lo_u32 v22, v13, s23
	v_mad_u64_u32 v[17:18], null, v13, s22, 0
	v_mul_lo_u32 v23, v16, s22
	v_mul_lo_u32 v24, v15, s23
	s_waitcnt lgkmcnt(0)
	v_mad_u64_u32 v[19:20], null, v15, s22, 0
	s_mov_b32 s2, -1
	s_mov_b32 s33, exec_lo
	s_delay_alu instid0(VALU_DEP_4) | instskip(NEXT) | instid1(VALU_DEP_2)
	v_add3_u32 v18, v18, v22, v21
	v_add3_u32 v20, v20, v24, v23
	s_delay_alu instid0(VALU_DEP_2) | instskip(NEXT) | instid1(VALU_DEP_2)
	v_lshlrev_b64 v[17:18], 2, v[17:18]
	v_lshlrev_b64 v[21:22], 2, v[19:20]
	s_delay_alu instid0(VALU_DEP_2) | instskip(NEXT) | instid1(VALU_DEP_3)
	v_add_co_u32 v19, vcc_lo, s8, v17
	v_add_co_ci_u32_e32 v20, vcc_lo, s9, v18, vcc_lo
	s_delay_alu instid0(VALU_DEP_3) | instskip(NEXT) | instid1(VALU_DEP_4)
	v_add_co_u32 v17, vcc_lo, s8, v21
	v_add_co_ci_u32_e32 v18, vcc_lo, s9, v22, vcc_lo
	s_clause 0x1
	global_load_b32 v21, v[19:20], off
	global_load_b32 v22, v[17:18], off
	s_waitcnt vmcnt(0)
	v_cmpx_eq_u32_e64 v21, v22
	s_cbranch_execz .LBB463_174
; %bb.168:
	v_add_co_u32 v17, vcc_lo, v17, 4
	v_add_co_ci_u32_e32 v18, vcc_lo, 0, v18, vcc_lo
	v_add_co_u32 v19, vcc_lo, v19, 4
	v_add_co_ci_u32_e32 v20, vcc_lo, 0, v20, vcc_lo
	s_add_u32 s6, s22, -1
	s_addc_u32 s7, s23, -1
	s_mov_b64 s[18:19], 0
	s_mov_b32 s34, 0
                                        ; implicit-def: $sgpr35
	s_set_inst_prefetch_distance 0x1
	s_branch .LBB463_171
	.p2align	6
.LBB463_169:                            ;   in Loop: Header=BB463_171 Depth=1
	global_load_b32 v21, v[19:20], off
	global_load_b32 v22, v[17:18], off
	v_add_co_u32 v17, vcc_lo, v17, 4
	v_add_co_ci_u32_e32 v18, vcc_lo, 0, v18, vcc_lo
	v_add_co_u32 v19, s2, v19, 4
	s_delay_alu instid0(VALU_DEP_1)
	v_add_co_ci_u32_e64 v20, s2, 0, v20, s2
	s_add_u32 s18, s18, 1
	s_addc_u32 s19, s19, 0
	s_and_not1_b32 s2, s35, exec_lo
	s_waitcnt vmcnt(0)
	v_cmp_ne_u32_e32 vcc_lo, v21, v22
	s_and_b32 s35, vcc_lo, exec_lo
	s_delay_alu instid0(SALU_CYCLE_1)
	s_or_b32 s35, s2, s35
.LBB463_170:                            ;   in Loop: Header=BB463_171 Depth=1
	v_dual_mov_b32 v22, s19 :: v_dual_mov_b32 v21, s18
	s_and_b32 s2, exec_lo, s35
	s_delay_alu instid0(SALU_CYCLE_1) | instskip(NEXT) | instid1(SALU_CYCLE_1)
	s_or_b32 s34, s2, s34
	s_and_not1_b32 exec_lo, exec_lo, s34
	s_cbranch_execz .LBB463_173
.LBB463_171:                            ; =>This Inner Loop Header: Depth=1
	s_or_b32 s35, s35, exec_lo
	s_cmp_eq_u64 s[6:7], s[18:19]
	s_cbranch_scc0 .LBB463_169
; %bb.172:                              ;   in Loop: Header=BB463_171 Depth=1
	s_mov_b64 s[18:19], s[22:23]
                                        ; implicit-def: $vgpr17_vgpr18
                                        ; implicit-def: $vgpr19_vgpr20
	s_branch .LBB463_170
.LBB463_173:
	s_set_inst_prefetch_distance 0x2
	s_or_b32 exec_lo, exec_lo, s34
	v_cmp_gt_i64_e32 vcc_lo, s[22:23], v[21:22]
	s_or_not1_b32 s2, vcc_lo, exec_lo
.LBB463_174:
	s_or_b32 exec_lo, exec_lo, s33
.LBB463_175:
	s_delay_alu instid0(SALU_CYCLE_1)
	s_and_b32 s2, s2, exec_lo
.LBB463_176:
	s_or_b32 exec_lo, exec_lo, s31
	s_waitcnt lgkmcnt(0)
	v_dual_mov_b32 v18, s5 :: v_dual_mov_b32 v17, s4
	s_mov_b32 s4, exec_lo
	s_barrier
	buffer_gl0_inv
	v_cmpx_ne_u32_e32 0, v0
	s_cbranch_execz .LBB463_178
; %bb.177:
	v_add_nc_u32_e32 v17, -8, v39
	ds_load_b64 v[17:18], v17
.LBB463_178:
	s_or_b32 exec_lo, exec_lo, s4
	v_cndmask_b32_e64 v20, 0, 1, s29
	v_cndmask_b32_e64 v22, 0, 1, s26
	v_cndmask_b32_e64 v23, 0, 1, s27
	v_cndmask_b32_e64 v19, 0, 1, s30
	v_cndmask_b32_e64 v21, 0, 1, s28
	v_cndmask_b32_e64 v24, 0, 1, s3
	v_cndmask_b32_e64 v26, 0, 1, s2
	v_lshlrev_b16 v20, 8, v20
	v_lshlrev_b16 v22, 8, v22
	;; [unrolled: 1-line block ×3, first 2 shown]
	s_mov_b32 s2, 0
	v_lshlrev_b16 v26, 8, v26
	v_or_b32_e32 v19, v19, v20
	v_or_b32_e32 v20, v21, v22
	;; [unrolled: 1-line block ×3, first 2 shown]
	s_mov_b32 s3, exec_lo
	v_and_b32_e32 v23, 0xffff, v26
	v_lshlrev_b32_e32 v24, 16, v19
	v_and_b32_e32 v26, 0xffff, v20
	v_lshlrev_b32_e32 v27, 16, v21
	v_cmpx_gt_u32_e64 s20, v39
	s_cbranch_execz .LBB463_189
; %bb.179:
	v_cmp_ne_u32_e32 vcc_lo, 1, v25
	s_cbranch_vccnz .LBB463_188
; %bb.180:
	s_waitcnt lgkmcnt(0)
	v_mul_lo_u32 v22, v18, s22
	v_mul_lo_u32 v25, v17, s23
	v_mad_u64_u32 v[18:19], null, v17, s22, 0
	v_mul_lo_u32 v17, v14, s22
	v_mul_lo_u32 v28, v13, s23
	v_mad_u64_u32 v[20:21], null, v13, s22, 0
	s_mov_b32 s2, -1
	s_mov_b32 s18, exec_lo
	s_delay_alu instid0(VALU_DEP_4) | instskip(NEXT) | instid1(VALU_DEP_2)
	v_add3_u32 v19, v19, v25, v22
	v_add3_u32 v21, v21, v28, v17
	s_delay_alu instid0(VALU_DEP_2) | instskip(NEXT) | instid1(VALU_DEP_2)
	v_lshlrev_b64 v[17:18], 2, v[18:19]
	v_lshlrev_b64 v[21:22], 2, v[20:21]
	s_delay_alu instid0(VALU_DEP_2) | instskip(NEXT) | instid1(VALU_DEP_3)
	v_add_co_u32 v19, vcc_lo, s8, v17
	v_add_co_ci_u32_e32 v20, vcc_lo, s9, v18, vcc_lo
	s_delay_alu instid0(VALU_DEP_3) | instskip(NEXT) | instid1(VALU_DEP_4)
	v_add_co_u32 v17, vcc_lo, s8, v21
	v_add_co_ci_u32_e32 v18, vcc_lo, s9, v22, vcc_lo
	s_clause 0x1
	global_load_b32 v21, v[19:20], off
	global_load_b32 v22, v[17:18], off
	s_waitcnt vmcnt(0)
	v_cmpx_eq_u32_e64 v21, v22
	s_cbranch_execz .LBB463_187
; %bb.181:
	v_add_co_u32 v17, vcc_lo, v17, 4
	v_add_co_ci_u32_e32 v18, vcc_lo, 0, v18, vcc_lo
	v_add_co_u32 v19, vcc_lo, v19, 4
	v_add_co_ci_u32_e32 v20, vcc_lo, 0, v20, vcc_lo
	s_add_u32 s4, s22, -1
	s_addc_u32 s5, s23, -1
	s_mov_b64 s[6:7], 0
	s_mov_b32 s19, 0
                                        ; implicit-def: $sgpr26
	s_set_inst_prefetch_distance 0x1
	s_branch .LBB463_184
	.p2align	6
.LBB463_182:                            ;   in Loop: Header=BB463_184 Depth=1
	global_load_b32 v21, v[19:20], off
	global_load_b32 v22, v[17:18], off
	v_add_co_u32 v17, vcc_lo, v17, 4
	v_add_co_ci_u32_e32 v18, vcc_lo, 0, v18, vcc_lo
	v_add_co_u32 v19, s2, v19, 4
	s_delay_alu instid0(VALU_DEP_1)
	v_add_co_ci_u32_e64 v20, s2, 0, v20, s2
	s_add_u32 s6, s6, 1
	s_addc_u32 s7, s7, 0
	s_and_not1_b32 s2, s26, exec_lo
	s_waitcnt vmcnt(0)
	v_cmp_ne_u32_e32 vcc_lo, v21, v22
	s_and_b32 s26, vcc_lo, exec_lo
	s_delay_alu instid0(SALU_CYCLE_1)
	s_or_b32 s26, s2, s26
.LBB463_183:                            ;   in Loop: Header=BB463_184 Depth=1
	v_dual_mov_b32 v22, s7 :: v_dual_mov_b32 v21, s6
	s_and_b32 s2, exec_lo, s26
	s_delay_alu instid0(SALU_CYCLE_1) | instskip(NEXT) | instid1(SALU_CYCLE_1)
	s_or_b32 s19, s2, s19
	s_and_not1_b32 exec_lo, exec_lo, s19
	s_cbranch_execz .LBB463_186
.LBB463_184:                            ; =>This Inner Loop Header: Depth=1
	s_or_b32 s26, s26, exec_lo
	s_cmp_eq_u64 s[4:5], s[6:7]
	s_cbranch_scc0 .LBB463_182
; %bb.185:                              ;   in Loop: Header=BB463_184 Depth=1
	s_mov_b64 s[6:7], s[22:23]
                                        ; implicit-def: $vgpr17_vgpr18
                                        ; implicit-def: $vgpr19_vgpr20
	s_branch .LBB463_183
.LBB463_186:
	s_set_inst_prefetch_distance 0x2
	s_or_b32 exec_lo, exec_lo, s19
	v_cmp_gt_i64_e32 vcc_lo, s[22:23], v[21:22]
	s_or_not1_b32 s2, vcc_lo, exec_lo
.LBB463_187:
	s_or_b32 exec_lo, exec_lo, s18
.LBB463_188:
	s_delay_alu instid0(SALU_CYCLE_1)
	s_and_b32 s2, s2, exec_lo
.LBB463_189:
	s_or_b32 exec_lo, exec_lo, s3
	s_waitcnt lgkmcnt(0)
	v_or_b32_e32 v17, v23, v24
	v_or_b32_e32 v18, v26, v27
.LBB463_190:
	s_mov_b32 s18, -1
	s_cbranch_execnz .LBB463_359
.LBB463_191:
	v_cmp_gt_i64_e64 s3, s[22:23], 0
	s_and_b32 vcc_lo, exec_lo, s21
	ds_store_b64 v39, v[3:4]
	s_cbranch_vccz .LBB463_199
; %bb.192:
	s_waitcnt lgkmcnt(0)
	v_mul_lo_u32 v19, v2, s22
	v_mul_lo_u32 v20, v1, s23
	v_mad_u64_u32 v[17:18], null, v1, s22, 0
	s_mov_b32 s19, 0
	s_and_not1_b32 vcc_lo, exec_lo, s3
	s_mov_b32 s26, 0
	s_delay_alu instid0(VALU_DEP_1) | instskip(NEXT) | instid1(VALU_DEP_1)
	v_add3_u32 v18, v18, v20, v19
	v_lshlrev_b64 v[17:18], 2, v[17:18]
	s_cbranch_vccnz .LBB463_202
; %bb.193:
	v_mul_lo_u32 v21, v4, s22
	v_mul_lo_u32 v22, v3, s23
	v_mad_u64_u32 v[19:20], null, v3, s22, 0
	s_mov_b32 s26, -1
	s_mov_b32 s27, exec_lo
	s_delay_alu instid0(VALU_DEP_1) | instskip(SKIP_2) | instid1(VALU_DEP_3)
	v_add3_u32 v20, v20, v22, v21
	v_add_co_u32 v21, vcc_lo, s8, v17
	v_add_co_ci_u32_e32 v22, vcc_lo, s9, v18, vcc_lo
	v_lshlrev_b64 v[19:20], 2, v[19:20]
	s_delay_alu instid0(VALU_DEP_1) | instskip(NEXT) | instid1(VALU_DEP_2)
	v_add_co_u32 v19, vcc_lo, s8, v19
	v_add_co_ci_u32_e32 v20, vcc_lo, s9, v20, vcc_lo
	s_clause 0x1
	global_load_b32 v23, v[21:22], off
	global_load_b32 v24, v[19:20], off
	s_waitcnt vmcnt(0)
	v_cmpx_eq_u32_e64 v23, v24
	s_cbranch_execz .LBB463_201
; %bb.194:
	v_add_co_u32 v19, vcc_lo, v19, 4
	v_add_co_ci_u32_e32 v20, vcc_lo, 0, v20, vcc_lo
	v_add_co_u32 v21, vcc_lo, v21, 4
	v_add_co_ci_u32_e32 v22, vcc_lo, 0, v22, vcc_lo
	s_add_u32 s4, s22, -1
	s_addc_u32 s5, s23, -1
	s_mov_b64 s[6:7], 0
	s_mov_b32 s26, 0
                                        ; implicit-def: $sgpr28
	s_set_inst_prefetch_distance 0x1
	s_branch .LBB463_197
	.p2align	6
.LBB463_195:                            ;   in Loop: Header=BB463_197 Depth=1
	global_load_b32 v23, v[21:22], off
	global_load_b32 v24, v[19:20], off
	v_add_co_u32 v19, vcc_lo, v19, 4
	v_add_co_ci_u32_e32 v20, vcc_lo, 0, v20, vcc_lo
	v_add_co_u32 v21, s2, v21, 4
	s_delay_alu instid0(VALU_DEP_1)
	v_add_co_ci_u32_e64 v22, s2, 0, v22, s2
	s_add_u32 s6, s6, 1
	s_addc_u32 s7, s7, 0
	s_and_not1_b32 s2, s28, exec_lo
	s_waitcnt vmcnt(0)
	v_cmp_ne_u32_e32 vcc_lo, v23, v24
	s_and_b32 s28, vcc_lo, exec_lo
	s_delay_alu instid0(SALU_CYCLE_1)
	s_or_b32 s28, s2, s28
.LBB463_196:                            ;   in Loop: Header=BB463_197 Depth=1
	v_dual_mov_b32 v24, s7 :: v_dual_mov_b32 v23, s6
	s_and_b32 s2, exec_lo, s28
	s_delay_alu instid0(SALU_CYCLE_1) | instskip(NEXT) | instid1(SALU_CYCLE_1)
	s_or_b32 s26, s2, s26
	s_and_not1_b32 exec_lo, exec_lo, s26
	s_cbranch_execz .LBB463_200
.LBB463_197:                            ; =>This Inner Loop Header: Depth=1
	s_or_b32 s28, s28, exec_lo
	s_cmp_eq_u64 s[4:5], s[6:7]
	s_cbranch_scc0 .LBB463_195
; %bb.198:                              ;   in Loop: Header=BB463_197 Depth=1
	s_mov_b64 s[6:7], s[22:23]
                                        ; implicit-def: $vgpr19_vgpr20
                                        ; implicit-def: $vgpr21_vgpr22
	s_branch .LBB463_196
.LBB463_199:
	s_waitcnt lgkmcnt(0)
                                        ; implicit-def: $sgpr2
                                        ; implicit-def: $vgpr18
	s_cbranch_execnz .LBB463_268
	s_branch .LBB463_359
.LBB463_200:
	s_set_inst_prefetch_distance 0x2
	s_or_b32 exec_lo, exec_lo, s26
	v_cmp_gt_i64_e32 vcc_lo, s[22:23], v[23:24]
	s_or_not1_b32 s26, vcc_lo, exec_lo
.LBB463_201:
	s_or_b32 exec_lo, exec_lo, s27
.LBB463_202:
	v_mul_lo_u32 v21, v8, s22
	v_mul_lo_u32 v22, v7, s23
	v_mad_u64_u32 v[19:20], null, v7, s22, 0
	s_and_not1_b32 vcc_lo, exec_lo, s3
	s_delay_alu instid0(VALU_DEP_1) | instskip(NEXT) | instid1(VALU_DEP_1)
	v_add3_u32 v20, v20, v22, v21
	v_lshlrev_b64 v[19:20], 2, v[19:20]
	s_cbranch_vccnz .LBB463_211
; %bb.203:
	s_delay_alu instid0(VALU_DEP_1) | instskip(NEXT) | instid1(VALU_DEP_2)
	v_add_co_u32 v21, vcc_lo, s8, v19
	v_add_co_ci_u32_e32 v22, vcc_lo, s9, v20, vcc_lo
	v_add_co_u32 v17, vcc_lo, s8, v17
	v_add_co_ci_u32_e32 v18, vcc_lo, s9, v18, vcc_lo
	s_mov_b32 s19, -1
	s_clause 0x1
	global_load_b32 v23, v[21:22], off
	global_load_b32 v24, v[17:18], off
	s_mov_b32 s27, exec_lo
	s_waitcnt vmcnt(0)
	v_cmpx_eq_u32_e64 v23, v24
	s_cbranch_execz .LBB463_210
; %bb.204:
	v_add_co_u32 v17, vcc_lo, v17, 4
	v_add_co_ci_u32_e32 v18, vcc_lo, 0, v18, vcc_lo
	v_add_co_u32 v21, vcc_lo, v21, 4
	v_add_co_ci_u32_e32 v22, vcc_lo, 0, v22, vcc_lo
	s_add_u32 s4, s22, -1
	s_addc_u32 s5, s23, -1
	s_mov_b64 s[6:7], 0
	s_mov_b32 s19, 0
                                        ; implicit-def: $sgpr28
	s_set_inst_prefetch_distance 0x1
	s_branch .LBB463_207
	.p2align	6
.LBB463_205:                            ;   in Loop: Header=BB463_207 Depth=1
	global_load_b32 v23, v[21:22], off
	global_load_b32 v24, v[17:18], off
	v_add_co_u32 v17, vcc_lo, v17, 4
	v_add_co_ci_u32_e32 v18, vcc_lo, 0, v18, vcc_lo
	v_add_co_u32 v21, s2, v21, 4
	s_delay_alu instid0(VALU_DEP_1)
	v_add_co_ci_u32_e64 v22, s2, 0, v22, s2
	s_add_u32 s6, s6, 1
	s_addc_u32 s7, s7, 0
	s_and_not1_b32 s2, s28, exec_lo
	s_waitcnt vmcnt(0)
	v_cmp_ne_u32_e32 vcc_lo, v23, v24
	s_and_b32 s28, vcc_lo, exec_lo
	s_delay_alu instid0(SALU_CYCLE_1)
	s_or_b32 s28, s2, s28
.LBB463_206:                            ;   in Loop: Header=BB463_207 Depth=1
	v_dual_mov_b32 v24, s7 :: v_dual_mov_b32 v23, s6
	s_and_b32 s2, exec_lo, s28
	s_delay_alu instid0(SALU_CYCLE_1) | instskip(NEXT) | instid1(SALU_CYCLE_1)
	s_or_b32 s19, s2, s19
	s_and_not1_b32 exec_lo, exec_lo, s19
	s_cbranch_execz .LBB463_209
.LBB463_207:                            ; =>This Inner Loop Header: Depth=1
	s_or_b32 s28, s28, exec_lo
	s_cmp_eq_u64 s[4:5], s[6:7]
	s_cbranch_scc0 .LBB463_205
; %bb.208:                              ;   in Loop: Header=BB463_207 Depth=1
	s_mov_b64 s[6:7], s[22:23]
                                        ; implicit-def: $vgpr17_vgpr18
                                        ; implicit-def: $vgpr21_vgpr22
	s_branch .LBB463_206
.LBB463_209:
	s_set_inst_prefetch_distance 0x2
	s_or_b32 exec_lo, exec_lo, s19
	v_cmp_gt_i64_e32 vcc_lo, s[22:23], v[23:24]
	s_or_not1_b32 s19, vcc_lo, exec_lo
.LBB463_210:
	s_or_b32 exec_lo, exec_lo, s27
.LBB463_211:
	v_mul_lo_u32 v21, v6, s22
	v_mul_lo_u32 v22, v5, s23
	v_mad_u64_u32 v[17:18], null, v5, s22, 0
	s_mov_b32 s27, 0
	s_and_not1_b32 vcc_lo, exec_lo, s3
	s_mov_b32 s28, 0
	s_delay_alu instid0(VALU_DEP_1) | instskip(NEXT) | instid1(VALU_DEP_1)
	v_add3_u32 v18, v18, v22, v21
	v_lshlrev_b64 v[21:22], 2, v[17:18]
	s_cbranch_vccnz .LBB463_220
; %bb.212:
	s_delay_alu instid0(VALU_DEP_1) | instskip(NEXT) | instid1(VALU_DEP_2)
	v_add_co_u32 v23, vcc_lo, s8, v21
	v_add_co_ci_u32_e32 v24, vcc_lo, s9, v22, vcc_lo
	v_add_co_u32 v17, vcc_lo, s8, v19
	v_add_co_ci_u32_e32 v18, vcc_lo, s9, v20, vcc_lo
	s_mov_b32 s28, -1
	s_clause 0x1
	global_load_b32 v19, v[23:24], off
	global_load_b32 v20, v[17:18], off
	s_mov_b32 s29, exec_lo
	s_waitcnt vmcnt(0)
	v_cmpx_eq_u32_e64 v19, v20
	s_cbranch_execz .LBB463_219
; %bb.213:
	v_add_co_u32 v17, vcc_lo, v17, 4
	v_add_co_ci_u32_e32 v18, vcc_lo, 0, v18, vcc_lo
	v_add_co_u32 v19, vcc_lo, v23, 4
	v_add_co_ci_u32_e32 v20, vcc_lo, 0, v24, vcc_lo
	s_add_u32 s4, s22, -1
	s_addc_u32 s5, s23, -1
	s_mov_b64 s[6:7], 0
	s_mov_b32 s28, 0
                                        ; implicit-def: $sgpr30
	s_set_inst_prefetch_distance 0x1
	s_branch .LBB463_216
	.p2align	6
.LBB463_214:                            ;   in Loop: Header=BB463_216 Depth=1
	global_load_b32 v23, v[19:20], off
	global_load_b32 v24, v[17:18], off
	v_add_co_u32 v17, vcc_lo, v17, 4
	v_add_co_ci_u32_e32 v18, vcc_lo, 0, v18, vcc_lo
	v_add_co_u32 v19, s2, v19, 4
	s_delay_alu instid0(VALU_DEP_1)
	v_add_co_ci_u32_e64 v20, s2, 0, v20, s2
	s_add_u32 s6, s6, 1
	s_addc_u32 s7, s7, 0
	s_and_not1_b32 s2, s30, exec_lo
	s_waitcnt vmcnt(0)
	v_cmp_ne_u32_e32 vcc_lo, v23, v24
	s_and_b32 s30, vcc_lo, exec_lo
	s_delay_alu instid0(SALU_CYCLE_1)
	s_or_b32 s30, s2, s30
.LBB463_215:                            ;   in Loop: Header=BB463_216 Depth=1
	v_dual_mov_b32 v24, s7 :: v_dual_mov_b32 v23, s6
	s_and_b32 s2, exec_lo, s30
	s_delay_alu instid0(SALU_CYCLE_1) | instskip(NEXT) | instid1(SALU_CYCLE_1)
	s_or_b32 s28, s2, s28
	s_and_not1_b32 exec_lo, exec_lo, s28
	s_cbranch_execz .LBB463_218
.LBB463_216:                            ; =>This Inner Loop Header: Depth=1
	s_or_b32 s30, s30, exec_lo
	s_cmp_eq_u64 s[4:5], s[6:7]
	s_cbranch_scc0 .LBB463_214
; %bb.217:                              ;   in Loop: Header=BB463_216 Depth=1
	s_mov_b64 s[6:7], s[22:23]
                                        ; implicit-def: $vgpr17_vgpr18
                                        ; implicit-def: $vgpr19_vgpr20
	s_branch .LBB463_215
.LBB463_218:
	s_set_inst_prefetch_distance 0x2
	s_or_b32 exec_lo, exec_lo, s28
	v_cmp_gt_i64_e32 vcc_lo, s[22:23], v[23:24]
	s_or_not1_b32 s28, vcc_lo, exec_lo
.LBB463_219:
	s_or_b32 exec_lo, exec_lo, s29
.LBB463_220:
	v_mul_lo_u32 v19, v12, s22
	v_mul_lo_u32 v20, v11, s23
	v_mad_u64_u32 v[17:18], null, v11, s22, 0
	s_and_not1_b32 vcc_lo, exec_lo, s3
	s_delay_alu instid0(VALU_DEP_1) | instskip(NEXT) | instid1(VALU_DEP_1)
	v_add3_u32 v18, v18, v20, v19
	v_lshlrev_b64 v[17:18], 2, v[17:18]
	s_cbranch_vccnz .LBB463_229
; %bb.221:
	s_delay_alu instid0(VALU_DEP_1) | instskip(NEXT) | instid1(VALU_DEP_2)
	v_add_co_u32 v23, vcc_lo, s8, v17
	v_add_co_ci_u32_e32 v24, vcc_lo, s9, v18, vcc_lo
	v_add_co_u32 v19, vcc_lo, s8, v21
	v_add_co_ci_u32_e32 v20, vcc_lo, s9, v22, vcc_lo
	s_mov_b32 s27, -1
	s_clause 0x1
	global_load_b32 v21, v[23:24], off
	global_load_b32 v22, v[19:20], off
	s_mov_b32 s29, exec_lo
	s_waitcnt vmcnt(0)
	v_cmpx_eq_u32_e64 v21, v22
	s_cbranch_execz .LBB463_228
; %bb.222:
	v_add_co_u32 v19, vcc_lo, v19, 4
	v_add_co_ci_u32_e32 v20, vcc_lo, 0, v20, vcc_lo
	v_add_co_u32 v21, vcc_lo, v23, 4
	v_add_co_ci_u32_e32 v22, vcc_lo, 0, v24, vcc_lo
	s_add_u32 s4, s22, -1
	s_addc_u32 s5, s23, -1
	s_mov_b64 s[6:7], 0
	s_mov_b32 s27, 0
                                        ; implicit-def: $sgpr30
	s_set_inst_prefetch_distance 0x1
	s_branch .LBB463_225
	.p2align	6
.LBB463_223:                            ;   in Loop: Header=BB463_225 Depth=1
	global_load_b32 v23, v[21:22], off
	global_load_b32 v24, v[19:20], off
	v_add_co_u32 v19, vcc_lo, v19, 4
	v_add_co_ci_u32_e32 v20, vcc_lo, 0, v20, vcc_lo
	v_add_co_u32 v21, s2, v21, 4
	s_delay_alu instid0(VALU_DEP_1)
	v_add_co_ci_u32_e64 v22, s2, 0, v22, s2
	s_add_u32 s6, s6, 1
	s_addc_u32 s7, s7, 0
	s_and_not1_b32 s2, s30, exec_lo
	s_waitcnt vmcnt(0)
	v_cmp_ne_u32_e32 vcc_lo, v23, v24
	s_and_b32 s30, vcc_lo, exec_lo
	s_delay_alu instid0(SALU_CYCLE_1)
	s_or_b32 s30, s2, s30
.LBB463_224:                            ;   in Loop: Header=BB463_225 Depth=1
	v_dual_mov_b32 v24, s7 :: v_dual_mov_b32 v23, s6
	s_and_b32 s2, exec_lo, s30
	s_delay_alu instid0(SALU_CYCLE_1) | instskip(NEXT) | instid1(SALU_CYCLE_1)
	s_or_b32 s27, s2, s27
	s_and_not1_b32 exec_lo, exec_lo, s27
	s_cbranch_execz .LBB463_227
.LBB463_225:                            ; =>This Inner Loop Header: Depth=1
	s_or_b32 s30, s30, exec_lo
	s_cmp_eq_u64 s[4:5], s[6:7]
	s_cbranch_scc0 .LBB463_223
; %bb.226:                              ;   in Loop: Header=BB463_225 Depth=1
	s_mov_b64 s[6:7], s[22:23]
                                        ; implicit-def: $vgpr19_vgpr20
                                        ; implicit-def: $vgpr21_vgpr22
	s_branch .LBB463_224
.LBB463_227:
	s_set_inst_prefetch_distance 0x2
	s_or_b32 exec_lo, exec_lo, s27
	v_cmp_gt_i64_e32 vcc_lo, s[22:23], v[23:24]
	s_or_not1_b32 s27, vcc_lo, exec_lo
.LBB463_228:
	s_or_b32 exec_lo, exec_lo, s29
.LBB463_229:
	v_mul_lo_u32 v21, v10, s22
	v_mul_lo_u32 v22, v9, s23
	v_mad_u64_u32 v[19:20], null, v9, s22, 0
	s_mov_b32 s29, 0
	s_and_not1_b32 vcc_lo, exec_lo, s3
	s_mov_b32 s30, 0
	s_delay_alu instid0(VALU_DEP_1) | instskip(NEXT) | instid1(VALU_DEP_1)
	v_add3_u32 v20, v20, v22, v21
	v_lshlrev_b64 v[19:20], 2, v[19:20]
	s_cbranch_vccnz .LBB463_238
; %bb.230:
	s_delay_alu instid0(VALU_DEP_1) | instskip(NEXT) | instid1(VALU_DEP_2)
	v_add_co_u32 v21, vcc_lo, s8, v19
	v_add_co_ci_u32_e32 v22, vcc_lo, s9, v20, vcc_lo
	v_add_co_u32 v17, vcc_lo, s8, v17
	v_add_co_ci_u32_e32 v18, vcc_lo, s9, v18, vcc_lo
	s_mov_b32 s30, -1
	s_clause 0x1
	global_load_b32 v23, v[21:22], off
	global_load_b32 v24, v[17:18], off
	s_mov_b32 s31, exec_lo
	s_waitcnt vmcnt(0)
	v_cmpx_eq_u32_e64 v23, v24
	s_cbranch_execz .LBB463_237
; %bb.231:
	v_add_co_u32 v17, vcc_lo, v17, 4
	v_add_co_ci_u32_e32 v18, vcc_lo, 0, v18, vcc_lo
	v_add_co_u32 v21, vcc_lo, v21, 4
	v_add_co_ci_u32_e32 v22, vcc_lo, 0, v22, vcc_lo
	s_add_u32 s4, s22, -1
	s_addc_u32 s5, s23, -1
	s_mov_b64 s[6:7], 0
	s_mov_b32 s30, 0
                                        ; implicit-def: $sgpr33
	s_set_inst_prefetch_distance 0x1
	s_branch .LBB463_234
	.p2align	6
.LBB463_232:                            ;   in Loop: Header=BB463_234 Depth=1
	global_load_b32 v23, v[21:22], off
	global_load_b32 v24, v[17:18], off
	v_add_co_u32 v17, vcc_lo, v17, 4
	v_add_co_ci_u32_e32 v18, vcc_lo, 0, v18, vcc_lo
	v_add_co_u32 v21, s2, v21, 4
	s_delay_alu instid0(VALU_DEP_1)
	v_add_co_ci_u32_e64 v22, s2, 0, v22, s2
	s_add_u32 s6, s6, 1
	s_addc_u32 s7, s7, 0
	s_and_not1_b32 s2, s33, exec_lo
	s_waitcnt vmcnt(0)
	v_cmp_ne_u32_e32 vcc_lo, v23, v24
	s_and_b32 s33, vcc_lo, exec_lo
	s_delay_alu instid0(SALU_CYCLE_1)
	s_or_b32 s33, s2, s33
.LBB463_233:                            ;   in Loop: Header=BB463_234 Depth=1
	v_dual_mov_b32 v24, s7 :: v_dual_mov_b32 v23, s6
	s_and_b32 s2, exec_lo, s33
	s_delay_alu instid0(SALU_CYCLE_1) | instskip(NEXT) | instid1(SALU_CYCLE_1)
	s_or_b32 s30, s2, s30
	s_and_not1_b32 exec_lo, exec_lo, s30
	s_cbranch_execz .LBB463_236
.LBB463_234:                            ; =>This Inner Loop Header: Depth=1
	s_or_b32 s33, s33, exec_lo
	s_cmp_eq_u64 s[4:5], s[6:7]
	s_cbranch_scc0 .LBB463_232
; %bb.235:                              ;   in Loop: Header=BB463_234 Depth=1
	s_mov_b64 s[6:7], s[22:23]
                                        ; implicit-def: $vgpr17_vgpr18
                                        ; implicit-def: $vgpr21_vgpr22
	s_branch .LBB463_233
.LBB463_236:
	s_set_inst_prefetch_distance 0x2
	s_or_b32 exec_lo, exec_lo, s30
	v_cmp_gt_i64_e32 vcc_lo, s[22:23], v[23:24]
	s_or_not1_b32 s30, vcc_lo, exec_lo
.LBB463_237:
	s_or_b32 exec_lo, exec_lo, s31
.LBB463_238:
	v_mul_lo_u32 v21, v16, s22
	v_mul_lo_u32 v22, v15, s23
	v_mad_u64_u32 v[17:18], null, v15, s22, 0
	s_and_not1_b32 vcc_lo, exec_lo, s3
	s_delay_alu instid0(VALU_DEP_1) | instskip(NEXT) | instid1(VALU_DEP_1)
	v_add3_u32 v18, v18, v22, v21
	v_lshlrev_b64 v[17:18], 2, v[17:18]
	s_cbranch_vccnz .LBB463_247
; %bb.239:
	s_delay_alu instid0(VALU_DEP_1) | instskip(NEXT) | instid1(VALU_DEP_2)
	v_add_co_u32 v21, vcc_lo, s8, v17
	v_add_co_ci_u32_e32 v22, vcc_lo, s9, v18, vcc_lo
	v_add_co_u32 v19, vcc_lo, s8, v19
	v_add_co_ci_u32_e32 v20, vcc_lo, s9, v20, vcc_lo
	s_mov_b32 s29, -1
	s_clause 0x1
	global_load_b32 v23, v[21:22], off
	global_load_b32 v24, v[19:20], off
	s_mov_b32 s31, exec_lo
	s_waitcnt vmcnt(0)
	v_cmpx_eq_u32_e64 v23, v24
	s_cbranch_execz .LBB463_246
; %bb.240:
	v_add_co_u32 v19, vcc_lo, v19, 4
	v_add_co_ci_u32_e32 v20, vcc_lo, 0, v20, vcc_lo
	v_add_co_u32 v21, vcc_lo, v21, 4
	v_add_co_ci_u32_e32 v22, vcc_lo, 0, v22, vcc_lo
	s_add_u32 s4, s22, -1
	s_addc_u32 s5, s23, -1
	s_mov_b64 s[6:7], 0
	s_mov_b32 s29, 0
                                        ; implicit-def: $sgpr33
	s_set_inst_prefetch_distance 0x1
	s_branch .LBB463_243
	.p2align	6
.LBB463_241:                            ;   in Loop: Header=BB463_243 Depth=1
	global_load_b32 v23, v[21:22], off
	global_load_b32 v24, v[19:20], off
	v_add_co_u32 v19, vcc_lo, v19, 4
	v_add_co_ci_u32_e32 v20, vcc_lo, 0, v20, vcc_lo
	v_add_co_u32 v21, s2, v21, 4
	s_delay_alu instid0(VALU_DEP_1)
	v_add_co_ci_u32_e64 v22, s2, 0, v22, s2
	s_add_u32 s6, s6, 1
	s_addc_u32 s7, s7, 0
	s_and_not1_b32 s2, s33, exec_lo
	s_waitcnt vmcnt(0)
	v_cmp_ne_u32_e32 vcc_lo, v23, v24
	s_and_b32 s33, vcc_lo, exec_lo
	s_delay_alu instid0(SALU_CYCLE_1)
	s_or_b32 s33, s2, s33
.LBB463_242:                            ;   in Loop: Header=BB463_243 Depth=1
	v_dual_mov_b32 v24, s7 :: v_dual_mov_b32 v23, s6
	s_and_b32 s2, exec_lo, s33
	s_delay_alu instid0(SALU_CYCLE_1) | instskip(NEXT) | instid1(SALU_CYCLE_1)
	s_or_b32 s29, s2, s29
	s_and_not1_b32 exec_lo, exec_lo, s29
	s_cbranch_execz .LBB463_245
.LBB463_243:                            ; =>This Inner Loop Header: Depth=1
	s_or_b32 s33, s33, exec_lo
	s_cmp_eq_u64 s[4:5], s[6:7]
	s_cbranch_scc0 .LBB463_241
; %bb.244:                              ;   in Loop: Header=BB463_243 Depth=1
	s_mov_b64 s[6:7], s[22:23]
                                        ; implicit-def: $vgpr19_vgpr20
                                        ; implicit-def: $vgpr21_vgpr22
	s_branch .LBB463_242
.LBB463_245:
	s_set_inst_prefetch_distance 0x2
	s_or_b32 exec_lo, exec_lo, s29
	v_cmp_gt_i64_e32 vcc_lo, s[22:23], v[23:24]
	s_or_not1_b32 s29, vcc_lo, exec_lo
.LBB463_246:
	s_or_b32 exec_lo, exec_lo, s31
.LBB463_247:
	v_mul_lo_u32 v21, v14, s22
	v_mul_lo_u32 v22, v13, s23
	v_mad_u64_u32 v[19:20], null, v13, s22, 0
	s_and_not1_b32 vcc_lo, exec_lo, s3
	s_mov_b32 s2, 0
	s_delay_alu instid0(VALU_DEP_1)
	v_add3_u32 v20, v20, v22, v21
	s_cbranch_vccnz .LBB463_256
; %bb.248:
	s_delay_alu instid0(VALU_DEP_1) | instskip(SKIP_2) | instid1(VALU_DEP_1)
	v_lshlrev_b64 v[21:22], 2, v[19:20]
	s_mov_b32 s2, -1
	s_mov_b32 s31, exec_lo
	v_add_co_u32 v21, vcc_lo, s8, v21
	s_delay_alu instid0(VALU_DEP_2)
	v_add_co_ci_u32_e32 v22, vcc_lo, s9, v22, vcc_lo
	v_add_co_u32 v17, vcc_lo, s8, v17
	v_add_co_ci_u32_e32 v18, vcc_lo, s9, v18, vcc_lo
	s_clause 0x1
	global_load_b32 v23, v[21:22], off
	global_load_b32 v24, v[17:18], off
	s_waitcnt vmcnt(0)
	v_cmpx_eq_u32_e64 v23, v24
	s_cbranch_execz .LBB463_255
; %bb.249:
	v_add_co_u32 v17, vcc_lo, v17, 4
	v_add_co_ci_u32_e32 v18, vcc_lo, 0, v18, vcc_lo
	v_add_co_u32 v21, vcc_lo, v21, 4
	v_add_co_ci_u32_e32 v22, vcc_lo, 0, v22, vcc_lo
	s_add_u32 s4, s22, -1
	s_addc_u32 s5, s23, -1
	s_mov_b64 s[6:7], 0
	s_mov_b32 s33, 0
                                        ; implicit-def: $sgpr34
	s_set_inst_prefetch_distance 0x1
	s_branch .LBB463_252
	.p2align	6
.LBB463_250:                            ;   in Loop: Header=BB463_252 Depth=1
	global_load_b32 v23, v[21:22], off
	global_load_b32 v24, v[17:18], off
	v_add_co_u32 v17, vcc_lo, v17, 4
	v_add_co_ci_u32_e32 v18, vcc_lo, 0, v18, vcc_lo
	v_add_co_u32 v21, s2, v21, 4
	s_delay_alu instid0(VALU_DEP_1)
	v_add_co_ci_u32_e64 v22, s2, 0, v22, s2
	s_add_u32 s6, s6, 1
	s_addc_u32 s7, s7, 0
	s_and_not1_b32 s2, s34, exec_lo
	s_waitcnt vmcnt(0)
	v_cmp_ne_u32_e32 vcc_lo, v23, v24
	s_and_b32 s34, vcc_lo, exec_lo
	s_delay_alu instid0(SALU_CYCLE_1)
	s_or_b32 s34, s2, s34
.LBB463_251:                            ;   in Loop: Header=BB463_252 Depth=1
	v_dual_mov_b32 v24, s7 :: v_dual_mov_b32 v23, s6
	s_and_b32 s2, exec_lo, s34
	s_delay_alu instid0(SALU_CYCLE_1) | instskip(NEXT) | instid1(SALU_CYCLE_1)
	s_or_b32 s33, s2, s33
	s_and_not1_b32 exec_lo, exec_lo, s33
	s_cbranch_execz .LBB463_254
.LBB463_252:                            ; =>This Inner Loop Header: Depth=1
	s_or_b32 s34, s34, exec_lo
	s_cmp_eq_u64 s[4:5], s[6:7]
	s_cbranch_scc0 .LBB463_250
; %bb.253:                              ;   in Loop: Header=BB463_252 Depth=1
	s_mov_b64 s[6:7], s[22:23]
                                        ; implicit-def: $vgpr17_vgpr18
                                        ; implicit-def: $vgpr21_vgpr22
	s_branch .LBB463_251
.LBB463_254:
	s_set_inst_prefetch_distance 0x2
	s_or_b32 exec_lo, exec_lo, s33
	v_cmp_gt_i64_e32 vcc_lo, s[22:23], v[23:24]
	s_or_not1_b32 s2, vcc_lo, exec_lo
.LBB463_255:
	s_or_b32 exec_lo, exec_lo, s31
.LBB463_256:
	v_cndmask_b32_e64 v18, 0, 1, s30
	v_cndmask_b32_e64 v21, 0, 1, s28
	;; [unrolled: 1-line block ×7, first 2 shown]
	v_lshlrev_b16 v21, 8, v21
	v_lshlrev_b16 v22, 8, v22
	;; [unrolled: 1-line block ×4, first 2 shown]
	s_delay_alu instid0(VALU_DEP_4) | instskip(NEXT) | instid1(VALU_DEP_4)
	v_or_b32_e32 v21, v24, v21
	v_or_b32_e32 v22, v25, v22
	s_delay_alu instid0(VALU_DEP_4) | instskip(NEXT) | instid1(VALU_DEP_4)
	v_or_b32_e32 v23, 1, v23
	v_or_b32_e32 v17, v17, v18
	s_barrier
	v_and_b32_e32 v18, 0xffff, v21
	v_lshlrev_b32_e32 v21, 16, v22
	v_and_b32_e32 v22, 0xffff, v23
	v_lshlrev_b32_e32 v17, 16, v17
	buffer_gl0_inv
                                        ; implicit-def: $sgpr2
	s_mov_b32 s4, exec_lo
	v_or_b32_e32 v18, v18, v21
	v_or_b32_e32 v17, v22, v17
	v_cmpx_ne_u32_e32 0, v0
	s_xor_b32 s19, exec_lo, s4
	s_cbranch_execz .LBB463_267
; %bb.257:
	s_and_not1_b32 vcc_lo, exec_lo, s3
	s_mov_b32 s2, 0
	s_cbranch_vccnz .LBB463_266
; %bb.258:
	v_add_nc_u32_e32 v21, -8, v39
	v_lshlrev_b64 v[19:20], 2, v[19:20]
	s_mov_b32 s2, -1
	s_mov_b32 s26, exec_lo
	ds_load_b64 v[21:22], v21
	s_waitcnt lgkmcnt(0)
	v_mul_lo_u32 v24, v22, s22
	v_mul_lo_u32 v25, v21, s23
	v_mad_u64_u32 v[22:23], null, v21, s22, 0
	s_delay_alu instid0(VALU_DEP_1) | instskip(NEXT) | instid1(VALU_DEP_1)
	v_add3_u32 v23, v23, v25, v24
	v_lshlrev_b64 v[21:22], 2, v[22:23]
	s_delay_alu instid0(VALU_DEP_1) | instskip(NEXT) | instid1(VALU_DEP_2)
	v_add_co_u32 v21, vcc_lo, s8, v21
	v_add_co_ci_u32_e32 v22, vcc_lo, s9, v22, vcc_lo
	v_add_co_u32 v19, vcc_lo, s8, v19
	v_add_co_ci_u32_e32 v20, vcc_lo, s9, v20, vcc_lo
	s_clause 0x1
	global_load_b32 v23, v[21:22], off
	global_load_b32 v24, v[19:20], off
	s_waitcnt vmcnt(0)
	v_cmpx_eq_u32_e64 v23, v24
	s_cbranch_execz .LBB463_265
; %bb.259:
	v_add_co_u32 v19, vcc_lo, v19, 4
	v_add_co_ci_u32_e32 v20, vcc_lo, 0, v20, vcc_lo
	v_add_co_u32 v21, vcc_lo, v21, 4
	v_add_co_ci_u32_e32 v22, vcc_lo, 0, v22, vcc_lo
	s_add_u32 s4, s22, -1
	s_addc_u32 s5, s23, -1
	s_mov_b64 s[6:7], 0
	s_mov_b32 s27, 0
                                        ; implicit-def: $sgpr28
	s_set_inst_prefetch_distance 0x1
	s_branch .LBB463_262
	.p2align	6
.LBB463_260:                            ;   in Loop: Header=BB463_262 Depth=1
	global_load_b32 v23, v[21:22], off
	global_load_b32 v24, v[19:20], off
	v_add_co_u32 v19, vcc_lo, v19, 4
	v_add_co_ci_u32_e32 v20, vcc_lo, 0, v20, vcc_lo
	v_add_co_u32 v21, s2, v21, 4
	s_delay_alu instid0(VALU_DEP_1)
	v_add_co_ci_u32_e64 v22, s2, 0, v22, s2
	s_add_u32 s6, s6, 1
	s_addc_u32 s7, s7, 0
	s_and_not1_b32 s2, s28, exec_lo
	s_waitcnt vmcnt(0)
	v_cmp_ne_u32_e32 vcc_lo, v23, v24
	s_and_b32 s28, vcc_lo, exec_lo
	s_delay_alu instid0(SALU_CYCLE_1)
	s_or_b32 s28, s2, s28
.LBB463_261:                            ;   in Loop: Header=BB463_262 Depth=1
	v_dual_mov_b32 v24, s7 :: v_dual_mov_b32 v23, s6
	s_and_b32 s2, exec_lo, s28
	s_delay_alu instid0(SALU_CYCLE_1) | instskip(NEXT) | instid1(SALU_CYCLE_1)
	s_or_b32 s27, s2, s27
	s_and_not1_b32 exec_lo, exec_lo, s27
	s_cbranch_execz .LBB463_264
.LBB463_262:                            ; =>This Inner Loop Header: Depth=1
	s_or_b32 s28, s28, exec_lo
	s_cmp_eq_u64 s[4:5], s[6:7]
	s_cbranch_scc0 .LBB463_260
; %bb.263:                              ;   in Loop: Header=BB463_262 Depth=1
	s_mov_b64 s[6:7], s[22:23]
                                        ; implicit-def: $vgpr19_vgpr20
                                        ; implicit-def: $vgpr21_vgpr22
	s_branch .LBB463_261
.LBB463_264:
	s_set_inst_prefetch_distance 0x2
	s_or_b32 exec_lo, exec_lo, s27
	v_cmp_gt_i64_e32 vcc_lo, s[22:23], v[23:24]
	s_or_not1_b32 s2, vcc_lo, exec_lo
.LBB463_265:
	s_or_b32 exec_lo, exec_lo, s26
.LBB463_266:
	s_delay_alu instid0(SALU_CYCLE_1)
	s_and_b32 s2, s2, exec_lo
	s_or_b32 s18, s18, exec_lo
.LBB463_267:
	s_or_b32 exec_lo, exec_lo, s19
	s_branch .LBB463_359
.LBB463_268:
	v_or_b32_e32 v17, 7, v39
	s_mov_b32 s19, 0
	s_mov_b32 s26, 0
	s_mov_b32 s27, exec_lo
	s_delay_alu instid0(VALU_DEP_1)
	v_cmpx_gt_u32_e64 s20, v17
	s_cbranch_execz .LBB463_279
; %bb.269:
	s_and_not1_b32 vcc_lo, exec_lo, s3
	s_mov_b32 s2, 0
	s_cbranch_vccnz .LBB463_278
; %bb.270:
	v_mul_lo_u32 v21, v2, s22
	v_mul_lo_u32 v22, v1, s23
	v_mad_u64_u32 v[17:18], null, v1, s22, 0
	v_mul_lo_u32 v23, v4, s22
	v_mul_lo_u32 v24, v3, s23
	v_mad_u64_u32 v[19:20], null, v3, s22, 0
	s_mov_b32 s2, -1
	s_mov_b32 s26, exec_lo
	s_delay_alu instid0(VALU_DEP_4) | instskip(NEXT) | instid1(VALU_DEP_2)
	v_add3_u32 v18, v18, v22, v21
	v_add3_u32 v20, v20, v24, v23
	s_delay_alu instid0(VALU_DEP_2) | instskip(NEXT) | instid1(VALU_DEP_2)
	v_lshlrev_b64 v[17:18], 2, v[17:18]
	v_lshlrev_b64 v[21:22], 2, v[19:20]
	s_delay_alu instid0(VALU_DEP_2) | instskip(NEXT) | instid1(VALU_DEP_3)
	v_add_co_u32 v19, vcc_lo, s8, v17
	v_add_co_ci_u32_e32 v20, vcc_lo, s9, v18, vcc_lo
	s_delay_alu instid0(VALU_DEP_3) | instskip(NEXT) | instid1(VALU_DEP_4)
	v_add_co_u32 v17, vcc_lo, s8, v21
	v_add_co_ci_u32_e32 v18, vcc_lo, s9, v22, vcc_lo
	s_clause 0x1
	global_load_b32 v21, v[19:20], off
	global_load_b32 v22, v[17:18], off
	s_waitcnt vmcnt(0)
	v_cmpx_eq_u32_e64 v21, v22
	s_cbranch_execz .LBB463_277
; %bb.271:
	v_add_co_u32 v17, vcc_lo, v17, 4
	v_add_co_ci_u32_e32 v18, vcc_lo, 0, v18, vcc_lo
	v_add_co_u32 v19, vcc_lo, v19, 4
	v_add_co_ci_u32_e32 v20, vcc_lo, 0, v20, vcc_lo
	s_add_u32 s4, s22, -1
	s_addc_u32 s5, s23, -1
	s_mov_b64 s[6:7], 0
	s_mov_b32 s28, 0
                                        ; implicit-def: $sgpr29
	s_set_inst_prefetch_distance 0x1
	s_branch .LBB463_274
	.p2align	6
.LBB463_272:                            ;   in Loop: Header=BB463_274 Depth=1
	global_load_b32 v21, v[19:20], off
	global_load_b32 v22, v[17:18], off
	v_add_co_u32 v17, vcc_lo, v17, 4
	v_add_co_ci_u32_e32 v18, vcc_lo, 0, v18, vcc_lo
	v_add_co_u32 v19, s2, v19, 4
	s_delay_alu instid0(VALU_DEP_1)
	v_add_co_ci_u32_e64 v20, s2, 0, v20, s2
	s_add_u32 s6, s6, 1
	s_addc_u32 s7, s7, 0
	s_and_not1_b32 s2, s29, exec_lo
	s_waitcnt vmcnt(0)
	v_cmp_ne_u32_e32 vcc_lo, v21, v22
	s_and_b32 s29, vcc_lo, exec_lo
	s_delay_alu instid0(SALU_CYCLE_1)
	s_or_b32 s29, s2, s29
.LBB463_273:                            ;   in Loop: Header=BB463_274 Depth=1
	v_dual_mov_b32 v22, s7 :: v_dual_mov_b32 v21, s6
	s_and_b32 s2, exec_lo, s29
	s_delay_alu instid0(SALU_CYCLE_1) | instskip(NEXT) | instid1(SALU_CYCLE_1)
	s_or_b32 s28, s2, s28
	s_and_not1_b32 exec_lo, exec_lo, s28
	s_cbranch_execz .LBB463_276
.LBB463_274:                            ; =>This Inner Loop Header: Depth=1
	s_or_b32 s29, s29, exec_lo
	s_cmp_eq_u64 s[4:5], s[6:7]
	s_cbranch_scc0 .LBB463_272
; %bb.275:                              ;   in Loop: Header=BB463_274 Depth=1
	s_mov_b64 s[6:7], s[22:23]
                                        ; implicit-def: $vgpr17_vgpr18
                                        ; implicit-def: $vgpr19_vgpr20
	s_branch .LBB463_273
.LBB463_276:
	s_set_inst_prefetch_distance 0x2
	s_or_b32 exec_lo, exec_lo, s28
	v_cmp_gt_i64_e32 vcc_lo, s[22:23], v[21:22]
	s_or_not1_b32 s2, vcc_lo, exec_lo
.LBB463_277:
	s_or_b32 exec_lo, exec_lo, s26
.LBB463_278:
	s_delay_alu instid0(SALU_CYCLE_1)
	s_and_b32 s26, s2, exec_lo
.LBB463_279:
	s_or_b32 exec_lo, exec_lo, s27
	v_or_b32_e32 v17, 6, v39
	s_mov_b32 s27, exec_lo
	s_delay_alu instid0(VALU_DEP_1)
	v_cmpx_gt_u32_e64 s20, v17
	s_cbranch_execz .LBB463_290
; %bb.280:
	s_and_not1_b32 vcc_lo, exec_lo, s3
	s_mov_b32 s2, 0
	s_cbranch_vccnz .LBB463_289
; %bb.281:
	v_mul_lo_u32 v21, v8, s22
	v_mul_lo_u32 v22, v7, s23
	v_mad_u64_u32 v[17:18], null, v7, s22, 0
	v_mul_lo_u32 v23, v2, s22
	v_mul_lo_u32 v24, v1, s23
	v_mad_u64_u32 v[19:20], null, v1, s22, 0
	s_mov_b32 s2, -1
	s_mov_b32 s19, exec_lo
	s_delay_alu instid0(VALU_DEP_4) | instskip(NEXT) | instid1(VALU_DEP_2)
	v_add3_u32 v18, v18, v22, v21
	v_add3_u32 v20, v20, v24, v23
	s_delay_alu instid0(VALU_DEP_2) | instskip(NEXT) | instid1(VALU_DEP_2)
	v_lshlrev_b64 v[17:18], 2, v[17:18]
	v_lshlrev_b64 v[21:22], 2, v[19:20]
	s_delay_alu instid0(VALU_DEP_2) | instskip(NEXT) | instid1(VALU_DEP_3)
	v_add_co_u32 v19, vcc_lo, s8, v17
	v_add_co_ci_u32_e32 v20, vcc_lo, s9, v18, vcc_lo
	s_delay_alu instid0(VALU_DEP_3) | instskip(NEXT) | instid1(VALU_DEP_4)
	v_add_co_u32 v17, vcc_lo, s8, v21
	v_add_co_ci_u32_e32 v18, vcc_lo, s9, v22, vcc_lo
	s_clause 0x1
	global_load_b32 v21, v[19:20], off
	global_load_b32 v22, v[17:18], off
	s_waitcnt vmcnt(0)
	v_cmpx_eq_u32_e64 v21, v22
	s_cbranch_execz .LBB463_288
; %bb.282:
	v_add_co_u32 v17, vcc_lo, v17, 4
	v_add_co_ci_u32_e32 v18, vcc_lo, 0, v18, vcc_lo
	v_add_co_u32 v19, vcc_lo, v19, 4
	v_add_co_ci_u32_e32 v20, vcc_lo, 0, v20, vcc_lo
	s_add_u32 s4, s22, -1
	s_addc_u32 s5, s23, -1
	s_mov_b64 s[6:7], 0
	s_mov_b32 s28, 0
                                        ; implicit-def: $sgpr29
	s_set_inst_prefetch_distance 0x1
	s_branch .LBB463_285
	.p2align	6
.LBB463_283:                            ;   in Loop: Header=BB463_285 Depth=1
	global_load_b32 v21, v[19:20], off
	global_load_b32 v22, v[17:18], off
	v_add_co_u32 v17, vcc_lo, v17, 4
	v_add_co_ci_u32_e32 v18, vcc_lo, 0, v18, vcc_lo
	v_add_co_u32 v19, s2, v19, 4
	s_delay_alu instid0(VALU_DEP_1)
	v_add_co_ci_u32_e64 v20, s2, 0, v20, s2
	s_add_u32 s6, s6, 1
	s_addc_u32 s7, s7, 0
	s_and_not1_b32 s2, s29, exec_lo
	s_waitcnt vmcnt(0)
	v_cmp_ne_u32_e32 vcc_lo, v21, v22
	s_and_b32 s29, vcc_lo, exec_lo
	s_delay_alu instid0(SALU_CYCLE_1)
	s_or_b32 s29, s2, s29
.LBB463_284:                            ;   in Loop: Header=BB463_285 Depth=1
	v_dual_mov_b32 v22, s7 :: v_dual_mov_b32 v21, s6
	s_and_b32 s2, exec_lo, s29
	s_delay_alu instid0(SALU_CYCLE_1) | instskip(NEXT) | instid1(SALU_CYCLE_1)
	s_or_b32 s28, s2, s28
	s_and_not1_b32 exec_lo, exec_lo, s28
	s_cbranch_execz .LBB463_287
.LBB463_285:                            ; =>This Inner Loop Header: Depth=1
	s_or_b32 s29, s29, exec_lo
	s_cmp_eq_u64 s[4:5], s[6:7]
	s_cbranch_scc0 .LBB463_283
; %bb.286:                              ;   in Loop: Header=BB463_285 Depth=1
	s_mov_b64 s[6:7], s[22:23]
                                        ; implicit-def: $vgpr17_vgpr18
                                        ; implicit-def: $vgpr19_vgpr20
	s_branch .LBB463_284
.LBB463_287:
	s_set_inst_prefetch_distance 0x2
	s_or_b32 exec_lo, exec_lo, s28
	v_cmp_gt_i64_e32 vcc_lo, s[22:23], v[21:22]
	s_or_not1_b32 s2, vcc_lo, exec_lo
.LBB463_288:
	s_or_b32 exec_lo, exec_lo, s19
.LBB463_289:
	s_delay_alu instid0(SALU_CYCLE_1)
	s_and_b32 s19, s2, exec_lo
.LBB463_290:
	s_or_b32 exec_lo, exec_lo, s27
	v_or_b32_e32 v17, 5, v39
	s_mov_b32 s27, 0
	s_mov_b32 s28, 0
	s_mov_b32 s29, exec_lo
	s_delay_alu instid0(VALU_DEP_1)
	v_cmpx_gt_u32_e64 s20, v17
	s_cbranch_execz .LBB463_301
; %bb.291:
	s_and_not1_b32 vcc_lo, exec_lo, s3
	s_mov_b32 s2, 0
	s_cbranch_vccnz .LBB463_300
; %bb.292:
	v_mul_lo_u32 v21, v6, s22
	v_mul_lo_u32 v22, v5, s23
	v_mad_u64_u32 v[17:18], null, v5, s22, 0
	v_mul_lo_u32 v23, v8, s22
	v_mul_lo_u32 v24, v7, s23
	v_mad_u64_u32 v[19:20], null, v7, s22, 0
	s_mov_b32 s2, -1
	s_mov_b32 s28, exec_lo
	s_delay_alu instid0(VALU_DEP_4) | instskip(NEXT) | instid1(VALU_DEP_2)
	v_add3_u32 v18, v18, v22, v21
	v_add3_u32 v20, v20, v24, v23
	s_delay_alu instid0(VALU_DEP_2) | instskip(NEXT) | instid1(VALU_DEP_2)
	v_lshlrev_b64 v[17:18], 2, v[17:18]
	v_lshlrev_b64 v[21:22], 2, v[19:20]
	s_delay_alu instid0(VALU_DEP_2) | instskip(NEXT) | instid1(VALU_DEP_3)
	v_add_co_u32 v19, vcc_lo, s8, v17
	v_add_co_ci_u32_e32 v20, vcc_lo, s9, v18, vcc_lo
	s_delay_alu instid0(VALU_DEP_3) | instskip(NEXT) | instid1(VALU_DEP_4)
	v_add_co_u32 v17, vcc_lo, s8, v21
	v_add_co_ci_u32_e32 v18, vcc_lo, s9, v22, vcc_lo
	s_clause 0x1
	global_load_b32 v21, v[19:20], off
	global_load_b32 v22, v[17:18], off
	s_waitcnt vmcnt(0)
	v_cmpx_eq_u32_e64 v21, v22
	s_cbranch_execz .LBB463_299
; %bb.293:
	v_add_co_u32 v17, vcc_lo, v17, 4
	v_add_co_ci_u32_e32 v18, vcc_lo, 0, v18, vcc_lo
	v_add_co_u32 v19, vcc_lo, v19, 4
	v_add_co_ci_u32_e32 v20, vcc_lo, 0, v20, vcc_lo
	s_add_u32 s4, s22, -1
	s_addc_u32 s5, s23, -1
	s_mov_b64 s[6:7], 0
	s_mov_b32 s30, 0
                                        ; implicit-def: $sgpr31
	s_set_inst_prefetch_distance 0x1
	s_branch .LBB463_296
	.p2align	6
.LBB463_294:                            ;   in Loop: Header=BB463_296 Depth=1
	global_load_b32 v21, v[19:20], off
	global_load_b32 v22, v[17:18], off
	v_add_co_u32 v17, vcc_lo, v17, 4
	v_add_co_ci_u32_e32 v18, vcc_lo, 0, v18, vcc_lo
	v_add_co_u32 v19, s2, v19, 4
	s_delay_alu instid0(VALU_DEP_1)
	v_add_co_ci_u32_e64 v20, s2, 0, v20, s2
	s_add_u32 s6, s6, 1
	s_addc_u32 s7, s7, 0
	s_and_not1_b32 s2, s31, exec_lo
	s_waitcnt vmcnt(0)
	v_cmp_ne_u32_e32 vcc_lo, v21, v22
	s_and_b32 s31, vcc_lo, exec_lo
	s_delay_alu instid0(SALU_CYCLE_1)
	s_or_b32 s31, s2, s31
.LBB463_295:                            ;   in Loop: Header=BB463_296 Depth=1
	v_dual_mov_b32 v22, s7 :: v_dual_mov_b32 v21, s6
	s_and_b32 s2, exec_lo, s31
	s_delay_alu instid0(SALU_CYCLE_1) | instskip(NEXT) | instid1(SALU_CYCLE_1)
	s_or_b32 s30, s2, s30
	s_and_not1_b32 exec_lo, exec_lo, s30
	s_cbranch_execz .LBB463_298
.LBB463_296:                            ; =>This Inner Loop Header: Depth=1
	s_or_b32 s31, s31, exec_lo
	s_cmp_eq_u64 s[4:5], s[6:7]
	s_cbranch_scc0 .LBB463_294
; %bb.297:                              ;   in Loop: Header=BB463_296 Depth=1
	s_mov_b64 s[6:7], s[22:23]
                                        ; implicit-def: $vgpr17_vgpr18
                                        ; implicit-def: $vgpr19_vgpr20
	s_branch .LBB463_295
.LBB463_298:
	s_set_inst_prefetch_distance 0x2
	s_or_b32 exec_lo, exec_lo, s30
	v_cmp_gt_i64_e32 vcc_lo, s[22:23], v[21:22]
	s_or_not1_b32 s2, vcc_lo, exec_lo
.LBB463_299:
	s_or_b32 exec_lo, exec_lo, s28
.LBB463_300:
	s_delay_alu instid0(SALU_CYCLE_1)
	s_and_b32 s28, s2, exec_lo
.LBB463_301:
	s_or_b32 exec_lo, exec_lo, s29
	v_or_b32_e32 v17, 4, v39
	s_mov_b32 s29, exec_lo
	s_delay_alu instid0(VALU_DEP_1)
	v_cmpx_gt_u32_e64 s20, v17
	s_cbranch_execz .LBB463_312
; %bb.302:
	s_and_not1_b32 vcc_lo, exec_lo, s3
	s_mov_b32 s2, 0
	s_cbranch_vccnz .LBB463_311
; %bb.303:
	v_mul_lo_u32 v21, v12, s22
	v_mul_lo_u32 v22, v11, s23
	v_mad_u64_u32 v[17:18], null, v11, s22, 0
	v_mul_lo_u32 v23, v6, s22
	v_mul_lo_u32 v24, v5, s23
	v_mad_u64_u32 v[19:20], null, v5, s22, 0
	s_mov_b32 s2, -1
	s_mov_b32 s27, exec_lo
	s_delay_alu instid0(VALU_DEP_4) | instskip(NEXT) | instid1(VALU_DEP_2)
	v_add3_u32 v18, v18, v22, v21
	v_add3_u32 v20, v20, v24, v23
	s_delay_alu instid0(VALU_DEP_2) | instskip(NEXT) | instid1(VALU_DEP_2)
	v_lshlrev_b64 v[17:18], 2, v[17:18]
	v_lshlrev_b64 v[21:22], 2, v[19:20]
	s_delay_alu instid0(VALU_DEP_2) | instskip(NEXT) | instid1(VALU_DEP_3)
	v_add_co_u32 v19, vcc_lo, s8, v17
	v_add_co_ci_u32_e32 v20, vcc_lo, s9, v18, vcc_lo
	s_delay_alu instid0(VALU_DEP_3) | instskip(NEXT) | instid1(VALU_DEP_4)
	v_add_co_u32 v17, vcc_lo, s8, v21
	v_add_co_ci_u32_e32 v18, vcc_lo, s9, v22, vcc_lo
	s_clause 0x1
	global_load_b32 v21, v[19:20], off
	global_load_b32 v22, v[17:18], off
	s_waitcnt vmcnt(0)
	v_cmpx_eq_u32_e64 v21, v22
	s_cbranch_execz .LBB463_310
; %bb.304:
	v_add_co_u32 v17, vcc_lo, v17, 4
	v_add_co_ci_u32_e32 v18, vcc_lo, 0, v18, vcc_lo
	v_add_co_u32 v19, vcc_lo, v19, 4
	v_add_co_ci_u32_e32 v20, vcc_lo, 0, v20, vcc_lo
	s_add_u32 s4, s22, -1
	s_addc_u32 s5, s23, -1
	s_mov_b64 s[6:7], 0
	s_mov_b32 s30, 0
                                        ; implicit-def: $sgpr31
	s_set_inst_prefetch_distance 0x1
	s_branch .LBB463_307
	.p2align	6
.LBB463_305:                            ;   in Loop: Header=BB463_307 Depth=1
	global_load_b32 v21, v[19:20], off
	global_load_b32 v22, v[17:18], off
	v_add_co_u32 v17, vcc_lo, v17, 4
	v_add_co_ci_u32_e32 v18, vcc_lo, 0, v18, vcc_lo
	v_add_co_u32 v19, s2, v19, 4
	s_delay_alu instid0(VALU_DEP_1)
	v_add_co_ci_u32_e64 v20, s2, 0, v20, s2
	s_add_u32 s6, s6, 1
	s_addc_u32 s7, s7, 0
	s_and_not1_b32 s2, s31, exec_lo
	s_waitcnt vmcnt(0)
	v_cmp_ne_u32_e32 vcc_lo, v21, v22
	s_and_b32 s31, vcc_lo, exec_lo
	s_delay_alu instid0(SALU_CYCLE_1)
	s_or_b32 s31, s2, s31
.LBB463_306:                            ;   in Loop: Header=BB463_307 Depth=1
	v_dual_mov_b32 v22, s7 :: v_dual_mov_b32 v21, s6
	s_and_b32 s2, exec_lo, s31
	s_delay_alu instid0(SALU_CYCLE_1) | instskip(NEXT) | instid1(SALU_CYCLE_1)
	s_or_b32 s30, s2, s30
	s_and_not1_b32 exec_lo, exec_lo, s30
	s_cbranch_execz .LBB463_309
.LBB463_307:                            ; =>This Inner Loop Header: Depth=1
	s_or_b32 s31, s31, exec_lo
	s_cmp_eq_u64 s[4:5], s[6:7]
	s_cbranch_scc0 .LBB463_305
; %bb.308:                              ;   in Loop: Header=BB463_307 Depth=1
	s_mov_b64 s[6:7], s[22:23]
                                        ; implicit-def: $vgpr17_vgpr18
                                        ; implicit-def: $vgpr19_vgpr20
	s_branch .LBB463_306
.LBB463_309:
	s_set_inst_prefetch_distance 0x2
	s_or_b32 exec_lo, exec_lo, s30
	v_cmp_gt_i64_e32 vcc_lo, s[22:23], v[21:22]
	s_or_not1_b32 s2, vcc_lo, exec_lo
.LBB463_310:
	s_or_b32 exec_lo, exec_lo, s27
.LBB463_311:
	s_delay_alu instid0(SALU_CYCLE_1)
	s_and_b32 s27, s2, exec_lo
.LBB463_312:
	s_or_b32 exec_lo, exec_lo, s29
	v_or_b32_e32 v17, 3, v39
	s_mov_b32 s30, 0
	s_mov_b32 s29, 0
	s_mov_b32 s31, exec_lo
	s_delay_alu instid0(VALU_DEP_1)
	v_cmpx_gt_u32_e64 s20, v17
	s_cbranch_execz .LBB463_323
; %bb.313:
	s_and_not1_b32 vcc_lo, exec_lo, s3
	s_mov_b32 s2, 0
	s_cbranch_vccnz .LBB463_322
; %bb.314:
	v_mul_lo_u32 v21, v10, s22
	v_mul_lo_u32 v22, v9, s23
	v_mad_u64_u32 v[17:18], null, v9, s22, 0
	v_mul_lo_u32 v23, v12, s22
	v_mul_lo_u32 v24, v11, s23
	v_mad_u64_u32 v[19:20], null, v11, s22, 0
	s_mov_b32 s2, -1
	s_mov_b32 s29, exec_lo
	s_delay_alu instid0(VALU_DEP_4) | instskip(NEXT) | instid1(VALU_DEP_2)
	v_add3_u32 v18, v18, v22, v21
	v_add3_u32 v20, v20, v24, v23
	s_delay_alu instid0(VALU_DEP_2) | instskip(NEXT) | instid1(VALU_DEP_2)
	v_lshlrev_b64 v[17:18], 2, v[17:18]
	v_lshlrev_b64 v[21:22], 2, v[19:20]
	s_delay_alu instid0(VALU_DEP_2) | instskip(NEXT) | instid1(VALU_DEP_3)
	v_add_co_u32 v19, vcc_lo, s8, v17
	v_add_co_ci_u32_e32 v20, vcc_lo, s9, v18, vcc_lo
	s_delay_alu instid0(VALU_DEP_3) | instskip(NEXT) | instid1(VALU_DEP_4)
	v_add_co_u32 v17, vcc_lo, s8, v21
	v_add_co_ci_u32_e32 v18, vcc_lo, s9, v22, vcc_lo
	s_clause 0x1
	global_load_b32 v21, v[19:20], off
	global_load_b32 v22, v[17:18], off
	s_waitcnt vmcnt(0)
	v_cmpx_eq_u32_e64 v21, v22
	s_cbranch_execz .LBB463_321
; %bb.315:
	v_add_co_u32 v17, vcc_lo, v17, 4
	v_add_co_ci_u32_e32 v18, vcc_lo, 0, v18, vcc_lo
	v_add_co_u32 v19, vcc_lo, v19, 4
	v_add_co_ci_u32_e32 v20, vcc_lo, 0, v20, vcc_lo
	s_add_u32 s4, s22, -1
	s_addc_u32 s5, s23, -1
	s_mov_b64 s[6:7], 0
	s_mov_b32 s33, 0
                                        ; implicit-def: $sgpr34
	s_set_inst_prefetch_distance 0x1
	s_branch .LBB463_318
	.p2align	6
.LBB463_316:                            ;   in Loop: Header=BB463_318 Depth=1
	global_load_b32 v21, v[19:20], off
	global_load_b32 v22, v[17:18], off
	v_add_co_u32 v17, vcc_lo, v17, 4
	v_add_co_ci_u32_e32 v18, vcc_lo, 0, v18, vcc_lo
	v_add_co_u32 v19, s2, v19, 4
	s_delay_alu instid0(VALU_DEP_1)
	v_add_co_ci_u32_e64 v20, s2, 0, v20, s2
	s_add_u32 s6, s6, 1
	s_addc_u32 s7, s7, 0
	s_and_not1_b32 s2, s34, exec_lo
	s_waitcnt vmcnt(0)
	v_cmp_ne_u32_e32 vcc_lo, v21, v22
	s_and_b32 s34, vcc_lo, exec_lo
	s_delay_alu instid0(SALU_CYCLE_1)
	s_or_b32 s34, s2, s34
.LBB463_317:                            ;   in Loop: Header=BB463_318 Depth=1
	v_dual_mov_b32 v22, s7 :: v_dual_mov_b32 v21, s6
	s_and_b32 s2, exec_lo, s34
	s_delay_alu instid0(SALU_CYCLE_1) | instskip(NEXT) | instid1(SALU_CYCLE_1)
	s_or_b32 s33, s2, s33
	s_and_not1_b32 exec_lo, exec_lo, s33
	s_cbranch_execz .LBB463_320
.LBB463_318:                            ; =>This Inner Loop Header: Depth=1
	s_or_b32 s34, s34, exec_lo
	s_cmp_eq_u64 s[4:5], s[6:7]
	s_cbranch_scc0 .LBB463_316
; %bb.319:                              ;   in Loop: Header=BB463_318 Depth=1
	s_mov_b64 s[6:7], s[22:23]
                                        ; implicit-def: $vgpr17_vgpr18
                                        ; implicit-def: $vgpr19_vgpr20
	s_branch .LBB463_317
.LBB463_320:
	s_set_inst_prefetch_distance 0x2
	s_or_b32 exec_lo, exec_lo, s33
	v_cmp_gt_i64_e32 vcc_lo, s[22:23], v[21:22]
	s_or_not1_b32 s2, vcc_lo, exec_lo
.LBB463_321:
	s_or_b32 exec_lo, exec_lo, s29
.LBB463_322:
	s_delay_alu instid0(SALU_CYCLE_1)
	s_and_b32 s29, s2, exec_lo
.LBB463_323:
	s_or_b32 exec_lo, exec_lo, s31
	v_or_b32_e32 v17, 2, v39
	s_mov_b32 s31, exec_lo
	s_delay_alu instid0(VALU_DEP_1)
	v_cmpx_gt_u32_e64 s20, v17
	s_cbranch_execz .LBB463_334
; %bb.324:
	s_and_not1_b32 vcc_lo, exec_lo, s3
	s_mov_b32 s2, 0
	s_cbranch_vccnz .LBB463_333
; %bb.325:
	v_mul_lo_u32 v21, v16, s22
	v_mul_lo_u32 v22, v15, s23
	v_mad_u64_u32 v[17:18], null, v15, s22, 0
	v_mul_lo_u32 v23, v10, s22
	v_mul_lo_u32 v24, v9, s23
	v_mad_u64_u32 v[19:20], null, v9, s22, 0
	s_mov_b32 s2, -1
	s_mov_b32 s30, exec_lo
	s_delay_alu instid0(VALU_DEP_4) | instskip(NEXT) | instid1(VALU_DEP_2)
	v_add3_u32 v18, v18, v22, v21
	v_add3_u32 v20, v20, v24, v23
	s_delay_alu instid0(VALU_DEP_2) | instskip(NEXT) | instid1(VALU_DEP_2)
	v_lshlrev_b64 v[17:18], 2, v[17:18]
	v_lshlrev_b64 v[21:22], 2, v[19:20]
	s_delay_alu instid0(VALU_DEP_2) | instskip(NEXT) | instid1(VALU_DEP_3)
	v_add_co_u32 v19, vcc_lo, s8, v17
	v_add_co_ci_u32_e32 v20, vcc_lo, s9, v18, vcc_lo
	s_delay_alu instid0(VALU_DEP_3) | instskip(NEXT) | instid1(VALU_DEP_4)
	v_add_co_u32 v17, vcc_lo, s8, v21
	v_add_co_ci_u32_e32 v18, vcc_lo, s9, v22, vcc_lo
	s_clause 0x1
	global_load_b32 v21, v[19:20], off
	global_load_b32 v22, v[17:18], off
	s_waitcnt vmcnt(0)
	v_cmpx_eq_u32_e64 v21, v22
	s_cbranch_execz .LBB463_332
; %bb.326:
	v_add_co_u32 v17, vcc_lo, v17, 4
	v_add_co_ci_u32_e32 v18, vcc_lo, 0, v18, vcc_lo
	v_add_co_u32 v19, vcc_lo, v19, 4
	v_add_co_ci_u32_e32 v20, vcc_lo, 0, v20, vcc_lo
	s_add_u32 s4, s22, -1
	s_addc_u32 s5, s23, -1
	s_mov_b64 s[6:7], 0
	s_mov_b32 s33, 0
                                        ; implicit-def: $sgpr34
	s_set_inst_prefetch_distance 0x1
	s_branch .LBB463_329
	.p2align	6
.LBB463_327:                            ;   in Loop: Header=BB463_329 Depth=1
	global_load_b32 v21, v[19:20], off
	global_load_b32 v22, v[17:18], off
	v_add_co_u32 v17, vcc_lo, v17, 4
	v_add_co_ci_u32_e32 v18, vcc_lo, 0, v18, vcc_lo
	v_add_co_u32 v19, s2, v19, 4
	s_delay_alu instid0(VALU_DEP_1)
	v_add_co_ci_u32_e64 v20, s2, 0, v20, s2
	s_add_u32 s6, s6, 1
	s_addc_u32 s7, s7, 0
	s_and_not1_b32 s2, s34, exec_lo
	s_waitcnt vmcnt(0)
	v_cmp_ne_u32_e32 vcc_lo, v21, v22
	s_and_b32 s34, vcc_lo, exec_lo
	s_delay_alu instid0(SALU_CYCLE_1)
	s_or_b32 s34, s2, s34
.LBB463_328:                            ;   in Loop: Header=BB463_329 Depth=1
	v_dual_mov_b32 v22, s7 :: v_dual_mov_b32 v21, s6
	s_and_b32 s2, exec_lo, s34
	s_delay_alu instid0(SALU_CYCLE_1) | instskip(NEXT) | instid1(SALU_CYCLE_1)
	s_or_b32 s33, s2, s33
	s_and_not1_b32 exec_lo, exec_lo, s33
	s_cbranch_execz .LBB463_331
.LBB463_329:                            ; =>This Inner Loop Header: Depth=1
	s_or_b32 s34, s34, exec_lo
	s_cmp_eq_u64 s[4:5], s[6:7]
	s_cbranch_scc0 .LBB463_327
; %bb.330:                              ;   in Loop: Header=BB463_329 Depth=1
	s_mov_b64 s[6:7], s[22:23]
                                        ; implicit-def: $vgpr17_vgpr18
                                        ; implicit-def: $vgpr19_vgpr20
	s_branch .LBB463_328
.LBB463_331:
	s_set_inst_prefetch_distance 0x2
	s_or_b32 exec_lo, exec_lo, s33
	v_cmp_gt_i64_e32 vcc_lo, s[22:23], v[21:22]
	s_or_not1_b32 s2, vcc_lo, exec_lo
.LBB463_332:
	s_or_b32 exec_lo, exec_lo, s30
.LBB463_333:
	s_delay_alu instid0(SALU_CYCLE_1)
	s_and_b32 s30, s2, exec_lo
.LBB463_334:
	s_or_b32 exec_lo, exec_lo, s31
	v_or_b32_e32 v17, 1, v39
	s_mov_b32 s2, 0
	s_mov_b32 s31, exec_lo
	s_delay_alu instid0(VALU_DEP_1)
	v_cmpx_gt_u32_e64 s20, v17
	s_cbranch_execz .LBB463_345
; %bb.335:
	s_and_not1_b32 vcc_lo, exec_lo, s3
	s_cbranch_vccnz .LBB463_344
; %bb.336:
	v_mul_lo_u32 v21, v14, s22
	v_mul_lo_u32 v22, v13, s23
	v_mad_u64_u32 v[17:18], null, v13, s22, 0
	v_mul_lo_u32 v23, v16, s22
	v_mul_lo_u32 v24, v15, s23
	v_mad_u64_u32 v[19:20], null, v15, s22, 0
	s_mov_b32 s2, -1
	s_mov_b32 s33, exec_lo
	s_delay_alu instid0(VALU_DEP_4) | instskip(NEXT) | instid1(VALU_DEP_2)
	v_add3_u32 v18, v18, v22, v21
	v_add3_u32 v20, v20, v24, v23
	s_delay_alu instid0(VALU_DEP_2) | instskip(NEXT) | instid1(VALU_DEP_2)
	v_lshlrev_b64 v[17:18], 2, v[17:18]
	v_lshlrev_b64 v[21:22], 2, v[19:20]
	s_delay_alu instid0(VALU_DEP_2) | instskip(NEXT) | instid1(VALU_DEP_3)
	v_add_co_u32 v19, vcc_lo, s8, v17
	v_add_co_ci_u32_e32 v20, vcc_lo, s9, v18, vcc_lo
	s_delay_alu instid0(VALU_DEP_3) | instskip(NEXT) | instid1(VALU_DEP_4)
	v_add_co_u32 v17, vcc_lo, s8, v21
	v_add_co_ci_u32_e32 v18, vcc_lo, s9, v22, vcc_lo
	s_clause 0x1
	global_load_b32 v21, v[19:20], off
	global_load_b32 v22, v[17:18], off
	s_waitcnt vmcnt(0)
	v_cmpx_eq_u32_e64 v21, v22
	s_cbranch_execz .LBB463_343
; %bb.337:
	v_add_co_u32 v17, vcc_lo, v17, 4
	v_add_co_ci_u32_e32 v18, vcc_lo, 0, v18, vcc_lo
	v_add_co_u32 v19, vcc_lo, v19, 4
	v_add_co_ci_u32_e32 v20, vcc_lo, 0, v20, vcc_lo
	s_add_u32 s4, s22, -1
	s_addc_u32 s5, s23, -1
	s_mov_b64 s[6:7], 0
	s_mov_b32 s34, 0
                                        ; implicit-def: $sgpr35
	s_set_inst_prefetch_distance 0x1
	s_branch .LBB463_340
	.p2align	6
.LBB463_338:                            ;   in Loop: Header=BB463_340 Depth=1
	global_load_b32 v21, v[19:20], off
	global_load_b32 v22, v[17:18], off
	v_add_co_u32 v17, vcc_lo, v17, 4
	v_add_co_ci_u32_e32 v18, vcc_lo, 0, v18, vcc_lo
	v_add_co_u32 v19, s2, v19, 4
	s_delay_alu instid0(VALU_DEP_1)
	v_add_co_ci_u32_e64 v20, s2, 0, v20, s2
	s_add_u32 s6, s6, 1
	s_addc_u32 s7, s7, 0
	s_and_not1_b32 s2, s35, exec_lo
	s_waitcnt vmcnt(0)
	v_cmp_ne_u32_e32 vcc_lo, v21, v22
	s_and_b32 s35, vcc_lo, exec_lo
	s_delay_alu instid0(SALU_CYCLE_1)
	s_or_b32 s35, s2, s35
.LBB463_339:                            ;   in Loop: Header=BB463_340 Depth=1
	v_dual_mov_b32 v22, s7 :: v_dual_mov_b32 v21, s6
	s_and_b32 s2, exec_lo, s35
	s_delay_alu instid0(SALU_CYCLE_1) | instskip(NEXT) | instid1(SALU_CYCLE_1)
	s_or_b32 s34, s2, s34
	s_and_not1_b32 exec_lo, exec_lo, s34
	s_cbranch_execz .LBB463_342
.LBB463_340:                            ; =>This Inner Loop Header: Depth=1
	s_or_b32 s35, s35, exec_lo
	s_cmp_eq_u64 s[4:5], s[6:7]
	s_cbranch_scc0 .LBB463_338
; %bb.341:                              ;   in Loop: Header=BB463_340 Depth=1
	s_mov_b64 s[6:7], s[22:23]
                                        ; implicit-def: $vgpr17_vgpr18
                                        ; implicit-def: $vgpr19_vgpr20
	s_branch .LBB463_339
.LBB463_342:
	s_set_inst_prefetch_distance 0x2
	s_or_b32 exec_lo, exec_lo, s34
	v_cmp_gt_i64_e32 vcc_lo, s[22:23], v[21:22]
	s_or_not1_b32 s2, vcc_lo, exec_lo
.LBB463_343:
	s_or_b32 exec_lo, exec_lo, s33
.LBB463_344:
	s_delay_alu instid0(SALU_CYCLE_1)
	s_and_b32 s2, s2, exec_lo
.LBB463_345:
	s_or_b32 exec_lo, exec_lo, s31
	v_cndmask_b32_e64 v18, 0, 1, s29
	v_cndmask_b32_e64 v19, 0, 1, s28
	;; [unrolled: 1-line block ×7, first 2 shown]
	v_lshlrev_b16 v19, 8, v19
	v_lshlrev_b16 v20, 8, v20
	;; [unrolled: 1-line block ×4, first 2 shown]
	s_mov_b32 s19, exec_lo
	v_or_b32_e32 v19, v22, v19
	v_or_b32_e32 v20, v23, v20
	;; [unrolled: 1-line block ×4, first 2 shown]
	s_delay_alu instid0(VALU_DEP_4) | instskip(NEXT) | instid1(VALU_DEP_4)
	v_and_b32_e32 v18, 0xffff, v19
	v_lshlrev_b32_e32 v19, 16, v20
	s_delay_alu instid0(VALU_DEP_4) | instskip(NEXT) | instid1(VALU_DEP_4)
	v_and_b32_e32 v20, 0xffff, v21
	v_lshlrev_b32_e32 v17, 16, v17
	s_barrier
	buffer_gl0_inv
	v_or_b32_e32 v18, v18, v19
                                        ; implicit-def: $sgpr2
	v_or_b32_e32 v17, v20, v17
	v_cmpx_ne_u32_e32 0, v0
	s_cbranch_execz .LBB463_358
; %bb.346:
	s_mov_b32 s2, 0
	s_mov_b32 s26, exec_lo
	v_cmpx_gt_u32_e64 s20, v39
	s_cbranch_execz .LBB463_357
; %bb.347:
	s_and_not1_b32 vcc_lo, exec_lo, s3
	s_cbranch_vccnz .LBB463_356
; %bb.348:
	v_add_nc_u32_e32 v19, -8, v39
	v_mul_lo_u32 v26, v13, s23
	v_mad_u64_u32 v[22:23], null, v13, s22, 0
	s_mov_b32 s2, -1
	ds_load_b64 v[19:20], v19
	s_mov_b32 s3, exec_lo
	s_waitcnt lgkmcnt(0)
	v_mul_lo_u32 v24, v20, s22
	v_mul_lo_u32 v25, v19, s23
	v_mad_u64_u32 v[20:21], null, v19, s22, 0
	v_mul_lo_u32 v19, v14, s22
	s_delay_alu instid0(VALU_DEP_2) | instskip(NEXT) | instid1(VALU_DEP_2)
	v_add3_u32 v21, v21, v25, v24
	v_add3_u32 v23, v23, v26, v19
	s_delay_alu instid0(VALU_DEP_2) | instskip(NEXT) | instid1(VALU_DEP_2)
	v_lshlrev_b64 v[19:20], 2, v[20:21]
	v_lshlrev_b64 v[23:24], 2, v[22:23]
	s_delay_alu instid0(VALU_DEP_2) | instskip(NEXT) | instid1(VALU_DEP_3)
	v_add_co_u32 v21, vcc_lo, s8, v19
	v_add_co_ci_u32_e32 v22, vcc_lo, s9, v20, vcc_lo
	s_delay_alu instid0(VALU_DEP_3) | instskip(NEXT) | instid1(VALU_DEP_4)
	v_add_co_u32 v19, vcc_lo, s8, v23
	v_add_co_ci_u32_e32 v20, vcc_lo, s9, v24, vcc_lo
	s_clause 0x1
	global_load_b32 v23, v[21:22], off
	global_load_b32 v24, v[19:20], off
	s_waitcnt vmcnt(0)
	v_cmpx_eq_u32_e64 v23, v24
	s_cbranch_execz .LBB463_355
; %bb.349:
	v_add_co_u32 v19, vcc_lo, v19, 4
	v_add_co_ci_u32_e32 v20, vcc_lo, 0, v20, vcc_lo
	v_add_co_u32 v21, vcc_lo, v21, 4
	v_add_co_ci_u32_e32 v22, vcc_lo, 0, v22, vcc_lo
	s_add_u32 s4, s22, -1
	s_addc_u32 s5, s23, -1
	s_mov_b64 s[6:7], 0
	s_mov_b32 s8, 0
                                        ; implicit-def: $sgpr9
	s_set_inst_prefetch_distance 0x1
	s_branch .LBB463_352
	.p2align	6
.LBB463_350:                            ;   in Loop: Header=BB463_352 Depth=1
	global_load_b32 v23, v[21:22], off
	global_load_b32 v24, v[19:20], off
	v_add_co_u32 v19, vcc_lo, v19, 4
	v_add_co_ci_u32_e32 v20, vcc_lo, 0, v20, vcc_lo
	v_add_co_u32 v21, s2, v21, 4
	s_delay_alu instid0(VALU_DEP_1)
	v_add_co_ci_u32_e64 v22, s2, 0, v22, s2
	s_add_u32 s6, s6, 1
	s_addc_u32 s7, s7, 0
	s_and_not1_b32 s2, s9, exec_lo
	s_waitcnt vmcnt(0)
	v_cmp_ne_u32_e32 vcc_lo, v23, v24
	s_and_b32 s9, vcc_lo, exec_lo
	s_delay_alu instid0(SALU_CYCLE_1)
	s_or_b32 s9, s2, s9
.LBB463_351:                            ;   in Loop: Header=BB463_352 Depth=1
	v_dual_mov_b32 v24, s7 :: v_dual_mov_b32 v23, s6
	s_and_b32 s2, exec_lo, s9
	s_delay_alu instid0(SALU_CYCLE_1) | instskip(NEXT) | instid1(SALU_CYCLE_1)
	s_or_b32 s8, s2, s8
	s_and_not1_b32 exec_lo, exec_lo, s8
	s_cbranch_execz .LBB463_354
.LBB463_352:                            ; =>This Inner Loop Header: Depth=1
	s_or_b32 s9, s9, exec_lo
	s_cmp_eq_u64 s[4:5], s[6:7]
	s_cbranch_scc0 .LBB463_350
; %bb.353:                              ;   in Loop: Header=BB463_352 Depth=1
	s_mov_b64 s[6:7], s[22:23]
                                        ; implicit-def: $vgpr19_vgpr20
                                        ; implicit-def: $vgpr21_vgpr22
	s_branch .LBB463_351
.LBB463_354:
	s_set_inst_prefetch_distance 0x2
	s_or_b32 exec_lo, exec_lo, s8
	v_cmp_gt_i64_e32 vcc_lo, s[22:23], v[23:24]
	s_or_not1_b32 s2, vcc_lo, exec_lo
.LBB463_355:
	s_or_b32 exec_lo, exec_lo, s3
.LBB463_356:
	s_delay_alu instid0(SALU_CYCLE_1)
	s_and_b32 s2, s2, exec_lo
.LBB463_357:
	s_or_b32 exec_lo, exec_lo, s26
	s_delay_alu instid0(SALU_CYCLE_1)
	s_and_b32 s2, s2, exec_lo
	s_or_b32 s18, s18, exec_lo
.LBB463_358:
	s_or_b32 exec_lo, exec_lo, s19
.LBB463_359:
	s_and_saveexec_b32 s3, s18
	s_cbranch_execz .LBB463_361
; %bb.360:
	s_waitcnt lgkmcnt(0)
	v_and_b32_e32 v19, 0xffffff00, v17
	v_cndmask_b32_e64 v20, 0, 1, s2
	s_delay_alu instid0(VALU_DEP_1) | instskip(NEXT) | instid1(VALU_DEP_1)
	v_or_b32_e32 v19, v20, v19
	v_and_b32_e32 v19, 0xffff, v19
	s_delay_alu instid0(VALU_DEP_1)
	v_and_or_b32 v17, 0xffff0000, v17, v19
.LBB463_361:
	s_or_b32 exec_lo, exec_lo, s3
	s_delay_alu instid0(SALU_CYCLE_1)
	s_and_not1_b32 vcc_lo, exec_lo, s24
	s_cbranch_vccnz .LBB463_363
; %bb.362:
	v_cmp_gt_u32_e32 vcc_lo, s20, v39
	s_waitcnt lgkmcnt(0)
	v_or_b32_e32 v20, 1, v39
	v_and_b32_e32 v21, 0xffffff00, v18
	v_or_b32_e32 v22, 2, v39
	v_cndmask_b32_e32 v19, 0, v17, vcc_lo
	s_delay_alu instid0(VALU_DEP_4) | instskip(SKIP_1) | instid1(VALU_DEP_4)
	v_cmp_gt_u32_e32 vcc_lo, s20, v20
	v_or_b32_e32 v20, 4, v39
	v_cmp_gt_u32_e64 s2, s20, v22
	v_or_b32_e32 v22, 3, v39
	v_and_b32_e32 v19, 0xff, v19
	s_delay_alu instid0(VALU_DEP_2) | instskip(NEXT) | instid1(VALU_DEP_2)
	v_cmp_gt_u32_e64 s3, s20, v22
	v_cndmask_b32_e32 v19, v19, v17, vcc_lo
	v_cmp_gt_u32_e32 vcc_lo, s20, v20
	v_cndmask_b32_e32 v20, v21, v18, vcc_lo
	v_or_b32_e32 v21, 5, v39
	s_delay_alu instid0(VALU_DEP_2) | instskip(SKIP_1) | instid1(VALU_DEP_1)
	v_and_b32_e32 v20, 0xffff00ff, v20
	v_and_b32_e32 v19, 0xffff, v19
	v_cndmask_b32_e64 v19, v19, v17, s2
	s_delay_alu instid0(VALU_DEP_4) | instskip(SKIP_1) | instid1(VALU_DEP_3)
	v_cmp_gt_u32_e64 s2, s20, v21
	v_or_b32_e32 v21, 6, v39
	v_and_b32_e32 v19, 0xffffff, v19
	s_delay_alu instid0(VALU_DEP_3) | instskip(NEXT) | instid1(VALU_DEP_2)
	v_cndmask_b32_e64 v20, v20, v18, s2
	v_cndmask_b32_e64 v19, v19, v17, s3
	s_delay_alu instid0(VALU_DEP_1) | instskip(SKIP_2) | instid1(VALU_DEP_3)
	v_dual_cndmask_b32 v19, v19, v17 :: v_dual_and_b32 v20, 0xff00ffff, v20
	v_cmp_gt_u32_e32 vcc_lo, s20, v21
	v_or_b32_e32 v21, 7, v39
	v_cndmask_b32_e64 v19, v19, v17, s2
	s_delay_alu instid0(VALU_DEP_1) | instskip(NEXT) | instid1(VALU_DEP_1)
	v_dual_cndmask_b32 v20, v20, v18 :: v_dual_cndmask_b32 v19, v19, v17
	v_and_b32_e32 v20, 0xffffff, v20
	s_delay_alu instid0(VALU_DEP_4) | instskip(NEXT) | instid1(VALU_DEP_2)
	v_cmp_gt_u32_e32 vcc_lo, s20, v21
	v_dual_cndmask_b32 v18, v20, v18 :: v_dual_cndmask_b32 v17, v19, v17
.LBB463_363:
	s_delay_alu instid0(VALU_DEP_1) | instskip(SKIP_1) | instid1(VALU_DEP_2)
	v_and_b32_e32 v26, 0xff, v17
	s_waitcnt lgkmcnt(0)
	v_alignbit_b32 v19, v18, v17, 24
	v_bfe_u32 v28, v17, 8, 8
	v_bfe_u32 v30, v17, 16, 8
	v_and_b32_e32 v34, 0xff, v18
	v_bfe_u32 v36, v18, 8, 8
	v_and_b32_e32 v32, 0xff, v19
	v_add_nc_u32_e32 v19, v28, v26
	v_mbcnt_lo_u32_b32 v41, -1, 0
	v_bfe_u32 v38, v18, 16, 8
	v_lshrrev_b32_e32 v40, 24, v18
	v_lshrrev_b32_e32 v42, 5, v0
	v_add3_u32 v19, v19, v30, v32
	v_and_b32_e32 v20, 15, v41
	v_and_b32_e32 v21, 16, v41
	s_and_b32 vcc_lo, exec_lo, s25
	s_mov_b32 s18, -1
	v_add3_u32 v19, v19, v34, v36
	v_cmp_eq_u32_e64 s4, 0, v20
	v_cmp_lt_u32_e64 s2, 1, v20
	v_cmp_lt_u32_e64 s5, 3, v20
	;; [unrolled: 1-line block ×3, first 2 shown]
	v_add3_u32 v43, v19, v38, v40
	v_or_b32_e32 v19, 31, v0
	v_cmp_eq_u32_e64 s7, 0, v21
	s_barrier
	buffer_gl0_inv
	v_cmp_eq_u32_e64 s6, v19, v0
	s_cbranch_vccz .LBB463_394
; %bb.364:
	v_mov_b32_dpp v19, v43 row_shr:1 row_mask:0xf bank_mask:0xf
	s_delay_alu instid0(VALU_DEP_1) | instskip(NEXT) | instid1(VALU_DEP_1)
	v_cndmask_b32_e64 v19, v19, 0, s4
	v_add_nc_u32_e32 v19, v19, v43
	s_delay_alu instid0(VALU_DEP_1) | instskip(NEXT) | instid1(VALU_DEP_1)
	v_mov_b32_dpp v20, v19 row_shr:2 row_mask:0xf bank_mask:0xf
	v_cndmask_b32_e64 v20, 0, v20, s2
	s_delay_alu instid0(VALU_DEP_1) | instskip(NEXT) | instid1(VALU_DEP_1)
	v_add_nc_u32_e32 v19, v19, v20
	v_mov_b32_dpp v20, v19 row_shr:4 row_mask:0xf bank_mask:0xf
	s_delay_alu instid0(VALU_DEP_1) | instskip(NEXT) | instid1(VALU_DEP_1)
	v_cndmask_b32_e64 v20, 0, v20, s5
	v_add_nc_u32_e32 v19, v19, v20
	s_delay_alu instid0(VALU_DEP_1) | instskip(NEXT) | instid1(VALU_DEP_1)
	v_mov_b32_dpp v20, v19 row_shr:8 row_mask:0xf bank_mask:0xf
	v_cndmask_b32_e64 v20, 0, v20, s3
	s_delay_alu instid0(VALU_DEP_1) | instskip(SKIP_3) | instid1(VALU_DEP_1)
	v_add_nc_u32_e32 v19, v19, v20
	ds_swizzle_b32 v20, v19 offset:swizzle(BROADCAST,32,15)
	s_waitcnt lgkmcnt(0)
	v_cndmask_b32_e64 v20, v20, 0, s7
	v_add_nc_u32_e32 v19, v19, v20
	s_and_saveexec_b32 s8, s6
	s_cbranch_execz .LBB463_366
; %bb.365:
	v_lshlrev_b32_e32 v20, 2, v42
	ds_store_b32 v20, v19
.LBB463_366:
	s_or_b32 exec_lo, exec_lo, s8
	s_delay_alu instid0(SALU_CYCLE_1)
	s_mov_b32 s8, exec_lo
	s_waitcnt lgkmcnt(0)
	s_barrier
	buffer_gl0_inv
	v_cmpx_gt_u32_e32 16, v0
	s_cbranch_execz .LBB463_368
; %bb.367:
	v_lshlrev_b32_e32 v20, 2, v0
	ds_load_b32 v21, v20
	s_waitcnt lgkmcnt(0)
	v_mov_b32_dpp v22, v21 row_shr:1 row_mask:0xf bank_mask:0xf
	s_delay_alu instid0(VALU_DEP_1) | instskip(NEXT) | instid1(VALU_DEP_1)
	v_cndmask_b32_e64 v22, v22, 0, s4
	v_add_nc_u32_e32 v21, v22, v21
	s_delay_alu instid0(VALU_DEP_1) | instskip(NEXT) | instid1(VALU_DEP_1)
	v_mov_b32_dpp v22, v21 row_shr:2 row_mask:0xf bank_mask:0xf
	v_cndmask_b32_e64 v22, 0, v22, s2
	s_delay_alu instid0(VALU_DEP_1) | instskip(NEXT) | instid1(VALU_DEP_1)
	v_add_nc_u32_e32 v21, v21, v22
	v_mov_b32_dpp v22, v21 row_shr:4 row_mask:0xf bank_mask:0xf
	s_delay_alu instid0(VALU_DEP_1) | instskip(NEXT) | instid1(VALU_DEP_1)
	v_cndmask_b32_e64 v22, 0, v22, s5
	v_add_nc_u32_e32 v21, v21, v22
	s_delay_alu instid0(VALU_DEP_1) | instskip(NEXT) | instid1(VALU_DEP_1)
	v_mov_b32_dpp v22, v21 row_shr:8 row_mask:0xf bank_mask:0xf
	v_cndmask_b32_e64 v22, 0, v22, s3
	s_delay_alu instid0(VALU_DEP_1)
	v_add_nc_u32_e32 v21, v21, v22
	ds_store_b32 v20, v21
.LBB463_368:
	s_or_b32 exec_lo, exec_lo, s8
	v_cmp_gt_u32_e32 vcc_lo, 32, v0
	s_mov_b32 s9, exec_lo
	s_waitcnt lgkmcnt(0)
	s_barrier
	buffer_gl0_inv
                                        ; implicit-def: $vgpr27
	v_cmpx_lt_u32_e32 31, v0
	s_cbranch_execz .LBB463_370
; %bb.369:
	v_lshl_add_u32 v20, v42, 2, -4
	ds_load_b32 v27, v20
	s_waitcnt lgkmcnt(0)
	v_add_nc_u32_e32 v19, v27, v19
.LBB463_370:
	s_or_b32 exec_lo, exec_lo, s9
	v_add_nc_u32_e32 v20, -1, v41
	s_delay_alu instid0(VALU_DEP_1) | instskip(NEXT) | instid1(VALU_DEP_1)
	v_cmp_gt_i32_e64 s8, 0, v20
	v_cndmask_b32_e64 v20, v20, v41, s8
	v_cmp_eq_u32_e64 s8, 0, v41
	s_delay_alu instid0(VALU_DEP_2)
	v_lshlrev_b32_e32 v20, 2, v20
	ds_bpermute_b32 v29, v20, v19
	s_and_saveexec_b32 s9, vcc_lo
	s_cbranch_execz .LBB463_393
; %bb.371:
	v_mov_b32_e32 v22, 0
	ds_load_b32 v19, v22 offset:60
	s_and_saveexec_b32 s18, s8
	s_cbranch_execz .LBB463_373
; %bb.372:
	s_add_i32 s22, s15, 32
	s_mov_b32 s23, 0
	v_mov_b32_e32 v20, 1
	s_lshl_b64 s[22:23], s[22:23], 3
	s_delay_alu instid0(SALU_CYCLE_1)
	s_add_u32 s22, s10, s22
	s_addc_u32 s23, s11, s23
	s_waitcnt lgkmcnt(0)
	global_store_b64 v22, v[19:20], s[22:23]
.LBB463_373:
	s_or_b32 exec_lo, exec_lo, s18
	v_xad_u32 v20, v41, -1, s15
	s_mov_b32 s19, 0
	s_mov_b32 s18, exec_lo
	s_delay_alu instid0(VALU_DEP_1) | instskip(NEXT) | instid1(VALU_DEP_1)
	v_add_nc_u32_e32 v21, 32, v20
	v_lshlrev_b64 v[21:22], 3, v[21:22]
	s_delay_alu instid0(VALU_DEP_1) | instskip(NEXT) | instid1(VALU_DEP_2)
	v_add_co_u32 v24, vcc_lo, s10, v21
	v_add_co_ci_u32_e32 v25, vcc_lo, s11, v22, vcc_lo
	global_load_b64 v[22:23], v[24:25], off glc
	s_waitcnt vmcnt(0)
	v_and_b32_e32 v21, 0xff, v23
	s_delay_alu instid0(VALU_DEP_1)
	v_cmpx_eq_u16_e32 0, v21
	s_cbranch_execz .LBB463_379
; %bb.374:
	s_mov_b32 s20, 1
	.p2align	6
.LBB463_375:                            ; =>This Loop Header: Depth=1
                                        ;     Child Loop BB463_376 Depth 2
	s_delay_alu instid0(SALU_CYCLE_1)
	s_max_u32 s22, s20, 1
.LBB463_376:                            ;   Parent Loop BB463_375 Depth=1
                                        ; =>  This Inner Loop Header: Depth=2
	s_delay_alu instid0(SALU_CYCLE_1)
	s_add_i32 s22, s22, -1
	s_sleep 1
	s_cmp_eq_u32 s22, 0
	s_cbranch_scc0 .LBB463_376
; %bb.377:                              ;   in Loop: Header=BB463_375 Depth=1
	global_load_b64 v[22:23], v[24:25], off glc
	s_cmp_lt_u32 s20, 32
	s_cselect_b32 s22, -1, 0
	s_delay_alu instid0(SALU_CYCLE_1) | instskip(SKIP_3) | instid1(VALU_DEP_1)
	s_cmp_lg_u32 s22, 0
	s_addc_u32 s20, s20, 0
	s_waitcnt vmcnt(0)
	v_and_b32_e32 v21, 0xff, v23
	v_cmp_ne_u16_e32 vcc_lo, 0, v21
	s_or_b32 s19, vcc_lo, s19
	s_delay_alu instid0(SALU_CYCLE_1)
	s_and_not1_b32 exec_lo, exec_lo, s19
	s_cbranch_execnz .LBB463_375
; %bb.378:
	s_or_b32 exec_lo, exec_lo, s19
.LBB463_379:
	s_delay_alu instid0(SALU_CYCLE_1)
	s_or_b32 exec_lo, exec_lo, s18
	v_cmp_ne_u32_e32 vcc_lo, 31, v41
	v_lshlrev_b32_e64 v33, v41, -1
	v_add_nc_u32_e32 v37, 2, v41
	v_add_nc_u32_e32 v46, 4, v41
	;; [unrolled: 1-line block ×3, first 2 shown]
	v_add_co_ci_u32_e32 v21, vcc_lo, 0, v41, vcc_lo
	v_add_nc_u32_e32 v50, 16, v41
	s_delay_alu instid0(VALU_DEP_2)
	v_lshlrev_b32_e32 v31, 2, v21
	v_and_b32_e32 v21, 0xff, v23
	ds_bpermute_b32 v24, v31, v22
	v_cmp_eq_u16_e32 vcc_lo, 2, v21
	v_and_or_b32 v21, vcc_lo, v33, 0x80000000
	v_cmp_gt_u32_e32 vcc_lo, 30, v41
	s_delay_alu instid0(VALU_DEP_2) | instskip(SKIP_1) | instid1(VALU_DEP_2)
	v_ctz_i32_b32_e32 v21, v21
	v_cndmask_b32_e64 v25, 0, 1, vcc_lo
	v_cmp_lt_u32_e32 vcc_lo, v41, v21
	s_waitcnt lgkmcnt(0)
	s_delay_alu instid0(VALU_DEP_2) | instskip(NEXT) | instid1(VALU_DEP_1)
	v_dual_cndmask_b32 v24, 0, v24 :: v_dual_lshlrev_b32 v25, 1, v25
	v_add_lshl_u32 v35, v25, v41, 2
	v_cmp_gt_u32_e32 vcc_lo, 28, v41
	s_delay_alu instid0(VALU_DEP_3) | instskip(SKIP_4) | instid1(VALU_DEP_1)
	v_add_nc_u32_e32 v22, v24, v22
	v_cndmask_b32_e64 v25, 0, 1, vcc_lo
	v_cmp_le_u32_e32 vcc_lo, v37, v21
	ds_bpermute_b32 v24, v35, v22
	v_lshlrev_b32_e32 v25, 2, v25
	v_add_lshl_u32 v44, v25, v41, 2
	s_waitcnt lgkmcnt(0)
	v_cndmask_b32_e32 v24, 0, v24, vcc_lo
	v_cmp_gt_u32_e32 vcc_lo, 24, v41
	s_delay_alu instid0(VALU_DEP_2) | instskip(SKIP_4) | instid1(VALU_DEP_1)
	v_add_nc_u32_e32 v22, v22, v24
	v_cndmask_b32_e64 v25, 0, 1, vcc_lo
	v_cmp_le_u32_e32 vcc_lo, v46, v21
	ds_bpermute_b32 v24, v44, v22
	v_lshlrev_b32_e32 v25, 3, v25
	v_add_lshl_u32 v47, v25, v41, 2
	s_waitcnt lgkmcnt(0)
	v_cndmask_b32_e32 v24, 0, v24, vcc_lo
	v_cmp_gt_u32_e32 vcc_lo, 16, v41
	s_delay_alu instid0(VALU_DEP_2) | instskip(SKIP_4) | instid1(VALU_DEP_1)
	v_add_nc_u32_e32 v22, v22, v24
	v_cndmask_b32_e64 v25, 0, 1, vcc_lo
	v_cmp_le_u32_e32 vcc_lo, v48, v21
	ds_bpermute_b32 v24, v47, v22
	v_lshlrev_b32_e32 v25, 4, v25
	v_add_lshl_u32 v49, v25, v41, 2
	s_waitcnt lgkmcnt(0)
	v_cndmask_b32_e32 v24, 0, v24, vcc_lo
	v_cmp_le_u32_e32 vcc_lo, v50, v21
	s_delay_alu instid0(VALU_DEP_2) | instskip(SKIP_3) | instid1(VALU_DEP_1)
	v_add_nc_u32_e32 v22, v22, v24
	ds_bpermute_b32 v24, v49, v22
	s_waitcnt lgkmcnt(0)
	v_cndmask_b32_e32 v21, 0, v24, vcc_lo
	v_dual_mov_b32 v21, 0 :: v_dual_add_nc_u32 v22, v22, v21
	s_branch .LBB463_381
.LBB463_380:                            ;   in Loop: Header=BB463_381 Depth=1
	s_or_b32 exec_lo, exec_lo, s18
	ds_bpermute_b32 v25, v31, v22
	v_and_b32_e32 v24, 0xff, v23
	v_subrev_nc_u32_e32 v20, 32, v20
	s_delay_alu instid0(VALU_DEP_2) | instskip(SKIP_1) | instid1(VALU_DEP_1)
	v_cmp_eq_u16_e32 vcc_lo, 2, v24
	v_and_or_b32 v24, vcc_lo, v33, 0x80000000
	v_ctz_i32_b32_e32 v24, v24
	s_delay_alu instid0(VALU_DEP_1) | instskip(SKIP_3) | instid1(VALU_DEP_2)
	v_cmp_lt_u32_e32 vcc_lo, v41, v24
	s_waitcnt lgkmcnt(0)
	v_cndmask_b32_e32 v25, 0, v25, vcc_lo
	v_cmp_le_u32_e32 vcc_lo, v37, v24
	v_add_nc_u32_e32 v22, v25, v22
	ds_bpermute_b32 v25, v35, v22
	s_waitcnt lgkmcnt(0)
	v_cndmask_b32_e32 v25, 0, v25, vcc_lo
	v_cmp_le_u32_e32 vcc_lo, v46, v24
	s_delay_alu instid0(VALU_DEP_2) | instskip(SKIP_4) | instid1(VALU_DEP_2)
	v_add_nc_u32_e32 v22, v22, v25
	ds_bpermute_b32 v25, v44, v22
	s_waitcnt lgkmcnt(0)
	v_cndmask_b32_e32 v25, 0, v25, vcc_lo
	v_cmp_le_u32_e32 vcc_lo, v48, v24
	v_add_nc_u32_e32 v22, v22, v25
	ds_bpermute_b32 v25, v47, v22
	s_waitcnt lgkmcnt(0)
	v_cndmask_b32_e32 v25, 0, v25, vcc_lo
	v_cmp_le_u32_e32 vcc_lo, v50, v24
	s_delay_alu instid0(VALU_DEP_2) | instskip(SKIP_3) | instid1(VALU_DEP_1)
	v_add_nc_u32_e32 v22, v22, v25
	ds_bpermute_b32 v25, v49, v22
	s_waitcnt lgkmcnt(0)
	v_cndmask_b32_e32 v24, 0, v25, vcc_lo
	v_add3_u32 v22, v24, v45, v22
.LBB463_381:                            ; =>This Loop Header: Depth=1
                                        ;     Child Loop BB463_384 Depth 2
                                        ;       Child Loop BB463_385 Depth 3
	v_and_b32_e32 v23, 0xff, v23
	s_delay_alu instid0(VALU_DEP_2) | instskip(NEXT) | instid1(VALU_DEP_2)
	v_mov_b32_e32 v45, v22
	v_cmp_ne_u16_e32 vcc_lo, 2, v23
	v_cndmask_b32_e64 v23, 0, 1, vcc_lo
	;;#ASMSTART
	;;#ASMEND
	s_delay_alu instid0(VALU_DEP_1)
	v_cmp_ne_u32_e32 vcc_lo, 0, v23
	s_cmp_lg_u32 vcc_lo, exec_lo
	s_cbranch_scc1 .LBB463_388
; %bb.382:                              ;   in Loop: Header=BB463_381 Depth=1
	v_lshlrev_b64 v[22:23], 3, v[20:21]
	s_mov_b32 s18, exec_lo
	s_delay_alu instid0(VALU_DEP_1) | instskip(NEXT) | instid1(VALU_DEP_2)
	v_add_co_u32 v24, vcc_lo, s10, v22
	v_add_co_ci_u32_e32 v25, vcc_lo, s11, v23, vcc_lo
	global_load_b64 v[22:23], v[24:25], off glc
	s_waitcnt vmcnt(0)
	v_and_b32_e32 v51, 0xff, v23
	s_delay_alu instid0(VALU_DEP_1)
	v_cmpx_eq_u16_e32 0, v51
	s_cbranch_execz .LBB463_380
; %bb.383:                              ;   in Loop: Header=BB463_381 Depth=1
	s_mov_b32 s20, 1
	s_mov_b32 s19, 0
	.p2align	6
.LBB463_384:                            ;   Parent Loop BB463_381 Depth=1
                                        ; =>  This Loop Header: Depth=2
                                        ;       Child Loop BB463_385 Depth 3
	s_max_u32 s22, s20, 1
.LBB463_385:                            ;   Parent Loop BB463_381 Depth=1
                                        ;     Parent Loop BB463_384 Depth=2
                                        ; =>    This Inner Loop Header: Depth=3
	s_delay_alu instid0(SALU_CYCLE_1)
	s_add_i32 s22, s22, -1
	s_sleep 1
	s_cmp_eq_u32 s22, 0
	s_cbranch_scc0 .LBB463_385
; %bb.386:                              ;   in Loop: Header=BB463_384 Depth=2
	global_load_b64 v[22:23], v[24:25], off glc
	s_cmp_lt_u32 s20, 32
	s_cselect_b32 s22, -1, 0
	s_delay_alu instid0(SALU_CYCLE_1) | instskip(SKIP_3) | instid1(VALU_DEP_1)
	s_cmp_lg_u32 s22, 0
	s_addc_u32 s20, s20, 0
	s_waitcnt vmcnt(0)
	v_and_b32_e32 v51, 0xff, v23
	v_cmp_ne_u16_e32 vcc_lo, 0, v51
	s_or_b32 s19, vcc_lo, s19
	s_delay_alu instid0(SALU_CYCLE_1)
	s_and_not1_b32 exec_lo, exec_lo, s19
	s_cbranch_execnz .LBB463_384
; %bb.387:                              ;   in Loop: Header=BB463_381 Depth=1
	s_or_b32 exec_lo, exec_lo, s19
	s_branch .LBB463_380
.LBB463_388:                            ;   in Loop: Header=BB463_381 Depth=1
                                        ; implicit-def: $vgpr22
                                        ; implicit-def: $vgpr23
	s_cbranch_execz .LBB463_381
; %bb.389:
	s_and_saveexec_b32 s18, s8
	s_cbranch_execz .LBB463_391
; %bb.390:
	s_add_i32 s22, s15, 32
	s_mov_b32 s23, 0
	v_dual_mov_b32 v21, 2 :: v_dual_add_nc_u32 v20, v45, v19
	s_lshl_b64 s[22:23], s[22:23], 3
	v_mov_b32_e32 v22, 0
	v_add_nc_u32_e64 v23, 0x8400, 0
	s_add_u32 s22, s10, s22
	s_addc_u32 s23, s11, s23
	global_store_b64 v22, v[20:21], s[22:23]
	ds_store_2addr_b32 v23, v19, v45 offset1:2
.LBB463_391:
	s_or_b32 exec_lo, exec_lo, s18
	v_cmp_eq_u32_e32 vcc_lo, 0, v0
	s_and_b32 exec_lo, exec_lo, vcc_lo
	s_cbranch_execz .LBB463_393
; %bb.392:
	v_mov_b32_e32 v19, 0
	ds_store_b32 v19, v45 offset:60
.LBB463_393:
	s_or_b32 exec_lo, exec_lo, s9
	s_waitcnt lgkmcnt(0)
	v_cndmask_b32_e64 v20, v29, v27, s8
	v_cmp_ne_u32_e32 vcc_lo, 0, v0
	v_mov_b32_e32 v19, 0
	s_waitcnt_vscnt null, 0x0
	s_barrier
	buffer_gl0_inv
	v_cndmask_b32_e32 v20, 0, v20, vcc_lo
	ds_load_b32 v19, v19 offset:60
	s_waitcnt lgkmcnt(0)
	s_barrier
	buffer_gl0_inv
	v_add_nc_u32_e32 v37, v19, v20
	v_add_nc_u32_e64 v19, 0x8400, 0
	s_delay_alu instid0(VALU_DEP_2) | instskip(SKIP_2) | instid1(VALU_DEP_1)
	v_add_nc_u32_e32 v35, v37, v26
	ds_load_2addr_b32 v[19:20], v19 offset1:2
	v_add_nc_u32_e32 v33, v35, v28
	v_add_nc_u32_e32 v31, v33, v30
	s_delay_alu instid0(VALU_DEP_1) | instskip(NEXT) | instid1(VALU_DEP_1)
	v_add_nc_u32_e32 v29, v31, v32
	v_add_nc_u32_e32 v27, v29, v34
	s_delay_alu instid0(VALU_DEP_1) | instskip(NEXT) | instid1(VALU_DEP_1)
	v_add_nc_u32_e32 v25, v27, v36
	v_add_nc_u32_e32 v23, v25, v38
	s_load_b64 s[8:9], s[0:1], 0x28
	v_lshrrev_b64 v[21:22], 24, v[17:18]
	s_branch .LBB463_404
.LBB463_394:
                                        ; implicit-def: $vgpr23
                                        ; implicit-def: $vgpr25
                                        ; implicit-def: $vgpr27
                                        ; implicit-def: $vgpr29
                                        ; implicit-def: $vgpr31
                                        ; implicit-def: $vgpr33
                                        ; implicit-def: $vgpr35
                                        ; implicit-def: $vgpr37
                                        ; implicit-def: $vgpr20
	s_load_b64 s[8:9], s[0:1], 0x28
	v_lshrrev_b64 v[21:22], 24, v[17:18]
	s_and_b32 vcc_lo, exec_lo, s18
	s_cbranch_vccz .LBB463_404
; %bb.395:
	s_waitcnt lgkmcnt(0)
	v_mov_b32_dpp v19, v43 row_shr:1 row_mask:0xf bank_mask:0xf
	s_delay_alu instid0(VALU_DEP_1) | instskip(NEXT) | instid1(VALU_DEP_1)
	v_cndmask_b32_e64 v19, v19, 0, s4
	v_add_nc_u32_e32 v19, v19, v43
	s_delay_alu instid0(VALU_DEP_1) | instskip(NEXT) | instid1(VALU_DEP_1)
	v_mov_b32_dpp v20, v19 row_shr:2 row_mask:0xf bank_mask:0xf
	v_cndmask_b32_e64 v20, 0, v20, s2
	s_delay_alu instid0(VALU_DEP_1) | instskip(NEXT) | instid1(VALU_DEP_1)
	v_add_nc_u32_e32 v19, v19, v20
	v_mov_b32_dpp v20, v19 row_shr:4 row_mask:0xf bank_mask:0xf
	s_delay_alu instid0(VALU_DEP_1) | instskip(NEXT) | instid1(VALU_DEP_1)
	v_cndmask_b32_e64 v20, 0, v20, s5
	v_add_nc_u32_e32 v19, v19, v20
	s_delay_alu instid0(VALU_DEP_1) | instskip(NEXT) | instid1(VALU_DEP_1)
	v_mov_b32_dpp v20, v19 row_shr:8 row_mask:0xf bank_mask:0xf
	v_cndmask_b32_e64 v20, 0, v20, s3
	s_delay_alu instid0(VALU_DEP_1) | instskip(SKIP_3) | instid1(VALU_DEP_1)
	v_add_nc_u32_e32 v19, v19, v20
	ds_swizzle_b32 v20, v19 offset:swizzle(BROADCAST,32,15)
	s_waitcnt lgkmcnt(0)
	v_cndmask_b32_e64 v20, v20, 0, s7
	v_add_nc_u32_e32 v19, v19, v20
	s_and_saveexec_b32 s0, s6
	s_cbranch_execz .LBB463_397
; %bb.396:
	v_lshlrev_b32_e32 v20, 2, v42
	ds_store_b32 v20, v19
.LBB463_397:
	s_or_b32 exec_lo, exec_lo, s0
	s_delay_alu instid0(SALU_CYCLE_1)
	s_mov_b32 s0, exec_lo
	s_waitcnt lgkmcnt(0)
	s_barrier
	buffer_gl0_inv
	v_cmpx_gt_u32_e32 16, v0
	s_cbranch_execz .LBB463_399
; %bb.398:
	v_lshlrev_b32_e32 v20, 2, v0
	ds_load_b32 v22, v20
	s_waitcnt lgkmcnt(0)
	v_mov_b32_dpp v23, v22 row_shr:1 row_mask:0xf bank_mask:0xf
	s_delay_alu instid0(VALU_DEP_1) | instskip(NEXT) | instid1(VALU_DEP_1)
	v_cndmask_b32_e64 v23, v23, 0, s4
	v_add_nc_u32_e32 v22, v23, v22
	s_delay_alu instid0(VALU_DEP_1) | instskip(NEXT) | instid1(VALU_DEP_1)
	v_mov_b32_dpp v23, v22 row_shr:2 row_mask:0xf bank_mask:0xf
	v_cndmask_b32_e64 v23, 0, v23, s2
	s_delay_alu instid0(VALU_DEP_1) | instskip(NEXT) | instid1(VALU_DEP_1)
	v_add_nc_u32_e32 v22, v22, v23
	v_mov_b32_dpp v23, v22 row_shr:4 row_mask:0xf bank_mask:0xf
	s_delay_alu instid0(VALU_DEP_1) | instskip(NEXT) | instid1(VALU_DEP_1)
	v_cndmask_b32_e64 v23, 0, v23, s5
	v_add_nc_u32_e32 v22, v22, v23
	s_delay_alu instid0(VALU_DEP_1) | instskip(NEXT) | instid1(VALU_DEP_1)
	v_mov_b32_dpp v23, v22 row_shr:8 row_mask:0xf bank_mask:0xf
	v_cndmask_b32_e64 v23, 0, v23, s3
	s_delay_alu instid0(VALU_DEP_1)
	v_add_nc_u32_e32 v22, v22, v23
	ds_store_b32 v20, v22
.LBB463_399:
	s_or_b32 exec_lo, exec_lo, s0
	v_mov_b32_e32 v20, 0
	v_mov_b32_e32 v22, 0
	s_mov_b32 s0, exec_lo
	s_waitcnt lgkmcnt(0)
	s_barrier
	buffer_gl0_inv
	v_cmpx_lt_u32_e32 31, v0
	s_cbranch_execz .LBB463_401
; %bb.400:
	v_lshl_add_u32 v22, v42, 2, -4
	ds_load_b32 v22, v22
.LBB463_401:
	s_or_b32 exec_lo, exec_lo, s0
	v_add_nc_u32_e32 v23, -1, v41
	s_waitcnt lgkmcnt(0)
	v_add_nc_u32_e32 v19, v22, v19
	s_delay_alu instid0(VALU_DEP_2) | instskip(SKIP_2) | instid1(VALU_DEP_2)
	v_cmp_gt_i32_e32 vcc_lo, 0, v23
	v_cndmask_b32_e32 v23, v23, v41, vcc_lo
	v_cmp_eq_u32_e32 vcc_lo, 0, v0
	v_lshlrev_b32_e32 v23, 2, v23
	ds_bpermute_b32 v23, v23, v19
	ds_load_b32 v19, v20 offset:60
	s_and_saveexec_b32 s0, vcc_lo
	s_cbranch_execz .LBB463_403
; %bb.402:
	v_mov_b32_e32 v24, 0
	v_mov_b32_e32 v20, 2
	s_waitcnt lgkmcnt(0)
	global_store_b64 v24, v[19:20], s[10:11] offset:256
.LBB463_403:
	s_or_b32 exec_lo, exec_lo, s0
	v_cmp_eq_u32_e64 s0, 0, v41
	s_waitcnt lgkmcnt(0)
	s_waitcnt_vscnt null, 0x0
	s_barrier
	buffer_gl0_inv
	v_cndmask_b32_e64 v20, v23, v22, s0
	s_delay_alu instid0(VALU_DEP_1) | instskip(NEXT) | instid1(VALU_DEP_1)
	v_cndmask_b32_e64 v37, v20, 0, vcc_lo
	v_dual_mov_b32 v20, 0 :: v_dual_add_nc_u32 v35, v37, v26
	s_delay_alu instid0(VALU_DEP_1) | instskip(NEXT) | instid1(VALU_DEP_1)
	v_add_nc_u32_e32 v33, v35, v28
	v_add_nc_u32_e32 v31, v33, v30
	s_delay_alu instid0(VALU_DEP_1) | instskip(NEXT) | instid1(VALU_DEP_1)
	v_add_nc_u32_e32 v29, v31, v32
	v_add_nc_u32_e32 v27, v29, v34
	;; [unrolled: 3-line block ×3, first 2 shown]
.LBB463_404:
	s_waitcnt lgkmcnt(0)
	v_cmp_gt_u32_e32 vcc_lo, 0x201, v19
	v_lshrrev_b32_e32 v43, 8, v17
	v_lshrrev_b32_e32 v42, 16, v17
	;; [unrolled: 1-line block ×4, first 2 shown]
	s_mov_b32 s0, -1
	s_cbranch_vccnz .LBB463_408
; %bb.405:
	s_and_b32 vcc_lo, exec_lo, s0
	s_cbranch_vccnz .LBB463_433
.LBB463_406:
	v_cmp_eq_u32_e32 vcc_lo, 0, v0
	s_and_b32 s0, vcc_lo, s14
	s_delay_alu instid0(SALU_CYCLE_1)
	s_and_saveexec_b32 s1, s0
	s_cbranch_execnz .LBB463_453
.LBB463_407:
	s_nop 0
	s_sendmsg sendmsg(MSG_DEALLOC_VGPRS)
	s_endpgm
.LBB463_408:
	v_add_nc_u32_e32 v24, v20, v19
	s_delay_alu instid0(VALU_DEP_1) | instskip(SKIP_1) | instid1(SALU_CYCLE_1)
	v_cmp_lt_u32_e32 vcc_lo, v37, v24
	s_or_b32 s1, s21, vcc_lo
	s_and_saveexec_b32 s0, s1
	s_cbranch_execz .LBB463_411
; %bb.409:
	v_and_b32_e32 v26, 1, v17
	s_delay_alu instid0(VALU_DEP_1)
	v_cmp_eq_u32_e32 vcc_lo, 1, v26
	s_and_b32 exec_lo, exec_lo, vcc_lo
	s_cbranch_execz .LBB463_411
; %bb.410:
	v_mov_b32_e32 v38, 0
	s_lshl_b64 s[2:3], s[12:13], 3
	s_delay_alu instid0(SALU_CYCLE_1) | instskip(SKIP_1) | instid1(VALU_DEP_1)
	s_add_u32 s1, s8, s2
	s_addc_u32 s2, s9, s3
	v_lshlrev_b64 v[44:45], 3, v[37:38]
	s_delay_alu instid0(VALU_DEP_1) | instskip(NEXT) | instid1(VALU_DEP_2)
	v_add_co_u32 v44, vcc_lo, s1, v44
	v_add_co_ci_u32_e32 v45, vcc_lo, s2, v45, vcc_lo
	global_store_b64 v[44:45], v[13:14], off
.LBB463_411:
	s_or_b32 exec_lo, exec_lo, s0
	v_cmp_lt_u32_e32 vcc_lo, v35, v24
	s_or_b32 s1, s21, vcc_lo
	s_delay_alu instid0(SALU_CYCLE_1)
	s_and_saveexec_b32 s0, s1
	s_cbranch_execz .LBB463_414
; %bb.412:
	v_and_b32_e32 v26, 1, v43
	s_delay_alu instid0(VALU_DEP_1)
	v_cmp_eq_u32_e32 vcc_lo, 1, v26
	s_and_b32 exec_lo, exec_lo, vcc_lo
	s_cbranch_execz .LBB463_414
; %bb.413:
	v_mov_b32_e32 v36, 0
	s_lshl_b64 s[2:3], s[12:13], 3
	s_delay_alu instid0(SALU_CYCLE_1) | instskip(SKIP_1) | instid1(VALU_DEP_1)
	s_add_u32 s1, s8, s2
	s_addc_u32 s2, s9, s3
	v_lshlrev_b64 v[44:45], 3, v[35:36]
	s_delay_alu instid0(VALU_DEP_1) | instskip(NEXT) | instid1(VALU_DEP_2)
	v_add_co_u32 v44, vcc_lo, s1, v44
	v_add_co_ci_u32_e32 v45, vcc_lo, s2, v45, vcc_lo
	global_store_b64 v[44:45], v[15:16], off
.LBB463_414:
	s_or_b32 exec_lo, exec_lo, s0
	v_cmp_lt_u32_e32 vcc_lo, v33, v24
	s_or_b32 s1, s21, vcc_lo
	s_delay_alu instid0(SALU_CYCLE_1)
	;; [unrolled: 24-line block ×7, first 2 shown]
	s_and_saveexec_b32 s0, s1
	s_cbranch_execz .LBB463_432
; %bb.430:
	v_and_b32_e32 v24, 1, v40
	s_delay_alu instid0(VALU_DEP_1)
	v_cmp_eq_u32_e32 vcc_lo, 1, v24
	s_and_b32 exec_lo, exec_lo, vcc_lo
	s_cbranch_execz .LBB463_432
; %bb.431:
	v_mov_b32_e32 v24, 0
	s_lshl_b64 s[2:3], s[12:13], 3
	s_delay_alu instid0(SALU_CYCLE_1) | instskip(SKIP_1) | instid1(VALU_DEP_1)
	s_add_u32 s1, s8, s2
	s_addc_u32 s2, s9, s3
	v_lshlrev_b64 v[44:45], 3, v[23:24]
	s_delay_alu instid0(VALU_DEP_1) | instskip(NEXT) | instid1(VALU_DEP_2)
	v_add_co_u32 v44, vcc_lo, s1, v44
	v_add_co_ci_u32_e32 v45, vcc_lo, s2, v45, vcc_lo
	global_store_b64 v[44:45], v[3:4], off
.LBB463_432:
	s_or_b32 exec_lo, exec_lo, s0
	s_branch .LBB463_406
.LBB463_433:
	v_and_b32_e32 v17, 1, v17
	s_mov_b32 s0, exec_lo
	s_delay_alu instid0(VALU_DEP_1)
	v_cmpx_eq_u32_e32 1, v17
	s_cbranch_execz .LBB463_435
; %bb.434:
	v_sub_nc_u32_e32 v17, v37, v20
	s_delay_alu instid0(VALU_DEP_1)
	v_lshlrev_b32_e32 v17, 3, v17
	ds_store_b64 v17, v[13:14]
.LBB463_435:
	s_or_b32 exec_lo, exec_lo, s0
	v_and_b32_e32 v13, 1, v43
	s_mov_b32 s0, exec_lo
	s_delay_alu instid0(VALU_DEP_1)
	v_cmpx_eq_u32_e32 1, v13
	s_cbranch_execz .LBB463_437
; %bb.436:
	v_sub_nc_u32_e32 v13, v35, v20
	s_delay_alu instid0(VALU_DEP_1)
	v_lshlrev_b32_e32 v13, 3, v13
	ds_store_b64 v13, v[15:16]
.LBB463_437:
	s_or_b32 exec_lo, exec_lo, s0
	;; [unrolled: 12-line block ×8, first 2 shown]
	s_delay_alu instid0(SALU_CYCLE_1)
	s_mov_b32 s1, exec_lo
	s_waitcnt lgkmcnt(0)
	s_waitcnt_vscnt null, 0x0
	s_barrier
	buffer_gl0_inv
	v_cmpx_lt_u32_e64 v0, v19
	s_cbranch_execz .LBB463_452
; %bb.450:
	v_dual_mov_b32 v2, 0 :: v_dual_mov_b32 v1, v20
	s_lshl_b64 s[2:3], s[12:13], 3
	v_mov_b32_e32 v3, v0
	s_delay_alu instid0(VALU_DEP_2) | instskip(NEXT) | instid1(VALU_DEP_1)
	v_lshlrev_b64 v[1:2], 3, v[1:2]
	v_add_co_u32 v1, vcc_lo, s2, v1
	s_delay_alu instid0(VALU_DEP_2) | instskip(SKIP_1) | instid1(VALU_DEP_2)
	v_add_co_ci_u32_e32 v2, vcc_lo, s3, v2, vcc_lo
	s_mov_b32 s2, 0
	v_add_co_u32 v1, vcc_lo, s8, v1
	s_delay_alu instid0(VALU_DEP_2) | instskip(NEXT) | instid1(VALU_DEP_2)
	v_add_co_ci_u32_e32 v2, vcc_lo, s9, v2, vcc_lo
	v_add_co_u32 v1, vcc_lo, v1, v39
	s_delay_alu instid0(VALU_DEP_2)
	v_add_co_ci_u32_e32 v2, vcc_lo, 0, v2, vcc_lo
	.p2align	6
.LBB463_451:                            ; =>This Inner Loop Header: Depth=1
	ds_load_b64 v[4:5], v39
	v_add_nc_u32_e32 v3, 0x200, v3
	v_add_nc_u32_e32 v39, 0x1000, v39
	s_delay_alu instid0(VALU_DEP_2) | instskip(SKIP_4) | instid1(VALU_DEP_1)
	v_cmp_ge_u32_e32 vcc_lo, v3, v19
	s_or_b32 s2, vcc_lo, s2
	s_waitcnt lgkmcnt(0)
	global_store_b64 v[1:2], v[4:5], off
	v_add_co_u32 v1, s0, 0x1000, v1
	v_add_co_ci_u32_e64 v2, s0, 0, v2, s0
	s_and_not1_b32 exec_lo, exec_lo, s2
	s_cbranch_execnz .LBB463_451
.LBB463_452:
	s_or_b32 exec_lo, exec_lo, s1
	v_cmp_eq_u32_e32 vcc_lo, 0, v0
	s_and_b32 s0, vcc_lo, s14
	s_delay_alu instid0(SALU_CYCLE_1)
	s_and_saveexec_b32 s1, s0
	s_cbranch_execz .LBB463_407
.LBB463_453:
	v_add_co_u32 v0, s0, s12, v19
	s_delay_alu instid0(VALU_DEP_1) | instskip(SKIP_1) | instid1(VALU_DEP_3)
	v_add_co_ci_u32_e64 v1, null, s13, 0, s0
	v_mov_b32_e32 v2, 0
	v_add_co_u32 v0, vcc_lo, v0, v20
	s_delay_alu instid0(VALU_DEP_3)
	v_add_co_ci_u32_e32 v1, vcc_lo, 0, v1, vcc_lo
	global_store_b64 v2, v[0:1], s[16:17]
	s_nop 0
	s_sendmsg sendmsg(MSG_DEALLOC_VGPRS)
	s_endpgm
	.section	.rodata,"a",@progbits
	.p2align	6, 0x0
	.amdhsa_kernel _ZN7rocprim17ROCPRIM_400000_NS6detail17trampoline_kernelINS0_14default_configENS1_25partition_config_selectorILNS1_17partition_subalgoE8ElNS0_10empty_typeEbEEZZNS1_14partition_implILS5_8ELb0ES3_jPlPS6_PKS6_NS0_5tupleIJS9_S6_EEENSD_IJSA_SA_EEENS0_18inequality_wrapperIZN2at6native12_GLOBAL__N_124unique_dim_cuda_templateIiEESt5tupleIJNSH_6TensorESM_SM_EERKSM_lbbbEUlllE0_EEPmJS6_EEE10hipError_tPvRmT3_T4_T5_T6_T7_T9_mT8_P12ihipStream_tbDpT10_ENKUlT_T0_E_clISt17integral_constantIbLb1EES1B_IbLb0EEEEDaS17_S18_EUlS17_E_NS1_11comp_targetILNS1_3genE9ELNS1_11target_archE1100ELNS1_3gpuE3ELNS1_3repE0EEENS1_30default_config_static_selectorELNS0_4arch9wavefront6targetE0EEEvT1_
		.amdhsa_group_segment_fixed_size 33804
		.amdhsa_private_segment_fixed_size 0
		.amdhsa_kernarg_size 120
		.amdhsa_user_sgpr_count 15
		.amdhsa_user_sgpr_dispatch_ptr 0
		.amdhsa_user_sgpr_queue_ptr 0
		.amdhsa_user_sgpr_kernarg_segment_ptr 1
		.amdhsa_user_sgpr_dispatch_id 0
		.amdhsa_user_sgpr_private_segment_size 0
		.amdhsa_wavefront_size32 1
		.amdhsa_uses_dynamic_stack 0
		.amdhsa_enable_private_segment 0
		.amdhsa_system_sgpr_workgroup_id_x 1
		.amdhsa_system_sgpr_workgroup_id_y 0
		.amdhsa_system_sgpr_workgroup_id_z 0
		.amdhsa_system_sgpr_workgroup_info 0
		.amdhsa_system_vgpr_workitem_id 0
		.amdhsa_next_free_vgpr 52
		.amdhsa_next_free_sgpr 36
		.amdhsa_reserve_vcc 1
		.amdhsa_float_round_mode_32 0
		.amdhsa_float_round_mode_16_64 0
		.amdhsa_float_denorm_mode_32 3
		.amdhsa_float_denorm_mode_16_64 3
		.amdhsa_dx10_clamp 1
		.amdhsa_ieee_mode 1
		.amdhsa_fp16_overflow 0
		.amdhsa_workgroup_processor_mode 1
		.amdhsa_memory_ordered 1
		.amdhsa_forward_progress 0
		.amdhsa_shared_vgpr_count 0
		.amdhsa_exception_fp_ieee_invalid_op 0
		.amdhsa_exception_fp_denorm_src 0
		.amdhsa_exception_fp_ieee_div_zero 0
		.amdhsa_exception_fp_ieee_overflow 0
		.amdhsa_exception_fp_ieee_underflow 0
		.amdhsa_exception_fp_ieee_inexact 0
		.amdhsa_exception_int_div_zero 0
	.end_amdhsa_kernel
	.section	.text._ZN7rocprim17ROCPRIM_400000_NS6detail17trampoline_kernelINS0_14default_configENS1_25partition_config_selectorILNS1_17partition_subalgoE8ElNS0_10empty_typeEbEEZZNS1_14partition_implILS5_8ELb0ES3_jPlPS6_PKS6_NS0_5tupleIJS9_S6_EEENSD_IJSA_SA_EEENS0_18inequality_wrapperIZN2at6native12_GLOBAL__N_124unique_dim_cuda_templateIiEESt5tupleIJNSH_6TensorESM_SM_EERKSM_lbbbEUlllE0_EEPmJS6_EEE10hipError_tPvRmT3_T4_T5_T6_T7_T9_mT8_P12ihipStream_tbDpT10_ENKUlT_T0_E_clISt17integral_constantIbLb1EES1B_IbLb0EEEEDaS17_S18_EUlS17_E_NS1_11comp_targetILNS1_3genE9ELNS1_11target_archE1100ELNS1_3gpuE3ELNS1_3repE0EEENS1_30default_config_static_selectorELNS0_4arch9wavefront6targetE0EEEvT1_,"axG",@progbits,_ZN7rocprim17ROCPRIM_400000_NS6detail17trampoline_kernelINS0_14default_configENS1_25partition_config_selectorILNS1_17partition_subalgoE8ElNS0_10empty_typeEbEEZZNS1_14partition_implILS5_8ELb0ES3_jPlPS6_PKS6_NS0_5tupleIJS9_S6_EEENSD_IJSA_SA_EEENS0_18inequality_wrapperIZN2at6native12_GLOBAL__N_124unique_dim_cuda_templateIiEESt5tupleIJNSH_6TensorESM_SM_EERKSM_lbbbEUlllE0_EEPmJS6_EEE10hipError_tPvRmT3_T4_T5_T6_T7_T9_mT8_P12ihipStream_tbDpT10_ENKUlT_T0_E_clISt17integral_constantIbLb1EES1B_IbLb0EEEEDaS17_S18_EUlS17_E_NS1_11comp_targetILNS1_3genE9ELNS1_11target_archE1100ELNS1_3gpuE3ELNS1_3repE0EEENS1_30default_config_static_selectorELNS0_4arch9wavefront6targetE0EEEvT1_,comdat
.Lfunc_end463:
	.size	_ZN7rocprim17ROCPRIM_400000_NS6detail17trampoline_kernelINS0_14default_configENS1_25partition_config_selectorILNS1_17partition_subalgoE8ElNS0_10empty_typeEbEEZZNS1_14partition_implILS5_8ELb0ES3_jPlPS6_PKS6_NS0_5tupleIJS9_S6_EEENSD_IJSA_SA_EEENS0_18inequality_wrapperIZN2at6native12_GLOBAL__N_124unique_dim_cuda_templateIiEESt5tupleIJNSH_6TensorESM_SM_EERKSM_lbbbEUlllE0_EEPmJS6_EEE10hipError_tPvRmT3_T4_T5_T6_T7_T9_mT8_P12ihipStream_tbDpT10_ENKUlT_T0_E_clISt17integral_constantIbLb1EES1B_IbLb0EEEEDaS17_S18_EUlS17_E_NS1_11comp_targetILNS1_3genE9ELNS1_11target_archE1100ELNS1_3gpuE3ELNS1_3repE0EEENS1_30default_config_static_selectorELNS0_4arch9wavefront6targetE0EEEvT1_, .Lfunc_end463-_ZN7rocprim17ROCPRIM_400000_NS6detail17trampoline_kernelINS0_14default_configENS1_25partition_config_selectorILNS1_17partition_subalgoE8ElNS0_10empty_typeEbEEZZNS1_14partition_implILS5_8ELb0ES3_jPlPS6_PKS6_NS0_5tupleIJS9_S6_EEENSD_IJSA_SA_EEENS0_18inequality_wrapperIZN2at6native12_GLOBAL__N_124unique_dim_cuda_templateIiEESt5tupleIJNSH_6TensorESM_SM_EERKSM_lbbbEUlllE0_EEPmJS6_EEE10hipError_tPvRmT3_T4_T5_T6_T7_T9_mT8_P12ihipStream_tbDpT10_ENKUlT_T0_E_clISt17integral_constantIbLb1EES1B_IbLb0EEEEDaS17_S18_EUlS17_E_NS1_11comp_targetILNS1_3genE9ELNS1_11target_archE1100ELNS1_3gpuE3ELNS1_3repE0EEENS1_30default_config_static_selectorELNS0_4arch9wavefront6targetE0EEEvT1_
                                        ; -- End function
	.section	.AMDGPU.csdata,"",@progbits
; Kernel info:
; codeLenInByte = 18332
; NumSgprs: 38
; NumVgprs: 52
; ScratchSize: 0
; MemoryBound: 0
; FloatMode: 240
; IeeeMode: 1
; LDSByteSize: 33804 bytes/workgroup (compile time only)
; SGPRBlocks: 4
; VGPRBlocks: 6
; NumSGPRsForWavesPerEU: 38
; NumVGPRsForWavesPerEU: 52
; Occupancy: 12
; WaveLimiterHint : 1
; COMPUTE_PGM_RSRC2:SCRATCH_EN: 0
; COMPUTE_PGM_RSRC2:USER_SGPR: 15
; COMPUTE_PGM_RSRC2:TRAP_HANDLER: 0
; COMPUTE_PGM_RSRC2:TGID_X_EN: 1
; COMPUTE_PGM_RSRC2:TGID_Y_EN: 0
; COMPUTE_PGM_RSRC2:TGID_Z_EN: 0
; COMPUTE_PGM_RSRC2:TIDIG_COMP_CNT: 0
	.section	.text._ZN7rocprim17ROCPRIM_400000_NS6detail17trampoline_kernelINS0_14default_configENS1_25partition_config_selectorILNS1_17partition_subalgoE8ElNS0_10empty_typeEbEEZZNS1_14partition_implILS5_8ELb0ES3_jPlPS6_PKS6_NS0_5tupleIJS9_S6_EEENSD_IJSA_SA_EEENS0_18inequality_wrapperIZN2at6native12_GLOBAL__N_124unique_dim_cuda_templateIiEESt5tupleIJNSH_6TensorESM_SM_EERKSM_lbbbEUlllE0_EEPmJS6_EEE10hipError_tPvRmT3_T4_T5_T6_T7_T9_mT8_P12ihipStream_tbDpT10_ENKUlT_T0_E_clISt17integral_constantIbLb1EES1B_IbLb0EEEEDaS17_S18_EUlS17_E_NS1_11comp_targetILNS1_3genE8ELNS1_11target_archE1030ELNS1_3gpuE2ELNS1_3repE0EEENS1_30default_config_static_selectorELNS0_4arch9wavefront6targetE0EEEvT1_,"axG",@progbits,_ZN7rocprim17ROCPRIM_400000_NS6detail17trampoline_kernelINS0_14default_configENS1_25partition_config_selectorILNS1_17partition_subalgoE8ElNS0_10empty_typeEbEEZZNS1_14partition_implILS5_8ELb0ES3_jPlPS6_PKS6_NS0_5tupleIJS9_S6_EEENSD_IJSA_SA_EEENS0_18inequality_wrapperIZN2at6native12_GLOBAL__N_124unique_dim_cuda_templateIiEESt5tupleIJNSH_6TensorESM_SM_EERKSM_lbbbEUlllE0_EEPmJS6_EEE10hipError_tPvRmT3_T4_T5_T6_T7_T9_mT8_P12ihipStream_tbDpT10_ENKUlT_T0_E_clISt17integral_constantIbLb1EES1B_IbLb0EEEEDaS17_S18_EUlS17_E_NS1_11comp_targetILNS1_3genE8ELNS1_11target_archE1030ELNS1_3gpuE2ELNS1_3repE0EEENS1_30default_config_static_selectorELNS0_4arch9wavefront6targetE0EEEvT1_,comdat
	.globl	_ZN7rocprim17ROCPRIM_400000_NS6detail17trampoline_kernelINS0_14default_configENS1_25partition_config_selectorILNS1_17partition_subalgoE8ElNS0_10empty_typeEbEEZZNS1_14partition_implILS5_8ELb0ES3_jPlPS6_PKS6_NS0_5tupleIJS9_S6_EEENSD_IJSA_SA_EEENS0_18inequality_wrapperIZN2at6native12_GLOBAL__N_124unique_dim_cuda_templateIiEESt5tupleIJNSH_6TensorESM_SM_EERKSM_lbbbEUlllE0_EEPmJS6_EEE10hipError_tPvRmT3_T4_T5_T6_T7_T9_mT8_P12ihipStream_tbDpT10_ENKUlT_T0_E_clISt17integral_constantIbLb1EES1B_IbLb0EEEEDaS17_S18_EUlS17_E_NS1_11comp_targetILNS1_3genE8ELNS1_11target_archE1030ELNS1_3gpuE2ELNS1_3repE0EEENS1_30default_config_static_selectorELNS0_4arch9wavefront6targetE0EEEvT1_ ; -- Begin function _ZN7rocprim17ROCPRIM_400000_NS6detail17trampoline_kernelINS0_14default_configENS1_25partition_config_selectorILNS1_17partition_subalgoE8ElNS0_10empty_typeEbEEZZNS1_14partition_implILS5_8ELb0ES3_jPlPS6_PKS6_NS0_5tupleIJS9_S6_EEENSD_IJSA_SA_EEENS0_18inequality_wrapperIZN2at6native12_GLOBAL__N_124unique_dim_cuda_templateIiEESt5tupleIJNSH_6TensorESM_SM_EERKSM_lbbbEUlllE0_EEPmJS6_EEE10hipError_tPvRmT3_T4_T5_T6_T7_T9_mT8_P12ihipStream_tbDpT10_ENKUlT_T0_E_clISt17integral_constantIbLb1EES1B_IbLb0EEEEDaS17_S18_EUlS17_E_NS1_11comp_targetILNS1_3genE8ELNS1_11target_archE1030ELNS1_3gpuE2ELNS1_3repE0EEENS1_30default_config_static_selectorELNS0_4arch9wavefront6targetE0EEEvT1_
	.p2align	8
	.type	_ZN7rocprim17ROCPRIM_400000_NS6detail17trampoline_kernelINS0_14default_configENS1_25partition_config_selectorILNS1_17partition_subalgoE8ElNS0_10empty_typeEbEEZZNS1_14partition_implILS5_8ELb0ES3_jPlPS6_PKS6_NS0_5tupleIJS9_S6_EEENSD_IJSA_SA_EEENS0_18inequality_wrapperIZN2at6native12_GLOBAL__N_124unique_dim_cuda_templateIiEESt5tupleIJNSH_6TensorESM_SM_EERKSM_lbbbEUlllE0_EEPmJS6_EEE10hipError_tPvRmT3_T4_T5_T6_T7_T9_mT8_P12ihipStream_tbDpT10_ENKUlT_T0_E_clISt17integral_constantIbLb1EES1B_IbLb0EEEEDaS17_S18_EUlS17_E_NS1_11comp_targetILNS1_3genE8ELNS1_11target_archE1030ELNS1_3gpuE2ELNS1_3repE0EEENS1_30default_config_static_selectorELNS0_4arch9wavefront6targetE0EEEvT1_,@function
_ZN7rocprim17ROCPRIM_400000_NS6detail17trampoline_kernelINS0_14default_configENS1_25partition_config_selectorILNS1_17partition_subalgoE8ElNS0_10empty_typeEbEEZZNS1_14partition_implILS5_8ELb0ES3_jPlPS6_PKS6_NS0_5tupleIJS9_S6_EEENSD_IJSA_SA_EEENS0_18inequality_wrapperIZN2at6native12_GLOBAL__N_124unique_dim_cuda_templateIiEESt5tupleIJNSH_6TensorESM_SM_EERKSM_lbbbEUlllE0_EEPmJS6_EEE10hipError_tPvRmT3_T4_T5_T6_T7_T9_mT8_P12ihipStream_tbDpT10_ENKUlT_T0_E_clISt17integral_constantIbLb1EES1B_IbLb0EEEEDaS17_S18_EUlS17_E_NS1_11comp_targetILNS1_3genE8ELNS1_11target_archE1030ELNS1_3gpuE2ELNS1_3repE0EEENS1_30default_config_static_selectorELNS0_4arch9wavefront6targetE0EEEvT1_: ; @_ZN7rocprim17ROCPRIM_400000_NS6detail17trampoline_kernelINS0_14default_configENS1_25partition_config_selectorILNS1_17partition_subalgoE8ElNS0_10empty_typeEbEEZZNS1_14partition_implILS5_8ELb0ES3_jPlPS6_PKS6_NS0_5tupleIJS9_S6_EEENSD_IJSA_SA_EEENS0_18inequality_wrapperIZN2at6native12_GLOBAL__N_124unique_dim_cuda_templateIiEESt5tupleIJNSH_6TensorESM_SM_EERKSM_lbbbEUlllE0_EEPmJS6_EEE10hipError_tPvRmT3_T4_T5_T6_T7_T9_mT8_P12ihipStream_tbDpT10_ENKUlT_T0_E_clISt17integral_constantIbLb1EES1B_IbLb0EEEEDaS17_S18_EUlS17_E_NS1_11comp_targetILNS1_3genE8ELNS1_11target_archE1030ELNS1_3gpuE2ELNS1_3repE0EEENS1_30default_config_static_selectorELNS0_4arch9wavefront6targetE0EEEvT1_
; %bb.0:
	.section	.rodata,"a",@progbits
	.p2align	6, 0x0
	.amdhsa_kernel _ZN7rocprim17ROCPRIM_400000_NS6detail17trampoline_kernelINS0_14default_configENS1_25partition_config_selectorILNS1_17partition_subalgoE8ElNS0_10empty_typeEbEEZZNS1_14partition_implILS5_8ELb0ES3_jPlPS6_PKS6_NS0_5tupleIJS9_S6_EEENSD_IJSA_SA_EEENS0_18inequality_wrapperIZN2at6native12_GLOBAL__N_124unique_dim_cuda_templateIiEESt5tupleIJNSH_6TensorESM_SM_EERKSM_lbbbEUlllE0_EEPmJS6_EEE10hipError_tPvRmT3_T4_T5_T6_T7_T9_mT8_P12ihipStream_tbDpT10_ENKUlT_T0_E_clISt17integral_constantIbLb1EES1B_IbLb0EEEEDaS17_S18_EUlS17_E_NS1_11comp_targetILNS1_3genE8ELNS1_11target_archE1030ELNS1_3gpuE2ELNS1_3repE0EEENS1_30default_config_static_selectorELNS0_4arch9wavefront6targetE0EEEvT1_
		.amdhsa_group_segment_fixed_size 0
		.amdhsa_private_segment_fixed_size 0
		.amdhsa_kernarg_size 120
		.amdhsa_user_sgpr_count 15
		.amdhsa_user_sgpr_dispatch_ptr 0
		.amdhsa_user_sgpr_queue_ptr 0
		.amdhsa_user_sgpr_kernarg_segment_ptr 1
		.amdhsa_user_sgpr_dispatch_id 0
		.amdhsa_user_sgpr_private_segment_size 0
		.amdhsa_wavefront_size32 1
		.amdhsa_uses_dynamic_stack 0
		.amdhsa_enable_private_segment 0
		.amdhsa_system_sgpr_workgroup_id_x 1
		.amdhsa_system_sgpr_workgroup_id_y 0
		.amdhsa_system_sgpr_workgroup_id_z 0
		.amdhsa_system_sgpr_workgroup_info 0
		.amdhsa_system_vgpr_workitem_id 0
		.amdhsa_next_free_vgpr 1
		.amdhsa_next_free_sgpr 1
		.amdhsa_reserve_vcc 0
		.amdhsa_float_round_mode_32 0
		.amdhsa_float_round_mode_16_64 0
		.amdhsa_float_denorm_mode_32 3
		.amdhsa_float_denorm_mode_16_64 3
		.amdhsa_dx10_clamp 1
		.amdhsa_ieee_mode 1
		.amdhsa_fp16_overflow 0
		.amdhsa_workgroup_processor_mode 1
		.amdhsa_memory_ordered 1
		.amdhsa_forward_progress 0
		.amdhsa_shared_vgpr_count 0
		.amdhsa_exception_fp_ieee_invalid_op 0
		.amdhsa_exception_fp_denorm_src 0
		.amdhsa_exception_fp_ieee_div_zero 0
		.amdhsa_exception_fp_ieee_overflow 0
		.amdhsa_exception_fp_ieee_underflow 0
		.amdhsa_exception_fp_ieee_inexact 0
		.amdhsa_exception_int_div_zero 0
	.end_amdhsa_kernel
	.section	.text._ZN7rocprim17ROCPRIM_400000_NS6detail17trampoline_kernelINS0_14default_configENS1_25partition_config_selectorILNS1_17partition_subalgoE8ElNS0_10empty_typeEbEEZZNS1_14partition_implILS5_8ELb0ES3_jPlPS6_PKS6_NS0_5tupleIJS9_S6_EEENSD_IJSA_SA_EEENS0_18inequality_wrapperIZN2at6native12_GLOBAL__N_124unique_dim_cuda_templateIiEESt5tupleIJNSH_6TensorESM_SM_EERKSM_lbbbEUlllE0_EEPmJS6_EEE10hipError_tPvRmT3_T4_T5_T6_T7_T9_mT8_P12ihipStream_tbDpT10_ENKUlT_T0_E_clISt17integral_constantIbLb1EES1B_IbLb0EEEEDaS17_S18_EUlS17_E_NS1_11comp_targetILNS1_3genE8ELNS1_11target_archE1030ELNS1_3gpuE2ELNS1_3repE0EEENS1_30default_config_static_selectorELNS0_4arch9wavefront6targetE0EEEvT1_,"axG",@progbits,_ZN7rocprim17ROCPRIM_400000_NS6detail17trampoline_kernelINS0_14default_configENS1_25partition_config_selectorILNS1_17partition_subalgoE8ElNS0_10empty_typeEbEEZZNS1_14partition_implILS5_8ELb0ES3_jPlPS6_PKS6_NS0_5tupleIJS9_S6_EEENSD_IJSA_SA_EEENS0_18inequality_wrapperIZN2at6native12_GLOBAL__N_124unique_dim_cuda_templateIiEESt5tupleIJNSH_6TensorESM_SM_EERKSM_lbbbEUlllE0_EEPmJS6_EEE10hipError_tPvRmT3_T4_T5_T6_T7_T9_mT8_P12ihipStream_tbDpT10_ENKUlT_T0_E_clISt17integral_constantIbLb1EES1B_IbLb0EEEEDaS17_S18_EUlS17_E_NS1_11comp_targetILNS1_3genE8ELNS1_11target_archE1030ELNS1_3gpuE2ELNS1_3repE0EEENS1_30default_config_static_selectorELNS0_4arch9wavefront6targetE0EEEvT1_,comdat
.Lfunc_end464:
	.size	_ZN7rocprim17ROCPRIM_400000_NS6detail17trampoline_kernelINS0_14default_configENS1_25partition_config_selectorILNS1_17partition_subalgoE8ElNS0_10empty_typeEbEEZZNS1_14partition_implILS5_8ELb0ES3_jPlPS6_PKS6_NS0_5tupleIJS9_S6_EEENSD_IJSA_SA_EEENS0_18inequality_wrapperIZN2at6native12_GLOBAL__N_124unique_dim_cuda_templateIiEESt5tupleIJNSH_6TensorESM_SM_EERKSM_lbbbEUlllE0_EEPmJS6_EEE10hipError_tPvRmT3_T4_T5_T6_T7_T9_mT8_P12ihipStream_tbDpT10_ENKUlT_T0_E_clISt17integral_constantIbLb1EES1B_IbLb0EEEEDaS17_S18_EUlS17_E_NS1_11comp_targetILNS1_3genE8ELNS1_11target_archE1030ELNS1_3gpuE2ELNS1_3repE0EEENS1_30default_config_static_selectorELNS0_4arch9wavefront6targetE0EEEvT1_, .Lfunc_end464-_ZN7rocprim17ROCPRIM_400000_NS6detail17trampoline_kernelINS0_14default_configENS1_25partition_config_selectorILNS1_17partition_subalgoE8ElNS0_10empty_typeEbEEZZNS1_14partition_implILS5_8ELb0ES3_jPlPS6_PKS6_NS0_5tupleIJS9_S6_EEENSD_IJSA_SA_EEENS0_18inequality_wrapperIZN2at6native12_GLOBAL__N_124unique_dim_cuda_templateIiEESt5tupleIJNSH_6TensorESM_SM_EERKSM_lbbbEUlllE0_EEPmJS6_EEE10hipError_tPvRmT3_T4_T5_T6_T7_T9_mT8_P12ihipStream_tbDpT10_ENKUlT_T0_E_clISt17integral_constantIbLb1EES1B_IbLb0EEEEDaS17_S18_EUlS17_E_NS1_11comp_targetILNS1_3genE8ELNS1_11target_archE1030ELNS1_3gpuE2ELNS1_3repE0EEENS1_30default_config_static_selectorELNS0_4arch9wavefront6targetE0EEEvT1_
                                        ; -- End function
	.section	.AMDGPU.csdata,"",@progbits
; Kernel info:
; codeLenInByte = 0
; NumSgprs: 0
; NumVgprs: 0
; ScratchSize: 0
; MemoryBound: 0
; FloatMode: 240
; IeeeMode: 1
; LDSByteSize: 0 bytes/workgroup (compile time only)
; SGPRBlocks: 0
; VGPRBlocks: 0
; NumSGPRsForWavesPerEU: 1
; NumVGPRsForWavesPerEU: 1
; Occupancy: 16
; WaveLimiterHint : 0
; COMPUTE_PGM_RSRC2:SCRATCH_EN: 0
; COMPUTE_PGM_RSRC2:USER_SGPR: 15
; COMPUTE_PGM_RSRC2:TRAP_HANDLER: 0
; COMPUTE_PGM_RSRC2:TGID_X_EN: 1
; COMPUTE_PGM_RSRC2:TGID_Y_EN: 0
; COMPUTE_PGM_RSRC2:TGID_Z_EN: 0
; COMPUTE_PGM_RSRC2:TIDIG_COMP_CNT: 0
	.section	.text._ZN7rocprim17ROCPRIM_400000_NS6detail17trampoline_kernelINS0_14default_configENS1_25partition_config_selectorILNS1_17partition_subalgoE8ElNS0_10empty_typeEbEEZZNS1_14partition_implILS5_8ELb0ES3_jPlPS6_PKS6_NS0_5tupleIJS9_S6_EEENSD_IJSA_SA_EEENS0_18inequality_wrapperIZN2at6native12_GLOBAL__N_124unique_dim_cuda_templateIiEESt5tupleIJNSH_6TensorESM_SM_EERKSM_lbbbEUlllE0_EEPmJS6_EEE10hipError_tPvRmT3_T4_T5_T6_T7_T9_mT8_P12ihipStream_tbDpT10_ENKUlT_T0_E_clISt17integral_constantIbLb0EES1B_IbLb1EEEEDaS17_S18_EUlS17_E_NS1_11comp_targetILNS1_3genE0ELNS1_11target_archE4294967295ELNS1_3gpuE0ELNS1_3repE0EEENS1_30default_config_static_selectorELNS0_4arch9wavefront6targetE0EEEvT1_,"axG",@progbits,_ZN7rocprim17ROCPRIM_400000_NS6detail17trampoline_kernelINS0_14default_configENS1_25partition_config_selectorILNS1_17partition_subalgoE8ElNS0_10empty_typeEbEEZZNS1_14partition_implILS5_8ELb0ES3_jPlPS6_PKS6_NS0_5tupleIJS9_S6_EEENSD_IJSA_SA_EEENS0_18inequality_wrapperIZN2at6native12_GLOBAL__N_124unique_dim_cuda_templateIiEESt5tupleIJNSH_6TensorESM_SM_EERKSM_lbbbEUlllE0_EEPmJS6_EEE10hipError_tPvRmT3_T4_T5_T6_T7_T9_mT8_P12ihipStream_tbDpT10_ENKUlT_T0_E_clISt17integral_constantIbLb0EES1B_IbLb1EEEEDaS17_S18_EUlS17_E_NS1_11comp_targetILNS1_3genE0ELNS1_11target_archE4294967295ELNS1_3gpuE0ELNS1_3repE0EEENS1_30default_config_static_selectorELNS0_4arch9wavefront6targetE0EEEvT1_,comdat
	.globl	_ZN7rocprim17ROCPRIM_400000_NS6detail17trampoline_kernelINS0_14default_configENS1_25partition_config_selectorILNS1_17partition_subalgoE8ElNS0_10empty_typeEbEEZZNS1_14partition_implILS5_8ELb0ES3_jPlPS6_PKS6_NS0_5tupleIJS9_S6_EEENSD_IJSA_SA_EEENS0_18inequality_wrapperIZN2at6native12_GLOBAL__N_124unique_dim_cuda_templateIiEESt5tupleIJNSH_6TensorESM_SM_EERKSM_lbbbEUlllE0_EEPmJS6_EEE10hipError_tPvRmT3_T4_T5_T6_T7_T9_mT8_P12ihipStream_tbDpT10_ENKUlT_T0_E_clISt17integral_constantIbLb0EES1B_IbLb1EEEEDaS17_S18_EUlS17_E_NS1_11comp_targetILNS1_3genE0ELNS1_11target_archE4294967295ELNS1_3gpuE0ELNS1_3repE0EEENS1_30default_config_static_selectorELNS0_4arch9wavefront6targetE0EEEvT1_ ; -- Begin function _ZN7rocprim17ROCPRIM_400000_NS6detail17trampoline_kernelINS0_14default_configENS1_25partition_config_selectorILNS1_17partition_subalgoE8ElNS0_10empty_typeEbEEZZNS1_14partition_implILS5_8ELb0ES3_jPlPS6_PKS6_NS0_5tupleIJS9_S6_EEENSD_IJSA_SA_EEENS0_18inequality_wrapperIZN2at6native12_GLOBAL__N_124unique_dim_cuda_templateIiEESt5tupleIJNSH_6TensorESM_SM_EERKSM_lbbbEUlllE0_EEPmJS6_EEE10hipError_tPvRmT3_T4_T5_T6_T7_T9_mT8_P12ihipStream_tbDpT10_ENKUlT_T0_E_clISt17integral_constantIbLb0EES1B_IbLb1EEEEDaS17_S18_EUlS17_E_NS1_11comp_targetILNS1_3genE0ELNS1_11target_archE4294967295ELNS1_3gpuE0ELNS1_3repE0EEENS1_30default_config_static_selectorELNS0_4arch9wavefront6targetE0EEEvT1_
	.p2align	8
	.type	_ZN7rocprim17ROCPRIM_400000_NS6detail17trampoline_kernelINS0_14default_configENS1_25partition_config_selectorILNS1_17partition_subalgoE8ElNS0_10empty_typeEbEEZZNS1_14partition_implILS5_8ELb0ES3_jPlPS6_PKS6_NS0_5tupleIJS9_S6_EEENSD_IJSA_SA_EEENS0_18inequality_wrapperIZN2at6native12_GLOBAL__N_124unique_dim_cuda_templateIiEESt5tupleIJNSH_6TensorESM_SM_EERKSM_lbbbEUlllE0_EEPmJS6_EEE10hipError_tPvRmT3_T4_T5_T6_T7_T9_mT8_P12ihipStream_tbDpT10_ENKUlT_T0_E_clISt17integral_constantIbLb0EES1B_IbLb1EEEEDaS17_S18_EUlS17_E_NS1_11comp_targetILNS1_3genE0ELNS1_11target_archE4294967295ELNS1_3gpuE0ELNS1_3repE0EEENS1_30default_config_static_selectorELNS0_4arch9wavefront6targetE0EEEvT1_,@function
_ZN7rocprim17ROCPRIM_400000_NS6detail17trampoline_kernelINS0_14default_configENS1_25partition_config_selectorILNS1_17partition_subalgoE8ElNS0_10empty_typeEbEEZZNS1_14partition_implILS5_8ELb0ES3_jPlPS6_PKS6_NS0_5tupleIJS9_S6_EEENSD_IJSA_SA_EEENS0_18inequality_wrapperIZN2at6native12_GLOBAL__N_124unique_dim_cuda_templateIiEESt5tupleIJNSH_6TensorESM_SM_EERKSM_lbbbEUlllE0_EEPmJS6_EEE10hipError_tPvRmT3_T4_T5_T6_T7_T9_mT8_P12ihipStream_tbDpT10_ENKUlT_T0_E_clISt17integral_constantIbLb0EES1B_IbLb1EEEEDaS17_S18_EUlS17_E_NS1_11comp_targetILNS1_3genE0ELNS1_11target_archE4294967295ELNS1_3gpuE0ELNS1_3repE0EEENS1_30default_config_static_selectorELNS0_4arch9wavefront6targetE0EEEvT1_: ; @_ZN7rocprim17ROCPRIM_400000_NS6detail17trampoline_kernelINS0_14default_configENS1_25partition_config_selectorILNS1_17partition_subalgoE8ElNS0_10empty_typeEbEEZZNS1_14partition_implILS5_8ELb0ES3_jPlPS6_PKS6_NS0_5tupleIJS9_S6_EEENSD_IJSA_SA_EEENS0_18inequality_wrapperIZN2at6native12_GLOBAL__N_124unique_dim_cuda_templateIiEESt5tupleIJNSH_6TensorESM_SM_EERKSM_lbbbEUlllE0_EEPmJS6_EEE10hipError_tPvRmT3_T4_T5_T6_T7_T9_mT8_P12ihipStream_tbDpT10_ENKUlT_T0_E_clISt17integral_constantIbLb0EES1B_IbLb1EEEEDaS17_S18_EUlS17_E_NS1_11comp_targetILNS1_3genE0ELNS1_11target_archE4294967295ELNS1_3gpuE0ELNS1_3repE0EEENS1_30default_config_static_selectorELNS0_4arch9wavefront6targetE0EEEvT1_
; %bb.0:
	.section	.rodata,"a",@progbits
	.p2align	6, 0x0
	.amdhsa_kernel _ZN7rocprim17ROCPRIM_400000_NS6detail17trampoline_kernelINS0_14default_configENS1_25partition_config_selectorILNS1_17partition_subalgoE8ElNS0_10empty_typeEbEEZZNS1_14partition_implILS5_8ELb0ES3_jPlPS6_PKS6_NS0_5tupleIJS9_S6_EEENSD_IJSA_SA_EEENS0_18inequality_wrapperIZN2at6native12_GLOBAL__N_124unique_dim_cuda_templateIiEESt5tupleIJNSH_6TensorESM_SM_EERKSM_lbbbEUlllE0_EEPmJS6_EEE10hipError_tPvRmT3_T4_T5_T6_T7_T9_mT8_P12ihipStream_tbDpT10_ENKUlT_T0_E_clISt17integral_constantIbLb0EES1B_IbLb1EEEEDaS17_S18_EUlS17_E_NS1_11comp_targetILNS1_3genE0ELNS1_11target_archE4294967295ELNS1_3gpuE0ELNS1_3repE0EEENS1_30default_config_static_selectorELNS0_4arch9wavefront6targetE0EEEvT1_
		.amdhsa_group_segment_fixed_size 0
		.amdhsa_private_segment_fixed_size 0
		.amdhsa_kernarg_size 136
		.amdhsa_user_sgpr_count 15
		.amdhsa_user_sgpr_dispatch_ptr 0
		.amdhsa_user_sgpr_queue_ptr 0
		.amdhsa_user_sgpr_kernarg_segment_ptr 1
		.amdhsa_user_sgpr_dispatch_id 0
		.amdhsa_user_sgpr_private_segment_size 0
		.amdhsa_wavefront_size32 1
		.amdhsa_uses_dynamic_stack 0
		.amdhsa_enable_private_segment 0
		.amdhsa_system_sgpr_workgroup_id_x 1
		.amdhsa_system_sgpr_workgroup_id_y 0
		.amdhsa_system_sgpr_workgroup_id_z 0
		.amdhsa_system_sgpr_workgroup_info 0
		.amdhsa_system_vgpr_workitem_id 0
		.amdhsa_next_free_vgpr 1
		.amdhsa_next_free_sgpr 1
		.amdhsa_reserve_vcc 0
		.amdhsa_float_round_mode_32 0
		.amdhsa_float_round_mode_16_64 0
		.amdhsa_float_denorm_mode_32 3
		.amdhsa_float_denorm_mode_16_64 3
		.amdhsa_dx10_clamp 1
		.amdhsa_ieee_mode 1
		.amdhsa_fp16_overflow 0
		.amdhsa_workgroup_processor_mode 1
		.amdhsa_memory_ordered 1
		.amdhsa_forward_progress 0
		.amdhsa_shared_vgpr_count 0
		.amdhsa_exception_fp_ieee_invalid_op 0
		.amdhsa_exception_fp_denorm_src 0
		.amdhsa_exception_fp_ieee_div_zero 0
		.amdhsa_exception_fp_ieee_overflow 0
		.amdhsa_exception_fp_ieee_underflow 0
		.amdhsa_exception_fp_ieee_inexact 0
		.amdhsa_exception_int_div_zero 0
	.end_amdhsa_kernel
	.section	.text._ZN7rocprim17ROCPRIM_400000_NS6detail17trampoline_kernelINS0_14default_configENS1_25partition_config_selectorILNS1_17partition_subalgoE8ElNS0_10empty_typeEbEEZZNS1_14partition_implILS5_8ELb0ES3_jPlPS6_PKS6_NS0_5tupleIJS9_S6_EEENSD_IJSA_SA_EEENS0_18inequality_wrapperIZN2at6native12_GLOBAL__N_124unique_dim_cuda_templateIiEESt5tupleIJNSH_6TensorESM_SM_EERKSM_lbbbEUlllE0_EEPmJS6_EEE10hipError_tPvRmT3_T4_T5_T6_T7_T9_mT8_P12ihipStream_tbDpT10_ENKUlT_T0_E_clISt17integral_constantIbLb0EES1B_IbLb1EEEEDaS17_S18_EUlS17_E_NS1_11comp_targetILNS1_3genE0ELNS1_11target_archE4294967295ELNS1_3gpuE0ELNS1_3repE0EEENS1_30default_config_static_selectorELNS0_4arch9wavefront6targetE0EEEvT1_,"axG",@progbits,_ZN7rocprim17ROCPRIM_400000_NS6detail17trampoline_kernelINS0_14default_configENS1_25partition_config_selectorILNS1_17partition_subalgoE8ElNS0_10empty_typeEbEEZZNS1_14partition_implILS5_8ELb0ES3_jPlPS6_PKS6_NS0_5tupleIJS9_S6_EEENSD_IJSA_SA_EEENS0_18inequality_wrapperIZN2at6native12_GLOBAL__N_124unique_dim_cuda_templateIiEESt5tupleIJNSH_6TensorESM_SM_EERKSM_lbbbEUlllE0_EEPmJS6_EEE10hipError_tPvRmT3_T4_T5_T6_T7_T9_mT8_P12ihipStream_tbDpT10_ENKUlT_T0_E_clISt17integral_constantIbLb0EES1B_IbLb1EEEEDaS17_S18_EUlS17_E_NS1_11comp_targetILNS1_3genE0ELNS1_11target_archE4294967295ELNS1_3gpuE0ELNS1_3repE0EEENS1_30default_config_static_selectorELNS0_4arch9wavefront6targetE0EEEvT1_,comdat
.Lfunc_end465:
	.size	_ZN7rocprim17ROCPRIM_400000_NS6detail17trampoline_kernelINS0_14default_configENS1_25partition_config_selectorILNS1_17partition_subalgoE8ElNS0_10empty_typeEbEEZZNS1_14partition_implILS5_8ELb0ES3_jPlPS6_PKS6_NS0_5tupleIJS9_S6_EEENSD_IJSA_SA_EEENS0_18inequality_wrapperIZN2at6native12_GLOBAL__N_124unique_dim_cuda_templateIiEESt5tupleIJNSH_6TensorESM_SM_EERKSM_lbbbEUlllE0_EEPmJS6_EEE10hipError_tPvRmT3_T4_T5_T6_T7_T9_mT8_P12ihipStream_tbDpT10_ENKUlT_T0_E_clISt17integral_constantIbLb0EES1B_IbLb1EEEEDaS17_S18_EUlS17_E_NS1_11comp_targetILNS1_3genE0ELNS1_11target_archE4294967295ELNS1_3gpuE0ELNS1_3repE0EEENS1_30default_config_static_selectorELNS0_4arch9wavefront6targetE0EEEvT1_, .Lfunc_end465-_ZN7rocprim17ROCPRIM_400000_NS6detail17trampoline_kernelINS0_14default_configENS1_25partition_config_selectorILNS1_17partition_subalgoE8ElNS0_10empty_typeEbEEZZNS1_14partition_implILS5_8ELb0ES3_jPlPS6_PKS6_NS0_5tupleIJS9_S6_EEENSD_IJSA_SA_EEENS0_18inequality_wrapperIZN2at6native12_GLOBAL__N_124unique_dim_cuda_templateIiEESt5tupleIJNSH_6TensorESM_SM_EERKSM_lbbbEUlllE0_EEPmJS6_EEE10hipError_tPvRmT3_T4_T5_T6_T7_T9_mT8_P12ihipStream_tbDpT10_ENKUlT_T0_E_clISt17integral_constantIbLb0EES1B_IbLb1EEEEDaS17_S18_EUlS17_E_NS1_11comp_targetILNS1_3genE0ELNS1_11target_archE4294967295ELNS1_3gpuE0ELNS1_3repE0EEENS1_30default_config_static_selectorELNS0_4arch9wavefront6targetE0EEEvT1_
                                        ; -- End function
	.section	.AMDGPU.csdata,"",@progbits
; Kernel info:
; codeLenInByte = 0
; NumSgprs: 0
; NumVgprs: 0
; ScratchSize: 0
; MemoryBound: 0
; FloatMode: 240
; IeeeMode: 1
; LDSByteSize: 0 bytes/workgroup (compile time only)
; SGPRBlocks: 0
; VGPRBlocks: 0
; NumSGPRsForWavesPerEU: 1
; NumVGPRsForWavesPerEU: 1
; Occupancy: 16
; WaveLimiterHint : 0
; COMPUTE_PGM_RSRC2:SCRATCH_EN: 0
; COMPUTE_PGM_RSRC2:USER_SGPR: 15
; COMPUTE_PGM_RSRC2:TRAP_HANDLER: 0
; COMPUTE_PGM_RSRC2:TGID_X_EN: 1
; COMPUTE_PGM_RSRC2:TGID_Y_EN: 0
; COMPUTE_PGM_RSRC2:TGID_Z_EN: 0
; COMPUTE_PGM_RSRC2:TIDIG_COMP_CNT: 0
	.section	.text._ZN7rocprim17ROCPRIM_400000_NS6detail17trampoline_kernelINS0_14default_configENS1_25partition_config_selectorILNS1_17partition_subalgoE8ElNS0_10empty_typeEbEEZZNS1_14partition_implILS5_8ELb0ES3_jPlPS6_PKS6_NS0_5tupleIJS9_S6_EEENSD_IJSA_SA_EEENS0_18inequality_wrapperIZN2at6native12_GLOBAL__N_124unique_dim_cuda_templateIiEESt5tupleIJNSH_6TensorESM_SM_EERKSM_lbbbEUlllE0_EEPmJS6_EEE10hipError_tPvRmT3_T4_T5_T6_T7_T9_mT8_P12ihipStream_tbDpT10_ENKUlT_T0_E_clISt17integral_constantIbLb0EES1B_IbLb1EEEEDaS17_S18_EUlS17_E_NS1_11comp_targetILNS1_3genE5ELNS1_11target_archE942ELNS1_3gpuE9ELNS1_3repE0EEENS1_30default_config_static_selectorELNS0_4arch9wavefront6targetE0EEEvT1_,"axG",@progbits,_ZN7rocprim17ROCPRIM_400000_NS6detail17trampoline_kernelINS0_14default_configENS1_25partition_config_selectorILNS1_17partition_subalgoE8ElNS0_10empty_typeEbEEZZNS1_14partition_implILS5_8ELb0ES3_jPlPS6_PKS6_NS0_5tupleIJS9_S6_EEENSD_IJSA_SA_EEENS0_18inequality_wrapperIZN2at6native12_GLOBAL__N_124unique_dim_cuda_templateIiEESt5tupleIJNSH_6TensorESM_SM_EERKSM_lbbbEUlllE0_EEPmJS6_EEE10hipError_tPvRmT3_T4_T5_T6_T7_T9_mT8_P12ihipStream_tbDpT10_ENKUlT_T0_E_clISt17integral_constantIbLb0EES1B_IbLb1EEEEDaS17_S18_EUlS17_E_NS1_11comp_targetILNS1_3genE5ELNS1_11target_archE942ELNS1_3gpuE9ELNS1_3repE0EEENS1_30default_config_static_selectorELNS0_4arch9wavefront6targetE0EEEvT1_,comdat
	.globl	_ZN7rocprim17ROCPRIM_400000_NS6detail17trampoline_kernelINS0_14default_configENS1_25partition_config_selectorILNS1_17partition_subalgoE8ElNS0_10empty_typeEbEEZZNS1_14partition_implILS5_8ELb0ES3_jPlPS6_PKS6_NS0_5tupleIJS9_S6_EEENSD_IJSA_SA_EEENS0_18inequality_wrapperIZN2at6native12_GLOBAL__N_124unique_dim_cuda_templateIiEESt5tupleIJNSH_6TensorESM_SM_EERKSM_lbbbEUlllE0_EEPmJS6_EEE10hipError_tPvRmT3_T4_T5_T6_T7_T9_mT8_P12ihipStream_tbDpT10_ENKUlT_T0_E_clISt17integral_constantIbLb0EES1B_IbLb1EEEEDaS17_S18_EUlS17_E_NS1_11comp_targetILNS1_3genE5ELNS1_11target_archE942ELNS1_3gpuE9ELNS1_3repE0EEENS1_30default_config_static_selectorELNS0_4arch9wavefront6targetE0EEEvT1_ ; -- Begin function _ZN7rocprim17ROCPRIM_400000_NS6detail17trampoline_kernelINS0_14default_configENS1_25partition_config_selectorILNS1_17partition_subalgoE8ElNS0_10empty_typeEbEEZZNS1_14partition_implILS5_8ELb0ES3_jPlPS6_PKS6_NS0_5tupleIJS9_S6_EEENSD_IJSA_SA_EEENS0_18inequality_wrapperIZN2at6native12_GLOBAL__N_124unique_dim_cuda_templateIiEESt5tupleIJNSH_6TensorESM_SM_EERKSM_lbbbEUlllE0_EEPmJS6_EEE10hipError_tPvRmT3_T4_T5_T6_T7_T9_mT8_P12ihipStream_tbDpT10_ENKUlT_T0_E_clISt17integral_constantIbLb0EES1B_IbLb1EEEEDaS17_S18_EUlS17_E_NS1_11comp_targetILNS1_3genE5ELNS1_11target_archE942ELNS1_3gpuE9ELNS1_3repE0EEENS1_30default_config_static_selectorELNS0_4arch9wavefront6targetE0EEEvT1_
	.p2align	8
	.type	_ZN7rocprim17ROCPRIM_400000_NS6detail17trampoline_kernelINS0_14default_configENS1_25partition_config_selectorILNS1_17partition_subalgoE8ElNS0_10empty_typeEbEEZZNS1_14partition_implILS5_8ELb0ES3_jPlPS6_PKS6_NS0_5tupleIJS9_S6_EEENSD_IJSA_SA_EEENS0_18inequality_wrapperIZN2at6native12_GLOBAL__N_124unique_dim_cuda_templateIiEESt5tupleIJNSH_6TensorESM_SM_EERKSM_lbbbEUlllE0_EEPmJS6_EEE10hipError_tPvRmT3_T4_T5_T6_T7_T9_mT8_P12ihipStream_tbDpT10_ENKUlT_T0_E_clISt17integral_constantIbLb0EES1B_IbLb1EEEEDaS17_S18_EUlS17_E_NS1_11comp_targetILNS1_3genE5ELNS1_11target_archE942ELNS1_3gpuE9ELNS1_3repE0EEENS1_30default_config_static_selectorELNS0_4arch9wavefront6targetE0EEEvT1_,@function
_ZN7rocprim17ROCPRIM_400000_NS6detail17trampoline_kernelINS0_14default_configENS1_25partition_config_selectorILNS1_17partition_subalgoE8ElNS0_10empty_typeEbEEZZNS1_14partition_implILS5_8ELb0ES3_jPlPS6_PKS6_NS0_5tupleIJS9_S6_EEENSD_IJSA_SA_EEENS0_18inequality_wrapperIZN2at6native12_GLOBAL__N_124unique_dim_cuda_templateIiEESt5tupleIJNSH_6TensorESM_SM_EERKSM_lbbbEUlllE0_EEPmJS6_EEE10hipError_tPvRmT3_T4_T5_T6_T7_T9_mT8_P12ihipStream_tbDpT10_ENKUlT_T0_E_clISt17integral_constantIbLb0EES1B_IbLb1EEEEDaS17_S18_EUlS17_E_NS1_11comp_targetILNS1_3genE5ELNS1_11target_archE942ELNS1_3gpuE9ELNS1_3repE0EEENS1_30default_config_static_selectorELNS0_4arch9wavefront6targetE0EEEvT1_: ; @_ZN7rocprim17ROCPRIM_400000_NS6detail17trampoline_kernelINS0_14default_configENS1_25partition_config_selectorILNS1_17partition_subalgoE8ElNS0_10empty_typeEbEEZZNS1_14partition_implILS5_8ELb0ES3_jPlPS6_PKS6_NS0_5tupleIJS9_S6_EEENSD_IJSA_SA_EEENS0_18inequality_wrapperIZN2at6native12_GLOBAL__N_124unique_dim_cuda_templateIiEESt5tupleIJNSH_6TensorESM_SM_EERKSM_lbbbEUlllE0_EEPmJS6_EEE10hipError_tPvRmT3_T4_T5_T6_T7_T9_mT8_P12ihipStream_tbDpT10_ENKUlT_T0_E_clISt17integral_constantIbLb0EES1B_IbLb1EEEEDaS17_S18_EUlS17_E_NS1_11comp_targetILNS1_3genE5ELNS1_11target_archE942ELNS1_3gpuE9ELNS1_3repE0EEENS1_30default_config_static_selectorELNS0_4arch9wavefront6targetE0EEEvT1_
; %bb.0:
	.section	.rodata,"a",@progbits
	.p2align	6, 0x0
	.amdhsa_kernel _ZN7rocprim17ROCPRIM_400000_NS6detail17trampoline_kernelINS0_14default_configENS1_25partition_config_selectorILNS1_17partition_subalgoE8ElNS0_10empty_typeEbEEZZNS1_14partition_implILS5_8ELb0ES3_jPlPS6_PKS6_NS0_5tupleIJS9_S6_EEENSD_IJSA_SA_EEENS0_18inequality_wrapperIZN2at6native12_GLOBAL__N_124unique_dim_cuda_templateIiEESt5tupleIJNSH_6TensorESM_SM_EERKSM_lbbbEUlllE0_EEPmJS6_EEE10hipError_tPvRmT3_T4_T5_T6_T7_T9_mT8_P12ihipStream_tbDpT10_ENKUlT_T0_E_clISt17integral_constantIbLb0EES1B_IbLb1EEEEDaS17_S18_EUlS17_E_NS1_11comp_targetILNS1_3genE5ELNS1_11target_archE942ELNS1_3gpuE9ELNS1_3repE0EEENS1_30default_config_static_selectorELNS0_4arch9wavefront6targetE0EEEvT1_
		.amdhsa_group_segment_fixed_size 0
		.amdhsa_private_segment_fixed_size 0
		.amdhsa_kernarg_size 136
		.amdhsa_user_sgpr_count 15
		.amdhsa_user_sgpr_dispatch_ptr 0
		.amdhsa_user_sgpr_queue_ptr 0
		.amdhsa_user_sgpr_kernarg_segment_ptr 1
		.amdhsa_user_sgpr_dispatch_id 0
		.amdhsa_user_sgpr_private_segment_size 0
		.amdhsa_wavefront_size32 1
		.amdhsa_uses_dynamic_stack 0
		.amdhsa_enable_private_segment 0
		.amdhsa_system_sgpr_workgroup_id_x 1
		.amdhsa_system_sgpr_workgroup_id_y 0
		.amdhsa_system_sgpr_workgroup_id_z 0
		.amdhsa_system_sgpr_workgroup_info 0
		.amdhsa_system_vgpr_workitem_id 0
		.amdhsa_next_free_vgpr 1
		.amdhsa_next_free_sgpr 1
		.amdhsa_reserve_vcc 0
		.amdhsa_float_round_mode_32 0
		.amdhsa_float_round_mode_16_64 0
		.amdhsa_float_denorm_mode_32 3
		.amdhsa_float_denorm_mode_16_64 3
		.amdhsa_dx10_clamp 1
		.amdhsa_ieee_mode 1
		.amdhsa_fp16_overflow 0
		.amdhsa_workgroup_processor_mode 1
		.amdhsa_memory_ordered 1
		.amdhsa_forward_progress 0
		.amdhsa_shared_vgpr_count 0
		.amdhsa_exception_fp_ieee_invalid_op 0
		.amdhsa_exception_fp_denorm_src 0
		.amdhsa_exception_fp_ieee_div_zero 0
		.amdhsa_exception_fp_ieee_overflow 0
		.amdhsa_exception_fp_ieee_underflow 0
		.amdhsa_exception_fp_ieee_inexact 0
		.amdhsa_exception_int_div_zero 0
	.end_amdhsa_kernel
	.section	.text._ZN7rocprim17ROCPRIM_400000_NS6detail17trampoline_kernelINS0_14default_configENS1_25partition_config_selectorILNS1_17partition_subalgoE8ElNS0_10empty_typeEbEEZZNS1_14partition_implILS5_8ELb0ES3_jPlPS6_PKS6_NS0_5tupleIJS9_S6_EEENSD_IJSA_SA_EEENS0_18inequality_wrapperIZN2at6native12_GLOBAL__N_124unique_dim_cuda_templateIiEESt5tupleIJNSH_6TensorESM_SM_EERKSM_lbbbEUlllE0_EEPmJS6_EEE10hipError_tPvRmT3_T4_T5_T6_T7_T9_mT8_P12ihipStream_tbDpT10_ENKUlT_T0_E_clISt17integral_constantIbLb0EES1B_IbLb1EEEEDaS17_S18_EUlS17_E_NS1_11comp_targetILNS1_3genE5ELNS1_11target_archE942ELNS1_3gpuE9ELNS1_3repE0EEENS1_30default_config_static_selectorELNS0_4arch9wavefront6targetE0EEEvT1_,"axG",@progbits,_ZN7rocprim17ROCPRIM_400000_NS6detail17trampoline_kernelINS0_14default_configENS1_25partition_config_selectorILNS1_17partition_subalgoE8ElNS0_10empty_typeEbEEZZNS1_14partition_implILS5_8ELb0ES3_jPlPS6_PKS6_NS0_5tupleIJS9_S6_EEENSD_IJSA_SA_EEENS0_18inequality_wrapperIZN2at6native12_GLOBAL__N_124unique_dim_cuda_templateIiEESt5tupleIJNSH_6TensorESM_SM_EERKSM_lbbbEUlllE0_EEPmJS6_EEE10hipError_tPvRmT3_T4_T5_T6_T7_T9_mT8_P12ihipStream_tbDpT10_ENKUlT_T0_E_clISt17integral_constantIbLb0EES1B_IbLb1EEEEDaS17_S18_EUlS17_E_NS1_11comp_targetILNS1_3genE5ELNS1_11target_archE942ELNS1_3gpuE9ELNS1_3repE0EEENS1_30default_config_static_selectorELNS0_4arch9wavefront6targetE0EEEvT1_,comdat
.Lfunc_end466:
	.size	_ZN7rocprim17ROCPRIM_400000_NS6detail17trampoline_kernelINS0_14default_configENS1_25partition_config_selectorILNS1_17partition_subalgoE8ElNS0_10empty_typeEbEEZZNS1_14partition_implILS5_8ELb0ES3_jPlPS6_PKS6_NS0_5tupleIJS9_S6_EEENSD_IJSA_SA_EEENS0_18inequality_wrapperIZN2at6native12_GLOBAL__N_124unique_dim_cuda_templateIiEESt5tupleIJNSH_6TensorESM_SM_EERKSM_lbbbEUlllE0_EEPmJS6_EEE10hipError_tPvRmT3_T4_T5_T6_T7_T9_mT8_P12ihipStream_tbDpT10_ENKUlT_T0_E_clISt17integral_constantIbLb0EES1B_IbLb1EEEEDaS17_S18_EUlS17_E_NS1_11comp_targetILNS1_3genE5ELNS1_11target_archE942ELNS1_3gpuE9ELNS1_3repE0EEENS1_30default_config_static_selectorELNS0_4arch9wavefront6targetE0EEEvT1_, .Lfunc_end466-_ZN7rocprim17ROCPRIM_400000_NS6detail17trampoline_kernelINS0_14default_configENS1_25partition_config_selectorILNS1_17partition_subalgoE8ElNS0_10empty_typeEbEEZZNS1_14partition_implILS5_8ELb0ES3_jPlPS6_PKS6_NS0_5tupleIJS9_S6_EEENSD_IJSA_SA_EEENS0_18inequality_wrapperIZN2at6native12_GLOBAL__N_124unique_dim_cuda_templateIiEESt5tupleIJNSH_6TensorESM_SM_EERKSM_lbbbEUlllE0_EEPmJS6_EEE10hipError_tPvRmT3_T4_T5_T6_T7_T9_mT8_P12ihipStream_tbDpT10_ENKUlT_T0_E_clISt17integral_constantIbLb0EES1B_IbLb1EEEEDaS17_S18_EUlS17_E_NS1_11comp_targetILNS1_3genE5ELNS1_11target_archE942ELNS1_3gpuE9ELNS1_3repE0EEENS1_30default_config_static_selectorELNS0_4arch9wavefront6targetE0EEEvT1_
                                        ; -- End function
	.section	.AMDGPU.csdata,"",@progbits
; Kernel info:
; codeLenInByte = 0
; NumSgprs: 0
; NumVgprs: 0
; ScratchSize: 0
; MemoryBound: 0
; FloatMode: 240
; IeeeMode: 1
; LDSByteSize: 0 bytes/workgroup (compile time only)
; SGPRBlocks: 0
; VGPRBlocks: 0
; NumSGPRsForWavesPerEU: 1
; NumVGPRsForWavesPerEU: 1
; Occupancy: 16
; WaveLimiterHint : 0
; COMPUTE_PGM_RSRC2:SCRATCH_EN: 0
; COMPUTE_PGM_RSRC2:USER_SGPR: 15
; COMPUTE_PGM_RSRC2:TRAP_HANDLER: 0
; COMPUTE_PGM_RSRC2:TGID_X_EN: 1
; COMPUTE_PGM_RSRC2:TGID_Y_EN: 0
; COMPUTE_PGM_RSRC2:TGID_Z_EN: 0
; COMPUTE_PGM_RSRC2:TIDIG_COMP_CNT: 0
	.section	.text._ZN7rocprim17ROCPRIM_400000_NS6detail17trampoline_kernelINS0_14default_configENS1_25partition_config_selectorILNS1_17partition_subalgoE8ElNS0_10empty_typeEbEEZZNS1_14partition_implILS5_8ELb0ES3_jPlPS6_PKS6_NS0_5tupleIJS9_S6_EEENSD_IJSA_SA_EEENS0_18inequality_wrapperIZN2at6native12_GLOBAL__N_124unique_dim_cuda_templateIiEESt5tupleIJNSH_6TensorESM_SM_EERKSM_lbbbEUlllE0_EEPmJS6_EEE10hipError_tPvRmT3_T4_T5_T6_T7_T9_mT8_P12ihipStream_tbDpT10_ENKUlT_T0_E_clISt17integral_constantIbLb0EES1B_IbLb1EEEEDaS17_S18_EUlS17_E_NS1_11comp_targetILNS1_3genE4ELNS1_11target_archE910ELNS1_3gpuE8ELNS1_3repE0EEENS1_30default_config_static_selectorELNS0_4arch9wavefront6targetE0EEEvT1_,"axG",@progbits,_ZN7rocprim17ROCPRIM_400000_NS6detail17trampoline_kernelINS0_14default_configENS1_25partition_config_selectorILNS1_17partition_subalgoE8ElNS0_10empty_typeEbEEZZNS1_14partition_implILS5_8ELb0ES3_jPlPS6_PKS6_NS0_5tupleIJS9_S6_EEENSD_IJSA_SA_EEENS0_18inequality_wrapperIZN2at6native12_GLOBAL__N_124unique_dim_cuda_templateIiEESt5tupleIJNSH_6TensorESM_SM_EERKSM_lbbbEUlllE0_EEPmJS6_EEE10hipError_tPvRmT3_T4_T5_T6_T7_T9_mT8_P12ihipStream_tbDpT10_ENKUlT_T0_E_clISt17integral_constantIbLb0EES1B_IbLb1EEEEDaS17_S18_EUlS17_E_NS1_11comp_targetILNS1_3genE4ELNS1_11target_archE910ELNS1_3gpuE8ELNS1_3repE0EEENS1_30default_config_static_selectorELNS0_4arch9wavefront6targetE0EEEvT1_,comdat
	.globl	_ZN7rocprim17ROCPRIM_400000_NS6detail17trampoline_kernelINS0_14default_configENS1_25partition_config_selectorILNS1_17partition_subalgoE8ElNS0_10empty_typeEbEEZZNS1_14partition_implILS5_8ELb0ES3_jPlPS6_PKS6_NS0_5tupleIJS9_S6_EEENSD_IJSA_SA_EEENS0_18inequality_wrapperIZN2at6native12_GLOBAL__N_124unique_dim_cuda_templateIiEESt5tupleIJNSH_6TensorESM_SM_EERKSM_lbbbEUlllE0_EEPmJS6_EEE10hipError_tPvRmT3_T4_T5_T6_T7_T9_mT8_P12ihipStream_tbDpT10_ENKUlT_T0_E_clISt17integral_constantIbLb0EES1B_IbLb1EEEEDaS17_S18_EUlS17_E_NS1_11comp_targetILNS1_3genE4ELNS1_11target_archE910ELNS1_3gpuE8ELNS1_3repE0EEENS1_30default_config_static_selectorELNS0_4arch9wavefront6targetE0EEEvT1_ ; -- Begin function _ZN7rocprim17ROCPRIM_400000_NS6detail17trampoline_kernelINS0_14default_configENS1_25partition_config_selectorILNS1_17partition_subalgoE8ElNS0_10empty_typeEbEEZZNS1_14partition_implILS5_8ELb0ES3_jPlPS6_PKS6_NS0_5tupleIJS9_S6_EEENSD_IJSA_SA_EEENS0_18inequality_wrapperIZN2at6native12_GLOBAL__N_124unique_dim_cuda_templateIiEESt5tupleIJNSH_6TensorESM_SM_EERKSM_lbbbEUlllE0_EEPmJS6_EEE10hipError_tPvRmT3_T4_T5_T6_T7_T9_mT8_P12ihipStream_tbDpT10_ENKUlT_T0_E_clISt17integral_constantIbLb0EES1B_IbLb1EEEEDaS17_S18_EUlS17_E_NS1_11comp_targetILNS1_3genE4ELNS1_11target_archE910ELNS1_3gpuE8ELNS1_3repE0EEENS1_30default_config_static_selectorELNS0_4arch9wavefront6targetE0EEEvT1_
	.p2align	8
	.type	_ZN7rocprim17ROCPRIM_400000_NS6detail17trampoline_kernelINS0_14default_configENS1_25partition_config_selectorILNS1_17partition_subalgoE8ElNS0_10empty_typeEbEEZZNS1_14partition_implILS5_8ELb0ES3_jPlPS6_PKS6_NS0_5tupleIJS9_S6_EEENSD_IJSA_SA_EEENS0_18inequality_wrapperIZN2at6native12_GLOBAL__N_124unique_dim_cuda_templateIiEESt5tupleIJNSH_6TensorESM_SM_EERKSM_lbbbEUlllE0_EEPmJS6_EEE10hipError_tPvRmT3_T4_T5_T6_T7_T9_mT8_P12ihipStream_tbDpT10_ENKUlT_T0_E_clISt17integral_constantIbLb0EES1B_IbLb1EEEEDaS17_S18_EUlS17_E_NS1_11comp_targetILNS1_3genE4ELNS1_11target_archE910ELNS1_3gpuE8ELNS1_3repE0EEENS1_30default_config_static_selectorELNS0_4arch9wavefront6targetE0EEEvT1_,@function
_ZN7rocprim17ROCPRIM_400000_NS6detail17trampoline_kernelINS0_14default_configENS1_25partition_config_selectorILNS1_17partition_subalgoE8ElNS0_10empty_typeEbEEZZNS1_14partition_implILS5_8ELb0ES3_jPlPS6_PKS6_NS0_5tupleIJS9_S6_EEENSD_IJSA_SA_EEENS0_18inequality_wrapperIZN2at6native12_GLOBAL__N_124unique_dim_cuda_templateIiEESt5tupleIJNSH_6TensorESM_SM_EERKSM_lbbbEUlllE0_EEPmJS6_EEE10hipError_tPvRmT3_T4_T5_T6_T7_T9_mT8_P12ihipStream_tbDpT10_ENKUlT_T0_E_clISt17integral_constantIbLb0EES1B_IbLb1EEEEDaS17_S18_EUlS17_E_NS1_11comp_targetILNS1_3genE4ELNS1_11target_archE910ELNS1_3gpuE8ELNS1_3repE0EEENS1_30default_config_static_selectorELNS0_4arch9wavefront6targetE0EEEvT1_: ; @_ZN7rocprim17ROCPRIM_400000_NS6detail17trampoline_kernelINS0_14default_configENS1_25partition_config_selectorILNS1_17partition_subalgoE8ElNS0_10empty_typeEbEEZZNS1_14partition_implILS5_8ELb0ES3_jPlPS6_PKS6_NS0_5tupleIJS9_S6_EEENSD_IJSA_SA_EEENS0_18inequality_wrapperIZN2at6native12_GLOBAL__N_124unique_dim_cuda_templateIiEESt5tupleIJNSH_6TensorESM_SM_EERKSM_lbbbEUlllE0_EEPmJS6_EEE10hipError_tPvRmT3_T4_T5_T6_T7_T9_mT8_P12ihipStream_tbDpT10_ENKUlT_T0_E_clISt17integral_constantIbLb0EES1B_IbLb1EEEEDaS17_S18_EUlS17_E_NS1_11comp_targetILNS1_3genE4ELNS1_11target_archE910ELNS1_3gpuE8ELNS1_3repE0EEENS1_30default_config_static_selectorELNS0_4arch9wavefront6targetE0EEEvT1_
; %bb.0:
	.section	.rodata,"a",@progbits
	.p2align	6, 0x0
	.amdhsa_kernel _ZN7rocprim17ROCPRIM_400000_NS6detail17trampoline_kernelINS0_14default_configENS1_25partition_config_selectorILNS1_17partition_subalgoE8ElNS0_10empty_typeEbEEZZNS1_14partition_implILS5_8ELb0ES3_jPlPS6_PKS6_NS0_5tupleIJS9_S6_EEENSD_IJSA_SA_EEENS0_18inequality_wrapperIZN2at6native12_GLOBAL__N_124unique_dim_cuda_templateIiEESt5tupleIJNSH_6TensorESM_SM_EERKSM_lbbbEUlllE0_EEPmJS6_EEE10hipError_tPvRmT3_T4_T5_T6_T7_T9_mT8_P12ihipStream_tbDpT10_ENKUlT_T0_E_clISt17integral_constantIbLb0EES1B_IbLb1EEEEDaS17_S18_EUlS17_E_NS1_11comp_targetILNS1_3genE4ELNS1_11target_archE910ELNS1_3gpuE8ELNS1_3repE0EEENS1_30default_config_static_selectorELNS0_4arch9wavefront6targetE0EEEvT1_
		.amdhsa_group_segment_fixed_size 0
		.amdhsa_private_segment_fixed_size 0
		.amdhsa_kernarg_size 136
		.amdhsa_user_sgpr_count 15
		.amdhsa_user_sgpr_dispatch_ptr 0
		.amdhsa_user_sgpr_queue_ptr 0
		.amdhsa_user_sgpr_kernarg_segment_ptr 1
		.amdhsa_user_sgpr_dispatch_id 0
		.amdhsa_user_sgpr_private_segment_size 0
		.amdhsa_wavefront_size32 1
		.amdhsa_uses_dynamic_stack 0
		.amdhsa_enable_private_segment 0
		.amdhsa_system_sgpr_workgroup_id_x 1
		.amdhsa_system_sgpr_workgroup_id_y 0
		.amdhsa_system_sgpr_workgroup_id_z 0
		.amdhsa_system_sgpr_workgroup_info 0
		.amdhsa_system_vgpr_workitem_id 0
		.amdhsa_next_free_vgpr 1
		.amdhsa_next_free_sgpr 1
		.amdhsa_reserve_vcc 0
		.amdhsa_float_round_mode_32 0
		.amdhsa_float_round_mode_16_64 0
		.amdhsa_float_denorm_mode_32 3
		.amdhsa_float_denorm_mode_16_64 3
		.amdhsa_dx10_clamp 1
		.amdhsa_ieee_mode 1
		.amdhsa_fp16_overflow 0
		.amdhsa_workgroup_processor_mode 1
		.amdhsa_memory_ordered 1
		.amdhsa_forward_progress 0
		.amdhsa_shared_vgpr_count 0
		.amdhsa_exception_fp_ieee_invalid_op 0
		.amdhsa_exception_fp_denorm_src 0
		.amdhsa_exception_fp_ieee_div_zero 0
		.amdhsa_exception_fp_ieee_overflow 0
		.amdhsa_exception_fp_ieee_underflow 0
		.amdhsa_exception_fp_ieee_inexact 0
		.amdhsa_exception_int_div_zero 0
	.end_amdhsa_kernel
	.section	.text._ZN7rocprim17ROCPRIM_400000_NS6detail17trampoline_kernelINS0_14default_configENS1_25partition_config_selectorILNS1_17partition_subalgoE8ElNS0_10empty_typeEbEEZZNS1_14partition_implILS5_8ELb0ES3_jPlPS6_PKS6_NS0_5tupleIJS9_S6_EEENSD_IJSA_SA_EEENS0_18inequality_wrapperIZN2at6native12_GLOBAL__N_124unique_dim_cuda_templateIiEESt5tupleIJNSH_6TensorESM_SM_EERKSM_lbbbEUlllE0_EEPmJS6_EEE10hipError_tPvRmT3_T4_T5_T6_T7_T9_mT8_P12ihipStream_tbDpT10_ENKUlT_T0_E_clISt17integral_constantIbLb0EES1B_IbLb1EEEEDaS17_S18_EUlS17_E_NS1_11comp_targetILNS1_3genE4ELNS1_11target_archE910ELNS1_3gpuE8ELNS1_3repE0EEENS1_30default_config_static_selectorELNS0_4arch9wavefront6targetE0EEEvT1_,"axG",@progbits,_ZN7rocprim17ROCPRIM_400000_NS6detail17trampoline_kernelINS0_14default_configENS1_25partition_config_selectorILNS1_17partition_subalgoE8ElNS0_10empty_typeEbEEZZNS1_14partition_implILS5_8ELb0ES3_jPlPS6_PKS6_NS0_5tupleIJS9_S6_EEENSD_IJSA_SA_EEENS0_18inequality_wrapperIZN2at6native12_GLOBAL__N_124unique_dim_cuda_templateIiEESt5tupleIJNSH_6TensorESM_SM_EERKSM_lbbbEUlllE0_EEPmJS6_EEE10hipError_tPvRmT3_T4_T5_T6_T7_T9_mT8_P12ihipStream_tbDpT10_ENKUlT_T0_E_clISt17integral_constantIbLb0EES1B_IbLb1EEEEDaS17_S18_EUlS17_E_NS1_11comp_targetILNS1_3genE4ELNS1_11target_archE910ELNS1_3gpuE8ELNS1_3repE0EEENS1_30default_config_static_selectorELNS0_4arch9wavefront6targetE0EEEvT1_,comdat
.Lfunc_end467:
	.size	_ZN7rocprim17ROCPRIM_400000_NS6detail17trampoline_kernelINS0_14default_configENS1_25partition_config_selectorILNS1_17partition_subalgoE8ElNS0_10empty_typeEbEEZZNS1_14partition_implILS5_8ELb0ES3_jPlPS6_PKS6_NS0_5tupleIJS9_S6_EEENSD_IJSA_SA_EEENS0_18inequality_wrapperIZN2at6native12_GLOBAL__N_124unique_dim_cuda_templateIiEESt5tupleIJNSH_6TensorESM_SM_EERKSM_lbbbEUlllE0_EEPmJS6_EEE10hipError_tPvRmT3_T4_T5_T6_T7_T9_mT8_P12ihipStream_tbDpT10_ENKUlT_T0_E_clISt17integral_constantIbLb0EES1B_IbLb1EEEEDaS17_S18_EUlS17_E_NS1_11comp_targetILNS1_3genE4ELNS1_11target_archE910ELNS1_3gpuE8ELNS1_3repE0EEENS1_30default_config_static_selectorELNS0_4arch9wavefront6targetE0EEEvT1_, .Lfunc_end467-_ZN7rocprim17ROCPRIM_400000_NS6detail17trampoline_kernelINS0_14default_configENS1_25partition_config_selectorILNS1_17partition_subalgoE8ElNS0_10empty_typeEbEEZZNS1_14partition_implILS5_8ELb0ES3_jPlPS6_PKS6_NS0_5tupleIJS9_S6_EEENSD_IJSA_SA_EEENS0_18inequality_wrapperIZN2at6native12_GLOBAL__N_124unique_dim_cuda_templateIiEESt5tupleIJNSH_6TensorESM_SM_EERKSM_lbbbEUlllE0_EEPmJS6_EEE10hipError_tPvRmT3_T4_T5_T6_T7_T9_mT8_P12ihipStream_tbDpT10_ENKUlT_T0_E_clISt17integral_constantIbLb0EES1B_IbLb1EEEEDaS17_S18_EUlS17_E_NS1_11comp_targetILNS1_3genE4ELNS1_11target_archE910ELNS1_3gpuE8ELNS1_3repE0EEENS1_30default_config_static_selectorELNS0_4arch9wavefront6targetE0EEEvT1_
                                        ; -- End function
	.section	.AMDGPU.csdata,"",@progbits
; Kernel info:
; codeLenInByte = 0
; NumSgprs: 0
; NumVgprs: 0
; ScratchSize: 0
; MemoryBound: 0
; FloatMode: 240
; IeeeMode: 1
; LDSByteSize: 0 bytes/workgroup (compile time only)
; SGPRBlocks: 0
; VGPRBlocks: 0
; NumSGPRsForWavesPerEU: 1
; NumVGPRsForWavesPerEU: 1
; Occupancy: 16
; WaveLimiterHint : 0
; COMPUTE_PGM_RSRC2:SCRATCH_EN: 0
; COMPUTE_PGM_RSRC2:USER_SGPR: 15
; COMPUTE_PGM_RSRC2:TRAP_HANDLER: 0
; COMPUTE_PGM_RSRC2:TGID_X_EN: 1
; COMPUTE_PGM_RSRC2:TGID_Y_EN: 0
; COMPUTE_PGM_RSRC2:TGID_Z_EN: 0
; COMPUTE_PGM_RSRC2:TIDIG_COMP_CNT: 0
	.section	.text._ZN7rocprim17ROCPRIM_400000_NS6detail17trampoline_kernelINS0_14default_configENS1_25partition_config_selectorILNS1_17partition_subalgoE8ElNS0_10empty_typeEbEEZZNS1_14partition_implILS5_8ELb0ES3_jPlPS6_PKS6_NS0_5tupleIJS9_S6_EEENSD_IJSA_SA_EEENS0_18inequality_wrapperIZN2at6native12_GLOBAL__N_124unique_dim_cuda_templateIiEESt5tupleIJNSH_6TensorESM_SM_EERKSM_lbbbEUlllE0_EEPmJS6_EEE10hipError_tPvRmT3_T4_T5_T6_T7_T9_mT8_P12ihipStream_tbDpT10_ENKUlT_T0_E_clISt17integral_constantIbLb0EES1B_IbLb1EEEEDaS17_S18_EUlS17_E_NS1_11comp_targetILNS1_3genE3ELNS1_11target_archE908ELNS1_3gpuE7ELNS1_3repE0EEENS1_30default_config_static_selectorELNS0_4arch9wavefront6targetE0EEEvT1_,"axG",@progbits,_ZN7rocprim17ROCPRIM_400000_NS6detail17trampoline_kernelINS0_14default_configENS1_25partition_config_selectorILNS1_17partition_subalgoE8ElNS0_10empty_typeEbEEZZNS1_14partition_implILS5_8ELb0ES3_jPlPS6_PKS6_NS0_5tupleIJS9_S6_EEENSD_IJSA_SA_EEENS0_18inequality_wrapperIZN2at6native12_GLOBAL__N_124unique_dim_cuda_templateIiEESt5tupleIJNSH_6TensorESM_SM_EERKSM_lbbbEUlllE0_EEPmJS6_EEE10hipError_tPvRmT3_T4_T5_T6_T7_T9_mT8_P12ihipStream_tbDpT10_ENKUlT_T0_E_clISt17integral_constantIbLb0EES1B_IbLb1EEEEDaS17_S18_EUlS17_E_NS1_11comp_targetILNS1_3genE3ELNS1_11target_archE908ELNS1_3gpuE7ELNS1_3repE0EEENS1_30default_config_static_selectorELNS0_4arch9wavefront6targetE0EEEvT1_,comdat
	.globl	_ZN7rocprim17ROCPRIM_400000_NS6detail17trampoline_kernelINS0_14default_configENS1_25partition_config_selectorILNS1_17partition_subalgoE8ElNS0_10empty_typeEbEEZZNS1_14partition_implILS5_8ELb0ES3_jPlPS6_PKS6_NS0_5tupleIJS9_S6_EEENSD_IJSA_SA_EEENS0_18inequality_wrapperIZN2at6native12_GLOBAL__N_124unique_dim_cuda_templateIiEESt5tupleIJNSH_6TensorESM_SM_EERKSM_lbbbEUlllE0_EEPmJS6_EEE10hipError_tPvRmT3_T4_T5_T6_T7_T9_mT8_P12ihipStream_tbDpT10_ENKUlT_T0_E_clISt17integral_constantIbLb0EES1B_IbLb1EEEEDaS17_S18_EUlS17_E_NS1_11comp_targetILNS1_3genE3ELNS1_11target_archE908ELNS1_3gpuE7ELNS1_3repE0EEENS1_30default_config_static_selectorELNS0_4arch9wavefront6targetE0EEEvT1_ ; -- Begin function _ZN7rocprim17ROCPRIM_400000_NS6detail17trampoline_kernelINS0_14default_configENS1_25partition_config_selectorILNS1_17partition_subalgoE8ElNS0_10empty_typeEbEEZZNS1_14partition_implILS5_8ELb0ES3_jPlPS6_PKS6_NS0_5tupleIJS9_S6_EEENSD_IJSA_SA_EEENS0_18inequality_wrapperIZN2at6native12_GLOBAL__N_124unique_dim_cuda_templateIiEESt5tupleIJNSH_6TensorESM_SM_EERKSM_lbbbEUlllE0_EEPmJS6_EEE10hipError_tPvRmT3_T4_T5_T6_T7_T9_mT8_P12ihipStream_tbDpT10_ENKUlT_T0_E_clISt17integral_constantIbLb0EES1B_IbLb1EEEEDaS17_S18_EUlS17_E_NS1_11comp_targetILNS1_3genE3ELNS1_11target_archE908ELNS1_3gpuE7ELNS1_3repE0EEENS1_30default_config_static_selectorELNS0_4arch9wavefront6targetE0EEEvT1_
	.p2align	8
	.type	_ZN7rocprim17ROCPRIM_400000_NS6detail17trampoline_kernelINS0_14default_configENS1_25partition_config_selectorILNS1_17partition_subalgoE8ElNS0_10empty_typeEbEEZZNS1_14partition_implILS5_8ELb0ES3_jPlPS6_PKS6_NS0_5tupleIJS9_S6_EEENSD_IJSA_SA_EEENS0_18inequality_wrapperIZN2at6native12_GLOBAL__N_124unique_dim_cuda_templateIiEESt5tupleIJNSH_6TensorESM_SM_EERKSM_lbbbEUlllE0_EEPmJS6_EEE10hipError_tPvRmT3_T4_T5_T6_T7_T9_mT8_P12ihipStream_tbDpT10_ENKUlT_T0_E_clISt17integral_constantIbLb0EES1B_IbLb1EEEEDaS17_S18_EUlS17_E_NS1_11comp_targetILNS1_3genE3ELNS1_11target_archE908ELNS1_3gpuE7ELNS1_3repE0EEENS1_30default_config_static_selectorELNS0_4arch9wavefront6targetE0EEEvT1_,@function
_ZN7rocprim17ROCPRIM_400000_NS6detail17trampoline_kernelINS0_14default_configENS1_25partition_config_selectorILNS1_17partition_subalgoE8ElNS0_10empty_typeEbEEZZNS1_14partition_implILS5_8ELb0ES3_jPlPS6_PKS6_NS0_5tupleIJS9_S6_EEENSD_IJSA_SA_EEENS0_18inequality_wrapperIZN2at6native12_GLOBAL__N_124unique_dim_cuda_templateIiEESt5tupleIJNSH_6TensorESM_SM_EERKSM_lbbbEUlllE0_EEPmJS6_EEE10hipError_tPvRmT3_T4_T5_T6_T7_T9_mT8_P12ihipStream_tbDpT10_ENKUlT_T0_E_clISt17integral_constantIbLb0EES1B_IbLb1EEEEDaS17_S18_EUlS17_E_NS1_11comp_targetILNS1_3genE3ELNS1_11target_archE908ELNS1_3gpuE7ELNS1_3repE0EEENS1_30default_config_static_selectorELNS0_4arch9wavefront6targetE0EEEvT1_: ; @_ZN7rocprim17ROCPRIM_400000_NS6detail17trampoline_kernelINS0_14default_configENS1_25partition_config_selectorILNS1_17partition_subalgoE8ElNS0_10empty_typeEbEEZZNS1_14partition_implILS5_8ELb0ES3_jPlPS6_PKS6_NS0_5tupleIJS9_S6_EEENSD_IJSA_SA_EEENS0_18inequality_wrapperIZN2at6native12_GLOBAL__N_124unique_dim_cuda_templateIiEESt5tupleIJNSH_6TensorESM_SM_EERKSM_lbbbEUlllE0_EEPmJS6_EEE10hipError_tPvRmT3_T4_T5_T6_T7_T9_mT8_P12ihipStream_tbDpT10_ENKUlT_T0_E_clISt17integral_constantIbLb0EES1B_IbLb1EEEEDaS17_S18_EUlS17_E_NS1_11comp_targetILNS1_3genE3ELNS1_11target_archE908ELNS1_3gpuE7ELNS1_3repE0EEENS1_30default_config_static_selectorELNS0_4arch9wavefront6targetE0EEEvT1_
; %bb.0:
	.section	.rodata,"a",@progbits
	.p2align	6, 0x0
	.amdhsa_kernel _ZN7rocprim17ROCPRIM_400000_NS6detail17trampoline_kernelINS0_14default_configENS1_25partition_config_selectorILNS1_17partition_subalgoE8ElNS0_10empty_typeEbEEZZNS1_14partition_implILS5_8ELb0ES3_jPlPS6_PKS6_NS0_5tupleIJS9_S6_EEENSD_IJSA_SA_EEENS0_18inequality_wrapperIZN2at6native12_GLOBAL__N_124unique_dim_cuda_templateIiEESt5tupleIJNSH_6TensorESM_SM_EERKSM_lbbbEUlllE0_EEPmJS6_EEE10hipError_tPvRmT3_T4_T5_T6_T7_T9_mT8_P12ihipStream_tbDpT10_ENKUlT_T0_E_clISt17integral_constantIbLb0EES1B_IbLb1EEEEDaS17_S18_EUlS17_E_NS1_11comp_targetILNS1_3genE3ELNS1_11target_archE908ELNS1_3gpuE7ELNS1_3repE0EEENS1_30default_config_static_selectorELNS0_4arch9wavefront6targetE0EEEvT1_
		.amdhsa_group_segment_fixed_size 0
		.amdhsa_private_segment_fixed_size 0
		.amdhsa_kernarg_size 136
		.amdhsa_user_sgpr_count 15
		.amdhsa_user_sgpr_dispatch_ptr 0
		.amdhsa_user_sgpr_queue_ptr 0
		.amdhsa_user_sgpr_kernarg_segment_ptr 1
		.amdhsa_user_sgpr_dispatch_id 0
		.amdhsa_user_sgpr_private_segment_size 0
		.amdhsa_wavefront_size32 1
		.amdhsa_uses_dynamic_stack 0
		.amdhsa_enable_private_segment 0
		.amdhsa_system_sgpr_workgroup_id_x 1
		.amdhsa_system_sgpr_workgroup_id_y 0
		.amdhsa_system_sgpr_workgroup_id_z 0
		.amdhsa_system_sgpr_workgroup_info 0
		.amdhsa_system_vgpr_workitem_id 0
		.amdhsa_next_free_vgpr 1
		.amdhsa_next_free_sgpr 1
		.amdhsa_reserve_vcc 0
		.amdhsa_float_round_mode_32 0
		.amdhsa_float_round_mode_16_64 0
		.amdhsa_float_denorm_mode_32 3
		.amdhsa_float_denorm_mode_16_64 3
		.amdhsa_dx10_clamp 1
		.amdhsa_ieee_mode 1
		.amdhsa_fp16_overflow 0
		.amdhsa_workgroup_processor_mode 1
		.amdhsa_memory_ordered 1
		.amdhsa_forward_progress 0
		.amdhsa_shared_vgpr_count 0
		.amdhsa_exception_fp_ieee_invalid_op 0
		.amdhsa_exception_fp_denorm_src 0
		.amdhsa_exception_fp_ieee_div_zero 0
		.amdhsa_exception_fp_ieee_overflow 0
		.amdhsa_exception_fp_ieee_underflow 0
		.amdhsa_exception_fp_ieee_inexact 0
		.amdhsa_exception_int_div_zero 0
	.end_amdhsa_kernel
	.section	.text._ZN7rocprim17ROCPRIM_400000_NS6detail17trampoline_kernelINS0_14default_configENS1_25partition_config_selectorILNS1_17partition_subalgoE8ElNS0_10empty_typeEbEEZZNS1_14partition_implILS5_8ELb0ES3_jPlPS6_PKS6_NS0_5tupleIJS9_S6_EEENSD_IJSA_SA_EEENS0_18inequality_wrapperIZN2at6native12_GLOBAL__N_124unique_dim_cuda_templateIiEESt5tupleIJNSH_6TensorESM_SM_EERKSM_lbbbEUlllE0_EEPmJS6_EEE10hipError_tPvRmT3_T4_T5_T6_T7_T9_mT8_P12ihipStream_tbDpT10_ENKUlT_T0_E_clISt17integral_constantIbLb0EES1B_IbLb1EEEEDaS17_S18_EUlS17_E_NS1_11comp_targetILNS1_3genE3ELNS1_11target_archE908ELNS1_3gpuE7ELNS1_3repE0EEENS1_30default_config_static_selectorELNS0_4arch9wavefront6targetE0EEEvT1_,"axG",@progbits,_ZN7rocprim17ROCPRIM_400000_NS6detail17trampoline_kernelINS0_14default_configENS1_25partition_config_selectorILNS1_17partition_subalgoE8ElNS0_10empty_typeEbEEZZNS1_14partition_implILS5_8ELb0ES3_jPlPS6_PKS6_NS0_5tupleIJS9_S6_EEENSD_IJSA_SA_EEENS0_18inequality_wrapperIZN2at6native12_GLOBAL__N_124unique_dim_cuda_templateIiEESt5tupleIJNSH_6TensorESM_SM_EERKSM_lbbbEUlllE0_EEPmJS6_EEE10hipError_tPvRmT3_T4_T5_T6_T7_T9_mT8_P12ihipStream_tbDpT10_ENKUlT_T0_E_clISt17integral_constantIbLb0EES1B_IbLb1EEEEDaS17_S18_EUlS17_E_NS1_11comp_targetILNS1_3genE3ELNS1_11target_archE908ELNS1_3gpuE7ELNS1_3repE0EEENS1_30default_config_static_selectorELNS0_4arch9wavefront6targetE0EEEvT1_,comdat
.Lfunc_end468:
	.size	_ZN7rocprim17ROCPRIM_400000_NS6detail17trampoline_kernelINS0_14default_configENS1_25partition_config_selectorILNS1_17partition_subalgoE8ElNS0_10empty_typeEbEEZZNS1_14partition_implILS5_8ELb0ES3_jPlPS6_PKS6_NS0_5tupleIJS9_S6_EEENSD_IJSA_SA_EEENS0_18inequality_wrapperIZN2at6native12_GLOBAL__N_124unique_dim_cuda_templateIiEESt5tupleIJNSH_6TensorESM_SM_EERKSM_lbbbEUlllE0_EEPmJS6_EEE10hipError_tPvRmT3_T4_T5_T6_T7_T9_mT8_P12ihipStream_tbDpT10_ENKUlT_T0_E_clISt17integral_constantIbLb0EES1B_IbLb1EEEEDaS17_S18_EUlS17_E_NS1_11comp_targetILNS1_3genE3ELNS1_11target_archE908ELNS1_3gpuE7ELNS1_3repE0EEENS1_30default_config_static_selectorELNS0_4arch9wavefront6targetE0EEEvT1_, .Lfunc_end468-_ZN7rocprim17ROCPRIM_400000_NS6detail17trampoline_kernelINS0_14default_configENS1_25partition_config_selectorILNS1_17partition_subalgoE8ElNS0_10empty_typeEbEEZZNS1_14partition_implILS5_8ELb0ES3_jPlPS6_PKS6_NS0_5tupleIJS9_S6_EEENSD_IJSA_SA_EEENS0_18inequality_wrapperIZN2at6native12_GLOBAL__N_124unique_dim_cuda_templateIiEESt5tupleIJNSH_6TensorESM_SM_EERKSM_lbbbEUlllE0_EEPmJS6_EEE10hipError_tPvRmT3_T4_T5_T6_T7_T9_mT8_P12ihipStream_tbDpT10_ENKUlT_T0_E_clISt17integral_constantIbLb0EES1B_IbLb1EEEEDaS17_S18_EUlS17_E_NS1_11comp_targetILNS1_3genE3ELNS1_11target_archE908ELNS1_3gpuE7ELNS1_3repE0EEENS1_30default_config_static_selectorELNS0_4arch9wavefront6targetE0EEEvT1_
                                        ; -- End function
	.section	.AMDGPU.csdata,"",@progbits
; Kernel info:
; codeLenInByte = 0
; NumSgprs: 0
; NumVgprs: 0
; ScratchSize: 0
; MemoryBound: 0
; FloatMode: 240
; IeeeMode: 1
; LDSByteSize: 0 bytes/workgroup (compile time only)
; SGPRBlocks: 0
; VGPRBlocks: 0
; NumSGPRsForWavesPerEU: 1
; NumVGPRsForWavesPerEU: 1
; Occupancy: 16
; WaveLimiterHint : 0
; COMPUTE_PGM_RSRC2:SCRATCH_EN: 0
; COMPUTE_PGM_RSRC2:USER_SGPR: 15
; COMPUTE_PGM_RSRC2:TRAP_HANDLER: 0
; COMPUTE_PGM_RSRC2:TGID_X_EN: 1
; COMPUTE_PGM_RSRC2:TGID_Y_EN: 0
; COMPUTE_PGM_RSRC2:TGID_Z_EN: 0
; COMPUTE_PGM_RSRC2:TIDIG_COMP_CNT: 0
	.section	.text._ZN7rocprim17ROCPRIM_400000_NS6detail17trampoline_kernelINS0_14default_configENS1_25partition_config_selectorILNS1_17partition_subalgoE8ElNS0_10empty_typeEbEEZZNS1_14partition_implILS5_8ELb0ES3_jPlPS6_PKS6_NS0_5tupleIJS9_S6_EEENSD_IJSA_SA_EEENS0_18inequality_wrapperIZN2at6native12_GLOBAL__N_124unique_dim_cuda_templateIiEESt5tupleIJNSH_6TensorESM_SM_EERKSM_lbbbEUlllE0_EEPmJS6_EEE10hipError_tPvRmT3_T4_T5_T6_T7_T9_mT8_P12ihipStream_tbDpT10_ENKUlT_T0_E_clISt17integral_constantIbLb0EES1B_IbLb1EEEEDaS17_S18_EUlS17_E_NS1_11comp_targetILNS1_3genE2ELNS1_11target_archE906ELNS1_3gpuE6ELNS1_3repE0EEENS1_30default_config_static_selectorELNS0_4arch9wavefront6targetE0EEEvT1_,"axG",@progbits,_ZN7rocprim17ROCPRIM_400000_NS6detail17trampoline_kernelINS0_14default_configENS1_25partition_config_selectorILNS1_17partition_subalgoE8ElNS0_10empty_typeEbEEZZNS1_14partition_implILS5_8ELb0ES3_jPlPS6_PKS6_NS0_5tupleIJS9_S6_EEENSD_IJSA_SA_EEENS0_18inequality_wrapperIZN2at6native12_GLOBAL__N_124unique_dim_cuda_templateIiEESt5tupleIJNSH_6TensorESM_SM_EERKSM_lbbbEUlllE0_EEPmJS6_EEE10hipError_tPvRmT3_T4_T5_T6_T7_T9_mT8_P12ihipStream_tbDpT10_ENKUlT_T0_E_clISt17integral_constantIbLb0EES1B_IbLb1EEEEDaS17_S18_EUlS17_E_NS1_11comp_targetILNS1_3genE2ELNS1_11target_archE906ELNS1_3gpuE6ELNS1_3repE0EEENS1_30default_config_static_selectorELNS0_4arch9wavefront6targetE0EEEvT1_,comdat
	.globl	_ZN7rocprim17ROCPRIM_400000_NS6detail17trampoline_kernelINS0_14default_configENS1_25partition_config_selectorILNS1_17partition_subalgoE8ElNS0_10empty_typeEbEEZZNS1_14partition_implILS5_8ELb0ES3_jPlPS6_PKS6_NS0_5tupleIJS9_S6_EEENSD_IJSA_SA_EEENS0_18inequality_wrapperIZN2at6native12_GLOBAL__N_124unique_dim_cuda_templateIiEESt5tupleIJNSH_6TensorESM_SM_EERKSM_lbbbEUlllE0_EEPmJS6_EEE10hipError_tPvRmT3_T4_T5_T6_T7_T9_mT8_P12ihipStream_tbDpT10_ENKUlT_T0_E_clISt17integral_constantIbLb0EES1B_IbLb1EEEEDaS17_S18_EUlS17_E_NS1_11comp_targetILNS1_3genE2ELNS1_11target_archE906ELNS1_3gpuE6ELNS1_3repE0EEENS1_30default_config_static_selectorELNS0_4arch9wavefront6targetE0EEEvT1_ ; -- Begin function _ZN7rocprim17ROCPRIM_400000_NS6detail17trampoline_kernelINS0_14default_configENS1_25partition_config_selectorILNS1_17partition_subalgoE8ElNS0_10empty_typeEbEEZZNS1_14partition_implILS5_8ELb0ES3_jPlPS6_PKS6_NS0_5tupleIJS9_S6_EEENSD_IJSA_SA_EEENS0_18inequality_wrapperIZN2at6native12_GLOBAL__N_124unique_dim_cuda_templateIiEESt5tupleIJNSH_6TensorESM_SM_EERKSM_lbbbEUlllE0_EEPmJS6_EEE10hipError_tPvRmT3_T4_T5_T6_T7_T9_mT8_P12ihipStream_tbDpT10_ENKUlT_T0_E_clISt17integral_constantIbLb0EES1B_IbLb1EEEEDaS17_S18_EUlS17_E_NS1_11comp_targetILNS1_3genE2ELNS1_11target_archE906ELNS1_3gpuE6ELNS1_3repE0EEENS1_30default_config_static_selectorELNS0_4arch9wavefront6targetE0EEEvT1_
	.p2align	8
	.type	_ZN7rocprim17ROCPRIM_400000_NS6detail17trampoline_kernelINS0_14default_configENS1_25partition_config_selectorILNS1_17partition_subalgoE8ElNS0_10empty_typeEbEEZZNS1_14partition_implILS5_8ELb0ES3_jPlPS6_PKS6_NS0_5tupleIJS9_S6_EEENSD_IJSA_SA_EEENS0_18inequality_wrapperIZN2at6native12_GLOBAL__N_124unique_dim_cuda_templateIiEESt5tupleIJNSH_6TensorESM_SM_EERKSM_lbbbEUlllE0_EEPmJS6_EEE10hipError_tPvRmT3_T4_T5_T6_T7_T9_mT8_P12ihipStream_tbDpT10_ENKUlT_T0_E_clISt17integral_constantIbLb0EES1B_IbLb1EEEEDaS17_S18_EUlS17_E_NS1_11comp_targetILNS1_3genE2ELNS1_11target_archE906ELNS1_3gpuE6ELNS1_3repE0EEENS1_30default_config_static_selectorELNS0_4arch9wavefront6targetE0EEEvT1_,@function
_ZN7rocprim17ROCPRIM_400000_NS6detail17trampoline_kernelINS0_14default_configENS1_25partition_config_selectorILNS1_17partition_subalgoE8ElNS0_10empty_typeEbEEZZNS1_14partition_implILS5_8ELb0ES3_jPlPS6_PKS6_NS0_5tupleIJS9_S6_EEENSD_IJSA_SA_EEENS0_18inequality_wrapperIZN2at6native12_GLOBAL__N_124unique_dim_cuda_templateIiEESt5tupleIJNSH_6TensorESM_SM_EERKSM_lbbbEUlllE0_EEPmJS6_EEE10hipError_tPvRmT3_T4_T5_T6_T7_T9_mT8_P12ihipStream_tbDpT10_ENKUlT_T0_E_clISt17integral_constantIbLb0EES1B_IbLb1EEEEDaS17_S18_EUlS17_E_NS1_11comp_targetILNS1_3genE2ELNS1_11target_archE906ELNS1_3gpuE6ELNS1_3repE0EEENS1_30default_config_static_selectorELNS0_4arch9wavefront6targetE0EEEvT1_: ; @_ZN7rocprim17ROCPRIM_400000_NS6detail17trampoline_kernelINS0_14default_configENS1_25partition_config_selectorILNS1_17partition_subalgoE8ElNS0_10empty_typeEbEEZZNS1_14partition_implILS5_8ELb0ES3_jPlPS6_PKS6_NS0_5tupleIJS9_S6_EEENSD_IJSA_SA_EEENS0_18inequality_wrapperIZN2at6native12_GLOBAL__N_124unique_dim_cuda_templateIiEESt5tupleIJNSH_6TensorESM_SM_EERKSM_lbbbEUlllE0_EEPmJS6_EEE10hipError_tPvRmT3_T4_T5_T6_T7_T9_mT8_P12ihipStream_tbDpT10_ENKUlT_T0_E_clISt17integral_constantIbLb0EES1B_IbLb1EEEEDaS17_S18_EUlS17_E_NS1_11comp_targetILNS1_3genE2ELNS1_11target_archE906ELNS1_3gpuE6ELNS1_3repE0EEENS1_30default_config_static_selectorELNS0_4arch9wavefront6targetE0EEEvT1_
; %bb.0:
	.section	.rodata,"a",@progbits
	.p2align	6, 0x0
	.amdhsa_kernel _ZN7rocprim17ROCPRIM_400000_NS6detail17trampoline_kernelINS0_14default_configENS1_25partition_config_selectorILNS1_17partition_subalgoE8ElNS0_10empty_typeEbEEZZNS1_14partition_implILS5_8ELb0ES3_jPlPS6_PKS6_NS0_5tupleIJS9_S6_EEENSD_IJSA_SA_EEENS0_18inequality_wrapperIZN2at6native12_GLOBAL__N_124unique_dim_cuda_templateIiEESt5tupleIJNSH_6TensorESM_SM_EERKSM_lbbbEUlllE0_EEPmJS6_EEE10hipError_tPvRmT3_T4_T5_T6_T7_T9_mT8_P12ihipStream_tbDpT10_ENKUlT_T0_E_clISt17integral_constantIbLb0EES1B_IbLb1EEEEDaS17_S18_EUlS17_E_NS1_11comp_targetILNS1_3genE2ELNS1_11target_archE906ELNS1_3gpuE6ELNS1_3repE0EEENS1_30default_config_static_selectorELNS0_4arch9wavefront6targetE0EEEvT1_
		.amdhsa_group_segment_fixed_size 0
		.amdhsa_private_segment_fixed_size 0
		.amdhsa_kernarg_size 136
		.amdhsa_user_sgpr_count 15
		.amdhsa_user_sgpr_dispatch_ptr 0
		.amdhsa_user_sgpr_queue_ptr 0
		.amdhsa_user_sgpr_kernarg_segment_ptr 1
		.amdhsa_user_sgpr_dispatch_id 0
		.amdhsa_user_sgpr_private_segment_size 0
		.amdhsa_wavefront_size32 1
		.amdhsa_uses_dynamic_stack 0
		.amdhsa_enable_private_segment 0
		.amdhsa_system_sgpr_workgroup_id_x 1
		.amdhsa_system_sgpr_workgroup_id_y 0
		.amdhsa_system_sgpr_workgroup_id_z 0
		.amdhsa_system_sgpr_workgroup_info 0
		.amdhsa_system_vgpr_workitem_id 0
		.amdhsa_next_free_vgpr 1
		.amdhsa_next_free_sgpr 1
		.amdhsa_reserve_vcc 0
		.amdhsa_float_round_mode_32 0
		.amdhsa_float_round_mode_16_64 0
		.amdhsa_float_denorm_mode_32 3
		.amdhsa_float_denorm_mode_16_64 3
		.amdhsa_dx10_clamp 1
		.amdhsa_ieee_mode 1
		.amdhsa_fp16_overflow 0
		.amdhsa_workgroup_processor_mode 1
		.amdhsa_memory_ordered 1
		.amdhsa_forward_progress 0
		.amdhsa_shared_vgpr_count 0
		.amdhsa_exception_fp_ieee_invalid_op 0
		.amdhsa_exception_fp_denorm_src 0
		.amdhsa_exception_fp_ieee_div_zero 0
		.amdhsa_exception_fp_ieee_overflow 0
		.amdhsa_exception_fp_ieee_underflow 0
		.amdhsa_exception_fp_ieee_inexact 0
		.amdhsa_exception_int_div_zero 0
	.end_amdhsa_kernel
	.section	.text._ZN7rocprim17ROCPRIM_400000_NS6detail17trampoline_kernelINS0_14default_configENS1_25partition_config_selectorILNS1_17partition_subalgoE8ElNS0_10empty_typeEbEEZZNS1_14partition_implILS5_8ELb0ES3_jPlPS6_PKS6_NS0_5tupleIJS9_S6_EEENSD_IJSA_SA_EEENS0_18inequality_wrapperIZN2at6native12_GLOBAL__N_124unique_dim_cuda_templateIiEESt5tupleIJNSH_6TensorESM_SM_EERKSM_lbbbEUlllE0_EEPmJS6_EEE10hipError_tPvRmT3_T4_T5_T6_T7_T9_mT8_P12ihipStream_tbDpT10_ENKUlT_T0_E_clISt17integral_constantIbLb0EES1B_IbLb1EEEEDaS17_S18_EUlS17_E_NS1_11comp_targetILNS1_3genE2ELNS1_11target_archE906ELNS1_3gpuE6ELNS1_3repE0EEENS1_30default_config_static_selectorELNS0_4arch9wavefront6targetE0EEEvT1_,"axG",@progbits,_ZN7rocprim17ROCPRIM_400000_NS6detail17trampoline_kernelINS0_14default_configENS1_25partition_config_selectorILNS1_17partition_subalgoE8ElNS0_10empty_typeEbEEZZNS1_14partition_implILS5_8ELb0ES3_jPlPS6_PKS6_NS0_5tupleIJS9_S6_EEENSD_IJSA_SA_EEENS0_18inequality_wrapperIZN2at6native12_GLOBAL__N_124unique_dim_cuda_templateIiEESt5tupleIJNSH_6TensorESM_SM_EERKSM_lbbbEUlllE0_EEPmJS6_EEE10hipError_tPvRmT3_T4_T5_T6_T7_T9_mT8_P12ihipStream_tbDpT10_ENKUlT_T0_E_clISt17integral_constantIbLb0EES1B_IbLb1EEEEDaS17_S18_EUlS17_E_NS1_11comp_targetILNS1_3genE2ELNS1_11target_archE906ELNS1_3gpuE6ELNS1_3repE0EEENS1_30default_config_static_selectorELNS0_4arch9wavefront6targetE0EEEvT1_,comdat
.Lfunc_end469:
	.size	_ZN7rocprim17ROCPRIM_400000_NS6detail17trampoline_kernelINS0_14default_configENS1_25partition_config_selectorILNS1_17partition_subalgoE8ElNS0_10empty_typeEbEEZZNS1_14partition_implILS5_8ELb0ES3_jPlPS6_PKS6_NS0_5tupleIJS9_S6_EEENSD_IJSA_SA_EEENS0_18inequality_wrapperIZN2at6native12_GLOBAL__N_124unique_dim_cuda_templateIiEESt5tupleIJNSH_6TensorESM_SM_EERKSM_lbbbEUlllE0_EEPmJS6_EEE10hipError_tPvRmT3_T4_T5_T6_T7_T9_mT8_P12ihipStream_tbDpT10_ENKUlT_T0_E_clISt17integral_constantIbLb0EES1B_IbLb1EEEEDaS17_S18_EUlS17_E_NS1_11comp_targetILNS1_3genE2ELNS1_11target_archE906ELNS1_3gpuE6ELNS1_3repE0EEENS1_30default_config_static_selectorELNS0_4arch9wavefront6targetE0EEEvT1_, .Lfunc_end469-_ZN7rocprim17ROCPRIM_400000_NS6detail17trampoline_kernelINS0_14default_configENS1_25partition_config_selectorILNS1_17partition_subalgoE8ElNS0_10empty_typeEbEEZZNS1_14partition_implILS5_8ELb0ES3_jPlPS6_PKS6_NS0_5tupleIJS9_S6_EEENSD_IJSA_SA_EEENS0_18inequality_wrapperIZN2at6native12_GLOBAL__N_124unique_dim_cuda_templateIiEESt5tupleIJNSH_6TensorESM_SM_EERKSM_lbbbEUlllE0_EEPmJS6_EEE10hipError_tPvRmT3_T4_T5_T6_T7_T9_mT8_P12ihipStream_tbDpT10_ENKUlT_T0_E_clISt17integral_constantIbLb0EES1B_IbLb1EEEEDaS17_S18_EUlS17_E_NS1_11comp_targetILNS1_3genE2ELNS1_11target_archE906ELNS1_3gpuE6ELNS1_3repE0EEENS1_30default_config_static_selectorELNS0_4arch9wavefront6targetE0EEEvT1_
                                        ; -- End function
	.section	.AMDGPU.csdata,"",@progbits
; Kernel info:
; codeLenInByte = 0
; NumSgprs: 0
; NumVgprs: 0
; ScratchSize: 0
; MemoryBound: 0
; FloatMode: 240
; IeeeMode: 1
; LDSByteSize: 0 bytes/workgroup (compile time only)
; SGPRBlocks: 0
; VGPRBlocks: 0
; NumSGPRsForWavesPerEU: 1
; NumVGPRsForWavesPerEU: 1
; Occupancy: 16
; WaveLimiterHint : 0
; COMPUTE_PGM_RSRC2:SCRATCH_EN: 0
; COMPUTE_PGM_RSRC2:USER_SGPR: 15
; COMPUTE_PGM_RSRC2:TRAP_HANDLER: 0
; COMPUTE_PGM_RSRC2:TGID_X_EN: 1
; COMPUTE_PGM_RSRC2:TGID_Y_EN: 0
; COMPUTE_PGM_RSRC2:TGID_Z_EN: 0
; COMPUTE_PGM_RSRC2:TIDIG_COMP_CNT: 0
	.section	.text._ZN7rocprim17ROCPRIM_400000_NS6detail17trampoline_kernelINS0_14default_configENS1_25partition_config_selectorILNS1_17partition_subalgoE8ElNS0_10empty_typeEbEEZZNS1_14partition_implILS5_8ELb0ES3_jPlPS6_PKS6_NS0_5tupleIJS9_S6_EEENSD_IJSA_SA_EEENS0_18inequality_wrapperIZN2at6native12_GLOBAL__N_124unique_dim_cuda_templateIiEESt5tupleIJNSH_6TensorESM_SM_EERKSM_lbbbEUlllE0_EEPmJS6_EEE10hipError_tPvRmT3_T4_T5_T6_T7_T9_mT8_P12ihipStream_tbDpT10_ENKUlT_T0_E_clISt17integral_constantIbLb0EES1B_IbLb1EEEEDaS17_S18_EUlS17_E_NS1_11comp_targetILNS1_3genE10ELNS1_11target_archE1200ELNS1_3gpuE4ELNS1_3repE0EEENS1_30default_config_static_selectorELNS0_4arch9wavefront6targetE0EEEvT1_,"axG",@progbits,_ZN7rocprim17ROCPRIM_400000_NS6detail17trampoline_kernelINS0_14default_configENS1_25partition_config_selectorILNS1_17partition_subalgoE8ElNS0_10empty_typeEbEEZZNS1_14partition_implILS5_8ELb0ES3_jPlPS6_PKS6_NS0_5tupleIJS9_S6_EEENSD_IJSA_SA_EEENS0_18inequality_wrapperIZN2at6native12_GLOBAL__N_124unique_dim_cuda_templateIiEESt5tupleIJNSH_6TensorESM_SM_EERKSM_lbbbEUlllE0_EEPmJS6_EEE10hipError_tPvRmT3_T4_T5_T6_T7_T9_mT8_P12ihipStream_tbDpT10_ENKUlT_T0_E_clISt17integral_constantIbLb0EES1B_IbLb1EEEEDaS17_S18_EUlS17_E_NS1_11comp_targetILNS1_3genE10ELNS1_11target_archE1200ELNS1_3gpuE4ELNS1_3repE0EEENS1_30default_config_static_selectorELNS0_4arch9wavefront6targetE0EEEvT1_,comdat
	.globl	_ZN7rocprim17ROCPRIM_400000_NS6detail17trampoline_kernelINS0_14default_configENS1_25partition_config_selectorILNS1_17partition_subalgoE8ElNS0_10empty_typeEbEEZZNS1_14partition_implILS5_8ELb0ES3_jPlPS6_PKS6_NS0_5tupleIJS9_S6_EEENSD_IJSA_SA_EEENS0_18inequality_wrapperIZN2at6native12_GLOBAL__N_124unique_dim_cuda_templateIiEESt5tupleIJNSH_6TensorESM_SM_EERKSM_lbbbEUlllE0_EEPmJS6_EEE10hipError_tPvRmT3_T4_T5_T6_T7_T9_mT8_P12ihipStream_tbDpT10_ENKUlT_T0_E_clISt17integral_constantIbLb0EES1B_IbLb1EEEEDaS17_S18_EUlS17_E_NS1_11comp_targetILNS1_3genE10ELNS1_11target_archE1200ELNS1_3gpuE4ELNS1_3repE0EEENS1_30default_config_static_selectorELNS0_4arch9wavefront6targetE0EEEvT1_ ; -- Begin function _ZN7rocprim17ROCPRIM_400000_NS6detail17trampoline_kernelINS0_14default_configENS1_25partition_config_selectorILNS1_17partition_subalgoE8ElNS0_10empty_typeEbEEZZNS1_14partition_implILS5_8ELb0ES3_jPlPS6_PKS6_NS0_5tupleIJS9_S6_EEENSD_IJSA_SA_EEENS0_18inequality_wrapperIZN2at6native12_GLOBAL__N_124unique_dim_cuda_templateIiEESt5tupleIJNSH_6TensorESM_SM_EERKSM_lbbbEUlllE0_EEPmJS6_EEE10hipError_tPvRmT3_T4_T5_T6_T7_T9_mT8_P12ihipStream_tbDpT10_ENKUlT_T0_E_clISt17integral_constantIbLb0EES1B_IbLb1EEEEDaS17_S18_EUlS17_E_NS1_11comp_targetILNS1_3genE10ELNS1_11target_archE1200ELNS1_3gpuE4ELNS1_3repE0EEENS1_30default_config_static_selectorELNS0_4arch9wavefront6targetE0EEEvT1_
	.p2align	8
	.type	_ZN7rocprim17ROCPRIM_400000_NS6detail17trampoline_kernelINS0_14default_configENS1_25partition_config_selectorILNS1_17partition_subalgoE8ElNS0_10empty_typeEbEEZZNS1_14partition_implILS5_8ELb0ES3_jPlPS6_PKS6_NS0_5tupleIJS9_S6_EEENSD_IJSA_SA_EEENS0_18inequality_wrapperIZN2at6native12_GLOBAL__N_124unique_dim_cuda_templateIiEESt5tupleIJNSH_6TensorESM_SM_EERKSM_lbbbEUlllE0_EEPmJS6_EEE10hipError_tPvRmT3_T4_T5_T6_T7_T9_mT8_P12ihipStream_tbDpT10_ENKUlT_T0_E_clISt17integral_constantIbLb0EES1B_IbLb1EEEEDaS17_S18_EUlS17_E_NS1_11comp_targetILNS1_3genE10ELNS1_11target_archE1200ELNS1_3gpuE4ELNS1_3repE0EEENS1_30default_config_static_selectorELNS0_4arch9wavefront6targetE0EEEvT1_,@function
_ZN7rocprim17ROCPRIM_400000_NS6detail17trampoline_kernelINS0_14default_configENS1_25partition_config_selectorILNS1_17partition_subalgoE8ElNS0_10empty_typeEbEEZZNS1_14partition_implILS5_8ELb0ES3_jPlPS6_PKS6_NS0_5tupleIJS9_S6_EEENSD_IJSA_SA_EEENS0_18inequality_wrapperIZN2at6native12_GLOBAL__N_124unique_dim_cuda_templateIiEESt5tupleIJNSH_6TensorESM_SM_EERKSM_lbbbEUlllE0_EEPmJS6_EEE10hipError_tPvRmT3_T4_T5_T6_T7_T9_mT8_P12ihipStream_tbDpT10_ENKUlT_T0_E_clISt17integral_constantIbLb0EES1B_IbLb1EEEEDaS17_S18_EUlS17_E_NS1_11comp_targetILNS1_3genE10ELNS1_11target_archE1200ELNS1_3gpuE4ELNS1_3repE0EEENS1_30default_config_static_selectorELNS0_4arch9wavefront6targetE0EEEvT1_: ; @_ZN7rocprim17ROCPRIM_400000_NS6detail17trampoline_kernelINS0_14default_configENS1_25partition_config_selectorILNS1_17partition_subalgoE8ElNS0_10empty_typeEbEEZZNS1_14partition_implILS5_8ELb0ES3_jPlPS6_PKS6_NS0_5tupleIJS9_S6_EEENSD_IJSA_SA_EEENS0_18inequality_wrapperIZN2at6native12_GLOBAL__N_124unique_dim_cuda_templateIiEESt5tupleIJNSH_6TensorESM_SM_EERKSM_lbbbEUlllE0_EEPmJS6_EEE10hipError_tPvRmT3_T4_T5_T6_T7_T9_mT8_P12ihipStream_tbDpT10_ENKUlT_T0_E_clISt17integral_constantIbLb0EES1B_IbLb1EEEEDaS17_S18_EUlS17_E_NS1_11comp_targetILNS1_3genE10ELNS1_11target_archE1200ELNS1_3gpuE4ELNS1_3repE0EEENS1_30default_config_static_selectorELNS0_4arch9wavefront6targetE0EEEvT1_
; %bb.0:
	.section	.rodata,"a",@progbits
	.p2align	6, 0x0
	.amdhsa_kernel _ZN7rocprim17ROCPRIM_400000_NS6detail17trampoline_kernelINS0_14default_configENS1_25partition_config_selectorILNS1_17partition_subalgoE8ElNS0_10empty_typeEbEEZZNS1_14partition_implILS5_8ELb0ES3_jPlPS6_PKS6_NS0_5tupleIJS9_S6_EEENSD_IJSA_SA_EEENS0_18inequality_wrapperIZN2at6native12_GLOBAL__N_124unique_dim_cuda_templateIiEESt5tupleIJNSH_6TensorESM_SM_EERKSM_lbbbEUlllE0_EEPmJS6_EEE10hipError_tPvRmT3_T4_T5_T6_T7_T9_mT8_P12ihipStream_tbDpT10_ENKUlT_T0_E_clISt17integral_constantIbLb0EES1B_IbLb1EEEEDaS17_S18_EUlS17_E_NS1_11comp_targetILNS1_3genE10ELNS1_11target_archE1200ELNS1_3gpuE4ELNS1_3repE0EEENS1_30default_config_static_selectorELNS0_4arch9wavefront6targetE0EEEvT1_
		.amdhsa_group_segment_fixed_size 0
		.amdhsa_private_segment_fixed_size 0
		.amdhsa_kernarg_size 136
		.amdhsa_user_sgpr_count 15
		.amdhsa_user_sgpr_dispatch_ptr 0
		.amdhsa_user_sgpr_queue_ptr 0
		.amdhsa_user_sgpr_kernarg_segment_ptr 1
		.amdhsa_user_sgpr_dispatch_id 0
		.amdhsa_user_sgpr_private_segment_size 0
		.amdhsa_wavefront_size32 1
		.amdhsa_uses_dynamic_stack 0
		.amdhsa_enable_private_segment 0
		.amdhsa_system_sgpr_workgroup_id_x 1
		.amdhsa_system_sgpr_workgroup_id_y 0
		.amdhsa_system_sgpr_workgroup_id_z 0
		.amdhsa_system_sgpr_workgroup_info 0
		.amdhsa_system_vgpr_workitem_id 0
		.amdhsa_next_free_vgpr 1
		.amdhsa_next_free_sgpr 1
		.amdhsa_reserve_vcc 0
		.amdhsa_float_round_mode_32 0
		.amdhsa_float_round_mode_16_64 0
		.amdhsa_float_denorm_mode_32 3
		.amdhsa_float_denorm_mode_16_64 3
		.amdhsa_dx10_clamp 1
		.amdhsa_ieee_mode 1
		.amdhsa_fp16_overflow 0
		.amdhsa_workgroup_processor_mode 1
		.amdhsa_memory_ordered 1
		.amdhsa_forward_progress 0
		.amdhsa_shared_vgpr_count 0
		.amdhsa_exception_fp_ieee_invalid_op 0
		.amdhsa_exception_fp_denorm_src 0
		.amdhsa_exception_fp_ieee_div_zero 0
		.amdhsa_exception_fp_ieee_overflow 0
		.amdhsa_exception_fp_ieee_underflow 0
		.amdhsa_exception_fp_ieee_inexact 0
		.amdhsa_exception_int_div_zero 0
	.end_amdhsa_kernel
	.section	.text._ZN7rocprim17ROCPRIM_400000_NS6detail17trampoline_kernelINS0_14default_configENS1_25partition_config_selectorILNS1_17partition_subalgoE8ElNS0_10empty_typeEbEEZZNS1_14partition_implILS5_8ELb0ES3_jPlPS6_PKS6_NS0_5tupleIJS9_S6_EEENSD_IJSA_SA_EEENS0_18inequality_wrapperIZN2at6native12_GLOBAL__N_124unique_dim_cuda_templateIiEESt5tupleIJNSH_6TensorESM_SM_EERKSM_lbbbEUlllE0_EEPmJS6_EEE10hipError_tPvRmT3_T4_T5_T6_T7_T9_mT8_P12ihipStream_tbDpT10_ENKUlT_T0_E_clISt17integral_constantIbLb0EES1B_IbLb1EEEEDaS17_S18_EUlS17_E_NS1_11comp_targetILNS1_3genE10ELNS1_11target_archE1200ELNS1_3gpuE4ELNS1_3repE0EEENS1_30default_config_static_selectorELNS0_4arch9wavefront6targetE0EEEvT1_,"axG",@progbits,_ZN7rocprim17ROCPRIM_400000_NS6detail17trampoline_kernelINS0_14default_configENS1_25partition_config_selectorILNS1_17partition_subalgoE8ElNS0_10empty_typeEbEEZZNS1_14partition_implILS5_8ELb0ES3_jPlPS6_PKS6_NS0_5tupleIJS9_S6_EEENSD_IJSA_SA_EEENS0_18inequality_wrapperIZN2at6native12_GLOBAL__N_124unique_dim_cuda_templateIiEESt5tupleIJNSH_6TensorESM_SM_EERKSM_lbbbEUlllE0_EEPmJS6_EEE10hipError_tPvRmT3_T4_T5_T6_T7_T9_mT8_P12ihipStream_tbDpT10_ENKUlT_T0_E_clISt17integral_constantIbLb0EES1B_IbLb1EEEEDaS17_S18_EUlS17_E_NS1_11comp_targetILNS1_3genE10ELNS1_11target_archE1200ELNS1_3gpuE4ELNS1_3repE0EEENS1_30default_config_static_selectorELNS0_4arch9wavefront6targetE0EEEvT1_,comdat
.Lfunc_end470:
	.size	_ZN7rocprim17ROCPRIM_400000_NS6detail17trampoline_kernelINS0_14default_configENS1_25partition_config_selectorILNS1_17partition_subalgoE8ElNS0_10empty_typeEbEEZZNS1_14partition_implILS5_8ELb0ES3_jPlPS6_PKS6_NS0_5tupleIJS9_S6_EEENSD_IJSA_SA_EEENS0_18inequality_wrapperIZN2at6native12_GLOBAL__N_124unique_dim_cuda_templateIiEESt5tupleIJNSH_6TensorESM_SM_EERKSM_lbbbEUlllE0_EEPmJS6_EEE10hipError_tPvRmT3_T4_T5_T6_T7_T9_mT8_P12ihipStream_tbDpT10_ENKUlT_T0_E_clISt17integral_constantIbLb0EES1B_IbLb1EEEEDaS17_S18_EUlS17_E_NS1_11comp_targetILNS1_3genE10ELNS1_11target_archE1200ELNS1_3gpuE4ELNS1_3repE0EEENS1_30default_config_static_selectorELNS0_4arch9wavefront6targetE0EEEvT1_, .Lfunc_end470-_ZN7rocprim17ROCPRIM_400000_NS6detail17trampoline_kernelINS0_14default_configENS1_25partition_config_selectorILNS1_17partition_subalgoE8ElNS0_10empty_typeEbEEZZNS1_14partition_implILS5_8ELb0ES3_jPlPS6_PKS6_NS0_5tupleIJS9_S6_EEENSD_IJSA_SA_EEENS0_18inequality_wrapperIZN2at6native12_GLOBAL__N_124unique_dim_cuda_templateIiEESt5tupleIJNSH_6TensorESM_SM_EERKSM_lbbbEUlllE0_EEPmJS6_EEE10hipError_tPvRmT3_T4_T5_T6_T7_T9_mT8_P12ihipStream_tbDpT10_ENKUlT_T0_E_clISt17integral_constantIbLb0EES1B_IbLb1EEEEDaS17_S18_EUlS17_E_NS1_11comp_targetILNS1_3genE10ELNS1_11target_archE1200ELNS1_3gpuE4ELNS1_3repE0EEENS1_30default_config_static_selectorELNS0_4arch9wavefront6targetE0EEEvT1_
                                        ; -- End function
	.section	.AMDGPU.csdata,"",@progbits
; Kernel info:
; codeLenInByte = 0
; NumSgprs: 0
; NumVgprs: 0
; ScratchSize: 0
; MemoryBound: 0
; FloatMode: 240
; IeeeMode: 1
; LDSByteSize: 0 bytes/workgroup (compile time only)
; SGPRBlocks: 0
; VGPRBlocks: 0
; NumSGPRsForWavesPerEU: 1
; NumVGPRsForWavesPerEU: 1
; Occupancy: 15
; WaveLimiterHint : 0
; COMPUTE_PGM_RSRC2:SCRATCH_EN: 0
; COMPUTE_PGM_RSRC2:USER_SGPR: 15
; COMPUTE_PGM_RSRC2:TRAP_HANDLER: 0
; COMPUTE_PGM_RSRC2:TGID_X_EN: 1
; COMPUTE_PGM_RSRC2:TGID_Y_EN: 0
; COMPUTE_PGM_RSRC2:TGID_Z_EN: 0
; COMPUTE_PGM_RSRC2:TIDIG_COMP_CNT: 0
	.section	.text._ZN7rocprim17ROCPRIM_400000_NS6detail17trampoline_kernelINS0_14default_configENS1_25partition_config_selectorILNS1_17partition_subalgoE8ElNS0_10empty_typeEbEEZZNS1_14partition_implILS5_8ELb0ES3_jPlPS6_PKS6_NS0_5tupleIJS9_S6_EEENSD_IJSA_SA_EEENS0_18inequality_wrapperIZN2at6native12_GLOBAL__N_124unique_dim_cuda_templateIiEESt5tupleIJNSH_6TensorESM_SM_EERKSM_lbbbEUlllE0_EEPmJS6_EEE10hipError_tPvRmT3_T4_T5_T6_T7_T9_mT8_P12ihipStream_tbDpT10_ENKUlT_T0_E_clISt17integral_constantIbLb0EES1B_IbLb1EEEEDaS17_S18_EUlS17_E_NS1_11comp_targetILNS1_3genE9ELNS1_11target_archE1100ELNS1_3gpuE3ELNS1_3repE0EEENS1_30default_config_static_selectorELNS0_4arch9wavefront6targetE0EEEvT1_,"axG",@progbits,_ZN7rocprim17ROCPRIM_400000_NS6detail17trampoline_kernelINS0_14default_configENS1_25partition_config_selectorILNS1_17partition_subalgoE8ElNS0_10empty_typeEbEEZZNS1_14partition_implILS5_8ELb0ES3_jPlPS6_PKS6_NS0_5tupleIJS9_S6_EEENSD_IJSA_SA_EEENS0_18inequality_wrapperIZN2at6native12_GLOBAL__N_124unique_dim_cuda_templateIiEESt5tupleIJNSH_6TensorESM_SM_EERKSM_lbbbEUlllE0_EEPmJS6_EEE10hipError_tPvRmT3_T4_T5_T6_T7_T9_mT8_P12ihipStream_tbDpT10_ENKUlT_T0_E_clISt17integral_constantIbLb0EES1B_IbLb1EEEEDaS17_S18_EUlS17_E_NS1_11comp_targetILNS1_3genE9ELNS1_11target_archE1100ELNS1_3gpuE3ELNS1_3repE0EEENS1_30default_config_static_selectorELNS0_4arch9wavefront6targetE0EEEvT1_,comdat
	.globl	_ZN7rocprim17ROCPRIM_400000_NS6detail17trampoline_kernelINS0_14default_configENS1_25partition_config_selectorILNS1_17partition_subalgoE8ElNS0_10empty_typeEbEEZZNS1_14partition_implILS5_8ELb0ES3_jPlPS6_PKS6_NS0_5tupleIJS9_S6_EEENSD_IJSA_SA_EEENS0_18inequality_wrapperIZN2at6native12_GLOBAL__N_124unique_dim_cuda_templateIiEESt5tupleIJNSH_6TensorESM_SM_EERKSM_lbbbEUlllE0_EEPmJS6_EEE10hipError_tPvRmT3_T4_T5_T6_T7_T9_mT8_P12ihipStream_tbDpT10_ENKUlT_T0_E_clISt17integral_constantIbLb0EES1B_IbLb1EEEEDaS17_S18_EUlS17_E_NS1_11comp_targetILNS1_3genE9ELNS1_11target_archE1100ELNS1_3gpuE3ELNS1_3repE0EEENS1_30default_config_static_selectorELNS0_4arch9wavefront6targetE0EEEvT1_ ; -- Begin function _ZN7rocprim17ROCPRIM_400000_NS6detail17trampoline_kernelINS0_14default_configENS1_25partition_config_selectorILNS1_17partition_subalgoE8ElNS0_10empty_typeEbEEZZNS1_14partition_implILS5_8ELb0ES3_jPlPS6_PKS6_NS0_5tupleIJS9_S6_EEENSD_IJSA_SA_EEENS0_18inequality_wrapperIZN2at6native12_GLOBAL__N_124unique_dim_cuda_templateIiEESt5tupleIJNSH_6TensorESM_SM_EERKSM_lbbbEUlllE0_EEPmJS6_EEE10hipError_tPvRmT3_T4_T5_T6_T7_T9_mT8_P12ihipStream_tbDpT10_ENKUlT_T0_E_clISt17integral_constantIbLb0EES1B_IbLb1EEEEDaS17_S18_EUlS17_E_NS1_11comp_targetILNS1_3genE9ELNS1_11target_archE1100ELNS1_3gpuE3ELNS1_3repE0EEENS1_30default_config_static_selectorELNS0_4arch9wavefront6targetE0EEEvT1_
	.p2align	8
	.type	_ZN7rocprim17ROCPRIM_400000_NS6detail17trampoline_kernelINS0_14default_configENS1_25partition_config_selectorILNS1_17partition_subalgoE8ElNS0_10empty_typeEbEEZZNS1_14partition_implILS5_8ELb0ES3_jPlPS6_PKS6_NS0_5tupleIJS9_S6_EEENSD_IJSA_SA_EEENS0_18inequality_wrapperIZN2at6native12_GLOBAL__N_124unique_dim_cuda_templateIiEESt5tupleIJNSH_6TensorESM_SM_EERKSM_lbbbEUlllE0_EEPmJS6_EEE10hipError_tPvRmT3_T4_T5_T6_T7_T9_mT8_P12ihipStream_tbDpT10_ENKUlT_T0_E_clISt17integral_constantIbLb0EES1B_IbLb1EEEEDaS17_S18_EUlS17_E_NS1_11comp_targetILNS1_3genE9ELNS1_11target_archE1100ELNS1_3gpuE3ELNS1_3repE0EEENS1_30default_config_static_selectorELNS0_4arch9wavefront6targetE0EEEvT1_,@function
_ZN7rocprim17ROCPRIM_400000_NS6detail17trampoline_kernelINS0_14default_configENS1_25partition_config_selectorILNS1_17partition_subalgoE8ElNS0_10empty_typeEbEEZZNS1_14partition_implILS5_8ELb0ES3_jPlPS6_PKS6_NS0_5tupleIJS9_S6_EEENSD_IJSA_SA_EEENS0_18inequality_wrapperIZN2at6native12_GLOBAL__N_124unique_dim_cuda_templateIiEESt5tupleIJNSH_6TensorESM_SM_EERKSM_lbbbEUlllE0_EEPmJS6_EEE10hipError_tPvRmT3_T4_T5_T6_T7_T9_mT8_P12ihipStream_tbDpT10_ENKUlT_T0_E_clISt17integral_constantIbLb0EES1B_IbLb1EEEEDaS17_S18_EUlS17_E_NS1_11comp_targetILNS1_3genE9ELNS1_11target_archE1100ELNS1_3gpuE3ELNS1_3repE0EEENS1_30default_config_static_selectorELNS0_4arch9wavefront6targetE0EEEvT1_: ; @_ZN7rocprim17ROCPRIM_400000_NS6detail17trampoline_kernelINS0_14default_configENS1_25partition_config_selectorILNS1_17partition_subalgoE8ElNS0_10empty_typeEbEEZZNS1_14partition_implILS5_8ELb0ES3_jPlPS6_PKS6_NS0_5tupleIJS9_S6_EEENSD_IJSA_SA_EEENS0_18inequality_wrapperIZN2at6native12_GLOBAL__N_124unique_dim_cuda_templateIiEESt5tupleIJNSH_6TensorESM_SM_EERKSM_lbbbEUlllE0_EEPmJS6_EEE10hipError_tPvRmT3_T4_T5_T6_T7_T9_mT8_P12ihipStream_tbDpT10_ENKUlT_T0_E_clISt17integral_constantIbLb0EES1B_IbLb1EEEEDaS17_S18_EUlS17_E_NS1_11comp_targetILNS1_3genE9ELNS1_11target_archE1100ELNS1_3gpuE3ELNS1_3repE0EEENS1_30default_config_static_selectorELNS0_4arch9wavefront6targetE0EEEvT1_
; %bb.0:
	s_clause 0x2
	s_load_b64 s[20:21], s[0:1], 0x28
	s_load_b256 s[8:15], s[0:1], 0x40
	s_load_b128 s[16:19], s[0:1], 0x60
	v_cmp_ne_u32_e64 s3, 0, v0
	v_cmp_eq_u32_e64 s2, 0, v0
	s_delay_alu instid0(VALU_DEP_1)
	s_and_saveexec_b32 s4, s2
	s_cbranch_execz .LBB471_4
; %bb.1:
	s_mov_b32 s6, exec_lo
	s_mov_b32 s5, exec_lo
	v_mbcnt_lo_u32_b32 v1, s6, 0
                                        ; implicit-def: $vgpr2
	s_delay_alu instid0(VALU_DEP_1)
	v_cmpx_eq_u32_e32 0, v1
	s_cbranch_execz .LBB471_3
; %bb.2:
	s_load_b64 s[22:23], s[0:1], 0x78
	s_bcnt1_i32_b32 s6, s6
	s_delay_alu instid0(SALU_CYCLE_1)
	v_dual_mov_b32 v2, 0 :: v_dual_mov_b32 v3, s6
	s_waitcnt lgkmcnt(0)
	global_atomic_add_u32 v2, v2, v3, s[22:23] glc
.LBB471_3:
	s_or_b32 exec_lo, exec_lo, s5
	s_waitcnt vmcnt(0)
	v_readfirstlane_b32 s5, v2
	s_delay_alu instid0(VALU_DEP_1)
	v_dual_mov_b32 v2, 0 :: v_dual_add_nc_u32 v1, s5, v1
	ds_store_b32 v2, v1
.LBB471_4:
	s_or_b32 exec_lo, exec_lo, s4
	v_dual_mov_b32 v2, 0 :: v_dual_lshlrev_b32 v39, 3, v0
	s_clause 0x1
	s_load_b128 s[4:7], s[0:1], 0x8
	s_load_b32 s0, s[0:1], 0x70
	s_waitcnt lgkmcnt(0)
	s_barrier
	buffer_gl0_inv
	ds_load_b32 v1, v2
	s_waitcnt lgkmcnt(0)
	s_barrier
	buffer_gl0_inv
	global_load_b64 v[3:4], v2, s[10:11]
	v_lshrrev_b32_e32 v19, 2, v0
	v_or_b32_e32 v26, 0x200, v0
	v_or_b32_e32 v25, 0x400, v0
	;; [unrolled: 1-line block ×7, first 2 shown]
	s_lshl_b64 s[10:11], s[6:7], 3
	s_delay_alu instid0(SALU_CYCLE_1)
	s_add_u32 s10, s4, s10
	s_addc_u32 s11, s5, s11
	s_add_i32 s1, s0, -1
	v_readfirstlane_b32 s23, v1
	s_lshl_b32 s4, s1, 12
	v_lshlrev_b32_e32 v1, 12, v1
	s_lshl_b32 s5, s0, 12
	s_add_i32 s0, s6, s4
	s_add_u32 s4, s6, s5
	s_addc_u32 s5, s7, 0
	v_lshlrev_b64 v[1:2], 3, v[1:2]
	v_cmp_ge_u64_e64 s4, s[4:5], s[12:13]
	s_cmp_eq_u32 s23, s1
	s_cselect_b32 s13, -1, 0
	s_delay_alu instid0(VALU_DEP_2) | instskip(NEXT) | instid1(VALU_DEP_2)
	v_add_co_u32 v17, vcc_lo, s10, v1
	s_and_b32 s1, s4, s13
	v_add_co_ci_u32_e32 v18, vcc_lo, s11, v2, vcc_lo
	s_xor_b32 s22, s1, -1
	s_mov_b32 s4, -1
	s_and_b32 vcc_lo, exec_lo, s22
	s_waitcnt vmcnt(0)
	v_readfirstlane_b32 s10, v3
	v_readfirstlane_b32 s11, v4
	s_cbranch_vccz .LBB471_6
; %bb.5:
	v_add_co_u32 v9, vcc_lo, v17, v39
	v_add_co_ci_u32_e32 v10, vcc_lo, 0, v18, vcc_lo
	v_readfirstlane_b32 s4, v17
	s_delay_alu instid0(VALU_DEP_3) | instskip(NEXT) | instid1(VALU_DEP_3)
	v_add_co_u32 v3, vcc_lo, v9, 0x2000
	v_add_co_ci_u32_e32 v4, vcc_lo, 0, v10, vcc_lo
	v_add_co_u32 v5, vcc_lo, v9, 0x4000
	v_add_co_ci_u32_e32 v6, vcc_lo, 0, v10, vcc_lo
	v_add_co_u32 v7, vcc_lo, v9, 0x6000
	v_readfirstlane_b32 s5, v18
	v_add_co_ci_u32_e32 v8, vcc_lo, 0, v10, vcc_lo
	v_add_co_u32 v9, vcc_lo, 0x7000, v9
	v_add_co_ci_u32_e32 v10, vcc_lo, 0, v10, vcc_lo
	s_clause 0x7
	global_load_b64 v[1:2], v39, s[4:5]
	global_load_b64 v[11:12], v[3:4], off offset:-4096
	global_load_b64 v[3:4], v[3:4], off
	global_load_b64 v[13:14], v[5:6], off offset:-4096
	global_load_b64 v[5:6], v[5:6], off
	;; [unrolled: 2-line block ×3, first 2 shown]
	global_load_b64 v[9:10], v[9:10], off
	v_lshrrev_b32_e32 v28, 2, v26
	v_lshrrev_b32_e32 v29, 2, v25
	;; [unrolled: 1-line block ×4, first 2 shown]
	v_and_b32_e32 v27, 0x78, v19
	v_lshrrev_b32_e32 v32, 2, v22
	v_lshrrev_b32_e32 v33, 2, v21
	;; [unrolled: 1-line block ×3, first 2 shown]
	v_and_b32_e32 v28, 0xf8, v28
	v_and_b32_e32 v29, 0x178, v29
	v_and_b32_e32 v30, 0x1f8, v30
	v_and_b32_e32 v31, 0x278, v31
	v_add_nc_u32_e32 v27, v27, v39
	v_and_b32_e32 v32, 0x2f8, v32
	v_and_b32_e32 v33, 0x378, v33
	;; [unrolled: 1-line block ×3, first 2 shown]
	v_add_nc_u32_e32 v28, v28, v39
	v_add_nc_u32_e32 v29, v29, v39
	;; [unrolled: 1-line block ×4, first 2 shown]
	s_mov_b32 s4, 0
	v_add_nc_u32_e32 v32, v32, v39
	v_add_nc_u32_e32 v33, v33, v39
	;; [unrolled: 1-line block ×3, first 2 shown]
	s_waitcnt vmcnt(7)
	ds_store_b64 v27, v[1:2]
	s_waitcnt vmcnt(6)
	ds_store_b64 v28, v[11:12] offset:4096
	s_waitcnt vmcnt(5)
	ds_store_b64 v29, v[3:4] offset:8192
	s_waitcnt vmcnt(4)
	ds_store_b64 v30, v[13:14] offset:12288
	s_waitcnt vmcnt(3)
	ds_store_b64 v31, v[5:6] offset:16384
	s_waitcnt vmcnt(2)
	ds_store_b64 v32, v[15:16] offset:20480
	s_waitcnt vmcnt(1)
	ds_store_b64 v33, v[7:8] offset:24576
	s_waitcnt vmcnt(0)
	ds_store_b64 v34, v[9:10] offset:28672
	s_waitcnt lgkmcnt(0)
	s_barrier
.LBB471_6:
	s_and_not1_b32 vcc_lo, exec_lo, s4
	s_sub_i32 s12, s12, s0
	s_cbranch_vccnz .LBB471_17
; %bb.7:
	s_mov_b32 s0, exec_lo
                                        ; implicit-def: $vgpr1_vgpr2_vgpr3_vgpr4_vgpr5_vgpr6_vgpr7_vgpr8_vgpr9_vgpr10_vgpr11_vgpr12_vgpr13_vgpr14_vgpr15_vgpr16
	v_cmpx_gt_u32_e64 s12, v0
	s_cbranch_execnz .LBB471_27
; %bb.8:
	s_or_b32 exec_lo, exec_lo, s0
	s_delay_alu instid0(SALU_CYCLE_1)
	s_mov_b32 s0, exec_lo
	v_cmpx_gt_u32_e64 s12, v26
	s_cbranch_execnz .LBB471_28
.LBB471_9:
	s_or_b32 exec_lo, exec_lo, s0
	s_delay_alu instid0(SALU_CYCLE_1)
	s_mov_b32 s0, exec_lo
	v_cmpx_gt_u32_e64 s12, v25
	s_cbranch_execnz .LBB471_29
.LBB471_10:
	s_or_b32 exec_lo, exec_lo, s0
	s_delay_alu instid0(SALU_CYCLE_1)
	s_mov_b32 s0, exec_lo
	v_cmpx_gt_u32_e64 s12, v24
	s_cbranch_execnz .LBB471_30
.LBB471_11:
	s_or_b32 exec_lo, exec_lo, s0
	s_delay_alu instid0(SALU_CYCLE_1)
	s_mov_b32 s0, exec_lo
	v_cmpx_gt_u32_e64 s12, v23
	s_cbranch_execnz .LBB471_31
.LBB471_12:
	s_or_b32 exec_lo, exec_lo, s0
	s_delay_alu instid0(SALU_CYCLE_1)
	s_mov_b32 s0, exec_lo
	v_cmpx_gt_u32_e64 s12, v22
	s_cbranch_execnz .LBB471_32
.LBB471_13:
	s_or_b32 exec_lo, exec_lo, s0
	s_delay_alu instid0(SALU_CYCLE_1)
	s_mov_b32 s0, exec_lo
	v_cmpx_gt_u32_e64 s12, v21
	s_cbranch_execnz .LBB471_33
.LBB471_14:
	s_or_b32 exec_lo, exec_lo, s0
	s_delay_alu instid0(SALU_CYCLE_1)
	s_mov_b32 s0, exec_lo
	v_cmpx_gt_u32_e64 s12, v20
	s_cbranch_execz .LBB471_16
.LBB471_15:
	v_lshlrev_b32_e32 v15, 3, v20
	v_readfirstlane_b32 s4, v17
	v_readfirstlane_b32 s5, v18
	global_load_b64 v[15:16], v15, s[4:5]
.LBB471_16:
	s_or_b32 exec_lo, exec_lo, s0
	v_lshrrev_b32_e32 v26, 2, v26
	v_lshrrev_b32_e32 v25, 2, v25
	;; [unrolled: 1-line block ×4, first 2 shown]
	v_and_b32_e32 v27, 0x78, v19
	v_lshrrev_b32_e32 v22, 2, v22
	v_lshrrev_b32_e32 v21, 2, v21
	;; [unrolled: 1-line block ×3, first 2 shown]
	v_and_b32_e32 v26, 0xf8, v26
	v_and_b32_e32 v25, 0x1f8, v25
	;; [unrolled: 1-line block ×4, first 2 shown]
	v_add_nc_u32_e32 v27, v27, v39
	v_and_b32_e32 v22, 0x3f8, v22
	v_and_b32_e32 v21, 0x3f8, v21
	;; [unrolled: 1-line block ×3, first 2 shown]
	v_add_nc_u32_e32 v26, v26, v39
	v_add_nc_u32_e32 v25, v25, v39
	;; [unrolled: 1-line block ×7, first 2 shown]
	s_waitcnt vmcnt(0)
	ds_store_b64 v27, v[1:2]
	ds_store_b64 v26, v[3:4] offset:4096
	ds_store_b64 v25, v[5:6] offset:8192
	;; [unrolled: 1-line block ×7, first 2 shown]
	s_waitcnt lgkmcnt(0)
	s_barrier
.LBB471_17:
	v_add_lshl_u32 v1, v19, v39, 3
	buffer_gl0_inv
	s_cmp_lg_u32 s23, 0
	v_cmp_gt_i64_e64 s26, s[14:15], 0
	s_cselect_b32 s24, -1, 0
	ds_load_2addr_b64 v[13:16], v1 offset1:1
	ds_load_2addr_b64 v[9:12], v1 offset0:2 offset1:3
	ds_load_2addr_b64 v[5:8], v1 offset0:4 offset1:5
	ds_load_2addr_b64 v[1:4], v1 offset0:6 offset1:7
	s_cmp_lg_u64 s[6:7], 0
	s_mov_b32 s25, 0
	s_cselect_b32 s0, -1, 0
	s_waitcnt lgkmcnt(0)
	s_or_b32 s0, s0, s24
	s_barrier
	s_and_b32 vcc_lo, exec_lo, s0
	buffer_gl0_inv
	s_cbranch_vccz .LBB471_26
; %bb.18:
	global_load_b64 v[17:18], v[17:18], off offset:-8
	v_cndmask_b32_e64 v27, 0, 1, s26
	s_and_b32 vcc_lo, exec_lo, s22
	ds_store_b64 v39, v[3:4]
	v_cmp_ne_u32_e64 s0, 1, v27
	s_cbranch_vccz .LBB471_34
; %bb.19:
	v_mul_lo_u32 v21, v2, s14
	v_mul_lo_u32 v22, v1, s15
	v_mad_u64_u32 v[19:20], null, v1, s14, 0
	s_and_b32 vcc_lo, exec_lo, s0
	s_mov_b32 s27, 0
	s_delay_alu instid0(VALU_DEP_1) | instskip(NEXT) | instid1(VALU_DEP_1)
	v_add3_u32 v20, v20, v22, v21
	v_lshlrev_b64 v[19:20], 2, v[19:20]
	s_cbranch_vccnz .LBB471_37
; %bb.20:
	v_mul_lo_u32 v23, v4, s14
	v_mul_lo_u32 v24, v3, s15
	v_mad_u64_u32 v[21:22], null, v3, s14, 0
	s_mov_b32 s27, -1
	s_mov_b32 s28, exec_lo
	s_delay_alu instid0(VALU_DEP_1) | instskip(SKIP_2) | instid1(VALU_DEP_3)
	v_add3_u32 v22, v22, v24, v23
	v_add_co_u32 v23, vcc_lo, s16, v19
	v_add_co_ci_u32_e32 v24, vcc_lo, s17, v20, vcc_lo
	v_lshlrev_b64 v[21:22], 2, v[21:22]
	s_delay_alu instid0(VALU_DEP_1) | instskip(NEXT) | instid1(VALU_DEP_2)
	v_add_co_u32 v21, vcc_lo, s16, v21
	v_add_co_ci_u32_e32 v22, vcc_lo, s17, v22, vcc_lo
	s_clause 0x1
	global_load_b32 v25, v[23:24], off
	global_load_b32 v26, v[21:22], off
	s_waitcnt vmcnt(0)
	v_cmpx_eq_u32_e64 v25, v26
	s_cbranch_execz .LBB471_36
; %bb.21:
	v_add_co_u32 v21, vcc_lo, v21, 4
	v_add_co_ci_u32_e32 v22, vcc_lo, 0, v22, vcc_lo
	v_add_co_u32 v23, vcc_lo, v23, 4
	v_add_co_ci_u32_e32 v24, vcc_lo, 0, v24, vcc_lo
	s_add_u32 s4, s14, -1
	s_addc_u32 s5, s15, -1
	s_mov_b64 s[6:7], 0
	s_mov_b32 s27, 0
                                        ; implicit-def: $sgpr29
	s_set_inst_prefetch_distance 0x1
	s_branch .LBB471_24
	.p2align	6
.LBB471_22:                             ;   in Loop: Header=BB471_24 Depth=1
	global_load_b32 v25, v[23:24], off
	global_load_b32 v26, v[21:22], off
	v_add_co_u32 v21, vcc_lo, v21, 4
	v_add_co_ci_u32_e32 v22, vcc_lo, 0, v22, vcc_lo
	v_add_co_u32 v23, s0, v23, 4
	s_delay_alu instid0(VALU_DEP_1)
	v_add_co_ci_u32_e64 v24, s0, 0, v24, s0
	s_add_u32 s6, s6, 1
	s_addc_u32 s7, s7, 0
	s_and_not1_b32 s0, s29, exec_lo
	s_waitcnt vmcnt(0)
	v_cmp_ne_u32_e32 vcc_lo, v25, v26
	s_and_b32 s29, vcc_lo, exec_lo
	s_delay_alu instid0(SALU_CYCLE_1)
	s_or_b32 s29, s0, s29
.LBB471_23:                             ;   in Loop: Header=BB471_24 Depth=1
	v_dual_mov_b32 v26, s7 :: v_dual_mov_b32 v25, s6
	s_and_b32 s0, exec_lo, s29
	s_delay_alu instid0(SALU_CYCLE_1) | instskip(NEXT) | instid1(SALU_CYCLE_1)
	s_or_b32 s27, s0, s27
	s_and_not1_b32 exec_lo, exec_lo, s27
	s_cbranch_execz .LBB471_35
.LBB471_24:                             ; =>This Inner Loop Header: Depth=1
	s_or_b32 s29, s29, exec_lo
	s_cmp_eq_u64 s[4:5], s[6:7]
	s_cbranch_scc0 .LBB471_22
; %bb.25:                               ;   in Loop: Header=BB471_24 Depth=1
	s_mov_b64 s[6:7], s[14:15]
                                        ; implicit-def: $vgpr21_vgpr22
                                        ; implicit-def: $vgpr23_vgpr24
	s_branch .LBB471_23
.LBB471_26:
                                        ; implicit-def: $sgpr0
                                        ; implicit-def: $vgpr20
	s_branch .LBB471_195
.LBB471_27:
	v_readfirstlane_b32 s4, v17
	v_readfirstlane_b32 s5, v18
	global_load_b64 v[1:2], v39, s[4:5]
	s_or_b32 exec_lo, exec_lo, s0
	s_delay_alu instid0(SALU_CYCLE_1)
	s_mov_b32 s0, exec_lo
	v_cmpx_gt_u32_e64 s12, v26
	s_cbranch_execz .LBB471_9
.LBB471_28:
	v_lshlrev_b32_e32 v3, 3, v26
	v_readfirstlane_b32 s4, v17
	v_readfirstlane_b32 s5, v18
	global_load_b64 v[3:4], v3, s[4:5]
	s_or_b32 exec_lo, exec_lo, s0
	s_delay_alu instid0(SALU_CYCLE_1)
	s_mov_b32 s0, exec_lo
	v_cmpx_gt_u32_e64 s12, v25
	s_cbranch_execz .LBB471_10
.LBB471_29:
	v_lshlrev_b32_e32 v5, 3, v25
	v_readfirstlane_b32 s4, v17
	v_readfirstlane_b32 s5, v18
	global_load_b64 v[5:6], v5, s[4:5]
	s_or_b32 exec_lo, exec_lo, s0
	s_delay_alu instid0(SALU_CYCLE_1)
	s_mov_b32 s0, exec_lo
	v_cmpx_gt_u32_e64 s12, v24
	s_cbranch_execz .LBB471_11
.LBB471_30:
	v_lshlrev_b32_e32 v7, 3, v24
	v_readfirstlane_b32 s4, v17
	v_readfirstlane_b32 s5, v18
	global_load_b64 v[7:8], v7, s[4:5]
	s_or_b32 exec_lo, exec_lo, s0
	s_delay_alu instid0(SALU_CYCLE_1)
	s_mov_b32 s0, exec_lo
	v_cmpx_gt_u32_e64 s12, v23
	s_cbranch_execz .LBB471_12
.LBB471_31:
	v_lshlrev_b32_e32 v9, 3, v23
	v_readfirstlane_b32 s4, v17
	v_readfirstlane_b32 s5, v18
	global_load_b64 v[9:10], v9, s[4:5]
	s_or_b32 exec_lo, exec_lo, s0
	s_delay_alu instid0(SALU_CYCLE_1)
	s_mov_b32 s0, exec_lo
	v_cmpx_gt_u32_e64 s12, v22
	s_cbranch_execz .LBB471_13
.LBB471_32:
	v_lshlrev_b32_e32 v11, 3, v22
	v_readfirstlane_b32 s4, v17
	v_readfirstlane_b32 s5, v18
	global_load_b64 v[11:12], v11, s[4:5]
	s_or_b32 exec_lo, exec_lo, s0
	s_delay_alu instid0(SALU_CYCLE_1)
	s_mov_b32 s0, exec_lo
	v_cmpx_gt_u32_e64 s12, v21
	s_cbranch_execz .LBB471_14
.LBB471_33:
	v_lshlrev_b32_e32 v13, 3, v21
	v_readfirstlane_b32 s4, v17
	v_readfirstlane_b32 s5, v18
	global_load_b64 v[13:14], v13, s[4:5]
	s_or_b32 exec_lo, exec_lo, s0
	s_delay_alu instid0(SALU_CYCLE_1)
	s_mov_b32 s0, exec_lo
	v_cmpx_gt_u32_e64 s12, v20
	s_cbranch_execnz .LBB471_15
	s_branch .LBB471_16
.LBB471_34:
                                        ; implicit-def: $sgpr0
                                        ; implicit-def: $vgpr20
	s_cbranch_execnz .LBB471_103
	s_branch .LBB471_194
.LBB471_35:
	s_set_inst_prefetch_distance 0x2
	s_or_b32 exec_lo, exec_lo, s27
	v_cmp_gt_i64_e32 vcc_lo, s[14:15], v[25:26]
	s_or_not1_b32 s27, vcc_lo, exec_lo
.LBB471_36:
	s_or_b32 exec_lo, exec_lo, s28
.LBB471_37:
	v_mul_lo_u32 v23, v8, s14
	v_mul_lo_u32 v24, v7, s15
	v_mad_u64_u32 v[21:22], null, v7, s14, 0
	s_and_not1_b32 vcc_lo, exec_lo, s26
	s_delay_alu instid0(VALU_DEP_1) | instskip(NEXT) | instid1(VALU_DEP_1)
	v_add3_u32 v22, v22, v24, v23
	v_lshlrev_b64 v[21:22], 2, v[21:22]
	s_cbranch_vccnz .LBB471_46
; %bb.38:
	s_delay_alu instid0(VALU_DEP_1) | instskip(NEXT) | instid1(VALU_DEP_2)
	v_add_co_u32 v23, vcc_lo, s16, v21
	v_add_co_ci_u32_e32 v24, vcc_lo, s17, v22, vcc_lo
	v_add_co_u32 v19, vcc_lo, s16, v19
	v_add_co_ci_u32_e32 v20, vcc_lo, s17, v20, vcc_lo
	s_mov_b32 s25, -1
	s_clause 0x1
	global_load_b32 v25, v[23:24], off
	global_load_b32 v26, v[19:20], off
	s_mov_b32 s28, exec_lo
	s_waitcnt vmcnt(0)
	v_cmpx_eq_u32_e64 v25, v26
	s_cbranch_execz .LBB471_45
; %bb.39:
	v_add_co_u32 v19, vcc_lo, v19, 4
	v_add_co_ci_u32_e32 v20, vcc_lo, 0, v20, vcc_lo
	v_add_co_u32 v23, vcc_lo, v23, 4
	v_add_co_ci_u32_e32 v24, vcc_lo, 0, v24, vcc_lo
	s_add_u32 s4, s14, -1
	s_addc_u32 s5, s15, -1
	s_mov_b64 s[6:7], 0
	s_mov_b32 s25, 0
                                        ; implicit-def: $sgpr29
	s_set_inst_prefetch_distance 0x1
	s_branch .LBB471_42
	.p2align	6
.LBB471_40:                             ;   in Loop: Header=BB471_42 Depth=1
	global_load_b32 v25, v[23:24], off
	global_load_b32 v26, v[19:20], off
	v_add_co_u32 v19, vcc_lo, v19, 4
	v_add_co_ci_u32_e32 v20, vcc_lo, 0, v20, vcc_lo
	v_add_co_u32 v23, s0, v23, 4
	s_delay_alu instid0(VALU_DEP_1)
	v_add_co_ci_u32_e64 v24, s0, 0, v24, s0
	s_add_u32 s6, s6, 1
	s_addc_u32 s7, s7, 0
	s_and_not1_b32 s0, s29, exec_lo
	s_waitcnt vmcnt(0)
	v_cmp_ne_u32_e32 vcc_lo, v25, v26
	s_and_b32 s29, vcc_lo, exec_lo
	s_delay_alu instid0(SALU_CYCLE_1)
	s_or_b32 s29, s0, s29
.LBB471_41:                             ;   in Loop: Header=BB471_42 Depth=1
	v_dual_mov_b32 v26, s7 :: v_dual_mov_b32 v25, s6
	s_and_b32 s0, exec_lo, s29
	s_delay_alu instid0(SALU_CYCLE_1) | instskip(NEXT) | instid1(SALU_CYCLE_1)
	s_or_b32 s25, s0, s25
	s_and_not1_b32 exec_lo, exec_lo, s25
	s_cbranch_execz .LBB471_44
.LBB471_42:                             ; =>This Inner Loop Header: Depth=1
	s_or_b32 s29, s29, exec_lo
	s_cmp_eq_u64 s[4:5], s[6:7]
	s_cbranch_scc0 .LBB471_40
; %bb.43:                               ;   in Loop: Header=BB471_42 Depth=1
	s_mov_b64 s[6:7], s[14:15]
                                        ; implicit-def: $vgpr19_vgpr20
                                        ; implicit-def: $vgpr23_vgpr24
	s_branch .LBB471_41
.LBB471_44:
	s_set_inst_prefetch_distance 0x2
	s_or_b32 exec_lo, exec_lo, s25
	v_cmp_gt_i64_e32 vcc_lo, s[14:15], v[25:26]
	s_or_not1_b32 s25, vcc_lo, exec_lo
.LBB471_45:
	s_or_b32 exec_lo, exec_lo, s28
.LBB471_46:
	v_mul_lo_u32 v23, v6, s14
	v_mul_lo_u32 v24, v5, s15
	v_mad_u64_u32 v[19:20], null, v5, s14, 0
	s_mov_b32 s28, 0
	s_and_not1_b32 vcc_lo, exec_lo, s26
	s_mov_b32 s29, 0
	s_delay_alu instid0(VALU_DEP_1) | instskip(NEXT) | instid1(VALU_DEP_1)
	v_add3_u32 v20, v20, v24, v23
	v_lshlrev_b64 v[23:24], 2, v[19:20]
	s_cbranch_vccnz .LBB471_55
; %bb.47:
	s_delay_alu instid0(VALU_DEP_1) | instskip(NEXT) | instid1(VALU_DEP_2)
	v_add_co_u32 v25, vcc_lo, s16, v23
	v_add_co_ci_u32_e32 v26, vcc_lo, s17, v24, vcc_lo
	v_add_co_u32 v19, vcc_lo, s16, v21
	v_add_co_ci_u32_e32 v20, vcc_lo, s17, v22, vcc_lo
	s_mov_b32 s29, -1
	s_clause 0x1
	global_load_b32 v21, v[25:26], off
	global_load_b32 v22, v[19:20], off
	s_mov_b32 s30, exec_lo
	s_waitcnt vmcnt(0)
	v_cmpx_eq_u32_e64 v21, v22
	s_cbranch_execz .LBB471_54
; %bb.48:
	v_add_co_u32 v19, vcc_lo, v19, 4
	v_add_co_ci_u32_e32 v20, vcc_lo, 0, v20, vcc_lo
	v_add_co_u32 v21, vcc_lo, v25, 4
	v_add_co_ci_u32_e32 v22, vcc_lo, 0, v26, vcc_lo
	s_add_u32 s4, s14, -1
	s_addc_u32 s5, s15, -1
	s_mov_b64 s[6:7], 0
	s_mov_b32 s29, 0
                                        ; implicit-def: $sgpr31
	s_set_inst_prefetch_distance 0x1
	s_branch .LBB471_51
	.p2align	6
.LBB471_49:                             ;   in Loop: Header=BB471_51 Depth=1
	global_load_b32 v25, v[21:22], off
	global_load_b32 v26, v[19:20], off
	v_add_co_u32 v19, vcc_lo, v19, 4
	v_add_co_ci_u32_e32 v20, vcc_lo, 0, v20, vcc_lo
	v_add_co_u32 v21, s0, v21, 4
	s_delay_alu instid0(VALU_DEP_1)
	v_add_co_ci_u32_e64 v22, s0, 0, v22, s0
	s_add_u32 s6, s6, 1
	s_addc_u32 s7, s7, 0
	s_and_not1_b32 s0, s31, exec_lo
	s_waitcnt vmcnt(0)
	v_cmp_ne_u32_e32 vcc_lo, v25, v26
	s_and_b32 s31, vcc_lo, exec_lo
	s_delay_alu instid0(SALU_CYCLE_1)
	s_or_b32 s31, s0, s31
.LBB471_50:                             ;   in Loop: Header=BB471_51 Depth=1
	v_dual_mov_b32 v26, s7 :: v_dual_mov_b32 v25, s6
	s_and_b32 s0, exec_lo, s31
	s_delay_alu instid0(SALU_CYCLE_1) | instskip(NEXT) | instid1(SALU_CYCLE_1)
	s_or_b32 s29, s0, s29
	s_and_not1_b32 exec_lo, exec_lo, s29
	s_cbranch_execz .LBB471_53
.LBB471_51:                             ; =>This Inner Loop Header: Depth=1
	s_or_b32 s31, s31, exec_lo
	s_cmp_eq_u64 s[4:5], s[6:7]
	s_cbranch_scc0 .LBB471_49
; %bb.52:                               ;   in Loop: Header=BB471_51 Depth=1
	s_mov_b64 s[6:7], s[14:15]
                                        ; implicit-def: $vgpr19_vgpr20
                                        ; implicit-def: $vgpr21_vgpr22
	s_branch .LBB471_50
.LBB471_53:
	s_set_inst_prefetch_distance 0x2
	s_or_b32 exec_lo, exec_lo, s29
	v_cmp_gt_i64_e32 vcc_lo, s[14:15], v[25:26]
	s_or_not1_b32 s29, vcc_lo, exec_lo
.LBB471_54:
	s_or_b32 exec_lo, exec_lo, s30
.LBB471_55:
	v_mul_lo_u32 v21, v12, s14
	v_mul_lo_u32 v22, v11, s15
	v_mad_u64_u32 v[19:20], null, v11, s14, 0
	s_and_not1_b32 vcc_lo, exec_lo, s26
	s_delay_alu instid0(VALU_DEP_1) | instskip(NEXT) | instid1(VALU_DEP_1)
	v_add3_u32 v20, v20, v22, v21
	v_lshlrev_b64 v[19:20], 2, v[19:20]
	s_cbranch_vccnz .LBB471_64
; %bb.56:
	s_delay_alu instid0(VALU_DEP_1) | instskip(NEXT) | instid1(VALU_DEP_2)
	v_add_co_u32 v25, vcc_lo, s16, v19
	v_add_co_ci_u32_e32 v26, vcc_lo, s17, v20, vcc_lo
	v_add_co_u32 v21, vcc_lo, s16, v23
	v_add_co_ci_u32_e32 v22, vcc_lo, s17, v24, vcc_lo
	s_mov_b32 s28, -1
	s_clause 0x1
	global_load_b32 v23, v[25:26], off
	global_load_b32 v24, v[21:22], off
	s_mov_b32 s30, exec_lo
	s_waitcnt vmcnt(0)
	v_cmpx_eq_u32_e64 v23, v24
	s_cbranch_execz .LBB471_63
; %bb.57:
	v_add_co_u32 v21, vcc_lo, v21, 4
	v_add_co_ci_u32_e32 v22, vcc_lo, 0, v22, vcc_lo
	v_add_co_u32 v23, vcc_lo, v25, 4
	v_add_co_ci_u32_e32 v24, vcc_lo, 0, v26, vcc_lo
	s_add_u32 s4, s14, -1
	s_addc_u32 s5, s15, -1
	s_mov_b64 s[6:7], 0
	s_mov_b32 s28, 0
                                        ; implicit-def: $sgpr31
	s_set_inst_prefetch_distance 0x1
	s_branch .LBB471_60
	.p2align	6
.LBB471_58:                             ;   in Loop: Header=BB471_60 Depth=1
	global_load_b32 v25, v[23:24], off
	global_load_b32 v26, v[21:22], off
	v_add_co_u32 v21, vcc_lo, v21, 4
	v_add_co_ci_u32_e32 v22, vcc_lo, 0, v22, vcc_lo
	v_add_co_u32 v23, s0, v23, 4
	s_delay_alu instid0(VALU_DEP_1)
	v_add_co_ci_u32_e64 v24, s0, 0, v24, s0
	s_add_u32 s6, s6, 1
	s_addc_u32 s7, s7, 0
	s_and_not1_b32 s0, s31, exec_lo
	s_waitcnt vmcnt(0)
	v_cmp_ne_u32_e32 vcc_lo, v25, v26
	s_and_b32 s31, vcc_lo, exec_lo
	s_delay_alu instid0(SALU_CYCLE_1)
	s_or_b32 s31, s0, s31
.LBB471_59:                             ;   in Loop: Header=BB471_60 Depth=1
	v_dual_mov_b32 v26, s7 :: v_dual_mov_b32 v25, s6
	s_and_b32 s0, exec_lo, s31
	s_delay_alu instid0(SALU_CYCLE_1) | instskip(NEXT) | instid1(SALU_CYCLE_1)
	s_or_b32 s28, s0, s28
	s_and_not1_b32 exec_lo, exec_lo, s28
	s_cbranch_execz .LBB471_62
.LBB471_60:                             ; =>This Inner Loop Header: Depth=1
	s_or_b32 s31, s31, exec_lo
	s_cmp_eq_u64 s[4:5], s[6:7]
	s_cbranch_scc0 .LBB471_58
; %bb.61:                               ;   in Loop: Header=BB471_60 Depth=1
	s_mov_b64 s[6:7], s[14:15]
                                        ; implicit-def: $vgpr21_vgpr22
                                        ; implicit-def: $vgpr23_vgpr24
	s_branch .LBB471_59
.LBB471_62:
	s_set_inst_prefetch_distance 0x2
	s_or_b32 exec_lo, exec_lo, s28
	v_cmp_gt_i64_e32 vcc_lo, s[14:15], v[25:26]
	s_or_not1_b32 s28, vcc_lo, exec_lo
.LBB471_63:
	s_or_b32 exec_lo, exec_lo, s30
.LBB471_64:
	v_mul_lo_u32 v23, v10, s14
	v_mul_lo_u32 v24, v9, s15
	v_mad_u64_u32 v[21:22], null, v9, s14, 0
	s_mov_b32 s30, 0
	s_and_not1_b32 vcc_lo, exec_lo, s26
	s_mov_b32 s31, 0
	s_delay_alu instid0(VALU_DEP_1) | instskip(NEXT) | instid1(VALU_DEP_1)
	v_add3_u32 v22, v22, v24, v23
	v_lshlrev_b64 v[23:24], 2, v[21:22]
	s_cbranch_vccnz .LBB471_73
; %bb.65:
	s_delay_alu instid0(VALU_DEP_1) | instskip(NEXT) | instid1(VALU_DEP_2)
	v_add_co_u32 v21, vcc_lo, s16, v23
	v_add_co_ci_u32_e32 v22, vcc_lo, s17, v24, vcc_lo
	v_add_co_u32 v19, vcc_lo, s16, v19
	v_add_co_ci_u32_e32 v20, vcc_lo, s17, v20, vcc_lo
	s_mov_b32 s31, -1
	s_clause 0x1
	global_load_b32 v25, v[21:22], off
	global_load_b32 v26, v[19:20], off
	s_mov_b32 s33, exec_lo
	s_waitcnt vmcnt(0)
	v_cmpx_eq_u32_e64 v25, v26
	s_cbranch_execz .LBB471_72
; %bb.66:
	v_add_co_u32 v19, vcc_lo, v19, 4
	v_add_co_ci_u32_e32 v20, vcc_lo, 0, v20, vcc_lo
	v_add_co_u32 v21, vcc_lo, v21, 4
	v_add_co_ci_u32_e32 v22, vcc_lo, 0, v22, vcc_lo
	s_add_u32 s4, s14, -1
	s_addc_u32 s5, s15, -1
	s_mov_b64 s[6:7], 0
	s_mov_b32 s31, 0
                                        ; implicit-def: $sgpr34
	s_set_inst_prefetch_distance 0x1
	s_branch .LBB471_69
	.p2align	6
.LBB471_67:                             ;   in Loop: Header=BB471_69 Depth=1
	global_load_b32 v25, v[21:22], off
	global_load_b32 v26, v[19:20], off
	v_add_co_u32 v19, vcc_lo, v19, 4
	v_add_co_ci_u32_e32 v20, vcc_lo, 0, v20, vcc_lo
	v_add_co_u32 v21, s0, v21, 4
	s_delay_alu instid0(VALU_DEP_1)
	v_add_co_ci_u32_e64 v22, s0, 0, v22, s0
	s_add_u32 s6, s6, 1
	s_addc_u32 s7, s7, 0
	s_and_not1_b32 s0, s34, exec_lo
	s_waitcnt vmcnt(0)
	v_cmp_ne_u32_e32 vcc_lo, v25, v26
	s_and_b32 s34, vcc_lo, exec_lo
	s_delay_alu instid0(SALU_CYCLE_1)
	s_or_b32 s34, s0, s34
.LBB471_68:                             ;   in Loop: Header=BB471_69 Depth=1
	v_dual_mov_b32 v26, s7 :: v_dual_mov_b32 v25, s6
	s_and_b32 s0, exec_lo, s34
	s_delay_alu instid0(SALU_CYCLE_1) | instskip(NEXT) | instid1(SALU_CYCLE_1)
	s_or_b32 s31, s0, s31
	s_and_not1_b32 exec_lo, exec_lo, s31
	s_cbranch_execz .LBB471_71
.LBB471_69:                             ; =>This Inner Loop Header: Depth=1
	s_or_b32 s34, s34, exec_lo
	s_cmp_eq_u64 s[4:5], s[6:7]
	s_cbranch_scc0 .LBB471_67
; %bb.70:                               ;   in Loop: Header=BB471_69 Depth=1
	s_mov_b64 s[6:7], s[14:15]
                                        ; implicit-def: $vgpr19_vgpr20
                                        ; implicit-def: $vgpr21_vgpr22
	s_branch .LBB471_68
.LBB471_71:
	s_set_inst_prefetch_distance 0x2
	s_or_b32 exec_lo, exec_lo, s31
	v_cmp_gt_i64_e32 vcc_lo, s[14:15], v[25:26]
	s_or_not1_b32 s31, vcc_lo, exec_lo
.LBB471_72:
	s_or_b32 exec_lo, exec_lo, s33
.LBB471_73:
	v_mul_lo_u32 v21, v16, s14
	v_mul_lo_u32 v22, v15, s15
	v_mad_u64_u32 v[19:20], null, v15, s14, 0
	s_and_not1_b32 vcc_lo, exec_lo, s26
	s_delay_alu instid0(VALU_DEP_1) | instskip(NEXT) | instid1(VALU_DEP_1)
	v_add3_u32 v20, v20, v22, v21
	v_lshlrev_b64 v[21:22], 2, v[19:20]
	s_cbranch_vccnz .LBB471_82
; %bb.74:
	s_delay_alu instid0(VALU_DEP_1) | instskip(NEXT) | instid1(VALU_DEP_2)
	v_add_co_u32 v25, vcc_lo, s16, v21
	v_add_co_ci_u32_e32 v26, vcc_lo, s17, v22, vcc_lo
	v_add_co_u32 v19, vcc_lo, s16, v23
	v_add_co_ci_u32_e32 v20, vcc_lo, s17, v24, vcc_lo
	s_mov_b32 s30, -1
	s_clause 0x1
	global_load_b32 v23, v[25:26], off
	global_load_b32 v24, v[19:20], off
	s_mov_b32 s33, exec_lo
	s_waitcnt vmcnt(0)
	v_cmpx_eq_u32_e64 v23, v24
	s_cbranch_execz .LBB471_81
; %bb.75:
	v_add_co_u32 v19, vcc_lo, v19, 4
	v_add_co_ci_u32_e32 v20, vcc_lo, 0, v20, vcc_lo
	v_add_co_u32 v23, vcc_lo, v25, 4
	v_add_co_ci_u32_e32 v24, vcc_lo, 0, v26, vcc_lo
	s_add_u32 s4, s14, -1
	s_addc_u32 s5, s15, -1
	s_mov_b64 s[6:7], 0
	s_mov_b32 s30, 0
                                        ; implicit-def: $sgpr34
	s_set_inst_prefetch_distance 0x1
	s_branch .LBB471_78
	.p2align	6
.LBB471_76:                             ;   in Loop: Header=BB471_78 Depth=1
	global_load_b32 v25, v[23:24], off
	global_load_b32 v26, v[19:20], off
	v_add_co_u32 v19, vcc_lo, v19, 4
	v_add_co_ci_u32_e32 v20, vcc_lo, 0, v20, vcc_lo
	v_add_co_u32 v23, s0, v23, 4
	s_delay_alu instid0(VALU_DEP_1)
	v_add_co_ci_u32_e64 v24, s0, 0, v24, s0
	s_add_u32 s6, s6, 1
	s_addc_u32 s7, s7, 0
	s_and_not1_b32 s0, s34, exec_lo
	s_waitcnt vmcnt(0)
	v_cmp_ne_u32_e32 vcc_lo, v25, v26
	s_and_b32 s34, vcc_lo, exec_lo
	s_delay_alu instid0(SALU_CYCLE_1)
	s_or_b32 s34, s0, s34
.LBB471_77:                             ;   in Loop: Header=BB471_78 Depth=1
	v_dual_mov_b32 v26, s7 :: v_dual_mov_b32 v25, s6
	s_and_b32 s0, exec_lo, s34
	s_delay_alu instid0(SALU_CYCLE_1) | instskip(NEXT) | instid1(SALU_CYCLE_1)
	s_or_b32 s30, s0, s30
	s_and_not1_b32 exec_lo, exec_lo, s30
	s_cbranch_execz .LBB471_80
.LBB471_78:                             ; =>This Inner Loop Header: Depth=1
	s_or_b32 s34, s34, exec_lo
	s_cmp_eq_u64 s[4:5], s[6:7]
	s_cbranch_scc0 .LBB471_76
; %bb.79:                               ;   in Loop: Header=BB471_78 Depth=1
	s_mov_b64 s[6:7], s[14:15]
                                        ; implicit-def: $vgpr19_vgpr20
                                        ; implicit-def: $vgpr23_vgpr24
	s_branch .LBB471_77
.LBB471_80:
	s_set_inst_prefetch_distance 0x2
	s_or_b32 exec_lo, exec_lo, s30
	v_cmp_gt_i64_e32 vcc_lo, s[14:15], v[25:26]
	s_or_not1_b32 s30, vcc_lo, exec_lo
.LBB471_81:
	s_or_b32 exec_lo, exec_lo, s33
.LBB471_82:
	v_mul_lo_u32 v23, v14, s14
	v_mul_lo_u32 v24, v13, s15
	v_mad_u64_u32 v[19:20], null, v13, s14, 0
	s_and_not1_b32 vcc_lo, exec_lo, s26
	s_mov_b32 s0, 0
	s_delay_alu instid0(VALU_DEP_1) | instskip(NEXT) | instid1(VALU_DEP_1)
	v_add3_u32 v20, v20, v24, v23
	v_lshlrev_b64 v[19:20], 2, v[19:20]
	s_cbranch_vccnz .LBB471_91
; %bb.83:
	s_delay_alu instid0(VALU_DEP_1) | instskip(NEXT) | instid1(VALU_DEP_2)
	v_add_co_u32 v23, vcc_lo, s16, v19
	v_add_co_ci_u32_e32 v24, vcc_lo, s17, v20, vcc_lo
	v_add_co_u32 v21, vcc_lo, s16, v21
	v_add_co_ci_u32_e32 v22, vcc_lo, s17, v22, vcc_lo
	s_mov_b32 s0, -1
	s_clause 0x1
	global_load_b32 v25, v[23:24], off
	global_load_b32 v26, v[21:22], off
	s_mov_b32 s33, exec_lo
	s_waitcnt vmcnt(0)
	v_cmpx_eq_u32_e64 v25, v26
	s_cbranch_execz .LBB471_90
; %bb.84:
	v_add_co_u32 v21, vcc_lo, v21, 4
	v_add_co_ci_u32_e32 v22, vcc_lo, 0, v22, vcc_lo
	v_add_co_u32 v23, vcc_lo, v23, 4
	v_add_co_ci_u32_e32 v24, vcc_lo, 0, v24, vcc_lo
	s_add_u32 s4, s14, -1
	s_addc_u32 s5, s15, -1
	s_mov_b64 s[6:7], 0
	s_mov_b32 s34, 0
                                        ; implicit-def: $sgpr35
	s_set_inst_prefetch_distance 0x1
	s_branch .LBB471_87
	.p2align	6
.LBB471_85:                             ;   in Loop: Header=BB471_87 Depth=1
	global_load_b32 v25, v[23:24], off
	global_load_b32 v26, v[21:22], off
	v_add_co_u32 v21, vcc_lo, v21, 4
	v_add_co_ci_u32_e32 v22, vcc_lo, 0, v22, vcc_lo
	v_add_co_u32 v23, s0, v23, 4
	s_delay_alu instid0(VALU_DEP_1)
	v_add_co_ci_u32_e64 v24, s0, 0, v24, s0
	s_add_u32 s6, s6, 1
	s_addc_u32 s7, s7, 0
	s_and_not1_b32 s0, s35, exec_lo
	s_waitcnt vmcnt(0)
	v_cmp_ne_u32_e32 vcc_lo, v25, v26
	s_and_b32 s35, vcc_lo, exec_lo
	s_delay_alu instid0(SALU_CYCLE_1)
	s_or_b32 s35, s0, s35
.LBB471_86:                             ;   in Loop: Header=BB471_87 Depth=1
	v_dual_mov_b32 v26, s7 :: v_dual_mov_b32 v25, s6
	s_and_b32 s0, exec_lo, s35
	s_delay_alu instid0(SALU_CYCLE_1) | instskip(NEXT) | instid1(SALU_CYCLE_1)
	s_or_b32 s34, s0, s34
	s_and_not1_b32 exec_lo, exec_lo, s34
	s_cbranch_execz .LBB471_89
.LBB471_87:                             ; =>This Inner Loop Header: Depth=1
	s_or_b32 s35, s35, exec_lo
	s_cmp_eq_u64 s[4:5], s[6:7]
	s_cbranch_scc0 .LBB471_85
; %bb.88:                               ;   in Loop: Header=BB471_87 Depth=1
	s_mov_b64 s[6:7], s[14:15]
                                        ; implicit-def: $vgpr21_vgpr22
                                        ; implicit-def: $vgpr23_vgpr24
	s_branch .LBB471_86
.LBB471_89:
	s_set_inst_prefetch_distance 0x2
	s_or_b32 exec_lo, exec_lo, s34
	v_cmp_gt_i64_e32 vcc_lo, s[14:15], v[25:26]
	s_or_not1_b32 s0, vcc_lo, exec_lo
.LBB471_90:
	s_or_b32 exec_lo, exec_lo, s33
.LBB471_91:
	s_waitcnt vmcnt(0)
	v_dual_mov_b32 v22, v18 :: v_dual_mov_b32 v21, v17
	s_waitcnt lgkmcnt(0)
	s_barrier
	buffer_gl0_inv
	s_and_saveexec_b32 s4, s3
	s_cbranch_execz .LBB471_93
; %bb.92:
	v_add_nc_u32_e32 v21, -8, v39
	ds_load_b64 v[21:22], v21
.LBB471_93:
	s_or_b32 exec_lo, exec_lo, s4
	v_cndmask_b32_e64 v24, 0, 1, s31
	v_cndmask_b32_e64 v26, 0, 1, s29
	;; [unrolled: 1-line block ×7, first 2 shown]
	v_lshlrev_b16 v24, 8, v24
	v_lshlrev_b16 v26, 8, v26
	;; [unrolled: 1-line block ×4, first 2 shown]
	s_mov_b32 s25, 0
	v_or_b32_e32 v23, v23, v24
	v_or_b32_e32 v24, v25, v26
	;; [unrolled: 1-line block ×3, first 2 shown]
	v_and_b32_e32 v25, 0xffff, v29
	s_and_not1_b32 vcc_lo, exec_lo, s26
	v_lshlrev_b32_e32 v26, 16, v23
	v_and_b32_e32 v28, 0xffff, v24
	v_lshlrev_b32_e32 v29, 16, v30
	s_mov_b32 s0, 0
	s_cbranch_vccnz .LBB471_102
; %bb.94:
	s_waitcnt lgkmcnt(0)
	v_mul_lo_u32 v24, v22, s14
	v_mul_lo_u32 v30, v21, s15
	v_mad_u64_u32 v[22:23], null, v21, s14, 0
	s_mov_b32 s0, -1
	s_mov_b32 s27, exec_lo
	s_delay_alu instid0(VALU_DEP_1) | instskip(NEXT) | instid1(VALU_DEP_1)
	v_add3_u32 v23, v23, v30, v24
	v_lshlrev_b64 v[21:22], 2, v[22:23]
	s_delay_alu instid0(VALU_DEP_1) | instskip(NEXT) | instid1(VALU_DEP_2)
	v_add_co_u32 v21, vcc_lo, s16, v21
	v_add_co_ci_u32_e32 v22, vcc_lo, s17, v22, vcc_lo
	v_add_co_u32 v19, vcc_lo, s16, v19
	v_add_co_ci_u32_e32 v20, vcc_lo, s17, v20, vcc_lo
	s_clause 0x1
	global_load_b32 v23, v[21:22], off
	global_load_b32 v24, v[19:20], off
	s_waitcnt vmcnt(0)
	v_cmpx_eq_u32_e64 v23, v24
	s_cbranch_execz .LBB471_101
; %bb.95:
	v_add_co_u32 v19, vcc_lo, v19, 4
	v_add_co_ci_u32_e32 v20, vcc_lo, 0, v20, vcc_lo
	v_add_co_u32 v21, vcc_lo, v21, 4
	v_add_co_ci_u32_e32 v22, vcc_lo, 0, v22, vcc_lo
	s_add_u32 s4, s14, -1
	s_addc_u32 s5, s15, -1
	s_mov_b64 s[6:7], 0
	s_mov_b32 s28, 0
                                        ; implicit-def: $sgpr29
	s_set_inst_prefetch_distance 0x1
	s_branch .LBB471_98
	.p2align	6
.LBB471_96:                             ;   in Loop: Header=BB471_98 Depth=1
	global_load_b32 v23, v[21:22], off
	global_load_b32 v24, v[19:20], off
	v_add_co_u32 v19, vcc_lo, v19, 4
	v_add_co_ci_u32_e32 v20, vcc_lo, 0, v20, vcc_lo
	v_add_co_u32 v21, s0, v21, 4
	s_delay_alu instid0(VALU_DEP_1)
	v_add_co_ci_u32_e64 v22, s0, 0, v22, s0
	s_add_u32 s6, s6, 1
	s_addc_u32 s7, s7, 0
	s_and_not1_b32 s0, s29, exec_lo
	s_waitcnt vmcnt(0)
	v_cmp_ne_u32_e32 vcc_lo, v23, v24
	s_and_b32 s29, vcc_lo, exec_lo
	s_delay_alu instid0(SALU_CYCLE_1)
	s_or_b32 s29, s0, s29
.LBB471_97:                             ;   in Loop: Header=BB471_98 Depth=1
	v_dual_mov_b32 v24, s7 :: v_dual_mov_b32 v23, s6
	s_and_b32 s0, exec_lo, s29
	s_delay_alu instid0(SALU_CYCLE_1) | instskip(NEXT) | instid1(SALU_CYCLE_1)
	s_or_b32 s28, s0, s28
	s_and_not1_b32 exec_lo, exec_lo, s28
	s_cbranch_execz .LBB471_100
.LBB471_98:                             ; =>This Inner Loop Header: Depth=1
	s_or_b32 s29, s29, exec_lo
	s_cmp_eq_u64 s[4:5], s[6:7]
	s_cbranch_scc0 .LBB471_96
; %bb.99:                               ;   in Loop: Header=BB471_98 Depth=1
	s_mov_b64 s[6:7], s[14:15]
                                        ; implicit-def: $vgpr19_vgpr20
                                        ; implicit-def: $vgpr21_vgpr22
	s_branch .LBB471_97
.LBB471_100:
	s_set_inst_prefetch_distance 0x2
	s_or_b32 exec_lo, exec_lo, s28
	v_cmp_gt_i64_e32 vcc_lo, s[14:15], v[23:24]
	s_or_not1_b32 s0, vcc_lo, exec_lo
.LBB471_101:
	s_or_b32 exec_lo, exec_lo, s27
.LBB471_102:
	v_or_b32_e32 v19, v25, v26
	s_delay_alu instid0(VALU_DEP_2)
	v_or_b32_e32 v20, v28, v29
	s_and_b32 vcc_lo, exec_lo, s25
	s_cbranch_vccz .LBB471_194
.LBB471_103:
	v_or_b32_e32 v19, 7, v39
	s_mov_b32 s25, 0
	s_mov_b32 s27, 0
	s_mov_b32 s28, exec_lo
	s_delay_alu instid0(VALU_DEP_1)
	v_cmpx_gt_u32_e64 s12, v19
	s_cbranch_execz .LBB471_114
; %bb.104:
	s_and_not1_b32 vcc_lo, exec_lo, s26
	s_mov_b32 s0, 0
	s_cbranch_vccnz .LBB471_113
; %bb.105:
	v_mul_lo_u32 v23, v2, s14
	v_mul_lo_u32 v24, v1, s15
	v_mad_u64_u32 v[19:20], null, v1, s14, 0
	v_mul_lo_u32 v25, v4, s14
	v_mul_lo_u32 v26, v3, s15
	s_waitcnt lgkmcnt(0)
	v_mad_u64_u32 v[21:22], null, v3, s14, 0
	s_mov_b32 s0, -1
	s_mov_b32 s26, exec_lo
	s_delay_alu instid0(VALU_DEP_4) | instskip(NEXT) | instid1(VALU_DEP_2)
	v_add3_u32 v20, v20, v24, v23
	v_add3_u32 v22, v22, v26, v25
	s_delay_alu instid0(VALU_DEP_2) | instskip(NEXT) | instid1(VALU_DEP_2)
	v_lshlrev_b64 v[19:20], 2, v[19:20]
	v_lshlrev_b64 v[23:24], 2, v[21:22]
	s_delay_alu instid0(VALU_DEP_2) | instskip(NEXT) | instid1(VALU_DEP_3)
	v_add_co_u32 v21, vcc_lo, s16, v19
	v_add_co_ci_u32_e32 v22, vcc_lo, s17, v20, vcc_lo
	s_delay_alu instid0(VALU_DEP_3) | instskip(NEXT) | instid1(VALU_DEP_4)
	v_add_co_u32 v19, vcc_lo, s16, v23
	v_add_co_ci_u32_e32 v20, vcc_lo, s17, v24, vcc_lo
	s_clause 0x1
	global_load_b32 v23, v[21:22], off
	global_load_b32 v24, v[19:20], off
	s_waitcnt vmcnt(0)
	v_cmpx_eq_u32_e64 v23, v24
	s_cbranch_execz .LBB471_112
; %bb.106:
	v_add_co_u32 v19, vcc_lo, v19, 4
	v_add_co_ci_u32_e32 v20, vcc_lo, 0, v20, vcc_lo
	v_add_co_u32 v21, vcc_lo, v21, 4
	v_add_co_ci_u32_e32 v22, vcc_lo, 0, v22, vcc_lo
	s_add_u32 s4, s14, -1
	s_addc_u32 s5, s15, -1
	s_mov_b64 s[6:7], 0
                                        ; implicit-def: $sgpr29
	s_set_inst_prefetch_distance 0x1
	s_branch .LBB471_109
	.p2align	6
.LBB471_107:                            ;   in Loop: Header=BB471_109 Depth=1
	global_load_b32 v23, v[21:22], off
	global_load_b32 v24, v[19:20], off
	v_add_co_u32 v19, vcc_lo, v19, 4
	v_add_co_ci_u32_e32 v20, vcc_lo, 0, v20, vcc_lo
	v_add_co_u32 v21, s0, v21, 4
	s_delay_alu instid0(VALU_DEP_1)
	v_add_co_ci_u32_e64 v22, s0, 0, v22, s0
	s_add_u32 s6, s6, 1
	s_addc_u32 s7, s7, 0
	s_and_not1_b32 s0, s29, exec_lo
	s_waitcnt vmcnt(0)
	v_cmp_ne_u32_e32 vcc_lo, v23, v24
	s_and_b32 s29, vcc_lo, exec_lo
	s_delay_alu instid0(SALU_CYCLE_1)
	s_or_b32 s29, s0, s29
.LBB471_108:                            ;   in Loop: Header=BB471_109 Depth=1
	v_dual_mov_b32 v24, s7 :: v_dual_mov_b32 v23, s6
	s_and_b32 s0, exec_lo, s29
	s_delay_alu instid0(SALU_CYCLE_1) | instskip(NEXT) | instid1(SALU_CYCLE_1)
	s_or_b32 s27, s0, s27
	s_and_not1_b32 exec_lo, exec_lo, s27
	s_cbranch_execz .LBB471_111
.LBB471_109:                            ; =>This Inner Loop Header: Depth=1
	s_or_b32 s29, s29, exec_lo
	s_cmp_eq_u64 s[4:5], s[6:7]
	s_cbranch_scc0 .LBB471_107
; %bb.110:                              ;   in Loop: Header=BB471_109 Depth=1
	s_mov_b64 s[6:7], s[14:15]
                                        ; implicit-def: $vgpr19_vgpr20
                                        ; implicit-def: $vgpr21_vgpr22
	s_branch .LBB471_108
.LBB471_111:
	s_set_inst_prefetch_distance 0x2
	s_or_b32 exec_lo, exec_lo, s27
	v_cmp_gt_i64_e32 vcc_lo, s[14:15], v[23:24]
	s_or_not1_b32 s0, vcc_lo, exec_lo
.LBB471_112:
	s_or_b32 exec_lo, exec_lo, s26
.LBB471_113:
	s_delay_alu instid0(SALU_CYCLE_1)
	s_and_b32 s27, s0, exec_lo
.LBB471_114:
	s_or_b32 exec_lo, exec_lo, s28
	v_or_b32_e32 v19, 6, v39
	s_mov_b32 s26, exec_lo
	s_delay_alu instid0(VALU_DEP_1)
	v_cmpx_gt_u32_e64 s12, v19
	s_cbranch_execz .LBB471_125
; %bb.115:
	v_cmp_ne_u32_e32 vcc_lo, 1, v27
	s_mov_b32 s0, 0
	s_cbranch_vccnz .LBB471_124
; %bb.116:
	v_mul_lo_u32 v23, v8, s14
	v_mul_lo_u32 v24, v7, s15
	v_mad_u64_u32 v[19:20], null, v7, s14, 0
	v_mul_lo_u32 v25, v2, s14
	v_mul_lo_u32 v26, v1, s15
	s_waitcnt lgkmcnt(0)
	v_mad_u64_u32 v[21:22], null, v1, s14, 0
	s_mov_b32 s0, -1
	s_mov_b32 s25, exec_lo
	s_delay_alu instid0(VALU_DEP_4) | instskip(NEXT) | instid1(VALU_DEP_2)
	v_add3_u32 v20, v20, v24, v23
	v_add3_u32 v22, v22, v26, v25
	s_delay_alu instid0(VALU_DEP_2) | instskip(NEXT) | instid1(VALU_DEP_2)
	v_lshlrev_b64 v[19:20], 2, v[19:20]
	v_lshlrev_b64 v[23:24], 2, v[21:22]
	s_delay_alu instid0(VALU_DEP_2) | instskip(NEXT) | instid1(VALU_DEP_3)
	v_add_co_u32 v21, vcc_lo, s16, v19
	v_add_co_ci_u32_e32 v22, vcc_lo, s17, v20, vcc_lo
	s_delay_alu instid0(VALU_DEP_3) | instskip(NEXT) | instid1(VALU_DEP_4)
	v_add_co_u32 v19, vcc_lo, s16, v23
	v_add_co_ci_u32_e32 v20, vcc_lo, s17, v24, vcc_lo
	s_clause 0x1
	global_load_b32 v23, v[21:22], off
	global_load_b32 v24, v[19:20], off
	s_waitcnt vmcnt(0)
	v_cmpx_eq_u32_e64 v23, v24
	s_cbranch_execz .LBB471_123
; %bb.117:
	v_add_co_u32 v19, vcc_lo, v19, 4
	v_add_co_ci_u32_e32 v20, vcc_lo, 0, v20, vcc_lo
	v_add_co_u32 v21, vcc_lo, v21, 4
	v_add_co_ci_u32_e32 v22, vcc_lo, 0, v22, vcc_lo
	s_add_u32 s4, s14, -1
	s_addc_u32 s5, s15, -1
	s_mov_b64 s[6:7], 0
	s_mov_b32 s28, 0
                                        ; implicit-def: $sgpr29
	s_set_inst_prefetch_distance 0x1
	s_branch .LBB471_120
	.p2align	6
.LBB471_118:                            ;   in Loop: Header=BB471_120 Depth=1
	global_load_b32 v23, v[21:22], off
	global_load_b32 v24, v[19:20], off
	v_add_co_u32 v19, vcc_lo, v19, 4
	v_add_co_ci_u32_e32 v20, vcc_lo, 0, v20, vcc_lo
	v_add_co_u32 v21, s0, v21, 4
	s_delay_alu instid0(VALU_DEP_1)
	v_add_co_ci_u32_e64 v22, s0, 0, v22, s0
	s_add_u32 s6, s6, 1
	s_addc_u32 s7, s7, 0
	s_and_not1_b32 s0, s29, exec_lo
	s_waitcnt vmcnt(0)
	v_cmp_ne_u32_e32 vcc_lo, v23, v24
	s_and_b32 s29, vcc_lo, exec_lo
	s_delay_alu instid0(SALU_CYCLE_1)
	s_or_b32 s29, s0, s29
.LBB471_119:                            ;   in Loop: Header=BB471_120 Depth=1
	v_dual_mov_b32 v24, s7 :: v_dual_mov_b32 v23, s6
	s_and_b32 s0, exec_lo, s29
	s_delay_alu instid0(SALU_CYCLE_1) | instskip(NEXT) | instid1(SALU_CYCLE_1)
	s_or_b32 s28, s0, s28
	s_and_not1_b32 exec_lo, exec_lo, s28
	s_cbranch_execz .LBB471_122
.LBB471_120:                            ; =>This Inner Loop Header: Depth=1
	s_or_b32 s29, s29, exec_lo
	s_cmp_eq_u64 s[4:5], s[6:7]
	s_cbranch_scc0 .LBB471_118
; %bb.121:                              ;   in Loop: Header=BB471_120 Depth=1
	s_mov_b64 s[6:7], s[14:15]
                                        ; implicit-def: $vgpr19_vgpr20
                                        ; implicit-def: $vgpr21_vgpr22
	s_branch .LBB471_119
.LBB471_122:
	s_set_inst_prefetch_distance 0x2
	s_or_b32 exec_lo, exec_lo, s28
	v_cmp_gt_i64_e32 vcc_lo, s[14:15], v[23:24]
	s_or_not1_b32 s0, vcc_lo, exec_lo
.LBB471_123:
	s_or_b32 exec_lo, exec_lo, s25
.LBB471_124:
	s_delay_alu instid0(SALU_CYCLE_1)
	s_and_b32 s25, s0, exec_lo
.LBB471_125:
	s_or_b32 exec_lo, exec_lo, s26
	v_or_b32_e32 v19, 5, v39
	s_mov_b32 s28, 0
	s_mov_b32 s26, 0
	s_mov_b32 s29, exec_lo
	s_delay_alu instid0(VALU_DEP_1)
	v_cmpx_gt_u32_e64 s12, v19
	s_cbranch_execz .LBB471_136
; %bb.126:
	v_cmp_ne_u32_e32 vcc_lo, 1, v27
	s_mov_b32 s0, 0
	s_cbranch_vccnz .LBB471_135
; %bb.127:
	v_mul_lo_u32 v23, v6, s14
	v_mul_lo_u32 v24, v5, s15
	v_mad_u64_u32 v[19:20], null, v5, s14, 0
	v_mul_lo_u32 v25, v8, s14
	v_mul_lo_u32 v26, v7, s15
	s_waitcnt lgkmcnt(0)
	v_mad_u64_u32 v[21:22], null, v7, s14, 0
	s_mov_b32 s0, -1
	s_mov_b32 s26, exec_lo
	s_delay_alu instid0(VALU_DEP_4) | instskip(NEXT) | instid1(VALU_DEP_2)
	v_add3_u32 v20, v20, v24, v23
	v_add3_u32 v22, v22, v26, v25
	s_delay_alu instid0(VALU_DEP_2) | instskip(NEXT) | instid1(VALU_DEP_2)
	v_lshlrev_b64 v[19:20], 2, v[19:20]
	v_lshlrev_b64 v[23:24], 2, v[21:22]
	s_delay_alu instid0(VALU_DEP_2) | instskip(NEXT) | instid1(VALU_DEP_3)
	v_add_co_u32 v21, vcc_lo, s16, v19
	v_add_co_ci_u32_e32 v22, vcc_lo, s17, v20, vcc_lo
	s_delay_alu instid0(VALU_DEP_3) | instskip(NEXT) | instid1(VALU_DEP_4)
	v_add_co_u32 v19, vcc_lo, s16, v23
	v_add_co_ci_u32_e32 v20, vcc_lo, s17, v24, vcc_lo
	s_clause 0x1
	global_load_b32 v23, v[21:22], off
	global_load_b32 v24, v[19:20], off
	s_waitcnt vmcnt(0)
	v_cmpx_eq_u32_e64 v23, v24
	s_cbranch_execz .LBB471_134
; %bb.128:
	v_add_co_u32 v19, vcc_lo, v19, 4
	v_add_co_ci_u32_e32 v20, vcc_lo, 0, v20, vcc_lo
	v_add_co_u32 v21, vcc_lo, v21, 4
	v_add_co_ci_u32_e32 v22, vcc_lo, 0, v22, vcc_lo
	s_add_u32 s4, s14, -1
	s_addc_u32 s5, s15, -1
	s_mov_b64 s[6:7], 0
	s_mov_b32 s30, 0
                                        ; implicit-def: $sgpr31
	s_set_inst_prefetch_distance 0x1
	s_branch .LBB471_131
	.p2align	6
.LBB471_129:                            ;   in Loop: Header=BB471_131 Depth=1
	global_load_b32 v23, v[21:22], off
	global_load_b32 v24, v[19:20], off
	v_add_co_u32 v19, vcc_lo, v19, 4
	v_add_co_ci_u32_e32 v20, vcc_lo, 0, v20, vcc_lo
	v_add_co_u32 v21, s0, v21, 4
	s_delay_alu instid0(VALU_DEP_1)
	v_add_co_ci_u32_e64 v22, s0, 0, v22, s0
	s_add_u32 s6, s6, 1
	s_addc_u32 s7, s7, 0
	s_and_not1_b32 s0, s31, exec_lo
	s_waitcnt vmcnt(0)
	v_cmp_ne_u32_e32 vcc_lo, v23, v24
	s_and_b32 s31, vcc_lo, exec_lo
	s_delay_alu instid0(SALU_CYCLE_1)
	s_or_b32 s31, s0, s31
.LBB471_130:                            ;   in Loop: Header=BB471_131 Depth=1
	v_dual_mov_b32 v24, s7 :: v_dual_mov_b32 v23, s6
	s_and_b32 s0, exec_lo, s31
	s_delay_alu instid0(SALU_CYCLE_1) | instskip(NEXT) | instid1(SALU_CYCLE_1)
	s_or_b32 s30, s0, s30
	s_and_not1_b32 exec_lo, exec_lo, s30
	s_cbranch_execz .LBB471_133
.LBB471_131:                            ; =>This Inner Loop Header: Depth=1
	s_or_b32 s31, s31, exec_lo
	s_cmp_eq_u64 s[4:5], s[6:7]
	s_cbranch_scc0 .LBB471_129
; %bb.132:                              ;   in Loop: Header=BB471_131 Depth=1
	s_mov_b64 s[6:7], s[14:15]
                                        ; implicit-def: $vgpr19_vgpr20
                                        ; implicit-def: $vgpr21_vgpr22
	s_branch .LBB471_130
.LBB471_133:
	s_set_inst_prefetch_distance 0x2
	s_or_b32 exec_lo, exec_lo, s30
	v_cmp_gt_i64_e32 vcc_lo, s[14:15], v[23:24]
	s_or_not1_b32 s0, vcc_lo, exec_lo
.LBB471_134:
	s_or_b32 exec_lo, exec_lo, s26
.LBB471_135:
	s_delay_alu instid0(SALU_CYCLE_1)
	s_and_b32 s26, s0, exec_lo
.LBB471_136:
	s_or_b32 exec_lo, exec_lo, s29
	v_or_b32_e32 v19, 4, v39
	s_mov_b32 s29, exec_lo
	s_delay_alu instid0(VALU_DEP_1)
	v_cmpx_gt_u32_e64 s12, v19
	s_cbranch_execz .LBB471_147
; %bb.137:
	v_cmp_ne_u32_e32 vcc_lo, 1, v27
	s_mov_b32 s0, 0
	s_cbranch_vccnz .LBB471_146
; %bb.138:
	v_mul_lo_u32 v23, v12, s14
	v_mul_lo_u32 v24, v11, s15
	v_mad_u64_u32 v[19:20], null, v11, s14, 0
	v_mul_lo_u32 v25, v6, s14
	v_mul_lo_u32 v26, v5, s15
	s_waitcnt lgkmcnt(0)
	v_mad_u64_u32 v[21:22], null, v5, s14, 0
	s_mov_b32 s0, -1
	s_mov_b32 s28, exec_lo
	s_delay_alu instid0(VALU_DEP_4) | instskip(NEXT) | instid1(VALU_DEP_2)
	v_add3_u32 v20, v20, v24, v23
	v_add3_u32 v22, v22, v26, v25
	s_delay_alu instid0(VALU_DEP_2) | instskip(NEXT) | instid1(VALU_DEP_2)
	v_lshlrev_b64 v[19:20], 2, v[19:20]
	v_lshlrev_b64 v[23:24], 2, v[21:22]
	s_delay_alu instid0(VALU_DEP_2) | instskip(NEXT) | instid1(VALU_DEP_3)
	v_add_co_u32 v21, vcc_lo, s16, v19
	v_add_co_ci_u32_e32 v22, vcc_lo, s17, v20, vcc_lo
	s_delay_alu instid0(VALU_DEP_3) | instskip(NEXT) | instid1(VALU_DEP_4)
	v_add_co_u32 v19, vcc_lo, s16, v23
	v_add_co_ci_u32_e32 v20, vcc_lo, s17, v24, vcc_lo
	s_clause 0x1
	global_load_b32 v23, v[21:22], off
	global_load_b32 v24, v[19:20], off
	s_waitcnt vmcnt(0)
	v_cmpx_eq_u32_e64 v23, v24
	s_cbranch_execz .LBB471_145
; %bb.139:
	v_add_co_u32 v19, vcc_lo, v19, 4
	v_add_co_ci_u32_e32 v20, vcc_lo, 0, v20, vcc_lo
	v_add_co_u32 v21, vcc_lo, v21, 4
	v_add_co_ci_u32_e32 v22, vcc_lo, 0, v22, vcc_lo
	s_add_u32 s4, s14, -1
	s_addc_u32 s5, s15, -1
	s_mov_b64 s[6:7], 0
	s_mov_b32 s30, 0
                                        ; implicit-def: $sgpr31
	s_set_inst_prefetch_distance 0x1
	s_branch .LBB471_142
	.p2align	6
.LBB471_140:                            ;   in Loop: Header=BB471_142 Depth=1
	global_load_b32 v23, v[21:22], off
	global_load_b32 v24, v[19:20], off
	v_add_co_u32 v19, vcc_lo, v19, 4
	v_add_co_ci_u32_e32 v20, vcc_lo, 0, v20, vcc_lo
	v_add_co_u32 v21, s0, v21, 4
	s_delay_alu instid0(VALU_DEP_1)
	v_add_co_ci_u32_e64 v22, s0, 0, v22, s0
	s_add_u32 s6, s6, 1
	s_addc_u32 s7, s7, 0
	s_and_not1_b32 s0, s31, exec_lo
	s_waitcnt vmcnt(0)
	v_cmp_ne_u32_e32 vcc_lo, v23, v24
	s_and_b32 s31, vcc_lo, exec_lo
	s_delay_alu instid0(SALU_CYCLE_1)
	s_or_b32 s31, s0, s31
.LBB471_141:                            ;   in Loop: Header=BB471_142 Depth=1
	v_dual_mov_b32 v24, s7 :: v_dual_mov_b32 v23, s6
	s_and_b32 s0, exec_lo, s31
	s_delay_alu instid0(SALU_CYCLE_1) | instskip(NEXT) | instid1(SALU_CYCLE_1)
	s_or_b32 s30, s0, s30
	s_and_not1_b32 exec_lo, exec_lo, s30
	s_cbranch_execz .LBB471_144
.LBB471_142:                            ; =>This Inner Loop Header: Depth=1
	s_or_b32 s31, s31, exec_lo
	s_cmp_eq_u64 s[4:5], s[6:7]
	s_cbranch_scc0 .LBB471_140
; %bb.143:                              ;   in Loop: Header=BB471_142 Depth=1
	s_mov_b64 s[6:7], s[14:15]
                                        ; implicit-def: $vgpr19_vgpr20
                                        ; implicit-def: $vgpr21_vgpr22
	s_branch .LBB471_141
.LBB471_144:
	s_set_inst_prefetch_distance 0x2
	s_or_b32 exec_lo, exec_lo, s30
	v_cmp_gt_i64_e32 vcc_lo, s[14:15], v[23:24]
	s_or_not1_b32 s0, vcc_lo, exec_lo
.LBB471_145:
	s_or_b32 exec_lo, exec_lo, s28
.LBB471_146:
	s_delay_alu instid0(SALU_CYCLE_1)
	s_and_b32 s28, s0, exec_lo
.LBB471_147:
	s_or_b32 exec_lo, exec_lo, s29
	v_or_b32_e32 v19, 3, v39
	s_mov_b32 s30, 0
	s_mov_b32 s29, 0
	s_mov_b32 s31, exec_lo
	s_delay_alu instid0(VALU_DEP_1)
	v_cmpx_gt_u32_e64 s12, v19
	s_cbranch_execz .LBB471_158
; %bb.148:
	v_cmp_ne_u32_e32 vcc_lo, 1, v27
	s_mov_b32 s0, 0
	s_cbranch_vccnz .LBB471_157
; %bb.149:
	v_mul_lo_u32 v23, v10, s14
	v_mul_lo_u32 v24, v9, s15
	v_mad_u64_u32 v[19:20], null, v9, s14, 0
	v_mul_lo_u32 v25, v12, s14
	v_mul_lo_u32 v26, v11, s15
	s_waitcnt lgkmcnt(0)
	v_mad_u64_u32 v[21:22], null, v11, s14, 0
	s_mov_b32 s0, -1
	s_mov_b32 s29, exec_lo
	s_delay_alu instid0(VALU_DEP_4) | instskip(NEXT) | instid1(VALU_DEP_2)
	v_add3_u32 v20, v20, v24, v23
	v_add3_u32 v22, v22, v26, v25
	s_delay_alu instid0(VALU_DEP_2) | instskip(NEXT) | instid1(VALU_DEP_2)
	v_lshlrev_b64 v[19:20], 2, v[19:20]
	v_lshlrev_b64 v[23:24], 2, v[21:22]
	s_delay_alu instid0(VALU_DEP_2) | instskip(NEXT) | instid1(VALU_DEP_3)
	v_add_co_u32 v21, vcc_lo, s16, v19
	v_add_co_ci_u32_e32 v22, vcc_lo, s17, v20, vcc_lo
	s_delay_alu instid0(VALU_DEP_3) | instskip(NEXT) | instid1(VALU_DEP_4)
	v_add_co_u32 v19, vcc_lo, s16, v23
	v_add_co_ci_u32_e32 v20, vcc_lo, s17, v24, vcc_lo
	s_clause 0x1
	global_load_b32 v23, v[21:22], off
	global_load_b32 v24, v[19:20], off
	s_waitcnt vmcnt(0)
	v_cmpx_eq_u32_e64 v23, v24
	s_cbranch_execz .LBB471_156
; %bb.150:
	v_add_co_u32 v19, vcc_lo, v19, 4
	v_add_co_ci_u32_e32 v20, vcc_lo, 0, v20, vcc_lo
	v_add_co_u32 v21, vcc_lo, v21, 4
	v_add_co_ci_u32_e32 v22, vcc_lo, 0, v22, vcc_lo
	s_add_u32 s4, s14, -1
	s_addc_u32 s5, s15, -1
	s_mov_b64 s[6:7], 0
	s_mov_b32 s33, 0
                                        ; implicit-def: $sgpr34
	s_set_inst_prefetch_distance 0x1
	s_branch .LBB471_153
	.p2align	6
.LBB471_151:                            ;   in Loop: Header=BB471_153 Depth=1
	global_load_b32 v23, v[21:22], off
	global_load_b32 v24, v[19:20], off
	v_add_co_u32 v19, vcc_lo, v19, 4
	v_add_co_ci_u32_e32 v20, vcc_lo, 0, v20, vcc_lo
	v_add_co_u32 v21, s0, v21, 4
	s_delay_alu instid0(VALU_DEP_1)
	v_add_co_ci_u32_e64 v22, s0, 0, v22, s0
	s_add_u32 s6, s6, 1
	s_addc_u32 s7, s7, 0
	s_and_not1_b32 s0, s34, exec_lo
	s_waitcnt vmcnt(0)
	v_cmp_ne_u32_e32 vcc_lo, v23, v24
	s_and_b32 s34, vcc_lo, exec_lo
	s_delay_alu instid0(SALU_CYCLE_1)
	s_or_b32 s34, s0, s34
.LBB471_152:                            ;   in Loop: Header=BB471_153 Depth=1
	v_dual_mov_b32 v24, s7 :: v_dual_mov_b32 v23, s6
	s_and_b32 s0, exec_lo, s34
	s_delay_alu instid0(SALU_CYCLE_1) | instskip(NEXT) | instid1(SALU_CYCLE_1)
	s_or_b32 s33, s0, s33
	s_and_not1_b32 exec_lo, exec_lo, s33
	s_cbranch_execz .LBB471_155
.LBB471_153:                            ; =>This Inner Loop Header: Depth=1
	s_or_b32 s34, s34, exec_lo
	s_cmp_eq_u64 s[4:5], s[6:7]
	s_cbranch_scc0 .LBB471_151
; %bb.154:                              ;   in Loop: Header=BB471_153 Depth=1
	s_mov_b64 s[6:7], s[14:15]
                                        ; implicit-def: $vgpr19_vgpr20
                                        ; implicit-def: $vgpr21_vgpr22
	s_branch .LBB471_152
.LBB471_155:
	s_set_inst_prefetch_distance 0x2
	s_or_b32 exec_lo, exec_lo, s33
	v_cmp_gt_i64_e32 vcc_lo, s[14:15], v[23:24]
	s_or_not1_b32 s0, vcc_lo, exec_lo
.LBB471_156:
	s_or_b32 exec_lo, exec_lo, s29
.LBB471_157:
	s_delay_alu instid0(SALU_CYCLE_1)
	s_and_b32 s29, s0, exec_lo
.LBB471_158:
	s_or_b32 exec_lo, exec_lo, s31
	v_or_b32_e32 v19, 2, v39
	s_mov_b32 s31, exec_lo
	s_delay_alu instid0(VALU_DEP_1)
	v_cmpx_gt_u32_e64 s12, v19
	s_cbranch_execz .LBB471_169
; %bb.159:
	v_cmp_ne_u32_e32 vcc_lo, 1, v27
	s_mov_b32 s0, 0
	s_cbranch_vccnz .LBB471_168
; %bb.160:
	v_mul_lo_u32 v23, v16, s14
	v_mul_lo_u32 v24, v15, s15
	v_mad_u64_u32 v[19:20], null, v15, s14, 0
	v_mul_lo_u32 v25, v10, s14
	v_mul_lo_u32 v26, v9, s15
	s_waitcnt lgkmcnt(0)
	v_mad_u64_u32 v[21:22], null, v9, s14, 0
	s_mov_b32 s0, -1
	s_mov_b32 s30, exec_lo
	s_delay_alu instid0(VALU_DEP_4) | instskip(NEXT) | instid1(VALU_DEP_2)
	v_add3_u32 v20, v20, v24, v23
	v_add3_u32 v22, v22, v26, v25
	s_delay_alu instid0(VALU_DEP_2) | instskip(NEXT) | instid1(VALU_DEP_2)
	v_lshlrev_b64 v[19:20], 2, v[19:20]
	v_lshlrev_b64 v[23:24], 2, v[21:22]
	s_delay_alu instid0(VALU_DEP_2) | instskip(NEXT) | instid1(VALU_DEP_3)
	v_add_co_u32 v21, vcc_lo, s16, v19
	v_add_co_ci_u32_e32 v22, vcc_lo, s17, v20, vcc_lo
	s_delay_alu instid0(VALU_DEP_3) | instskip(NEXT) | instid1(VALU_DEP_4)
	v_add_co_u32 v19, vcc_lo, s16, v23
	v_add_co_ci_u32_e32 v20, vcc_lo, s17, v24, vcc_lo
	s_clause 0x1
	global_load_b32 v23, v[21:22], off
	global_load_b32 v24, v[19:20], off
	s_waitcnt vmcnt(0)
	v_cmpx_eq_u32_e64 v23, v24
	s_cbranch_execz .LBB471_167
; %bb.161:
	v_add_co_u32 v19, vcc_lo, v19, 4
	v_add_co_ci_u32_e32 v20, vcc_lo, 0, v20, vcc_lo
	v_add_co_u32 v21, vcc_lo, v21, 4
	v_add_co_ci_u32_e32 v22, vcc_lo, 0, v22, vcc_lo
	s_add_u32 s4, s14, -1
	s_addc_u32 s5, s15, -1
	s_mov_b64 s[6:7], 0
	s_mov_b32 s33, 0
                                        ; implicit-def: $sgpr34
	s_set_inst_prefetch_distance 0x1
	s_branch .LBB471_164
	.p2align	6
.LBB471_162:                            ;   in Loop: Header=BB471_164 Depth=1
	global_load_b32 v23, v[21:22], off
	global_load_b32 v24, v[19:20], off
	v_add_co_u32 v19, vcc_lo, v19, 4
	v_add_co_ci_u32_e32 v20, vcc_lo, 0, v20, vcc_lo
	v_add_co_u32 v21, s0, v21, 4
	s_delay_alu instid0(VALU_DEP_1)
	v_add_co_ci_u32_e64 v22, s0, 0, v22, s0
	s_add_u32 s6, s6, 1
	s_addc_u32 s7, s7, 0
	s_and_not1_b32 s0, s34, exec_lo
	s_waitcnt vmcnt(0)
	v_cmp_ne_u32_e32 vcc_lo, v23, v24
	s_and_b32 s34, vcc_lo, exec_lo
	s_delay_alu instid0(SALU_CYCLE_1)
	s_or_b32 s34, s0, s34
.LBB471_163:                            ;   in Loop: Header=BB471_164 Depth=1
	v_dual_mov_b32 v24, s7 :: v_dual_mov_b32 v23, s6
	s_and_b32 s0, exec_lo, s34
	s_delay_alu instid0(SALU_CYCLE_1) | instskip(NEXT) | instid1(SALU_CYCLE_1)
	s_or_b32 s33, s0, s33
	s_and_not1_b32 exec_lo, exec_lo, s33
	s_cbranch_execz .LBB471_166
.LBB471_164:                            ; =>This Inner Loop Header: Depth=1
	s_or_b32 s34, s34, exec_lo
	s_cmp_eq_u64 s[4:5], s[6:7]
	s_cbranch_scc0 .LBB471_162
; %bb.165:                              ;   in Loop: Header=BB471_164 Depth=1
	s_mov_b64 s[6:7], s[14:15]
                                        ; implicit-def: $vgpr19_vgpr20
                                        ; implicit-def: $vgpr21_vgpr22
	s_branch .LBB471_163
.LBB471_166:
	s_set_inst_prefetch_distance 0x2
	s_or_b32 exec_lo, exec_lo, s33
	v_cmp_gt_i64_e32 vcc_lo, s[14:15], v[23:24]
	s_or_not1_b32 s0, vcc_lo, exec_lo
.LBB471_167:
	s_or_b32 exec_lo, exec_lo, s30
.LBB471_168:
	s_delay_alu instid0(SALU_CYCLE_1)
	s_and_b32 s30, s0, exec_lo
.LBB471_169:
	s_or_b32 exec_lo, exec_lo, s31
	v_or_b32_e32 v19, 1, v39
	s_mov_b32 s0, 0
	s_mov_b32 s31, exec_lo
	s_delay_alu instid0(VALU_DEP_1)
	v_cmpx_gt_u32_e64 s12, v19
	s_cbranch_execz .LBB471_180
; %bb.170:
	v_cmp_ne_u32_e32 vcc_lo, 1, v27
	s_cbranch_vccnz .LBB471_179
; %bb.171:
	v_mul_lo_u32 v23, v14, s14
	v_mul_lo_u32 v24, v13, s15
	v_mad_u64_u32 v[19:20], null, v13, s14, 0
	v_mul_lo_u32 v25, v16, s14
	v_mul_lo_u32 v26, v15, s15
	s_waitcnt lgkmcnt(0)
	v_mad_u64_u32 v[21:22], null, v15, s14, 0
	s_mov_b32 s0, -1
	s_mov_b32 s33, exec_lo
	s_delay_alu instid0(VALU_DEP_4) | instskip(NEXT) | instid1(VALU_DEP_2)
	v_add3_u32 v20, v20, v24, v23
	v_add3_u32 v22, v22, v26, v25
	s_delay_alu instid0(VALU_DEP_2) | instskip(NEXT) | instid1(VALU_DEP_2)
	v_lshlrev_b64 v[19:20], 2, v[19:20]
	v_lshlrev_b64 v[23:24], 2, v[21:22]
	s_delay_alu instid0(VALU_DEP_2) | instskip(NEXT) | instid1(VALU_DEP_3)
	v_add_co_u32 v21, vcc_lo, s16, v19
	v_add_co_ci_u32_e32 v22, vcc_lo, s17, v20, vcc_lo
	s_delay_alu instid0(VALU_DEP_3) | instskip(NEXT) | instid1(VALU_DEP_4)
	v_add_co_u32 v19, vcc_lo, s16, v23
	v_add_co_ci_u32_e32 v20, vcc_lo, s17, v24, vcc_lo
	s_clause 0x1
	global_load_b32 v23, v[21:22], off
	global_load_b32 v24, v[19:20], off
	s_waitcnt vmcnt(0)
	v_cmpx_eq_u32_e64 v23, v24
	s_cbranch_execz .LBB471_178
; %bb.172:
	v_add_co_u32 v19, vcc_lo, v19, 4
	v_add_co_ci_u32_e32 v20, vcc_lo, 0, v20, vcc_lo
	v_add_co_u32 v21, vcc_lo, v21, 4
	v_add_co_ci_u32_e32 v22, vcc_lo, 0, v22, vcc_lo
	s_add_u32 s4, s14, -1
	s_addc_u32 s5, s15, -1
	s_mov_b64 s[6:7], 0
	s_mov_b32 s34, 0
                                        ; implicit-def: $sgpr35
	s_set_inst_prefetch_distance 0x1
	s_branch .LBB471_175
	.p2align	6
.LBB471_173:                            ;   in Loop: Header=BB471_175 Depth=1
	global_load_b32 v23, v[21:22], off
	global_load_b32 v24, v[19:20], off
	v_add_co_u32 v19, vcc_lo, v19, 4
	v_add_co_ci_u32_e32 v20, vcc_lo, 0, v20, vcc_lo
	v_add_co_u32 v21, s0, v21, 4
	s_delay_alu instid0(VALU_DEP_1)
	v_add_co_ci_u32_e64 v22, s0, 0, v22, s0
	s_add_u32 s6, s6, 1
	s_addc_u32 s7, s7, 0
	s_and_not1_b32 s0, s35, exec_lo
	s_waitcnt vmcnt(0)
	v_cmp_ne_u32_e32 vcc_lo, v23, v24
	s_and_b32 s35, vcc_lo, exec_lo
	s_delay_alu instid0(SALU_CYCLE_1)
	s_or_b32 s35, s0, s35
.LBB471_174:                            ;   in Loop: Header=BB471_175 Depth=1
	v_dual_mov_b32 v24, s7 :: v_dual_mov_b32 v23, s6
	s_and_b32 s0, exec_lo, s35
	s_delay_alu instid0(SALU_CYCLE_1) | instskip(NEXT) | instid1(SALU_CYCLE_1)
	s_or_b32 s34, s0, s34
	s_and_not1_b32 exec_lo, exec_lo, s34
	s_cbranch_execz .LBB471_177
.LBB471_175:                            ; =>This Inner Loop Header: Depth=1
	s_or_b32 s35, s35, exec_lo
	s_cmp_eq_u64 s[4:5], s[6:7]
	s_cbranch_scc0 .LBB471_173
; %bb.176:                              ;   in Loop: Header=BB471_175 Depth=1
	s_mov_b64 s[6:7], s[14:15]
                                        ; implicit-def: $vgpr19_vgpr20
                                        ; implicit-def: $vgpr21_vgpr22
	s_branch .LBB471_174
.LBB471_177:
	s_set_inst_prefetch_distance 0x2
	s_or_b32 exec_lo, exec_lo, s34
	v_cmp_gt_i64_e32 vcc_lo, s[14:15], v[23:24]
	s_or_not1_b32 s0, vcc_lo, exec_lo
.LBB471_178:
	s_or_b32 exec_lo, exec_lo, s33
.LBB471_179:
	s_delay_alu instid0(SALU_CYCLE_1)
	s_and_b32 s0, s0, exec_lo
.LBB471_180:
	s_or_b32 exec_lo, exec_lo, s31
	s_waitcnt vmcnt(0) lgkmcnt(0)
	s_barrier
	buffer_gl0_inv
	s_and_saveexec_b32 s4, s3
	s_cbranch_execz .LBB471_182
; %bb.181:
	v_add_nc_u32_e32 v17, -8, v39
	ds_load_b64 v[17:18], v17
.LBB471_182:
	s_or_b32 exec_lo, exec_lo, s4
	v_cndmask_b32_e64 v20, 0, 1, s29
	v_cndmask_b32_e64 v22, 0, 1, s26
	;; [unrolled: 1-line block ×7, first 2 shown]
	v_lshlrev_b16 v20, 8, v20
	v_lshlrev_b16 v22, 8, v22
	v_lshlrev_b16 v23, 8, v23
	s_mov_b32 s0, 0
	v_lshlrev_b16 v25, 8, v25
	v_or_b32_e32 v19, v19, v20
	v_or_b32_e32 v20, v21, v22
	;; [unrolled: 1-line block ×3, first 2 shown]
	s_mov_b32 s25, exec_lo
	v_and_b32_e32 v23, 0xffff, v25
	v_lshlrev_b32_e32 v24, 16, v19
	v_and_b32_e32 v25, 0xffff, v20
	v_lshlrev_b32_e32 v26, 16, v21
	v_cmpx_gt_u32_e64 s12, v39
	s_cbranch_execz .LBB471_193
; %bb.183:
	v_cmp_ne_u32_e32 vcc_lo, 1, v27
	s_cbranch_vccnz .LBB471_192
; %bb.184:
	s_waitcnt lgkmcnt(0)
	v_mul_lo_u32 v22, v18, s14
	v_mul_lo_u32 v27, v17, s15
	v_mad_u64_u32 v[18:19], null, v17, s14, 0
	v_mul_lo_u32 v17, v14, s14
	v_mul_lo_u32 v28, v13, s15
	v_mad_u64_u32 v[20:21], null, v13, s14, 0
	s_mov_b32 s0, -1
	s_mov_b32 s26, exec_lo
	s_delay_alu instid0(VALU_DEP_4) | instskip(NEXT) | instid1(VALU_DEP_2)
	v_add3_u32 v19, v19, v27, v22
	v_add3_u32 v21, v21, v28, v17
	s_delay_alu instid0(VALU_DEP_2) | instskip(NEXT) | instid1(VALU_DEP_2)
	v_lshlrev_b64 v[17:18], 2, v[18:19]
	v_lshlrev_b64 v[21:22], 2, v[20:21]
	s_delay_alu instid0(VALU_DEP_2) | instskip(NEXT) | instid1(VALU_DEP_3)
	v_add_co_u32 v19, vcc_lo, s16, v17
	v_add_co_ci_u32_e32 v20, vcc_lo, s17, v18, vcc_lo
	s_delay_alu instid0(VALU_DEP_3) | instskip(NEXT) | instid1(VALU_DEP_4)
	v_add_co_u32 v17, vcc_lo, s16, v21
	v_add_co_ci_u32_e32 v18, vcc_lo, s17, v22, vcc_lo
	s_clause 0x1
	global_load_b32 v21, v[19:20], off
	global_load_b32 v22, v[17:18], off
	s_waitcnt vmcnt(0)
	v_cmpx_eq_u32_e64 v21, v22
	s_cbranch_execz .LBB471_191
; %bb.185:
	v_add_co_u32 v17, vcc_lo, v17, 4
	v_add_co_ci_u32_e32 v18, vcc_lo, 0, v18, vcc_lo
	v_add_co_u32 v19, vcc_lo, v19, 4
	v_add_co_ci_u32_e32 v20, vcc_lo, 0, v20, vcc_lo
	s_add_u32 s4, s14, -1
	s_addc_u32 s5, s15, -1
	s_mov_b64 s[6:7], 0
	s_mov_b32 s27, 0
                                        ; implicit-def: $sgpr28
	s_set_inst_prefetch_distance 0x1
	s_branch .LBB471_188
	.p2align	6
.LBB471_186:                            ;   in Loop: Header=BB471_188 Depth=1
	global_load_b32 v21, v[19:20], off
	global_load_b32 v22, v[17:18], off
	v_add_co_u32 v17, vcc_lo, v17, 4
	v_add_co_ci_u32_e32 v18, vcc_lo, 0, v18, vcc_lo
	v_add_co_u32 v19, s0, v19, 4
	s_delay_alu instid0(VALU_DEP_1)
	v_add_co_ci_u32_e64 v20, s0, 0, v20, s0
	s_add_u32 s6, s6, 1
	s_addc_u32 s7, s7, 0
	s_and_not1_b32 s0, s28, exec_lo
	s_waitcnt vmcnt(0)
	v_cmp_ne_u32_e32 vcc_lo, v21, v22
	s_and_b32 s28, vcc_lo, exec_lo
	s_delay_alu instid0(SALU_CYCLE_1)
	s_or_b32 s28, s0, s28
.LBB471_187:                            ;   in Loop: Header=BB471_188 Depth=1
	v_dual_mov_b32 v22, s7 :: v_dual_mov_b32 v21, s6
	s_and_b32 s0, exec_lo, s28
	s_delay_alu instid0(SALU_CYCLE_1) | instskip(NEXT) | instid1(SALU_CYCLE_1)
	s_or_b32 s27, s0, s27
	s_and_not1_b32 exec_lo, exec_lo, s27
	s_cbranch_execz .LBB471_190
.LBB471_188:                            ; =>This Inner Loop Header: Depth=1
	s_or_b32 s28, s28, exec_lo
	s_cmp_eq_u64 s[4:5], s[6:7]
	s_cbranch_scc0 .LBB471_186
; %bb.189:                              ;   in Loop: Header=BB471_188 Depth=1
	s_mov_b64 s[6:7], s[14:15]
                                        ; implicit-def: $vgpr17_vgpr18
                                        ; implicit-def: $vgpr19_vgpr20
	s_branch .LBB471_187
.LBB471_190:
	s_set_inst_prefetch_distance 0x2
	s_or_b32 exec_lo, exec_lo, s27
	v_cmp_gt_i64_e32 vcc_lo, s[14:15], v[21:22]
	s_or_not1_b32 s0, vcc_lo, exec_lo
.LBB471_191:
	s_or_b32 exec_lo, exec_lo, s26
.LBB471_192:
	s_delay_alu instid0(SALU_CYCLE_1)
	s_and_b32 s0, s0, exec_lo
.LBB471_193:
	s_or_b32 exec_lo, exec_lo, s25
	v_or_b32_e32 v19, v23, v24
	v_or_b32_e32 v20, v25, v26
.LBB471_194:
	s_mov_b32 s25, -1
	s_cbranch_execnz .LBB471_363
.LBB471_195:
	v_cmp_gt_i64_e64 s26, s[14:15], 0
	s_and_b32 vcc_lo, exec_lo, s22
	ds_store_b64 v39, v[3:4]
	s_cbranch_vccz .LBB471_203
; %bb.196:
	v_mul_lo_u32 v19, v2, s14
	v_mul_lo_u32 v20, v1, s15
	s_waitcnt vmcnt(0) lgkmcnt(1)
	v_mad_u64_u32 v[17:18], null, v1, s14, 0
	s_mov_b32 s27, 0
	s_and_not1_b32 vcc_lo, exec_lo, s26
	s_mov_b32 s28, 0
	s_delay_alu instid0(VALU_DEP_1) | instskip(NEXT) | instid1(VALU_DEP_1)
	v_add3_u32 v18, v18, v20, v19
	v_lshlrev_b64 v[17:18], 2, v[17:18]
	s_cbranch_vccnz .LBB471_206
; %bb.197:
	v_mul_lo_u32 v21, v4, s14
	v_mul_lo_u32 v22, v3, s15
	v_mad_u64_u32 v[19:20], null, v3, s14, 0
	s_mov_b32 s28, -1
	s_mov_b32 s29, exec_lo
	s_delay_alu instid0(VALU_DEP_1) | instskip(SKIP_2) | instid1(VALU_DEP_3)
	v_add3_u32 v20, v20, v22, v21
	v_add_co_u32 v21, vcc_lo, s16, v17
	v_add_co_ci_u32_e32 v22, vcc_lo, s17, v18, vcc_lo
	v_lshlrev_b64 v[19:20], 2, v[19:20]
	s_delay_alu instid0(VALU_DEP_1) | instskip(NEXT) | instid1(VALU_DEP_2)
	v_add_co_u32 v19, vcc_lo, s16, v19
	v_add_co_ci_u32_e32 v20, vcc_lo, s17, v20, vcc_lo
	s_clause 0x1
	global_load_b32 v23, v[21:22], off
	global_load_b32 v24, v[19:20], off
	s_waitcnt vmcnt(0)
	v_cmpx_eq_u32_e64 v23, v24
	s_cbranch_execz .LBB471_205
; %bb.198:
	v_add_co_u32 v19, vcc_lo, v19, 4
	v_add_co_ci_u32_e32 v20, vcc_lo, 0, v20, vcc_lo
	v_add_co_u32 v21, vcc_lo, v21, 4
	v_add_co_ci_u32_e32 v22, vcc_lo, 0, v22, vcc_lo
	s_add_u32 s4, s14, -1
	s_addc_u32 s5, s15, -1
	s_mov_b64 s[6:7], 0
	s_mov_b32 s28, 0
                                        ; implicit-def: $sgpr30
	s_set_inst_prefetch_distance 0x1
	s_branch .LBB471_201
	.p2align	6
.LBB471_199:                            ;   in Loop: Header=BB471_201 Depth=1
	global_load_b32 v23, v[21:22], off
	global_load_b32 v24, v[19:20], off
	v_add_co_u32 v19, vcc_lo, v19, 4
	v_add_co_ci_u32_e32 v20, vcc_lo, 0, v20, vcc_lo
	v_add_co_u32 v21, s0, v21, 4
	s_delay_alu instid0(VALU_DEP_1)
	v_add_co_ci_u32_e64 v22, s0, 0, v22, s0
	s_add_u32 s6, s6, 1
	s_addc_u32 s7, s7, 0
	s_and_not1_b32 s0, s30, exec_lo
	s_waitcnt vmcnt(0)
	v_cmp_ne_u32_e32 vcc_lo, v23, v24
	s_and_b32 s30, vcc_lo, exec_lo
	s_delay_alu instid0(SALU_CYCLE_1)
	s_or_b32 s30, s0, s30
.LBB471_200:                            ;   in Loop: Header=BB471_201 Depth=1
	v_dual_mov_b32 v24, s7 :: v_dual_mov_b32 v23, s6
	s_and_b32 s0, exec_lo, s30
	s_delay_alu instid0(SALU_CYCLE_1) | instskip(NEXT) | instid1(SALU_CYCLE_1)
	s_or_b32 s28, s0, s28
	s_and_not1_b32 exec_lo, exec_lo, s28
	s_cbranch_execz .LBB471_204
.LBB471_201:                            ; =>This Inner Loop Header: Depth=1
	s_or_b32 s30, s30, exec_lo
	s_cmp_eq_u64 s[4:5], s[6:7]
	s_cbranch_scc0 .LBB471_199
; %bb.202:                              ;   in Loop: Header=BB471_201 Depth=1
	s_mov_b64 s[6:7], s[14:15]
                                        ; implicit-def: $vgpr19_vgpr20
                                        ; implicit-def: $vgpr21_vgpr22
	s_branch .LBB471_200
.LBB471_203:
                                        ; implicit-def: $sgpr0
                                        ; implicit-def: $vgpr20
	s_cbranch_execnz .LBB471_272
	s_branch .LBB471_363
.LBB471_204:
	s_set_inst_prefetch_distance 0x2
	s_or_b32 exec_lo, exec_lo, s28
	v_cmp_gt_i64_e32 vcc_lo, s[14:15], v[23:24]
	s_or_not1_b32 s28, vcc_lo, exec_lo
.LBB471_205:
	s_or_b32 exec_lo, exec_lo, s29
.LBB471_206:
	v_mul_lo_u32 v21, v8, s14
	v_mul_lo_u32 v22, v7, s15
	v_mad_u64_u32 v[19:20], null, v7, s14, 0
	s_and_not1_b32 vcc_lo, exec_lo, s26
	s_delay_alu instid0(VALU_DEP_1) | instskip(NEXT) | instid1(VALU_DEP_1)
	v_add3_u32 v20, v20, v22, v21
	v_lshlrev_b64 v[19:20], 2, v[19:20]
	s_cbranch_vccnz .LBB471_215
; %bb.207:
	s_delay_alu instid0(VALU_DEP_1) | instskip(NEXT) | instid1(VALU_DEP_2)
	v_add_co_u32 v21, vcc_lo, s16, v19
	v_add_co_ci_u32_e32 v22, vcc_lo, s17, v20, vcc_lo
	v_add_co_u32 v17, vcc_lo, s16, v17
	v_add_co_ci_u32_e32 v18, vcc_lo, s17, v18, vcc_lo
	s_mov_b32 s27, -1
	s_clause 0x1
	global_load_b32 v23, v[21:22], off
	global_load_b32 v24, v[17:18], off
	s_mov_b32 s29, exec_lo
	s_waitcnt vmcnt(0)
	v_cmpx_eq_u32_e64 v23, v24
	s_cbranch_execz .LBB471_214
; %bb.208:
	v_add_co_u32 v17, vcc_lo, v17, 4
	v_add_co_ci_u32_e32 v18, vcc_lo, 0, v18, vcc_lo
	v_add_co_u32 v21, vcc_lo, v21, 4
	v_add_co_ci_u32_e32 v22, vcc_lo, 0, v22, vcc_lo
	s_add_u32 s4, s14, -1
	s_addc_u32 s5, s15, -1
	s_mov_b64 s[6:7], 0
	s_mov_b32 s27, 0
                                        ; implicit-def: $sgpr30
	s_set_inst_prefetch_distance 0x1
	s_branch .LBB471_211
	.p2align	6
.LBB471_209:                            ;   in Loop: Header=BB471_211 Depth=1
	global_load_b32 v23, v[21:22], off
	global_load_b32 v24, v[17:18], off
	v_add_co_u32 v17, vcc_lo, v17, 4
	v_add_co_ci_u32_e32 v18, vcc_lo, 0, v18, vcc_lo
	v_add_co_u32 v21, s0, v21, 4
	s_delay_alu instid0(VALU_DEP_1)
	v_add_co_ci_u32_e64 v22, s0, 0, v22, s0
	s_add_u32 s6, s6, 1
	s_addc_u32 s7, s7, 0
	s_and_not1_b32 s0, s30, exec_lo
	s_waitcnt vmcnt(0)
	v_cmp_ne_u32_e32 vcc_lo, v23, v24
	s_and_b32 s30, vcc_lo, exec_lo
	s_delay_alu instid0(SALU_CYCLE_1)
	s_or_b32 s30, s0, s30
.LBB471_210:                            ;   in Loop: Header=BB471_211 Depth=1
	v_dual_mov_b32 v24, s7 :: v_dual_mov_b32 v23, s6
	s_and_b32 s0, exec_lo, s30
	s_delay_alu instid0(SALU_CYCLE_1) | instskip(NEXT) | instid1(SALU_CYCLE_1)
	s_or_b32 s27, s0, s27
	s_and_not1_b32 exec_lo, exec_lo, s27
	s_cbranch_execz .LBB471_213
.LBB471_211:                            ; =>This Inner Loop Header: Depth=1
	s_or_b32 s30, s30, exec_lo
	s_cmp_eq_u64 s[4:5], s[6:7]
	s_cbranch_scc0 .LBB471_209
; %bb.212:                              ;   in Loop: Header=BB471_211 Depth=1
	s_mov_b64 s[6:7], s[14:15]
                                        ; implicit-def: $vgpr17_vgpr18
                                        ; implicit-def: $vgpr21_vgpr22
	s_branch .LBB471_210
.LBB471_213:
	s_set_inst_prefetch_distance 0x2
	s_or_b32 exec_lo, exec_lo, s27
	v_cmp_gt_i64_e32 vcc_lo, s[14:15], v[23:24]
	s_or_not1_b32 s27, vcc_lo, exec_lo
.LBB471_214:
	s_or_b32 exec_lo, exec_lo, s29
.LBB471_215:
	v_mul_lo_u32 v21, v6, s14
	v_mul_lo_u32 v22, v5, s15
	v_mad_u64_u32 v[17:18], null, v5, s14, 0
	s_mov_b32 s29, 0
	s_and_not1_b32 vcc_lo, exec_lo, s26
	s_mov_b32 s30, 0
	s_delay_alu instid0(VALU_DEP_1) | instskip(NEXT) | instid1(VALU_DEP_1)
	v_add3_u32 v18, v18, v22, v21
	v_lshlrev_b64 v[21:22], 2, v[17:18]
	s_cbranch_vccnz .LBB471_224
; %bb.216:
	s_delay_alu instid0(VALU_DEP_1) | instskip(NEXT) | instid1(VALU_DEP_2)
	v_add_co_u32 v23, vcc_lo, s16, v21
	v_add_co_ci_u32_e32 v24, vcc_lo, s17, v22, vcc_lo
	v_add_co_u32 v17, vcc_lo, s16, v19
	v_add_co_ci_u32_e32 v18, vcc_lo, s17, v20, vcc_lo
	s_mov_b32 s30, -1
	s_clause 0x1
	global_load_b32 v19, v[23:24], off
	global_load_b32 v20, v[17:18], off
	s_mov_b32 s31, exec_lo
	s_waitcnt vmcnt(0)
	v_cmpx_eq_u32_e64 v19, v20
	s_cbranch_execz .LBB471_223
; %bb.217:
	v_add_co_u32 v17, vcc_lo, v17, 4
	v_add_co_ci_u32_e32 v18, vcc_lo, 0, v18, vcc_lo
	v_add_co_u32 v19, vcc_lo, v23, 4
	v_add_co_ci_u32_e32 v20, vcc_lo, 0, v24, vcc_lo
	s_add_u32 s4, s14, -1
	s_addc_u32 s5, s15, -1
	s_mov_b64 s[6:7], 0
	s_mov_b32 s30, 0
                                        ; implicit-def: $sgpr33
	s_set_inst_prefetch_distance 0x1
	s_branch .LBB471_220
	.p2align	6
.LBB471_218:                            ;   in Loop: Header=BB471_220 Depth=1
	global_load_b32 v23, v[19:20], off
	global_load_b32 v24, v[17:18], off
	v_add_co_u32 v17, vcc_lo, v17, 4
	v_add_co_ci_u32_e32 v18, vcc_lo, 0, v18, vcc_lo
	v_add_co_u32 v19, s0, v19, 4
	s_delay_alu instid0(VALU_DEP_1)
	v_add_co_ci_u32_e64 v20, s0, 0, v20, s0
	s_add_u32 s6, s6, 1
	s_addc_u32 s7, s7, 0
	s_and_not1_b32 s0, s33, exec_lo
	s_waitcnt vmcnt(0)
	v_cmp_ne_u32_e32 vcc_lo, v23, v24
	s_and_b32 s33, vcc_lo, exec_lo
	s_delay_alu instid0(SALU_CYCLE_1)
	s_or_b32 s33, s0, s33
.LBB471_219:                            ;   in Loop: Header=BB471_220 Depth=1
	v_dual_mov_b32 v24, s7 :: v_dual_mov_b32 v23, s6
	s_and_b32 s0, exec_lo, s33
	s_delay_alu instid0(SALU_CYCLE_1) | instskip(NEXT) | instid1(SALU_CYCLE_1)
	s_or_b32 s30, s0, s30
	s_and_not1_b32 exec_lo, exec_lo, s30
	s_cbranch_execz .LBB471_222
.LBB471_220:                            ; =>This Inner Loop Header: Depth=1
	s_or_b32 s33, s33, exec_lo
	s_cmp_eq_u64 s[4:5], s[6:7]
	s_cbranch_scc0 .LBB471_218
; %bb.221:                              ;   in Loop: Header=BB471_220 Depth=1
	s_mov_b64 s[6:7], s[14:15]
                                        ; implicit-def: $vgpr17_vgpr18
                                        ; implicit-def: $vgpr19_vgpr20
	s_branch .LBB471_219
.LBB471_222:
	s_set_inst_prefetch_distance 0x2
	s_or_b32 exec_lo, exec_lo, s30
	v_cmp_gt_i64_e32 vcc_lo, s[14:15], v[23:24]
	s_or_not1_b32 s30, vcc_lo, exec_lo
.LBB471_223:
	s_or_b32 exec_lo, exec_lo, s31
.LBB471_224:
	v_mul_lo_u32 v19, v12, s14
	v_mul_lo_u32 v20, v11, s15
	v_mad_u64_u32 v[17:18], null, v11, s14, 0
	s_and_not1_b32 vcc_lo, exec_lo, s26
	s_delay_alu instid0(VALU_DEP_1) | instskip(NEXT) | instid1(VALU_DEP_1)
	v_add3_u32 v18, v18, v20, v19
	v_lshlrev_b64 v[17:18], 2, v[17:18]
	s_cbranch_vccnz .LBB471_233
; %bb.225:
	s_delay_alu instid0(VALU_DEP_1) | instskip(NEXT) | instid1(VALU_DEP_2)
	v_add_co_u32 v23, vcc_lo, s16, v17
	v_add_co_ci_u32_e32 v24, vcc_lo, s17, v18, vcc_lo
	v_add_co_u32 v19, vcc_lo, s16, v21
	v_add_co_ci_u32_e32 v20, vcc_lo, s17, v22, vcc_lo
	s_mov_b32 s29, -1
	s_clause 0x1
	global_load_b32 v21, v[23:24], off
	global_load_b32 v22, v[19:20], off
	s_mov_b32 s31, exec_lo
	s_waitcnt vmcnt(0)
	v_cmpx_eq_u32_e64 v21, v22
	s_cbranch_execz .LBB471_232
; %bb.226:
	v_add_co_u32 v19, vcc_lo, v19, 4
	v_add_co_ci_u32_e32 v20, vcc_lo, 0, v20, vcc_lo
	v_add_co_u32 v21, vcc_lo, v23, 4
	v_add_co_ci_u32_e32 v22, vcc_lo, 0, v24, vcc_lo
	s_add_u32 s4, s14, -1
	s_addc_u32 s5, s15, -1
	s_mov_b64 s[6:7], 0
	s_mov_b32 s29, 0
                                        ; implicit-def: $sgpr33
	s_set_inst_prefetch_distance 0x1
	s_branch .LBB471_229
	.p2align	6
.LBB471_227:                            ;   in Loop: Header=BB471_229 Depth=1
	global_load_b32 v23, v[21:22], off
	global_load_b32 v24, v[19:20], off
	v_add_co_u32 v19, vcc_lo, v19, 4
	v_add_co_ci_u32_e32 v20, vcc_lo, 0, v20, vcc_lo
	v_add_co_u32 v21, s0, v21, 4
	s_delay_alu instid0(VALU_DEP_1)
	v_add_co_ci_u32_e64 v22, s0, 0, v22, s0
	s_add_u32 s6, s6, 1
	s_addc_u32 s7, s7, 0
	s_and_not1_b32 s0, s33, exec_lo
	s_waitcnt vmcnt(0)
	v_cmp_ne_u32_e32 vcc_lo, v23, v24
	s_and_b32 s33, vcc_lo, exec_lo
	s_delay_alu instid0(SALU_CYCLE_1)
	s_or_b32 s33, s0, s33
.LBB471_228:                            ;   in Loop: Header=BB471_229 Depth=1
	v_dual_mov_b32 v24, s7 :: v_dual_mov_b32 v23, s6
	s_and_b32 s0, exec_lo, s33
	s_delay_alu instid0(SALU_CYCLE_1) | instskip(NEXT) | instid1(SALU_CYCLE_1)
	s_or_b32 s29, s0, s29
	s_and_not1_b32 exec_lo, exec_lo, s29
	s_cbranch_execz .LBB471_231
.LBB471_229:                            ; =>This Inner Loop Header: Depth=1
	s_or_b32 s33, s33, exec_lo
	s_cmp_eq_u64 s[4:5], s[6:7]
	s_cbranch_scc0 .LBB471_227
; %bb.230:                              ;   in Loop: Header=BB471_229 Depth=1
	s_mov_b64 s[6:7], s[14:15]
                                        ; implicit-def: $vgpr19_vgpr20
                                        ; implicit-def: $vgpr21_vgpr22
	s_branch .LBB471_228
.LBB471_231:
	s_set_inst_prefetch_distance 0x2
	s_or_b32 exec_lo, exec_lo, s29
	v_cmp_gt_i64_e32 vcc_lo, s[14:15], v[23:24]
	s_or_not1_b32 s29, vcc_lo, exec_lo
.LBB471_232:
	s_or_b32 exec_lo, exec_lo, s31
.LBB471_233:
	v_mul_lo_u32 v21, v10, s14
	v_mul_lo_u32 v22, v9, s15
	v_mad_u64_u32 v[19:20], null, v9, s14, 0
	s_mov_b32 s31, 0
	s_and_not1_b32 vcc_lo, exec_lo, s26
	s_mov_b32 s33, 0
	s_delay_alu instid0(VALU_DEP_1) | instskip(NEXT) | instid1(VALU_DEP_1)
	v_add3_u32 v20, v20, v22, v21
	v_lshlrev_b64 v[21:22], 2, v[19:20]
	s_cbranch_vccnz .LBB471_242
; %bb.234:
	s_delay_alu instid0(VALU_DEP_1) | instskip(NEXT) | instid1(VALU_DEP_2)
	v_add_co_u32 v19, vcc_lo, s16, v21
	v_add_co_ci_u32_e32 v20, vcc_lo, s17, v22, vcc_lo
	v_add_co_u32 v17, vcc_lo, s16, v17
	v_add_co_ci_u32_e32 v18, vcc_lo, s17, v18, vcc_lo
	s_mov_b32 s33, -1
	s_clause 0x1
	global_load_b32 v23, v[19:20], off
	global_load_b32 v24, v[17:18], off
	s_mov_b32 s34, exec_lo
	s_waitcnt vmcnt(0)
	v_cmpx_eq_u32_e64 v23, v24
	s_cbranch_execz .LBB471_241
; %bb.235:
	v_add_co_u32 v17, vcc_lo, v17, 4
	v_add_co_ci_u32_e32 v18, vcc_lo, 0, v18, vcc_lo
	v_add_co_u32 v19, vcc_lo, v19, 4
	v_add_co_ci_u32_e32 v20, vcc_lo, 0, v20, vcc_lo
	s_add_u32 s4, s14, -1
	s_addc_u32 s5, s15, -1
	s_mov_b64 s[6:7], 0
	s_mov_b32 s33, 0
                                        ; implicit-def: $sgpr35
	s_set_inst_prefetch_distance 0x1
	s_branch .LBB471_238
	.p2align	6
.LBB471_236:                            ;   in Loop: Header=BB471_238 Depth=1
	global_load_b32 v23, v[19:20], off
	global_load_b32 v24, v[17:18], off
	v_add_co_u32 v17, vcc_lo, v17, 4
	v_add_co_ci_u32_e32 v18, vcc_lo, 0, v18, vcc_lo
	v_add_co_u32 v19, s0, v19, 4
	s_delay_alu instid0(VALU_DEP_1)
	v_add_co_ci_u32_e64 v20, s0, 0, v20, s0
	s_add_u32 s6, s6, 1
	s_addc_u32 s7, s7, 0
	s_and_not1_b32 s0, s35, exec_lo
	s_waitcnt vmcnt(0)
	v_cmp_ne_u32_e32 vcc_lo, v23, v24
	s_and_b32 s35, vcc_lo, exec_lo
	s_delay_alu instid0(SALU_CYCLE_1)
	s_or_b32 s35, s0, s35
.LBB471_237:                            ;   in Loop: Header=BB471_238 Depth=1
	v_dual_mov_b32 v24, s7 :: v_dual_mov_b32 v23, s6
	s_and_b32 s0, exec_lo, s35
	s_delay_alu instid0(SALU_CYCLE_1) | instskip(NEXT) | instid1(SALU_CYCLE_1)
	s_or_b32 s33, s0, s33
	s_and_not1_b32 exec_lo, exec_lo, s33
	s_cbranch_execz .LBB471_240
.LBB471_238:                            ; =>This Inner Loop Header: Depth=1
	s_or_b32 s35, s35, exec_lo
	s_cmp_eq_u64 s[4:5], s[6:7]
	s_cbranch_scc0 .LBB471_236
; %bb.239:                              ;   in Loop: Header=BB471_238 Depth=1
	s_mov_b64 s[6:7], s[14:15]
                                        ; implicit-def: $vgpr17_vgpr18
                                        ; implicit-def: $vgpr19_vgpr20
	s_branch .LBB471_237
.LBB471_240:
	s_set_inst_prefetch_distance 0x2
	s_or_b32 exec_lo, exec_lo, s33
	v_cmp_gt_i64_e32 vcc_lo, s[14:15], v[23:24]
	s_or_not1_b32 s33, vcc_lo, exec_lo
.LBB471_241:
	s_or_b32 exec_lo, exec_lo, s34
.LBB471_242:
	v_mul_lo_u32 v19, v16, s14
	v_mul_lo_u32 v20, v15, s15
	v_mad_u64_u32 v[17:18], null, v15, s14, 0
	s_and_not1_b32 vcc_lo, exec_lo, s26
	s_delay_alu instid0(VALU_DEP_1) | instskip(NEXT) | instid1(VALU_DEP_1)
	v_add3_u32 v18, v18, v20, v19
	v_lshlrev_b64 v[19:20], 2, v[17:18]
	s_cbranch_vccnz .LBB471_251
; %bb.243:
	s_delay_alu instid0(VALU_DEP_1) | instskip(NEXT) | instid1(VALU_DEP_2)
	v_add_co_u32 v23, vcc_lo, s16, v19
	v_add_co_ci_u32_e32 v24, vcc_lo, s17, v20, vcc_lo
	v_add_co_u32 v17, vcc_lo, s16, v21
	v_add_co_ci_u32_e32 v18, vcc_lo, s17, v22, vcc_lo
	s_mov_b32 s31, -1
	s_clause 0x1
	global_load_b32 v21, v[23:24], off
	global_load_b32 v22, v[17:18], off
	s_mov_b32 s34, exec_lo
	s_waitcnt vmcnt(0)
	v_cmpx_eq_u32_e64 v21, v22
	s_cbranch_execz .LBB471_250
; %bb.244:
	v_add_co_u32 v17, vcc_lo, v17, 4
	v_add_co_ci_u32_e32 v18, vcc_lo, 0, v18, vcc_lo
	v_add_co_u32 v21, vcc_lo, v23, 4
	v_add_co_ci_u32_e32 v22, vcc_lo, 0, v24, vcc_lo
	s_add_u32 s4, s14, -1
	s_addc_u32 s5, s15, -1
	s_mov_b64 s[6:7], 0
	s_mov_b32 s31, 0
                                        ; implicit-def: $sgpr35
	s_set_inst_prefetch_distance 0x1
	s_branch .LBB471_247
	.p2align	6
.LBB471_245:                            ;   in Loop: Header=BB471_247 Depth=1
	global_load_b32 v23, v[21:22], off
	global_load_b32 v24, v[17:18], off
	v_add_co_u32 v17, vcc_lo, v17, 4
	v_add_co_ci_u32_e32 v18, vcc_lo, 0, v18, vcc_lo
	v_add_co_u32 v21, s0, v21, 4
	s_delay_alu instid0(VALU_DEP_1)
	v_add_co_ci_u32_e64 v22, s0, 0, v22, s0
	s_add_u32 s6, s6, 1
	s_addc_u32 s7, s7, 0
	s_and_not1_b32 s0, s35, exec_lo
	s_waitcnt vmcnt(0)
	v_cmp_ne_u32_e32 vcc_lo, v23, v24
	s_and_b32 s35, vcc_lo, exec_lo
	s_delay_alu instid0(SALU_CYCLE_1)
	s_or_b32 s35, s0, s35
.LBB471_246:                            ;   in Loop: Header=BB471_247 Depth=1
	v_dual_mov_b32 v24, s7 :: v_dual_mov_b32 v23, s6
	s_and_b32 s0, exec_lo, s35
	s_delay_alu instid0(SALU_CYCLE_1) | instskip(NEXT) | instid1(SALU_CYCLE_1)
	s_or_b32 s31, s0, s31
	s_and_not1_b32 exec_lo, exec_lo, s31
	s_cbranch_execz .LBB471_249
.LBB471_247:                            ; =>This Inner Loop Header: Depth=1
	s_or_b32 s35, s35, exec_lo
	s_cmp_eq_u64 s[4:5], s[6:7]
	s_cbranch_scc0 .LBB471_245
; %bb.248:                              ;   in Loop: Header=BB471_247 Depth=1
	s_mov_b64 s[6:7], s[14:15]
                                        ; implicit-def: $vgpr17_vgpr18
                                        ; implicit-def: $vgpr21_vgpr22
	s_branch .LBB471_246
.LBB471_249:
	s_set_inst_prefetch_distance 0x2
	s_or_b32 exec_lo, exec_lo, s31
	v_cmp_gt_i64_e32 vcc_lo, s[14:15], v[23:24]
	s_or_not1_b32 s31, vcc_lo, exec_lo
.LBB471_250:
	s_or_b32 exec_lo, exec_lo, s34
.LBB471_251:
	v_mul_lo_u32 v21, v14, s14
	v_mul_lo_u32 v22, v13, s15
	v_mad_u64_u32 v[17:18], null, v13, s14, 0
	s_and_not1_b32 vcc_lo, exec_lo, s26
	s_mov_b32 s0, 0
	s_delay_alu instid0(VALU_DEP_1)
	v_add3_u32 v18, v18, v22, v21
	s_cbranch_vccnz .LBB471_260
; %bb.252:
	s_delay_alu instid0(VALU_DEP_1) | instskip(SKIP_2) | instid1(VALU_DEP_1)
	v_lshlrev_b64 v[21:22], 2, v[17:18]
	s_mov_b32 s0, -1
	s_mov_b32 s34, exec_lo
	v_add_co_u32 v21, vcc_lo, s16, v21
	s_delay_alu instid0(VALU_DEP_2)
	v_add_co_ci_u32_e32 v22, vcc_lo, s17, v22, vcc_lo
	v_add_co_u32 v19, vcc_lo, s16, v19
	v_add_co_ci_u32_e32 v20, vcc_lo, s17, v20, vcc_lo
	s_clause 0x1
	global_load_b32 v23, v[21:22], off
	global_load_b32 v24, v[19:20], off
	s_waitcnt vmcnt(0)
	v_cmpx_eq_u32_e64 v23, v24
	s_cbranch_execz .LBB471_259
; %bb.253:
	v_add_co_u32 v19, vcc_lo, v19, 4
	v_add_co_ci_u32_e32 v20, vcc_lo, 0, v20, vcc_lo
	v_add_co_u32 v21, vcc_lo, v21, 4
	v_add_co_ci_u32_e32 v22, vcc_lo, 0, v22, vcc_lo
	s_add_u32 s4, s14, -1
	s_addc_u32 s5, s15, -1
	s_mov_b64 s[6:7], 0
	s_mov_b32 s35, 0
                                        ; implicit-def: $sgpr36
	s_set_inst_prefetch_distance 0x1
	s_branch .LBB471_256
	.p2align	6
.LBB471_254:                            ;   in Loop: Header=BB471_256 Depth=1
	global_load_b32 v23, v[21:22], off
	global_load_b32 v24, v[19:20], off
	v_add_co_u32 v19, vcc_lo, v19, 4
	v_add_co_ci_u32_e32 v20, vcc_lo, 0, v20, vcc_lo
	v_add_co_u32 v21, s0, v21, 4
	s_delay_alu instid0(VALU_DEP_1)
	v_add_co_ci_u32_e64 v22, s0, 0, v22, s0
	s_add_u32 s6, s6, 1
	s_addc_u32 s7, s7, 0
	s_and_not1_b32 s0, s36, exec_lo
	s_waitcnt vmcnt(0)
	v_cmp_ne_u32_e32 vcc_lo, v23, v24
	s_and_b32 s36, vcc_lo, exec_lo
	s_delay_alu instid0(SALU_CYCLE_1)
	s_or_b32 s36, s0, s36
.LBB471_255:                            ;   in Loop: Header=BB471_256 Depth=1
	v_dual_mov_b32 v24, s7 :: v_dual_mov_b32 v23, s6
	s_and_b32 s0, exec_lo, s36
	s_delay_alu instid0(SALU_CYCLE_1) | instskip(NEXT) | instid1(SALU_CYCLE_1)
	s_or_b32 s35, s0, s35
	s_and_not1_b32 exec_lo, exec_lo, s35
	s_cbranch_execz .LBB471_258
.LBB471_256:                            ; =>This Inner Loop Header: Depth=1
	s_or_b32 s36, s36, exec_lo
	s_cmp_eq_u64 s[4:5], s[6:7]
	s_cbranch_scc0 .LBB471_254
; %bb.257:                              ;   in Loop: Header=BB471_256 Depth=1
	s_mov_b64 s[6:7], s[14:15]
                                        ; implicit-def: $vgpr19_vgpr20
                                        ; implicit-def: $vgpr21_vgpr22
	s_branch .LBB471_255
.LBB471_258:
	s_set_inst_prefetch_distance 0x2
	s_or_b32 exec_lo, exec_lo, s35
	v_cmp_gt_i64_e32 vcc_lo, s[14:15], v[23:24]
	s_or_not1_b32 s0, vcc_lo, exec_lo
.LBB471_259:
	s_or_b32 exec_lo, exec_lo, s34
.LBB471_260:
	v_cndmask_b32_e64 v20, 0, 1, s33
	v_cndmask_b32_e64 v21, 0, 1, s30
	;; [unrolled: 1-line block ×7, first 2 shown]
	v_lshlrev_b16 v21, 8, v21
	v_lshlrev_b16 v22, 8, v22
	;; [unrolled: 1-line block ×4, first 2 shown]
	s_waitcnt lgkmcnt(0)
	v_or_b32_e32 v21, v24, v21
	v_or_b32_e32 v22, v25, v22
	;; [unrolled: 1-line block ×4, first 2 shown]
	s_barrier
	v_and_b32_e32 v20, 0xffff, v21
	v_lshlrev_b32_e32 v21, 16, v22
	v_and_b32_e32 v22, 0xffff, v23
	v_lshlrev_b32_e32 v19, 16, v19
	buffer_gl0_inv
                                        ; implicit-def: $sgpr0
	v_or_b32_e32 v20, v20, v21
	v_or_b32_e32 v19, v22, v19
	s_and_saveexec_b32 s4, s3
	s_delay_alu instid0(SALU_CYCLE_1)
	s_xor_b32 s27, exec_lo, s4
	s_cbranch_execz .LBB471_271
; %bb.261:
	s_and_not1_b32 vcc_lo, exec_lo, s26
	s_mov_b32 s0, 0
	s_cbranch_vccnz .LBB471_270
; %bb.262:
	v_add_nc_u32_e32 v21, -8, v39
	v_lshlrev_b64 v[17:18], 2, v[17:18]
	s_mov_b32 s0, -1
	s_mov_b32 s28, exec_lo
	ds_load_b64 v[21:22], v21
	s_waitcnt lgkmcnt(0)
	v_mul_lo_u32 v24, v22, s14
	v_mul_lo_u32 v25, v21, s15
	v_mad_u64_u32 v[22:23], null, v21, s14, 0
	s_delay_alu instid0(VALU_DEP_1) | instskip(NEXT) | instid1(VALU_DEP_1)
	v_add3_u32 v23, v23, v25, v24
	v_lshlrev_b64 v[21:22], 2, v[22:23]
	s_delay_alu instid0(VALU_DEP_1) | instskip(NEXT) | instid1(VALU_DEP_2)
	v_add_co_u32 v21, vcc_lo, s16, v21
	v_add_co_ci_u32_e32 v22, vcc_lo, s17, v22, vcc_lo
	v_add_co_u32 v17, vcc_lo, s16, v17
	v_add_co_ci_u32_e32 v18, vcc_lo, s17, v18, vcc_lo
	s_clause 0x1
	global_load_b32 v23, v[21:22], off
	global_load_b32 v24, v[17:18], off
	s_waitcnt vmcnt(0)
	v_cmpx_eq_u32_e64 v23, v24
	s_cbranch_execz .LBB471_269
; %bb.263:
	v_add_co_u32 v17, vcc_lo, v17, 4
	v_add_co_ci_u32_e32 v18, vcc_lo, 0, v18, vcc_lo
	v_add_co_u32 v21, vcc_lo, v21, 4
	v_add_co_ci_u32_e32 v22, vcc_lo, 0, v22, vcc_lo
	s_add_u32 s4, s14, -1
	s_addc_u32 s5, s15, -1
	s_mov_b64 s[6:7], 0
	s_mov_b32 s29, 0
                                        ; implicit-def: $sgpr30
	s_set_inst_prefetch_distance 0x1
	s_branch .LBB471_266
	.p2align	6
.LBB471_264:                            ;   in Loop: Header=BB471_266 Depth=1
	global_load_b32 v23, v[21:22], off
	global_load_b32 v24, v[17:18], off
	v_add_co_u32 v17, vcc_lo, v17, 4
	v_add_co_ci_u32_e32 v18, vcc_lo, 0, v18, vcc_lo
	v_add_co_u32 v21, s0, v21, 4
	s_delay_alu instid0(VALU_DEP_1)
	v_add_co_ci_u32_e64 v22, s0, 0, v22, s0
	s_add_u32 s6, s6, 1
	s_addc_u32 s7, s7, 0
	s_and_not1_b32 s0, s30, exec_lo
	s_waitcnt vmcnt(0)
	v_cmp_ne_u32_e32 vcc_lo, v23, v24
	s_and_b32 s30, vcc_lo, exec_lo
	s_delay_alu instid0(SALU_CYCLE_1)
	s_or_b32 s30, s0, s30
.LBB471_265:                            ;   in Loop: Header=BB471_266 Depth=1
	v_dual_mov_b32 v24, s7 :: v_dual_mov_b32 v23, s6
	s_and_b32 s0, exec_lo, s30
	s_delay_alu instid0(SALU_CYCLE_1) | instskip(NEXT) | instid1(SALU_CYCLE_1)
	s_or_b32 s29, s0, s29
	s_and_not1_b32 exec_lo, exec_lo, s29
	s_cbranch_execz .LBB471_268
.LBB471_266:                            ; =>This Inner Loop Header: Depth=1
	s_or_b32 s30, s30, exec_lo
	s_cmp_eq_u64 s[4:5], s[6:7]
	s_cbranch_scc0 .LBB471_264
; %bb.267:                              ;   in Loop: Header=BB471_266 Depth=1
	s_mov_b64 s[6:7], s[14:15]
                                        ; implicit-def: $vgpr17_vgpr18
                                        ; implicit-def: $vgpr21_vgpr22
	s_branch .LBB471_265
.LBB471_268:
	s_set_inst_prefetch_distance 0x2
	s_or_b32 exec_lo, exec_lo, s29
	v_cmp_gt_i64_e32 vcc_lo, s[14:15], v[23:24]
	s_or_not1_b32 s0, vcc_lo, exec_lo
.LBB471_269:
	s_or_b32 exec_lo, exec_lo, s28
.LBB471_270:
	s_delay_alu instid0(SALU_CYCLE_1)
	s_and_b32 s0, s0, exec_lo
	s_or_b32 s25, s25, exec_lo
.LBB471_271:
	s_or_b32 exec_lo, exec_lo, s27
	s_branch .LBB471_363
.LBB471_272:
	s_waitcnt vmcnt(0) lgkmcnt(1)
	v_or_b32_e32 v17, 7, v39
	s_mov_b32 s27, 0
	s_mov_b32 s28, 0
	s_mov_b32 s29, exec_lo
	s_delay_alu instid0(VALU_DEP_1)
	v_cmpx_gt_u32_e64 s12, v17
	s_cbranch_execz .LBB471_283
; %bb.273:
	s_and_not1_b32 vcc_lo, exec_lo, s26
	s_mov_b32 s0, 0
	s_cbranch_vccnz .LBB471_282
; %bb.274:
	v_mul_lo_u32 v21, v2, s14
	v_mul_lo_u32 v22, v1, s15
	v_mad_u64_u32 v[17:18], null, v1, s14, 0
	v_mul_lo_u32 v23, v4, s14
	v_mul_lo_u32 v24, v3, s15
	v_mad_u64_u32 v[19:20], null, v3, s14, 0
	s_mov_b32 s0, -1
	s_mov_b32 s28, exec_lo
	s_delay_alu instid0(VALU_DEP_4) | instskip(NEXT) | instid1(VALU_DEP_2)
	v_add3_u32 v18, v18, v22, v21
	v_add3_u32 v20, v20, v24, v23
	s_delay_alu instid0(VALU_DEP_2) | instskip(NEXT) | instid1(VALU_DEP_2)
	v_lshlrev_b64 v[17:18], 2, v[17:18]
	v_lshlrev_b64 v[21:22], 2, v[19:20]
	s_delay_alu instid0(VALU_DEP_2) | instskip(NEXT) | instid1(VALU_DEP_3)
	v_add_co_u32 v19, vcc_lo, s16, v17
	v_add_co_ci_u32_e32 v20, vcc_lo, s17, v18, vcc_lo
	s_delay_alu instid0(VALU_DEP_3) | instskip(NEXT) | instid1(VALU_DEP_4)
	v_add_co_u32 v17, vcc_lo, s16, v21
	v_add_co_ci_u32_e32 v18, vcc_lo, s17, v22, vcc_lo
	s_clause 0x1
	global_load_b32 v21, v[19:20], off
	global_load_b32 v22, v[17:18], off
	s_waitcnt vmcnt(0)
	v_cmpx_eq_u32_e64 v21, v22
	s_cbranch_execz .LBB471_281
; %bb.275:
	v_add_co_u32 v17, vcc_lo, v17, 4
	v_add_co_ci_u32_e32 v18, vcc_lo, 0, v18, vcc_lo
	v_add_co_u32 v19, vcc_lo, v19, 4
	v_add_co_ci_u32_e32 v20, vcc_lo, 0, v20, vcc_lo
	s_add_u32 s4, s14, -1
	s_addc_u32 s5, s15, -1
	s_mov_b64 s[6:7], 0
	s_mov_b32 s30, 0
                                        ; implicit-def: $sgpr31
	s_set_inst_prefetch_distance 0x1
	s_branch .LBB471_278
	.p2align	6
.LBB471_276:                            ;   in Loop: Header=BB471_278 Depth=1
	global_load_b32 v21, v[19:20], off
	global_load_b32 v22, v[17:18], off
	v_add_co_u32 v17, vcc_lo, v17, 4
	v_add_co_ci_u32_e32 v18, vcc_lo, 0, v18, vcc_lo
	v_add_co_u32 v19, s0, v19, 4
	s_delay_alu instid0(VALU_DEP_1)
	v_add_co_ci_u32_e64 v20, s0, 0, v20, s0
	s_add_u32 s6, s6, 1
	s_addc_u32 s7, s7, 0
	s_and_not1_b32 s0, s31, exec_lo
	s_waitcnt vmcnt(0)
	v_cmp_ne_u32_e32 vcc_lo, v21, v22
	s_and_b32 s31, vcc_lo, exec_lo
	s_delay_alu instid0(SALU_CYCLE_1)
	s_or_b32 s31, s0, s31
.LBB471_277:                            ;   in Loop: Header=BB471_278 Depth=1
	v_dual_mov_b32 v22, s7 :: v_dual_mov_b32 v21, s6
	s_and_b32 s0, exec_lo, s31
	s_delay_alu instid0(SALU_CYCLE_1) | instskip(NEXT) | instid1(SALU_CYCLE_1)
	s_or_b32 s30, s0, s30
	s_and_not1_b32 exec_lo, exec_lo, s30
	s_cbranch_execz .LBB471_280
.LBB471_278:                            ; =>This Inner Loop Header: Depth=1
	s_or_b32 s31, s31, exec_lo
	s_cmp_eq_u64 s[4:5], s[6:7]
	s_cbranch_scc0 .LBB471_276
; %bb.279:                              ;   in Loop: Header=BB471_278 Depth=1
	s_mov_b64 s[6:7], s[14:15]
                                        ; implicit-def: $vgpr17_vgpr18
                                        ; implicit-def: $vgpr19_vgpr20
	s_branch .LBB471_277
.LBB471_280:
	s_set_inst_prefetch_distance 0x2
	s_or_b32 exec_lo, exec_lo, s30
	v_cmp_gt_i64_e32 vcc_lo, s[14:15], v[21:22]
	s_or_not1_b32 s0, vcc_lo, exec_lo
.LBB471_281:
	s_or_b32 exec_lo, exec_lo, s28
.LBB471_282:
	s_delay_alu instid0(SALU_CYCLE_1)
	s_and_b32 s28, s0, exec_lo
.LBB471_283:
	s_or_b32 exec_lo, exec_lo, s29
	v_or_b32_e32 v17, 6, v39
	s_mov_b32 s29, exec_lo
	s_delay_alu instid0(VALU_DEP_1)
	v_cmpx_gt_u32_e64 s12, v17
	s_cbranch_execz .LBB471_294
; %bb.284:
	s_and_not1_b32 vcc_lo, exec_lo, s26
	s_mov_b32 s0, 0
	s_cbranch_vccnz .LBB471_293
; %bb.285:
	v_mul_lo_u32 v21, v8, s14
	v_mul_lo_u32 v22, v7, s15
	v_mad_u64_u32 v[17:18], null, v7, s14, 0
	v_mul_lo_u32 v23, v2, s14
	v_mul_lo_u32 v24, v1, s15
	v_mad_u64_u32 v[19:20], null, v1, s14, 0
	s_mov_b32 s0, -1
	s_mov_b32 s27, exec_lo
	s_delay_alu instid0(VALU_DEP_4) | instskip(NEXT) | instid1(VALU_DEP_2)
	v_add3_u32 v18, v18, v22, v21
	v_add3_u32 v20, v20, v24, v23
	s_delay_alu instid0(VALU_DEP_2) | instskip(NEXT) | instid1(VALU_DEP_2)
	v_lshlrev_b64 v[17:18], 2, v[17:18]
	v_lshlrev_b64 v[21:22], 2, v[19:20]
	s_delay_alu instid0(VALU_DEP_2) | instskip(NEXT) | instid1(VALU_DEP_3)
	v_add_co_u32 v19, vcc_lo, s16, v17
	v_add_co_ci_u32_e32 v20, vcc_lo, s17, v18, vcc_lo
	s_delay_alu instid0(VALU_DEP_3) | instskip(NEXT) | instid1(VALU_DEP_4)
	v_add_co_u32 v17, vcc_lo, s16, v21
	v_add_co_ci_u32_e32 v18, vcc_lo, s17, v22, vcc_lo
	s_clause 0x1
	global_load_b32 v21, v[19:20], off
	global_load_b32 v22, v[17:18], off
	s_waitcnt vmcnt(0)
	v_cmpx_eq_u32_e64 v21, v22
	s_cbranch_execz .LBB471_292
; %bb.286:
	v_add_co_u32 v17, vcc_lo, v17, 4
	v_add_co_ci_u32_e32 v18, vcc_lo, 0, v18, vcc_lo
	v_add_co_u32 v19, vcc_lo, v19, 4
	v_add_co_ci_u32_e32 v20, vcc_lo, 0, v20, vcc_lo
	s_add_u32 s4, s14, -1
	s_addc_u32 s5, s15, -1
	s_mov_b64 s[6:7], 0
	s_mov_b32 s30, 0
                                        ; implicit-def: $sgpr31
	s_set_inst_prefetch_distance 0x1
	s_branch .LBB471_289
	.p2align	6
.LBB471_287:                            ;   in Loop: Header=BB471_289 Depth=1
	global_load_b32 v21, v[19:20], off
	global_load_b32 v22, v[17:18], off
	v_add_co_u32 v17, vcc_lo, v17, 4
	v_add_co_ci_u32_e32 v18, vcc_lo, 0, v18, vcc_lo
	v_add_co_u32 v19, s0, v19, 4
	s_delay_alu instid0(VALU_DEP_1)
	v_add_co_ci_u32_e64 v20, s0, 0, v20, s0
	s_add_u32 s6, s6, 1
	s_addc_u32 s7, s7, 0
	s_and_not1_b32 s0, s31, exec_lo
	s_waitcnt vmcnt(0)
	v_cmp_ne_u32_e32 vcc_lo, v21, v22
	s_and_b32 s31, vcc_lo, exec_lo
	s_delay_alu instid0(SALU_CYCLE_1)
	s_or_b32 s31, s0, s31
.LBB471_288:                            ;   in Loop: Header=BB471_289 Depth=1
	v_dual_mov_b32 v22, s7 :: v_dual_mov_b32 v21, s6
	s_and_b32 s0, exec_lo, s31
	s_delay_alu instid0(SALU_CYCLE_1) | instskip(NEXT) | instid1(SALU_CYCLE_1)
	s_or_b32 s30, s0, s30
	s_and_not1_b32 exec_lo, exec_lo, s30
	s_cbranch_execz .LBB471_291
.LBB471_289:                            ; =>This Inner Loop Header: Depth=1
	s_or_b32 s31, s31, exec_lo
	s_cmp_eq_u64 s[4:5], s[6:7]
	s_cbranch_scc0 .LBB471_287
; %bb.290:                              ;   in Loop: Header=BB471_289 Depth=1
	s_mov_b64 s[6:7], s[14:15]
                                        ; implicit-def: $vgpr17_vgpr18
                                        ; implicit-def: $vgpr19_vgpr20
	s_branch .LBB471_288
.LBB471_291:
	s_set_inst_prefetch_distance 0x2
	s_or_b32 exec_lo, exec_lo, s30
	v_cmp_gt_i64_e32 vcc_lo, s[14:15], v[21:22]
	s_or_not1_b32 s0, vcc_lo, exec_lo
.LBB471_292:
	s_or_b32 exec_lo, exec_lo, s27
.LBB471_293:
	s_delay_alu instid0(SALU_CYCLE_1)
	s_and_b32 s27, s0, exec_lo
.LBB471_294:
	s_or_b32 exec_lo, exec_lo, s29
	v_or_b32_e32 v17, 5, v39
	s_mov_b32 s29, 0
	s_mov_b32 s30, 0
	s_mov_b32 s31, exec_lo
	s_delay_alu instid0(VALU_DEP_1)
	v_cmpx_gt_u32_e64 s12, v17
	s_cbranch_execz .LBB471_305
; %bb.295:
	s_and_not1_b32 vcc_lo, exec_lo, s26
	s_mov_b32 s0, 0
	s_cbranch_vccnz .LBB471_304
; %bb.296:
	v_mul_lo_u32 v21, v6, s14
	v_mul_lo_u32 v22, v5, s15
	v_mad_u64_u32 v[17:18], null, v5, s14, 0
	v_mul_lo_u32 v23, v8, s14
	v_mul_lo_u32 v24, v7, s15
	v_mad_u64_u32 v[19:20], null, v7, s14, 0
	s_mov_b32 s0, -1
	s_mov_b32 s30, exec_lo
	s_delay_alu instid0(VALU_DEP_4) | instskip(NEXT) | instid1(VALU_DEP_2)
	v_add3_u32 v18, v18, v22, v21
	v_add3_u32 v20, v20, v24, v23
	s_delay_alu instid0(VALU_DEP_2) | instskip(NEXT) | instid1(VALU_DEP_2)
	v_lshlrev_b64 v[17:18], 2, v[17:18]
	v_lshlrev_b64 v[21:22], 2, v[19:20]
	s_delay_alu instid0(VALU_DEP_2) | instskip(NEXT) | instid1(VALU_DEP_3)
	v_add_co_u32 v19, vcc_lo, s16, v17
	v_add_co_ci_u32_e32 v20, vcc_lo, s17, v18, vcc_lo
	s_delay_alu instid0(VALU_DEP_3) | instskip(NEXT) | instid1(VALU_DEP_4)
	v_add_co_u32 v17, vcc_lo, s16, v21
	v_add_co_ci_u32_e32 v18, vcc_lo, s17, v22, vcc_lo
	s_clause 0x1
	global_load_b32 v21, v[19:20], off
	global_load_b32 v22, v[17:18], off
	s_waitcnt vmcnt(0)
	v_cmpx_eq_u32_e64 v21, v22
	s_cbranch_execz .LBB471_303
; %bb.297:
	v_add_co_u32 v17, vcc_lo, v17, 4
	v_add_co_ci_u32_e32 v18, vcc_lo, 0, v18, vcc_lo
	v_add_co_u32 v19, vcc_lo, v19, 4
	v_add_co_ci_u32_e32 v20, vcc_lo, 0, v20, vcc_lo
	s_add_u32 s4, s14, -1
	s_addc_u32 s5, s15, -1
	s_mov_b64 s[6:7], 0
	s_mov_b32 s33, 0
                                        ; implicit-def: $sgpr34
	s_set_inst_prefetch_distance 0x1
	s_branch .LBB471_300
	.p2align	6
.LBB471_298:                            ;   in Loop: Header=BB471_300 Depth=1
	global_load_b32 v21, v[19:20], off
	global_load_b32 v22, v[17:18], off
	v_add_co_u32 v17, vcc_lo, v17, 4
	v_add_co_ci_u32_e32 v18, vcc_lo, 0, v18, vcc_lo
	v_add_co_u32 v19, s0, v19, 4
	s_delay_alu instid0(VALU_DEP_1)
	v_add_co_ci_u32_e64 v20, s0, 0, v20, s0
	s_add_u32 s6, s6, 1
	s_addc_u32 s7, s7, 0
	s_and_not1_b32 s0, s34, exec_lo
	s_waitcnt vmcnt(0)
	v_cmp_ne_u32_e32 vcc_lo, v21, v22
	s_and_b32 s34, vcc_lo, exec_lo
	s_delay_alu instid0(SALU_CYCLE_1)
	s_or_b32 s34, s0, s34
.LBB471_299:                            ;   in Loop: Header=BB471_300 Depth=1
	v_dual_mov_b32 v22, s7 :: v_dual_mov_b32 v21, s6
	s_and_b32 s0, exec_lo, s34
	s_delay_alu instid0(SALU_CYCLE_1) | instskip(NEXT) | instid1(SALU_CYCLE_1)
	s_or_b32 s33, s0, s33
	s_and_not1_b32 exec_lo, exec_lo, s33
	s_cbranch_execz .LBB471_302
.LBB471_300:                            ; =>This Inner Loop Header: Depth=1
	s_or_b32 s34, s34, exec_lo
	s_cmp_eq_u64 s[4:5], s[6:7]
	s_cbranch_scc0 .LBB471_298
; %bb.301:                              ;   in Loop: Header=BB471_300 Depth=1
	s_mov_b64 s[6:7], s[14:15]
                                        ; implicit-def: $vgpr17_vgpr18
                                        ; implicit-def: $vgpr19_vgpr20
	s_branch .LBB471_299
.LBB471_302:
	s_set_inst_prefetch_distance 0x2
	s_or_b32 exec_lo, exec_lo, s33
	v_cmp_gt_i64_e32 vcc_lo, s[14:15], v[21:22]
	s_or_not1_b32 s0, vcc_lo, exec_lo
.LBB471_303:
	s_or_b32 exec_lo, exec_lo, s30
.LBB471_304:
	s_delay_alu instid0(SALU_CYCLE_1)
	s_and_b32 s30, s0, exec_lo
.LBB471_305:
	s_or_b32 exec_lo, exec_lo, s31
	v_or_b32_e32 v17, 4, v39
	s_mov_b32 s31, exec_lo
	s_delay_alu instid0(VALU_DEP_1)
	v_cmpx_gt_u32_e64 s12, v17
	s_cbranch_execz .LBB471_316
; %bb.306:
	s_and_not1_b32 vcc_lo, exec_lo, s26
	s_mov_b32 s0, 0
	s_cbranch_vccnz .LBB471_315
; %bb.307:
	v_mul_lo_u32 v21, v12, s14
	v_mul_lo_u32 v22, v11, s15
	v_mad_u64_u32 v[17:18], null, v11, s14, 0
	v_mul_lo_u32 v23, v6, s14
	v_mul_lo_u32 v24, v5, s15
	v_mad_u64_u32 v[19:20], null, v5, s14, 0
	s_mov_b32 s0, -1
	s_mov_b32 s29, exec_lo
	s_delay_alu instid0(VALU_DEP_4) | instskip(NEXT) | instid1(VALU_DEP_2)
	v_add3_u32 v18, v18, v22, v21
	v_add3_u32 v20, v20, v24, v23
	s_delay_alu instid0(VALU_DEP_2) | instskip(NEXT) | instid1(VALU_DEP_2)
	v_lshlrev_b64 v[17:18], 2, v[17:18]
	v_lshlrev_b64 v[21:22], 2, v[19:20]
	s_delay_alu instid0(VALU_DEP_2) | instskip(NEXT) | instid1(VALU_DEP_3)
	v_add_co_u32 v19, vcc_lo, s16, v17
	v_add_co_ci_u32_e32 v20, vcc_lo, s17, v18, vcc_lo
	s_delay_alu instid0(VALU_DEP_3) | instskip(NEXT) | instid1(VALU_DEP_4)
	v_add_co_u32 v17, vcc_lo, s16, v21
	v_add_co_ci_u32_e32 v18, vcc_lo, s17, v22, vcc_lo
	s_clause 0x1
	global_load_b32 v21, v[19:20], off
	global_load_b32 v22, v[17:18], off
	s_waitcnt vmcnt(0)
	v_cmpx_eq_u32_e64 v21, v22
	s_cbranch_execz .LBB471_314
; %bb.308:
	v_add_co_u32 v17, vcc_lo, v17, 4
	v_add_co_ci_u32_e32 v18, vcc_lo, 0, v18, vcc_lo
	v_add_co_u32 v19, vcc_lo, v19, 4
	v_add_co_ci_u32_e32 v20, vcc_lo, 0, v20, vcc_lo
	s_add_u32 s4, s14, -1
	s_addc_u32 s5, s15, -1
	s_mov_b64 s[6:7], 0
	s_mov_b32 s33, 0
                                        ; implicit-def: $sgpr34
	s_set_inst_prefetch_distance 0x1
	s_branch .LBB471_311
	.p2align	6
.LBB471_309:                            ;   in Loop: Header=BB471_311 Depth=1
	global_load_b32 v21, v[19:20], off
	global_load_b32 v22, v[17:18], off
	v_add_co_u32 v17, vcc_lo, v17, 4
	v_add_co_ci_u32_e32 v18, vcc_lo, 0, v18, vcc_lo
	v_add_co_u32 v19, s0, v19, 4
	s_delay_alu instid0(VALU_DEP_1)
	v_add_co_ci_u32_e64 v20, s0, 0, v20, s0
	s_add_u32 s6, s6, 1
	s_addc_u32 s7, s7, 0
	s_and_not1_b32 s0, s34, exec_lo
	s_waitcnt vmcnt(0)
	v_cmp_ne_u32_e32 vcc_lo, v21, v22
	s_and_b32 s34, vcc_lo, exec_lo
	s_delay_alu instid0(SALU_CYCLE_1)
	s_or_b32 s34, s0, s34
.LBB471_310:                            ;   in Loop: Header=BB471_311 Depth=1
	v_dual_mov_b32 v22, s7 :: v_dual_mov_b32 v21, s6
	s_and_b32 s0, exec_lo, s34
	s_delay_alu instid0(SALU_CYCLE_1) | instskip(NEXT) | instid1(SALU_CYCLE_1)
	s_or_b32 s33, s0, s33
	s_and_not1_b32 exec_lo, exec_lo, s33
	s_cbranch_execz .LBB471_313
.LBB471_311:                            ; =>This Inner Loop Header: Depth=1
	s_or_b32 s34, s34, exec_lo
	s_cmp_eq_u64 s[4:5], s[6:7]
	s_cbranch_scc0 .LBB471_309
; %bb.312:                              ;   in Loop: Header=BB471_311 Depth=1
	s_mov_b64 s[6:7], s[14:15]
                                        ; implicit-def: $vgpr17_vgpr18
                                        ; implicit-def: $vgpr19_vgpr20
	s_branch .LBB471_310
.LBB471_313:
	s_set_inst_prefetch_distance 0x2
	s_or_b32 exec_lo, exec_lo, s33
	v_cmp_gt_i64_e32 vcc_lo, s[14:15], v[21:22]
	s_or_not1_b32 s0, vcc_lo, exec_lo
.LBB471_314:
	s_or_b32 exec_lo, exec_lo, s29
.LBB471_315:
	s_delay_alu instid0(SALU_CYCLE_1)
	s_and_b32 s29, s0, exec_lo
.LBB471_316:
	s_or_b32 exec_lo, exec_lo, s31
	v_or_b32_e32 v17, 3, v39
	s_mov_b32 s33, 0
	s_mov_b32 s31, 0
	s_mov_b32 s34, exec_lo
	s_delay_alu instid0(VALU_DEP_1)
	v_cmpx_gt_u32_e64 s12, v17
	s_cbranch_execz .LBB471_327
; %bb.317:
	s_and_not1_b32 vcc_lo, exec_lo, s26
	s_mov_b32 s0, 0
	s_cbranch_vccnz .LBB471_326
; %bb.318:
	v_mul_lo_u32 v21, v10, s14
	v_mul_lo_u32 v22, v9, s15
	v_mad_u64_u32 v[17:18], null, v9, s14, 0
	v_mul_lo_u32 v23, v12, s14
	v_mul_lo_u32 v24, v11, s15
	v_mad_u64_u32 v[19:20], null, v11, s14, 0
	s_mov_b32 s0, -1
	s_mov_b32 s31, exec_lo
	s_delay_alu instid0(VALU_DEP_4) | instskip(NEXT) | instid1(VALU_DEP_2)
	v_add3_u32 v18, v18, v22, v21
	v_add3_u32 v20, v20, v24, v23
	s_delay_alu instid0(VALU_DEP_2) | instskip(NEXT) | instid1(VALU_DEP_2)
	v_lshlrev_b64 v[17:18], 2, v[17:18]
	v_lshlrev_b64 v[21:22], 2, v[19:20]
	s_delay_alu instid0(VALU_DEP_2) | instskip(NEXT) | instid1(VALU_DEP_3)
	v_add_co_u32 v19, vcc_lo, s16, v17
	v_add_co_ci_u32_e32 v20, vcc_lo, s17, v18, vcc_lo
	s_delay_alu instid0(VALU_DEP_3) | instskip(NEXT) | instid1(VALU_DEP_4)
	v_add_co_u32 v17, vcc_lo, s16, v21
	v_add_co_ci_u32_e32 v18, vcc_lo, s17, v22, vcc_lo
	s_clause 0x1
	global_load_b32 v21, v[19:20], off
	global_load_b32 v22, v[17:18], off
	s_waitcnt vmcnt(0)
	v_cmpx_eq_u32_e64 v21, v22
	s_cbranch_execz .LBB471_325
; %bb.319:
	v_add_co_u32 v17, vcc_lo, v17, 4
	v_add_co_ci_u32_e32 v18, vcc_lo, 0, v18, vcc_lo
	v_add_co_u32 v19, vcc_lo, v19, 4
	v_add_co_ci_u32_e32 v20, vcc_lo, 0, v20, vcc_lo
	s_add_u32 s4, s14, -1
	s_addc_u32 s5, s15, -1
	s_mov_b64 s[6:7], 0
	s_mov_b32 s35, 0
                                        ; implicit-def: $sgpr36
	s_set_inst_prefetch_distance 0x1
	s_branch .LBB471_322
	.p2align	6
.LBB471_320:                            ;   in Loop: Header=BB471_322 Depth=1
	global_load_b32 v21, v[19:20], off
	global_load_b32 v22, v[17:18], off
	v_add_co_u32 v17, vcc_lo, v17, 4
	v_add_co_ci_u32_e32 v18, vcc_lo, 0, v18, vcc_lo
	v_add_co_u32 v19, s0, v19, 4
	s_delay_alu instid0(VALU_DEP_1)
	v_add_co_ci_u32_e64 v20, s0, 0, v20, s0
	s_add_u32 s6, s6, 1
	s_addc_u32 s7, s7, 0
	s_and_not1_b32 s0, s36, exec_lo
	s_waitcnt vmcnt(0)
	v_cmp_ne_u32_e32 vcc_lo, v21, v22
	s_and_b32 s36, vcc_lo, exec_lo
	s_delay_alu instid0(SALU_CYCLE_1)
	s_or_b32 s36, s0, s36
.LBB471_321:                            ;   in Loop: Header=BB471_322 Depth=1
	v_dual_mov_b32 v22, s7 :: v_dual_mov_b32 v21, s6
	s_and_b32 s0, exec_lo, s36
	s_delay_alu instid0(SALU_CYCLE_1) | instskip(NEXT) | instid1(SALU_CYCLE_1)
	s_or_b32 s35, s0, s35
	s_and_not1_b32 exec_lo, exec_lo, s35
	s_cbranch_execz .LBB471_324
.LBB471_322:                            ; =>This Inner Loop Header: Depth=1
	s_or_b32 s36, s36, exec_lo
	s_cmp_eq_u64 s[4:5], s[6:7]
	s_cbranch_scc0 .LBB471_320
; %bb.323:                              ;   in Loop: Header=BB471_322 Depth=1
	s_mov_b64 s[6:7], s[14:15]
                                        ; implicit-def: $vgpr17_vgpr18
                                        ; implicit-def: $vgpr19_vgpr20
	s_branch .LBB471_321
.LBB471_324:
	s_set_inst_prefetch_distance 0x2
	s_or_b32 exec_lo, exec_lo, s35
	v_cmp_gt_i64_e32 vcc_lo, s[14:15], v[21:22]
	s_or_not1_b32 s0, vcc_lo, exec_lo
.LBB471_325:
	s_or_b32 exec_lo, exec_lo, s31
.LBB471_326:
	s_delay_alu instid0(SALU_CYCLE_1)
	s_and_b32 s31, s0, exec_lo
.LBB471_327:
	s_or_b32 exec_lo, exec_lo, s34
	v_or_b32_e32 v17, 2, v39
	s_mov_b32 s34, exec_lo
	s_delay_alu instid0(VALU_DEP_1)
	v_cmpx_gt_u32_e64 s12, v17
	s_cbranch_execz .LBB471_338
; %bb.328:
	s_and_not1_b32 vcc_lo, exec_lo, s26
	s_mov_b32 s0, 0
	s_cbranch_vccnz .LBB471_337
; %bb.329:
	v_mul_lo_u32 v21, v16, s14
	v_mul_lo_u32 v22, v15, s15
	v_mad_u64_u32 v[17:18], null, v15, s14, 0
	v_mul_lo_u32 v23, v10, s14
	v_mul_lo_u32 v24, v9, s15
	v_mad_u64_u32 v[19:20], null, v9, s14, 0
	s_mov_b32 s0, -1
	s_mov_b32 s33, exec_lo
	s_delay_alu instid0(VALU_DEP_4) | instskip(NEXT) | instid1(VALU_DEP_2)
	v_add3_u32 v18, v18, v22, v21
	v_add3_u32 v20, v20, v24, v23
	s_delay_alu instid0(VALU_DEP_2) | instskip(NEXT) | instid1(VALU_DEP_2)
	v_lshlrev_b64 v[17:18], 2, v[17:18]
	v_lshlrev_b64 v[21:22], 2, v[19:20]
	s_delay_alu instid0(VALU_DEP_2) | instskip(NEXT) | instid1(VALU_DEP_3)
	v_add_co_u32 v19, vcc_lo, s16, v17
	v_add_co_ci_u32_e32 v20, vcc_lo, s17, v18, vcc_lo
	s_delay_alu instid0(VALU_DEP_3) | instskip(NEXT) | instid1(VALU_DEP_4)
	v_add_co_u32 v17, vcc_lo, s16, v21
	v_add_co_ci_u32_e32 v18, vcc_lo, s17, v22, vcc_lo
	s_clause 0x1
	global_load_b32 v21, v[19:20], off
	global_load_b32 v22, v[17:18], off
	s_waitcnt vmcnt(0)
	v_cmpx_eq_u32_e64 v21, v22
	s_cbranch_execz .LBB471_336
; %bb.330:
	v_add_co_u32 v17, vcc_lo, v17, 4
	v_add_co_ci_u32_e32 v18, vcc_lo, 0, v18, vcc_lo
	v_add_co_u32 v19, vcc_lo, v19, 4
	v_add_co_ci_u32_e32 v20, vcc_lo, 0, v20, vcc_lo
	s_add_u32 s4, s14, -1
	s_addc_u32 s5, s15, -1
	s_mov_b64 s[6:7], 0
	s_mov_b32 s35, 0
                                        ; implicit-def: $sgpr36
	s_set_inst_prefetch_distance 0x1
	s_branch .LBB471_333
	.p2align	6
.LBB471_331:                            ;   in Loop: Header=BB471_333 Depth=1
	global_load_b32 v21, v[19:20], off
	global_load_b32 v22, v[17:18], off
	v_add_co_u32 v17, vcc_lo, v17, 4
	v_add_co_ci_u32_e32 v18, vcc_lo, 0, v18, vcc_lo
	v_add_co_u32 v19, s0, v19, 4
	s_delay_alu instid0(VALU_DEP_1)
	v_add_co_ci_u32_e64 v20, s0, 0, v20, s0
	s_add_u32 s6, s6, 1
	s_addc_u32 s7, s7, 0
	s_and_not1_b32 s0, s36, exec_lo
	s_waitcnt vmcnt(0)
	v_cmp_ne_u32_e32 vcc_lo, v21, v22
	s_and_b32 s36, vcc_lo, exec_lo
	s_delay_alu instid0(SALU_CYCLE_1)
	s_or_b32 s36, s0, s36
.LBB471_332:                            ;   in Loop: Header=BB471_333 Depth=1
	v_dual_mov_b32 v22, s7 :: v_dual_mov_b32 v21, s6
	s_and_b32 s0, exec_lo, s36
	s_delay_alu instid0(SALU_CYCLE_1) | instskip(NEXT) | instid1(SALU_CYCLE_1)
	s_or_b32 s35, s0, s35
	s_and_not1_b32 exec_lo, exec_lo, s35
	s_cbranch_execz .LBB471_335
.LBB471_333:                            ; =>This Inner Loop Header: Depth=1
	s_or_b32 s36, s36, exec_lo
	s_cmp_eq_u64 s[4:5], s[6:7]
	s_cbranch_scc0 .LBB471_331
; %bb.334:                              ;   in Loop: Header=BB471_333 Depth=1
	s_mov_b64 s[6:7], s[14:15]
                                        ; implicit-def: $vgpr17_vgpr18
                                        ; implicit-def: $vgpr19_vgpr20
	s_branch .LBB471_332
.LBB471_335:
	s_set_inst_prefetch_distance 0x2
	s_or_b32 exec_lo, exec_lo, s35
	v_cmp_gt_i64_e32 vcc_lo, s[14:15], v[21:22]
	s_or_not1_b32 s0, vcc_lo, exec_lo
.LBB471_336:
	s_or_b32 exec_lo, exec_lo, s33
.LBB471_337:
	s_delay_alu instid0(SALU_CYCLE_1)
	s_and_b32 s33, s0, exec_lo
.LBB471_338:
	s_or_b32 exec_lo, exec_lo, s34
	v_or_b32_e32 v17, 1, v39
	s_mov_b32 s0, 0
	s_mov_b32 s34, exec_lo
	s_delay_alu instid0(VALU_DEP_1)
	v_cmpx_gt_u32_e64 s12, v17
	s_cbranch_execz .LBB471_349
; %bb.339:
	s_and_not1_b32 vcc_lo, exec_lo, s26
	s_cbranch_vccnz .LBB471_348
; %bb.340:
	v_mul_lo_u32 v21, v14, s14
	v_mul_lo_u32 v22, v13, s15
	v_mad_u64_u32 v[17:18], null, v13, s14, 0
	v_mul_lo_u32 v23, v16, s14
	v_mul_lo_u32 v24, v15, s15
	v_mad_u64_u32 v[19:20], null, v15, s14, 0
	s_mov_b32 s0, -1
	s_mov_b32 s35, exec_lo
	s_delay_alu instid0(VALU_DEP_4) | instskip(NEXT) | instid1(VALU_DEP_2)
	v_add3_u32 v18, v18, v22, v21
	v_add3_u32 v20, v20, v24, v23
	s_delay_alu instid0(VALU_DEP_2) | instskip(NEXT) | instid1(VALU_DEP_2)
	v_lshlrev_b64 v[17:18], 2, v[17:18]
	v_lshlrev_b64 v[21:22], 2, v[19:20]
	s_delay_alu instid0(VALU_DEP_2) | instskip(NEXT) | instid1(VALU_DEP_3)
	v_add_co_u32 v19, vcc_lo, s16, v17
	v_add_co_ci_u32_e32 v20, vcc_lo, s17, v18, vcc_lo
	s_delay_alu instid0(VALU_DEP_3) | instskip(NEXT) | instid1(VALU_DEP_4)
	v_add_co_u32 v17, vcc_lo, s16, v21
	v_add_co_ci_u32_e32 v18, vcc_lo, s17, v22, vcc_lo
	s_clause 0x1
	global_load_b32 v21, v[19:20], off
	global_load_b32 v22, v[17:18], off
	s_waitcnt vmcnt(0)
	v_cmpx_eq_u32_e64 v21, v22
	s_cbranch_execz .LBB471_347
; %bb.341:
	v_add_co_u32 v17, vcc_lo, v17, 4
	v_add_co_ci_u32_e32 v18, vcc_lo, 0, v18, vcc_lo
	v_add_co_u32 v19, vcc_lo, v19, 4
	v_add_co_ci_u32_e32 v20, vcc_lo, 0, v20, vcc_lo
	s_add_u32 s4, s14, -1
	s_addc_u32 s5, s15, -1
	s_mov_b64 s[6:7], 0
	s_mov_b32 s36, 0
                                        ; implicit-def: $sgpr37
	s_set_inst_prefetch_distance 0x1
	s_branch .LBB471_344
	.p2align	6
.LBB471_342:                            ;   in Loop: Header=BB471_344 Depth=1
	global_load_b32 v21, v[19:20], off
	global_load_b32 v22, v[17:18], off
	v_add_co_u32 v17, vcc_lo, v17, 4
	v_add_co_ci_u32_e32 v18, vcc_lo, 0, v18, vcc_lo
	v_add_co_u32 v19, s0, v19, 4
	s_delay_alu instid0(VALU_DEP_1)
	v_add_co_ci_u32_e64 v20, s0, 0, v20, s0
	s_add_u32 s6, s6, 1
	s_addc_u32 s7, s7, 0
	s_and_not1_b32 s0, s37, exec_lo
	s_waitcnt vmcnt(0)
	v_cmp_ne_u32_e32 vcc_lo, v21, v22
	s_and_b32 s37, vcc_lo, exec_lo
	s_delay_alu instid0(SALU_CYCLE_1)
	s_or_b32 s37, s0, s37
.LBB471_343:                            ;   in Loop: Header=BB471_344 Depth=1
	v_dual_mov_b32 v22, s7 :: v_dual_mov_b32 v21, s6
	s_and_b32 s0, exec_lo, s37
	s_delay_alu instid0(SALU_CYCLE_1) | instskip(NEXT) | instid1(SALU_CYCLE_1)
	s_or_b32 s36, s0, s36
	s_and_not1_b32 exec_lo, exec_lo, s36
	s_cbranch_execz .LBB471_346
.LBB471_344:                            ; =>This Inner Loop Header: Depth=1
	s_or_b32 s37, s37, exec_lo
	s_cmp_eq_u64 s[4:5], s[6:7]
	s_cbranch_scc0 .LBB471_342
; %bb.345:                              ;   in Loop: Header=BB471_344 Depth=1
	s_mov_b64 s[6:7], s[14:15]
                                        ; implicit-def: $vgpr17_vgpr18
                                        ; implicit-def: $vgpr19_vgpr20
	s_branch .LBB471_343
.LBB471_346:
	s_set_inst_prefetch_distance 0x2
	s_or_b32 exec_lo, exec_lo, s36
	v_cmp_gt_i64_e32 vcc_lo, s[14:15], v[21:22]
	s_or_not1_b32 s0, vcc_lo, exec_lo
.LBB471_347:
	s_or_b32 exec_lo, exec_lo, s35
.LBB471_348:
	s_delay_alu instid0(SALU_CYCLE_1)
	s_and_b32 s0, s0, exec_lo
.LBB471_349:
	s_or_b32 exec_lo, exec_lo, s34
	v_cndmask_b32_e64 v18, 0, 1, s31
	v_cndmask_b32_e64 v19, 0, 1, s30
	;; [unrolled: 1-line block ×7, first 2 shown]
	v_lshlrev_b16 v19, 8, v19
	v_lshlrev_b16 v20, 8, v20
	;; [unrolled: 1-line block ×4, first 2 shown]
	s_waitcnt lgkmcnt(0)
	v_or_b32_e32 v19, v22, v19
	v_or_b32_e32 v20, v23, v20
	v_or_b32_e32 v21, 1, v21
	v_or_b32_e32 v17, v17, v18
	s_barrier
	v_and_b32_e32 v18, 0xffff, v19
	v_lshlrev_b32_e32 v19, 16, v20
	v_and_b32_e32 v21, 0xffff, v21
	v_lshlrev_b32_e32 v17, 16, v17
	buffer_gl0_inv
                                        ; implicit-def: $sgpr0
	v_or_b32_e32 v20, v18, v19
	v_or_b32_e32 v19, v21, v17
	s_and_saveexec_b32 s27, s3
	s_cbranch_execz .LBB471_362
; %bb.350:
	s_mov_b32 s0, 0
	s_mov_b32 s3, exec_lo
	v_cmpx_gt_u32_e64 s12, v39
	s_cbranch_execz .LBB471_361
; %bb.351:
	s_and_not1_b32 vcc_lo, exec_lo, s26
	s_cbranch_vccnz .LBB471_360
; %bb.352:
	v_add_nc_u32_e32 v17, -8, v39
	v_mul_lo_u32 v25, v14, s14
	v_mul_lo_u32 v26, v13, s15
	s_mov_b32 s0, -1
	ds_load_b64 v[17:18], v17
	s_waitcnt lgkmcnt(0)
	v_mul_lo_u32 v23, v18, s14
	v_mul_lo_u32 v24, v17, s15
	v_mad_u64_u32 v[21:22], null, v17, s14, 0
	v_mad_u64_u32 v[17:18], null, v13, s14, 0
	s_delay_alu instid0(VALU_DEP_2) | instskip(NEXT) | instid1(VALU_DEP_2)
	v_add3_u32 v22, v22, v24, v23
	v_add3_u32 v18, v18, v26, v25
	s_delay_alu instid0(VALU_DEP_2) | instskip(NEXT) | instid1(VALU_DEP_2)
	v_lshlrev_b64 v[21:22], 2, v[21:22]
	v_lshlrev_b64 v[17:18], 2, v[17:18]
	s_delay_alu instid0(VALU_DEP_2) | instskip(NEXT) | instid1(VALU_DEP_3)
	v_add_co_u32 v21, vcc_lo, s16, v21
	v_add_co_ci_u32_e32 v22, vcc_lo, s17, v22, vcc_lo
	s_delay_alu instid0(VALU_DEP_3) | instskip(NEXT) | instid1(VALU_DEP_4)
	v_add_co_u32 v17, vcc_lo, s16, v17
	v_add_co_ci_u32_e32 v18, vcc_lo, s17, v18, vcc_lo
	s_clause 0x1
	global_load_b32 v23, v[21:22], off
	global_load_b32 v24, v[17:18], off
	s_mov_b32 s16, exec_lo
	s_waitcnt vmcnt(0)
	v_cmpx_eq_u32_e64 v23, v24
	s_cbranch_execz .LBB471_359
; %bb.353:
	v_add_co_u32 v17, vcc_lo, v17, 4
	v_add_co_ci_u32_e32 v18, vcc_lo, 0, v18, vcc_lo
	v_add_co_u32 v21, vcc_lo, v21, 4
	v_add_co_ci_u32_e32 v22, vcc_lo, 0, v22, vcc_lo
	s_add_u32 s4, s14, -1
	s_addc_u32 s5, s15, -1
	s_mov_b64 s[6:7], 0
	s_mov_b32 s17, 0
                                        ; implicit-def: $sgpr26
	s_set_inst_prefetch_distance 0x1
	s_branch .LBB471_356
	.p2align	6
.LBB471_354:                            ;   in Loop: Header=BB471_356 Depth=1
	global_load_b32 v23, v[21:22], off
	global_load_b32 v24, v[17:18], off
	v_add_co_u32 v17, vcc_lo, v17, 4
	v_add_co_ci_u32_e32 v18, vcc_lo, 0, v18, vcc_lo
	v_add_co_u32 v21, s0, v21, 4
	s_delay_alu instid0(VALU_DEP_1)
	v_add_co_ci_u32_e64 v22, s0, 0, v22, s0
	s_add_u32 s6, s6, 1
	s_addc_u32 s7, s7, 0
	s_and_not1_b32 s0, s26, exec_lo
	s_waitcnt vmcnt(0)
	v_cmp_ne_u32_e32 vcc_lo, v23, v24
	s_and_b32 s26, vcc_lo, exec_lo
	s_delay_alu instid0(SALU_CYCLE_1)
	s_or_b32 s26, s0, s26
.LBB471_355:                            ;   in Loop: Header=BB471_356 Depth=1
	v_dual_mov_b32 v24, s7 :: v_dual_mov_b32 v23, s6
	s_and_b32 s0, exec_lo, s26
	s_delay_alu instid0(SALU_CYCLE_1) | instskip(NEXT) | instid1(SALU_CYCLE_1)
	s_or_b32 s17, s0, s17
	s_and_not1_b32 exec_lo, exec_lo, s17
	s_cbranch_execz .LBB471_358
.LBB471_356:                            ; =>This Inner Loop Header: Depth=1
	s_or_b32 s26, s26, exec_lo
	s_cmp_eq_u64 s[4:5], s[6:7]
	s_cbranch_scc0 .LBB471_354
; %bb.357:                              ;   in Loop: Header=BB471_356 Depth=1
	s_mov_b64 s[6:7], s[14:15]
                                        ; implicit-def: $vgpr17_vgpr18
                                        ; implicit-def: $vgpr21_vgpr22
	s_branch .LBB471_355
.LBB471_358:
	s_set_inst_prefetch_distance 0x2
	s_or_b32 exec_lo, exec_lo, s17
	v_cmp_gt_i64_e32 vcc_lo, s[14:15], v[23:24]
	s_or_not1_b32 s0, vcc_lo, exec_lo
.LBB471_359:
	s_or_b32 exec_lo, exec_lo, s16
.LBB471_360:
	s_delay_alu instid0(SALU_CYCLE_1)
	s_and_b32 s0, s0, exec_lo
.LBB471_361:
	s_or_b32 exec_lo, exec_lo, s3
	s_delay_alu instid0(SALU_CYCLE_1)
	s_and_b32 s0, s0, exec_lo
	s_or_b32 s25, s25, exec_lo
.LBB471_362:
	s_or_b32 exec_lo, exec_lo, s27
.LBB471_363:
	s_and_saveexec_b32 s3, s25
	s_cbranch_execz .LBB471_365
; %bb.364:
	s_waitcnt vmcnt(0) lgkmcnt(0)
	v_and_b32_e32 v17, 0xffffff00, v19
	v_cndmask_b32_e64 v18, 0, 1, s0
	s_delay_alu instid0(VALU_DEP_1) | instskip(NEXT) | instid1(VALU_DEP_1)
	v_or_b32_e32 v17, v18, v17
	v_and_b32_e32 v17, 0xffff, v17
	s_delay_alu instid0(VALU_DEP_1)
	v_and_or_b32 v19, 0xffff0000, v19, v17
.LBB471_365:
	s_or_b32 exec_lo, exec_lo, s3
	s_delay_alu instid0(SALU_CYCLE_1)
	s_and_not1_b32 vcc_lo, exec_lo, s1
	s_cbranch_vccnz .LBB471_367
; %bb.366:
	v_cmp_gt_u32_e32 vcc_lo, s12, v39
	s_waitcnt vmcnt(0) lgkmcnt(0)
	v_or_b32_e32 v18, 1, v39
	v_and_b32_e32 v21, 0xffffff00, v20
	v_or_b32_e32 v22, 2, v39
	v_cndmask_b32_e32 v17, 0, v19, vcc_lo
	s_delay_alu instid0(VALU_DEP_4) | instskip(SKIP_1) | instid1(VALU_DEP_4)
	v_cmp_gt_u32_e32 vcc_lo, s12, v18
	v_or_b32_e32 v18, 4, v39
	v_cmp_gt_u32_e64 s0, s12, v22
	v_or_b32_e32 v22, 3, v39
	v_and_b32_e32 v17, 0xff, v17
	s_delay_alu instid0(VALU_DEP_2) | instskip(NEXT) | instid1(VALU_DEP_2)
	v_cmp_gt_u32_e64 s1, s12, v22
	v_cndmask_b32_e32 v17, v17, v19, vcc_lo
	v_cmp_gt_u32_e32 vcc_lo, s12, v18
	v_cndmask_b32_e32 v18, v21, v20, vcc_lo
	v_or_b32_e32 v21, 5, v39
	s_delay_alu instid0(VALU_DEP_2) | instskip(SKIP_1) | instid1(VALU_DEP_1)
	v_and_b32_e32 v18, 0xffff00ff, v18
	v_and_b32_e32 v17, 0xffff, v17
	v_cndmask_b32_e64 v17, v17, v19, s0
	s_delay_alu instid0(VALU_DEP_4) | instskip(SKIP_1) | instid1(VALU_DEP_3)
	v_cmp_gt_u32_e64 s0, s12, v21
	v_or_b32_e32 v21, 6, v39
	v_and_b32_e32 v17, 0xffffff, v17
	s_delay_alu instid0(VALU_DEP_3) | instskip(NEXT) | instid1(VALU_DEP_2)
	v_cndmask_b32_e64 v18, v18, v20, s0
	v_cndmask_b32_e64 v17, v17, v19, s1
	s_delay_alu instid0(VALU_DEP_1) | instskip(SKIP_2) | instid1(VALU_DEP_3)
	v_dual_cndmask_b32 v17, v17, v19 :: v_dual_and_b32 v18, 0xff00ffff, v18
	v_cmp_gt_u32_e32 vcc_lo, s12, v21
	v_or_b32_e32 v21, 7, v39
	v_cndmask_b32_e64 v17, v17, v19, s0
	s_delay_alu instid0(VALU_DEP_1) | instskip(NEXT) | instid1(VALU_DEP_1)
	v_dual_cndmask_b32 v18, v18, v20 :: v_dual_cndmask_b32 v17, v17, v19
	v_and_b32_e32 v18, 0xffffff, v18
	s_delay_alu instid0(VALU_DEP_4) | instskip(NEXT) | instid1(VALU_DEP_2)
	v_cmp_gt_u32_e32 vcc_lo, s12, v21
	v_dual_cndmask_b32 v20, v18, v20 :: v_dual_cndmask_b32 v19, v17, v19
.LBB471_367:
	s_delay_alu instid0(VALU_DEP_1) | instskip(SKIP_1) | instid1(VALU_DEP_2)
	v_and_b32_e32 v28, 0xff, v19
	s_waitcnt vmcnt(0) lgkmcnt(0)
	v_alignbit_b32 v17, v20, v19, 24
	v_bfe_u32 v30, v19, 8, 8
	v_bfe_u32 v32, v19, 16, 8
	v_and_b32_e32 v36, 0xff, v20
	v_bfe_u32 v38, v20, 8, 8
	v_and_b32_e32 v34, 0xff, v17
	v_add_nc_u32_e32 v17, v30, v28
	v_mbcnt_lo_u32_b32 v42, -1, 0
	v_bfe_u32 v41, v20, 16, 8
	v_lshrrev_b32_e32 v40, 24, v20
	v_lshrrev_b32_e32 v43, 5, v0
	v_add3_u32 v17, v17, v32, v34
	v_and_b32_e32 v18, 15, v42
	v_and_b32_e32 v21, 16, v42
	s_and_b32 vcc_lo, exec_lo, s24
	s_mov_b32 s7, -1
	v_add3_u32 v17, v17, v36, v38
	v_cmp_eq_u32_e64 s3, 0, v18
	v_cmp_lt_u32_e64 s0, 1, v18
	v_cmp_lt_u32_e64 s4, 3, v18
	;; [unrolled: 1-line block ×3, first 2 shown]
	v_add3_u32 v44, v17, v41, v40
	v_or_b32_e32 v17, 31, v0
	v_cmp_eq_u32_e64 s6, 0, v21
	s_barrier
	buffer_gl0_inv
	v_cmp_eq_u32_e64 s5, v17, v0
	s_cbranch_vccz .LBB471_393
; %bb.368:
	v_mov_b32_dpp v17, v44 row_shr:1 row_mask:0xf bank_mask:0xf
	s_delay_alu instid0(VALU_DEP_1) | instskip(NEXT) | instid1(VALU_DEP_1)
	v_cndmask_b32_e64 v17, v17, 0, s3
	v_add_nc_u32_e32 v17, v17, v44
	s_delay_alu instid0(VALU_DEP_1) | instskip(NEXT) | instid1(VALU_DEP_1)
	v_mov_b32_dpp v18, v17 row_shr:2 row_mask:0xf bank_mask:0xf
	v_cndmask_b32_e64 v18, 0, v18, s0
	s_delay_alu instid0(VALU_DEP_1) | instskip(NEXT) | instid1(VALU_DEP_1)
	v_add_nc_u32_e32 v17, v17, v18
	v_mov_b32_dpp v18, v17 row_shr:4 row_mask:0xf bank_mask:0xf
	s_delay_alu instid0(VALU_DEP_1) | instskip(NEXT) | instid1(VALU_DEP_1)
	v_cndmask_b32_e64 v18, 0, v18, s4
	v_add_nc_u32_e32 v17, v17, v18
	s_delay_alu instid0(VALU_DEP_1) | instskip(NEXT) | instid1(VALU_DEP_1)
	v_mov_b32_dpp v18, v17 row_shr:8 row_mask:0xf bank_mask:0xf
	v_cndmask_b32_e64 v18, 0, v18, s1
	s_delay_alu instid0(VALU_DEP_1) | instskip(SKIP_3) | instid1(VALU_DEP_1)
	v_add_nc_u32_e32 v17, v17, v18
	ds_swizzle_b32 v18, v17 offset:swizzle(BROADCAST,32,15)
	s_waitcnt lgkmcnt(0)
	v_cndmask_b32_e64 v18, v18, 0, s6
	v_add_nc_u32_e32 v17, v17, v18
	s_and_saveexec_b32 s7, s5
	s_cbranch_execz .LBB471_370
; %bb.369:
	v_lshlrev_b32_e32 v18, 2, v43
	ds_store_b32 v18, v17
.LBB471_370:
	s_or_b32 exec_lo, exec_lo, s7
	s_delay_alu instid0(SALU_CYCLE_1)
	s_mov_b32 s7, exec_lo
	s_waitcnt lgkmcnt(0)
	s_barrier
	buffer_gl0_inv
	v_cmpx_gt_u32_e32 16, v0
	s_cbranch_execz .LBB471_372
; %bb.371:
	v_lshlrev_b32_e32 v18, 2, v0
	ds_load_b32 v21, v18
	s_waitcnt lgkmcnt(0)
	v_mov_b32_dpp v22, v21 row_shr:1 row_mask:0xf bank_mask:0xf
	s_delay_alu instid0(VALU_DEP_1) | instskip(NEXT) | instid1(VALU_DEP_1)
	v_cndmask_b32_e64 v22, v22, 0, s3
	v_add_nc_u32_e32 v21, v22, v21
	s_delay_alu instid0(VALU_DEP_1) | instskip(NEXT) | instid1(VALU_DEP_1)
	v_mov_b32_dpp v22, v21 row_shr:2 row_mask:0xf bank_mask:0xf
	v_cndmask_b32_e64 v22, 0, v22, s0
	s_delay_alu instid0(VALU_DEP_1) | instskip(NEXT) | instid1(VALU_DEP_1)
	v_add_nc_u32_e32 v21, v21, v22
	v_mov_b32_dpp v22, v21 row_shr:4 row_mask:0xf bank_mask:0xf
	s_delay_alu instid0(VALU_DEP_1) | instskip(NEXT) | instid1(VALU_DEP_1)
	v_cndmask_b32_e64 v22, 0, v22, s4
	v_add_nc_u32_e32 v21, v21, v22
	s_delay_alu instid0(VALU_DEP_1) | instskip(NEXT) | instid1(VALU_DEP_1)
	v_mov_b32_dpp v22, v21 row_shr:8 row_mask:0xf bank_mask:0xf
	v_cndmask_b32_e64 v22, 0, v22, s1
	s_delay_alu instid0(VALU_DEP_1)
	v_add_nc_u32_e32 v21, v21, v22
	ds_store_b32 v18, v21
.LBB471_372:
	s_or_b32 exec_lo, exec_lo, s7
	v_cmp_gt_u32_e32 vcc_lo, 32, v0
	s_mov_b32 s12, exec_lo
	s_waitcnt lgkmcnt(0)
	s_barrier
	buffer_gl0_inv
                                        ; implicit-def: $vgpr27
	v_cmpx_lt_u32_e32 31, v0
	s_cbranch_execz .LBB471_374
; %bb.373:
	v_lshl_add_u32 v18, v43, 2, -4
	ds_load_b32 v27, v18
	s_waitcnt lgkmcnt(0)
	v_add_nc_u32_e32 v17, v27, v17
.LBB471_374:
	s_or_b32 exec_lo, exec_lo, s12
	v_add_nc_u32_e32 v18, -1, v42
	s_delay_alu instid0(VALU_DEP_1) | instskip(NEXT) | instid1(VALU_DEP_1)
	v_cmp_gt_i32_e64 s7, 0, v18
	v_cndmask_b32_e64 v18, v18, v42, s7
	v_cmp_eq_u32_e64 s7, 0, v42
	s_delay_alu instid0(VALU_DEP_2)
	v_lshlrev_b32_e32 v18, 2, v18
	ds_bpermute_b32 v29, v18, v17
	s_and_saveexec_b32 s12, vcc_lo
	s_cbranch_execz .LBB471_392
; %bb.375:
	v_mov_b32_e32 v23, 0
	ds_load_b32 v17, v23 offset:60
	s_and_saveexec_b32 s14, s7
	s_cbranch_execz .LBB471_377
; %bb.376:
	s_add_i32 s16, s23, 32
	s_mov_b32 s17, 0
	v_mov_b32_e32 v18, 1
	s_lshl_b64 s[16:17], s[16:17], 3
	s_delay_alu instid0(SALU_CYCLE_1)
	s_add_u32 s16, s18, s16
	s_addc_u32 s17, s19, s17
	s_waitcnt lgkmcnt(0)
	global_store_b64 v23, v[17:18], s[16:17]
.LBB471_377:
	s_or_b32 exec_lo, exec_lo, s14
	v_xad_u32 v21, v42, -1, s23
	s_mov_b32 s15, 0
	s_mov_b32 s14, exec_lo
	s_delay_alu instid0(VALU_DEP_1) | instskip(NEXT) | instid1(VALU_DEP_1)
	v_add_nc_u32_e32 v22, 32, v21
	v_lshlrev_b64 v[22:23], 3, v[22:23]
	s_delay_alu instid0(VALU_DEP_1) | instskip(NEXT) | instid1(VALU_DEP_2)
	v_add_co_u32 v25, vcc_lo, s18, v22
	v_add_co_ci_u32_e32 v26, vcc_lo, s19, v23, vcc_lo
	global_load_b64 v[23:24], v[25:26], off glc
	s_waitcnt vmcnt(0)
	v_and_b32_e32 v18, 0xff, v24
	s_delay_alu instid0(VALU_DEP_1)
	v_cmpx_eq_u16_e32 0, v18
	s_cbranch_execz .LBB471_380
.LBB471_378:                            ; =>This Inner Loop Header: Depth=1
	global_load_b64 v[23:24], v[25:26], off glc
	s_waitcnt vmcnt(0)
	v_and_b32_e32 v18, 0xff, v24
	s_delay_alu instid0(VALU_DEP_1) | instskip(SKIP_1) | instid1(SALU_CYCLE_1)
	v_cmp_ne_u16_e32 vcc_lo, 0, v18
	s_or_b32 s15, vcc_lo, s15
	s_and_not1_b32 exec_lo, exec_lo, s15
	s_cbranch_execnz .LBB471_378
; %bb.379:
	s_or_b32 exec_lo, exec_lo, s15
.LBB471_380:
	s_delay_alu instid0(SALU_CYCLE_1)
	s_or_b32 exec_lo, exec_lo, s14
	v_cmp_ne_u32_e32 vcc_lo, 31, v42
	v_and_b32_e32 v22, 0xff, v24
	v_lshlrev_b32_e64 v31, v42, -1
	v_add_nc_u32_e32 v35, 2, v42
	v_add_nc_u32_e32 v45, 4, v42
	v_add_co_ci_u32_e32 v18, vcc_lo, 0, v42, vcc_lo
	v_cmp_eq_u16_e32 vcc_lo, 2, v22
	v_add_nc_u32_e32 v48, 8, v42
	v_add_nc_u32_e32 v50, 16, v42
	v_and_or_b32 v22, vcc_lo, v31, 0x80000000
	v_cmp_gt_u32_e32 vcc_lo, 30, v42
	s_delay_alu instid0(VALU_DEP_2) | instskip(SKIP_1) | instid1(VALU_DEP_2)
	v_ctz_i32_b32_e32 v22, v22
	v_cndmask_b32_e64 v26, 0, 1, vcc_lo
	v_cmp_lt_u32_e32 vcc_lo, v42, v22
	v_lshlrev_b32_e32 v18, 2, v18
	s_delay_alu instid0(VALU_DEP_3)
	v_lshlrev_b32_e32 v26, 1, v26
	ds_bpermute_b32 v25, v18, v23
	v_add_lshl_u32 v33, v26, v42, 2
	s_waitcnt lgkmcnt(0)
	v_cndmask_b32_e32 v25, 0, v25, vcc_lo
	v_cmp_gt_u32_e32 vcc_lo, 28, v42
	s_delay_alu instid0(VALU_DEP_2) | instskip(SKIP_4) | instid1(VALU_DEP_1)
	v_add_nc_u32_e32 v23, v25, v23
	v_cndmask_b32_e64 v26, 0, 1, vcc_lo
	v_cmp_le_u32_e32 vcc_lo, v35, v22
	ds_bpermute_b32 v25, v33, v23
	v_lshlrev_b32_e32 v26, 2, v26
	v_add_lshl_u32 v37, v26, v42, 2
	s_waitcnt lgkmcnt(0)
	v_cndmask_b32_e32 v25, 0, v25, vcc_lo
	v_cmp_gt_u32_e32 vcc_lo, 24, v42
	s_delay_alu instid0(VALU_DEP_2) | instskip(SKIP_4) | instid1(VALU_DEP_1)
	v_add_nc_u32_e32 v23, v23, v25
	v_cndmask_b32_e64 v26, 0, 1, vcc_lo
	v_cmp_le_u32_e32 vcc_lo, v45, v22
	ds_bpermute_b32 v25, v37, v23
	v_lshlrev_b32_e32 v26, 3, v26
	;; [unrolled: 10-line block ×3, first 2 shown]
	v_add_lshl_u32 v49, v26, v42, 2
	s_waitcnt lgkmcnt(0)
	v_cndmask_b32_e32 v25, 0, v25, vcc_lo
	v_cmp_le_u32_e32 vcc_lo, v50, v22
	s_delay_alu instid0(VALU_DEP_2) | instskip(SKIP_3) | instid1(VALU_DEP_1)
	v_add_nc_u32_e32 v23, v23, v25
	ds_bpermute_b32 v25, v49, v23
	s_waitcnt lgkmcnt(0)
	v_cndmask_b32_e32 v22, 0, v25, vcc_lo
	v_dual_mov_b32 v22, 0 :: v_dual_add_nc_u32 v23, v23, v22
	s_branch .LBB471_382
.LBB471_381:                            ;   in Loop: Header=BB471_382 Depth=1
	s_or_b32 exec_lo, exec_lo, s14
	ds_bpermute_b32 v26, v18, v23
	v_and_b32_e32 v25, 0xff, v24
	v_subrev_nc_u32_e32 v21, 32, v21
	s_delay_alu instid0(VALU_DEP_2) | instskip(SKIP_1) | instid1(VALU_DEP_1)
	v_cmp_eq_u16_e32 vcc_lo, 2, v25
	v_and_or_b32 v25, vcc_lo, v31, 0x80000000
	v_ctz_i32_b32_e32 v25, v25
	s_delay_alu instid0(VALU_DEP_1) | instskip(SKIP_3) | instid1(VALU_DEP_2)
	v_cmp_lt_u32_e32 vcc_lo, v42, v25
	s_waitcnt lgkmcnt(0)
	v_cndmask_b32_e32 v26, 0, v26, vcc_lo
	v_cmp_le_u32_e32 vcc_lo, v35, v25
	v_add_nc_u32_e32 v23, v26, v23
	ds_bpermute_b32 v26, v33, v23
	s_waitcnt lgkmcnt(0)
	v_cndmask_b32_e32 v26, 0, v26, vcc_lo
	v_cmp_le_u32_e32 vcc_lo, v45, v25
	s_delay_alu instid0(VALU_DEP_2) | instskip(SKIP_4) | instid1(VALU_DEP_2)
	v_add_nc_u32_e32 v23, v23, v26
	ds_bpermute_b32 v26, v37, v23
	s_waitcnt lgkmcnt(0)
	v_cndmask_b32_e32 v26, 0, v26, vcc_lo
	v_cmp_le_u32_e32 vcc_lo, v48, v25
	v_add_nc_u32_e32 v23, v23, v26
	ds_bpermute_b32 v26, v47, v23
	s_waitcnt lgkmcnt(0)
	v_cndmask_b32_e32 v26, 0, v26, vcc_lo
	v_cmp_le_u32_e32 vcc_lo, v50, v25
	s_delay_alu instid0(VALU_DEP_2) | instskip(SKIP_3) | instid1(VALU_DEP_1)
	v_add_nc_u32_e32 v23, v23, v26
	ds_bpermute_b32 v26, v49, v23
	s_waitcnt lgkmcnt(0)
	v_cndmask_b32_e32 v25, 0, v26, vcc_lo
	v_add3_u32 v23, v25, v46, v23
.LBB471_382:                            ; =>This Loop Header: Depth=1
                                        ;     Child Loop BB471_385 Depth 2
	v_and_b32_e32 v24, 0xff, v24
	s_delay_alu instid0(VALU_DEP_2) | instskip(NEXT) | instid1(VALU_DEP_2)
	v_mov_b32_e32 v46, v23
	v_cmp_ne_u16_e32 vcc_lo, 2, v24
	v_cndmask_b32_e64 v24, 0, 1, vcc_lo
	;;#ASMSTART
	;;#ASMEND
	s_delay_alu instid0(VALU_DEP_1)
	v_cmp_ne_u32_e32 vcc_lo, 0, v24
	s_cmp_lg_u32 vcc_lo, exec_lo
	s_cbranch_scc1 .LBB471_387
; %bb.383:                              ;   in Loop: Header=BB471_382 Depth=1
	v_lshlrev_b64 v[23:24], 3, v[21:22]
	s_mov_b32 s14, exec_lo
	s_delay_alu instid0(VALU_DEP_1) | instskip(NEXT) | instid1(VALU_DEP_2)
	v_add_co_u32 v25, vcc_lo, s18, v23
	v_add_co_ci_u32_e32 v26, vcc_lo, s19, v24, vcc_lo
	global_load_b64 v[23:24], v[25:26], off glc
	s_waitcnt vmcnt(0)
	v_and_b32_e32 v51, 0xff, v24
	s_delay_alu instid0(VALU_DEP_1)
	v_cmpx_eq_u16_e32 0, v51
	s_cbranch_execz .LBB471_381
; %bb.384:                              ;   in Loop: Header=BB471_382 Depth=1
	s_mov_b32 s15, 0
.LBB471_385:                            ;   Parent Loop BB471_382 Depth=1
                                        ; =>  This Inner Loop Header: Depth=2
	global_load_b64 v[23:24], v[25:26], off glc
	s_waitcnt vmcnt(0)
	v_and_b32_e32 v51, 0xff, v24
	s_delay_alu instid0(VALU_DEP_1) | instskip(SKIP_1) | instid1(SALU_CYCLE_1)
	v_cmp_ne_u16_e32 vcc_lo, 0, v51
	s_or_b32 s15, vcc_lo, s15
	s_and_not1_b32 exec_lo, exec_lo, s15
	s_cbranch_execnz .LBB471_385
; %bb.386:                              ;   in Loop: Header=BB471_382 Depth=1
	s_or_b32 exec_lo, exec_lo, s15
	s_branch .LBB471_381
.LBB471_387:                            ;   in Loop: Header=BB471_382 Depth=1
                                        ; implicit-def: $vgpr23
                                        ; implicit-def: $vgpr24
	s_cbranch_execz .LBB471_382
; %bb.388:
	s_and_saveexec_b32 s14, s7
	s_cbranch_execz .LBB471_390
; %bb.389:
	s_add_i32 s16, s23, 32
	s_mov_b32 s17, 0
	v_dual_mov_b32 v22, 2 :: v_dual_add_nc_u32 v21, v46, v17
	s_lshl_b64 s[16:17], s[16:17], 3
	v_mov_b32_e32 v18, 0
	v_add_nc_u32_e64 v23, 0x8400, 0
	s_add_u32 s16, s18, s16
	s_addc_u32 s17, s19, s17
	global_store_b64 v18, v[21:22], s[16:17]
	ds_store_2addr_b32 v23, v17, v46 offset1:2
.LBB471_390:
	s_or_b32 exec_lo, exec_lo, s14
	s_delay_alu instid0(SALU_CYCLE_1)
	s_and_b32 exec_lo, exec_lo, s2
	s_cbranch_execz .LBB471_392
; %bb.391:
	v_mov_b32_e32 v17, 0
	ds_store_b32 v17, v46 offset:60
.LBB471_392:
	s_or_b32 exec_lo, exec_lo, s12
	v_mov_b32_e32 v17, 0
	s_waitcnt lgkmcnt(0)
	s_waitcnt_vscnt null, 0x0
	s_barrier
	buffer_gl0_inv
	v_cndmask_b32_e64 v18, v29, v27, s7
	ds_load_b32 v17, v17 offset:60
	s_waitcnt lgkmcnt(0)
	s_barrier
	buffer_gl0_inv
	v_cndmask_b32_e64 v18, v18, 0, s2
	s_delay_alu instid0(VALU_DEP_1) | instskip(SKIP_1) | instid1(VALU_DEP_2)
	v_add_nc_u32_e32 v37, v17, v18
	v_add_nc_u32_e64 v17, 0x8400, 0
	v_add_nc_u32_e32 v35, v37, v28
	ds_load_2addr_b32 v[17:18], v17 offset1:2
	v_add_nc_u32_e32 v33, v35, v30
	s_delay_alu instid0(VALU_DEP_1) | instskip(NEXT) | instid1(VALU_DEP_1)
	v_add_nc_u32_e32 v31, v33, v32
	v_add_nc_u32_e32 v29, v31, v34
	s_delay_alu instid0(VALU_DEP_1) | instskip(NEXT) | instid1(VALU_DEP_1)
	v_add_nc_u32_e32 v27, v29, v36
	v_add_nc_u32_e32 v25, v27, v38
	s_delay_alu instid0(VALU_DEP_1)
	v_add_nc_u32_e32 v23, v25, v41
	v_lshrrev_b64 v[21:22], 24, v[19:20]
	s_branch .LBB471_403
.LBB471_393:
                                        ; implicit-def: $vgpr23
                                        ; implicit-def: $vgpr25
                                        ; implicit-def: $vgpr27
                                        ; implicit-def: $vgpr29
                                        ; implicit-def: $vgpr31
                                        ; implicit-def: $vgpr33
                                        ; implicit-def: $vgpr35
                                        ; implicit-def: $vgpr37
                                        ; implicit-def: $vgpr18
	v_lshrrev_b64 v[21:22], 24, v[19:20]
	s_and_b32 vcc_lo, exec_lo, s7
	s_cbranch_vccz .LBB471_403
; %bb.394:
	s_waitcnt lgkmcnt(0)
	v_mov_b32_dpp v17, v44 row_shr:1 row_mask:0xf bank_mask:0xf
	s_delay_alu instid0(VALU_DEP_1) | instskip(NEXT) | instid1(VALU_DEP_1)
	v_cndmask_b32_e64 v17, v17, 0, s3
	v_add_nc_u32_e32 v17, v17, v44
	s_delay_alu instid0(VALU_DEP_1) | instskip(NEXT) | instid1(VALU_DEP_1)
	v_mov_b32_dpp v18, v17 row_shr:2 row_mask:0xf bank_mask:0xf
	v_cndmask_b32_e64 v18, 0, v18, s0
	s_delay_alu instid0(VALU_DEP_1) | instskip(NEXT) | instid1(VALU_DEP_1)
	v_add_nc_u32_e32 v17, v17, v18
	v_mov_b32_dpp v18, v17 row_shr:4 row_mask:0xf bank_mask:0xf
	s_delay_alu instid0(VALU_DEP_1) | instskip(NEXT) | instid1(VALU_DEP_1)
	v_cndmask_b32_e64 v18, 0, v18, s4
	v_add_nc_u32_e32 v17, v17, v18
	s_delay_alu instid0(VALU_DEP_1) | instskip(NEXT) | instid1(VALU_DEP_1)
	v_mov_b32_dpp v18, v17 row_shr:8 row_mask:0xf bank_mask:0xf
	v_cndmask_b32_e64 v18, 0, v18, s1
	s_delay_alu instid0(VALU_DEP_1) | instskip(SKIP_3) | instid1(VALU_DEP_1)
	v_add_nc_u32_e32 v17, v17, v18
	ds_swizzle_b32 v18, v17 offset:swizzle(BROADCAST,32,15)
	s_waitcnt lgkmcnt(0)
	v_cndmask_b32_e64 v18, v18, 0, s6
	v_add_nc_u32_e32 v17, v17, v18
	s_and_saveexec_b32 s6, s5
	s_cbranch_execz .LBB471_396
; %bb.395:
	v_lshlrev_b32_e32 v18, 2, v43
	ds_store_b32 v18, v17
.LBB471_396:
	s_or_b32 exec_lo, exec_lo, s6
	s_delay_alu instid0(SALU_CYCLE_1)
	s_mov_b32 s5, exec_lo
	s_waitcnt lgkmcnt(0)
	s_barrier
	buffer_gl0_inv
	v_cmpx_gt_u32_e32 16, v0
	s_cbranch_execz .LBB471_398
; %bb.397:
	v_lshlrev_b32_e32 v18, 2, v0
	ds_load_b32 v22, v18
	s_waitcnt lgkmcnt(0)
	v_mov_b32_dpp v23, v22 row_shr:1 row_mask:0xf bank_mask:0xf
	s_delay_alu instid0(VALU_DEP_1) | instskip(NEXT) | instid1(VALU_DEP_1)
	v_cndmask_b32_e64 v23, v23, 0, s3
	v_add_nc_u32_e32 v22, v23, v22
	s_delay_alu instid0(VALU_DEP_1) | instskip(NEXT) | instid1(VALU_DEP_1)
	v_mov_b32_dpp v23, v22 row_shr:2 row_mask:0xf bank_mask:0xf
	v_cndmask_b32_e64 v23, 0, v23, s0
	s_delay_alu instid0(VALU_DEP_1) | instskip(NEXT) | instid1(VALU_DEP_1)
	v_add_nc_u32_e32 v22, v22, v23
	v_mov_b32_dpp v23, v22 row_shr:4 row_mask:0xf bank_mask:0xf
	s_delay_alu instid0(VALU_DEP_1) | instskip(NEXT) | instid1(VALU_DEP_1)
	v_cndmask_b32_e64 v23, 0, v23, s4
	v_add_nc_u32_e32 v22, v22, v23
	s_delay_alu instid0(VALU_DEP_1) | instskip(NEXT) | instid1(VALU_DEP_1)
	v_mov_b32_dpp v23, v22 row_shr:8 row_mask:0xf bank_mask:0xf
	v_cndmask_b32_e64 v23, 0, v23, s1
	s_delay_alu instid0(VALU_DEP_1)
	v_add_nc_u32_e32 v22, v22, v23
	ds_store_b32 v18, v22
.LBB471_398:
	s_or_b32 exec_lo, exec_lo, s5
	v_mov_b32_e32 v18, 0
	v_mov_b32_e32 v22, 0
	s_mov_b32 s0, exec_lo
	s_waitcnt lgkmcnt(0)
	s_barrier
	buffer_gl0_inv
	v_cmpx_lt_u32_e32 31, v0
	s_cbranch_execz .LBB471_400
; %bb.399:
	v_lshl_add_u32 v22, v43, 2, -4
	ds_load_b32 v22, v22
.LBB471_400:
	s_or_b32 exec_lo, exec_lo, s0
	v_add_nc_u32_e32 v23, -1, v42
	s_waitcnt lgkmcnt(0)
	v_add_nc_u32_e32 v17, v22, v17
	s_delay_alu instid0(VALU_DEP_2) | instskip(SKIP_1) | instid1(VALU_DEP_1)
	v_cmp_gt_i32_e32 vcc_lo, 0, v23
	v_cndmask_b32_e32 v23, v23, v42, vcc_lo
	v_lshlrev_b32_e32 v23, 2, v23
	ds_bpermute_b32 v23, v23, v17
	ds_load_b32 v17, v18 offset:60
	s_and_saveexec_b32 s0, s2
	s_cbranch_execz .LBB471_402
; %bb.401:
	v_mov_b32_e32 v24, 0
	v_mov_b32_e32 v18, 2
	s_waitcnt lgkmcnt(0)
	global_store_b64 v24, v[17:18], s[18:19] offset:256
.LBB471_402:
	s_or_b32 exec_lo, exec_lo, s0
	v_cmp_eq_u32_e32 vcc_lo, 0, v42
	s_waitcnt lgkmcnt(0)
	s_waitcnt_vscnt null, 0x0
	s_barrier
	buffer_gl0_inv
	v_cndmask_b32_e32 v18, v23, v22, vcc_lo
	s_delay_alu instid0(VALU_DEP_1) | instskip(NEXT) | instid1(VALU_DEP_1)
	v_cndmask_b32_e64 v37, v18, 0, s2
	v_dual_mov_b32 v18, 0 :: v_dual_add_nc_u32 v35, v37, v28
	s_delay_alu instid0(VALU_DEP_1) | instskip(NEXT) | instid1(VALU_DEP_1)
	v_add_nc_u32_e32 v33, v35, v30
	v_add_nc_u32_e32 v31, v33, v32
	s_delay_alu instid0(VALU_DEP_1) | instskip(NEXT) | instid1(VALU_DEP_1)
	v_add_nc_u32_e32 v29, v31, v34
	v_add_nc_u32_e32 v27, v29, v36
	s_delay_alu instid0(VALU_DEP_1) | instskip(NEXT) | instid1(VALU_DEP_1)
	v_add_nc_u32_e32 v25, v27, v38
	v_add_nc_u32_e32 v23, v25, v41
.LBB471_403:
	s_waitcnt lgkmcnt(0)
	v_cmp_gt_u32_e32 vcc_lo, 0x201, v17
	v_lshrrev_b32_e32 v43, 8, v19
	v_lshrrev_b32_e32 v42, 16, v19
	;; [unrolled: 1-line block ×4, first 2 shown]
	s_mov_b32 s0, -1
	s_cbranch_vccnz .LBB471_407
; %bb.404:
	s_and_b32 vcc_lo, exec_lo, s0
	s_cbranch_vccnz .LBB471_432
.LBB471_405:
	s_and_b32 s0, s2, s13
	s_delay_alu instid0(SALU_CYCLE_1)
	s_and_saveexec_b32 s1, s0
	s_cbranch_execnz .LBB471_452
.LBB471_406:
	s_nop 0
	s_sendmsg sendmsg(MSG_DEALLOC_VGPRS)
	s_endpgm
.LBB471_407:
	v_add_nc_u32_e32 v24, v18, v17
	s_delay_alu instid0(VALU_DEP_1) | instskip(SKIP_1) | instid1(SALU_CYCLE_1)
	v_cmp_lt_u32_e32 vcc_lo, v37, v24
	s_or_b32 s1, s22, vcc_lo
	s_and_saveexec_b32 s0, s1
	s_cbranch_execz .LBB471_410
; %bb.408:
	v_and_b32_e32 v26, 1, v19
	s_delay_alu instid0(VALU_DEP_1)
	v_cmp_eq_u32_e32 vcc_lo, 1, v26
	s_and_b32 exec_lo, exec_lo, vcc_lo
	s_cbranch_execz .LBB471_410
; %bb.409:
	v_mov_b32_e32 v38, 0
	s_lshl_b64 s[4:5], s[10:11], 3
	s_delay_alu instid0(SALU_CYCLE_1) | instskip(SKIP_1) | instid1(VALU_DEP_1)
	s_add_u32 s1, s20, s4
	s_addc_u32 s3, s21, s5
	v_lshlrev_b64 v[44:45], 3, v[37:38]
	s_delay_alu instid0(VALU_DEP_1) | instskip(NEXT) | instid1(VALU_DEP_2)
	v_add_co_u32 v44, vcc_lo, s1, v44
	v_add_co_ci_u32_e32 v45, vcc_lo, s3, v45, vcc_lo
	global_store_b64 v[44:45], v[13:14], off
.LBB471_410:
	s_or_b32 exec_lo, exec_lo, s0
	v_cmp_lt_u32_e32 vcc_lo, v35, v24
	s_or_b32 s1, s22, vcc_lo
	s_delay_alu instid0(SALU_CYCLE_1)
	s_and_saveexec_b32 s0, s1
	s_cbranch_execz .LBB471_413
; %bb.411:
	v_and_b32_e32 v26, 1, v43
	s_delay_alu instid0(VALU_DEP_1)
	v_cmp_eq_u32_e32 vcc_lo, 1, v26
	s_and_b32 exec_lo, exec_lo, vcc_lo
	s_cbranch_execz .LBB471_413
; %bb.412:
	v_mov_b32_e32 v36, 0
	s_lshl_b64 s[4:5], s[10:11], 3
	s_delay_alu instid0(SALU_CYCLE_1) | instskip(SKIP_1) | instid1(VALU_DEP_1)
	s_add_u32 s1, s20, s4
	s_addc_u32 s3, s21, s5
	v_lshlrev_b64 v[44:45], 3, v[35:36]
	s_delay_alu instid0(VALU_DEP_1) | instskip(NEXT) | instid1(VALU_DEP_2)
	v_add_co_u32 v44, vcc_lo, s1, v44
	v_add_co_ci_u32_e32 v45, vcc_lo, s3, v45, vcc_lo
	global_store_b64 v[44:45], v[15:16], off
.LBB471_413:
	s_or_b32 exec_lo, exec_lo, s0
	v_cmp_lt_u32_e32 vcc_lo, v33, v24
	s_or_b32 s1, s22, vcc_lo
	s_delay_alu instid0(SALU_CYCLE_1)
	;; [unrolled: 24-line block ×7, first 2 shown]
	s_and_saveexec_b32 s0, s1
	s_cbranch_execz .LBB471_431
; %bb.429:
	v_and_b32_e32 v24, 1, v40
	s_delay_alu instid0(VALU_DEP_1)
	v_cmp_eq_u32_e32 vcc_lo, 1, v24
	s_and_b32 exec_lo, exec_lo, vcc_lo
	s_cbranch_execz .LBB471_431
; %bb.430:
	v_mov_b32_e32 v24, 0
	s_lshl_b64 s[4:5], s[10:11], 3
	s_delay_alu instid0(SALU_CYCLE_1) | instskip(SKIP_1) | instid1(VALU_DEP_1)
	s_add_u32 s1, s20, s4
	s_addc_u32 s3, s21, s5
	v_lshlrev_b64 v[44:45], 3, v[23:24]
	s_delay_alu instid0(VALU_DEP_1) | instskip(NEXT) | instid1(VALU_DEP_2)
	v_add_co_u32 v44, vcc_lo, s1, v44
	v_add_co_ci_u32_e32 v45, vcc_lo, s3, v45, vcc_lo
	global_store_b64 v[44:45], v[3:4], off
.LBB471_431:
	s_or_b32 exec_lo, exec_lo, s0
	s_branch .LBB471_405
.LBB471_432:
	v_and_b32_e32 v19, 1, v19
	s_mov_b32 s0, exec_lo
	s_delay_alu instid0(VALU_DEP_1)
	v_cmpx_eq_u32_e32 1, v19
	s_cbranch_execz .LBB471_434
; %bb.433:
	v_sub_nc_u32_e32 v19, v37, v18
	s_delay_alu instid0(VALU_DEP_1)
	v_lshlrev_b32_e32 v19, 3, v19
	ds_store_b64 v19, v[13:14]
.LBB471_434:
	s_or_b32 exec_lo, exec_lo, s0
	v_and_b32_e32 v13, 1, v43
	s_mov_b32 s0, exec_lo
	s_delay_alu instid0(VALU_DEP_1)
	v_cmpx_eq_u32_e32 1, v13
	s_cbranch_execz .LBB471_436
; %bb.435:
	v_sub_nc_u32_e32 v13, v35, v18
	s_delay_alu instid0(VALU_DEP_1)
	v_lshlrev_b32_e32 v13, 3, v13
	ds_store_b64 v13, v[15:16]
.LBB471_436:
	s_or_b32 exec_lo, exec_lo, s0
	;; [unrolled: 12-line block ×8, first 2 shown]
	s_delay_alu instid0(SALU_CYCLE_1)
	s_mov_b32 s1, exec_lo
	s_waitcnt lgkmcnt(0)
	s_waitcnt_vscnt null, 0x0
	s_barrier
	buffer_gl0_inv
	v_cmpx_lt_u32_e64 v0, v17
	s_cbranch_execz .LBB471_451
; %bb.449:
	v_dual_mov_b32 v2, 0 :: v_dual_mov_b32 v1, v18
	s_lshl_b64 s[4:5], s[10:11], 3
	s_mov_b32 s3, 0
	s_delay_alu instid0(VALU_DEP_1) | instskip(NEXT) | instid1(VALU_DEP_1)
	v_lshlrev_b64 v[1:2], 3, v[1:2]
	v_add_co_u32 v1, vcc_lo, s4, v1
	s_delay_alu instid0(VALU_DEP_2) | instskip(NEXT) | instid1(VALU_DEP_2)
	v_add_co_ci_u32_e32 v2, vcc_lo, s5, v2, vcc_lo
	v_add_co_u32 v1, vcc_lo, s20, v1
	s_delay_alu instid0(VALU_DEP_2) | instskip(NEXT) | instid1(VALU_DEP_2)
	v_add_co_ci_u32_e32 v2, vcc_lo, s21, v2, vcc_lo
	v_add_co_u32 v1, vcc_lo, v1, v39
	s_delay_alu instid0(VALU_DEP_2)
	v_add_co_ci_u32_e32 v2, vcc_lo, 0, v2, vcc_lo
	.p2align	6
.LBB471_450:                            ; =>This Inner Loop Header: Depth=1
	ds_load_b64 v[3:4], v39
	v_add_nc_u32_e32 v0, 0x200, v0
	v_add_nc_u32_e32 v39, 0x1000, v39
	s_delay_alu instid0(VALU_DEP_2) | instskip(SKIP_4) | instid1(VALU_DEP_1)
	v_cmp_ge_u32_e32 vcc_lo, v0, v17
	s_or_b32 s3, vcc_lo, s3
	s_waitcnt lgkmcnt(0)
	global_store_b64 v[1:2], v[3:4], off
	v_add_co_u32 v1, s0, 0x1000, v1
	v_add_co_ci_u32_e64 v2, s0, 0, v2, s0
	s_and_not1_b32 exec_lo, exec_lo, s3
	s_cbranch_execnz .LBB471_450
.LBB471_451:
	s_or_b32 exec_lo, exec_lo, s1
	s_and_b32 s0, s2, s13
	s_delay_alu instid0(SALU_CYCLE_1)
	s_and_saveexec_b32 s1, s0
	s_cbranch_execz .LBB471_406
.LBB471_452:
	v_add_co_u32 v0, s0, s10, v17
	s_delay_alu instid0(VALU_DEP_1) | instskip(SKIP_1) | instid1(VALU_DEP_3)
	v_add_co_ci_u32_e64 v1, null, s11, 0, s0
	v_mov_b32_e32 v2, 0
	v_add_co_u32 v0, vcc_lo, v0, v18
	s_delay_alu instid0(VALU_DEP_3)
	v_add_co_ci_u32_e32 v1, vcc_lo, 0, v1, vcc_lo
	global_store_b64 v2, v[0:1], s[8:9]
	s_nop 0
	s_sendmsg sendmsg(MSG_DEALLOC_VGPRS)
	s_endpgm
	.section	.rodata,"a",@progbits
	.p2align	6, 0x0
	.amdhsa_kernel _ZN7rocprim17ROCPRIM_400000_NS6detail17trampoline_kernelINS0_14default_configENS1_25partition_config_selectorILNS1_17partition_subalgoE8ElNS0_10empty_typeEbEEZZNS1_14partition_implILS5_8ELb0ES3_jPlPS6_PKS6_NS0_5tupleIJS9_S6_EEENSD_IJSA_SA_EEENS0_18inequality_wrapperIZN2at6native12_GLOBAL__N_124unique_dim_cuda_templateIiEESt5tupleIJNSH_6TensorESM_SM_EERKSM_lbbbEUlllE0_EEPmJS6_EEE10hipError_tPvRmT3_T4_T5_T6_T7_T9_mT8_P12ihipStream_tbDpT10_ENKUlT_T0_E_clISt17integral_constantIbLb0EES1B_IbLb1EEEEDaS17_S18_EUlS17_E_NS1_11comp_targetILNS1_3genE9ELNS1_11target_archE1100ELNS1_3gpuE3ELNS1_3repE0EEENS1_30default_config_static_selectorELNS0_4arch9wavefront6targetE0EEEvT1_
		.amdhsa_group_segment_fixed_size 33804
		.amdhsa_private_segment_fixed_size 0
		.amdhsa_kernarg_size 136
		.amdhsa_user_sgpr_count 15
		.amdhsa_user_sgpr_dispatch_ptr 0
		.amdhsa_user_sgpr_queue_ptr 0
		.amdhsa_user_sgpr_kernarg_segment_ptr 1
		.amdhsa_user_sgpr_dispatch_id 0
		.amdhsa_user_sgpr_private_segment_size 0
		.amdhsa_wavefront_size32 1
		.amdhsa_uses_dynamic_stack 0
		.amdhsa_enable_private_segment 0
		.amdhsa_system_sgpr_workgroup_id_x 1
		.amdhsa_system_sgpr_workgroup_id_y 0
		.amdhsa_system_sgpr_workgroup_id_z 0
		.amdhsa_system_sgpr_workgroup_info 0
		.amdhsa_system_vgpr_workitem_id 0
		.amdhsa_next_free_vgpr 52
		.amdhsa_next_free_sgpr 38
		.amdhsa_reserve_vcc 1
		.amdhsa_float_round_mode_32 0
		.amdhsa_float_round_mode_16_64 0
		.amdhsa_float_denorm_mode_32 3
		.amdhsa_float_denorm_mode_16_64 3
		.amdhsa_dx10_clamp 1
		.amdhsa_ieee_mode 1
		.amdhsa_fp16_overflow 0
		.amdhsa_workgroup_processor_mode 1
		.amdhsa_memory_ordered 1
		.amdhsa_forward_progress 0
		.amdhsa_shared_vgpr_count 0
		.amdhsa_exception_fp_ieee_invalid_op 0
		.amdhsa_exception_fp_denorm_src 0
		.amdhsa_exception_fp_ieee_div_zero 0
		.amdhsa_exception_fp_ieee_overflow 0
		.amdhsa_exception_fp_ieee_underflow 0
		.amdhsa_exception_fp_ieee_inexact 0
		.amdhsa_exception_int_div_zero 0
	.end_amdhsa_kernel
	.section	.text._ZN7rocprim17ROCPRIM_400000_NS6detail17trampoline_kernelINS0_14default_configENS1_25partition_config_selectorILNS1_17partition_subalgoE8ElNS0_10empty_typeEbEEZZNS1_14partition_implILS5_8ELb0ES3_jPlPS6_PKS6_NS0_5tupleIJS9_S6_EEENSD_IJSA_SA_EEENS0_18inequality_wrapperIZN2at6native12_GLOBAL__N_124unique_dim_cuda_templateIiEESt5tupleIJNSH_6TensorESM_SM_EERKSM_lbbbEUlllE0_EEPmJS6_EEE10hipError_tPvRmT3_T4_T5_T6_T7_T9_mT8_P12ihipStream_tbDpT10_ENKUlT_T0_E_clISt17integral_constantIbLb0EES1B_IbLb1EEEEDaS17_S18_EUlS17_E_NS1_11comp_targetILNS1_3genE9ELNS1_11target_archE1100ELNS1_3gpuE3ELNS1_3repE0EEENS1_30default_config_static_selectorELNS0_4arch9wavefront6targetE0EEEvT1_,"axG",@progbits,_ZN7rocprim17ROCPRIM_400000_NS6detail17trampoline_kernelINS0_14default_configENS1_25partition_config_selectorILNS1_17partition_subalgoE8ElNS0_10empty_typeEbEEZZNS1_14partition_implILS5_8ELb0ES3_jPlPS6_PKS6_NS0_5tupleIJS9_S6_EEENSD_IJSA_SA_EEENS0_18inequality_wrapperIZN2at6native12_GLOBAL__N_124unique_dim_cuda_templateIiEESt5tupleIJNSH_6TensorESM_SM_EERKSM_lbbbEUlllE0_EEPmJS6_EEE10hipError_tPvRmT3_T4_T5_T6_T7_T9_mT8_P12ihipStream_tbDpT10_ENKUlT_T0_E_clISt17integral_constantIbLb0EES1B_IbLb1EEEEDaS17_S18_EUlS17_E_NS1_11comp_targetILNS1_3genE9ELNS1_11target_archE1100ELNS1_3gpuE3ELNS1_3repE0EEENS1_30default_config_static_selectorELNS0_4arch9wavefront6targetE0EEEvT1_,comdat
.Lfunc_end471:
	.size	_ZN7rocprim17ROCPRIM_400000_NS6detail17trampoline_kernelINS0_14default_configENS1_25partition_config_selectorILNS1_17partition_subalgoE8ElNS0_10empty_typeEbEEZZNS1_14partition_implILS5_8ELb0ES3_jPlPS6_PKS6_NS0_5tupleIJS9_S6_EEENSD_IJSA_SA_EEENS0_18inequality_wrapperIZN2at6native12_GLOBAL__N_124unique_dim_cuda_templateIiEESt5tupleIJNSH_6TensorESM_SM_EERKSM_lbbbEUlllE0_EEPmJS6_EEE10hipError_tPvRmT3_T4_T5_T6_T7_T9_mT8_P12ihipStream_tbDpT10_ENKUlT_T0_E_clISt17integral_constantIbLb0EES1B_IbLb1EEEEDaS17_S18_EUlS17_E_NS1_11comp_targetILNS1_3genE9ELNS1_11target_archE1100ELNS1_3gpuE3ELNS1_3repE0EEENS1_30default_config_static_selectorELNS0_4arch9wavefront6targetE0EEEvT1_, .Lfunc_end471-_ZN7rocprim17ROCPRIM_400000_NS6detail17trampoline_kernelINS0_14default_configENS1_25partition_config_selectorILNS1_17partition_subalgoE8ElNS0_10empty_typeEbEEZZNS1_14partition_implILS5_8ELb0ES3_jPlPS6_PKS6_NS0_5tupleIJS9_S6_EEENSD_IJSA_SA_EEENS0_18inequality_wrapperIZN2at6native12_GLOBAL__N_124unique_dim_cuda_templateIiEESt5tupleIJNSH_6TensorESM_SM_EERKSM_lbbbEUlllE0_EEPmJS6_EEE10hipError_tPvRmT3_T4_T5_T6_T7_T9_mT8_P12ihipStream_tbDpT10_ENKUlT_T0_E_clISt17integral_constantIbLb0EES1B_IbLb1EEEEDaS17_S18_EUlS17_E_NS1_11comp_targetILNS1_3genE9ELNS1_11target_archE1100ELNS1_3gpuE3ELNS1_3repE0EEENS1_30default_config_static_selectorELNS0_4arch9wavefront6targetE0EEEvT1_
                                        ; -- End function
	.section	.AMDGPU.csdata,"",@progbits
; Kernel info:
; codeLenInByte = 18420
; NumSgprs: 40
; NumVgprs: 52
; ScratchSize: 0
; MemoryBound: 0
; FloatMode: 240
; IeeeMode: 1
; LDSByteSize: 33804 bytes/workgroup (compile time only)
; SGPRBlocks: 4
; VGPRBlocks: 6
; NumSGPRsForWavesPerEU: 40
; NumVGPRsForWavesPerEU: 52
; Occupancy: 12
; WaveLimiterHint : 1
; COMPUTE_PGM_RSRC2:SCRATCH_EN: 0
; COMPUTE_PGM_RSRC2:USER_SGPR: 15
; COMPUTE_PGM_RSRC2:TRAP_HANDLER: 0
; COMPUTE_PGM_RSRC2:TGID_X_EN: 1
; COMPUTE_PGM_RSRC2:TGID_Y_EN: 0
; COMPUTE_PGM_RSRC2:TGID_Z_EN: 0
; COMPUTE_PGM_RSRC2:TIDIG_COMP_CNT: 0
	.section	.text._ZN7rocprim17ROCPRIM_400000_NS6detail17trampoline_kernelINS0_14default_configENS1_25partition_config_selectorILNS1_17partition_subalgoE8ElNS0_10empty_typeEbEEZZNS1_14partition_implILS5_8ELb0ES3_jPlPS6_PKS6_NS0_5tupleIJS9_S6_EEENSD_IJSA_SA_EEENS0_18inequality_wrapperIZN2at6native12_GLOBAL__N_124unique_dim_cuda_templateIiEESt5tupleIJNSH_6TensorESM_SM_EERKSM_lbbbEUlllE0_EEPmJS6_EEE10hipError_tPvRmT3_T4_T5_T6_T7_T9_mT8_P12ihipStream_tbDpT10_ENKUlT_T0_E_clISt17integral_constantIbLb0EES1B_IbLb1EEEEDaS17_S18_EUlS17_E_NS1_11comp_targetILNS1_3genE8ELNS1_11target_archE1030ELNS1_3gpuE2ELNS1_3repE0EEENS1_30default_config_static_selectorELNS0_4arch9wavefront6targetE0EEEvT1_,"axG",@progbits,_ZN7rocprim17ROCPRIM_400000_NS6detail17trampoline_kernelINS0_14default_configENS1_25partition_config_selectorILNS1_17partition_subalgoE8ElNS0_10empty_typeEbEEZZNS1_14partition_implILS5_8ELb0ES3_jPlPS6_PKS6_NS0_5tupleIJS9_S6_EEENSD_IJSA_SA_EEENS0_18inequality_wrapperIZN2at6native12_GLOBAL__N_124unique_dim_cuda_templateIiEESt5tupleIJNSH_6TensorESM_SM_EERKSM_lbbbEUlllE0_EEPmJS6_EEE10hipError_tPvRmT3_T4_T5_T6_T7_T9_mT8_P12ihipStream_tbDpT10_ENKUlT_T0_E_clISt17integral_constantIbLb0EES1B_IbLb1EEEEDaS17_S18_EUlS17_E_NS1_11comp_targetILNS1_3genE8ELNS1_11target_archE1030ELNS1_3gpuE2ELNS1_3repE0EEENS1_30default_config_static_selectorELNS0_4arch9wavefront6targetE0EEEvT1_,comdat
	.globl	_ZN7rocprim17ROCPRIM_400000_NS6detail17trampoline_kernelINS0_14default_configENS1_25partition_config_selectorILNS1_17partition_subalgoE8ElNS0_10empty_typeEbEEZZNS1_14partition_implILS5_8ELb0ES3_jPlPS6_PKS6_NS0_5tupleIJS9_S6_EEENSD_IJSA_SA_EEENS0_18inequality_wrapperIZN2at6native12_GLOBAL__N_124unique_dim_cuda_templateIiEESt5tupleIJNSH_6TensorESM_SM_EERKSM_lbbbEUlllE0_EEPmJS6_EEE10hipError_tPvRmT3_T4_T5_T6_T7_T9_mT8_P12ihipStream_tbDpT10_ENKUlT_T0_E_clISt17integral_constantIbLb0EES1B_IbLb1EEEEDaS17_S18_EUlS17_E_NS1_11comp_targetILNS1_3genE8ELNS1_11target_archE1030ELNS1_3gpuE2ELNS1_3repE0EEENS1_30default_config_static_selectorELNS0_4arch9wavefront6targetE0EEEvT1_ ; -- Begin function _ZN7rocprim17ROCPRIM_400000_NS6detail17trampoline_kernelINS0_14default_configENS1_25partition_config_selectorILNS1_17partition_subalgoE8ElNS0_10empty_typeEbEEZZNS1_14partition_implILS5_8ELb0ES3_jPlPS6_PKS6_NS0_5tupleIJS9_S6_EEENSD_IJSA_SA_EEENS0_18inequality_wrapperIZN2at6native12_GLOBAL__N_124unique_dim_cuda_templateIiEESt5tupleIJNSH_6TensorESM_SM_EERKSM_lbbbEUlllE0_EEPmJS6_EEE10hipError_tPvRmT3_T4_T5_T6_T7_T9_mT8_P12ihipStream_tbDpT10_ENKUlT_T0_E_clISt17integral_constantIbLb0EES1B_IbLb1EEEEDaS17_S18_EUlS17_E_NS1_11comp_targetILNS1_3genE8ELNS1_11target_archE1030ELNS1_3gpuE2ELNS1_3repE0EEENS1_30default_config_static_selectorELNS0_4arch9wavefront6targetE0EEEvT1_
	.p2align	8
	.type	_ZN7rocprim17ROCPRIM_400000_NS6detail17trampoline_kernelINS0_14default_configENS1_25partition_config_selectorILNS1_17partition_subalgoE8ElNS0_10empty_typeEbEEZZNS1_14partition_implILS5_8ELb0ES3_jPlPS6_PKS6_NS0_5tupleIJS9_S6_EEENSD_IJSA_SA_EEENS0_18inequality_wrapperIZN2at6native12_GLOBAL__N_124unique_dim_cuda_templateIiEESt5tupleIJNSH_6TensorESM_SM_EERKSM_lbbbEUlllE0_EEPmJS6_EEE10hipError_tPvRmT3_T4_T5_T6_T7_T9_mT8_P12ihipStream_tbDpT10_ENKUlT_T0_E_clISt17integral_constantIbLb0EES1B_IbLb1EEEEDaS17_S18_EUlS17_E_NS1_11comp_targetILNS1_3genE8ELNS1_11target_archE1030ELNS1_3gpuE2ELNS1_3repE0EEENS1_30default_config_static_selectorELNS0_4arch9wavefront6targetE0EEEvT1_,@function
_ZN7rocprim17ROCPRIM_400000_NS6detail17trampoline_kernelINS0_14default_configENS1_25partition_config_selectorILNS1_17partition_subalgoE8ElNS0_10empty_typeEbEEZZNS1_14partition_implILS5_8ELb0ES3_jPlPS6_PKS6_NS0_5tupleIJS9_S6_EEENSD_IJSA_SA_EEENS0_18inequality_wrapperIZN2at6native12_GLOBAL__N_124unique_dim_cuda_templateIiEESt5tupleIJNSH_6TensorESM_SM_EERKSM_lbbbEUlllE0_EEPmJS6_EEE10hipError_tPvRmT3_T4_T5_T6_T7_T9_mT8_P12ihipStream_tbDpT10_ENKUlT_T0_E_clISt17integral_constantIbLb0EES1B_IbLb1EEEEDaS17_S18_EUlS17_E_NS1_11comp_targetILNS1_3genE8ELNS1_11target_archE1030ELNS1_3gpuE2ELNS1_3repE0EEENS1_30default_config_static_selectorELNS0_4arch9wavefront6targetE0EEEvT1_: ; @_ZN7rocprim17ROCPRIM_400000_NS6detail17trampoline_kernelINS0_14default_configENS1_25partition_config_selectorILNS1_17partition_subalgoE8ElNS0_10empty_typeEbEEZZNS1_14partition_implILS5_8ELb0ES3_jPlPS6_PKS6_NS0_5tupleIJS9_S6_EEENSD_IJSA_SA_EEENS0_18inequality_wrapperIZN2at6native12_GLOBAL__N_124unique_dim_cuda_templateIiEESt5tupleIJNSH_6TensorESM_SM_EERKSM_lbbbEUlllE0_EEPmJS6_EEE10hipError_tPvRmT3_T4_T5_T6_T7_T9_mT8_P12ihipStream_tbDpT10_ENKUlT_T0_E_clISt17integral_constantIbLb0EES1B_IbLb1EEEEDaS17_S18_EUlS17_E_NS1_11comp_targetILNS1_3genE8ELNS1_11target_archE1030ELNS1_3gpuE2ELNS1_3repE0EEENS1_30default_config_static_selectorELNS0_4arch9wavefront6targetE0EEEvT1_
; %bb.0:
	.section	.rodata,"a",@progbits
	.p2align	6, 0x0
	.amdhsa_kernel _ZN7rocprim17ROCPRIM_400000_NS6detail17trampoline_kernelINS0_14default_configENS1_25partition_config_selectorILNS1_17partition_subalgoE8ElNS0_10empty_typeEbEEZZNS1_14partition_implILS5_8ELb0ES3_jPlPS6_PKS6_NS0_5tupleIJS9_S6_EEENSD_IJSA_SA_EEENS0_18inequality_wrapperIZN2at6native12_GLOBAL__N_124unique_dim_cuda_templateIiEESt5tupleIJNSH_6TensorESM_SM_EERKSM_lbbbEUlllE0_EEPmJS6_EEE10hipError_tPvRmT3_T4_T5_T6_T7_T9_mT8_P12ihipStream_tbDpT10_ENKUlT_T0_E_clISt17integral_constantIbLb0EES1B_IbLb1EEEEDaS17_S18_EUlS17_E_NS1_11comp_targetILNS1_3genE8ELNS1_11target_archE1030ELNS1_3gpuE2ELNS1_3repE0EEENS1_30default_config_static_selectorELNS0_4arch9wavefront6targetE0EEEvT1_
		.amdhsa_group_segment_fixed_size 0
		.amdhsa_private_segment_fixed_size 0
		.amdhsa_kernarg_size 136
		.amdhsa_user_sgpr_count 15
		.amdhsa_user_sgpr_dispatch_ptr 0
		.amdhsa_user_sgpr_queue_ptr 0
		.amdhsa_user_sgpr_kernarg_segment_ptr 1
		.amdhsa_user_sgpr_dispatch_id 0
		.amdhsa_user_sgpr_private_segment_size 0
		.amdhsa_wavefront_size32 1
		.amdhsa_uses_dynamic_stack 0
		.amdhsa_enable_private_segment 0
		.amdhsa_system_sgpr_workgroup_id_x 1
		.amdhsa_system_sgpr_workgroup_id_y 0
		.amdhsa_system_sgpr_workgroup_id_z 0
		.amdhsa_system_sgpr_workgroup_info 0
		.amdhsa_system_vgpr_workitem_id 0
		.amdhsa_next_free_vgpr 1
		.amdhsa_next_free_sgpr 1
		.amdhsa_reserve_vcc 0
		.amdhsa_float_round_mode_32 0
		.amdhsa_float_round_mode_16_64 0
		.amdhsa_float_denorm_mode_32 3
		.amdhsa_float_denorm_mode_16_64 3
		.amdhsa_dx10_clamp 1
		.amdhsa_ieee_mode 1
		.amdhsa_fp16_overflow 0
		.amdhsa_workgroup_processor_mode 1
		.amdhsa_memory_ordered 1
		.amdhsa_forward_progress 0
		.amdhsa_shared_vgpr_count 0
		.amdhsa_exception_fp_ieee_invalid_op 0
		.amdhsa_exception_fp_denorm_src 0
		.amdhsa_exception_fp_ieee_div_zero 0
		.amdhsa_exception_fp_ieee_overflow 0
		.amdhsa_exception_fp_ieee_underflow 0
		.amdhsa_exception_fp_ieee_inexact 0
		.amdhsa_exception_int_div_zero 0
	.end_amdhsa_kernel
	.section	.text._ZN7rocprim17ROCPRIM_400000_NS6detail17trampoline_kernelINS0_14default_configENS1_25partition_config_selectorILNS1_17partition_subalgoE8ElNS0_10empty_typeEbEEZZNS1_14partition_implILS5_8ELb0ES3_jPlPS6_PKS6_NS0_5tupleIJS9_S6_EEENSD_IJSA_SA_EEENS0_18inequality_wrapperIZN2at6native12_GLOBAL__N_124unique_dim_cuda_templateIiEESt5tupleIJNSH_6TensorESM_SM_EERKSM_lbbbEUlllE0_EEPmJS6_EEE10hipError_tPvRmT3_T4_T5_T6_T7_T9_mT8_P12ihipStream_tbDpT10_ENKUlT_T0_E_clISt17integral_constantIbLb0EES1B_IbLb1EEEEDaS17_S18_EUlS17_E_NS1_11comp_targetILNS1_3genE8ELNS1_11target_archE1030ELNS1_3gpuE2ELNS1_3repE0EEENS1_30default_config_static_selectorELNS0_4arch9wavefront6targetE0EEEvT1_,"axG",@progbits,_ZN7rocprim17ROCPRIM_400000_NS6detail17trampoline_kernelINS0_14default_configENS1_25partition_config_selectorILNS1_17partition_subalgoE8ElNS0_10empty_typeEbEEZZNS1_14partition_implILS5_8ELb0ES3_jPlPS6_PKS6_NS0_5tupleIJS9_S6_EEENSD_IJSA_SA_EEENS0_18inequality_wrapperIZN2at6native12_GLOBAL__N_124unique_dim_cuda_templateIiEESt5tupleIJNSH_6TensorESM_SM_EERKSM_lbbbEUlllE0_EEPmJS6_EEE10hipError_tPvRmT3_T4_T5_T6_T7_T9_mT8_P12ihipStream_tbDpT10_ENKUlT_T0_E_clISt17integral_constantIbLb0EES1B_IbLb1EEEEDaS17_S18_EUlS17_E_NS1_11comp_targetILNS1_3genE8ELNS1_11target_archE1030ELNS1_3gpuE2ELNS1_3repE0EEENS1_30default_config_static_selectorELNS0_4arch9wavefront6targetE0EEEvT1_,comdat
.Lfunc_end472:
	.size	_ZN7rocprim17ROCPRIM_400000_NS6detail17trampoline_kernelINS0_14default_configENS1_25partition_config_selectorILNS1_17partition_subalgoE8ElNS0_10empty_typeEbEEZZNS1_14partition_implILS5_8ELb0ES3_jPlPS6_PKS6_NS0_5tupleIJS9_S6_EEENSD_IJSA_SA_EEENS0_18inequality_wrapperIZN2at6native12_GLOBAL__N_124unique_dim_cuda_templateIiEESt5tupleIJNSH_6TensorESM_SM_EERKSM_lbbbEUlllE0_EEPmJS6_EEE10hipError_tPvRmT3_T4_T5_T6_T7_T9_mT8_P12ihipStream_tbDpT10_ENKUlT_T0_E_clISt17integral_constantIbLb0EES1B_IbLb1EEEEDaS17_S18_EUlS17_E_NS1_11comp_targetILNS1_3genE8ELNS1_11target_archE1030ELNS1_3gpuE2ELNS1_3repE0EEENS1_30default_config_static_selectorELNS0_4arch9wavefront6targetE0EEEvT1_, .Lfunc_end472-_ZN7rocprim17ROCPRIM_400000_NS6detail17trampoline_kernelINS0_14default_configENS1_25partition_config_selectorILNS1_17partition_subalgoE8ElNS0_10empty_typeEbEEZZNS1_14partition_implILS5_8ELb0ES3_jPlPS6_PKS6_NS0_5tupleIJS9_S6_EEENSD_IJSA_SA_EEENS0_18inequality_wrapperIZN2at6native12_GLOBAL__N_124unique_dim_cuda_templateIiEESt5tupleIJNSH_6TensorESM_SM_EERKSM_lbbbEUlllE0_EEPmJS6_EEE10hipError_tPvRmT3_T4_T5_T6_T7_T9_mT8_P12ihipStream_tbDpT10_ENKUlT_T0_E_clISt17integral_constantIbLb0EES1B_IbLb1EEEEDaS17_S18_EUlS17_E_NS1_11comp_targetILNS1_3genE8ELNS1_11target_archE1030ELNS1_3gpuE2ELNS1_3repE0EEENS1_30default_config_static_selectorELNS0_4arch9wavefront6targetE0EEEvT1_
                                        ; -- End function
	.section	.AMDGPU.csdata,"",@progbits
; Kernel info:
; codeLenInByte = 0
; NumSgprs: 0
; NumVgprs: 0
; ScratchSize: 0
; MemoryBound: 0
; FloatMode: 240
; IeeeMode: 1
; LDSByteSize: 0 bytes/workgroup (compile time only)
; SGPRBlocks: 0
; VGPRBlocks: 0
; NumSGPRsForWavesPerEU: 1
; NumVGPRsForWavesPerEU: 1
; Occupancy: 16
; WaveLimiterHint : 0
; COMPUTE_PGM_RSRC2:SCRATCH_EN: 0
; COMPUTE_PGM_RSRC2:USER_SGPR: 15
; COMPUTE_PGM_RSRC2:TRAP_HANDLER: 0
; COMPUTE_PGM_RSRC2:TGID_X_EN: 1
; COMPUTE_PGM_RSRC2:TGID_Y_EN: 0
; COMPUTE_PGM_RSRC2:TGID_Z_EN: 0
; COMPUTE_PGM_RSRC2:TIDIG_COMP_CNT: 0
	.section	.text._ZN7rocprim17ROCPRIM_400000_NS6detail17trampoline_kernelINS0_14default_configENS1_25partition_config_selectorILNS1_17partition_subalgoE9EllbEEZZNS1_14partition_implILS5_9ELb0ES3_jPlS8_PNS0_10empty_typeENS0_5tupleIJS8_S9_EEENSB_IJS8_SA_EEENS0_18inequality_wrapperIZN2at6native12_GLOBAL__N_124unique_dim_cuda_templateIiEESt5tupleIJNSF_6TensorESK_SK_EERKSK_lbbbEUlllE0_EEPmJS9_EEE10hipError_tPvRmT3_T4_T5_T6_T7_T9_mT8_P12ihipStream_tbDpT10_ENKUlT_T0_E_clISt17integral_constantIbLb0EES1A_EEDaS15_S16_EUlS15_E_NS1_11comp_targetILNS1_3genE0ELNS1_11target_archE4294967295ELNS1_3gpuE0ELNS1_3repE0EEENS1_30default_config_static_selectorELNS0_4arch9wavefront6targetE0EEEvT1_,"axG",@progbits,_ZN7rocprim17ROCPRIM_400000_NS6detail17trampoline_kernelINS0_14default_configENS1_25partition_config_selectorILNS1_17partition_subalgoE9EllbEEZZNS1_14partition_implILS5_9ELb0ES3_jPlS8_PNS0_10empty_typeENS0_5tupleIJS8_S9_EEENSB_IJS8_SA_EEENS0_18inequality_wrapperIZN2at6native12_GLOBAL__N_124unique_dim_cuda_templateIiEESt5tupleIJNSF_6TensorESK_SK_EERKSK_lbbbEUlllE0_EEPmJS9_EEE10hipError_tPvRmT3_T4_T5_T6_T7_T9_mT8_P12ihipStream_tbDpT10_ENKUlT_T0_E_clISt17integral_constantIbLb0EES1A_EEDaS15_S16_EUlS15_E_NS1_11comp_targetILNS1_3genE0ELNS1_11target_archE4294967295ELNS1_3gpuE0ELNS1_3repE0EEENS1_30default_config_static_selectorELNS0_4arch9wavefront6targetE0EEEvT1_,comdat
	.globl	_ZN7rocprim17ROCPRIM_400000_NS6detail17trampoline_kernelINS0_14default_configENS1_25partition_config_selectorILNS1_17partition_subalgoE9EllbEEZZNS1_14partition_implILS5_9ELb0ES3_jPlS8_PNS0_10empty_typeENS0_5tupleIJS8_S9_EEENSB_IJS8_SA_EEENS0_18inequality_wrapperIZN2at6native12_GLOBAL__N_124unique_dim_cuda_templateIiEESt5tupleIJNSF_6TensorESK_SK_EERKSK_lbbbEUlllE0_EEPmJS9_EEE10hipError_tPvRmT3_T4_T5_T6_T7_T9_mT8_P12ihipStream_tbDpT10_ENKUlT_T0_E_clISt17integral_constantIbLb0EES1A_EEDaS15_S16_EUlS15_E_NS1_11comp_targetILNS1_3genE0ELNS1_11target_archE4294967295ELNS1_3gpuE0ELNS1_3repE0EEENS1_30default_config_static_selectorELNS0_4arch9wavefront6targetE0EEEvT1_ ; -- Begin function _ZN7rocprim17ROCPRIM_400000_NS6detail17trampoline_kernelINS0_14default_configENS1_25partition_config_selectorILNS1_17partition_subalgoE9EllbEEZZNS1_14partition_implILS5_9ELb0ES3_jPlS8_PNS0_10empty_typeENS0_5tupleIJS8_S9_EEENSB_IJS8_SA_EEENS0_18inequality_wrapperIZN2at6native12_GLOBAL__N_124unique_dim_cuda_templateIiEESt5tupleIJNSF_6TensorESK_SK_EERKSK_lbbbEUlllE0_EEPmJS9_EEE10hipError_tPvRmT3_T4_T5_T6_T7_T9_mT8_P12ihipStream_tbDpT10_ENKUlT_T0_E_clISt17integral_constantIbLb0EES1A_EEDaS15_S16_EUlS15_E_NS1_11comp_targetILNS1_3genE0ELNS1_11target_archE4294967295ELNS1_3gpuE0ELNS1_3repE0EEENS1_30default_config_static_selectorELNS0_4arch9wavefront6targetE0EEEvT1_
	.p2align	8
	.type	_ZN7rocprim17ROCPRIM_400000_NS6detail17trampoline_kernelINS0_14default_configENS1_25partition_config_selectorILNS1_17partition_subalgoE9EllbEEZZNS1_14partition_implILS5_9ELb0ES3_jPlS8_PNS0_10empty_typeENS0_5tupleIJS8_S9_EEENSB_IJS8_SA_EEENS0_18inequality_wrapperIZN2at6native12_GLOBAL__N_124unique_dim_cuda_templateIiEESt5tupleIJNSF_6TensorESK_SK_EERKSK_lbbbEUlllE0_EEPmJS9_EEE10hipError_tPvRmT3_T4_T5_T6_T7_T9_mT8_P12ihipStream_tbDpT10_ENKUlT_T0_E_clISt17integral_constantIbLb0EES1A_EEDaS15_S16_EUlS15_E_NS1_11comp_targetILNS1_3genE0ELNS1_11target_archE4294967295ELNS1_3gpuE0ELNS1_3repE0EEENS1_30default_config_static_selectorELNS0_4arch9wavefront6targetE0EEEvT1_,@function
_ZN7rocprim17ROCPRIM_400000_NS6detail17trampoline_kernelINS0_14default_configENS1_25partition_config_selectorILNS1_17partition_subalgoE9EllbEEZZNS1_14partition_implILS5_9ELb0ES3_jPlS8_PNS0_10empty_typeENS0_5tupleIJS8_S9_EEENSB_IJS8_SA_EEENS0_18inequality_wrapperIZN2at6native12_GLOBAL__N_124unique_dim_cuda_templateIiEESt5tupleIJNSF_6TensorESK_SK_EERKSK_lbbbEUlllE0_EEPmJS9_EEE10hipError_tPvRmT3_T4_T5_T6_T7_T9_mT8_P12ihipStream_tbDpT10_ENKUlT_T0_E_clISt17integral_constantIbLb0EES1A_EEDaS15_S16_EUlS15_E_NS1_11comp_targetILNS1_3genE0ELNS1_11target_archE4294967295ELNS1_3gpuE0ELNS1_3repE0EEENS1_30default_config_static_selectorELNS0_4arch9wavefront6targetE0EEEvT1_: ; @_ZN7rocprim17ROCPRIM_400000_NS6detail17trampoline_kernelINS0_14default_configENS1_25partition_config_selectorILNS1_17partition_subalgoE9EllbEEZZNS1_14partition_implILS5_9ELb0ES3_jPlS8_PNS0_10empty_typeENS0_5tupleIJS8_S9_EEENSB_IJS8_SA_EEENS0_18inequality_wrapperIZN2at6native12_GLOBAL__N_124unique_dim_cuda_templateIiEESt5tupleIJNSF_6TensorESK_SK_EERKSK_lbbbEUlllE0_EEPmJS9_EEE10hipError_tPvRmT3_T4_T5_T6_T7_T9_mT8_P12ihipStream_tbDpT10_ENKUlT_T0_E_clISt17integral_constantIbLb0EES1A_EEDaS15_S16_EUlS15_E_NS1_11comp_targetILNS1_3genE0ELNS1_11target_archE4294967295ELNS1_3gpuE0ELNS1_3repE0EEENS1_30default_config_static_selectorELNS0_4arch9wavefront6targetE0EEEvT1_
; %bb.0:
	.section	.rodata,"a",@progbits
	.p2align	6, 0x0
	.amdhsa_kernel _ZN7rocprim17ROCPRIM_400000_NS6detail17trampoline_kernelINS0_14default_configENS1_25partition_config_selectorILNS1_17partition_subalgoE9EllbEEZZNS1_14partition_implILS5_9ELb0ES3_jPlS8_PNS0_10empty_typeENS0_5tupleIJS8_S9_EEENSB_IJS8_SA_EEENS0_18inequality_wrapperIZN2at6native12_GLOBAL__N_124unique_dim_cuda_templateIiEESt5tupleIJNSF_6TensorESK_SK_EERKSK_lbbbEUlllE0_EEPmJS9_EEE10hipError_tPvRmT3_T4_T5_T6_T7_T9_mT8_P12ihipStream_tbDpT10_ENKUlT_T0_E_clISt17integral_constantIbLb0EES1A_EEDaS15_S16_EUlS15_E_NS1_11comp_targetILNS1_3genE0ELNS1_11target_archE4294967295ELNS1_3gpuE0ELNS1_3repE0EEENS1_30default_config_static_selectorELNS0_4arch9wavefront6targetE0EEEvT1_
		.amdhsa_group_segment_fixed_size 0
		.amdhsa_private_segment_fixed_size 0
		.amdhsa_kernarg_size 120
		.amdhsa_user_sgpr_count 15
		.amdhsa_user_sgpr_dispatch_ptr 0
		.amdhsa_user_sgpr_queue_ptr 0
		.amdhsa_user_sgpr_kernarg_segment_ptr 1
		.amdhsa_user_sgpr_dispatch_id 0
		.amdhsa_user_sgpr_private_segment_size 0
		.amdhsa_wavefront_size32 1
		.amdhsa_uses_dynamic_stack 0
		.amdhsa_enable_private_segment 0
		.amdhsa_system_sgpr_workgroup_id_x 1
		.amdhsa_system_sgpr_workgroup_id_y 0
		.amdhsa_system_sgpr_workgroup_id_z 0
		.amdhsa_system_sgpr_workgroup_info 0
		.amdhsa_system_vgpr_workitem_id 0
		.amdhsa_next_free_vgpr 1
		.amdhsa_next_free_sgpr 1
		.amdhsa_reserve_vcc 0
		.amdhsa_float_round_mode_32 0
		.amdhsa_float_round_mode_16_64 0
		.amdhsa_float_denorm_mode_32 3
		.amdhsa_float_denorm_mode_16_64 3
		.amdhsa_dx10_clamp 1
		.amdhsa_ieee_mode 1
		.amdhsa_fp16_overflow 0
		.amdhsa_workgroup_processor_mode 1
		.amdhsa_memory_ordered 1
		.amdhsa_forward_progress 0
		.amdhsa_shared_vgpr_count 0
		.amdhsa_exception_fp_ieee_invalid_op 0
		.amdhsa_exception_fp_denorm_src 0
		.amdhsa_exception_fp_ieee_div_zero 0
		.amdhsa_exception_fp_ieee_overflow 0
		.amdhsa_exception_fp_ieee_underflow 0
		.amdhsa_exception_fp_ieee_inexact 0
		.amdhsa_exception_int_div_zero 0
	.end_amdhsa_kernel
	.section	.text._ZN7rocprim17ROCPRIM_400000_NS6detail17trampoline_kernelINS0_14default_configENS1_25partition_config_selectorILNS1_17partition_subalgoE9EllbEEZZNS1_14partition_implILS5_9ELb0ES3_jPlS8_PNS0_10empty_typeENS0_5tupleIJS8_S9_EEENSB_IJS8_SA_EEENS0_18inequality_wrapperIZN2at6native12_GLOBAL__N_124unique_dim_cuda_templateIiEESt5tupleIJNSF_6TensorESK_SK_EERKSK_lbbbEUlllE0_EEPmJS9_EEE10hipError_tPvRmT3_T4_T5_T6_T7_T9_mT8_P12ihipStream_tbDpT10_ENKUlT_T0_E_clISt17integral_constantIbLb0EES1A_EEDaS15_S16_EUlS15_E_NS1_11comp_targetILNS1_3genE0ELNS1_11target_archE4294967295ELNS1_3gpuE0ELNS1_3repE0EEENS1_30default_config_static_selectorELNS0_4arch9wavefront6targetE0EEEvT1_,"axG",@progbits,_ZN7rocprim17ROCPRIM_400000_NS6detail17trampoline_kernelINS0_14default_configENS1_25partition_config_selectorILNS1_17partition_subalgoE9EllbEEZZNS1_14partition_implILS5_9ELb0ES3_jPlS8_PNS0_10empty_typeENS0_5tupleIJS8_S9_EEENSB_IJS8_SA_EEENS0_18inequality_wrapperIZN2at6native12_GLOBAL__N_124unique_dim_cuda_templateIiEESt5tupleIJNSF_6TensorESK_SK_EERKSK_lbbbEUlllE0_EEPmJS9_EEE10hipError_tPvRmT3_T4_T5_T6_T7_T9_mT8_P12ihipStream_tbDpT10_ENKUlT_T0_E_clISt17integral_constantIbLb0EES1A_EEDaS15_S16_EUlS15_E_NS1_11comp_targetILNS1_3genE0ELNS1_11target_archE4294967295ELNS1_3gpuE0ELNS1_3repE0EEENS1_30default_config_static_selectorELNS0_4arch9wavefront6targetE0EEEvT1_,comdat
.Lfunc_end473:
	.size	_ZN7rocprim17ROCPRIM_400000_NS6detail17trampoline_kernelINS0_14default_configENS1_25partition_config_selectorILNS1_17partition_subalgoE9EllbEEZZNS1_14partition_implILS5_9ELb0ES3_jPlS8_PNS0_10empty_typeENS0_5tupleIJS8_S9_EEENSB_IJS8_SA_EEENS0_18inequality_wrapperIZN2at6native12_GLOBAL__N_124unique_dim_cuda_templateIiEESt5tupleIJNSF_6TensorESK_SK_EERKSK_lbbbEUlllE0_EEPmJS9_EEE10hipError_tPvRmT3_T4_T5_T6_T7_T9_mT8_P12ihipStream_tbDpT10_ENKUlT_T0_E_clISt17integral_constantIbLb0EES1A_EEDaS15_S16_EUlS15_E_NS1_11comp_targetILNS1_3genE0ELNS1_11target_archE4294967295ELNS1_3gpuE0ELNS1_3repE0EEENS1_30default_config_static_selectorELNS0_4arch9wavefront6targetE0EEEvT1_, .Lfunc_end473-_ZN7rocprim17ROCPRIM_400000_NS6detail17trampoline_kernelINS0_14default_configENS1_25partition_config_selectorILNS1_17partition_subalgoE9EllbEEZZNS1_14partition_implILS5_9ELb0ES3_jPlS8_PNS0_10empty_typeENS0_5tupleIJS8_S9_EEENSB_IJS8_SA_EEENS0_18inequality_wrapperIZN2at6native12_GLOBAL__N_124unique_dim_cuda_templateIiEESt5tupleIJNSF_6TensorESK_SK_EERKSK_lbbbEUlllE0_EEPmJS9_EEE10hipError_tPvRmT3_T4_T5_T6_T7_T9_mT8_P12ihipStream_tbDpT10_ENKUlT_T0_E_clISt17integral_constantIbLb0EES1A_EEDaS15_S16_EUlS15_E_NS1_11comp_targetILNS1_3genE0ELNS1_11target_archE4294967295ELNS1_3gpuE0ELNS1_3repE0EEENS1_30default_config_static_selectorELNS0_4arch9wavefront6targetE0EEEvT1_
                                        ; -- End function
	.section	.AMDGPU.csdata,"",@progbits
; Kernel info:
; codeLenInByte = 0
; NumSgprs: 0
; NumVgprs: 0
; ScratchSize: 0
; MemoryBound: 0
; FloatMode: 240
; IeeeMode: 1
; LDSByteSize: 0 bytes/workgroup (compile time only)
; SGPRBlocks: 0
; VGPRBlocks: 0
; NumSGPRsForWavesPerEU: 1
; NumVGPRsForWavesPerEU: 1
; Occupancy: 16
; WaveLimiterHint : 0
; COMPUTE_PGM_RSRC2:SCRATCH_EN: 0
; COMPUTE_PGM_RSRC2:USER_SGPR: 15
; COMPUTE_PGM_RSRC2:TRAP_HANDLER: 0
; COMPUTE_PGM_RSRC2:TGID_X_EN: 1
; COMPUTE_PGM_RSRC2:TGID_Y_EN: 0
; COMPUTE_PGM_RSRC2:TGID_Z_EN: 0
; COMPUTE_PGM_RSRC2:TIDIG_COMP_CNT: 0
	.section	.text._ZN7rocprim17ROCPRIM_400000_NS6detail17trampoline_kernelINS0_14default_configENS1_25partition_config_selectorILNS1_17partition_subalgoE9EllbEEZZNS1_14partition_implILS5_9ELb0ES3_jPlS8_PNS0_10empty_typeENS0_5tupleIJS8_S9_EEENSB_IJS8_SA_EEENS0_18inequality_wrapperIZN2at6native12_GLOBAL__N_124unique_dim_cuda_templateIiEESt5tupleIJNSF_6TensorESK_SK_EERKSK_lbbbEUlllE0_EEPmJS9_EEE10hipError_tPvRmT3_T4_T5_T6_T7_T9_mT8_P12ihipStream_tbDpT10_ENKUlT_T0_E_clISt17integral_constantIbLb0EES1A_EEDaS15_S16_EUlS15_E_NS1_11comp_targetILNS1_3genE5ELNS1_11target_archE942ELNS1_3gpuE9ELNS1_3repE0EEENS1_30default_config_static_selectorELNS0_4arch9wavefront6targetE0EEEvT1_,"axG",@progbits,_ZN7rocprim17ROCPRIM_400000_NS6detail17trampoline_kernelINS0_14default_configENS1_25partition_config_selectorILNS1_17partition_subalgoE9EllbEEZZNS1_14partition_implILS5_9ELb0ES3_jPlS8_PNS0_10empty_typeENS0_5tupleIJS8_S9_EEENSB_IJS8_SA_EEENS0_18inequality_wrapperIZN2at6native12_GLOBAL__N_124unique_dim_cuda_templateIiEESt5tupleIJNSF_6TensorESK_SK_EERKSK_lbbbEUlllE0_EEPmJS9_EEE10hipError_tPvRmT3_T4_T5_T6_T7_T9_mT8_P12ihipStream_tbDpT10_ENKUlT_T0_E_clISt17integral_constantIbLb0EES1A_EEDaS15_S16_EUlS15_E_NS1_11comp_targetILNS1_3genE5ELNS1_11target_archE942ELNS1_3gpuE9ELNS1_3repE0EEENS1_30default_config_static_selectorELNS0_4arch9wavefront6targetE0EEEvT1_,comdat
	.globl	_ZN7rocprim17ROCPRIM_400000_NS6detail17trampoline_kernelINS0_14default_configENS1_25partition_config_selectorILNS1_17partition_subalgoE9EllbEEZZNS1_14partition_implILS5_9ELb0ES3_jPlS8_PNS0_10empty_typeENS0_5tupleIJS8_S9_EEENSB_IJS8_SA_EEENS0_18inequality_wrapperIZN2at6native12_GLOBAL__N_124unique_dim_cuda_templateIiEESt5tupleIJNSF_6TensorESK_SK_EERKSK_lbbbEUlllE0_EEPmJS9_EEE10hipError_tPvRmT3_T4_T5_T6_T7_T9_mT8_P12ihipStream_tbDpT10_ENKUlT_T0_E_clISt17integral_constantIbLb0EES1A_EEDaS15_S16_EUlS15_E_NS1_11comp_targetILNS1_3genE5ELNS1_11target_archE942ELNS1_3gpuE9ELNS1_3repE0EEENS1_30default_config_static_selectorELNS0_4arch9wavefront6targetE0EEEvT1_ ; -- Begin function _ZN7rocprim17ROCPRIM_400000_NS6detail17trampoline_kernelINS0_14default_configENS1_25partition_config_selectorILNS1_17partition_subalgoE9EllbEEZZNS1_14partition_implILS5_9ELb0ES3_jPlS8_PNS0_10empty_typeENS0_5tupleIJS8_S9_EEENSB_IJS8_SA_EEENS0_18inequality_wrapperIZN2at6native12_GLOBAL__N_124unique_dim_cuda_templateIiEESt5tupleIJNSF_6TensorESK_SK_EERKSK_lbbbEUlllE0_EEPmJS9_EEE10hipError_tPvRmT3_T4_T5_T6_T7_T9_mT8_P12ihipStream_tbDpT10_ENKUlT_T0_E_clISt17integral_constantIbLb0EES1A_EEDaS15_S16_EUlS15_E_NS1_11comp_targetILNS1_3genE5ELNS1_11target_archE942ELNS1_3gpuE9ELNS1_3repE0EEENS1_30default_config_static_selectorELNS0_4arch9wavefront6targetE0EEEvT1_
	.p2align	8
	.type	_ZN7rocprim17ROCPRIM_400000_NS6detail17trampoline_kernelINS0_14default_configENS1_25partition_config_selectorILNS1_17partition_subalgoE9EllbEEZZNS1_14partition_implILS5_9ELb0ES3_jPlS8_PNS0_10empty_typeENS0_5tupleIJS8_S9_EEENSB_IJS8_SA_EEENS0_18inequality_wrapperIZN2at6native12_GLOBAL__N_124unique_dim_cuda_templateIiEESt5tupleIJNSF_6TensorESK_SK_EERKSK_lbbbEUlllE0_EEPmJS9_EEE10hipError_tPvRmT3_T4_T5_T6_T7_T9_mT8_P12ihipStream_tbDpT10_ENKUlT_T0_E_clISt17integral_constantIbLb0EES1A_EEDaS15_S16_EUlS15_E_NS1_11comp_targetILNS1_3genE5ELNS1_11target_archE942ELNS1_3gpuE9ELNS1_3repE0EEENS1_30default_config_static_selectorELNS0_4arch9wavefront6targetE0EEEvT1_,@function
_ZN7rocprim17ROCPRIM_400000_NS6detail17trampoline_kernelINS0_14default_configENS1_25partition_config_selectorILNS1_17partition_subalgoE9EllbEEZZNS1_14partition_implILS5_9ELb0ES3_jPlS8_PNS0_10empty_typeENS0_5tupleIJS8_S9_EEENSB_IJS8_SA_EEENS0_18inequality_wrapperIZN2at6native12_GLOBAL__N_124unique_dim_cuda_templateIiEESt5tupleIJNSF_6TensorESK_SK_EERKSK_lbbbEUlllE0_EEPmJS9_EEE10hipError_tPvRmT3_T4_T5_T6_T7_T9_mT8_P12ihipStream_tbDpT10_ENKUlT_T0_E_clISt17integral_constantIbLb0EES1A_EEDaS15_S16_EUlS15_E_NS1_11comp_targetILNS1_3genE5ELNS1_11target_archE942ELNS1_3gpuE9ELNS1_3repE0EEENS1_30default_config_static_selectorELNS0_4arch9wavefront6targetE0EEEvT1_: ; @_ZN7rocprim17ROCPRIM_400000_NS6detail17trampoline_kernelINS0_14default_configENS1_25partition_config_selectorILNS1_17partition_subalgoE9EllbEEZZNS1_14partition_implILS5_9ELb0ES3_jPlS8_PNS0_10empty_typeENS0_5tupleIJS8_S9_EEENSB_IJS8_SA_EEENS0_18inequality_wrapperIZN2at6native12_GLOBAL__N_124unique_dim_cuda_templateIiEESt5tupleIJNSF_6TensorESK_SK_EERKSK_lbbbEUlllE0_EEPmJS9_EEE10hipError_tPvRmT3_T4_T5_T6_T7_T9_mT8_P12ihipStream_tbDpT10_ENKUlT_T0_E_clISt17integral_constantIbLb0EES1A_EEDaS15_S16_EUlS15_E_NS1_11comp_targetILNS1_3genE5ELNS1_11target_archE942ELNS1_3gpuE9ELNS1_3repE0EEENS1_30default_config_static_selectorELNS0_4arch9wavefront6targetE0EEEvT1_
; %bb.0:
	.section	.rodata,"a",@progbits
	.p2align	6, 0x0
	.amdhsa_kernel _ZN7rocprim17ROCPRIM_400000_NS6detail17trampoline_kernelINS0_14default_configENS1_25partition_config_selectorILNS1_17partition_subalgoE9EllbEEZZNS1_14partition_implILS5_9ELb0ES3_jPlS8_PNS0_10empty_typeENS0_5tupleIJS8_S9_EEENSB_IJS8_SA_EEENS0_18inequality_wrapperIZN2at6native12_GLOBAL__N_124unique_dim_cuda_templateIiEESt5tupleIJNSF_6TensorESK_SK_EERKSK_lbbbEUlllE0_EEPmJS9_EEE10hipError_tPvRmT3_T4_T5_T6_T7_T9_mT8_P12ihipStream_tbDpT10_ENKUlT_T0_E_clISt17integral_constantIbLb0EES1A_EEDaS15_S16_EUlS15_E_NS1_11comp_targetILNS1_3genE5ELNS1_11target_archE942ELNS1_3gpuE9ELNS1_3repE0EEENS1_30default_config_static_selectorELNS0_4arch9wavefront6targetE0EEEvT1_
		.amdhsa_group_segment_fixed_size 0
		.amdhsa_private_segment_fixed_size 0
		.amdhsa_kernarg_size 120
		.amdhsa_user_sgpr_count 15
		.amdhsa_user_sgpr_dispatch_ptr 0
		.amdhsa_user_sgpr_queue_ptr 0
		.amdhsa_user_sgpr_kernarg_segment_ptr 1
		.amdhsa_user_sgpr_dispatch_id 0
		.amdhsa_user_sgpr_private_segment_size 0
		.amdhsa_wavefront_size32 1
		.amdhsa_uses_dynamic_stack 0
		.amdhsa_enable_private_segment 0
		.amdhsa_system_sgpr_workgroup_id_x 1
		.amdhsa_system_sgpr_workgroup_id_y 0
		.amdhsa_system_sgpr_workgroup_id_z 0
		.amdhsa_system_sgpr_workgroup_info 0
		.amdhsa_system_vgpr_workitem_id 0
		.amdhsa_next_free_vgpr 1
		.amdhsa_next_free_sgpr 1
		.amdhsa_reserve_vcc 0
		.amdhsa_float_round_mode_32 0
		.amdhsa_float_round_mode_16_64 0
		.amdhsa_float_denorm_mode_32 3
		.amdhsa_float_denorm_mode_16_64 3
		.amdhsa_dx10_clamp 1
		.amdhsa_ieee_mode 1
		.amdhsa_fp16_overflow 0
		.amdhsa_workgroup_processor_mode 1
		.amdhsa_memory_ordered 1
		.amdhsa_forward_progress 0
		.amdhsa_shared_vgpr_count 0
		.amdhsa_exception_fp_ieee_invalid_op 0
		.amdhsa_exception_fp_denorm_src 0
		.amdhsa_exception_fp_ieee_div_zero 0
		.amdhsa_exception_fp_ieee_overflow 0
		.amdhsa_exception_fp_ieee_underflow 0
		.amdhsa_exception_fp_ieee_inexact 0
		.amdhsa_exception_int_div_zero 0
	.end_amdhsa_kernel
	.section	.text._ZN7rocprim17ROCPRIM_400000_NS6detail17trampoline_kernelINS0_14default_configENS1_25partition_config_selectorILNS1_17partition_subalgoE9EllbEEZZNS1_14partition_implILS5_9ELb0ES3_jPlS8_PNS0_10empty_typeENS0_5tupleIJS8_S9_EEENSB_IJS8_SA_EEENS0_18inequality_wrapperIZN2at6native12_GLOBAL__N_124unique_dim_cuda_templateIiEESt5tupleIJNSF_6TensorESK_SK_EERKSK_lbbbEUlllE0_EEPmJS9_EEE10hipError_tPvRmT3_T4_T5_T6_T7_T9_mT8_P12ihipStream_tbDpT10_ENKUlT_T0_E_clISt17integral_constantIbLb0EES1A_EEDaS15_S16_EUlS15_E_NS1_11comp_targetILNS1_3genE5ELNS1_11target_archE942ELNS1_3gpuE9ELNS1_3repE0EEENS1_30default_config_static_selectorELNS0_4arch9wavefront6targetE0EEEvT1_,"axG",@progbits,_ZN7rocprim17ROCPRIM_400000_NS6detail17trampoline_kernelINS0_14default_configENS1_25partition_config_selectorILNS1_17partition_subalgoE9EllbEEZZNS1_14partition_implILS5_9ELb0ES3_jPlS8_PNS0_10empty_typeENS0_5tupleIJS8_S9_EEENSB_IJS8_SA_EEENS0_18inequality_wrapperIZN2at6native12_GLOBAL__N_124unique_dim_cuda_templateIiEESt5tupleIJNSF_6TensorESK_SK_EERKSK_lbbbEUlllE0_EEPmJS9_EEE10hipError_tPvRmT3_T4_T5_T6_T7_T9_mT8_P12ihipStream_tbDpT10_ENKUlT_T0_E_clISt17integral_constantIbLb0EES1A_EEDaS15_S16_EUlS15_E_NS1_11comp_targetILNS1_3genE5ELNS1_11target_archE942ELNS1_3gpuE9ELNS1_3repE0EEENS1_30default_config_static_selectorELNS0_4arch9wavefront6targetE0EEEvT1_,comdat
.Lfunc_end474:
	.size	_ZN7rocprim17ROCPRIM_400000_NS6detail17trampoline_kernelINS0_14default_configENS1_25partition_config_selectorILNS1_17partition_subalgoE9EllbEEZZNS1_14partition_implILS5_9ELb0ES3_jPlS8_PNS0_10empty_typeENS0_5tupleIJS8_S9_EEENSB_IJS8_SA_EEENS0_18inequality_wrapperIZN2at6native12_GLOBAL__N_124unique_dim_cuda_templateIiEESt5tupleIJNSF_6TensorESK_SK_EERKSK_lbbbEUlllE0_EEPmJS9_EEE10hipError_tPvRmT3_T4_T5_T6_T7_T9_mT8_P12ihipStream_tbDpT10_ENKUlT_T0_E_clISt17integral_constantIbLb0EES1A_EEDaS15_S16_EUlS15_E_NS1_11comp_targetILNS1_3genE5ELNS1_11target_archE942ELNS1_3gpuE9ELNS1_3repE0EEENS1_30default_config_static_selectorELNS0_4arch9wavefront6targetE0EEEvT1_, .Lfunc_end474-_ZN7rocprim17ROCPRIM_400000_NS6detail17trampoline_kernelINS0_14default_configENS1_25partition_config_selectorILNS1_17partition_subalgoE9EllbEEZZNS1_14partition_implILS5_9ELb0ES3_jPlS8_PNS0_10empty_typeENS0_5tupleIJS8_S9_EEENSB_IJS8_SA_EEENS0_18inequality_wrapperIZN2at6native12_GLOBAL__N_124unique_dim_cuda_templateIiEESt5tupleIJNSF_6TensorESK_SK_EERKSK_lbbbEUlllE0_EEPmJS9_EEE10hipError_tPvRmT3_T4_T5_T6_T7_T9_mT8_P12ihipStream_tbDpT10_ENKUlT_T0_E_clISt17integral_constantIbLb0EES1A_EEDaS15_S16_EUlS15_E_NS1_11comp_targetILNS1_3genE5ELNS1_11target_archE942ELNS1_3gpuE9ELNS1_3repE0EEENS1_30default_config_static_selectorELNS0_4arch9wavefront6targetE0EEEvT1_
                                        ; -- End function
	.section	.AMDGPU.csdata,"",@progbits
; Kernel info:
; codeLenInByte = 0
; NumSgprs: 0
; NumVgprs: 0
; ScratchSize: 0
; MemoryBound: 0
; FloatMode: 240
; IeeeMode: 1
; LDSByteSize: 0 bytes/workgroup (compile time only)
; SGPRBlocks: 0
; VGPRBlocks: 0
; NumSGPRsForWavesPerEU: 1
; NumVGPRsForWavesPerEU: 1
; Occupancy: 16
; WaveLimiterHint : 0
; COMPUTE_PGM_RSRC2:SCRATCH_EN: 0
; COMPUTE_PGM_RSRC2:USER_SGPR: 15
; COMPUTE_PGM_RSRC2:TRAP_HANDLER: 0
; COMPUTE_PGM_RSRC2:TGID_X_EN: 1
; COMPUTE_PGM_RSRC2:TGID_Y_EN: 0
; COMPUTE_PGM_RSRC2:TGID_Z_EN: 0
; COMPUTE_PGM_RSRC2:TIDIG_COMP_CNT: 0
	.section	.text._ZN7rocprim17ROCPRIM_400000_NS6detail17trampoline_kernelINS0_14default_configENS1_25partition_config_selectorILNS1_17partition_subalgoE9EllbEEZZNS1_14partition_implILS5_9ELb0ES3_jPlS8_PNS0_10empty_typeENS0_5tupleIJS8_S9_EEENSB_IJS8_SA_EEENS0_18inequality_wrapperIZN2at6native12_GLOBAL__N_124unique_dim_cuda_templateIiEESt5tupleIJNSF_6TensorESK_SK_EERKSK_lbbbEUlllE0_EEPmJS9_EEE10hipError_tPvRmT3_T4_T5_T6_T7_T9_mT8_P12ihipStream_tbDpT10_ENKUlT_T0_E_clISt17integral_constantIbLb0EES1A_EEDaS15_S16_EUlS15_E_NS1_11comp_targetILNS1_3genE4ELNS1_11target_archE910ELNS1_3gpuE8ELNS1_3repE0EEENS1_30default_config_static_selectorELNS0_4arch9wavefront6targetE0EEEvT1_,"axG",@progbits,_ZN7rocprim17ROCPRIM_400000_NS6detail17trampoline_kernelINS0_14default_configENS1_25partition_config_selectorILNS1_17partition_subalgoE9EllbEEZZNS1_14partition_implILS5_9ELb0ES3_jPlS8_PNS0_10empty_typeENS0_5tupleIJS8_S9_EEENSB_IJS8_SA_EEENS0_18inequality_wrapperIZN2at6native12_GLOBAL__N_124unique_dim_cuda_templateIiEESt5tupleIJNSF_6TensorESK_SK_EERKSK_lbbbEUlllE0_EEPmJS9_EEE10hipError_tPvRmT3_T4_T5_T6_T7_T9_mT8_P12ihipStream_tbDpT10_ENKUlT_T0_E_clISt17integral_constantIbLb0EES1A_EEDaS15_S16_EUlS15_E_NS1_11comp_targetILNS1_3genE4ELNS1_11target_archE910ELNS1_3gpuE8ELNS1_3repE0EEENS1_30default_config_static_selectorELNS0_4arch9wavefront6targetE0EEEvT1_,comdat
	.globl	_ZN7rocprim17ROCPRIM_400000_NS6detail17trampoline_kernelINS0_14default_configENS1_25partition_config_selectorILNS1_17partition_subalgoE9EllbEEZZNS1_14partition_implILS5_9ELb0ES3_jPlS8_PNS0_10empty_typeENS0_5tupleIJS8_S9_EEENSB_IJS8_SA_EEENS0_18inequality_wrapperIZN2at6native12_GLOBAL__N_124unique_dim_cuda_templateIiEESt5tupleIJNSF_6TensorESK_SK_EERKSK_lbbbEUlllE0_EEPmJS9_EEE10hipError_tPvRmT3_T4_T5_T6_T7_T9_mT8_P12ihipStream_tbDpT10_ENKUlT_T0_E_clISt17integral_constantIbLb0EES1A_EEDaS15_S16_EUlS15_E_NS1_11comp_targetILNS1_3genE4ELNS1_11target_archE910ELNS1_3gpuE8ELNS1_3repE0EEENS1_30default_config_static_selectorELNS0_4arch9wavefront6targetE0EEEvT1_ ; -- Begin function _ZN7rocprim17ROCPRIM_400000_NS6detail17trampoline_kernelINS0_14default_configENS1_25partition_config_selectorILNS1_17partition_subalgoE9EllbEEZZNS1_14partition_implILS5_9ELb0ES3_jPlS8_PNS0_10empty_typeENS0_5tupleIJS8_S9_EEENSB_IJS8_SA_EEENS0_18inequality_wrapperIZN2at6native12_GLOBAL__N_124unique_dim_cuda_templateIiEESt5tupleIJNSF_6TensorESK_SK_EERKSK_lbbbEUlllE0_EEPmJS9_EEE10hipError_tPvRmT3_T4_T5_T6_T7_T9_mT8_P12ihipStream_tbDpT10_ENKUlT_T0_E_clISt17integral_constantIbLb0EES1A_EEDaS15_S16_EUlS15_E_NS1_11comp_targetILNS1_3genE4ELNS1_11target_archE910ELNS1_3gpuE8ELNS1_3repE0EEENS1_30default_config_static_selectorELNS0_4arch9wavefront6targetE0EEEvT1_
	.p2align	8
	.type	_ZN7rocprim17ROCPRIM_400000_NS6detail17trampoline_kernelINS0_14default_configENS1_25partition_config_selectorILNS1_17partition_subalgoE9EllbEEZZNS1_14partition_implILS5_9ELb0ES3_jPlS8_PNS0_10empty_typeENS0_5tupleIJS8_S9_EEENSB_IJS8_SA_EEENS0_18inequality_wrapperIZN2at6native12_GLOBAL__N_124unique_dim_cuda_templateIiEESt5tupleIJNSF_6TensorESK_SK_EERKSK_lbbbEUlllE0_EEPmJS9_EEE10hipError_tPvRmT3_T4_T5_T6_T7_T9_mT8_P12ihipStream_tbDpT10_ENKUlT_T0_E_clISt17integral_constantIbLb0EES1A_EEDaS15_S16_EUlS15_E_NS1_11comp_targetILNS1_3genE4ELNS1_11target_archE910ELNS1_3gpuE8ELNS1_3repE0EEENS1_30default_config_static_selectorELNS0_4arch9wavefront6targetE0EEEvT1_,@function
_ZN7rocprim17ROCPRIM_400000_NS6detail17trampoline_kernelINS0_14default_configENS1_25partition_config_selectorILNS1_17partition_subalgoE9EllbEEZZNS1_14partition_implILS5_9ELb0ES3_jPlS8_PNS0_10empty_typeENS0_5tupleIJS8_S9_EEENSB_IJS8_SA_EEENS0_18inequality_wrapperIZN2at6native12_GLOBAL__N_124unique_dim_cuda_templateIiEESt5tupleIJNSF_6TensorESK_SK_EERKSK_lbbbEUlllE0_EEPmJS9_EEE10hipError_tPvRmT3_T4_T5_T6_T7_T9_mT8_P12ihipStream_tbDpT10_ENKUlT_T0_E_clISt17integral_constantIbLb0EES1A_EEDaS15_S16_EUlS15_E_NS1_11comp_targetILNS1_3genE4ELNS1_11target_archE910ELNS1_3gpuE8ELNS1_3repE0EEENS1_30default_config_static_selectorELNS0_4arch9wavefront6targetE0EEEvT1_: ; @_ZN7rocprim17ROCPRIM_400000_NS6detail17trampoline_kernelINS0_14default_configENS1_25partition_config_selectorILNS1_17partition_subalgoE9EllbEEZZNS1_14partition_implILS5_9ELb0ES3_jPlS8_PNS0_10empty_typeENS0_5tupleIJS8_S9_EEENSB_IJS8_SA_EEENS0_18inequality_wrapperIZN2at6native12_GLOBAL__N_124unique_dim_cuda_templateIiEESt5tupleIJNSF_6TensorESK_SK_EERKSK_lbbbEUlllE0_EEPmJS9_EEE10hipError_tPvRmT3_T4_T5_T6_T7_T9_mT8_P12ihipStream_tbDpT10_ENKUlT_T0_E_clISt17integral_constantIbLb0EES1A_EEDaS15_S16_EUlS15_E_NS1_11comp_targetILNS1_3genE4ELNS1_11target_archE910ELNS1_3gpuE8ELNS1_3repE0EEENS1_30default_config_static_selectorELNS0_4arch9wavefront6targetE0EEEvT1_
; %bb.0:
	.section	.rodata,"a",@progbits
	.p2align	6, 0x0
	.amdhsa_kernel _ZN7rocprim17ROCPRIM_400000_NS6detail17trampoline_kernelINS0_14default_configENS1_25partition_config_selectorILNS1_17partition_subalgoE9EllbEEZZNS1_14partition_implILS5_9ELb0ES3_jPlS8_PNS0_10empty_typeENS0_5tupleIJS8_S9_EEENSB_IJS8_SA_EEENS0_18inequality_wrapperIZN2at6native12_GLOBAL__N_124unique_dim_cuda_templateIiEESt5tupleIJNSF_6TensorESK_SK_EERKSK_lbbbEUlllE0_EEPmJS9_EEE10hipError_tPvRmT3_T4_T5_T6_T7_T9_mT8_P12ihipStream_tbDpT10_ENKUlT_T0_E_clISt17integral_constantIbLb0EES1A_EEDaS15_S16_EUlS15_E_NS1_11comp_targetILNS1_3genE4ELNS1_11target_archE910ELNS1_3gpuE8ELNS1_3repE0EEENS1_30default_config_static_selectorELNS0_4arch9wavefront6targetE0EEEvT1_
		.amdhsa_group_segment_fixed_size 0
		.amdhsa_private_segment_fixed_size 0
		.amdhsa_kernarg_size 120
		.amdhsa_user_sgpr_count 15
		.amdhsa_user_sgpr_dispatch_ptr 0
		.amdhsa_user_sgpr_queue_ptr 0
		.amdhsa_user_sgpr_kernarg_segment_ptr 1
		.amdhsa_user_sgpr_dispatch_id 0
		.amdhsa_user_sgpr_private_segment_size 0
		.amdhsa_wavefront_size32 1
		.amdhsa_uses_dynamic_stack 0
		.amdhsa_enable_private_segment 0
		.amdhsa_system_sgpr_workgroup_id_x 1
		.amdhsa_system_sgpr_workgroup_id_y 0
		.amdhsa_system_sgpr_workgroup_id_z 0
		.amdhsa_system_sgpr_workgroup_info 0
		.amdhsa_system_vgpr_workitem_id 0
		.amdhsa_next_free_vgpr 1
		.amdhsa_next_free_sgpr 1
		.amdhsa_reserve_vcc 0
		.amdhsa_float_round_mode_32 0
		.amdhsa_float_round_mode_16_64 0
		.amdhsa_float_denorm_mode_32 3
		.amdhsa_float_denorm_mode_16_64 3
		.amdhsa_dx10_clamp 1
		.amdhsa_ieee_mode 1
		.amdhsa_fp16_overflow 0
		.amdhsa_workgroup_processor_mode 1
		.amdhsa_memory_ordered 1
		.amdhsa_forward_progress 0
		.amdhsa_shared_vgpr_count 0
		.amdhsa_exception_fp_ieee_invalid_op 0
		.amdhsa_exception_fp_denorm_src 0
		.amdhsa_exception_fp_ieee_div_zero 0
		.amdhsa_exception_fp_ieee_overflow 0
		.amdhsa_exception_fp_ieee_underflow 0
		.amdhsa_exception_fp_ieee_inexact 0
		.amdhsa_exception_int_div_zero 0
	.end_amdhsa_kernel
	.section	.text._ZN7rocprim17ROCPRIM_400000_NS6detail17trampoline_kernelINS0_14default_configENS1_25partition_config_selectorILNS1_17partition_subalgoE9EllbEEZZNS1_14partition_implILS5_9ELb0ES3_jPlS8_PNS0_10empty_typeENS0_5tupleIJS8_S9_EEENSB_IJS8_SA_EEENS0_18inequality_wrapperIZN2at6native12_GLOBAL__N_124unique_dim_cuda_templateIiEESt5tupleIJNSF_6TensorESK_SK_EERKSK_lbbbEUlllE0_EEPmJS9_EEE10hipError_tPvRmT3_T4_T5_T6_T7_T9_mT8_P12ihipStream_tbDpT10_ENKUlT_T0_E_clISt17integral_constantIbLb0EES1A_EEDaS15_S16_EUlS15_E_NS1_11comp_targetILNS1_3genE4ELNS1_11target_archE910ELNS1_3gpuE8ELNS1_3repE0EEENS1_30default_config_static_selectorELNS0_4arch9wavefront6targetE0EEEvT1_,"axG",@progbits,_ZN7rocprim17ROCPRIM_400000_NS6detail17trampoline_kernelINS0_14default_configENS1_25partition_config_selectorILNS1_17partition_subalgoE9EllbEEZZNS1_14partition_implILS5_9ELb0ES3_jPlS8_PNS0_10empty_typeENS0_5tupleIJS8_S9_EEENSB_IJS8_SA_EEENS0_18inequality_wrapperIZN2at6native12_GLOBAL__N_124unique_dim_cuda_templateIiEESt5tupleIJNSF_6TensorESK_SK_EERKSK_lbbbEUlllE0_EEPmJS9_EEE10hipError_tPvRmT3_T4_T5_T6_T7_T9_mT8_P12ihipStream_tbDpT10_ENKUlT_T0_E_clISt17integral_constantIbLb0EES1A_EEDaS15_S16_EUlS15_E_NS1_11comp_targetILNS1_3genE4ELNS1_11target_archE910ELNS1_3gpuE8ELNS1_3repE0EEENS1_30default_config_static_selectorELNS0_4arch9wavefront6targetE0EEEvT1_,comdat
.Lfunc_end475:
	.size	_ZN7rocprim17ROCPRIM_400000_NS6detail17trampoline_kernelINS0_14default_configENS1_25partition_config_selectorILNS1_17partition_subalgoE9EllbEEZZNS1_14partition_implILS5_9ELb0ES3_jPlS8_PNS0_10empty_typeENS0_5tupleIJS8_S9_EEENSB_IJS8_SA_EEENS0_18inequality_wrapperIZN2at6native12_GLOBAL__N_124unique_dim_cuda_templateIiEESt5tupleIJNSF_6TensorESK_SK_EERKSK_lbbbEUlllE0_EEPmJS9_EEE10hipError_tPvRmT3_T4_T5_T6_T7_T9_mT8_P12ihipStream_tbDpT10_ENKUlT_T0_E_clISt17integral_constantIbLb0EES1A_EEDaS15_S16_EUlS15_E_NS1_11comp_targetILNS1_3genE4ELNS1_11target_archE910ELNS1_3gpuE8ELNS1_3repE0EEENS1_30default_config_static_selectorELNS0_4arch9wavefront6targetE0EEEvT1_, .Lfunc_end475-_ZN7rocprim17ROCPRIM_400000_NS6detail17trampoline_kernelINS0_14default_configENS1_25partition_config_selectorILNS1_17partition_subalgoE9EllbEEZZNS1_14partition_implILS5_9ELb0ES3_jPlS8_PNS0_10empty_typeENS0_5tupleIJS8_S9_EEENSB_IJS8_SA_EEENS0_18inequality_wrapperIZN2at6native12_GLOBAL__N_124unique_dim_cuda_templateIiEESt5tupleIJNSF_6TensorESK_SK_EERKSK_lbbbEUlllE0_EEPmJS9_EEE10hipError_tPvRmT3_T4_T5_T6_T7_T9_mT8_P12ihipStream_tbDpT10_ENKUlT_T0_E_clISt17integral_constantIbLb0EES1A_EEDaS15_S16_EUlS15_E_NS1_11comp_targetILNS1_3genE4ELNS1_11target_archE910ELNS1_3gpuE8ELNS1_3repE0EEENS1_30default_config_static_selectorELNS0_4arch9wavefront6targetE0EEEvT1_
                                        ; -- End function
	.section	.AMDGPU.csdata,"",@progbits
; Kernel info:
; codeLenInByte = 0
; NumSgprs: 0
; NumVgprs: 0
; ScratchSize: 0
; MemoryBound: 0
; FloatMode: 240
; IeeeMode: 1
; LDSByteSize: 0 bytes/workgroup (compile time only)
; SGPRBlocks: 0
; VGPRBlocks: 0
; NumSGPRsForWavesPerEU: 1
; NumVGPRsForWavesPerEU: 1
; Occupancy: 16
; WaveLimiterHint : 0
; COMPUTE_PGM_RSRC2:SCRATCH_EN: 0
; COMPUTE_PGM_RSRC2:USER_SGPR: 15
; COMPUTE_PGM_RSRC2:TRAP_HANDLER: 0
; COMPUTE_PGM_RSRC2:TGID_X_EN: 1
; COMPUTE_PGM_RSRC2:TGID_Y_EN: 0
; COMPUTE_PGM_RSRC2:TGID_Z_EN: 0
; COMPUTE_PGM_RSRC2:TIDIG_COMP_CNT: 0
	.section	.text._ZN7rocprim17ROCPRIM_400000_NS6detail17trampoline_kernelINS0_14default_configENS1_25partition_config_selectorILNS1_17partition_subalgoE9EllbEEZZNS1_14partition_implILS5_9ELb0ES3_jPlS8_PNS0_10empty_typeENS0_5tupleIJS8_S9_EEENSB_IJS8_SA_EEENS0_18inequality_wrapperIZN2at6native12_GLOBAL__N_124unique_dim_cuda_templateIiEESt5tupleIJNSF_6TensorESK_SK_EERKSK_lbbbEUlllE0_EEPmJS9_EEE10hipError_tPvRmT3_T4_T5_T6_T7_T9_mT8_P12ihipStream_tbDpT10_ENKUlT_T0_E_clISt17integral_constantIbLb0EES1A_EEDaS15_S16_EUlS15_E_NS1_11comp_targetILNS1_3genE3ELNS1_11target_archE908ELNS1_3gpuE7ELNS1_3repE0EEENS1_30default_config_static_selectorELNS0_4arch9wavefront6targetE0EEEvT1_,"axG",@progbits,_ZN7rocprim17ROCPRIM_400000_NS6detail17trampoline_kernelINS0_14default_configENS1_25partition_config_selectorILNS1_17partition_subalgoE9EllbEEZZNS1_14partition_implILS5_9ELb0ES3_jPlS8_PNS0_10empty_typeENS0_5tupleIJS8_S9_EEENSB_IJS8_SA_EEENS0_18inequality_wrapperIZN2at6native12_GLOBAL__N_124unique_dim_cuda_templateIiEESt5tupleIJNSF_6TensorESK_SK_EERKSK_lbbbEUlllE0_EEPmJS9_EEE10hipError_tPvRmT3_T4_T5_T6_T7_T9_mT8_P12ihipStream_tbDpT10_ENKUlT_T0_E_clISt17integral_constantIbLb0EES1A_EEDaS15_S16_EUlS15_E_NS1_11comp_targetILNS1_3genE3ELNS1_11target_archE908ELNS1_3gpuE7ELNS1_3repE0EEENS1_30default_config_static_selectorELNS0_4arch9wavefront6targetE0EEEvT1_,comdat
	.globl	_ZN7rocprim17ROCPRIM_400000_NS6detail17trampoline_kernelINS0_14default_configENS1_25partition_config_selectorILNS1_17partition_subalgoE9EllbEEZZNS1_14partition_implILS5_9ELb0ES3_jPlS8_PNS0_10empty_typeENS0_5tupleIJS8_S9_EEENSB_IJS8_SA_EEENS0_18inequality_wrapperIZN2at6native12_GLOBAL__N_124unique_dim_cuda_templateIiEESt5tupleIJNSF_6TensorESK_SK_EERKSK_lbbbEUlllE0_EEPmJS9_EEE10hipError_tPvRmT3_T4_T5_T6_T7_T9_mT8_P12ihipStream_tbDpT10_ENKUlT_T0_E_clISt17integral_constantIbLb0EES1A_EEDaS15_S16_EUlS15_E_NS1_11comp_targetILNS1_3genE3ELNS1_11target_archE908ELNS1_3gpuE7ELNS1_3repE0EEENS1_30default_config_static_selectorELNS0_4arch9wavefront6targetE0EEEvT1_ ; -- Begin function _ZN7rocprim17ROCPRIM_400000_NS6detail17trampoline_kernelINS0_14default_configENS1_25partition_config_selectorILNS1_17partition_subalgoE9EllbEEZZNS1_14partition_implILS5_9ELb0ES3_jPlS8_PNS0_10empty_typeENS0_5tupleIJS8_S9_EEENSB_IJS8_SA_EEENS0_18inequality_wrapperIZN2at6native12_GLOBAL__N_124unique_dim_cuda_templateIiEESt5tupleIJNSF_6TensorESK_SK_EERKSK_lbbbEUlllE0_EEPmJS9_EEE10hipError_tPvRmT3_T4_T5_T6_T7_T9_mT8_P12ihipStream_tbDpT10_ENKUlT_T0_E_clISt17integral_constantIbLb0EES1A_EEDaS15_S16_EUlS15_E_NS1_11comp_targetILNS1_3genE3ELNS1_11target_archE908ELNS1_3gpuE7ELNS1_3repE0EEENS1_30default_config_static_selectorELNS0_4arch9wavefront6targetE0EEEvT1_
	.p2align	8
	.type	_ZN7rocprim17ROCPRIM_400000_NS6detail17trampoline_kernelINS0_14default_configENS1_25partition_config_selectorILNS1_17partition_subalgoE9EllbEEZZNS1_14partition_implILS5_9ELb0ES3_jPlS8_PNS0_10empty_typeENS0_5tupleIJS8_S9_EEENSB_IJS8_SA_EEENS0_18inequality_wrapperIZN2at6native12_GLOBAL__N_124unique_dim_cuda_templateIiEESt5tupleIJNSF_6TensorESK_SK_EERKSK_lbbbEUlllE0_EEPmJS9_EEE10hipError_tPvRmT3_T4_T5_T6_T7_T9_mT8_P12ihipStream_tbDpT10_ENKUlT_T0_E_clISt17integral_constantIbLb0EES1A_EEDaS15_S16_EUlS15_E_NS1_11comp_targetILNS1_3genE3ELNS1_11target_archE908ELNS1_3gpuE7ELNS1_3repE0EEENS1_30default_config_static_selectorELNS0_4arch9wavefront6targetE0EEEvT1_,@function
_ZN7rocprim17ROCPRIM_400000_NS6detail17trampoline_kernelINS0_14default_configENS1_25partition_config_selectorILNS1_17partition_subalgoE9EllbEEZZNS1_14partition_implILS5_9ELb0ES3_jPlS8_PNS0_10empty_typeENS0_5tupleIJS8_S9_EEENSB_IJS8_SA_EEENS0_18inequality_wrapperIZN2at6native12_GLOBAL__N_124unique_dim_cuda_templateIiEESt5tupleIJNSF_6TensorESK_SK_EERKSK_lbbbEUlllE0_EEPmJS9_EEE10hipError_tPvRmT3_T4_T5_T6_T7_T9_mT8_P12ihipStream_tbDpT10_ENKUlT_T0_E_clISt17integral_constantIbLb0EES1A_EEDaS15_S16_EUlS15_E_NS1_11comp_targetILNS1_3genE3ELNS1_11target_archE908ELNS1_3gpuE7ELNS1_3repE0EEENS1_30default_config_static_selectorELNS0_4arch9wavefront6targetE0EEEvT1_: ; @_ZN7rocprim17ROCPRIM_400000_NS6detail17trampoline_kernelINS0_14default_configENS1_25partition_config_selectorILNS1_17partition_subalgoE9EllbEEZZNS1_14partition_implILS5_9ELb0ES3_jPlS8_PNS0_10empty_typeENS0_5tupleIJS8_S9_EEENSB_IJS8_SA_EEENS0_18inequality_wrapperIZN2at6native12_GLOBAL__N_124unique_dim_cuda_templateIiEESt5tupleIJNSF_6TensorESK_SK_EERKSK_lbbbEUlllE0_EEPmJS9_EEE10hipError_tPvRmT3_T4_T5_T6_T7_T9_mT8_P12ihipStream_tbDpT10_ENKUlT_T0_E_clISt17integral_constantIbLb0EES1A_EEDaS15_S16_EUlS15_E_NS1_11comp_targetILNS1_3genE3ELNS1_11target_archE908ELNS1_3gpuE7ELNS1_3repE0EEENS1_30default_config_static_selectorELNS0_4arch9wavefront6targetE0EEEvT1_
; %bb.0:
	.section	.rodata,"a",@progbits
	.p2align	6, 0x0
	.amdhsa_kernel _ZN7rocprim17ROCPRIM_400000_NS6detail17trampoline_kernelINS0_14default_configENS1_25partition_config_selectorILNS1_17partition_subalgoE9EllbEEZZNS1_14partition_implILS5_9ELb0ES3_jPlS8_PNS0_10empty_typeENS0_5tupleIJS8_S9_EEENSB_IJS8_SA_EEENS0_18inequality_wrapperIZN2at6native12_GLOBAL__N_124unique_dim_cuda_templateIiEESt5tupleIJNSF_6TensorESK_SK_EERKSK_lbbbEUlllE0_EEPmJS9_EEE10hipError_tPvRmT3_T4_T5_T6_T7_T9_mT8_P12ihipStream_tbDpT10_ENKUlT_T0_E_clISt17integral_constantIbLb0EES1A_EEDaS15_S16_EUlS15_E_NS1_11comp_targetILNS1_3genE3ELNS1_11target_archE908ELNS1_3gpuE7ELNS1_3repE0EEENS1_30default_config_static_selectorELNS0_4arch9wavefront6targetE0EEEvT1_
		.amdhsa_group_segment_fixed_size 0
		.amdhsa_private_segment_fixed_size 0
		.amdhsa_kernarg_size 120
		.amdhsa_user_sgpr_count 15
		.amdhsa_user_sgpr_dispatch_ptr 0
		.amdhsa_user_sgpr_queue_ptr 0
		.amdhsa_user_sgpr_kernarg_segment_ptr 1
		.amdhsa_user_sgpr_dispatch_id 0
		.amdhsa_user_sgpr_private_segment_size 0
		.amdhsa_wavefront_size32 1
		.amdhsa_uses_dynamic_stack 0
		.amdhsa_enable_private_segment 0
		.amdhsa_system_sgpr_workgroup_id_x 1
		.amdhsa_system_sgpr_workgroup_id_y 0
		.amdhsa_system_sgpr_workgroup_id_z 0
		.amdhsa_system_sgpr_workgroup_info 0
		.amdhsa_system_vgpr_workitem_id 0
		.amdhsa_next_free_vgpr 1
		.amdhsa_next_free_sgpr 1
		.amdhsa_reserve_vcc 0
		.amdhsa_float_round_mode_32 0
		.amdhsa_float_round_mode_16_64 0
		.amdhsa_float_denorm_mode_32 3
		.amdhsa_float_denorm_mode_16_64 3
		.amdhsa_dx10_clamp 1
		.amdhsa_ieee_mode 1
		.amdhsa_fp16_overflow 0
		.amdhsa_workgroup_processor_mode 1
		.amdhsa_memory_ordered 1
		.amdhsa_forward_progress 0
		.amdhsa_shared_vgpr_count 0
		.amdhsa_exception_fp_ieee_invalid_op 0
		.amdhsa_exception_fp_denorm_src 0
		.amdhsa_exception_fp_ieee_div_zero 0
		.amdhsa_exception_fp_ieee_overflow 0
		.amdhsa_exception_fp_ieee_underflow 0
		.amdhsa_exception_fp_ieee_inexact 0
		.amdhsa_exception_int_div_zero 0
	.end_amdhsa_kernel
	.section	.text._ZN7rocprim17ROCPRIM_400000_NS6detail17trampoline_kernelINS0_14default_configENS1_25partition_config_selectorILNS1_17partition_subalgoE9EllbEEZZNS1_14partition_implILS5_9ELb0ES3_jPlS8_PNS0_10empty_typeENS0_5tupleIJS8_S9_EEENSB_IJS8_SA_EEENS0_18inequality_wrapperIZN2at6native12_GLOBAL__N_124unique_dim_cuda_templateIiEESt5tupleIJNSF_6TensorESK_SK_EERKSK_lbbbEUlllE0_EEPmJS9_EEE10hipError_tPvRmT3_T4_T5_T6_T7_T9_mT8_P12ihipStream_tbDpT10_ENKUlT_T0_E_clISt17integral_constantIbLb0EES1A_EEDaS15_S16_EUlS15_E_NS1_11comp_targetILNS1_3genE3ELNS1_11target_archE908ELNS1_3gpuE7ELNS1_3repE0EEENS1_30default_config_static_selectorELNS0_4arch9wavefront6targetE0EEEvT1_,"axG",@progbits,_ZN7rocprim17ROCPRIM_400000_NS6detail17trampoline_kernelINS0_14default_configENS1_25partition_config_selectorILNS1_17partition_subalgoE9EllbEEZZNS1_14partition_implILS5_9ELb0ES3_jPlS8_PNS0_10empty_typeENS0_5tupleIJS8_S9_EEENSB_IJS8_SA_EEENS0_18inequality_wrapperIZN2at6native12_GLOBAL__N_124unique_dim_cuda_templateIiEESt5tupleIJNSF_6TensorESK_SK_EERKSK_lbbbEUlllE0_EEPmJS9_EEE10hipError_tPvRmT3_T4_T5_T6_T7_T9_mT8_P12ihipStream_tbDpT10_ENKUlT_T0_E_clISt17integral_constantIbLb0EES1A_EEDaS15_S16_EUlS15_E_NS1_11comp_targetILNS1_3genE3ELNS1_11target_archE908ELNS1_3gpuE7ELNS1_3repE0EEENS1_30default_config_static_selectorELNS0_4arch9wavefront6targetE0EEEvT1_,comdat
.Lfunc_end476:
	.size	_ZN7rocprim17ROCPRIM_400000_NS6detail17trampoline_kernelINS0_14default_configENS1_25partition_config_selectorILNS1_17partition_subalgoE9EllbEEZZNS1_14partition_implILS5_9ELb0ES3_jPlS8_PNS0_10empty_typeENS0_5tupleIJS8_S9_EEENSB_IJS8_SA_EEENS0_18inequality_wrapperIZN2at6native12_GLOBAL__N_124unique_dim_cuda_templateIiEESt5tupleIJNSF_6TensorESK_SK_EERKSK_lbbbEUlllE0_EEPmJS9_EEE10hipError_tPvRmT3_T4_T5_T6_T7_T9_mT8_P12ihipStream_tbDpT10_ENKUlT_T0_E_clISt17integral_constantIbLb0EES1A_EEDaS15_S16_EUlS15_E_NS1_11comp_targetILNS1_3genE3ELNS1_11target_archE908ELNS1_3gpuE7ELNS1_3repE0EEENS1_30default_config_static_selectorELNS0_4arch9wavefront6targetE0EEEvT1_, .Lfunc_end476-_ZN7rocprim17ROCPRIM_400000_NS6detail17trampoline_kernelINS0_14default_configENS1_25partition_config_selectorILNS1_17partition_subalgoE9EllbEEZZNS1_14partition_implILS5_9ELb0ES3_jPlS8_PNS0_10empty_typeENS0_5tupleIJS8_S9_EEENSB_IJS8_SA_EEENS0_18inequality_wrapperIZN2at6native12_GLOBAL__N_124unique_dim_cuda_templateIiEESt5tupleIJNSF_6TensorESK_SK_EERKSK_lbbbEUlllE0_EEPmJS9_EEE10hipError_tPvRmT3_T4_T5_T6_T7_T9_mT8_P12ihipStream_tbDpT10_ENKUlT_T0_E_clISt17integral_constantIbLb0EES1A_EEDaS15_S16_EUlS15_E_NS1_11comp_targetILNS1_3genE3ELNS1_11target_archE908ELNS1_3gpuE7ELNS1_3repE0EEENS1_30default_config_static_selectorELNS0_4arch9wavefront6targetE0EEEvT1_
                                        ; -- End function
	.section	.AMDGPU.csdata,"",@progbits
; Kernel info:
; codeLenInByte = 0
; NumSgprs: 0
; NumVgprs: 0
; ScratchSize: 0
; MemoryBound: 0
; FloatMode: 240
; IeeeMode: 1
; LDSByteSize: 0 bytes/workgroup (compile time only)
; SGPRBlocks: 0
; VGPRBlocks: 0
; NumSGPRsForWavesPerEU: 1
; NumVGPRsForWavesPerEU: 1
; Occupancy: 16
; WaveLimiterHint : 0
; COMPUTE_PGM_RSRC2:SCRATCH_EN: 0
; COMPUTE_PGM_RSRC2:USER_SGPR: 15
; COMPUTE_PGM_RSRC2:TRAP_HANDLER: 0
; COMPUTE_PGM_RSRC2:TGID_X_EN: 1
; COMPUTE_PGM_RSRC2:TGID_Y_EN: 0
; COMPUTE_PGM_RSRC2:TGID_Z_EN: 0
; COMPUTE_PGM_RSRC2:TIDIG_COMP_CNT: 0
	.section	.text._ZN7rocprim17ROCPRIM_400000_NS6detail17trampoline_kernelINS0_14default_configENS1_25partition_config_selectorILNS1_17partition_subalgoE9EllbEEZZNS1_14partition_implILS5_9ELb0ES3_jPlS8_PNS0_10empty_typeENS0_5tupleIJS8_S9_EEENSB_IJS8_SA_EEENS0_18inequality_wrapperIZN2at6native12_GLOBAL__N_124unique_dim_cuda_templateIiEESt5tupleIJNSF_6TensorESK_SK_EERKSK_lbbbEUlllE0_EEPmJS9_EEE10hipError_tPvRmT3_T4_T5_T6_T7_T9_mT8_P12ihipStream_tbDpT10_ENKUlT_T0_E_clISt17integral_constantIbLb0EES1A_EEDaS15_S16_EUlS15_E_NS1_11comp_targetILNS1_3genE2ELNS1_11target_archE906ELNS1_3gpuE6ELNS1_3repE0EEENS1_30default_config_static_selectorELNS0_4arch9wavefront6targetE0EEEvT1_,"axG",@progbits,_ZN7rocprim17ROCPRIM_400000_NS6detail17trampoline_kernelINS0_14default_configENS1_25partition_config_selectorILNS1_17partition_subalgoE9EllbEEZZNS1_14partition_implILS5_9ELb0ES3_jPlS8_PNS0_10empty_typeENS0_5tupleIJS8_S9_EEENSB_IJS8_SA_EEENS0_18inequality_wrapperIZN2at6native12_GLOBAL__N_124unique_dim_cuda_templateIiEESt5tupleIJNSF_6TensorESK_SK_EERKSK_lbbbEUlllE0_EEPmJS9_EEE10hipError_tPvRmT3_T4_T5_T6_T7_T9_mT8_P12ihipStream_tbDpT10_ENKUlT_T0_E_clISt17integral_constantIbLb0EES1A_EEDaS15_S16_EUlS15_E_NS1_11comp_targetILNS1_3genE2ELNS1_11target_archE906ELNS1_3gpuE6ELNS1_3repE0EEENS1_30default_config_static_selectorELNS0_4arch9wavefront6targetE0EEEvT1_,comdat
	.globl	_ZN7rocprim17ROCPRIM_400000_NS6detail17trampoline_kernelINS0_14default_configENS1_25partition_config_selectorILNS1_17partition_subalgoE9EllbEEZZNS1_14partition_implILS5_9ELb0ES3_jPlS8_PNS0_10empty_typeENS0_5tupleIJS8_S9_EEENSB_IJS8_SA_EEENS0_18inequality_wrapperIZN2at6native12_GLOBAL__N_124unique_dim_cuda_templateIiEESt5tupleIJNSF_6TensorESK_SK_EERKSK_lbbbEUlllE0_EEPmJS9_EEE10hipError_tPvRmT3_T4_T5_T6_T7_T9_mT8_P12ihipStream_tbDpT10_ENKUlT_T0_E_clISt17integral_constantIbLb0EES1A_EEDaS15_S16_EUlS15_E_NS1_11comp_targetILNS1_3genE2ELNS1_11target_archE906ELNS1_3gpuE6ELNS1_3repE0EEENS1_30default_config_static_selectorELNS0_4arch9wavefront6targetE0EEEvT1_ ; -- Begin function _ZN7rocprim17ROCPRIM_400000_NS6detail17trampoline_kernelINS0_14default_configENS1_25partition_config_selectorILNS1_17partition_subalgoE9EllbEEZZNS1_14partition_implILS5_9ELb0ES3_jPlS8_PNS0_10empty_typeENS0_5tupleIJS8_S9_EEENSB_IJS8_SA_EEENS0_18inequality_wrapperIZN2at6native12_GLOBAL__N_124unique_dim_cuda_templateIiEESt5tupleIJNSF_6TensorESK_SK_EERKSK_lbbbEUlllE0_EEPmJS9_EEE10hipError_tPvRmT3_T4_T5_T6_T7_T9_mT8_P12ihipStream_tbDpT10_ENKUlT_T0_E_clISt17integral_constantIbLb0EES1A_EEDaS15_S16_EUlS15_E_NS1_11comp_targetILNS1_3genE2ELNS1_11target_archE906ELNS1_3gpuE6ELNS1_3repE0EEENS1_30default_config_static_selectorELNS0_4arch9wavefront6targetE0EEEvT1_
	.p2align	8
	.type	_ZN7rocprim17ROCPRIM_400000_NS6detail17trampoline_kernelINS0_14default_configENS1_25partition_config_selectorILNS1_17partition_subalgoE9EllbEEZZNS1_14partition_implILS5_9ELb0ES3_jPlS8_PNS0_10empty_typeENS0_5tupleIJS8_S9_EEENSB_IJS8_SA_EEENS0_18inequality_wrapperIZN2at6native12_GLOBAL__N_124unique_dim_cuda_templateIiEESt5tupleIJNSF_6TensorESK_SK_EERKSK_lbbbEUlllE0_EEPmJS9_EEE10hipError_tPvRmT3_T4_T5_T6_T7_T9_mT8_P12ihipStream_tbDpT10_ENKUlT_T0_E_clISt17integral_constantIbLb0EES1A_EEDaS15_S16_EUlS15_E_NS1_11comp_targetILNS1_3genE2ELNS1_11target_archE906ELNS1_3gpuE6ELNS1_3repE0EEENS1_30default_config_static_selectorELNS0_4arch9wavefront6targetE0EEEvT1_,@function
_ZN7rocprim17ROCPRIM_400000_NS6detail17trampoline_kernelINS0_14default_configENS1_25partition_config_selectorILNS1_17partition_subalgoE9EllbEEZZNS1_14partition_implILS5_9ELb0ES3_jPlS8_PNS0_10empty_typeENS0_5tupleIJS8_S9_EEENSB_IJS8_SA_EEENS0_18inequality_wrapperIZN2at6native12_GLOBAL__N_124unique_dim_cuda_templateIiEESt5tupleIJNSF_6TensorESK_SK_EERKSK_lbbbEUlllE0_EEPmJS9_EEE10hipError_tPvRmT3_T4_T5_T6_T7_T9_mT8_P12ihipStream_tbDpT10_ENKUlT_T0_E_clISt17integral_constantIbLb0EES1A_EEDaS15_S16_EUlS15_E_NS1_11comp_targetILNS1_3genE2ELNS1_11target_archE906ELNS1_3gpuE6ELNS1_3repE0EEENS1_30default_config_static_selectorELNS0_4arch9wavefront6targetE0EEEvT1_: ; @_ZN7rocprim17ROCPRIM_400000_NS6detail17trampoline_kernelINS0_14default_configENS1_25partition_config_selectorILNS1_17partition_subalgoE9EllbEEZZNS1_14partition_implILS5_9ELb0ES3_jPlS8_PNS0_10empty_typeENS0_5tupleIJS8_S9_EEENSB_IJS8_SA_EEENS0_18inequality_wrapperIZN2at6native12_GLOBAL__N_124unique_dim_cuda_templateIiEESt5tupleIJNSF_6TensorESK_SK_EERKSK_lbbbEUlllE0_EEPmJS9_EEE10hipError_tPvRmT3_T4_T5_T6_T7_T9_mT8_P12ihipStream_tbDpT10_ENKUlT_T0_E_clISt17integral_constantIbLb0EES1A_EEDaS15_S16_EUlS15_E_NS1_11comp_targetILNS1_3genE2ELNS1_11target_archE906ELNS1_3gpuE6ELNS1_3repE0EEENS1_30default_config_static_selectorELNS0_4arch9wavefront6targetE0EEEvT1_
; %bb.0:
	.section	.rodata,"a",@progbits
	.p2align	6, 0x0
	.amdhsa_kernel _ZN7rocprim17ROCPRIM_400000_NS6detail17trampoline_kernelINS0_14default_configENS1_25partition_config_selectorILNS1_17partition_subalgoE9EllbEEZZNS1_14partition_implILS5_9ELb0ES3_jPlS8_PNS0_10empty_typeENS0_5tupleIJS8_S9_EEENSB_IJS8_SA_EEENS0_18inequality_wrapperIZN2at6native12_GLOBAL__N_124unique_dim_cuda_templateIiEESt5tupleIJNSF_6TensorESK_SK_EERKSK_lbbbEUlllE0_EEPmJS9_EEE10hipError_tPvRmT3_T4_T5_T6_T7_T9_mT8_P12ihipStream_tbDpT10_ENKUlT_T0_E_clISt17integral_constantIbLb0EES1A_EEDaS15_S16_EUlS15_E_NS1_11comp_targetILNS1_3genE2ELNS1_11target_archE906ELNS1_3gpuE6ELNS1_3repE0EEENS1_30default_config_static_selectorELNS0_4arch9wavefront6targetE0EEEvT1_
		.amdhsa_group_segment_fixed_size 0
		.amdhsa_private_segment_fixed_size 0
		.amdhsa_kernarg_size 120
		.amdhsa_user_sgpr_count 15
		.amdhsa_user_sgpr_dispatch_ptr 0
		.amdhsa_user_sgpr_queue_ptr 0
		.amdhsa_user_sgpr_kernarg_segment_ptr 1
		.amdhsa_user_sgpr_dispatch_id 0
		.amdhsa_user_sgpr_private_segment_size 0
		.amdhsa_wavefront_size32 1
		.amdhsa_uses_dynamic_stack 0
		.amdhsa_enable_private_segment 0
		.amdhsa_system_sgpr_workgroup_id_x 1
		.amdhsa_system_sgpr_workgroup_id_y 0
		.amdhsa_system_sgpr_workgroup_id_z 0
		.amdhsa_system_sgpr_workgroup_info 0
		.amdhsa_system_vgpr_workitem_id 0
		.amdhsa_next_free_vgpr 1
		.amdhsa_next_free_sgpr 1
		.amdhsa_reserve_vcc 0
		.amdhsa_float_round_mode_32 0
		.amdhsa_float_round_mode_16_64 0
		.amdhsa_float_denorm_mode_32 3
		.amdhsa_float_denorm_mode_16_64 3
		.amdhsa_dx10_clamp 1
		.amdhsa_ieee_mode 1
		.amdhsa_fp16_overflow 0
		.amdhsa_workgroup_processor_mode 1
		.amdhsa_memory_ordered 1
		.amdhsa_forward_progress 0
		.amdhsa_shared_vgpr_count 0
		.amdhsa_exception_fp_ieee_invalid_op 0
		.amdhsa_exception_fp_denorm_src 0
		.amdhsa_exception_fp_ieee_div_zero 0
		.amdhsa_exception_fp_ieee_overflow 0
		.amdhsa_exception_fp_ieee_underflow 0
		.amdhsa_exception_fp_ieee_inexact 0
		.amdhsa_exception_int_div_zero 0
	.end_amdhsa_kernel
	.section	.text._ZN7rocprim17ROCPRIM_400000_NS6detail17trampoline_kernelINS0_14default_configENS1_25partition_config_selectorILNS1_17partition_subalgoE9EllbEEZZNS1_14partition_implILS5_9ELb0ES3_jPlS8_PNS0_10empty_typeENS0_5tupleIJS8_S9_EEENSB_IJS8_SA_EEENS0_18inequality_wrapperIZN2at6native12_GLOBAL__N_124unique_dim_cuda_templateIiEESt5tupleIJNSF_6TensorESK_SK_EERKSK_lbbbEUlllE0_EEPmJS9_EEE10hipError_tPvRmT3_T4_T5_T6_T7_T9_mT8_P12ihipStream_tbDpT10_ENKUlT_T0_E_clISt17integral_constantIbLb0EES1A_EEDaS15_S16_EUlS15_E_NS1_11comp_targetILNS1_3genE2ELNS1_11target_archE906ELNS1_3gpuE6ELNS1_3repE0EEENS1_30default_config_static_selectorELNS0_4arch9wavefront6targetE0EEEvT1_,"axG",@progbits,_ZN7rocprim17ROCPRIM_400000_NS6detail17trampoline_kernelINS0_14default_configENS1_25partition_config_selectorILNS1_17partition_subalgoE9EllbEEZZNS1_14partition_implILS5_9ELb0ES3_jPlS8_PNS0_10empty_typeENS0_5tupleIJS8_S9_EEENSB_IJS8_SA_EEENS0_18inequality_wrapperIZN2at6native12_GLOBAL__N_124unique_dim_cuda_templateIiEESt5tupleIJNSF_6TensorESK_SK_EERKSK_lbbbEUlllE0_EEPmJS9_EEE10hipError_tPvRmT3_T4_T5_T6_T7_T9_mT8_P12ihipStream_tbDpT10_ENKUlT_T0_E_clISt17integral_constantIbLb0EES1A_EEDaS15_S16_EUlS15_E_NS1_11comp_targetILNS1_3genE2ELNS1_11target_archE906ELNS1_3gpuE6ELNS1_3repE0EEENS1_30default_config_static_selectorELNS0_4arch9wavefront6targetE0EEEvT1_,comdat
.Lfunc_end477:
	.size	_ZN7rocprim17ROCPRIM_400000_NS6detail17trampoline_kernelINS0_14default_configENS1_25partition_config_selectorILNS1_17partition_subalgoE9EllbEEZZNS1_14partition_implILS5_9ELb0ES3_jPlS8_PNS0_10empty_typeENS0_5tupleIJS8_S9_EEENSB_IJS8_SA_EEENS0_18inequality_wrapperIZN2at6native12_GLOBAL__N_124unique_dim_cuda_templateIiEESt5tupleIJNSF_6TensorESK_SK_EERKSK_lbbbEUlllE0_EEPmJS9_EEE10hipError_tPvRmT3_T4_T5_T6_T7_T9_mT8_P12ihipStream_tbDpT10_ENKUlT_T0_E_clISt17integral_constantIbLb0EES1A_EEDaS15_S16_EUlS15_E_NS1_11comp_targetILNS1_3genE2ELNS1_11target_archE906ELNS1_3gpuE6ELNS1_3repE0EEENS1_30default_config_static_selectorELNS0_4arch9wavefront6targetE0EEEvT1_, .Lfunc_end477-_ZN7rocprim17ROCPRIM_400000_NS6detail17trampoline_kernelINS0_14default_configENS1_25partition_config_selectorILNS1_17partition_subalgoE9EllbEEZZNS1_14partition_implILS5_9ELb0ES3_jPlS8_PNS0_10empty_typeENS0_5tupleIJS8_S9_EEENSB_IJS8_SA_EEENS0_18inequality_wrapperIZN2at6native12_GLOBAL__N_124unique_dim_cuda_templateIiEESt5tupleIJNSF_6TensorESK_SK_EERKSK_lbbbEUlllE0_EEPmJS9_EEE10hipError_tPvRmT3_T4_T5_T6_T7_T9_mT8_P12ihipStream_tbDpT10_ENKUlT_T0_E_clISt17integral_constantIbLb0EES1A_EEDaS15_S16_EUlS15_E_NS1_11comp_targetILNS1_3genE2ELNS1_11target_archE906ELNS1_3gpuE6ELNS1_3repE0EEENS1_30default_config_static_selectorELNS0_4arch9wavefront6targetE0EEEvT1_
                                        ; -- End function
	.section	.AMDGPU.csdata,"",@progbits
; Kernel info:
; codeLenInByte = 0
; NumSgprs: 0
; NumVgprs: 0
; ScratchSize: 0
; MemoryBound: 0
; FloatMode: 240
; IeeeMode: 1
; LDSByteSize: 0 bytes/workgroup (compile time only)
; SGPRBlocks: 0
; VGPRBlocks: 0
; NumSGPRsForWavesPerEU: 1
; NumVGPRsForWavesPerEU: 1
; Occupancy: 15
; WaveLimiterHint : 0
; COMPUTE_PGM_RSRC2:SCRATCH_EN: 0
; COMPUTE_PGM_RSRC2:USER_SGPR: 15
; COMPUTE_PGM_RSRC2:TRAP_HANDLER: 0
; COMPUTE_PGM_RSRC2:TGID_X_EN: 1
; COMPUTE_PGM_RSRC2:TGID_Y_EN: 0
; COMPUTE_PGM_RSRC2:TGID_Z_EN: 0
; COMPUTE_PGM_RSRC2:TIDIG_COMP_CNT: 0
	.section	.text._ZN7rocprim17ROCPRIM_400000_NS6detail17trampoline_kernelINS0_14default_configENS1_25partition_config_selectorILNS1_17partition_subalgoE9EllbEEZZNS1_14partition_implILS5_9ELb0ES3_jPlS8_PNS0_10empty_typeENS0_5tupleIJS8_S9_EEENSB_IJS8_SA_EEENS0_18inequality_wrapperIZN2at6native12_GLOBAL__N_124unique_dim_cuda_templateIiEESt5tupleIJNSF_6TensorESK_SK_EERKSK_lbbbEUlllE0_EEPmJS9_EEE10hipError_tPvRmT3_T4_T5_T6_T7_T9_mT8_P12ihipStream_tbDpT10_ENKUlT_T0_E_clISt17integral_constantIbLb0EES1A_EEDaS15_S16_EUlS15_E_NS1_11comp_targetILNS1_3genE10ELNS1_11target_archE1200ELNS1_3gpuE4ELNS1_3repE0EEENS1_30default_config_static_selectorELNS0_4arch9wavefront6targetE0EEEvT1_,"axG",@progbits,_ZN7rocprim17ROCPRIM_400000_NS6detail17trampoline_kernelINS0_14default_configENS1_25partition_config_selectorILNS1_17partition_subalgoE9EllbEEZZNS1_14partition_implILS5_9ELb0ES3_jPlS8_PNS0_10empty_typeENS0_5tupleIJS8_S9_EEENSB_IJS8_SA_EEENS0_18inequality_wrapperIZN2at6native12_GLOBAL__N_124unique_dim_cuda_templateIiEESt5tupleIJNSF_6TensorESK_SK_EERKSK_lbbbEUlllE0_EEPmJS9_EEE10hipError_tPvRmT3_T4_T5_T6_T7_T9_mT8_P12ihipStream_tbDpT10_ENKUlT_T0_E_clISt17integral_constantIbLb0EES1A_EEDaS15_S16_EUlS15_E_NS1_11comp_targetILNS1_3genE10ELNS1_11target_archE1200ELNS1_3gpuE4ELNS1_3repE0EEENS1_30default_config_static_selectorELNS0_4arch9wavefront6targetE0EEEvT1_,comdat
	.globl	_ZN7rocprim17ROCPRIM_400000_NS6detail17trampoline_kernelINS0_14default_configENS1_25partition_config_selectorILNS1_17partition_subalgoE9EllbEEZZNS1_14partition_implILS5_9ELb0ES3_jPlS8_PNS0_10empty_typeENS0_5tupleIJS8_S9_EEENSB_IJS8_SA_EEENS0_18inequality_wrapperIZN2at6native12_GLOBAL__N_124unique_dim_cuda_templateIiEESt5tupleIJNSF_6TensorESK_SK_EERKSK_lbbbEUlllE0_EEPmJS9_EEE10hipError_tPvRmT3_T4_T5_T6_T7_T9_mT8_P12ihipStream_tbDpT10_ENKUlT_T0_E_clISt17integral_constantIbLb0EES1A_EEDaS15_S16_EUlS15_E_NS1_11comp_targetILNS1_3genE10ELNS1_11target_archE1200ELNS1_3gpuE4ELNS1_3repE0EEENS1_30default_config_static_selectorELNS0_4arch9wavefront6targetE0EEEvT1_ ; -- Begin function _ZN7rocprim17ROCPRIM_400000_NS6detail17trampoline_kernelINS0_14default_configENS1_25partition_config_selectorILNS1_17partition_subalgoE9EllbEEZZNS1_14partition_implILS5_9ELb0ES3_jPlS8_PNS0_10empty_typeENS0_5tupleIJS8_S9_EEENSB_IJS8_SA_EEENS0_18inequality_wrapperIZN2at6native12_GLOBAL__N_124unique_dim_cuda_templateIiEESt5tupleIJNSF_6TensorESK_SK_EERKSK_lbbbEUlllE0_EEPmJS9_EEE10hipError_tPvRmT3_T4_T5_T6_T7_T9_mT8_P12ihipStream_tbDpT10_ENKUlT_T0_E_clISt17integral_constantIbLb0EES1A_EEDaS15_S16_EUlS15_E_NS1_11comp_targetILNS1_3genE10ELNS1_11target_archE1200ELNS1_3gpuE4ELNS1_3repE0EEENS1_30default_config_static_selectorELNS0_4arch9wavefront6targetE0EEEvT1_
	.p2align	8
	.type	_ZN7rocprim17ROCPRIM_400000_NS6detail17trampoline_kernelINS0_14default_configENS1_25partition_config_selectorILNS1_17partition_subalgoE9EllbEEZZNS1_14partition_implILS5_9ELb0ES3_jPlS8_PNS0_10empty_typeENS0_5tupleIJS8_S9_EEENSB_IJS8_SA_EEENS0_18inequality_wrapperIZN2at6native12_GLOBAL__N_124unique_dim_cuda_templateIiEESt5tupleIJNSF_6TensorESK_SK_EERKSK_lbbbEUlllE0_EEPmJS9_EEE10hipError_tPvRmT3_T4_T5_T6_T7_T9_mT8_P12ihipStream_tbDpT10_ENKUlT_T0_E_clISt17integral_constantIbLb0EES1A_EEDaS15_S16_EUlS15_E_NS1_11comp_targetILNS1_3genE10ELNS1_11target_archE1200ELNS1_3gpuE4ELNS1_3repE0EEENS1_30default_config_static_selectorELNS0_4arch9wavefront6targetE0EEEvT1_,@function
_ZN7rocprim17ROCPRIM_400000_NS6detail17trampoline_kernelINS0_14default_configENS1_25partition_config_selectorILNS1_17partition_subalgoE9EllbEEZZNS1_14partition_implILS5_9ELb0ES3_jPlS8_PNS0_10empty_typeENS0_5tupleIJS8_S9_EEENSB_IJS8_SA_EEENS0_18inequality_wrapperIZN2at6native12_GLOBAL__N_124unique_dim_cuda_templateIiEESt5tupleIJNSF_6TensorESK_SK_EERKSK_lbbbEUlllE0_EEPmJS9_EEE10hipError_tPvRmT3_T4_T5_T6_T7_T9_mT8_P12ihipStream_tbDpT10_ENKUlT_T0_E_clISt17integral_constantIbLb0EES1A_EEDaS15_S16_EUlS15_E_NS1_11comp_targetILNS1_3genE10ELNS1_11target_archE1200ELNS1_3gpuE4ELNS1_3repE0EEENS1_30default_config_static_selectorELNS0_4arch9wavefront6targetE0EEEvT1_: ; @_ZN7rocprim17ROCPRIM_400000_NS6detail17trampoline_kernelINS0_14default_configENS1_25partition_config_selectorILNS1_17partition_subalgoE9EllbEEZZNS1_14partition_implILS5_9ELb0ES3_jPlS8_PNS0_10empty_typeENS0_5tupleIJS8_S9_EEENSB_IJS8_SA_EEENS0_18inequality_wrapperIZN2at6native12_GLOBAL__N_124unique_dim_cuda_templateIiEESt5tupleIJNSF_6TensorESK_SK_EERKSK_lbbbEUlllE0_EEPmJS9_EEE10hipError_tPvRmT3_T4_T5_T6_T7_T9_mT8_P12ihipStream_tbDpT10_ENKUlT_T0_E_clISt17integral_constantIbLb0EES1A_EEDaS15_S16_EUlS15_E_NS1_11comp_targetILNS1_3genE10ELNS1_11target_archE1200ELNS1_3gpuE4ELNS1_3repE0EEENS1_30default_config_static_selectorELNS0_4arch9wavefront6targetE0EEEvT1_
; %bb.0:
	.section	.rodata,"a",@progbits
	.p2align	6, 0x0
	.amdhsa_kernel _ZN7rocprim17ROCPRIM_400000_NS6detail17trampoline_kernelINS0_14default_configENS1_25partition_config_selectorILNS1_17partition_subalgoE9EllbEEZZNS1_14partition_implILS5_9ELb0ES3_jPlS8_PNS0_10empty_typeENS0_5tupleIJS8_S9_EEENSB_IJS8_SA_EEENS0_18inequality_wrapperIZN2at6native12_GLOBAL__N_124unique_dim_cuda_templateIiEESt5tupleIJNSF_6TensorESK_SK_EERKSK_lbbbEUlllE0_EEPmJS9_EEE10hipError_tPvRmT3_T4_T5_T6_T7_T9_mT8_P12ihipStream_tbDpT10_ENKUlT_T0_E_clISt17integral_constantIbLb0EES1A_EEDaS15_S16_EUlS15_E_NS1_11comp_targetILNS1_3genE10ELNS1_11target_archE1200ELNS1_3gpuE4ELNS1_3repE0EEENS1_30default_config_static_selectorELNS0_4arch9wavefront6targetE0EEEvT1_
		.amdhsa_group_segment_fixed_size 0
		.amdhsa_private_segment_fixed_size 0
		.amdhsa_kernarg_size 120
		.amdhsa_user_sgpr_count 15
		.amdhsa_user_sgpr_dispatch_ptr 0
		.amdhsa_user_sgpr_queue_ptr 0
		.amdhsa_user_sgpr_kernarg_segment_ptr 1
		.amdhsa_user_sgpr_dispatch_id 0
		.amdhsa_user_sgpr_private_segment_size 0
		.amdhsa_wavefront_size32 1
		.amdhsa_uses_dynamic_stack 0
		.amdhsa_enable_private_segment 0
		.amdhsa_system_sgpr_workgroup_id_x 1
		.amdhsa_system_sgpr_workgroup_id_y 0
		.amdhsa_system_sgpr_workgroup_id_z 0
		.amdhsa_system_sgpr_workgroup_info 0
		.amdhsa_system_vgpr_workitem_id 0
		.amdhsa_next_free_vgpr 1
		.amdhsa_next_free_sgpr 1
		.amdhsa_reserve_vcc 0
		.amdhsa_float_round_mode_32 0
		.amdhsa_float_round_mode_16_64 0
		.amdhsa_float_denorm_mode_32 3
		.amdhsa_float_denorm_mode_16_64 3
		.amdhsa_dx10_clamp 1
		.amdhsa_ieee_mode 1
		.amdhsa_fp16_overflow 0
		.amdhsa_workgroup_processor_mode 1
		.amdhsa_memory_ordered 1
		.amdhsa_forward_progress 0
		.amdhsa_shared_vgpr_count 0
		.amdhsa_exception_fp_ieee_invalid_op 0
		.amdhsa_exception_fp_denorm_src 0
		.amdhsa_exception_fp_ieee_div_zero 0
		.amdhsa_exception_fp_ieee_overflow 0
		.amdhsa_exception_fp_ieee_underflow 0
		.amdhsa_exception_fp_ieee_inexact 0
		.amdhsa_exception_int_div_zero 0
	.end_amdhsa_kernel
	.section	.text._ZN7rocprim17ROCPRIM_400000_NS6detail17trampoline_kernelINS0_14default_configENS1_25partition_config_selectorILNS1_17partition_subalgoE9EllbEEZZNS1_14partition_implILS5_9ELb0ES3_jPlS8_PNS0_10empty_typeENS0_5tupleIJS8_S9_EEENSB_IJS8_SA_EEENS0_18inequality_wrapperIZN2at6native12_GLOBAL__N_124unique_dim_cuda_templateIiEESt5tupleIJNSF_6TensorESK_SK_EERKSK_lbbbEUlllE0_EEPmJS9_EEE10hipError_tPvRmT3_T4_T5_T6_T7_T9_mT8_P12ihipStream_tbDpT10_ENKUlT_T0_E_clISt17integral_constantIbLb0EES1A_EEDaS15_S16_EUlS15_E_NS1_11comp_targetILNS1_3genE10ELNS1_11target_archE1200ELNS1_3gpuE4ELNS1_3repE0EEENS1_30default_config_static_selectorELNS0_4arch9wavefront6targetE0EEEvT1_,"axG",@progbits,_ZN7rocprim17ROCPRIM_400000_NS6detail17trampoline_kernelINS0_14default_configENS1_25partition_config_selectorILNS1_17partition_subalgoE9EllbEEZZNS1_14partition_implILS5_9ELb0ES3_jPlS8_PNS0_10empty_typeENS0_5tupleIJS8_S9_EEENSB_IJS8_SA_EEENS0_18inequality_wrapperIZN2at6native12_GLOBAL__N_124unique_dim_cuda_templateIiEESt5tupleIJNSF_6TensorESK_SK_EERKSK_lbbbEUlllE0_EEPmJS9_EEE10hipError_tPvRmT3_T4_T5_T6_T7_T9_mT8_P12ihipStream_tbDpT10_ENKUlT_T0_E_clISt17integral_constantIbLb0EES1A_EEDaS15_S16_EUlS15_E_NS1_11comp_targetILNS1_3genE10ELNS1_11target_archE1200ELNS1_3gpuE4ELNS1_3repE0EEENS1_30default_config_static_selectorELNS0_4arch9wavefront6targetE0EEEvT1_,comdat
.Lfunc_end478:
	.size	_ZN7rocprim17ROCPRIM_400000_NS6detail17trampoline_kernelINS0_14default_configENS1_25partition_config_selectorILNS1_17partition_subalgoE9EllbEEZZNS1_14partition_implILS5_9ELb0ES3_jPlS8_PNS0_10empty_typeENS0_5tupleIJS8_S9_EEENSB_IJS8_SA_EEENS0_18inequality_wrapperIZN2at6native12_GLOBAL__N_124unique_dim_cuda_templateIiEESt5tupleIJNSF_6TensorESK_SK_EERKSK_lbbbEUlllE0_EEPmJS9_EEE10hipError_tPvRmT3_T4_T5_T6_T7_T9_mT8_P12ihipStream_tbDpT10_ENKUlT_T0_E_clISt17integral_constantIbLb0EES1A_EEDaS15_S16_EUlS15_E_NS1_11comp_targetILNS1_3genE10ELNS1_11target_archE1200ELNS1_3gpuE4ELNS1_3repE0EEENS1_30default_config_static_selectorELNS0_4arch9wavefront6targetE0EEEvT1_, .Lfunc_end478-_ZN7rocprim17ROCPRIM_400000_NS6detail17trampoline_kernelINS0_14default_configENS1_25partition_config_selectorILNS1_17partition_subalgoE9EllbEEZZNS1_14partition_implILS5_9ELb0ES3_jPlS8_PNS0_10empty_typeENS0_5tupleIJS8_S9_EEENSB_IJS8_SA_EEENS0_18inequality_wrapperIZN2at6native12_GLOBAL__N_124unique_dim_cuda_templateIiEESt5tupleIJNSF_6TensorESK_SK_EERKSK_lbbbEUlllE0_EEPmJS9_EEE10hipError_tPvRmT3_T4_T5_T6_T7_T9_mT8_P12ihipStream_tbDpT10_ENKUlT_T0_E_clISt17integral_constantIbLb0EES1A_EEDaS15_S16_EUlS15_E_NS1_11comp_targetILNS1_3genE10ELNS1_11target_archE1200ELNS1_3gpuE4ELNS1_3repE0EEENS1_30default_config_static_selectorELNS0_4arch9wavefront6targetE0EEEvT1_
                                        ; -- End function
	.section	.AMDGPU.csdata,"",@progbits
; Kernel info:
; codeLenInByte = 0
; NumSgprs: 0
; NumVgprs: 0
; ScratchSize: 0
; MemoryBound: 0
; FloatMode: 240
; IeeeMode: 1
; LDSByteSize: 0 bytes/workgroup (compile time only)
; SGPRBlocks: 0
; VGPRBlocks: 0
; NumSGPRsForWavesPerEU: 1
; NumVGPRsForWavesPerEU: 1
; Occupancy: 15
; WaveLimiterHint : 0
; COMPUTE_PGM_RSRC2:SCRATCH_EN: 0
; COMPUTE_PGM_RSRC2:USER_SGPR: 15
; COMPUTE_PGM_RSRC2:TRAP_HANDLER: 0
; COMPUTE_PGM_RSRC2:TGID_X_EN: 1
; COMPUTE_PGM_RSRC2:TGID_Y_EN: 0
; COMPUTE_PGM_RSRC2:TGID_Z_EN: 0
; COMPUTE_PGM_RSRC2:TIDIG_COMP_CNT: 0
	.section	.text._ZN7rocprim17ROCPRIM_400000_NS6detail17trampoline_kernelINS0_14default_configENS1_25partition_config_selectorILNS1_17partition_subalgoE9EllbEEZZNS1_14partition_implILS5_9ELb0ES3_jPlS8_PNS0_10empty_typeENS0_5tupleIJS8_S9_EEENSB_IJS8_SA_EEENS0_18inequality_wrapperIZN2at6native12_GLOBAL__N_124unique_dim_cuda_templateIiEESt5tupleIJNSF_6TensorESK_SK_EERKSK_lbbbEUlllE0_EEPmJS9_EEE10hipError_tPvRmT3_T4_T5_T6_T7_T9_mT8_P12ihipStream_tbDpT10_ENKUlT_T0_E_clISt17integral_constantIbLb0EES1A_EEDaS15_S16_EUlS15_E_NS1_11comp_targetILNS1_3genE9ELNS1_11target_archE1100ELNS1_3gpuE3ELNS1_3repE0EEENS1_30default_config_static_selectorELNS0_4arch9wavefront6targetE0EEEvT1_,"axG",@progbits,_ZN7rocprim17ROCPRIM_400000_NS6detail17trampoline_kernelINS0_14default_configENS1_25partition_config_selectorILNS1_17partition_subalgoE9EllbEEZZNS1_14partition_implILS5_9ELb0ES3_jPlS8_PNS0_10empty_typeENS0_5tupleIJS8_S9_EEENSB_IJS8_SA_EEENS0_18inequality_wrapperIZN2at6native12_GLOBAL__N_124unique_dim_cuda_templateIiEESt5tupleIJNSF_6TensorESK_SK_EERKSK_lbbbEUlllE0_EEPmJS9_EEE10hipError_tPvRmT3_T4_T5_T6_T7_T9_mT8_P12ihipStream_tbDpT10_ENKUlT_T0_E_clISt17integral_constantIbLb0EES1A_EEDaS15_S16_EUlS15_E_NS1_11comp_targetILNS1_3genE9ELNS1_11target_archE1100ELNS1_3gpuE3ELNS1_3repE0EEENS1_30default_config_static_selectorELNS0_4arch9wavefront6targetE0EEEvT1_,comdat
	.globl	_ZN7rocprim17ROCPRIM_400000_NS6detail17trampoline_kernelINS0_14default_configENS1_25partition_config_selectorILNS1_17partition_subalgoE9EllbEEZZNS1_14partition_implILS5_9ELb0ES3_jPlS8_PNS0_10empty_typeENS0_5tupleIJS8_S9_EEENSB_IJS8_SA_EEENS0_18inequality_wrapperIZN2at6native12_GLOBAL__N_124unique_dim_cuda_templateIiEESt5tupleIJNSF_6TensorESK_SK_EERKSK_lbbbEUlllE0_EEPmJS9_EEE10hipError_tPvRmT3_T4_T5_T6_T7_T9_mT8_P12ihipStream_tbDpT10_ENKUlT_T0_E_clISt17integral_constantIbLb0EES1A_EEDaS15_S16_EUlS15_E_NS1_11comp_targetILNS1_3genE9ELNS1_11target_archE1100ELNS1_3gpuE3ELNS1_3repE0EEENS1_30default_config_static_selectorELNS0_4arch9wavefront6targetE0EEEvT1_ ; -- Begin function _ZN7rocprim17ROCPRIM_400000_NS6detail17trampoline_kernelINS0_14default_configENS1_25partition_config_selectorILNS1_17partition_subalgoE9EllbEEZZNS1_14partition_implILS5_9ELb0ES3_jPlS8_PNS0_10empty_typeENS0_5tupleIJS8_S9_EEENSB_IJS8_SA_EEENS0_18inequality_wrapperIZN2at6native12_GLOBAL__N_124unique_dim_cuda_templateIiEESt5tupleIJNSF_6TensorESK_SK_EERKSK_lbbbEUlllE0_EEPmJS9_EEE10hipError_tPvRmT3_T4_T5_T6_T7_T9_mT8_P12ihipStream_tbDpT10_ENKUlT_T0_E_clISt17integral_constantIbLb0EES1A_EEDaS15_S16_EUlS15_E_NS1_11comp_targetILNS1_3genE9ELNS1_11target_archE1100ELNS1_3gpuE3ELNS1_3repE0EEENS1_30default_config_static_selectorELNS0_4arch9wavefront6targetE0EEEvT1_
	.p2align	8
	.type	_ZN7rocprim17ROCPRIM_400000_NS6detail17trampoline_kernelINS0_14default_configENS1_25partition_config_selectorILNS1_17partition_subalgoE9EllbEEZZNS1_14partition_implILS5_9ELb0ES3_jPlS8_PNS0_10empty_typeENS0_5tupleIJS8_S9_EEENSB_IJS8_SA_EEENS0_18inequality_wrapperIZN2at6native12_GLOBAL__N_124unique_dim_cuda_templateIiEESt5tupleIJNSF_6TensorESK_SK_EERKSK_lbbbEUlllE0_EEPmJS9_EEE10hipError_tPvRmT3_T4_T5_T6_T7_T9_mT8_P12ihipStream_tbDpT10_ENKUlT_T0_E_clISt17integral_constantIbLb0EES1A_EEDaS15_S16_EUlS15_E_NS1_11comp_targetILNS1_3genE9ELNS1_11target_archE1100ELNS1_3gpuE3ELNS1_3repE0EEENS1_30default_config_static_selectorELNS0_4arch9wavefront6targetE0EEEvT1_,@function
_ZN7rocprim17ROCPRIM_400000_NS6detail17trampoline_kernelINS0_14default_configENS1_25partition_config_selectorILNS1_17partition_subalgoE9EllbEEZZNS1_14partition_implILS5_9ELb0ES3_jPlS8_PNS0_10empty_typeENS0_5tupleIJS8_S9_EEENSB_IJS8_SA_EEENS0_18inequality_wrapperIZN2at6native12_GLOBAL__N_124unique_dim_cuda_templateIiEESt5tupleIJNSF_6TensorESK_SK_EERKSK_lbbbEUlllE0_EEPmJS9_EEE10hipError_tPvRmT3_T4_T5_T6_T7_T9_mT8_P12ihipStream_tbDpT10_ENKUlT_T0_E_clISt17integral_constantIbLb0EES1A_EEDaS15_S16_EUlS15_E_NS1_11comp_targetILNS1_3genE9ELNS1_11target_archE1100ELNS1_3gpuE3ELNS1_3repE0EEENS1_30default_config_static_selectorELNS0_4arch9wavefront6targetE0EEEvT1_: ; @_ZN7rocprim17ROCPRIM_400000_NS6detail17trampoline_kernelINS0_14default_configENS1_25partition_config_selectorILNS1_17partition_subalgoE9EllbEEZZNS1_14partition_implILS5_9ELb0ES3_jPlS8_PNS0_10empty_typeENS0_5tupleIJS8_S9_EEENSB_IJS8_SA_EEENS0_18inequality_wrapperIZN2at6native12_GLOBAL__N_124unique_dim_cuda_templateIiEESt5tupleIJNSF_6TensorESK_SK_EERKSK_lbbbEUlllE0_EEPmJS9_EEE10hipError_tPvRmT3_T4_T5_T6_T7_T9_mT8_P12ihipStream_tbDpT10_ENKUlT_T0_E_clISt17integral_constantIbLb0EES1A_EEDaS15_S16_EUlS15_E_NS1_11comp_targetILNS1_3genE9ELNS1_11target_archE1100ELNS1_3gpuE3ELNS1_3repE0EEENS1_30default_config_static_selectorELNS0_4arch9wavefront6targetE0EEEvT1_
; %bb.0:
	s_clause 0x3
	s_load_b128 s[4:7], s[0:1], 0x8
	s_load_b32 s8, s[0:1], 0x70
	s_load_b256 s[16:23], s[0:1], 0x40
	s_load_b64 s[24:25], s[0:1], 0x18
	s_mov_b32 s3, 0
	v_lshlrev_b32_e32 v55, 3, v0
	v_lshrrev_b32_e32 v33, 2, v0
	v_or_b32_e32 v38, 0x200, v0
	v_or_b32_e32 v36, 0x400, v0
	;; [unrolled: 1-line block ×7, first 2 shown]
	s_waitcnt lgkmcnt(0)
	s_lshl_b64 s[26:27], s[6:7], 3
	s_delay_alu instid0(SALU_CYCLE_1)
	s_add_u32 s9, s4, s26
	s_addc_u32 s10, s5, s27
	s_add_i32 s11, s8, -1
	s_load_b64 s[12:13], s[18:19], 0x0
	s_lshl_b32 s4, s11, 12
	s_lshl_b32 s5, s8, 12
	s_add_i32 s4, s6, s4
	s_lshl_b32 s2, s15, 12
	s_sub_i32 s28, s20, s4
	s_add_u32 s4, s6, s5
	s_addc_u32 s5, s7, 0
	s_cmp_eq_u32 s15, s11
	v_cmp_ge_u64_e64 s4, s[4:5], s[20:21]
	s_cselect_b32 s14, -1, 0
	s_lshl_b64 s[18:19], s[2:3], 3
	s_mov_b32 s3, -1
	s_delay_alu instid0(VALU_DEP_1) | instskip(NEXT) | instid1(SALU_CYCLE_1)
	s_and_b32 s21, s14, s4
	s_xor_b32 s20, s21, -1
	s_add_u32 s4, s9, s18
	s_addc_u32 s5, s10, s19
	s_and_b32 vcc_lo, exec_lo, s20
	s_cbranch_vccz .LBB479_2
; %bb.1:
	v_add_co_u32 v9, s2, s4, v55
	s_delay_alu instid0(VALU_DEP_1)
	v_add_co_ci_u32_e64 v10, null, s5, 0, s2
	global_load_b64 v[1:2], v55, s[4:5]
	v_add_co_u32 v3, vcc_lo, v9, 0x2000
	v_add_co_ci_u32_e32 v4, vcc_lo, 0, v10, vcc_lo
	v_add_co_u32 v5, vcc_lo, v9, 0x4000
	v_add_co_ci_u32_e32 v6, vcc_lo, 0, v10, vcc_lo
	;; [unrolled: 2-line block ×4, first 2 shown]
	s_clause 0x6
	global_load_b64 v[11:12], v[3:4], off offset:-4096
	global_load_b64 v[3:4], v[3:4], off
	global_load_b64 v[13:14], v[5:6], off offset:-4096
	global_load_b64 v[5:6], v[5:6], off
	;; [unrolled: 2-line block ×3, first 2 shown]
	global_load_b64 v[9:10], v[9:10], off
	v_lshrrev_b32_e32 v18, 2, v38
	v_lshrrev_b32_e32 v19, 2, v36
	;; [unrolled: 1-line block ×4, first 2 shown]
	v_and_b32_e32 v17, 0x78, v33
	v_lshrrev_b32_e32 v22, 2, v37
	v_lshrrev_b32_e32 v23, 2, v34
	;; [unrolled: 1-line block ×3, first 2 shown]
	v_and_b32_e32 v18, 0xf8, v18
	v_and_b32_e32 v19, 0x178, v19
	v_and_b32_e32 v20, 0x1f8, v20
	v_and_b32_e32 v21, 0x278, v21
	v_add_nc_u32_e32 v17, v17, v55
	v_and_b32_e32 v22, 0x2f8, v22
	v_and_b32_e32 v23, 0x378, v23
	;; [unrolled: 1-line block ×3, first 2 shown]
	v_add_nc_u32_e32 v18, v18, v55
	v_add_nc_u32_e32 v19, v19, v55
	;; [unrolled: 1-line block ×4, first 2 shown]
	s_mov_b32 s3, 0
	v_add_nc_u32_e32 v22, v22, v55
	v_add_nc_u32_e32 v23, v23, v55
	;; [unrolled: 1-line block ×3, first 2 shown]
	s_waitcnt vmcnt(7)
	ds_store_b64 v17, v[1:2]
	s_waitcnt vmcnt(6)
	ds_store_b64 v18, v[11:12] offset:4096
	s_waitcnt vmcnt(5)
	ds_store_b64 v19, v[3:4] offset:8192
	;; [unrolled: 2-line block ×7, first 2 shown]
	s_waitcnt lgkmcnt(0)
	s_barrier
.LBB479_2:
	s_load_b128 s[8:11], s[0:1], 0x60
	v_cmp_gt_u32_e64 s2, s28, v0
	s_and_not1_b32 vcc_lo, exec_lo, s3
	s_cbranch_vccnz .LBB479_20
; %bb.3:
                                        ; implicit-def: $vgpr1_vgpr2_vgpr3_vgpr4_vgpr5_vgpr6_vgpr7_vgpr8_vgpr9_vgpr10_vgpr11_vgpr12_vgpr13_vgpr14_vgpr15_vgpr16
	s_delay_alu instid0(VALU_DEP_1)
	s_and_saveexec_b32 s3, s2
	s_cbranch_execz .LBB479_11
; %bb.4:
	global_load_b64 v[1:2], v55, s[4:5]
	s_or_b32 exec_lo, exec_lo, s3
	s_delay_alu instid0(SALU_CYCLE_1)
	s_mov_b32 s2, exec_lo
	v_cmpx_gt_u32_e64 s28, v38
	s_cbranch_execnz .LBB479_12
.LBB479_5:
	s_or_b32 exec_lo, exec_lo, s2
	s_delay_alu instid0(SALU_CYCLE_1)
	s_mov_b32 s2, exec_lo
	v_cmpx_gt_u32_e64 s28, v36
	s_cbranch_execz .LBB479_13
.LBB479_6:
	v_lshlrev_b32_e32 v5, 3, v36
	global_load_b64 v[5:6], v5, s[4:5]
	s_or_b32 exec_lo, exec_lo, s2
	s_delay_alu instid0(SALU_CYCLE_1)
	s_mov_b32 s2, exec_lo
	v_cmpx_gt_u32_e64 s28, v40
	s_cbranch_execnz .LBB479_14
.LBB479_7:
	s_or_b32 exec_lo, exec_lo, s2
	s_delay_alu instid0(SALU_CYCLE_1)
	s_mov_b32 s2, exec_lo
	v_cmpx_gt_u32_e64 s28, v39
	s_cbranch_execz .LBB479_15
.LBB479_8:
	v_lshlrev_b32_e32 v9, 3, v39
	global_load_b64 v[9:10], v9, s[4:5]
	s_or_b32 exec_lo, exec_lo, s2
	s_delay_alu instid0(SALU_CYCLE_1)
	s_mov_b32 s2, exec_lo
	v_cmpx_gt_u32_e64 s28, v37
	s_cbranch_execnz .LBB479_16
.LBB479_9:
	s_or_b32 exec_lo, exec_lo, s2
	s_delay_alu instid0(SALU_CYCLE_1)
	s_mov_b32 s2, exec_lo
	v_cmpx_gt_u32_e64 s28, v34
	s_cbranch_execz .LBB479_17
.LBB479_10:
	v_lshlrev_b32_e32 v13, 3, v34
	global_load_b64 v[13:14], v13, s[4:5]
	s_or_b32 exec_lo, exec_lo, s2
	s_delay_alu instid0(SALU_CYCLE_1)
	s_mov_b32 s2, exec_lo
	v_cmpx_gt_u32_e64 s28, v35
	s_cbranch_execnz .LBB479_18
	s_branch .LBB479_19
.LBB479_11:
	s_or_b32 exec_lo, exec_lo, s3
	s_delay_alu instid0(SALU_CYCLE_1)
	s_mov_b32 s2, exec_lo
	v_cmpx_gt_u32_e64 s28, v38
	s_cbranch_execz .LBB479_5
.LBB479_12:
	v_lshlrev_b32_e32 v3, 3, v38
	global_load_b64 v[3:4], v3, s[4:5]
	s_or_b32 exec_lo, exec_lo, s2
	s_delay_alu instid0(SALU_CYCLE_1)
	s_mov_b32 s2, exec_lo
	v_cmpx_gt_u32_e64 s28, v36
	s_cbranch_execnz .LBB479_6
.LBB479_13:
	s_or_b32 exec_lo, exec_lo, s2
	s_delay_alu instid0(SALU_CYCLE_1)
	s_mov_b32 s2, exec_lo
	v_cmpx_gt_u32_e64 s28, v40
	s_cbranch_execz .LBB479_7
.LBB479_14:
	v_lshlrev_b32_e32 v7, 3, v40
	global_load_b64 v[7:8], v7, s[4:5]
	s_or_b32 exec_lo, exec_lo, s2
	s_delay_alu instid0(SALU_CYCLE_1)
	s_mov_b32 s2, exec_lo
	v_cmpx_gt_u32_e64 s28, v39
	s_cbranch_execnz .LBB479_8
.LBB479_15:
	s_or_b32 exec_lo, exec_lo, s2
	s_delay_alu instid0(SALU_CYCLE_1)
	s_mov_b32 s2, exec_lo
	v_cmpx_gt_u32_e64 s28, v37
	s_cbranch_execz .LBB479_9
.LBB479_16:
	v_lshlrev_b32_e32 v11, 3, v37
	global_load_b64 v[11:12], v11, s[4:5]
	s_or_b32 exec_lo, exec_lo, s2
	s_delay_alu instid0(SALU_CYCLE_1)
	s_mov_b32 s2, exec_lo
	v_cmpx_gt_u32_e64 s28, v34
	s_cbranch_execnz .LBB479_10
.LBB479_17:
	s_or_b32 exec_lo, exec_lo, s2
	s_delay_alu instid0(SALU_CYCLE_1)
	s_mov_b32 s2, exec_lo
	v_cmpx_gt_u32_e64 s28, v35
	s_cbranch_execz .LBB479_19
.LBB479_18:
	v_lshlrev_b32_e32 v15, 3, v35
	global_load_b64 v[15:16], v15, s[4:5]
.LBB479_19:
	s_or_b32 exec_lo, exec_lo, s2
	v_lshrrev_b32_e32 v17, 2, v38
	v_lshrrev_b32_e32 v18, 2, v36
	;; [unrolled: 1-line block ×4, first 2 shown]
	v_and_b32_e32 v19, 0x78, v33
	v_lshrrev_b32_e32 v22, 2, v37
	v_lshrrev_b32_e32 v23, 2, v34
	;; [unrolled: 1-line block ×3, first 2 shown]
	v_and_b32_e32 v17, 0xf8, v17
	v_and_b32_e32 v18, 0x1f8, v18
	;; [unrolled: 1-line block ×4, first 2 shown]
	v_add_nc_u32_e32 v19, v19, v55
	v_and_b32_e32 v22, 0x3f8, v22
	v_and_b32_e32 v23, 0x3f8, v23
	;; [unrolled: 1-line block ×3, first 2 shown]
	v_add_nc_u32_e32 v17, v17, v55
	v_add_nc_u32_e32 v18, v18, v55
	;; [unrolled: 1-line block ×7, first 2 shown]
	s_waitcnt vmcnt(0)
	ds_store_b64 v19, v[1:2]
	ds_store_b64 v17, v[3:4] offset:4096
	ds_store_b64 v18, v[5:6] offset:8192
	;; [unrolled: 1-line block ×7, first 2 shown]
	s_waitcnt lgkmcnt(0)
	s_barrier
.LBB479_20:
	v_add_lshl_u32 v41, v33, v55, 3
	s_waitcnt lgkmcnt(0)
	buffer_gl0_inv
	s_add_u32 s2, s24, s26
	s_addc_u32 s3, s25, s27
	s_add_u32 s2, s2, s18
	ds_load_2addr_b64 v[29:32], v41 offset1:1
	ds_load_2addr_b64 v[25:28], v41 offset0:2 offset1:3
	ds_load_2addr_b64 v[21:24], v41 offset0:4 offset1:5
	;; [unrolled: 1-line block ×3, first 2 shown]
	s_addc_u32 s3, s3, s19
	s_and_b32 vcc_lo, exec_lo, s20
	s_mov_b32 s18, -1
	s_waitcnt lgkmcnt(0)
	s_barrier
	buffer_gl0_inv
	s_cbranch_vccz .LBB479_22
; %bb.21:
	v_add_co_u32 v9, s18, s2, v55
	s_delay_alu instid0(VALU_DEP_1)
	v_add_co_ci_u32_e64 v10, null, s3, 0, s18
	global_load_b64 v[1:2], v55, s[2:3]
	v_add_co_u32 v3, vcc_lo, v9, 0x2000
	v_add_co_ci_u32_e32 v4, vcc_lo, 0, v10, vcc_lo
	v_add_co_u32 v5, vcc_lo, v9, 0x4000
	v_add_co_ci_u32_e32 v6, vcc_lo, 0, v10, vcc_lo
	;; [unrolled: 2-line block ×4, first 2 shown]
	s_clause 0x6
	global_load_b64 v[11:12], v[3:4], off offset:-4096
	global_load_b64 v[3:4], v[3:4], off
	global_load_b64 v[13:14], v[5:6], off offset:-4096
	global_load_b64 v[5:6], v[5:6], off
	;; [unrolled: 2-line block ×3, first 2 shown]
	global_load_b64 v[9:10], v[9:10], off
	v_lshrrev_b32_e32 v43, 2, v38
	v_lshrrev_b32_e32 v44, 2, v36
	v_lshrrev_b32_e32 v45, 2, v40
	v_lshrrev_b32_e32 v46, 2, v39
	v_and_b32_e32 v42, 0x78, v33
	v_lshrrev_b32_e32 v47, 2, v37
	v_lshrrev_b32_e32 v48, 2, v34
	;; [unrolled: 1-line block ×3, first 2 shown]
	v_and_b32_e32 v43, 0xf8, v43
	v_and_b32_e32 v44, 0x178, v44
	;; [unrolled: 1-line block ×4, first 2 shown]
	v_add_nc_u32_e32 v42, v42, v55
	v_and_b32_e32 v47, 0x2f8, v47
	v_and_b32_e32 v48, 0x378, v48
	;; [unrolled: 1-line block ×3, first 2 shown]
	v_add_nc_u32_e32 v43, v43, v55
	v_add_nc_u32_e32 v44, v44, v55
	;; [unrolled: 1-line block ×4, first 2 shown]
	s_mov_b32 s18, 0
	v_add_nc_u32_e32 v47, v47, v55
	v_add_nc_u32_e32 v48, v48, v55
	;; [unrolled: 1-line block ×3, first 2 shown]
	s_waitcnt vmcnt(7)
	ds_store_b64 v42, v[1:2]
	s_waitcnt vmcnt(6)
	ds_store_b64 v43, v[11:12] offset:4096
	s_waitcnt vmcnt(5)
	ds_store_b64 v44, v[3:4] offset:8192
	;; [unrolled: 2-line block ×7, first 2 shown]
	s_waitcnt lgkmcnt(0)
	s_barrier
.LBB479_22:
	s_and_not1_b32 vcc_lo, exec_lo, s18
	s_cbranch_vccnz .LBB479_40
; %bb.23:
	s_mov_b32 s18, exec_lo
                                        ; implicit-def: $vgpr1_vgpr2
	v_cmpx_gt_u32_e64 s28, v0
	s_cbranch_execz .LBB479_25
; %bb.24:
	global_load_b64 v[1:2], v55, s[2:3]
.LBB479_25:
	s_or_b32 exec_lo, exec_lo, s18
	s_delay_alu instid0(SALU_CYCLE_1)
	s_mov_b32 s18, exec_lo
                                        ; implicit-def: $vgpr3_vgpr4
	v_cmpx_gt_u32_e64 s28, v38
	s_cbranch_execz .LBB479_27
; %bb.26:
	v_lshlrev_b32_e32 v3, 3, v38
	global_load_b64 v[3:4], v3, s[2:3]
.LBB479_27:
	s_or_b32 exec_lo, exec_lo, s18
	s_delay_alu instid0(SALU_CYCLE_1)
	s_mov_b32 s18, exec_lo
                                        ; implicit-def: $vgpr5_vgpr6
	v_cmpx_gt_u32_e64 s28, v36
	s_cbranch_execz .LBB479_29
; %bb.28:
	v_lshlrev_b32_e32 v5, 3, v36
	global_load_b64 v[5:6], v5, s[2:3]
.LBB479_29:
	s_or_b32 exec_lo, exec_lo, s18
	s_delay_alu instid0(SALU_CYCLE_1)
	s_mov_b32 s18, exec_lo
                                        ; implicit-def: $vgpr7_vgpr8
	v_cmpx_gt_u32_e64 s28, v40
	s_cbranch_execz .LBB479_31
; %bb.30:
	v_lshlrev_b32_e32 v7, 3, v40
	global_load_b64 v[7:8], v7, s[2:3]
.LBB479_31:
	s_or_b32 exec_lo, exec_lo, s18
	s_delay_alu instid0(SALU_CYCLE_1)
	s_mov_b32 s18, exec_lo
                                        ; implicit-def: $vgpr9_vgpr10
	v_cmpx_gt_u32_e64 s28, v39
	s_cbranch_execz .LBB479_33
; %bb.32:
	v_lshlrev_b32_e32 v9, 3, v39
	global_load_b64 v[9:10], v9, s[2:3]
.LBB479_33:
	s_or_b32 exec_lo, exec_lo, s18
	s_delay_alu instid0(SALU_CYCLE_1)
	s_mov_b32 s18, exec_lo
                                        ; implicit-def: $vgpr11_vgpr12
	v_cmpx_gt_u32_e64 s28, v37
	s_cbranch_execz .LBB479_35
; %bb.34:
	v_lshlrev_b32_e32 v11, 3, v37
	global_load_b64 v[11:12], v11, s[2:3]
.LBB479_35:
	s_or_b32 exec_lo, exec_lo, s18
	s_delay_alu instid0(SALU_CYCLE_1)
	s_mov_b32 s18, exec_lo
                                        ; implicit-def: $vgpr13_vgpr14
	v_cmpx_gt_u32_e64 s28, v34
	s_cbranch_execz .LBB479_37
; %bb.36:
	v_lshlrev_b32_e32 v13, 3, v34
	global_load_b64 v[13:14], v13, s[2:3]
.LBB479_37:
	s_or_b32 exec_lo, exec_lo, s18
	s_delay_alu instid0(SALU_CYCLE_1)
	s_mov_b32 s18, exec_lo
                                        ; implicit-def: $vgpr15_vgpr16
	v_cmpx_gt_u32_e64 s28, v35
	s_cbranch_execz .LBB479_39
; %bb.38:
	v_lshlrev_b32_e32 v15, 3, v35
	global_load_b64 v[15:16], v15, s[2:3]
.LBB479_39:
	s_or_b32 exec_lo, exec_lo, s18
	v_lshrrev_b32_e32 v38, 2, v38
	v_lshrrev_b32_e32 v36, 2, v36
	;; [unrolled: 1-line block ×4, first 2 shown]
	v_and_b32_e32 v33, 0x78, v33
	v_lshrrev_b32_e32 v37, 2, v37
	v_lshrrev_b32_e32 v34, 2, v34
	;; [unrolled: 1-line block ×3, first 2 shown]
	v_and_b32_e32 v38, 0xf8, v38
	v_and_b32_e32 v36, 0x1f8, v36
	;; [unrolled: 1-line block ×4, first 2 shown]
	v_add_nc_u32_e32 v33, v33, v55
	v_and_b32_e32 v37, 0x3f8, v37
	v_and_b32_e32 v34, 0x3f8, v34
	;; [unrolled: 1-line block ×3, first 2 shown]
	v_add_nc_u32_e32 v38, v38, v55
	v_add_nc_u32_e32 v36, v36, v55
	;; [unrolled: 1-line block ×7, first 2 shown]
	s_waitcnt vmcnt(0)
	ds_store_b64 v33, v[1:2]
	ds_store_b64 v38, v[3:4] offset:4096
	ds_store_b64 v36, v[5:6] offset:8192
	;; [unrolled: 1-line block ×7, first 2 shown]
	s_waitcnt lgkmcnt(0)
	s_barrier
.LBB479_40:
	buffer_gl0_inv
	ds_load_2addr_b64 v[13:16], v41 offset1:1
	ds_load_2addr_b64 v[9:12], v41 offset0:2 offset1:3
	ds_load_2addr_b64 v[5:8], v41 offset0:4 offset1:5
	;; [unrolled: 1-line block ×3, first 2 shown]
	s_cmp_lg_u32 s15, 0
	v_cmp_gt_i64_e64 s25, s[22:23], 0
	s_cselect_b32 s24, -1, 0
	s_cmp_lg_u64 s[6:7], 0
	s_mov_b32 s3, 0
	s_cselect_b32 s2, -1, 0
	s_waitcnt lgkmcnt(0)
	s_or_b32 s2, s24, s2
	s_barrier
	s_and_b32 vcc_lo, exec_lo, s2
	buffer_gl0_inv
	s_cbranch_vccz .LBB479_49
; %bb.41:
	s_add_u32 s2, s4, -8
	s_addc_u32 s3, s5, -1
	v_cndmask_b32_e64 v41, 0, 1, s25
	s_load_b64 s[4:5], s[2:3], 0x0
	s_and_b32 vcc_lo, exec_lo, s20
	ds_store_b64 v55, v[19:20]
	v_cmp_ne_u32_e64 s2, 1, v41
	s_cbranch_vccz .LBB479_50
; %bb.42:
	v_mul_lo_u32 v35, v18, s22
	v_mul_lo_u32 v36, v17, s23
	v_mad_u64_u32 v[33:34], null, v17, s22, 0
	s_mov_b32 s3, 0
	s_and_b32 vcc_lo, exec_lo, s2
	s_mov_b32 s26, 0
	s_delay_alu instid0(VALU_DEP_1) | instskip(NEXT) | instid1(VALU_DEP_1)
	v_add3_u32 v34, v34, v36, v35
	v_lshlrev_b64 v[33:34], 2, v[33:34]
	s_cbranch_vccnz .LBB479_53
; %bb.43:
	v_mul_lo_u32 v37, v20, s22
	v_mul_lo_u32 v38, v19, s23
	v_mad_u64_u32 v[35:36], null, v19, s22, 0
	s_mov_b32 s26, -1
	s_mov_b32 s27, exec_lo
	s_delay_alu instid0(VALU_DEP_1) | instskip(SKIP_2) | instid1(VALU_DEP_3)
	v_add3_u32 v36, v36, v38, v37
	v_add_co_u32 v37, vcc_lo, s8, v33
	v_add_co_ci_u32_e32 v38, vcc_lo, s9, v34, vcc_lo
	v_lshlrev_b64 v[35:36], 2, v[35:36]
	s_delay_alu instid0(VALU_DEP_1) | instskip(NEXT) | instid1(VALU_DEP_2)
	v_add_co_u32 v35, vcc_lo, s8, v35
	v_add_co_ci_u32_e32 v36, vcc_lo, s9, v36, vcc_lo
	s_clause 0x1
	global_load_b32 v39, v[37:38], off
	global_load_b32 v40, v[35:36], off
	s_waitcnt vmcnt(0)
	v_cmpx_eq_u32_e64 v39, v40
	s_cbranch_execz .LBB479_52
; %bb.44:
	v_add_co_u32 v35, vcc_lo, v35, 4
	v_add_co_ci_u32_e32 v36, vcc_lo, 0, v36, vcc_lo
	v_add_co_u32 v37, vcc_lo, v37, 4
	v_add_co_ci_u32_e32 v38, vcc_lo, 0, v38, vcc_lo
	s_add_u32 s6, s22, -1
	s_addc_u32 s7, s23, -1
	s_mov_b64 s[18:19], 0
	s_mov_b32 s26, 0
                                        ; implicit-def: $sgpr29
	s_set_inst_prefetch_distance 0x1
	s_branch .LBB479_47
	.p2align	6
.LBB479_45:                             ;   in Loop: Header=BB479_47 Depth=1
	global_load_b32 v39, v[37:38], off
	global_load_b32 v40, v[35:36], off
	v_add_co_u32 v35, vcc_lo, v35, 4
	v_add_co_ci_u32_e32 v36, vcc_lo, 0, v36, vcc_lo
	v_add_co_u32 v37, s2, v37, 4
	s_delay_alu instid0(VALU_DEP_1)
	v_add_co_ci_u32_e64 v38, s2, 0, v38, s2
	s_add_u32 s18, s18, 1
	s_addc_u32 s19, s19, 0
	s_and_not1_b32 s2, s29, exec_lo
	s_waitcnt vmcnt(0)
	v_cmp_ne_u32_e32 vcc_lo, v39, v40
	s_and_b32 s29, vcc_lo, exec_lo
	s_delay_alu instid0(SALU_CYCLE_1)
	s_or_b32 s29, s2, s29
.LBB479_46:                             ;   in Loop: Header=BB479_47 Depth=1
	v_dual_mov_b32 v40, s19 :: v_dual_mov_b32 v39, s18
	s_and_b32 s2, exec_lo, s29
	s_delay_alu instid0(SALU_CYCLE_1) | instskip(NEXT) | instid1(SALU_CYCLE_1)
	s_or_b32 s26, s2, s26
	s_and_not1_b32 exec_lo, exec_lo, s26
	s_cbranch_execz .LBB479_51
.LBB479_47:                             ; =>This Inner Loop Header: Depth=1
	s_or_b32 s29, s29, exec_lo
	s_cmp_eq_u64 s[6:7], s[18:19]
	s_cbranch_scc0 .LBB479_45
; %bb.48:                               ;   in Loop: Header=BB479_47 Depth=1
	s_mov_b64 s[18:19], s[22:23]
                                        ; implicit-def: $vgpr35_vgpr36
                                        ; implicit-def: $vgpr37_vgpr38
	s_branch .LBB479_46
.LBB479_49:
                                        ; implicit-def: $sgpr2
                                        ; implicit-def: $vgpr34
	s_branch .LBB479_211
.LBB479_50:
                                        ; implicit-def: $sgpr2
                                        ; implicit-def: $vgpr34
	s_cbranch_execnz .LBB479_119
	s_branch .LBB479_210
.LBB479_51:
	s_set_inst_prefetch_distance 0x2
	s_or_b32 exec_lo, exec_lo, s26
	v_cmp_gt_i64_e32 vcc_lo, s[22:23], v[39:40]
	s_or_not1_b32 s26, vcc_lo, exec_lo
.LBB479_52:
	s_or_b32 exec_lo, exec_lo, s27
.LBB479_53:
	v_mul_lo_u32 v37, v24, s22
	v_mul_lo_u32 v38, v23, s23
	v_mad_u64_u32 v[35:36], null, v23, s22, 0
	s_and_not1_b32 vcc_lo, exec_lo, s25
	s_delay_alu instid0(VALU_DEP_1) | instskip(NEXT) | instid1(VALU_DEP_1)
	v_add3_u32 v36, v36, v38, v37
	v_lshlrev_b64 v[35:36], 2, v[35:36]
	s_cbranch_vccnz .LBB479_62
; %bb.54:
	s_delay_alu instid0(VALU_DEP_1) | instskip(NEXT) | instid1(VALU_DEP_2)
	v_add_co_u32 v37, vcc_lo, s8, v35
	v_add_co_ci_u32_e32 v38, vcc_lo, s9, v36, vcc_lo
	v_add_co_u32 v33, vcc_lo, s8, v33
	v_add_co_ci_u32_e32 v34, vcc_lo, s9, v34, vcc_lo
	s_mov_b32 s3, -1
	s_clause 0x1
	global_load_b32 v39, v[37:38], off
	global_load_b32 v40, v[33:34], off
	s_mov_b32 s27, exec_lo
	s_waitcnt vmcnt(0)
	v_cmpx_eq_u32_e64 v39, v40
	s_cbranch_execz .LBB479_61
; %bb.55:
	v_add_co_u32 v33, vcc_lo, v33, 4
	v_add_co_ci_u32_e32 v34, vcc_lo, 0, v34, vcc_lo
	v_add_co_u32 v37, vcc_lo, v37, 4
	v_add_co_ci_u32_e32 v38, vcc_lo, 0, v38, vcc_lo
	s_add_u32 s6, s22, -1
	s_addc_u32 s7, s23, -1
	s_mov_b64 s[18:19], 0
	s_mov_b32 s3, 0
                                        ; implicit-def: $sgpr29
	s_set_inst_prefetch_distance 0x1
	s_branch .LBB479_58
	.p2align	6
.LBB479_56:                             ;   in Loop: Header=BB479_58 Depth=1
	global_load_b32 v39, v[37:38], off
	global_load_b32 v40, v[33:34], off
	v_add_co_u32 v33, vcc_lo, v33, 4
	v_add_co_ci_u32_e32 v34, vcc_lo, 0, v34, vcc_lo
	v_add_co_u32 v37, s2, v37, 4
	s_delay_alu instid0(VALU_DEP_1)
	v_add_co_ci_u32_e64 v38, s2, 0, v38, s2
	s_add_u32 s18, s18, 1
	s_addc_u32 s19, s19, 0
	s_and_not1_b32 s2, s29, exec_lo
	s_waitcnt vmcnt(0)
	v_cmp_ne_u32_e32 vcc_lo, v39, v40
	s_and_b32 s29, vcc_lo, exec_lo
	s_delay_alu instid0(SALU_CYCLE_1)
	s_or_b32 s29, s2, s29
.LBB479_57:                             ;   in Loop: Header=BB479_58 Depth=1
	v_dual_mov_b32 v40, s19 :: v_dual_mov_b32 v39, s18
	s_and_b32 s2, exec_lo, s29
	s_delay_alu instid0(SALU_CYCLE_1) | instskip(NEXT) | instid1(SALU_CYCLE_1)
	s_or_b32 s3, s2, s3
	s_and_not1_b32 exec_lo, exec_lo, s3
	s_cbranch_execz .LBB479_60
.LBB479_58:                             ; =>This Inner Loop Header: Depth=1
	s_or_b32 s29, s29, exec_lo
	s_cmp_eq_u64 s[6:7], s[18:19]
	s_cbranch_scc0 .LBB479_56
; %bb.59:                               ;   in Loop: Header=BB479_58 Depth=1
	s_mov_b64 s[18:19], s[22:23]
                                        ; implicit-def: $vgpr33_vgpr34
                                        ; implicit-def: $vgpr37_vgpr38
	s_branch .LBB479_57
.LBB479_60:
	s_set_inst_prefetch_distance 0x2
	s_or_b32 exec_lo, exec_lo, s3
	v_cmp_gt_i64_e32 vcc_lo, s[22:23], v[39:40]
	s_or_not1_b32 s3, vcc_lo, exec_lo
.LBB479_61:
	s_or_b32 exec_lo, exec_lo, s27
.LBB479_62:
	v_mul_lo_u32 v37, v22, s22
	v_mul_lo_u32 v38, v21, s23
	v_mad_u64_u32 v[33:34], null, v21, s22, 0
	s_mov_b32 s27, 0
	s_and_not1_b32 vcc_lo, exec_lo, s25
	s_mov_b32 s29, 0
	s_delay_alu instid0(VALU_DEP_1) | instskip(NEXT) | instid1(VALU_DEP_1)
	v_add3_u32 v34, v34, v38, v37
	v_lshlrev_b64 v[37:38], 2, v[33:34]
	s_cbranch_vccnz .LBB479_71
; %bb.63:
	s_delay_alu instid0(VALU_DEP_1) | instskip(NEXT) | instid1(VALU_DEP_2)
	v_add_co_u32 v39, vcc_lo, s8, v37
	v_add_co_ci_u32_e32 v40, vcc_lo, s9, v38, vcc_lo
	v_add_co_u32 v33, vcc_lo, s8, v35
	v_add_co_ci_u32_e32 v34, vcc_lo, s9, v36, vcc_lo
	s_mov_b32 s29, -1
	s_clause 0x1
	global_load_b32 v35, v[39:40], off
	global_load_b32 v36, v[33:34], off
	s_mov_b32 s30, exec_lo
	s_waitcnt vmcnt(0)
	v_cmpx_eq_u32_e64 v35, v36
	s_cbranch_execz .LBB479_70
; %bb.64:
	v_add_co_u32 v33, vcc_lo, v33, 4
	v_add_co_ci_u32_e32 v34, vcc_lo, 0, v34, vcc_lo
	v_add_co_u32 v35, vcc_lo, v39, 4
	v_add_co_ci_u32_e32 v36, vcc_lo, 0, v40, vcc_lo
	s_add_u32 s6, s22, -1
	s_addc_u32 s7, s23, -1
	s_mov_b64 s[18:19], 0
	s_mov_b32 s29, 0
                                        ; implicit-def: $sgpr31
	s_set_inst_prefetch_distance 0x1
	s_branch .LBB479_67
	.p2align	6
.LBB479_65:                             ;   in Loop: Header=BB479_67 Depth=1
	global_load_b32 v39, v[35:36], off
	global_load_b32 v40, v[33:34], off
	v_add_co_u32 v33, vcc_lo, v33, 4
	v_add_co_ci_u32_e32 v34, vcc_lo, 0, v34, vcc_lo
	v_add_co_u32 v35, s2, v35, 4
	s_delay_alu instid0(VALU_DEP_1)
	v_add_co_ci_u32_e64 v36, s2, 0, v36, s2
	s_add_u32 s18, s18, 1
	s_addc_u32 s19, s19, 0
	s_and_not1_b32 s2, s31, exec_lo
	s_waitcnt vmcnt(0)
	v_cmp_ne_u32_e32 vcc_lo, v39, v40
	s_and_b32 s31, vcc_lo, exec_lo
	s_delay_alu instid0(SALU_CYCLE_1)
	s_or_b32 s31, s2, s31
.LBB479_66:                             ;   in Loop: Header=BB479_67 Depth=1
	v_dual_mov_b32 v40, s19 :: v_dual_mov_b32 v39, s18
	s_and_b32 s2, exec_lo, s31
	s_delay_alu instid0(SALU_CYCLE_1) | instskip(NEXT) | instid1(SALU_CYCLE_1)
	s_or_b32 s29, s2, s29
	s_and_not1_b32 exec_lo, exec_lo, s29
	s_cbranch_execz .LBB479_69
.LBB479_67:                             ; =>This Inner Loop Header: Depth=1
	s_or_b32 s31, s31, exec_lo
	s_cmp_eq_u64 s[6:7], s[18:19]
	s_cbranch_scc0 .LBB479_65
; %bb.68:                               ;   in Loop: Header=BB479_67 Depth=1
	s_mov_b64 s[18:19], s[22:23]
                                        ; implicit-def: $vgpr33_vgpr34
                                        ; implicit-def: $vgpr35_vgpr36
	s_branch .LBB479_66
.LBB479_69:
	s_set_inst_prefetch_distance 0x2
	s_or_b32 exec_lo, exec_lo, s29
	v_cmp_gt_i64_e32 vcc_lo, s[22:23], v[39:40]
	s_or_not1_b32 s29, vcc_lo, exec_lo
.LBB479_70:
	s_or_b32 exec_lo, exec_lo, s30
.LBB479_71:
	v_mul_lo_u32 v35, v28, s22
	v_mul_lo_u32 v36, v27, s23
	v_mad_u64_u32 v[33:34], null, v27, s22, 0
	s_and_not1_b32 vcc_lo, exec_lo, s25
	s_delay_alu instid0(VALU_DEP_1) | instskip(NEXT) | instid1(VALU_DEP_1)
	v_add3_u32 v34, v34, v36, v35
	v_lshlrev_b64 v[33:34], 2, v[33:34]
	s_cbranch_vccnz .LBB479_80
; %bb.72:
	s_delay_alu instid0(VALU_DEP_1) | instskip(NEXT) | instid1(VALU_DEP_2)
	v_add_co_u32 v39, vcc_lo, s8, v33
	v_add_co_ci_u32_e32 v40, vcc_lo, s9, v34, vcc_lo
	v_add_co_u32 v35, vcc_lo, s8, v37
	v_add_co_ci_u32_e32 v36, vcc_lo, s9, v38, vcc_lo
	s_mov_b32 s27, -1
	s_clause 0x1
	global_load_b32 v37, v[39:40], off
	global_load_b32 v38, v[35:36], off
	s_mov_b32 s30, exec_lo
	s_waitcnt vmcnt(0)
	v_cmpx_eq_u32_e64 v37, v38
	s_cbranch_execz .LBB479_79
; %bb.73:
	v_add_co_u32 v35, vcc_lo, v35, 4
	v_add_co_ci_u32_e32 v36, vcc_lo, 0, v36, vcc_lo
	v_add_co_u32 v37, vcc_lo, v39, 4
	v_add_co_ci_u32_e32 v38, vcc_lo, 0, v40, vcc_lo
	s_add_u32 s6, s22, -1
	s_addc_u32 s7, s23, -1
	s_mov_b64 s[18:19], 0
	s_mov_b32 s27, 0
                                        ; implicit-def: $sgpr31
	s_set_inst_prefetch_distance 0x1
	s_branch .LBB479_76
	.p2align	6
.LBB479_74:                             ;   in Loop: Header=BB479_76 Depth=1
	global_load_b32 v39, v[37:38], off
	global_load_b32 v40, v[35:36], off
	v_add_co_u32 v35, vcc_lo, v35, 4
	v_add_co_ci_u32_e32 v36, vcc_lo, 0, v36, vcc_lo
	v_add_co_u32 v37, s2, v37, 4
	s_delay_alu instid0(VALU_DEP_1)
	v_add_co_ci_u32_e64 v38, s2, 0, v38, s2
	s_add_u32 s18, s18, 1
	s_addc_u32 s19, s19, 0
	s_and_not1_b32 s2, s31, exec_lo
	s_waitcnt vmcnt(0)
	v_cmp_ne_u32_e32 vcc_lo, v39, v40
	s_and_b32 s31, vcc_lo, exec_lo
	s_delay_alu instid0(SALU_CYCLE_1)
	s_or_b32 s31, s2, s31
.LBB479_75:                             ;   in Loop: Header=BB479_76 Depth=1
	v_dual_mov_b32 v40, s19 :: v_dual_mov_b32 v39, s18
	s_and_b32 s2, exec_lo, s31
	s_delay_alu instid0(SALU_CYCLE_1) | instskip(NEXT) | instid1(SALU_CYCLE_1)
	s_or_b32 s27, s2, s27
	s_and_not1_b32 exec_lo, exec_lo, s27
	s_cbranch_execz .LBB479_78
.LBB479_76:                             ; =>This Inner Loop Header: Depth=1
	s_or_b32 s31, s31, exec_lo
	s_cmp_eq_u64 s[6:7], s[18:19]
	s_cbranch_scc0 .LBB479_74
; %bb.77:                               ;   in Loop: Header=BB479_76 Depth=1
	s_mov_b64 s[18:19], s[22:23]
                                        ; implicit-def: $vgpr35_vgpr36
                                        ; implicit-def: $vgpr37_vgpr38
	s_branch .LBB479_75
.LBB479_78:
	s_set_inst_prefetch_distance 0x2
	s_or_b32 exec_lo, exec_lo, s27
	v_cmp_gt_i64_e32 vcc_lo, s[22:23], v[39:40]
	s_or_not1_b32 s27, vcc_lo, exec_lo
.LBB479_79:
	s_or_b32 exec_lo, exec_lo, s30
.LBB479_80:
	v_mul_lo_u32 v37, v26, s22
	v_mul_lo_u32 v38, v25, s23
	v_mad_u64_u32 v[35:36], null, v25, s22, 0
	s_mov_b32 s30, 0
	s_and_not1_b32 vcc_lo, exec_lo, s25
	s_mov_b32 s31, 0
	s_delay_alu instid0(VALU_DEP_1) | instskip(NEXT) | instid1(VALU_DEP_1)
	v_add3_u32 v36, v36, v38, v37
	v_lshlrev_b64 v[37:38], 2, v[35:36]
	s_cbranch_vccnz .LBB479_89
; %bb.81:
	s_delay_alu instid0(VALU_DEP_1) | instskip(NEXT) | instid1(VALU_DEP_2)
	v_add_co_u32 v35, vcc_lo, s8, v37
	v_add_co_ci_u32_e32 v36, vcc_lo, s9, v38, vcc_lo
	v_add_co_u32 v33, vcc_lo, s8, v33
	v_add_co_ci_u32_e32 v34, vcc_lo, s9, v34, vcc_lo
	s_mov_b32 s31, -1
	s_clause 0x1
	global_load_b32 v39, v[35:36], off
	global_load_b32 v40, v[33:34], off
	s_mov_b32 s33, exec_lo
	s_waitcnt vmcnt(0)
	v_cmpx_eq_u32_e64 v39, v40
	s_cbranch_execz .LBB479_88
; %bb.82:
	v_add_co_u32 v33, vcc_lo, v33, 4
	v_add_co_ci_u32_e32 v34, vcc_lo, 0, v34, vcc_lo
	v_add_co_u32 v35, vcc_lo, v35, 4
	v_add_co_ci_u32_e32 v36, vcc_lo, 0, v36, vcc_lo
	s_add_u32 s6, s22, -1
	s_addc_u32 s7, s23, -1
	s_mov_b64 s[18:19], 0
	s_mov_b32 s31, 0
                                        ; implicit-def: $sgpr34
	s_set_inst_prefetch_distance 0x1
	s_branch .LBB479_85
	.p2align	6
.LBB479_83:                             ;   in Loop: Header=BB479_85 Depth=1
	global_load_b32 v39, v[35:36], off
	global_load_b32 v40, v[33:34], off
	v_add_co_u32 v33, vcc_lo, v33, 4
	v_add_co_ci_u32_e32 v34, vcc_lo, 0, v34, vcc_lo
	v_add_co_u32 v35, s2, v35, 4
	s_delay_alu instid0(VALU_DEP_1)
	v_add_co_ci_u32_e64 v36, s2, 0, v36, s2
	s_add_u32 s18, s18, 1
	s_addc_u32 s19, s19, 0
	s_and_not1_b32 s2, s34, exec_lo
	s_waitcnt vmcnt(0)
	v_cmp_ne_u32_e32 vcc_lo, v39, v40
	s_and_b32 s34, vcc_lo, exec_lo
	s_delay_alu instid0(SALU_CYCLE_1)
	s_or_b32 s34, s2, s34
.LBB479_84:                             ;   in Loop: Header=BB479_85 Depth=1
	v_dual_mov_b32 v40, s19 :: v_dual_mov_b32 v39, s18
	s_and_b32 s2, exec_lo, s34
	s_delay_alu instid0(SALU_CYCLE_1) | instskip(NEXT) | instid1(SALU_CYCLE_1)
	s_or_b32 s31, s2, s31
	s_and_not1_b32 exec_lo, exec_lo, s31
	s_cbranch_execz .LBB479_87
.LBB479_85:                             ; =>This Inner Loop Header: Depth=1
	s_or_b32 s34, s34, exec_lo
	s_cmp_eq_u64 s[6:7], s[18:19]
	s_cbranch_scc0 .LBB479_83
; %bb.86:                               ;   in Loop: Header=BB479_85 Depth=1
	s_mov_b64 s[18:19], s[22:23]
                                        ; implicit-def: $vgpr33_vgpr34
                                        ; implicit-def: $vgpr35_vgpr36
	s_branch .LBB479_84
.LBB479_87:
	s_set_inst_prefetch_distance 0x2
	s_or_b32 exec_lo, exec_lo, s31
	v_cmp_gt_i64_e32 vcc_lo, s[22:23], v[39:40]
	s_or_not1_b32 s31, vcc_lo, exec_lo
.LBB479_88:
	s_or_b32 exec_lo, exec_lo, s33
.LBB479_89:
	v_mul_lo_u32 v35, v32, s22
	v_mul_lo_u32 v36, v31, s23
	v_mad_u64_u32 v[33:34], null, v31, s22, 0
	s_and_not1_b32 vcc_lo, exec_lo, s25
	s_delay_alu instid0(VALU_DEP_1) | instskip(NEXT) | instid1(VALU_DEP_1)
	v_add3_u32 v34, v34, v36, v35
	v_lshlrev_b64 v[35:36], 2, v[33:34]
	s_cbranch_vccnz .LBB479_98
; %bb.90:
	s_delay_alu instid0(VALU_DEP_1) | instskip(NEXT) | instid1(VALU_DEP_2)
	v_add_co_u32 v39, vcc_lo, s8, v35
	v_add_co_ci_u32_e32 v40, vcc_lo, s9, v36, vcc_lo
	v_add_co_u32 v33, vcc_lo, s8, v37
	v_add_co_ci_u32_e32 v34, vcc_lo, s9, v38, vcc_lo
	s_mov_b32 s30, -1
	s_clause 0x1
	global_load_b32 v37, v[39:40], off
	global_load_b32 v38, v[33:34], off
	s_mov_b32 s33, exec_lo
	s_waitcnt vmcnt(0)
	v_cmpx_eq_u32_e64 v37, v38
	s_cbranch_execz .LBB479_97
; %bb.91:
	v_add_co_u32 v33, vcc_lo, v33, 4
	v_add_co_ci_u32_e32 v34, vcc_lo, 0, v34, vcc_lo
	v_add_co_u32 v37, vcc_lo, v39, 4
	v_add_co_ci_u32_e32 v38, vcc_lo, 0, v40, vcc_lo
	s_add_u32 s6, s22, -1
	s_addc_u32 s7, s23, -1
	s_mov_b64 s[18:19], 0
	s_mov_b32 s30, 0
                                        ; implicit-def: $sgpr34
	s_set_inst_prefetch_distance 0x1
	s_branch .LBB479_94
	.p2align	6
.LBB479_92:                             ;   in Loop: Header=BB479_94 Depth=1
	global_load_b32 v39, v[37:38], off
	global_load_b32 v40, v[33:34], off
	v_add_co_u32 v33, vcc_lo, v33, 4
	v_add_co_ci_u32_e32 v34, vcc_lo, 0, v34, vcc_lo
	v_add_co_u32 v37, s2, v37, 4
	s_delay_alu instid0(VALU_DEP_1)
	v_add_co_ci_u32_e64 v38, s2, 0, v38, s2
	s_add_u32 s18, s18, 1
	s_addc_u32 s19, s19, 0
	s_and_not1_b32 s2, s34, exec_lo
	s_waitcnt vmcnt(0)
	v_cmp_ne_u32_e32 vcc_lo, v39, v40
	s_and_b32 s34, vcc_lo, exec_lo
	s_delay_alu instid0(SALU_CYCLE_1)
	s_or_b32 s34, s2, s34
.LBB479_93:                             ;   in Loop: Header=BB479_94 Depth=1
	v_dual_mov_b32 v40, s19 :: v_dual_mov_b32 v39, s18
	s_and_b32 s2, exec_lo, s34
	s_delay_alu instid0(SALU_CYCLE_1) | instskip(NEXT) | instid1(SALU_CYCLE_1)
	s_or_b32 s30, s2, s30
	s_and_not1_b32 exec_lo, exec_lo, s30
	s_cbranch_execz .LBB479_96
.LBB479_94:                             ; =>This Inner Loop Header: Depth=1
	s_or_b32 s34, s34, exec_lo
	s_cmp_eq_u64 s[6:7], s[18:19]
	s_cbranch_scc0 .LBB479_92
; %bb.95:                               ;   in Loop: Header=BB479_94 Depth=1
	s_mov_b64 s[18:19], s[22:23]
                                        ; implicit-def: $vgpr33_vgpr34
                                        ; implicit-def: $vgpr37_vgpr38
	s_branch .LBB479_93
.LBB479_96:
	s_set_inst_prefetch_distance 0x2
	s_or_b32 exec_lo, exec_lo, s30
	v_cmp_gt_i64_e32 vcc_lo, s[22:23], v[39:40]
	s_or_not1_b32 s30, vcc_lo, exec_lo
.LBB479_97:
	s_or_b32 exec_lo, exec_lo, s33
.LBB479_98:
	v_mul_lo_u32 v37, v30, s22
	v_mul_lo_u32 v38, v29, s23
	v_mad_u64_u32 v[33:34], null, v29, s22, 0
	s_and_not1_b32 vcc_lo, exec_lo, s25
	s_mov_b32 s2, 0
	s_delay_alu instid0(VALU_DEP_1) | instskip(NEXT) | instid1(VALU_DEP_1)
	v_add3_u32 v34, v34, v38, v37
	v_lshlrev_b64 v[33:34], 2, v[33:34]
	s_cbranch_vccnz .LBB479_107
; %bb.99:
	s_delay_alu instid0(VALU_DEP_1) | instskip(NEXT) | instid1(VALU_DEP_2)
	v_add_co_u32 v37, vcc_lo, s8, v33
	v_add_co_ci_u32_e32 v38, vcc_lo, s9, v34, vcc_lo
	v_add_co_u32 v35, vcc_lo, s8, v35
	v_add_co_ci_u32_e32 v36, vcc_lo, s9, v36, vcc_lo
	s_mov_b32 s2, -1
	s_clause 0x1
	global_load_b32 v39, v[37:38], off
	global_load_b32 v40, v[35:36], off
	s_mov_b32 s33, exec_lo
	s_waitcnt vmcnt(0)
	v_cmpx_eq_u32_e64 v39, v40
	s_cbranch_execz .LBB479_106
; %bb.100:
	v_add_co_u32 v35, vcc_lo, v35, 4
	v_add_co_ci_u32_e32 v36, vcc_lo, 0, v36, vcc_lo
	v_add_co_u32 v37, vcc_lo, v37, 4
	v_add_co_ci_u32_e32 v38, vcc_lo, 0, v38, vcc_lo
	s_add_u32 s6, s22, -1
	s_addc_u32 s7, s23, -1
	s_mov_b64 s[18:19], 0
	s_mov_b32 s34, 0
                                        ; implicit-def: $sgpr35
	s_set_inst_prefetch_distance 0x1
	s_branch .LBB479_103
	.p2align	6
.LBB479_101:                            ;   in Loop: Header=BB479_103 Depth=1
	global_load_b32 v39, v[37:38], off
	global_load_b32 v40, v[35:36], off
	v_add_co_u32 v35, vcc_lo, v35, 4
	v_add_co_ci_u32_e32 v36, vcc_lo, 0, v36, vcc_lo
	v_add_co_u32 v37, s2, v37, 4
	s_delay_alu instid0(VALU_DEP_1)
	v_add_co_ci_u32_e64 v38, s2, 0, v38, s2
	s_add_u32 s18, s18, 1
	s_addc_u32 s19, s19, 0
	s_and_not1_b32 s2, s35, exec_lo
	s_waitcnt vmcnt(0)
	v_cmp_ne_u32_e32 vcc_lo, v39, v40
	s_and_b32 s35, vcc_lo, exec_lo
	s_delay_alu instid0(SALU_CYCLE_1)
	s_or_b32 s35, s2, s35
.LBB479_102:                            ;   in Loop: Header=BB479_103 Depth=1
	v_dual_mov_b32 v40, s19 :: v_dual_mov_b32 v39, s18
	s_and_b32 s2, exec_lo, s35
	s_delay_alu instid0(SALU_CYCLE_1) | instskip(NEXT) | instid1(SALU_CYCLE_1)
	s_or_b32 s34, s2, s34
	s_and_not1_b32 exec_lo, exec_lo, s34
	s_cbranch_execz .LBB479_105
.LBB479_103:                            ; =>This Inner Loop Header: Depth=1
	s_or_b32 s35, s35, exec_lo
	s_cmp_eq_u64 s[6:7], s[18:19]
	s_cbranch_scc0 .LBB479_101
; %bb.104:                              ;   in Loop: Header=BB479_103 Depth=1
	s_mov_b64 s[18:19], s[22:23]
                                        ; implicit-def: $vgpr35_vgpr36
                                        ; implicit-def: $vgpr37_vgpr38
	s_branch .LBB479_102
.LBB479_105:
	s_set_inst_prefetch_distance 0x2
	s_or_b32 exec_lo, exec_lo, s34
	v_cmp_gt_i64_e32 vcc_lo, s[22:23], v[39:40]
	s_or_not1_b32 s2, vcc_lo, exec_lo
.LBB479_106:
	s_or_b32 exec_lo, exec_lo, s33
.LBB479_107:
	s_waitcnt lgkmcnt(0)
	v_dual_mov_b32 v36, s5 :: v_dual_mov_b32 v35, s4
	s_mov_b32 s6, exec_lo
	s_barrier
	buffer_gl0_inv
	v_cmpx_ne_u32_e32 0, v0
	s_cbranch_execz .LBB479_109
; %bb.108:
	v_add_nc_u32_e32 v35, -8, v55
	ds_load_b64 v[35:36], v35
.LBB479_109:
	s_or_b32 exec_lo, exec_lo, s6
	v_cndmask_b32_e64 v38, 0, 1, s31
	v_cndmask_b32_e64 v40, 0, 1, s29
	;; [unrolled: 1-line block ×7, first 2 shown]
	v_lshlrev_b16 v38, 8, v38
	v_lshlrev_b16 v40, 8, v40
	;; [unrolled: 1-line block ×4, first 2 shown]
	s_mov_b32 s3, 0
	v_or_b32_e32 v37, v37, v38
	v_or_b32_e32 v38, v39, v40
	;; [unrolled: 1-line block ×3, first 2 shown]
	v_and_b32_e32 v39, 0xffff, v43
	s_and_not1_b32 vcc_lo, exec_lo, s25
	v_lshlrev_b32_e32 v40, 16, v37
	v_and_b32_e32 v42, 0xffff, v38
	v_lshlrev_b32_e32 v43, 16, v44
	s_mov_b32 s2, 0
	s_cbranch_vccnz .LBB479_118
; %bb.110:
	s_waitcnt lgkmcnt(0)
	v_mul_lo_u32 v38, v36, s22
	v_mul_lo_u32 v44, v35, s23
	v_mad_u64_u32 v[36:37], null, v35, s22, 0
	s_mov_b32 s2, -1
	s_mov_b32 s26, exec_lo
	s_delay_alu instid0(VALU_DEP_1) | instskip(NEXT) | instid1(VALU_DEP_1)
	v_add3_u32 v37, v37, v44, v38
	v_lshlrev_b64 v[35:36], 2, v[36:37]
	s_delay_alu instid0(VALU_DEP_1) | instskip(NEXT) | instid1(VALU_DEP_2)
	v_add_co_u32 v35, vcc_lo, s8, v35
	v_add_co_ci_u32_e32 v36, vcc_lo, s9, v36, vcc_lo
	v_add_co_u32 v33, vcc_lo, s8, v33
	v_add_co_ci_u32_e32 v34, vcc_lo, s9, v34, vcc_lo
	s_clause 0x1
	global_load_b32 v37, v[35:36], off
	global_load_b32 v38, v[33:34], off
	s_waitcnt vmcnt(0)
	v_cmpx_eq_u32_e64 v37, v38
	s_cbranch_execz .LBB479_117
; %bb.111:
	v_add_co_u32 v33, vcc_lo, v33, 4
	v_add_co_ci_u32_e32 v34, vcc_lo, 0, v34, vcc_lo
	v_add_co_u32 v35, vcc_lo, v35, 4
	v_add_co_ci_u32_e32 v36, vcc_lo, 0, v36, vcc_lo
	s_add_u32 s6, s22, -1
	s_addc_u32 s7, s23, -1
	s_mov_b64 s[18:19], 0
	s_mov_b32 s27, 0
                                        ; implicit-def: $sgpr29
	s_set_inst_prefetch_distance 0x1
	s_branch .LBB479_114
	.p2align	6
.LBB479_112:                            ;   in Loop: Header=BB479_114 Depth=1
	global_load_b32 v37, v[35:36], off
	global_load_b32 v38, v[33:34], off
	v_add_co_u32 v33, vcc_lo, v33, 4
	v_add_co_ci_u32_e32 v34, vcc_lo, 0, v34, vcc_lo
	v_add_co_u32 v35, s2, v35, 4
	s_delay_alu instid0(VALU_DEP_1)
	v_add_co_ci_u32_e64 v36, s2, 0, v36, s2
	s_add_u32 s18, s18, 1
	s_addc_u32 s19, s19, 0
	s_and_not1_b32 s2, s29, exec_lo
	s_waitcnt vmcnt(0)
	v_cmp_ne_u32_e32 vcc_lo, v37, v38
	s_and_b32 s29, vcc_lo, exec_lo
	s_delay_alu instid0(SALU_CYCLE_1)
	s_or_b32 s29, s2, s29
.LBB479_113:                            ;   in Loop: Header=BB479_114 Depth=1
	v_dual_mov_b32 v38, s19 :: v_dual_mov_b32 v37, s18
	s_and_b32 s2, exec_lo, s29
	s_delay_alu instid0(SALU_CYCLE_1) | instskip(NEXT) | instid1(SALU_CYCLE_1)
	s_or_b32 s27, s2, s27
	s_and_not1_b32 exec_lo, exec_lo, s27
	s_cbranch_execz .LBB479_116
.LBB479_114:                            ; =>This Inner Loop Header: Depth=1
	s_or_b32 s29, s29, exec_lo
	s_cmp_eq_u64 s[6:7], s[18:19]
	s_cbranch_scc0 .LBB479_112
; %bb.115:                              ;   in Loop: Header=BB479_114 Depth=1
	s_mov_b64 s[18:19], s[22:23]
                                        ; implicit-def: $vgpr33_vgpr34
                                        ; implicit-def: $vgpr35_vgpr36
	s_branch .LBB479_113
.LBB479_116:
	s_set_inst_prefetch_distance 0x2
	s_or_b32 exec_lo, exec_lo, s27
	v_cmp_gt_i64_e32 vcc_lo, s[22:23], v[37:38]
	s_or_not1_b32 s2, vcc_lo, exec_lo
.LBB479_117:
	s_or_b32 exec_lo, exec_lo, s26
.LBB479_118:
	v_or_b32_e32 v33, v39, v40
	s_delay_alu instid0(VALU_DEP_2)
	v_or_b32_e32 v34, v42, v43
	s_and_b32 vcc_lo, exec_lo, s3
	s_cbranch_vccz .LBB479_210
.LBB479_119:
	v_or_b32_e32 v33, 7, v55
	s_mov_b32 s3, 0
	s_mov_b32 s26, 0
	s_mov_b32 s27, exec_lo
	s_delay_alu instid0(VALU_DEP_1)
	v_cmpx_gt_u32_e64 s28, v33
	s_cbranch_execz .LBB479_130
; %bb.120:
	s_and_not1_b32 vcc_lo, exec_lo, s25
	s_mov_b32 s2, 0
	s_cbranch_vccnz .LBB479_129
; %bb.121:
	v_mul_lo_u32 v37, v18, s22
	v_mul_lo_u32 v38, v17, s23
	v_mad_u64_u32 v[33:34], null, v17, s22, 0
	v_mul_lo_u32 v39, v20, s22
	v_mul_lo_u32 v40, v19, s23
	s_waitcnt lgkmcnt(0)
	v_mad_u64_u32 v[35:36], null, v19, s22, 0
	s_mov_b32 s2, -1
	s_mov_b32 s25, exec_lo
	s_delay_alu instid0(VALU_DEP_4) | instskip(NEXT) | instid1(VALU_DEP_2)
	v_add3_u32 v34, v34, v38, v37
	v_add3_u32 v36, v36, v40, v39
	s_delay_alu instid0(VALU_DEP_2) | instskip(NEXT) | instid1(VALU_DEP_2)
	v_lshlrev_b64 v[33:34], 2, v[33:34]
	v_lshlrev_b64 v[37:38], 2, v[35:36]
	s_delay_alu instid0(VALU_DEP_2) | instskip(NEXT) | instid1(VALU_DEP_3)
	v_add_co_u32 v35, vcc_lo, s8, v33
	v_add_co_ci_u32_e32 v36, vcc_lo, s9, v34, vcc_lo
	s_delay_alu instid0(VALU_DEP_3) | instskip(NEXT) | instid1(VALU_DEP_4)
	v_add_co_u32 v33, vcc_lo, s8, v37
	v_add_co_ci_u32_e32 v34, vcc_lo, s9, v38, vcc_lo
	s_clause 0x1
	global_load_b32 v37, v[35:36], off
	global_load_b32 v38, v[33:34], off
	s_waitcnt vmcnt(0)
	v_cmpx_eq_u32_e64 v37, v38
	s_cbranch_execz .LBB479_128
; %bb.122:
	v_add_co_u32 v33, vcc_lo, v33, 4
	v_add_co_ci_u32_e32 v34, vcc_lo, 0, v34, vcc_lo
	v_add_co_u32 v35, vcc_lo, v35, 4
	v_add_co_ci_u32_e32 v36, vcc_lo, 0, v36, vcc_lo
	s_add_u32 s6, s22, -1
	s_addc_u32 s7, s23, -1
	s_mov_b64 s[18:19], 0
                                        ; implicit-def: $sgpr29
	s_set_inst_prefetch_distance 0x1
	s_branch .LBB479_125
	.p2align	6
.LBB479_123:                            ;   in Loop: Header=BB479_125 Depth=1
	global_load_b32 v37, v[35:36], off
	global_load_b32 v38, v[33:34], off
	v_add_co_u32 v33, vcc_lo, v33, 4
	v_add_co_ci_u32_e32 v34, vcc_lo, 0, v34, vcc_lo
	v_add_co_u32 v35, s2, v35, 4
	s_delay_alu instid0(VALU_DEP_1)
	v_add_co_ci_u32_e64 v36, s2, 0, v36, s2
	s_add_u32 s18, s18, 1
	s_addc_u32 s19, s19, 0
	s_and_not1_b32 s2, s29, exec_lo
	s_waitcnt vmcnt(0)
	v_cmp_ne_u32_e32 vcc_lo, v37, v38
	s_and_b32 s29, vcc_lo, exec_lo
	s_delay_alu instid0(SALU_CYCLE_1)
	s_or_b32 s29, s2, s29
.LBB479_124:                            ;   in Loop: Header=BB479_125 Depth=1
	v_dual_mov_b32 v38, s19 :: v_dual_mov_b32 v37, s18
	s_and_b32 s2, exec_lo, s29
	s_delay_alu instid0(SALU_CYCLE_1) | instskip(NEXT) | instid1(SALU_CYCLE_1)
	s_or_b32 s26, s2, s26
	s_and_not1_b32 exec_lo, exec_lo, s26
	s_cbranch_execz .LBB479_127
.LBB479_125:                            ; =>This Inner Loop Header: Depth=1
	s_or_b32 s29, s29, exec_lo
	s_cmp_eq_u64 s[6:7], s[18:19]
	s_cbranch_scc0 .LBB479_123
; %bb.126:                              ;   in Loop: Header=BB479_125 Depth=1
	s_mov_b64 s[18:19], s[22:23]
                                        ; implicit-def: $vgpr33_vgpr34
                                        ; implicit-def: $vgpr35_vgpr36
	s_branch .LBB479_124
.LBB479_127:
	s_set_inst_prefetch_distance 0x2
	s_or_b32 exec_lo, exec_lo, s26
	v_cmp_gt_i64_e32 vcc_lo, s[22:23], v[37:38]
	s_or_not1_b32 s2, vcc_lo, exec_lo
.LBB479_128:
	s_or_b32 exec_lo, exec_lo, s25
.LBB479_129:
	s_delay_alu instid0(SALU_CYCLE_1)
	s_and_b32 s26, s2, exec_lo
.LBB479_130:
	s_or_b32 exec_lo, exec_lo, s27
	v_or_b32_e32 v33, 6, v55
	s_mov_b32 s25, exec_lo
	s_delay_alu instid0(VALU_DEP_1)
	v_cmpx_gt_u32_e64 s28, v33
	s_cbranch_execz .LBB479_141
; %bb.131:
	v_cmp_ne_u32_e32 vcc_lo, 1, v41
	s_mov_b32 s2, 0
	s_cbranch_vccnz .LBB479_140
; %bb.132:
	v_mul_lo_u32 v37, v24, s22
	v_mul_lo_u32 v38, v23, s23
	v_mad_u64_u32 v[33:34], null, v23, s22, 0
	v_mul_lo_u32 v39, v18, s22
	v_mul_lo_u32 v40, v17, s23
	s_waitcnt lgkmcnt(0)
	v_mad_u64_u32 v[35:36], null, v17, s22, 0
	s_mov_b32 s2, -1
	s_mov_b32 s3, exec_lo
	s_delay_alu instid0(VALU_DEP_4) | instskip(NEXT) | instid1(VALU_DEP_2)
	v_add3_u32 v34, v34, v38, v37
	v_add3_u32 v36, v36, v40, v39
	s_delay_alu instid0(VALU_DEP_2) | instskip(NEXT) | instid1(VALU_DEP_2)
	v_lshlrev_b64 v[33:34], 2, v[33:34]
	v_lshlrev_b64 v[37:38], 2, v[35:36]
	s_delay_alu instid0(VALU_DEP_2) | instskip(NEXT) | instid1(VALU_DEP_3)
	v_add_co_u32 v35, vcc_lo, s8, v33
	v_add_co_ci_u32_e32 v36, vcc_lo, s9, v34, vcc_lo
	s_delay_alu instid0(VALU_DEP_3) | instskip(NEXT) | instid1(VALU_DEP_4)
	v_add_co_u32 v33, vcc_lo, s8, v37
	v_add_co_ci_u32_e32 v34, vcc_lo, s9, v38, vcc_lo
	s_clause 0x1
	global_load_b32 v37, v[35:36], off
	global_load_b32 v38, v[33:34], off
	s_waitcnt vmcnt(0)
	v_cmpx_eq_u32_e64 v37, v38
	s_cbranch_execz .LBB479_139
; %bb.133:
	v_add_co_u32 v33, vcc_lo, v33, 4
	v_add_co_ci_u32_e32 v34, vcc_lo, 0, v34, vcc_lo
	v_add_co_u32 v35, vcc_lo, v35, 4
	v_add_co_ci_u32_e32 v36, vcc_lo, 0, v36, vcc_lo
	s_add_u32 s6, s22, -1
	s_addc_u32 s7, s23, -1
	s_mov_b64 s[18:19], 0
	s_mov_b32 s27, 0
                                        ; implicit-def: $sgpr29
	s_set_inst_prefetch_distance 0x1
	s_branch .LBB479_136
	.p2align	6
.LBB479_134:                            ;   in Loop: Header=BB479_136 Depth=1
	global_load_b32 v37, v[35:36], off
	global_load_b32 v38, v[33:34], off
	v_add_co_u32 v33, vcc_lo, v33, 4
	v_add_co_ci_u32_e32 v34, vcc_lo, 0, v34, vcc_lo
	v_add_co_u32 v35, s2, v35, 4
	s_delay_alu instid0(VALU_DEP_1)
	v_add_co_ci_u32_e64 v36, s2, 0, v36, s2
	s_add_u32 s18, s18, 1
	s_addc_u32 s19, s19, 0
	s_and_not1_b32 s2, s29, exec_lo
	s_waitcnt vmcnt(0)
	v_cmp_ne_u32_e32 vcc_lo, v37, v38
	s_and_b32 s29, vcc_lo, exec_lo
	s_delay_alu instid0(SALU_CYCLE_1)
	s_or_b32 s29, s2, s29
.LBB479_135:                            ;   in Loop: Header=BB479_136 Depth=1
	v_dual_mov_b32 v38, s19 :: v_dual_mov_b32 v37, s18
	s_and_b32 s2, exec_lo, s29
	s_delay_alu instid0(SALU_CYCLE_1) | instskip(NEXT) | instid1(SALU_CYCLE_1)
	s_or_b32 s27, s2, s27
	s_and_not1_b32 exec_lo, exec_lo, s27
	s_cbranch_execz .LBB479_138
.LBB479_136:                            ; =>This Inner Loop Header: Depth=1
	s_or_b32 s29, s29, exec_lo
	s_cmp_eq_u64 s[6:7], s[18:19]
	s_cbranch_scc0 .LBB479_134
; %bb.137:                              ;   in Loop: Header=BB479_136 Depth=1
	s_mov_b64 s[18:19], s[22:23]
                                        ; implicit-def: $vgpr33_vgpr34
                                        ; implicit-def: $vgpr35_vgpr36
	s_branch .LBB479_135
.LBB479_138:
	s_set_inst_prefetch_distance 0x2
	s_or_b32 exec_lo, exec_lo, s27
	v_cmp_gt_i64_e32 vcc_lo, s[22:23], v[37:38]
	s_or_not1_b32 s2, vcc_lo, exec_lo
.LBB479_139:
	s_or_b32 exec_lo, exec_lo, s3
.LBB479_140:
	s_delay_alu instid0(SALU_CYCLE_1)
	s_and_b32 s3, s2, exec_lo
.LBB479_141:
	s_or_b32 exec_lo, exec_lo, s25
	v_or_b32_e32 v33, 5, v55
	s_mov_b32 s27, 0
	s_mov_b32 s25, 0
	s_mov_b32 s29, exec_lo
	s_delay_alu instid0(VALU_DEP_1)
	v_cmpx_gt_u32_e64 s28, v33
	s_cbranch_execz .LBB479_152
; %bb.142:
	v_cmp_ne_u32_e32 vcc_lo, 1, v41
	s_mov_b32 s2, 0
	s_cbranch_vccnz .LBB479_151
; %bb.143:
	v_mul_lo_u32 v37, v22, s22
	v_mul_lo_u32 v38, v21, s23
	v_mad_u64_u32 v[33:34], null, v21, s22, 0
	v_mul_lo_u32 v39, v24, s22
	v_mul_lo_u32 v40, v23, s23
	s_waitcnt lgkmcnt(0)
	v_mad_u64_u32 v[35:36], null, v23, s22, 0
	s_mov_b32 s2, -1
	s_mov_b32 s25, exec_lo
	s_delay_alu instid0(VALU_DEP_4) | instskip(NEXT) | instid1(VALU_DEP_2)
	v_add3_u32 v34, v34, v38, v37
	v_add3_u32 v36, v36, v40, v39
	s_delay_alu instid0(VALU_DEP_2) | instskip(NEXT) | instid1(VALU_DEP_2)
	v_lshlrev_b64 v[33:34], 2, v[33:34]
	v_lshlrev_b64 v[37:38], 2, v[35:36]
	s_delay_alu instid0(VALU_DEP_2) | instskip(NEXT) | instid1(VALU_DEP_3)
	v_add_co_u32 v35, vcc_lo, s8, v33
	v_add_co_ci_u32_e32 v36, vcc_lo, s9, v34, vcc_lo
	s_delay_alu instid0(VALU_DEP_3) | instskip(NEXT) | instid1(VALU_DEP_4)
	v_add_co_u32 v33, vcc_lo, s8, v37
	v_add_co_ci_u32_e32 v34, vcc_lo, s9, v38, vcc_lo
	s_clause 0x1
	global_load_b32 v37, v[35:36], off
	global_load_b32 v38, v[33:34], off
	s_waitcnt vmcnt(0)
	v_cmpx_eq_u32_e64 v37, v38
	s_cbranch_execz .LBB479_150
; %bb.144:
	v_add_co_u32 v33, vcc_lo, v33, 4
	v_add_co_ci_u32_e32 v34, vcc_lo, 0, v34, vcc_lo
	v_add_co_u32 v35, vcc_lo, v35, 4
	v_add_co_ci_u32_e32 v36, vcc_lo, 0, v36, vcc_lo
	s_add_u32 s6, s22, -1
	s_addc_u32 s7, s23, -1
	s_mov_b64 s[18:19], 0
	s_mov_b32 s30, 0
                                        ; implicit-def: $sgpr31
	s_set_inst_prefetch_distance 0x1
	s_branch .LBB479_147
	.p2align	6
.LBB479_145:                            ;   in Loop: Header=BB479_147 Depth=1
	global_load_b32 v37, v[35:36], off
	global_load_b32 v38, v[33:34], off
	v_add_co_u32 v33, vcc_lo, v33, 4
	v_add_co_ci_u32_e32 v34, vcc_lo, 0, v34, vcc_lo
	v_add_co_u32 v35, s2, v35, 4
	s_delay_alu instid0(VALU_DEP_1)
	v_add_co_ci_u32_e64 v36, s2, 0, v36, s2
	s_add_u32 s18, s18, 1
	s_addc_u32 s19, s19, 0
	s_and_not1_b32 s2, s31, exec_lo
	s_waitcnt vmcnt(0)
	v_cmp_ne_u32_e32 vcc_lo, v37, v38
	s_and_b32 s31, vcc_lo, exec_lo
	s_delay_alu instid0(SALU_CYCLE_1)
	s_or_b32 s31, s2, s31
.LBB479_146:                            ;   in Loop: Header=BB479_147 Depth=1
	v_dual_mov_b32 v38, s19 :: v_dual_mov_b32 v37, s18
	s_and_b32 s2, exec_lo, s31
	s_delay_alu instid0(SALU_CYCLE_1) | instskip(NEXT) | instid1(SALU_CYCLE_1)
	s_or_b32 s30, s2, s30
	s_and_not1_b32 exec_lo, exec_lo, s30
	s_cbranch_execz .LBB479_149
.LBB479_147:                            ; =>This Inner Loop Header: Depth=1
	s_or_b32 s31, s31, exec_lo
	s_cmp_eq_u64 s[6:7], s[18:19]
	s_cbranch_scc0 .LBB479_145
; %bb.148:                              ;   in Loop: Header=BB479_147 Depth=1
	s_mov_b64 s[18:19], s[22:23]
                                        ; implicit-def: $vgpr33_vgpr34
                                        ; implicit-def: $vgpr35_vgpr36
	s_branch .LBB479_146
.LBB479_149:
	s_set_inst_prefetch_distance 0x2
	s_or_b32 exec_lo, exec_lo, s30
	v_cmp_gt_i64_e32 vcc_lo, s[22:23], v[37:38]
	s_or_not1_b32 s2, vcc_lo, exec_lo
.LBB479_150:
	s_or_b32 exec_lo, exec_lo, s25
.LBB479_151:
	s_delay_alu instid0(SALU_CYCLE_1)
	s_and_b32 s25, s2, exec_lo
.LBB479_152:
	s_or_b32 exec_lo, exec_lo, s29
	v_or_b32_e32 v33, 4, v55
	s_mov_b32 s29, exec_lo
	s_delay_alu instid0(VALU_DEP_1)
	v_cmpx_gt_u32_e64 s28, v33
	s_cbranch_execz .LBB479_163
; %bb.153:
	v_cmp_ne_u32_e32 vcc_lo, 1, v41
	s_mov_b32 s2, 0
	s_cbranch_vccnz .LBB479_162
; %bb.154:
	v_mul_lo_u32 v37, v28, s22
	v_mul_lo_u32 v38, v27, s23
	v_mad_u64_u32 v[33:34], null, v27, s22, 0
	v_mul_lo_u32 v39, v22, s22
	v_mul_lo_u32 v40, v21, s23
	s_waitcnt lgkmcnt(0)
	v_mad_u64_u32 v[35:36], null, v21, s22, 0
	s_mov_b32 s2, -1
	s_mov_b32 s27, exec_lo
	s_delay_alu instid0(VALU_DEP_4) | instskip(NEXT) | instid1(VALU_DEP_2)
	v_add3_u32 v34, v34, v38, v37
	v_add3_u32 v36, v36, v40, v39
	s_delay_alu instid0(VALU_DEP_2) | instskip(NEXT) | instid1(VALU_DEP_2)
	v_lshlrev_b64 v[33:34], 2, v[33:34]
	v_lshlrev_b64 v[37:38], 2, v[35:36]
	s_delay_alu instid0(VALU_DEP_2) | instskip(NEXT) | instid1(VALU_DEP_3)
	v_add_co_u32 v35, vcc_lo, s8, v33
	v_add_co_ci_u32_e32 v36, vcc_lo, s9, v34, vcc_lo
	s_delay_alu instid0(VALU_DEP_3) | instskip(NEXT) | instid1(VALU_DEP_4)
	v_add_co_u32 v33, vcc_lo, s8, v37
	v_add_co_ci_u32_e32 v34, vcc_lo, s9, v38, vcc_lo
	s_clause 0x1
	global_load_b32 v37, v[35:36], off
	global_load_b32 v38, v[33:34], off
	s_waitcnt vmcnt(0)
	v_cmpx_eq_u32_e64 v37, v38
	s_cbranch_execz .LBB479_161
; %bb.155:
	v_add_co_u32 v33, vcc_lo, v33, 4
	v_add_co_ci_u32_e32 v34, vcc_lo, 0, v34, vcc_lo
	v_add_co_u32 v35, vcc_lo, v35, 4
	v_add_co_ci_u32_e32 v36, vcc_lo, 0, v36, vcc_lo
	s_add_u32 s6, s22, -1
	s_addc_u32 s7, s23, -1
	s_mov_b64 s[18:19], 0
	s_mov_b32 s30, 0
                                        ; implicit-def: $sgpr31
	s_set_inst_prefetch_distance 0x1
	s_branch .LBB479_158
	.p2align	6
.LBB479_156:                            ;   in Loop: Header=BB479_158 Depth=1
	global_load_b32 v37, v[35:36], off
	global_load_b32 v38, v[33:34], off
	v_add_co_u32 v33, vcc_lo, v33, 4
	v_add_co_ci_u32_e32 v34, vcc_lo, 0, v34, vcc_lo
	v_add_co_u32 v35, s2, v35, 4
	s_delay_alu instid0(VALU_DEP_1)
	v_add_co_ci_u32_e64 v36, s2, 0, v36, s2
	s_add_u32 s18, s18, 1
	s_addc_u32 s19, s19, 0
	s_and_not1_b32 s2, s31, exec_lo
	s_waitcnt vmcnt(0)
	v_cmp_ne_u32_e32 vcc_lo, v37, v38
	s_and_b32 s31, vcc_lo, exec_lo
	s_delay_alu instid0(SALU_CYCLE_1)
	s_or_b32 s31, s2, s31
.LBB479_157:                            ;   in Loop: Header=BB479_158 Depth=1
	v_dual_mov_b32 v38, s19 :: v_dual_mov_b32 v37, s18
	s_and_b32 s2, exec_lo, s31
	s_delay_alu instid0(SALU_CYCLE_1) | instskip(NEXT) | instid1(SALU_CYCLE_1)
	s_or_b32 s30, s2, s30
	s_and_not1_b32 exec_lo, exec_lo, s30
	s_cbranch_execz .LBB479_160
.LBB479_158:                            ; =>This Inner Loop Header: Depth=1
	s_or_b32 s31, s31, exec_lo
	s_cmp_eq_u64 s[6:7], s[18:19]
	s_cbranch_scc0 .LBB479_156
; %bb.159:                              ;   in Loop: Header=BB479_158 Depth=1
	s_mov_b64 s[18:19], s[22:23]
                                        ; implicit-def: $vgpr33_vgpr34
                                        ; implicit-def: $vgpr35_vgpr36
	s_branch .LBB479_157
.LBB479_160:
	s_set_inst_prefetch_distance 0x2
	s_or_b32 exec_lo, exec_lo, s30
	v_cmp_gt_i64_e32 vcc_lo, s[22:23], v[37:38]
	s_or_not1_b32 s2, vcc_lo, exec_lo
.LBB479_161:
	s_or_b32 exec_lo, exec_lo, s27
.LBB479_162:
	s_delay_alu instid0(SALU_CYCLE_1)
	s_and_b32 s27, s2, exec_lo
.LBB479_163:
	s_or_b32 exec_lo, exec_lo, s29
	v_or_b32_e32 v33, 3, v55
	s_mov_b32 s30, 0
	s_mov_b32 s29, 0
	s_mov_b32 s31, exec_lo
	s_delay_alu instid0(VALU_DEP_1)
	v_cmpx_gt_u32_e64 s28, v33
	s_cbranch_execz .LBB479_174
; %bb.164:
	v_cmp_ne_u32_e32 vcc_lo, 1, v41
	s_mov_b32 s2, 0
	s_cbranch_vccnz .LBB479_173
; %bb.165:
	v_mul_lo_u32 v37, v26, s22
	v_mul_lo_u32 v38, v25, s23
	v_mad_u64_u32 v[33:34], null, v25, s22, 0
	v_mul_lo_u32 v39, v28, s22
	v_mul_lo_u32 v40, v27, s23
	s_waitcnt lgkmcnt(0)
	v_mad_u64_u32 v[35:36], null, v27, s22, 0
	s_mov_b32 s2, -1
	s_mov_b32 s29, exec_lo
	s_delay_alu instid0(VALU_DEP_4) | instskip(NEXT) | instid1(VALU_DEP_2)
	v_add3_u32 v34, v34, v38, v37
	v_add3_u32 v36, v36, v40, v39
	s_delay_alu instid0(VALU_DEP_2) | instskip(NEXT) | instid1(VALU_DEP_2)
	v_lshlrev_b64 v[33:34], 2, v[33:34]
	v_lshlrev_b64 v[37:38], 2, v[35:36]
	s_delay_alu instid0(VALU_DEP_2) | instskip(NEXT) | instid1(VALU_DEP_3)
	v_add_co_u32 v35, vcc_lo, s8, v33
	v_add_co_ci_u32_e32 v36, vcc_lo, s9, v34, vcc_lo
	s_delay_alu instid0(VALU_DEP_3) | instskip(NEXT) | instid1(VALU_DEP_4)
	v_add_co_u32 v33, vcc_lo, s8, v37
	v_add_co_ci_u32_e32 v34, vcc_lo, s9, v38, vcc_lo
	s_clause 0x1
	global_load_b32 v37, v[35:36], off
	global_load_b32 v38, v[33:34], off
	s_waitcnt vmcnt(0)
	v_cmpx_eq_u32_e64 v37, v38
	s_cbranch_execz .LBB479_172
; %bb.166:
	v_add_co_u32 v33, vcc_lo, v33, 4
	v_add_co_ci_u32_e32 v34, vcc_lo, 0, v34, vcc_lo
	v_add_co_u32 v35, vcc_lo, v35, 4
	v_add_co_ci_u32_e32 v36, vcc_lo, 0, v36, vcc_lo
	s_add_u32 s6, s22, -1
	s_addc_u32 s7, s23, -1
	s_mov_b64 s[18:19], 0
	s_mov_b32 s33, 0
                                        ; implicit-def: $sgpr34
	s_set_inst_prefetch_distance 0x1
	s_branch .LBB479_169
	.p2align	6
.LBB479_167:                            ;   in Loop: Header=BB479_169 Depth=1
	global_load_b32 v37, v[35:36], off
	global_load_b32 v38, v[33:34], off
	v_add_co_u32 v33, vcc_lo, v33, 4
	v_add_co_ci_u32_e32 v34, vcc_lo, 0, v34, vcc_lo
	v_add_co_u32 v35, s2, v35, 4
	s_delay_alu instid0(VALU_DEP_1)
	v_add_co_ci_u32_e64 v36, s2, 0, v36, s2
	s_add_u32 s18, s18, 1
	s_addc_u32 s19, s19, 0
	s_and_not1_b32 s2, s34, exec_lo
	s_waitcnt vmcnt(0)
	v_cmp_ne_u32_e32 vcc_lo, v37, v38
	s_and_b32 s34, vcc_lo, exec_lo
	s_delay_alu instid0(SALU_CYCLE_1)
	s_or_b32 s34, s2, s34
.LBB479_168:                            ;   in Loop: Header=BB479_169 Depth=1
	v_dual_mov_b32 v38, s19 :: v_dual_mov_b32 v37, s18
	s_and_b32 s2, exec_lo, s34
	s_delay_alu instid0(SALU_CYCLE_1) | instskip(NEXT) | instid1(SALU_CYCLE_1)
	s_or_b32 s33, s2, s33
	s_and_not1_b32 exec_lo, exec_lo, s33
	s_cbranch_execz .LBB479_171
.LBB479_169:                            ; =>This Inner Loop Header: Depth=1
	s_or_b32 s34, s34, exec_lo
	s_cmp_eq_u64 s[6:7], s[18:19]
	s_cbranch_scc0 .LBB479_167
; %bb.170:                              ;   in Loop: Header=BB479_169 Depth=1
	s_mov_b64 s[18:19], s[22:23]
                                        ; implicit-def: $vgpr33_vgpr34
                                        ; implicit-def: $vgpr35_vgpr36
	s_branch .LBB479_168
.LBB479_171:
	s_set_inst_prefetch_distance 0x2
	s_or_b32 exec_lo, exec_lo, s33
	v_cmp_gt_i64_e32 vcc_lo, s[22:23], v[37:38]
	s_or_not1_b32 s2, vcc_lo, exec_lo
.LBB479_172:
	s_or_b32 exec_lo, exec_lo, s29
.LBB479_173:
	s_delay_alu instid0(SALU_CYCLE_1)
	s_and_b32 s29, s2, exec_lo
.LBB479_174:
	s_or_b32 exec_lo, exec_lo, s31
	v_or_b32_e32 v33, 2, v55
	s_mov_b32 s31, exec_lo
	s_delay_alu instid0(VALU_DEP_1)
	v_cmpx_gt_u32_e64 s28, v33
	s_cbranch_execz .LBB479_185
; %bb.175:
	v_cmp_ne_u32_e32 vcc_lo, 1, v41
	s_mov_b32 s2, 0
	s_cbranch_vccnz .LBB479_184
; %bb.176:
	v_mul_lo_u32 v37, v32, s22
	v_mul_lo_u32 v38, v31, s23
	v_mad_u64_u32 v[33:34], null, v31, s22, 0
	v_mul_lo_u32 v39, v26, s22
	v_mul_lo_u32 v40, v25, s23
	s_waitcnt lgkmcnt(0)
	v_mad_u64_u32 v[35:36], null, v25, s22, 0
	s_mov_b32 s2, -1
	s_mov_b32 s30, exec_lo
	s_delay_alu instid0(VALU_DEP_4) | instskip(NEXT) | instid1(VALU_DEP_2)
	v_add3_u32 v34, v34, v38, v37
	v_add3_u32 v36, v36, v40, v39
	s_delay_alu instid0(VALU_DEP_2) | instskip(NEXT) | instid1(VALU_DEP_2)
	v_lshlrev_b64 v[33:34], 2, v[33:34]
	v_lshlrev_b64 v[37:38], 2, v[35:36]
	s_delay_alu instid0(VALU_DEP_2) | instskip(NEXT) | instid1(VALU_DEP_3)
	v_add_co_u32 v35, vcc_lo, s8, v33
	v_add_co_ci_u32_e32 v36, vcc_lo, s9, v34, vcc_lo
	s_delay_alu instid0(VALU_DEP_3) | instskip(NEXT) | instid1(VALU_DEP_4)
	v_add_co_u32 v33, vcc_lo, s8, v37
	v_add_co_ci_u32_e32 v34, vcc_lo, s9, v38, vcc_lo
	s_clause 0x1
	global_load_b32 v37, v[35:36], off
	global_load_b32 v38, v[33:34], off
	s_waitcnt vmcnt(0)
	v_cmpx_eq_u32_e64 v37, v38
	s_cbranch_execz .LBB479_183
; %bb.177:
	v_add_co_u32 v33, vcc_lo, v33, 4
	v_add_co_ci_u32_e32 v34, vcc_lo, 0, v34, vcc_lo
	v_add_co_u32 v35, vcc_lo, v35, 4
	v_add_co_ci_u32_e32 v36, vcc_lo, 0, v36, vcc_lo
	s_add_u32 s6, s22, -1
	s_addc_u32 s7, s23, -1
	s_mov_b64 s[18:19], 0
	s_mov_b32 s33, 0
                                        ; implicit-def: $sgpr34
	s_set_inst_prefetch_distance 0x1
	s_branch .LBB479_180
	.p2align	6
.LBB479_178:                            ;   in Loop: Header=BB479_180 Depth=1
	global_load_b32 v37, v[35:36], off
	global_load_b32 v38, v[33:34], off
	v_add_co_u32 v33, vcc_lo, v33, 4
	v_add_co_ci_u32_e32 v34, vcc_lo, 0, v34, vcc_lo
	v_add_co_u32 v35, s2, v35, 4
	s_delay_alu instid0(VALU_DEP_1)
	v_add_co_ci_u32_e64 v36, s2, 0, v36, s2
	s_add_u32 s18, s18, 1
	s_addc_u32 s19, s19, 0
	s_and_not1_b32 s2, s34, exec_lo
	s_waitcnt vmcnt(0)
	v_cmp_ne_u32_e32 vcc_lo, v37, v38
	s_and_b32 s34, vcc_lo, exec_lo
	s_delay_alu instid0(SALU_CYCLE_1)
	s_or_b32 s34, s2, s34
.LBB479_179:                            ;   in Loop: Header=BB479_180 Depth=1
	v_dual_mov_b32 v38, s19 :: v_dual_mov_b32 v37, s18
	s_and_b32 s2, exec_lo, s34
	s_delay_alu instid0(SALU_CYCLE_1) | instskip(NEXT) | instid1(SALU_CYCLE_1)
	s_or_b32 s33, s2, s33
	s_and_not1_b32 exec_lo, exec_lo, s33
	s_cbranch_execz .LBB479_182
.LBB479_180:                            ; =>This Inner Loop Header: Depth=1
	s_or_b32 s34, s34, exec_lo
	s_cmp_eq_u64 s[6:7], s[18:19]
	s_cbranch_scc0 .LBB479_178
; %bb.181:                              ;   in Loop: Header=BB479_180 Depth=1
	s_mov_b64 s[18:19], s[22:23]
                                        ; implicit-def: $vgpr33_vgpr34
                                        ; implicit-def: $vgpr35_vgpr36
	s_branch .LBB479_179
.LBB479_182:
	s_set_inst_prefetch_distance 0x2
	s_or_b32 exec_lo, exec_lo, s33
	v_cmp_gt_i64_e32 vcc_lo, s[22:23], v[37:38]
	s_or_not1_b32 s2, vcc_lo, exec_lo
.LBB479_183:
	s_or_b32 exec_lo, exec_lo, s30
.LBB479_184:
	s_delay_alu instid0(SALU_CYCLE_1)
	s_and_b32 s30, s2, exec_lo
.LBB479_185:
	s_or_b32 exec_lo, exec_lo, s31
	v_or_b32_e32 v33, 1, v55
	s_mov_b32 s2, 0
	s_mov_b32 s31, exec_lo
	s_delay_alu instid0(VALU_DEP_1)
	v_cmpx_gt_u32_e64 s28, v33
	s_cbranch_execz .LBB479_196
; %bb.186:
	v_cmp_ne_u32_e32 vcc_lo, 1, v41
	s_cbranch_vccnz .LBB479_195
; %bb.187:
	v_mul_lo_u32 v37, v30, s22
	v_mul_lo_u32 v38, v29, s23
	v_mad_u64_u32 v[33:34], null, v29, s22, 0
	v_mul_lo_u32 v39, v32, s22
	v_mul_lo_u32 v40, v31, s23
	s_waitcnt lgkmcnt(0)
	v_mad_u64_u32 v[35:36], null, v31, s22, 0
	s_mov_b32 s2, -1
	s_mov_b32 s33, exec_lo
	s_delay_alu instid0(VALU_DEP_4) | instskip(NEXT) | instid1(VALU_DEP_2)
	v_add3_u32 v34, v34, v38, v37
	v_add3_u32 v36, v36, v40, v39
	s_delay_alu instid0(VALU_DEP_2) | instskip(NEXT) | instid1(VALU_DEP_2)
	v_lshlrev_b64 v[33:34], 2, v[33:34]
	v_lshlrev_b64 v[37:38], 2, v[35:36]
	s_delay_alu instid0(VALU_DEP_2) | instskip(NEXT) | instid1(VALU_DEP_3)
	v_add_co_u32 v35, vcc_lo, s8, v33
	v_add_co_ci_u32_e32 v36, vcc_lo, s9, v34, vcc_lo
	s_delay_alu instid0(VALU_DEP_3) | instskip(NEXT) | instid1(VALU_DEP_4)
	v_add_co_u32 v33, vcc_lo, s8, v37
	v_add_co_ci_u32_e32 v34, vcc_lo, s9, v38, vcc_lo
	s_clause 0x1
	global_load_b32 v37, v[35:36], off
	global_load_b32 v38, v[33:34], off
	s_waitcnt vmcnt(0)
	v_cmpx_eq_u32_e64 v37, v38
	s_cbranch_execz .LBB479_194
; %bb.188:
	v_add_co_u32 v33, vcc_lo, v33, 4
	v_add_co_ci_u32_e32 v34, vcc_lo, 0, v34, vcc_lo
	v_add_co_u32 v35, vcc_lo, v35, 4
	v_add_co_ci_u32_e32 v36, vcc_lo, 0, v36, vcc_lo
	s_add_u32 s6, s22, -1
	s_addc_u32 s7, s23, -1
	s_mov_b64 s[18:19], 0
	s_mov_b32 s34, 0
                                        ; implicit-def: $sgpr35
	s_set_inst_prefetch_distance 0x1
	s_branch .LBB479_191
	.p2align	6
.LBB479_189:                            ;   in Loop: Header=BB479_191 Depth=1
	global_load_b32 v37, v[35:36], off
	global_load_b32 v38, v[33:34], off
	v_add_co_u32 v33, vcc_lo, v33, 4
	v_add_co_ci_u32_e32 v34, vcc_lo, 0, v34, vcc_lo
	v_add_co_u32 v35, s2, v35, 4
	s_delay_alu instid0(VALU_DEP_1)
	v_add_co_ci_u32_e64 v36, s2, 0, v36, s2
	s_add_u32 s18, s18, 1
	s_addc_u32 s19, s19, 0
	s_and_not1_b32 s2, s35, exec_lo
	s_waitcnt vmcnt(0)
	v_cmp_ne_u32_e32 vcc_lo, v37, v38
	s_and_b32 s35, vcc_lo, exec_lo
	s_delay_alu instid0(SALU_CYCLE_1)
	s_or_b32 s35, s2, s35
.LBB479_190:                            ;   in Loop: Header=BB479_191 Depth=1
	v_dual_mov_b32 v38, s19 :: v_dual_mov_b32 v37, s18
	s_and_b32 s2, exec_lo, s35
	s_delay_alu instid0(SALU_CYCLE_1) | instskip(NEXT) | instid1(SALU_CYCLE_1)
	s_or_b32 s34, s2, s34
	s_and_not1_b32 exec_lo, exec_lo, s34
	s_cbranch_execz .LBB479_193
.LBB479_191:                            ; =>This Inner Loop Header: Depth=1
	s_or_b32 s35, s35, exec_lo
	s_cmp_eq_u64 s[6:7], s[18:19]
	s_cbranch_scc0 .LBB479_189
; %bb.192:                              ;   in Loop: Header=BB479_191 Depth=1
	s_mov_b64 s[18:19], s[22:23]
                                        ; implicit-def: $vgpr33_vgpr34
                                        ; implicit-def: $vgpr35_vgpr36
	s_branch .LBB479_190
.LBB479_193:
	s_set_inst_prefetch_distance 0x2
	s_or_b32 exec_lo, exec_lo, s34
	v_cmp_gt_i64_e32 vcc_lo, s[22:23], v[37:38]
	s_or_not1_b32 s2, vcc_lo, exec_lo
.LBB479_194:
	s_or_b32 exec_lo, exec_lo, s33
.LBB479_195:
	s_delay_alu instid0(SALU_CYCLE_1)
	s_and_b32 s2, s2, exec_lo
.LBB479_196:
	s_or_b32 exec_lo, exec_lo, s31
	s_waitcnt lgkmcnt(0)
	v_dual_mov_b32 v34, s5 :: v_dual_mov_b32 v33, s4
	s_mov_b32 s4, exec_lo
	s_barrier
	buffer_gl0_inv
	v_cmpx_ne_u32_e32 0, v0
	s_cbranch_execz .LBB479_198
; %bb.197:
	v_add_nc_u32_e32 v33, -8, v55
	ds_load_b64 v[33:34], v33
.LBB479_198:
	s_or_b32 exec_lo, exec_lo, s4
	v_cndmask_b32_e64 v36, 0, 1, s29
	v_cndmask_b32_e64 v38, 0, 1, s25
	;; [unrolled: 1-line block ×7, first 2 shown]
	v_lshlrev_b16 v36, 8, v36
	v_lshlrev_b16 v38, 8, v38
	;; [unrolled: 1-line block ×3, first 2 shown]
	s_mov_b32 s2, 0
	v_lshlrev_b16 v42, 8, v42
	v_or_b32_e32 v35, v35, v36
	v_or_b32_e32 v36, v37, v38
	;; [unrolled: 1-line block ×3, first 2 shown]
	s_mov_b32 s3, exec_lo
	v_and_b32_e32 v39, 0xffff, v42
	v_lshlrev_b32_e32 v40, 16, v35
	v_and_b32_e32 v42, 0xffff, v36
	v_lshlrev_b32_e32 v43, 16, v37
	v_cmpx_gt_u32_e64 s28, v55
	s_cbranch_execz .LBB479_209
; %bb.199:
	v_cmp_ne_u32_e32 vcc_lo, 1, v41
	s_cbranch_vccnz .LBB479_208
; %bb.200:
	s_waitcnt lgkmcnt(0)
	v_mul_lo_u32 v38, v34, s22
	v_mul_lo_u32 v41, v33, s23
	v_mad_u64_u32 v[34:35], null, v33, s22, 0
	v_mul_lo_u32 v33, v30, s22
	v_mul_lo_u32 v44, v29, s23
	v_mad_u64_u32 v[36:37], null, v29, s22, 0
	s_mov_b32 s2, -1
	s_mov_b32 s18, exec_lo
	s_delay_alu instid0(VALU_DEP_4) | instskip(NEXT) | instid1(VALU_DEP_2)
	v_add3_u32 v35, v35, v41, v38
	v_add3_u32 v37, v37, v44, v33
	s_delay_alu instid0(VALU_DEP_2) | instskip(NEXT) | instid1(VALU_DEP_2)
	v_lshlrev_b64 v[33:34], 2, v[34:35]
	v_lshlrev_b64 v[37:38], 2, v[36:37]
	s_delay_alu instid0(VALU_DEP_2) | instskip(NEXT) | instid1(VALU_DEP_3)
	v_add_co_u32 v35, vcc_lo, s8, v33
	v_add_co_ci_u32_e32 v36, vcc_lo, s9, v34, vcc_lo
	s_delay_alu instid0(VALU_DEP_3) | instskip(NEXT) | instid1(VALU_DEP_4)
	v_add_co_u32 v33, vcc_lo, s8, v37
	v_add_co_ci_u32_e32 v34, vcc_lo, s9, v38, vcc_lo
	s_clause 0x1
	global_load_b32 v37, v[35:36], off
	global_load_b32 v38, v[33:34], off
	s_waitcnt vmcnt(0)
	v_cmpx_eq_u32_e64 v37, v38
	s_cbranch_execz .LBB479_207
; %bb.201:
	v_add_co_u32 v33, vcc_lo, v33, 4
	v_add_co_ci_u32_e32 v34, vcc_lo, 0, v34, vcc_lo
	v_add_co_u32 v35, vcc_lo, v35, 4
	v_add_co_ci_u32_e32 v36, vcc_lo, 0, v36, vcc_lo
	s_add_u32 s4, s22, -1
	s_addc_u32 s5, s23, -1
	s_mov_b64 s[6:7], 0
	s_mov_b32 s19, 0
                                        ; implicit-def: $sgpr25
	s_set_inst_prefetch_distance 0x1
	s_branch .LBB479_204
	.p2align	6
.LBB479_202:                            ;   in Loop: Header=BB479_204 Depth=1
	global_load_b32 v37, v[35:36], off
	global_load_b32 v38, v[33:34], off
	v_add_co_u32 v33, vcc_lo, v33, 4
	v_add_co_ci_u32_e32 v34, vcc_lo, 0, v34, vcc_lo
	v_add_co_u32 v35, s2, v35, 4
	s_delay_alu instid0(VALU_DEP_1)
	v_add_co_ci_u32_e64 v36, s2, 0, v36, s2
	s_add_u32 s6, s6, 1
	s_addc_u32 s7, s7, 0
	s_and_not1_b32 s2, s25, exec_lo
	s_waitcnt vmcnt(0)
	v_cmp_ne_u32_e32 vcc_lo, v37, v38
	s_and_b32 s25, vcc_lo, exec_lo
	s_delay_alu instid0(SALU_CYCLE_1)
	s_or_b32 s25, s2, s25
.LBB479_203:                            ;   in Loop: Header=BB479_204 Depth=1
	v_dual_mov_b32 v38, s7 :: v_dual_mov_b32 v37, s6
	s_and_b32 s2, exec_lo, s25
	s_delay_alu instid0(SALU_CYCLE_1) | instskip(NEXT) | instid1(SALU_CYCLE_1)
	s_or_b32 s19, s2, s19
	s_and_not1_b32 exec_lo, exec_lo, s19
	s_cbranch_execz .LBB479_206
.LBB479_204:                            ; =>This Inner Loop Header: Depth=1
	s_or_b32 s25, s25, exec_lo
	s_cmp_eq_u64 s[4:5], s[6:7]
	s_cbranch_scc0 .LBB479_202
; %bb.205:                              ;   in Loop: Header=BB479_204 Depth=1
	s_mov_b64 s[6:7], s[22:23]
                                        ; implicit-def: $vgpr33_vgpr34
                                        ; implicit-def: $vgpr35_vgpr36
	s_branch .LBB479_203
.LBB479_206:
	s_set_inst_prefetch_distance 0x2
	s_or_b32 exec_lo, exec_lo, s19
	v_cmp_gt_i64_e32 vcc_lo, s[22:23], v[37:38]
	s_or_not1_b32 s2, vcc_lo, exec_lo
.LBB479_207:
	s_or_b32 exec_lo, exec_lo, s18
.LBB479_208:
	s_delay_alu instid0(SALU_CYCLE_1)
	s_and_b32 s2, s2, exec_lo
.LBB479_209:
	s_or_b32 exec_lo, exec_lo, s3
	s_waitcnt lgkmcnt(0)
	v_or_b32_e32 v33, v39, v40
	v_or_b32_e32 v34, v42, v43
.LBB479_210:
	s_waitcnt lgkmcnt(0)
	s_mov_b32 s3, -1
	s_cbranch_execnz .LBB479_379
.LBB479_211:
	v_cmp_gt_i64_e64 s18, s[22:23], 0
	s_and_b32 vcc_lo, exec_lo, s20
	ds_store_b64 v55, v[19:20]
	s_cbranch_vccz .LBB479_219
; %bb.212:
	v_mul_lo_u32 v35, v18, s22
	v_mul_lo_u32 v36, v17, s23
	v_mad_u64_u32 v[33:34], null, v17, s22, 0
	s_mov_b32 s19, 0
	s_and_not1_b32 vcc_lo, exec_lo, s18
	s_mov_b32 s25, 0
	s_delay_alu instid0(VALU_DEP_1) | instskip(NEXT) | instid1(VALU_DEP_1)
	v_add3_u32 v34, v34, v36, v35
	v_lshlrev_b64 v[33:34], 2, v[33:34]
	s_cbranch_vccnz .LBB479_222
; %bb.213:
	v_mul_lo_u32 v37, v20, s22
	v_mul_lo_u32 v38, v19, s23
	v_mad_u64_u32 v[35:36], null, v19, s22, 0
	s_mov_b32 s25, -1
	s_mov_b32 s26, exec_lo
	s_delay_alu instid0(VALU_DEP_1) | instskip(SKIP_2) | instid1(VALU_DEP_3)
	v_add3_u32 v36, v36, v38, v37
	v_add_co_u32 v37, vcc_lo, s8, v33
	v_add_co_ci_u32_e32 v38, vcc_lo, s9, v34, vcc_lo
	v_lshlrev_b64 v[35:36], 2, v[35:36]
	s_delay_alu instid0(VALU_DEP_1) | instskip(NEXT) | instid1(VALU_DEP_2)
	v_add_co_u32 v35, vcc_lo, s8, v35
	v_add_co_ci_u32_e32 v36, vcc_lo, s9, v36, vcc_lo
	s_clause 0x1
	global_load_b32 v39, v[37:38], off
	global_load_b32 v40, v[35:36], off
	s_waitcnt vmcnt(0)
	v_cmpx_eq_u32_e64 v39, v40
	s_cbranch_execz .LBB479_221
; %bb.214:
	v_add_co_u32 v35, vcc_lo, v35, 4
	v_add_co_ci_u32_e32 v36, vcc_lo, 0, v36, vcc_lo
	v_add_co_u32 v37, vcc_lo, v37, 4
	v_add_co_ci_u32_e32 v38, vcc_lo, 0, v38, vcc_lo
	s_add_u32 s4, s22, -1
	s_addc_u32 s5, s23, -1
	s_mov_b64 s[6:7], 0
	s_mov_b32 s25, 0
                                        ; implicit-def: $sgpr27
	s_set_inst_prefetch_distance 0x1
	s_branch .LBB479_217
	.p2align	6
.LBB479_215:                            ;   in Loop: Header=BB479_217 Depth=1
	global_load_b32 v39, v[37:38], off
	global_load_b32 v40, v[35:36], off
	v_add_co_u32 v35, vcc_lo, v35, 4
	v_add_co_ci_u32_e32 v36, vcc_lo, 0, v36, vcc_lo
	v_add_co_u32 v37, s2, v37, 4
	s_delay_alu instid0(VALU_DEP_1)
	v_add_co_ci_u32_e64 v38, s2, 0, v38, s2
	s_add_u32 s6, s6, 1
	s_addc_u32 s7, s7, 0
	s_and_not1_b32 s2, s27, exec_lo
	s_waitcnt vmcnt(0)
	v_cmp_ne_u32_e32 vcc_lo, v39, v40
	s_and_b32 s27, vcc_lo, exec_lo
	s_delay_alu instid0(SALU_CYCLE_1)
	s_or_b32 s27, s2, s27
.LBB479_216:                            ;   in Loop: Header=BB479_217 Depth=1
	v_dual_mov_b32 v40, s7 :: v_dual_mov_b32 v39, s6
	s_and_b32 s2, exec_lo, s27
	s_delay_alu instid0(SALU_CYCLE_1) | instskip(NEXT) | instid1(SALU_CYCLE_1)
	s_or_b32 s25, s2, s25
	s_and_not1_b32 exec_lo, exec_lo, s25
	s_cbranch_execz .LBB479_220
.LBB479_217:                            ; =>This Inner Loop Header: Depth=1
	s_or_b32 s27, s27, exec_lo
	s_cmp_eq_u64 s[4:5], s[6:7]
	s_cbranch_scc0 .LBB479_215
; %bb.218:                              ;   in Loop: Header=BB479_217 Depth=1
	s_mov_b64 s[6:7], s[22:23]
                                        ; implicit-def: $vgpr35_vgpr36
                                        ; implicit-def: $vgpr37_vgpr38
	s_branch .LBB479_216
.LBB479_219:
                                        ; implicit-def: $sgpr2
                                        ; implicit-def: $vgpr34
	s_cbranch_execnz .LBB479_288
	s_branch .LBB479_379
.LBB479_220:
	s_set_inst_prefetch_distance 0x2
	s_or_b32 exec_lo, exec_lo, s25
	v_cmp_gt_i64_e32 vcc_lo, s[22:23], v[39:40]
	s_or_not1_b32 s25, vcc_lo, exec_lo
.LBB479_221:
	s_or_b32 exec_lo, exec_lo, s26
.LBB479_222:
	v_mul_lo_u32 v37, v24, s22
	v_mul_lo_u32 v38, v23, s23
	v_mad_u64_u32 v[35:36], null, v23, s22, 0
	s_and_not1_b32 vcc_lo, exec_lo, s18
	s_delay_alu instid0(VALU_DEP_1) | instskip(NEXT) | instid1(VALU_DEP_1)
	v_add3_u32 v36, v36, v38, v37
	v_lshlrev_b64 v[35:36], 2, v[35:36]
	s_cbranch_vccnz .LBB479_231
; %bb.223:
	s_delay_alu instid0(VALU_DEP_1) | instskip(NEXT) | instid1(VALU_DEP_2)
	v_add_co_u32 v37, vcc_lo, s8, v35
	v_add_co_ci_u32_e32 v38, vcc_lo, s9, v36, vcc_lo
	v_add_co_u32 v33, vcc_lo, s8, v33
	v_add_co_ci_u32_e32 v34, vcc_lo, s9, v34, vcc_lo
	s_mov_b32 s19, -1
	s_clause 0x1
	global_load_b32 v39, v[37:38], off
	global_load_b32 v40, v[33:34], off
	s_mov_b32 s26, exec_lo
	s_waitcnt vmcnt(0)
	v_cmpx_eq_u32_e64 v39, v40
	s_cbranch_execz .LBB479_230
; %bb.224:
	v_add_co_u32 v33, vcc_lo, v33, 4
	v_add_co_ci_u32_e32 v34, vcc_lo, 0, v34, vcc_lo
	v_add_co_u32 v37, vcc_lo, v37, 4
	v_add_co_ci_u32_e32 v38, vcc_lo, 0, v38, vcc_lo
	s_add_u32 s4, s22, -1
	s_addc_u32 s5, s23, -1
	s_mov_b64 s[6:7], 0
	s_mov_b32 s19, 0
                                        ; implicit-def: $sgpr27
	s_set_inst_prefetch_distance 0x1
	s_branch .LBB479_227
	.p2align	6
.LBB479_225:                            ;   in Loop: Header=BB479_227 Depth=1
	global_load_b32 v39, v[37:38], off
	global_load_b32 v40, v[33:34], off
	v_add_co_u32 v33, vcc_lo, v33, 4
	v_add_co_ci_u32_e32 v34, vcc_lo, 0, v34, vcc_lo
	v_add_co_u32 v37, s2, v37, 4
	s_delay_alu instid0(VALU_DEP_1)
	v_add_co_ci_u32_e64 v38, s2, 0, v38, s2
	s_add_u32 s6, s6, 1
	s_addc_u32 s7, s7, 0
	s_and_not1_b32 s2, s27, exec_lo
	s_waitcnt vmcnt(0)
	v_cmp_ne_u32_e32 vcc_lo, v39, v40
	s_and_b32 s27, vcc_lo, exec_lo
	s_delay_alu instid0(SALU_CYCLE_1)
	s_or_b32 s27, s2, s27
.LBB479_226:                            ;   in Loop: Header=BB479_227 Depth=1
	v_dual_mov_b32 v40, s7 :: v_dual_mov_b32 v39, s6
	s_and_b32 s2, exec_lo, s27
	s_delay_alu instid0(SALU_CYCLE_1) | instskip(NEXT) | instid1(SALU_CYCLE_1)
	s_or_b32 s19, s2, s19
	s_and_not1_b32 exec_lo, exec_lo, s19
	s_cbranch_execz .LBB479_229
.LBB479_227:                            ; =>This Inner Loop Header: Depth=1
	s_or_b32 s27, s27, exec_lo
	s_cmp_eq_u64 s[4:5], s[6:7]
	s_cbranch_scc0 .LBB479_225
; %bb.228:                              ;   in Loop: Header=BB479_227 Depth=1
	s_mov_b64 s[6:7], s[22:23]
                                        ; implicit-def: $vgpr33_vgpr34
                                        ; implicit-def: $vgpr37_vgpr38
	s_branch .LBB479_226
.LBB479_229:
	s_set_inst_prefetch_distance 0x2
	s_or_b32 exec_lo, exec_lo, s19
	v_cmp_gt_i64_e32 vcc_lo, s[22:23], v[39:40]
	s_or_not1_b32 s19, vcc_lo, exec_lo
.LBB479_230:
	s_or_b32 exec_lo, exec_lo, s26
.LBB479_231:
	v_mul_lo_u32 v37, v22, s22
	v_mul_lo_u32 v38, v21, s23
	v_mad_u64_u32 v[33:34], null, v21, s22, 0
	s_mov_b32 s26, 0
	s_and_not1_b32 vcc_lo, exec_lo, s18
	s_mov_b32 s27, 0
	s_delay_alu instid0(VALU_DEP_1) | instskip(NEXT) | instid1(VALU_DEP_1)
	v_add3_u32 v34, v34, v38, v37
	v_lshlrev_b64 v[37:38], 2, v[33:34]
	s_cbranch_vccnz .LBB479_240
; %bb.232:
	s_delay_alu instid0(VALU_DEP_1) | instskip(NEXT) | instid1(VALU_DEP_2)
	v_add_co_u32 v39, vcc_lo, s8, v37
	v_add_co_ci_u32_e32 v40, vcc_lo, s9, v38, vcc_lo
	v_add_co_u32 v33, vcc_lo, s8, v35
	v_add_co_ci_u32_e32 v34, vcc_lo, s9, v36, vcc_lo
	s_mov_b32 s27, -1
	s_clause 0x1
	global_load_b32 v35, v[39:40], off
	global_load_b32 v36, v[33:34], off
	s_mov_b32 s29, exec_lo
	s_waitcnt vmcnt(0)
	v_cmpx_eq_u32_e64 v35, v36
	s_cbranch_execz .LBB479_239
; %bb.233:
	v_add_co_u32 v33, vcc_lo, v33, 4
	v_add_co_ci_u32_e32 v34, vcc_lo, 0, v34, vcc_lo
	v_add_co_u32 v35, vcc_lo, v39, 4
	v_add_co_ci_u32_e32 v36, vcc_lo, 0, v40, vcc_lo
	s_add_u32 s4, s22, -1
	s_addc_u32 s5, s23, -1
	s_mov_b64 s[6:7], 0
	s_mov_b32 s27, 0
                                        ; implicit-def: $sgpr30
	s_set_inst_prefetch_distance 0x1
	s_branch .LBB479_236
	.p2align	6
.LBB479_234:                            ;   in Loop: Header=BB479_236 Depth=1
	global_load_b32 v39, v[35:36], off
	global_load_b32 v40, v[33:34], off
	v_add_co_u32 v33, vcc_lo, v33, 4
	v_add_co_ci_u32_e32 v34, vcc_lo, 0, v34, vcc_lo
	v_add_co_u32 v35, s2, v35, 4
	s_delay_alu instid0(VALU_DEP_1)
	v_add_co_ci_u32_e64 v36, s2, 0, v36, s2
	s_add_u32 s6, s6, 1
	s_addc_u32 s7, s7, 0
	s_and_not1_b32 s2, s30, exec_lo
	s_waitcnt vmcnt(0)
	v_cmp_ne_u32_e32 vcc_lo, v39, v40
	s_and_b32 s30, vcc_lo, exec_lo
	s_delay_alu instid0(SALU_CYCLE_1)
	s_or_b32 s30, s2, s30
.LBB479_235:                            ;   in Loop: Header=BB479_236 Depth=1
	v_dual_mov_b32 v40, s7 :: v_dual_mov_b32 v39, s6
	s_and_b32 s2, exec_lo, s30
	s_delay_alu instid0(SALU_CYCLE_1) | instskip(NEXT) | instid1(SALU_CYCLE_1)
	s_or_b32 s27, s2, s27
	s_and_not1_b32 exec_lo, exec_lo, s27
	s_cbranch_execz .LBB479_238
.LBB479_236:                            ; =>This Inner Loop Header: Depth=1
	s_or_b32 s30, s30, exec_lo
	s_cmp_eq_u64 s[4:5], s[6:7]
	s_cbranch_scc0 .LBB479_234
; %bb.237:                              ;   in Loop: Header=BB479_236 Depth=1
	s_mov_b64 s[6:7], s[22:23]
                                        ; implicit-def: $vgpr33_vgpr34
                                        ; implicit-def: $vgpr35_vgpr36
	s_branch .LBB479_235
.LBB479_238:
	s_set_inst_prefetch_distance 0x2
	s_or_b32 exec_lo, exec_lo, s27
	v_cmp_gt_i64_e32 vcc_lo, s[22:23], v[39:40]
	s_or_not1_b32 s27, vcc_lo, exec_lo
.LBB479_239:
	s_or_b32 exec_lo, exec_lo, s29
.LBB479_240:
	v_mul_lo_u32 v35, v28, s22
	v_mul_lo_u32 v36, v27, s23
	v_mad_u64_u32 v[33:34], null, v27, s22, 0
	s_and_not1_b32 vcc_lo, exec_lo, s18
	s_delay_alu instid0(VALU_DEP_1) | instskip(NEXT) | instid1(VALU_DEP_1)
	v_add3_u32 v34, v34, v36, v35
	v_lshlrev_b64 v[33:34], 2, v[33:34]
	s_cbranch_vccnz .LBB479_249
; %bb.241:
	s_delay_alu instid0(VALU_DEP_1) | instskip(NEXT) | instid1(VALU_DEP_2)
	v_add_co_u32 v39, vcc_lo, s8, v33
	v_add_co_ci_u32_e32 v40, vcc_lo, s9, v34, vcc_lo
	v_add_co_u32 v35, vcc_lo, s8, v37
	v_add_co_ci_u32_e32 v36, vcc_lo, s9, v38, vcc_lo
	s_mov_b32 s26, -1
	s_clause 0x1
	global_load_b32 v37, v[39:40], off
	global_load_b32 v38, v[35:36], off
	s_mov_b32 s29, exec_lo
	s_waitcnt vmcnt(0)
	v_cmpx_eq_u32_e64 v37, v38
	s_cbranch_execz .LBB479_248
; %bb.242:
	v_add_co_u32 v35, vcc_lo, v35, 4
	v_add_co_ci_u32_e32 v36, vcc_lo, 0, v36, vcc_lo
	v_add_co_u32 v37, vcc_lo, v39, 4
	v_add_co_ci_u32_e32 v38, vcc_lo, 0, v40, vcc_lo
	s_add_u32 s4, s22, -1
	s_addc_u32 s5, s23, -1
	s_mov_b64 s[6:7], 0
	s_mov_b32 s26, 0
                                        ; implicit-def: $sgpr30
	s_set_inst_prefetch_distance 0x1
	s_branch .LBB479_245
	.p2align	6
.LBB479_243:                            ;   in Loop: Header=BB479_245 Depth=1
	global_load_b32 v39, v[37:38], off
	global_load_b32 v40, v[35:36], off
	v_add_co_u32 v35, vcc_lo, v35, 4
	v_add_co_ci_u32_e32 v36, vcc_lo, 0, v36, vcc_lo
	v_add_co_u32 v37, s2, v37, 4
	s_delay_alu instid0(VALU_DEP_1)
	v_add_co_ci_u32_e64 v38, s2, 0, v38, s2
	s_add_u32 s6, s6, 1
	s_addc_u32 s7, s7, 0
	s_and_not1_b32 s2, s30, exec_lo
	s_waitcnt vmcnt(0)
	v_cmp_ne_u32_e32 vcc_lo, v39, v40
	s_and_b32 s30, vcc_lo, exec_lo
	s_delay_alu instid0(SALU_CYCLE_1)
	s_or_b32 s30, s2, s30
.LBB479_244:                            ;   in Loop: Header=BB479_245 Depth=1
	v_dual_mov_b32 v40, s7 :: v_dual_mov_b32 v39, s6
	s_and_b32 s2, exec_lo, s30
	s_delay_alu instid0(SALU_CYCLE_1) | instskip(NEXT) | instid1(SALU_CYCLE_1)
	s_or_b32 s26, s2, s26
	s_and_not1_b32 exec_lo, exec_lo, s26
	s_cbranch_execz .LBB479_247
.LBB479_245:                            ; =>This Inner Loop Header: Depth=1
	s_or_b32 s30, s30, exec_lo
	s_cmp_eq_u64 s[4:5], s[6:7]
	s_cbranch_scc0 .LBB479_243
; %bb.246:                              ;   in Loop: Header=BB479_245 Depth=1
	s_mov_b64 s[6:7], s[22:23]
                                        ; implicit-def: $vgpr35_vgpr36
                                        ; implicit-def: $vgpr37_vgpr38
	s_branch .LBB479_244
.LBB479_247:
	s_set_inst_prefetch_distance 0x2
	s_or_b32 exec_lo, exec_lo, s26
	v_cmp_gt_i64_e32 vcc_lo, s[22:23], v[39:40]
	s_or_not1_b32 s26, vcc_lo, exec_lo
.LBB479_248:
	s_or_b32 exec_lo, exec_lo, s29
.LBB479_249:
	v_mul_lo_u32 v37, v26, s22
	v_mul_lo_u32 v38, v25, s23
	v_mad_u64_u32 v[35:36], null, v25, s22, 0
	s_mov_b32 s29, 0
	s_and_not1_b32 vcc_lo, exec_lo, s18
	s_mov_b32 s30, 0
	s_delay_alu instid0(VALU_DEP_1) | instskip(NEXT) | instid1(VALU_DEP_1)
	v_add3_u32 v36, v36, v38, v37
	v_lshlrev_b64 v[35:36], 2, v[35:36]
	s_cbranch_vccnz .LBB479_258
; %bb.250:
	s_delay_alu instid0(VALU_DEP_1) | instskip(NEXT) | instid1(VALU_DEP_2)
	v_add_co_u32 v37, vcc_lo, s8, v35
	v_add_co_ci_u32_e32 v38, vcc_lo, s9, v36, vcc_lo
	v_add_co_u32 v33, vcc_lo, s8, v33
	v_add_co_ci_u32_e32 v34, vcc_lo, s9, v34, vcc_lo
	s_mov_b32 s30, -1
	s_clause 0x1
	global_load_b32 v39, v[37:38], off
	global_load_b32 v40, v[33:34], off
	s_mov_b32 s31, exec_lo
	s_waitcnt vmcnt(0)
	v_cmpx_eq_u32_e64 v39, v40
	s_cbranch_execz .LBB479_257
; %bb.251:
	v_add_co_u32 v33, vcc_lo, v33, 4
	v_add_co_ci_u32_e32 v34, vcc_lo, 0, v34, vcc_lo
	v_add_co_u32 v37, vcc_lo, v37, 4
	v_add_co_ci_u32_e32 v38, vcc_lo, 0, v38, vcc_lo
	s_add_u32 s4, s22, -1
	s_addc_u32 s5, s23, -1
	s_mov_b64 s[6:7], 0
	s_mov_b32 s30, 0
                                        ; implicit-def: $sgpr33
	s_set_inst_prefetch_distance 0x1
	s_branch .LBB479_254
	.p2align	6
.LBB479_252:                            ;   in Loop: Header=BB479_254 Depth=1
	global_load_b32 v39, v[37:38], off
	global_load_b32 v40, v[33:34], off
	v_add_co_u32 v33, vcc_lo, v33, 4
	v_add_co_ci_u32_e32 v34, vcc_lo, 0, v34, vcc_lo
	v_add_co_u32 v37, s2, v37, 4
	s_delay_alu instid0(VALU_DEP_1)
	v_add_co_ci_u32_e64 v38, s2, 0, v38, s2
	s_add_u32 s6, s6, 1
	s_addc_u32 s7, s7, 0
	s_and_not1_b32 s2, s33, exec_lo
	s_waitcnt vmcnt(0)
	v_cmp_ne_u32_e32 vcc_lo, v39, v40
	s_and_b32 s33, vcc_lo, exec_lo
	s_delay_alu instid0(SALU_CYCLE_1)
	s_or_b32 s33, s2, s33
.LBB479_253:                            ;   in Loop: Header=BB479_254 Depth=1
	v_dual_mov_b32 v40, s7 :: v_dual_mov_b32 v39, s6
	s_and_b32 s2, exec_lo, s33
	s_delay_alu instid0(SALU_CYCLE_1) | instskip(NEXT) | instid1(SALU_CYCLE_1)
	s_or_b32 s30, s2, s30
	s_and_not1_b32 exec_lo, exec_lo, s30
	s_cbranch_execz .LBB479_256
.LBB479_254:                            ; =>This Inner Loop Header: Depth=1
	s_or_b32 s33, s33, exec_lo
	s_cmp_eq_u64 s[4:5], s[6:7]
	s_cbranch_scc0 .LBB479_252
; %bb.255:                              ;   in Loop: Header=BB479_254 Depth=1
	s_mov_b64 s[6:7], s[22:23]
                                        ; implicit-def: $vgpr33_vgpr34
                                        ; implicit-def: $vgpr37_vgpr38
	s_branch .LBB479_253
.LBB479_256:
	s_set_inst_prefetch_distance 0x2
	s_or_b32 exec_lo, exec_lo, s30
	v_cmp_gt_i64_e32 vcc_lo, s[22:23], v[39:40]
	s_or_not1_b32 s30, vcc_lo, exec_lo
.LBB479_257:
	s_or_b32 exec_lo, exec_lo, s31
.LBB479_258:
	v_mul_lo_u32 v37, v32, s22
	v_mul_lo_u32 v38, v31, s23
	v_mad_u64_u32 v[33:34], null, v31, s22, 0
	s_and_not1_b32 vcc_lo, exec_lo, s18
	s_delay_alu instid0(VALU_DEP_1) | instskip(NEXT) | instid1(VALU_DEP_1)
	v_add3_u32 v34, v34, v38, v37
	v_lshlrev_b64 v[33:34], 2, v[33:34]
	s_cbranch_vccnz .LBB479_267
; %bb.259:
	s_delay_alu instid0(VALU_DEP_1) | instskip(NEXT) | instid1(VALU_DEP_2)
	v_add_co_u32 v37, vcc_lo, s8, v33
	v_add_co_ci_u32_e32 v38, vcc_lo, s9, v34, vcc_lo
	v_add_co_u32 v35, vcc_lo, s8, v35
	v_add_co_ci_u32_e32 v36, vcc_lo, s9, v36, vcc_lo
	s_mov_b32 s29, -1
	s_clause 0x1
	global_load_b32 v39, v[37:38], off
	global_load_b32 v40, v[35:36], off
	s_mov_b32 s31, exec_lo
	s_waitcnt vmcnt(0)
	v_cmpx_eq_u32_e64 v39, v40
	s_cbranch_execz .LBB479_266
; %bb.260:
	v_add_co_u32 v35, vcc_lo, v35, 4
	v_add_co_ci_u32_e32 v36, vcc_lo, 0, v36, vcc_lo
	v_add_co_u32 v37, vcc_lo, v37, 4
	v_add_co_ci_u32_e32 v38, vcc_lo, 0, v38, vcc_lo
	s_add_u32 s4, s22, -1
	s_addc_u32 s5, s23, -1
	s_mov_b64 s[6:7], 0
	s_mov_b32 s29, 0
                                        ; implicit-def: $sgpr33
	s_set_inst_prefetch_distance 0x1
	s_branch .LBB479_263
	.p2align	6
.LBB479_261:                            ;   in Loop: Header=BB479_263 Depth=1
	global_load_b32 v39, v[37:38], off
	global_load_b32 v40, v[35:36], off
	v_add_co_u32 v35, vcc_lo, v35, 4
	v_add_co_ci_u32_e32 v36, vcc_lo, 0, v36, vcc_lo
	v_add_co_u32 v37, s2, v37, 4
	s_delay_alu instid0(VALU_DEP_1)
	v_add_co_ci_u32_e64 v38, s2, 0, v38, s2
	s_add_u32 s6, s6, 1
	s_addc_u32 s7, s7, 0
	s_and_not1_b32 s2, s33, exec_lo
	s_waitcnt vmcnt(0)
	v_cmp_ne_u32_e32 vcc_lo, v39, v40
	s_and_b32 s33, vcc_lo, exec_lo
	s_delay_alu instid0(SALU_CYCLE_1)
	s_or_b32 s33, s2, s33
.LBB479_262:                            ;   in Loop: Header=BB479_263 Depth=1
	v_dual_mov_b32 v40, s7 :: v_dual_mov_b32 v39, s6
	s_and_b32 s2, exec_lo, s33
	s_delay_alu instid0(SALU_CYCLE_1) | instskip(NEXT) | instid1(SALU_CYCLE_1)
	s_or_b32 s29, s2, s29
	s_and_not1_b32 exec_lo, exec_lo, s29
	s_cbranch_execz .LBB479_265
.LBB479_263:                            ; =>This Inner Loop Header: Depth=1
	s_or_b32 s33, s33, exec_lo
	s_cmp_eq_u64 s[4:5], s[6:7]
	s_cbranch_scc0 .LBB479_261
; %bb.264:                              ;   in Loop: Header=BB479_263 Depth=1
	s_mov_b64 s[6:7], s[22:23]
                                        ; implicit-def: $vgpr35_vgpr36
                                        ; implicit-def: $vgpr37_vgpr38
	s_branch .LBB479_262
.LBB479_265:
	s_set_inst_prefetch_distance 0x2
	s_or_b32 exec_lo, exec_lo, s29
	v_cmp_gt_i64_e32 vcc_lo, s[22:23], v[39:40]
	s_or_not1_b32 s29, vcc_lo, exec_lo
.LBB479_266:
	s_or_b32 exec_lo, exec_lo, s31
.LBB479_267:
	v_mul_lo_u32 v37, v30, s22
	v_mul_lo_u32 v38, v29, s23
	v_mad_u64_u32 v[35:36], null, v29, s22, 0
	s_and_not1_b32 vcc_lo, exec_lo, s18
	s_mov_b32 s2, 0
	s_delay_alu instid0(VALU_DEP_1)
	v_add3_u32 v36, v36, v38, v37
	s_cbranch_vccnz .LBB479_276
; %bb.268:
	s_delay_alu instid0(VALU_DEP_1) | instskip(SKIP_2) | instid1(VALU_DEP_1)
	v_lshlrev_b64 v[37:38], 2, v[35:36]
	s_mov_b32 s2, -1
	s_mov_b32 s31, exec_lo
	v_add_co_u32 v37, vcc_lo, s8, v37
	s_delay_alu instid0(VALU_DEP_2)
	v_add_co_ci_u32_e32 v38, vcc_lo, s9, v38, vcc_lo
	v_add_co_u32 v33, vcc_lo, s8, v33
	v_add_co_ci_u32_e32 v34, vcc_lo, s9, v34, vcc_lo
	s_clause 0x1
	global_load_b32 v39, v[37:38], off
	global_load_b32 v40, v[33:34], off
	s_waitcnt vmcnt(0)
	v_cmpx_eq_u32_e64 v39, v40
	s_cbranch_execz .LBB479_275
; %bb.269:
	v_add_co_u32 v33, vcc_lo, v33, 4
	v_add_co_ci_u32_e32 v34, vcc_lo, 0, v34, vcc_lo
	v_add_co_u32 v37, vcc_lo, v37, 4
	v_add_co_ci_u32_e32 v38, vcc_lo, 0, v38, vcc_lo
	s_add_u32 s4, s22, -1
	s_addc_u32 s5, s23, -1
	s_mov_b64 s[6:7], 0
	s_mov_b32 s33, 0
                                        ; implicit-def: $sgpr34
	s_set_inst_prefetch_distance 0x1
	s_branch .LBB479_272
	.p2align	6
.LBB479_270:                            ;   in Loop: Header=BB479_272 Depth=1
	global_load_b32 v39, v[37:38], off
	global_load_b32 v40, v[33:34], off
	v_add_co_u32 v33, vcc_lo, v33, 4
	v_add_co_ci_u32_e32 v34, vcc_lo, 0, v34, vcc_lo
	v_add_co_u32 v37, s2, v37, 4
	s_delay_alu instid0(VALU_DEP_1)
	v_add_co_ci_u32_e64 v38, s2, 0, v38, s2
	s_add_u32 s6, s6, 1
	s_addc_u32 s7, s7, 0
	s_and_not1_b32 s2, s34, exec_lo
	s_waitcnt vmcnt(0)
	v_cmp_ne_u32_e32 vcc_lo, v39, v40
	s_and_b32 s34, vcc_lo, exec_lo
	s_delay_alu instid0(SALU_CYCLE_1)
	s_or_b32 s34, s2, s34
.LBB479_271:                            ;   in Loop: Header=BB479_272 Depth=1
	v_dual_mov_b32 v40, s7 :: v_dual_mov_b32 v39, s6
	s_and_b32 s2, exec_lo, s34
	s_delay_alu instid0(SALU_CYCLE_1) | instskip(NEXT) | instid1(SALU_CYCLE_1)
	s_or_b32 s33, s2, s33
	s_and_not1_b32 exec_lo, exec_lo, s33
	s_cbranch_execz .LBB479_274
.LBB479_272:                            ; =>This Inner Loop Header: Depth=1
	s_or_b32 s34, s34, exec_lo
	s_cmp_eq_u64 s[4:5], s[6:7]
	s_cbranch_scc0 .LBB479_270
; %bb.273:                              ;   in Loop: Header=BB479_272 Depth=1
	s_mov_b64 s[6:7], s[22:23]
                                        ; implicit-def: $vgpr33_vgpr34
                                        ; implicit-def: $vgpr37_vgpr38
	s_branch .LBB479_271
.LBB479_274:
	s_set_inst_prefetch_distance 0x2
	s_or_b32 exec_lo, exec_lo, s33
	v_cmp_gt_i64_e32 vcc_lo, s[22:23], v[39:40]
	s_or_not1_b32 s2, vcc_lo, exec_lo
.LBB479_275:
	s_or_b32 exec_lo, exec_lo, s31
.LBB479_276:
	v_cndmask_b32_e64 v34, 0, 1, s30
	v_cndmask_b32_e64 v37, 0, 1, s27
	;; [unrolled: 1-line block ×7, first 2 shown]
	v_lshlrev_b16 v37, 8, v37
	v_lshlrev_b16 v38, 8, v38
	;; [unrolled: 1-line block ×4, first 2 shown]
	s_waitcnt lgkmcnt(0)
	v_or_b32_e32 v37, v40, v37
	v_or_b32_e32 v38, v41, v38
	;; [unrolled: 1-line block ×4, first 2 shown]
	s_barrier
	v_and_b32_e32 v34, 0xffff, v37
	v_lshlrev_b32_e32 v37, 16, v38
	v_and_b32_e32 v38, 0xffff, v39
	v_lshlrev_b32_e32 v33, 16, v33
	buffer_gl0_inv
                                        ; implicit-def: $sgpr2
	s_mov_b32 s4, exec_lo
	v_or_b32_e32 v34, v34, v37
	v_or_b32_e32 v33, v38, v33
	v_cmpx_ne_u32_e32 0, v0
	s_xor_b32 s19, exec_lo, s4
	s_cbranch_execz .LBB479_287
; %bb.277:
	s_and_not1_b32 vcc_lo, exec_lo, s18
	s_mov_b32 s2, 0
	s_cbranch_vccnz .LBB479_286
; %bb.278:
	v_add_nc_u32_e32 v37, -8, v55
	v_lshlrev_b64 v[35:36], 2, v[35:36]
	s_mov_b32 s2, -1
	s_mov_b32 s25, exec_lo
	ds_load_b64 v[37:38], v37
	s_waitcnt lgkmcnt(0)
	v_mul_lo_u32 v40, v38, s22
	v_mul_lo_u32 v41, v37, s23
	v_mad_u64_u32 v[38:39], null, v37, s22, 0
	s_delay_alu instid0(VALU_DEP_1) | instskip(NEXT) | instid1(VALU_DEP_1)
	v_add3_u32 v39, v39, v41, v40
	v_lshlrev_b64 v[37:38], 2, v[38:39]
	s_delay_alu instid0(VALU_DEP_1) | instskip(NEXT) | instid1(VALU_DEP_2)
	v_add_co_u32 v37, vcc_lo, s8, v37
	v_add_co_ci_u32_e32 v38, vcc_lo, s9, v38, vcc_lo
	v_add_co_u32 v35, vcc_lo, s8, v35
	v_add_co_ci_u32_e32 v36, vcc_lo, s9, v36, vcc_lo
	s_clause 0x1
	global_load_b32 v39, v[37:38], off
	global_load_b32 v40, v[35:36], off
	s_waitcnt vmcnt(0)
	v_cmpx_eq_u32_e64 v39, v40
	s_cbranch_execz .LBB479_285
; %bb.279:
	v_add_co_u32 v35, vcc_lo, v35, 4
	v_add_co_ci_u32_e32 v36, vcc_lo, 0, v36, vcc_lo
	v_add_co_u32 v37, vcc_lo, v37, 4
	v_add_co_ci_u32_e32 v38, vcc_lo, 0, v38, vcc_lo
	s_add_u32 s4, s22, -1
	s_addc_u32 s5, s23, -1
	s_mov_b64 s[6:7], 0
	s_mov_b32 s26, 0
                                        ; implicit-def: $sgpr27
	s_set_inst_prefetch_distance 0x1
	s_branch .LBB479_282
	.p2align	6
.LBB479_280:                            ;   in Loop: Header=BB479_282 Depth=1
	global_load_b32 v39, v[37:38], off
	global_load_b32 v40, v[35:36], off
	v_add_co_u32 v35, vcc_lo, v35, 4
	v_add_co_ci_u32_e32 v36, vcc_lo, 0, v36, vcc_lo
	v_add_co_u32 v37, s2, v37, 4
	s_delay_alu instid0(VALU_DEP_1)
	v_add_co_ci_u32_e64 v38, s2, 0, v38, s2
	s_add_u32 s6, s6, 1
	s_addc_u32 s7, s7, 0
	s_and_not1_b32 s2, s27, exec_lo
	s_waitcnt vmcnt(0)
	v_cmp_ne_u32_e32 vcc_lo, v39, v40
	s_and_b32 s27, vcc_lo, exec_lo
	s_delay_alu instid0(SALU_CYCLE_1)
	s_or_b32 s27, s2, s27
.LBB479_281:                            ;   in Loop: Header=BB479_282 Depth=1
	v_dual_mov_b32 v40, s7 :: v_dual_mov_b32 v39, s6
	s_and_b32 s2, exec_lo, s27
	s_delay_alu instid0(SALU_CYCLE_1) | instskip(NEXT) | instid1(SALU_CYCLE_1)
	s_or_b32 s26, s2, s26
	s_and_not1_b32 exec_lo, exec_lo, s26
	s_cbranch_execz .LBB479_284
.LBB479_282:                            ; =>This Inner Loop Header: Depth=1
	s_or_b32 s27, s27, exec_lo
	s_cmp_eq_u64 s[4:5], s[6:7]
	s_cbranch_scc0 .LBB479_280
; %bb.283:                              ;   in Loop: Header=BB479_282 Depth=1
	s_mov_b64 s[6:7], s[22:23]
                                        ; implicit-def: $vgpr35_vgpr36
                                        ; implicit-def: $vgpr37_vgpr38
	s_branch .LBB479_281
.LBB479_284:
	s_set_inst_prefetch_distance 0x2
	s_or_b32 exec_lo, exec_lo, s26
	v_cmp_gt_i64_e32 vcc_lo, s[22:23], v[39:40]
	s_or_not1_b32 s2, vcc_lo, exec_lo
.LBB479_285:
	s_or_b32 exec_lo, exec_lo, s25
.LBB479_286:
	s_delay_alu instid0(SALU_CYCLE_1)
	s_and_b32 s2, s2, exec_lo
	s_or_b32 s3, s3, exec_lo
.LBB479_287:
	s_or_b32 exec_lo, exec_lo, s19
	s_branch .LBB479_379
.LBB479_288:
	v_or_b32_e32 v33, 7, v55
	s_mov_b32 s19, 0
	s_mov_b32 s25, 0
	s_mov_b32 s26, exec_lo
	s_delay_alu instid0(VALU_DEP_1)
	v_cmpx_gt_u32_e64 s28, v33
	s_cbranch_execz .LBB479_299
; %bb.289:
	s_and_not1_b32 vcc_lo, exec_lo, s18
	s_mov_b32 s2, 0
	s_cbranch_vccnz .LBB479_298
; %bb.290:
	v_mul_lo_u32 v37, v18, s22
	v_mul_lo_u32 v38, v17, s23
	v_mad_u64_u32 v[33:34], null, v17, s22, 0
	v_mul_lo_u32 v39, v20, s22
	v_mul_lo_u32 v40, v19, s23
	v_mad_u64_u32 v[35:36], null, v19, s22, 0
	s_mov_b32 s2, -1
	s_mov_b32 s25, exec_lo
	s_delay_alu instid0(VALU_DEP_4) | instskip(NEXT) | instid1(VALU_DEP_2)
	v_add3_u32 v34, v34, v38, v37
	v_add3_u32 v36, v36, v40, v39
	s_delay_alu instid0(VALU_DEP_2) | instskip(NEXT) | instid1(VALU_DEP_2)
	v_lshlrev_b64 v[33:34], 2, v[33:34]
	v_lshlrev_b64 v[37:38], 2, v[35:36]
	s_delay_alu instid0(VALU_DEP_2) | instskip(NEXT) | instid1(VALU_DEP_3)
	v_add_co_u32 v35, vcc_lo, s8, v33
	v_add_co_ci_u32_e32 v36, vcc_lo, s9, v34, vcc_lo
	s_delay_alu instid0(VALU_DEP_3) | instskip(NEXT) | instid1(VALU_DEP_4)
	v_add_co_u32 v33, vcc_lo, s8, v37
	v_add_co_ci_u32_e32 v34, vcc_lo, s9, v38, vcc_lo
	s_clause 0x1
	global_load_b32 v37, v[35:36], off
	global_load_b32 v38, v[33:34], off
	s_waitcnt vmcnt(0)
	v_cmpx_eq_u32_e64 v37, v38
	s_cbranch_execz .LBB479_297
; %bb.291:
	v_add_co_u32 v33, vcc_lo, v33, 4
	v_add_co_ci_u32_e32 v34, vcc_lo, 0, v34, vcc_lo
	v_add_co_u32 v35, vcc_lo, v35, 4
	v_add_co_ci_u32_e32 v36, vcc_lo, 0, v36, vcc_lo
	s_add_u32 s4, s22, -1
	s_addc_u32 s5, s23, -1
	s_mov_b64 s[6:7], 0
	s_mov_b32 s27, 0
                                        ; implicit-def: $sgpr29
	s_set_inst_prefetch_distance 0x1
	s_branch .LBB479_294
	.p2align	6
.LBB479_292:                            ;   in Loop: Header=BB479_294 Depth=1
	global_load_b32 v37, v[35:36], off
	global_load_b32 v38, v[33:34], off
	v_add_co_u32 v33, vcc_lo, v33, 4
	v_add_co_ci_u32_e32 v34, vcc_lo, 0, v34, vcc_lo
	v_add_co_u32 v35, s2, v35, 4
	s_delay_alu instid0(VALU_DEP_1)
	v_add_co_ci_u32_e64 v36, s2, 0, v36, s2
	s_add_u32 s6, s6, 1
	s_addc_u32 s7, s7, 0
	s_and_not1_b32 s2, s29, exec_lo
	s_waitcnt vmcnt(0)
	v_cmp_ne_u32_e32 vcc_lo, v37, v38
	s_and_b32 s29, vcc_lo, exec_lo
	s_delay_alu instid0(SALU_CYCLE_1)
	s_or_b32 s29, s2, s29
.LBB479_293:                            ;   in Loop: Header=BB479_294 Depth=1
	v_dual_mov_b32 v38, s7 :: v_dual_mov_b32 v37, s6
	s_and_b32 s2, exec_lo, s29
	s_delay_alu instid0(SALU_CYCLE_1) | instskip(NEXT) | instid1(SALU_CYCLE_1)
	s_or_b32 s27, s2, s27
	s_and_not1_b32 exec_lo, exec_lo, s27
	s_cbranch_execz .LBB479_296
.LBB479_294:                            ; =>This Inner Loop Header: Depth=1
	s_or_b32 s29, s29, exec_lo
	s_cmp_eq_u64 s[4:5], s[6:7]
	s_cbranch_scc0 .LBB479_292
; %bb.295:                              ;   in Loop: Header=BB479_294 Depth=1
	s_mov_b64 s[6:7], s[22:23]
                                        ; implicit-def: $vgpr33_vgpr34
                                        ; implicit-def: $vgpr35_vgpr36
	s_branch .LBB479_293
.LBB479_296:
	s_set_inst_prefetch_distance 0x2
	s_or_b32 exec_lo, exec_lo, s27
	v_cmp_gt_i64_e32 vcc_lo, s[22:23], v[37:38]
	s_or_not1_b32 s2, vcc_lo, exec_lo
.LBB479_297:
	s_or_b32 exec_lo, exec_lo, s25
.LBB479_298:
	s_delay_alu instid0(SALU_CYCLE_1)
	s_and_b32 s25, s2, exec_lo
.LBB479_299:
	s_or_b32 exec_lo, exec_lo, s26
	v_or_b32_e32 v33, 6, v55
	s_mov_b32 s26, exec_lo
	s_delay_alu instid0(VALU_DEP_1)
	v_cmpx_gt_u32_e64 s28, v33
	s_cbranch_execz .LBB479_310
; %bb.300:
	s_and_not1_b32 vcc_lo, exec_lo, s18
	s_mov_b32 s2, 0
	s_cbranch_vccnz .LBB479_309
; %bb.301:
	v_mul_lo_u32 v37, v24, s22
	v_mul_lo_u32 v38, v23, s23
	v_mad_u64_u32 v[33:34], null, v23, s22, 0
	v_mul_lo_u32 v39, v18, s22
	v_mul_lo_u32 v40, v17, s23
	v_mad_u64_u32 v[35:36], null, v17, s22, 0
	s_mov_b32 s2, -1
	s_mov_b32 s19, exec_lo
	s_delay_alu instid0(VALU_DEP_4) | instskip(NEXT) | instid1(VALU_DEP_2)
	v_add3_u32 v34, v34, v38, v37
	v_add3_u32 v36, v36, v40, v39
	s_delay_alu instid0(VALU_DEP_2) | instskip(NEXT) | instid1(VALU_DEP_2)
	v_lshlrev_b64 v[33:34], 2, v[33:34]
	v_lshlrev_b64 v[37:38], 2, v[35:36]
	s_delay_alu instid0(VALU_DEP_2) | instskip(NEXT) | instid1(VALU_DEP_3)
	v_add_co_u32 v35, vcc_lo, s8, v33
	v_add_co_ci_u32_e32 v36, vcc_lo, s9, v34, vcc_lo
	s_delay_alu instid0(VALU_DEP_3) | instskip(NEXT) | instid1(VALU_DEP_4)
	v_add_co_u32 v33, vcc_lo, s8, v37
	v_add_co_ci_u32_e32 v34, vcc_lo, s9, v38, vcc_lo
	s_clause 0x1
	global_load_b32 v37, v[35:36], off
	global_load_b32 v38, v[33:34], off
	s_waitcnt vmcnt(0)
	v_cmpx_eq_u32_e64 v37, v38
	s_cbranch_execz .LBB479_308
; %bb.302:
	v_add_co_u32 v33, vcc_lo, v33, 4
	v_add_co_ci_u32_e32 v34, vcc_lo, 0, v34, vcc_lo
	v_add_co_u32 v35, vcc_lo, v35, 4
	v_add_co_ci_u32_e32 v36, vcc_lo, 0, v36, vcc_lo
	s_add_u32 s4, s22, -1
	s_addc_u32 s5, s23, -1
	s_mov_b64 s[6:7], 0
	s_mov_b32 s27, 0
                                        ; implicit-def: $sgpr29
	s_set_inst_prefetch_distance 0x1
	s_branch .LBB479_305
	.p2align	6
.LBB479_303:                            ;   in Loop: Header=BB479_305 Depth=1
	global_load_b32 v37, v[35:36], off
	global_load_b32 v38, v[33:34], off
	v_add_co_u32 v33, vcc_lo, v33, 4
	v_add_co_ci_u32_e32 v34, vcc_lo, 0, v34, vcc_lo
	v_add_co_u32 v35, s2, v35, 4
	s_delay_alu instid0(VALU_DEP_1)
	v_add_co_ci_u32_e64 v36, s2, 0, v36, s2
	s_add_u32 s6, s6, 1
	s_addc_u32 s7, s7, 0
	s_and_not1_b32 s2, s29, exec_lo
	s_waitcnt vmcnt(0)
	v_cmp_ne_u32_e32 vcc_lo, v37, v38
	s_and_b32 s29, vcc_lo, exec_lo
	s_delay_alu instid0(SALU_CYCLE_1)
	s_or_b32 s29, s2, s29
.LBB479_304:                            ;   in Loop: Header=BB479_305 Depth=1
	v_dual_mov_b32 v38, s7 :: v_dual_mov_b32 v37, s6
	s_and_b32 s2, exec_lo, s29
	s_delay_alu instid0(SALU_CYCLE_1) | instskip(NEXT) | instid1(SALU_CYCLE_1)
	s_or_b32 s27, s2, s27
	s_and_not1_b32 exec_lo, exec_lo, s27
	s_cbranch_execz .LBB479_307
.LBB479_305:                            ; =>This Inner Loop Header: Depth=1
	s_or_b32 s29, s29, exec_lo
	s_cmp_eq_u64 s[4:5], s[6:7]
	s_cbranch_scc0 .LBB479_303
; %bb.306:                              ;   in Loop: Header=BB479_305 Depth=1
	s_mov_b64 s[6:7], s[22:23]
                                        ; implicit-def: $vgpr33_vgpr34
                                        ; implicit-def: $vgpr35_vgpr36
	s_branch .LBB479_304
.LBB479_307:
	s_set_inst_prefetch_distance 0x2
	s_or_b32 exec_lo, exec_lo, s27
	v_cmp_gt_i64_e32 vcc_lo, s[22:23], v[37:38]
	s_or_not1_b32 s2, vcc_lo, exec_lo
.LBB479_308:
	s_or_b32 exec_lo, exec_lo, s19
.LBB479_309:
	s_delay_alu instid0(SALU_CYCLE_1)
	s_and_b32 s19, s2, exec_lo
.LBB479_310:
	s_or_b32 exec_lo, exec_lo, s26
	v_or_b32_e32 v33, 5, v55
	s_mov_b32 s26, 0
	s_mov_b32 s27, 0
	s_mov_b32 s29, exec_lo
	s_delay_alu instid0(VALU_DEP_1)
	v_cmpx_gt_u32_e64 s28, v33
	s_cbranch_execz .LBB479_321
; %bb.311:
	s_and_not1_b32 vcc_lo, exec_lo, s18
	s_mov_b32 s2, 0
	s_cbranch_vccnz .LBB479_320
; %bb.312:
	v_mul_lo_u32 v37, v22, s22
	v_mul_lo_u32 v38, v21, s23
	v_mad_u64_u32 v[33:34], null, v21, s22, 0
	v_mul_lo_u32 v39, v24, s22
	v_mul_lo_u32 v40, v23, s23
	v_mad_u64_u32 v[35:36], null, v23, s22, 0
	s_mov_b32 s2, -1
	s_mov_b32 s27, exec_lo
	s_delay_alu instid0(VALU_DEP_4) | instskip(NEXT) | instid1(VALU_DEP_2)
	v_add3_u32 v34, v34, v38, v37
	v_add3_u32 v36, v36, v40, v39
	s_delay_alu instid0(VALU_DEP_2) | instskip(NEXT) | instid1(VALU_DEP_2)
	v_lshlrev_b64 v[33:34], 2, v[33:34]
	v_lshlrev_b64 v[37:38], 2, v[35:36]
	s_delay_alu instid0(VALU_DEP_2) | instskip(NEXT) | instid1(VALU_DEP_3)
	v_add_co_u32 v35, vcc_lo, s8, v33
	v_add_co_ci_u32_e32 v36, vcc_lo, s9, v34, vcc_lo
	s_delay_alu instid0(VALU_DEP_3) | instskip(NEXT) | instid1(VALU_DEP_4)
	v_add_co_u32 v33, vcc_lo, s8, v37
	v_add_co_ci_u32_e32 v34, vcc_lo, s9, v38, vcc_lo
	s_clause 0x1
	global_load_b32 v37, v[35:36], off
	global_load_b32 v38, v[33:34], off
	s_waitcnt vmcnt(0)
	v_cmpx_eq_u32_e64 v37, v38
	s_cbranch_execz .LBB479_319
; %bb.313:
	v_add_co_u32 v33, vcc_lo, v33, 4
	v_add_co_ci_u32_e32 v34, vcc_lo, 0, v34, vcc_lo
	v_add_co_u32 v35, vcc_lo, v35, 4
	v_add_co_ci_u32_e32 v36, vcc_lo, 0, v36, vcc_lo
	s_add_u32 s4, s22, -1
	s_addc_u32 s5, s23, -1
	s_mov_b64 s[6:7], 0
	s_mov_b32 s30, 0
                                        ; implicit-def: $sgpr31
	s_set_inst_prefetch_distance 0x1
	s_branch .LBB479_316
	.p2align	6
.LBB479_314:                            ;   in Loop: Header=BB479_316 Depth=1
	global_load_b32 v37, v[35:36], off
	global_load_b32 v38, v[33:34], off
	v_add_co_u32 v33, vcc_lo, v33, 4
	v_add_co_ci_u32_e32 v34, vcc_lo, 0, v34, vcc_lo
	v_add_co_u32 v35, s2, v35, 4
	s_delay_alu instid0(VALU_DEP_1)
	v_add_co_ci_u32_e64 v36, s2, 0, v36, s2
	s_add_u32 s6, s6, 1
	s_addc_u32 s7, s7, 0
	s_and_not1_b32 s2, s31, exec_lo
	s_waitcnt vmcnt(0)
	v_cmp_ne_u32_e32 vcc_lo, v37, v38
	s_and_b32 s31, vcc_lo, exec_lo
	s_delay_alu instid0(SALU_CYCLE_1)
	s_or_b32 s31, s2, s31
.LBB479_315:                            ;   in Loop: Header=BB479_316 Depth=1
	v_dual_mov_b32 v38, s7 :: v_dual_mov_b32 v37, s6
	s_and_b32 s2, exec_lo, s31
	s_delay_alu instid0(SALU_CYCLE_1) | instskip(NEXT) | instid1(SALU_CYCLE_1)
	s_or_b32 s30, s2, s30
	s_and_not1_b32 exec_lo, exec_lo, s30
	s_cbranch_execz .LBB479_318
.LBB479_316:                            ; =>This Inner Loop Header: Depth=1
	s_or_b32 s31, s31, exec_lo
	s_cmp_eq_u64 s[4:5], s[6:7]
	s_cbranch_scc0 .LBB479_314
; %bb.317:                              ;   in Loop: Header=BB479_316 Depth=1
	s_mov_b64 s[6:7], s[22:23]
                                        ; implicit-def: $vgpr33_vgpr34
                                        ; implicit-def: $vgpr35_vgpr36
	s_branch .LBB479_315
.LBB479_318:
	s_set_inst_prefetch_distance 0x2
	s_or_b32 exec_lo, exec_lo, s30
	v_cmp_gt_i64_e32 vcc_lo, s[22:23], v[37:38]
	s_or_not1_b32 s2, vcc_lo, exec_lo
.LBB479_319:
	s_or_b32 exec_lo, exec_lo, s27
.LBB479_320:
	s_delay_alu instid0(SALU_CYCLE_1)
	s_and_b32 s27, s2, exec_lo
.LBB479_321:
	s_or_b32 exec_lo, exec_lo, s29
	v_or_b32_e32 v33, 4, v55
	s_mov_b32 s29, exec_lo
	s_delay_alu instid0(VALU_DEP_1)
	v_cmpx_gt_u32_e64 s28, v33
	s_cbranch_execz .LBB479_332
; %bb.322:
	s_and_not1_b32 vcc_lo, exec_lo, s18
	s_mov_b32 s2, 0
	s_cbranch_vccnz .LBB479_331
; %bb.323:
	v_mul_lo_u32 v37, v28, s22
	v_mul_lo_u32 v38, v27, s23
	v_mad_u64_u32 v[33:34], null, v27, s22, 0
	v_mul_lo_u32 v39, v22, s22
	v_mul_lo_u32 v40, v21, s23
	v_mad_u64_u32 v[35:36], null, v21, s22, 0
	s_mov_b32 s2, -1
	s_mov_b32 s26, exec_lo
	s_delay_alu instid0(VALU_DEP_4) | instskip(NEXT) | instid1(VALU_DEP_2)
	v_add3_u32 v34, v34, v38, v37
	v_add3_u32 v36, v36, v40, v39
	s_delay_alu instid0(VALU_DEP_2) | instskip(NEXT) | instid1(VALU_DEP_2)
	v_lshlrev_b64 v[33:34], 2, v[33:34]
	v_lshlrev_b64 v[37:38], 2, v[35:36]
	s_delay_alu instid0(VALU_DEP_2) | instskip(NEXT) | instid1(VALU_DEP_3)
	v_add_co_u32 v35, vcc_lo, s8, v33
	v_add_co_ci_u32_e32 v36, vcc_lo, s9, v34, vcc_lo
	s_delay_alu instid0(VALU_DEP_3) | instskip(NEXT) | instid1(VALU_DEP_4)
	v_add_co_u32 v33, vcc_lo, s8, v37
	v_add_co_ci_u32_e32 v34, vcc_lo, s9, v38, vcc_lo
	s_clause 0x1
	global_load_b32 v37, v[35:36], off
	global_load_b32 v38, v[33:34], off
	s_waitcnt vmcnt(0)
	v_cmpx_eq_u32_e64 v37, v38
	s_cbranch_execz .LBB479_330
; %bb.324:
	v_add_co_u32 v33, vcc_lo, v33, 4
	v_add_co_ci_u32_e32 v34, vcc_lo, 0, v34, vcc_lo
	v_add_co_u32 v35, vcc_lo, v35, 4
	v_add_co_ci_u32_e32 v36, vcc_lo, 0, v36, vcc_lo
	s_add_u32 s4, s22, -1
	s_addc_u32 s5, s23, -1
	s_mov_b64 s[6:7], 0
	s_mov_b32 s30, 0
                                        ; implicit-def: $sgpr31
	s_set_inst_prefetch_distance 0x1
	s_branch .LBB479_327
	.p2align	6
.LBB479_325:                            ;   in Loop: Header=BB479_327 Depth=1
	global_load_b32 v37, v[35:36], off
	global_load_b32 v38, v[33:34], off
	v_add_co_u32 v33, vcc_lo, v33, 4
	v_add_co_ci_u32_e32 v34, vcc_lo, 0, v34, vcc_lo
	v_add_co_u32 v35, s2, v35, 4
	s_delay_alu instid0(VALU_DEP_1)
	v_add_co_ci_u32_e64 v36, s2, 0, v36, s2
	s_add_u32 s6, s6, 1
	s_addc_u32 s7, s7, 0
	s_and_not1_b32 s2, s31, exec_lo
	s_waitcnt vmcnt(0)
	v_cmp_ne_u32_e32 vcc_lo, v37, v38
	s_and_b32 s31, vcc_lo, exec_lo
	s_delay_alu instid0(SALU_CYCLE_1)
	s_or_b32 s31, s2, s31
.LBB479_326:                            ;   in Loop: Header=BB479_327 Depth=1
	v_dual_mov_b32 v38, s7 :: v_dual_mov_b32 v37, s6
	s_and_b32 s2, exec_lo, s31
	s_delay_alu instid0(SALU_CYCLE_1) | instskip(NEXT) | instid1(SALU_CYCLE_1)
	s_or_b32 s30, s2, s30
	s_and_not1_b32 exec_lo, exec_lo, s30
	s_cbranch_execz .LBB479_329
.LBB479_327:                            ; =>This Inner Loop Header: Depth=1
	s_or_b32 s31, s31, exec_lo
	s_cmp_eq_u64 s[4:5], s[6:7]
	s_cbranch_scc0 .LBB479_325
; %bb.328:                              ;   in Loop: Header=BB479_327 Depth=1
	s_mov_b64 s[6:7], s[22:23]
                                        ; implicit-def: $vgpr33_vgpr34
                                        ; implicit-def: $vgpr35_vgpr36
	s_branch .LBB479_326
.LBB479_329:
	s_set_inst_prefetch_distance 0x2
	s_or_b32 exec_lo, exec_lo, s30
	v_cmp_gt_i64_e32 vcc_lo, s[22:23], v[37:38]
	s_or_not1_b32 s2, vcc_lo, exec_lo
.LBB479_330:
	s_or_b32 exec_lo, exec_lo, s26
.LBB479_331:
	s_delay_alu instid0(SALU_CYCLE_1)
	s_and_b32 s26, s2, exec_lo
.LBB479_332:
	s_or_b32 exec_lo, exec_lo, s29
	v_or_b32_e32 v33, 3, v55
	s_mov_b32 s30, 0
	s_mov_b32 s29, 0
	s_mov_b32 s31, exec_lo
	s_delay_alu instid0(VALU_DEP_1)
	v_cmpx_gt_u32_e64 s28, v33
	s_cbranch_execz .LBB479_343
; %bb.333:
	s_and_not1_b32 vcc_lo, exec_lo, s18
	s_mov_b32 s2, 0
	s_cbranch_vccnz .LBB479_342
; %bb.334:
	v_mul_lo_u32 v37, v26, s22
	v_mul_lo_u32 v38, v25, s23
	v_mad_u64_u32 v[33:34], null, v25, s22, 0
	v_mul_lo_u32 v39, v28, s22
	v_mul_lo_u32 v40, v27, s23
	v_mad_u64_u32 v[35:36], null, v27, s22, 0
	s_mov_b32 s2, -1
	s_mov_b32 s29, exec_lo
	s_delay_alu instid0(VALU_DEP_4) | instskip(NEXT) | instid1(VALU_DEP_2)
	v_add3_u32 v34, v34, v38, v37
	v_add3_u32 v36, v36, v40, v39
	s_delay_alu instid0(VALU_DEP_2) | instskip(NEXT) | instid1(VALU_DEP_2)
	v_lshlrev_b64 v[33:34], 2, v[33:34]
	v_lshlrev_b64 v[37:38], 2, v[35:36]
	s_delay_alu instid0(VALU_DEP_2) | instskip(NEXT) | instid1(VALU_DEP_3)
	v_add_co_u32 v35, vcc_lo, s8, v33
	v_add_co_ci_u32_e32 v36, vcc_lo, s9, v34, vcc_lo
	s_delay_alu instid0(VALU_DEP_3) | instskip(NEXT) | instid1(VALU_DEP_4)
	v_add_co_u32 v33, vcc_lo, s8, v37
	v_add_co_ci_u32_e32 v34, vcc_lo, s9, v38, vcc_lo
	s_clause 0x1
	global_load_b32 v37, v[35:36], off
	global_load_b32 v38, v[33:34], off
	s_waitcnt vmcnt(0)
	v_cmpx_eq_u32_e64 v37, v38
	s_cbranch_execz .LBB479_341
; %bb.335:
	v_add_co_u32 v33, vcc_lo, v33, 4
	v_add_co_ci_u32_e32 v34, vcc_lo, 0, v34, vcc_lo
	v_add_co_u32 v35, vcc_lo, v35, 4
	v_add_co_ci_u32_e32 v36, vcc_lo, 0, v36, vcc_lo
	s_add_u32 s4, s22, -1
	s_addc_u32 s5, s23, -1
	s_mov_b64 s[6:7], 0
	s_mov_b32 s33, 0
                                        ; implicit-def: $sgpr34
	s_set_inst_prefetch_distance 0x1
	s_branch .LBB479_338
	.p2align	6
.LBB479_336:                            ;   in Loop: Header=BB479_338 Depth=1
	global_load_b32 v37, v[35:36], off
	global_load_b32 v38, v[33:34], off
	v_add_co_u32 v33, vcc_lo, v33, 4
	v_add_co_ci_u32_e32 v34, vcc_lo, 0, v34, vcc_lo
	v_add_co_u32 v35, s2, v35, 4
	s_delay_alu instid0(VALU_DEP_1)
	v_add_co_ci_u32_e64 v36, s2, 0, v36, s2
	s_add_u32 s6, s6, 1
	s_addc_u32 s7, s7, 0
	s_and_not1_b32 s2, s34, exec_lo
	s_waitcnt vmcnt(0)
	v_cmp_ne_u32_e32 vcc_lo, v37, v38
	s_and_b32 s34, vcc_lo, exec_lo
	s_delay_alu instid0(SALU_CYCLE_1)
	s_or_b32 s34, s2, s34
.LBB479_337:                            ;   in Loop: Header=BB479_338 Depth=1
	v_dual_mov_b32 v38, s7 :: v_dual_mov_b32 v37, s6
	s_and_b32 s2, exec_lo, s34
	s_delay_alu instid0(SALU_CYCLE_1) | instskip(NEXT) | instid1(SALU_CYCLE_1)
	s_or_b32 s33, s2, s33
	s_and_not1_b32 exec_lo, exec_lo, s33
	s_cbranch_execz .LBB479_340
.LBB479_338:                            ; =>This Inner Loop Header: Depth=1
	s_or_b32 s34, s34, exec_lo
	s_cmp_eq_u64 s[4:5], s[6:7]
	s_cbranch_scc0 .LBB479_336
; %bb.339:                              ;   in Loop: Header=BB479_338 Depth=1
	s_mov_b64 s[6:7], s[22:23]
                                        ; implicit-def: $vgpr33_vgpr34
                                        ; implicit-def: $vgpr35_vgpr36
	s_branch .LBB479_337
.LBB479_340:
	s_set_inst_prefetch_distance 0x2
	s_or_b32 exec_lo, exec_lo, s33
	v_cmp_gt_i64_e32 vcc_lo, s[22:23], v[37:38]
	s_or_not1_b32 s2, vcc_lo, exec_lo
.LBB479_341:
	s_or_b32 exec_lo, exec_lo, s29
.LBB479_342:
	s_delay_alu instid0(SALU_CYCLE_1)
	s_and_b32 s29, s2, exec_lo
.LBB479_343:
	s_or_b32 exec_lo, exec_lo, s31
	v_or_b32_e32 v33, 2, v55
	s_mov_b32 s31, exec_lo
	s_delay_alu instid0(VALU_DEP_1)
	v_cmpx_gt_u32_e64 s28, v33
	s_cbranch_execz .LBB479_354
; %bb.344:
	s_and_not1_b32 vcc_lo, exec_lo, s18
	s_mov_b32 s2, 0
	s_cbranch_vccnz .LBB479_353
; %bb.345:
	v_mul_lo_u32 v37, v32, s22
	v_mul_lo_u32 v38, v31, s23
	v_mad_u64_u32 v[33:34], null, v31, s22, 0
	v_mul_lo_u32 v39, v26, s22
	v_mul_lo_u32 v40, v25, s23
	v_mad_u64_u32 v[35:36], null, v25, s22, 0
	s_mov_b32 s2, -1
	s_mov_b32 s30, exec_lo
	s_delay_alu instid0(VALU_DEP_4) | instskip(NEXT) | instid1(VALU_DEP_2)
	v_add3_u32 v34, v34, v38, v37
	v_add3_u32 v36, v36, v40, v39
	s_delay_alu instid0(VALU_DEP_2) | instskip(NEXT) | instid1(VALU_DEP_2)
	v_lshlrev_b64 v[33:34], 2, v[33:34]
	v_lshlrev_b64 v[37:38], 2, v[35:36]
	s_delay_alu instid0(VALU_DEP_2) | instskip(NEXT) | instid1(VALU_DEP_3)
	v_add_co_u32 v35, vcc_lo, s8, v33
	v_add_co_ci_u32_e32 v36, vcc_lo, s9, v34, vcc_lo
	s_delay_alu instid0(VALU_DEP_3) | instskip(NEXT) | instid1(VALU_DEP_4)
	v_add_co_u32 v33, vcc_lo, s8, v37
	v_add_co_ci_u32_e32 v34, vcc_lo, s9, v38, vcc_lo
	s_clause 0x1
	global_load_b32 v37, v[35:36], off
	global_load_b32 v38, v[33:34], off
	s_waitcnt vmcnt(0)
	v_cmpx_eq_u32_e64 v37, v38
	s_cbranch_execz .LBB479_352
; %bb.346:
	v_add_co_u32 v33, vcc_lo, v33, 4
	v_add_co_ci_u32_e32 v34, vcc_lo, 0, v34, vcc_lo
	v_add_co_u32 v35, vcc_lo, v35, 4
	v_add_co_ci_u32_e32 v36, vcc_lo, 0, v36, vcc_lo
	s_add_u32 s4, s22, -1
	s_addc_u32 s5, s23, -1
	s_mov_b64 s[6:7], 0
	s_mov_b32 s33, 0
                                        ; implicit-def: $sgpr34
	s_set_inst_prefetch_distance 0x1
	s_branch .LBB479_349
	.p2align	6
.LBB479_347:                            ;   in Loop: Header=BB479_349 Depth=1
	global_load_b32 v37, v[35:36], off
	global_load_b32 v38, v[33:34], off
	v_add_co_u32 v33, vcc_lo, v33, 4
	v_add_co_ci_u32_e32 v34, vcc_lo, 0, v34, vcc_lo
	v_add_co_u32 v35, s2, v35, 4
	s_delay_alu instid0(VALU_DEP_1)
	v_add_co_ci_u32_e64 v36, s2, 0, v36, s2
	s_add_u32 s6, s6, 1
	s_addc_u32 s7, s7, 0
	s_and_not1_b32 s2, s34, exec_lo
	s_waitcnt vmcnt(0)
	v_cmp_ne_u32_e32 vcc_lo, v37, v38
	s_and_b32 s34, vcc_lo, exec_lo
	s_delay_alu instid0(SALU_CYCLE_1)
	s_or_b32 s34, s2, s34
.LBB479_348:                            ;   in Loop: Header=BB479_349 Depth=1
	v_dual_mov_b32 v38, s7 :: v_dual_mov_b32 v37, s6
	s_and_b32 s2, exec_lo, s34
	s_delay_alu instid0(SALU_CYCLE_1) | instskip(NEXT) | instid1(SALU_CYCLE_1)
	s_or_b32 s33, s2, s33
	s_and_not1_b32 exec_lo, exec_lo, s33
	s_cbranch_execz .LBB479_351
.LBB479_349:                            ; =>This Inner Loop Header: Depth=1
	s_or_b32 s34, s34, exec_lo
	s_cmp_eq_u64 s[4:5], s[6:7]
	s_cbranch_scc0 .LBB479_347
; %bb.350:                              ;   in Loop: Header=BB479_349 Depth=1
	s_mov_b64 s[6:7], s[22:23]
                                        ; implicit-def: $vgpr33_vgpr34
                                        ; implicit-def: $vgpr35_vgpr36
	s_branch .LBB479_348
.LBB479_351:
	s_set_inst_prefetch_distance 0x2
	s_or_b32 exec_lo, exec_lo, s33
	v_cmp_gt_i64_e32 vcc_lo, s[22:23], v[37:38]
	s_or_not1_b32 s2, vcc_lo, exec_lo
.LBB479_352:
	s_or_b32 exec_lo, exec_lo, s30
.LBB479_353:
	s_delay_alu instid0(SALU_CYCLE_1)
	s_and_b32 s30, s2, exec_lo
.LBB479_354:
	s_or_b32 exec_lo, exec_lo, s31
	v_or_b32_e32 v33, 1, v55
	s_mov_b32 s2, 0
	s_mov_b32 s31, exec_lo
	s_delay_alu instid0(VALU_DEP_1)
	v_cmpx_gt_u32_e64 s28, v33
	s_cbranch_execz .LBB479_365
; %bb.355:
	s_and_not1_b32 vcc_lo, exec_lo, s18
	s_cbranch_vccnz .LBB479_364
; %bb.356:
	v_mul_lo_u32 v37, v30, s22
	v_mul_lo_u32 v38, v29, s23
	v_mad_u64_u32 v[33:34], null, v29, s22, 0
	v_mul_lo_u32 v39, v32, s22
	v_mul_lo_u32 v40, v31, s23
	v_mad_u64_u32 v[35:36], null, v31, s22, 0
	s_mov_b32 s2, -1
	s_mov_b32 s33, exec_lo
	s_delay_alu instid0(VALU_DEP_4) | instskip(NEXT) | instid1(VALU_DEP_2)
	v_add3_u32 v34, v34, v38, v37
	v_add3_u32 v36, v36, v40, v39
	s_delay_alu instid0(VALU_DEP_2) | instskip(NEXT) | instid1(VALU_DEP_2)
	v_lshlrev_b64 v[33:34], 2, v[33:34]
	v_lshlrev_b64 v[37:38], 2, v[35:36]
	s_delay_alu instid0(VALU_DEP_2) | instskip(NEXT) | instid1(VALU_DEP_3)
	v_add_co_u32 v35, vcc_lo, s8, v33
	v_add_co_ci_u32_e32 v36, vcc_lo, s9, v34, vcc_lo
	s_delay_alu instid0(VALU_DEP_3) | instskip(NEXT) | instid1(VALU_DEP_4)
	v_add_co_u32 v33, vcc_lo, s8, v37
	v_add_co_ci_u32_e32 v34, vcc_lo, s9, v38, vcc_lo
	s_clause 0x1
	global_load_b32 v37, v[35:36], off
	global_load_b32 v38, v[33:34], off
	s_waitcnt vmcnt(0)
	v_cmpx_eq_u32_e64 v37, v38
	s_cbranch_execz .LBB479_363
; %bb.357:
	v_add_co_u32 v33, vcc_lo, v33, 4
	v_add_co_ci_u32_e32 v34, vcc_lo, 0, v34, vcc_lo
	v_add_co_u32 v35, vcc_lo, v35, 4
	v_add_co_ci_u32_e32 v36, vcc_lo, 0, v36, vcc_lo
	s_add_u32 s4, s22, -1
	s_addc_u32 s5, s23, -1
	s_mov_b64 s[6:7], 0
	s_mov_b32 s34, 0
                                        ; implicit-def: $sgpr35
	s_set_inst_prefetch_distance 0x1
	s_branch .LBB479_360
	.p2align	6
.LBB479_358:                            ;   in Loop: Header=BB479_360 Depth=1
	global_load_b32 v37, v[35:36], off
	global_load_b32 v38, v[33:34], off
	v_add_co_u32 v33, vcc_lo, v33, 4
	v_add_co_ci_u32_e32 v34, vcc_lo, 0, v34, vcc_lo
	v_add_co_u32 v35, s2, v35, 4
	s_delay_alu instid0(VALU_DEP_1)
	v_add_co_ci_u32_e64 v36, s2, 0, v36, s2
	s_add_u32 s6, s6, 1
	s_addc_u32 s7, s7, 0
	s_and_not1_b32 s2, s35, exec_lo
	s_waitcnt vmcnt(0)
	v_cmp_ne_u32_e32 vcc_lo, v37, v38
	s_and_b32 s35, vcc_lo, exec_lo
	s_delay_alu instid0(SALU_CYCLE_1)
	s_or_b32 s35, s2, s35
.LBB479_359:                            ;   in Loop: Header=BB479_360 Depth=1
	v_dual_mov_b32 v38, s7 :: v_dual_mov_b32 v37, s6
	s_and_b32 s2, exec_lo, s35
	s_delay_alu instid0(SALU_CYCLE_1) | instskip(NEXT) | instid1(SALU_CYCLE_1)
	s_or_b32 s34, s2, s34
	s_and_not1_b32 exec_lo, exec_lo, s34
	s_cbranch_execz .LBB479_362
.LBB479_360:                            ; =>This Inner Loop Header: Depth=1
	s_or_b32 s35, s35, exec_lo
	s_cmp_eq_u64 s[4:5], s[6:7]
	s_cbranch_scc0 .LBB479_358
; %bb.361:                              ;   in Loop: Header=BB479_360 Depth=1
	s_mov_b64 s[6:7], s[22:23]
                                        ; implicit-def: $vgpr33_vgpr34
                                        ; implicit-def: $vgpr35_vgpr36
	s_branch .LBB479_359
.LBB479_362:
	s_set_inst_prefetch_distance 0x2
	s_or_b32 exec_lo, exec_lo, s34
	v_cmp_gt_i64_e32 vcc_lo, s[22:23], v[37:38]
	s_or_not1_b32 s2, vcc_lo, exec_lo
.LBB479_363:
	s_or_b32 exec_lo, exec_lo, s33
.LBB479_364:
	s_delay_alu instid0(SALU_CYCLE_1)
	s_and_b32 s2, s2, exec_lo
.LBB479_365:
	s_or_b32 exec_lo, exec_lo, s31
	v_cndmask_b32_e64 v34, 0, 1, s29
	v_cndmask_b32_e64 v35, 0, 1, s27
	;; [unrolled: 1-line block ×7, first 2 shown]
	v_lshlrev_b16 v35, 8, v35
	v_lshlrev_b16 v36, 8, v36
	;; [unrolled: 1-line block ×4, first 2 shown]
	s_mov_b32 s19, exec_lo
	v_or_b32_e32 v35, v38, v35
	v_or_b32_e32 v36, v39, v36
	v_or_b32_e32 v37, 1, v37
	v_or_b32_e32 v33, v33, v34
	s_waitcnt lgkmcnt(0)
	v_and_b32_e32 v34, 0xffff, v35
	v_lshlrev_b32_e32 v35, 16, v36
	v_and_b32_e32 v36, 0xffff, v37
	v_lshlrev_b32_e32 v33, 16, v33
	s_barrier
	buffer_gl0_inv
	v_or_b32_e32 v34, v34, v35
                                        ; implicit-def: $sgpr2
	v_or_b32_e32 v33, v36, v33
	v_cmpx_ne_u32_e32 0, v0
	s_cbranch_execz .LBB479_378
; %bb.366:
	s_mov_b32 s2, 0
	s_mov_b32 s25, exec_lo
	v_cmpx_gt_u32_e64 s28, v55
	s_cbranch_execz .LBB479_377
; %bb.367:
	s_and_not1_b32 vcc_lo, exec_lo, s18
	s_cbranch_vccnz .LBB479_376
; %bb.368:
	v_add_nc_u32_e32 v35, -8, v55
	v_mul_lo_u32 v42, v29, s23
	v_mad_u64_u32 v[38:39], null, v29, s22, 0
	s_mov_b32 s2, -1
	ds_load_b64 v[35:36], v35
	s_waitcnt lgkmcnt(0)
	v_mul_lo_u32 v40, v36, s22
	v_mul_lo_u32 v41, v35, s23
	v_mad_u64_u32 v[36:37], null, v35, s22, 0
	v_mul_lo_u32 v35, v30, s22
	s_delay_alu instid0(VALU_DEP_2) | instskip(NEXT) | instid1(VALU_DEP_2)
	v_add3_u32 v37, v37, v41, v40
	v_add3_u32 v39, v39, v42, v35
	s_delay_alu instid0(VALU_DEP_2) | instskip(NEXT) | instid1(VALU_DEP_2)
	v_lshlrev_b64 v[35:36], 2, v[36:37]
	v_lshlrev_b64 v[39:40], 2, v[38:39]
	s_delay_alu instid0(VALU_DEP_2) | instskip(NEXT) | instid1(VALU_DEP_3)
	v_add_co_u32 v37, vcc_lo, s8, v35
	v_add_co_ci_u32_e32 v38, vcc_lo, s9, v36, vcc_lo
	s_delay_alu instid0(VALU_DEP_3) | instskip(NEXT) | instid1(VALU_DEP_4)
	v_add_co_u32 v35, vcc_lo, s8, v39
	v_add_co_ci_u32_e32 v36, vcc_lo, s9, v40, vcc_lo
	s_clause 0x1
	global_load_b32 v39, v[37:38], off
	global_load_b32 v40, v[35:36], off
	s_mov_b32 s8, exec_lo
	s_waitcnt vmcnt(0)
	v_cmpx_eq_u32_e64 v39, v40
	s_cbranch_execz .LBB479_375
; %bb.369:
	v_add_co_u32 v35, vcc_lo, v35, 4
	v_add_co_ci_u32_e32 v36, vcc_lo, 0, v36, vcc_lo
	v_add_co_u32 v37, vcc_lo, v37, 4
	v_add_co_ci_u32_e32 v38, vcc_lo, 0, v38, vcc_lo
	s_add_u32 s4, s22, -1
	s_addc_u32 s5, s23, -1
	s_mov_b64 s[6:7], 0
	s_mov_b32 s9, 0
                                        ; implicit-def: $sgpr18
	s_set_inst_prefetch_distance 0x1
	s_branch .LBB479_372
	.p2align	6
.LBB479_370:                            ;   in Loop: Header=BB479_372 Depth=1
	global_load_b32 v39, v[37:38], off
	global_load_b32 v40, v[35:36], off
	v_add_co_u32 v35, vcc_lo, v35, 4
	v_add_co_ci_u32_e32 v36, vcc_lo, 0, v36, vcc_lo
	v_add_co_u32 v37, s2, v37, 4
	s_delay_alu instid0(VALU_DEP_1)
	v_add_co_ci_u32_e64 v38, s2, 0, v38, s2
	s_add_u32 s6, s6, 1
	s_addc_u32 s7, s7, 0
	s_and_not1_b32 s2, s18, exec_lo
	s_waitcnt vmcnt(0)
	v_cmp_ne_u32_e32 vcc_lo, v39, v40
	s_and_b32 s18, vcc_lo, exec_lo
	s_delay_alu instid0(SALU_CYCLE_1)
	s_or_b32 s18, s2, s18
.LBB479_371:                            ;   in Loop: Header=BB479_372 Depth=1
	v_dual_mov_b32 v40, s7 :: v_dual_mov_b32 v39, s6
	s_and_b32 s2, exec_lo, s18
	s_delay_alu instid0(SALU_CYCLE_1) | instskip(NEXT) | instid1(SALU_CYCLE_1)
	s_or_b32 s9, s2, s9
	s_and_not1_b32 exec_lo, exec_lo, s9
	s_cbranch_execz .LBB479_374
.LBB479_372:                            ; =>This Inner Loop Header: Depth=1
	s_or_b32 s18, s18, exec_lo
	s_cmp_eq_u64 s[4:5], s[6:7]
	s_cbranch_scc0 .LBB479_370
; %bb.373:                              ;   in Loop: Header=BB479_372 Depth=1
	s_mov_b64 s[6:7], s[22:23]
                                        ; implicit-def: $vgpr35_vgpr36
                                        ; implicit-def: $vgpr37_vgpr38
	s_branch .LBB479_371
.LBB479_374:
	s_set_inst_prefetch_distance 0x2
	s_or_b32 exec_lo, exec_lo, s9
	v_cmp_gt_i64_e32 vcc_lo, s[22:23], v[39:40]
	s_or_not1_b32 s2, vcc_lo, exec_lo
.LBB479_375:
	s_or_b32 exec_lo, exec_lo, s8
.LBB479_376:
	s_delay_alu instid0(SALU_CYCLE_1)
	s_and_b32 s2, s2, exec_lo
.LBB479_377:
	s_or_b32 exec_lo, exec_lo, s25
	s_delay_alu instid0(SALU_CYCLE_1)
	s_and_b32 s2, s2, exec_lo
	s_or_b32 s3, s3, exec_lo
.LBB479_378:
	s_or_b32 exec_lo, exec_lo, s19
.LBB479_379:
	s_and_saveexec_b32 s4, s3
; %bb.380:
	v_and_b32_e32 v35, 0xffffff00, v33
	v_cndmask_b32_e64 v36, 0, 1, s2
	s_delay_alu instid0(VALU_DEP_1) | instskip(NEXT) | instid1(VALU_DEP_1)
	v_or_b32_e32 v35, v36, v35
	v_and_b32_e32 v35, 0xffff, v35
	s_delay_alu instid0(VALU_DEP_1)
	v_and_or_b32 v33, 0xffff0000, v33, v35
; %bb.381:
	s_or_b32 exec_lo, exec_lo, s4
	s_delay_alu instid0(SALU_CYCLE_1)
	s_and_not1_b32 vcc_lo, exec_lo, s21
	s_cbranch_vccnz .LBB479_383
; %bb.382:
	v_cmp_gt_u32_e32 vcc_lo, s28, v55
	v_or_b32_e32 v36, 1, v55
	v_and_b32_e32 v37, 0xffffff00, v34
	v_or_b32_e32 v38, 2, v55
	v_cndmask_b32_e32 v35, 0, v33, vcc_lo
	s_delay_alu instid0(VALU_DEP_4) | instskip(SKIP_1) | instid1(VALU_DEP_4)
	v_cmp_gt_u32_e32 vcc_lo, s28, v36
	v_or_b32_e32 v36, 4, v55
	v_cmp_gt_u32_e64 s2, s28, v38
	v_or_b32_e32 v38, 3, v55
	v_and_b32_e32 v35, 0xff, v35
	s_delay_alu instid0(VALU_DEP_2) | instskip(NEXT) | instid1(VALU_DEP_2)
	v_cmp_gt_u32_e64 s3, s28, v38
	v_cndmask_b32_e32 v35, v35, v33, vcc_lo
	v_cmp_gt_u32_e32 vcc_lo, s28, v36
	v_cndmask_b32_e32 v36, v37, v34, vcc_lo
	v_or_b32_e32 v37, 5, v55
	s_delay_alu instid0(VALU_DEP_2) | instskip(SKIP_1) | instid1(VALU_DEP_1)
	v_and_b32_e32 v36, 0xffff00ff, v36
	v_and_b32_e32 v35, 0xffff, v35
	v_cndmask_b32_e64 v35, v35, v33, s2
	s_delay_alu instid0(VALU_DEP_4) | instskip(SKIP_1) | instid1(VALU_DEP_3)
	v_cmp_gt_u32_e64 s2, s28, v37
	v_or_b32_e32 v37, 6, v55
	v_and_b32_e32 v35, 0xffffff, v35
	s_delay_alu instid0(VALU_DEP_3) | instskip(NEXT) | instid1(VALU_DEP_2)
	v_cndmask_b32_e64 v36, v36, v34, s2
	v_cndmask_b32_e64 v35, v35, v33, s3
	s_delay_alu instid0(VALU_DEP_1) | instskip(SKIP_2) | instid1(VALU_DEP_3)
	v_dual_cndmask_b32 v35, v35, v33 :: v_dual_and_b32 v36, 0xff00ffff, v36
	v_cmp_gt_u32_e32 vcc_lo, s28, v37
	v_or_b32_e32 v37, 7, v55
	v_cndmask_b32_e64 v35, v35, v33, s2
	s_delay_alu instid0(VALU_DEP_1) | instskip(NEXT) | instid1(VALU_DEP_1)
	v_dual_cndmask_b32 v36, v36, v34 :: v_dual_cndmask_b32 v35, v35, v33
	v_and_b32_e32 v36, 0xffffff, v36
	s_delay_alu instid0(VALU_DEP_4) | instskip(NEXT) | instid1(VALU_DEP_2)
	v_cmp_gt_u32_e32 vcc_lo, s28, v37
	v_dual_cndmask_b32 v34, v36, v34 :: v_dual_cndmask_b32 v33, v35, v33
.LBB479_383:
	s_delay_alu instid0(VALU_DEP_1) | instskip(NEXT) | instid1(VALU_DEP_2)
	v_and_b32_e32 v42, 0xff, v33
	v_alignbit_b32 v35, v34, v33, 24
	v_bfe_u32 v44, v33, 8, 8
	v_bfe_u32 v46, v33, 16, 8
	v_and_b32_e32 v50, 0xff, v34
	v_bfe_u32 v52, v34, 8, 8
	v_and_b32_e32 v48, 0xff, v35
	v_add_nc_u32_e32 v35, v44, v42
	v_mbcnt_lo_u32_b32 v57, -1, 0
	v_bfe_u32 v54, v34, 16, 8
	v_lshrrev_b32_e32 v56, 24, v34
	v_lshrrev_b32_e32 v58, 5, v0
	v_add3_u32 v35, v35, v46, v48
	v_and_b32_e32 v36, 15, v57
	v_and_b32_e32 v37, 16, v57
	s_and_b32 vcc_lo, exec_lo, s24
	s_mov_b32 s9, -1
	v_add3_u32 v35, v35, v50, v52
	v_cmp_eq_u32_e64 s4, 0, v36
	v_cmp_lt_u32_e64 s2, 1, v36
	v_cmp_lt_u32_e64 s5, 3, v36
	;; [unrolled: 1-line block ×3, first 2 shown]
	v_add3_u32 v59, v35, v54, v56
	v_or_b32_e32 v35, 31, v0
	v_cmp_eq_u32_e64 s7, 0, v37
	s_waitcnt lgkmcnt(0)
	s_barrier
	buffer_gl0_inv
	v_cmp_eq_u32_e64 s6, v35, v0
	s_cbranch_vccz .LBB479_409
; %bb.384:
	v_mov_b32_dpp v35, v59 row_shr:1 row_mask:0xf bank_mask:0xf
	s_delay_alu instid0(VALU_DEP_1) | instskip(NEXT) | instid1(VALU_DEP_1)
	v_cndmask_b32_e64 v35, v35, 0, s4
	v_add_nc_u32_e32 v35, v35, v59
	s_delay_alu instid0(VALU_DEP_1) | instskip(NEXT) | instid1(VALU_DEP_1)
	v_mov_b32_dpp v36, v35 row_shr:2 row_mask:0xf bank_mask:0xf
	v_cndmask_b32_e64 v36, 0, v36, s2
	s_delay_alu instid0(VALU_DEP_1) | instskip(NEXT) | instid1(VALU_DEP_1)
	v_add_nc_u32_e32 v35, v35, v36
	v_mov_b32_dpp v36, v35 row_shr:4 row_mask:0xf bank_mask:0xf
	s_delay_alu instid0(VALU_DEP_1) | instskip(NEXT) | instid1(VALU_DEP_1)
	v_cndmask_b32_e64 v36, 0, v36, s5
	v_add_nc_u32_e32 v35, v35, v36
	s_delay_alu instid0(VALU_DEP_1) | instskip(NEXT) | instid1(VALU_DEP_1)
	v_mov_b32_dpp v36, v35 row_shr:8 row_mask:0xf bank_mask:0xf
	v_cndmask_b32_e64 v36, 0, v36, s3
	s_delay_alu instid0(VALU_DEP_1) | instskip(SKIP_3) | instid1(VALU_DEP_1)
	v_add_nc_u32_e32 v35, v35, v36
	ds_swizzle_b32 v36, v35 offset:swizzle(BROADCAST,32,15)
	s_waitcnt lgkmcnt(0)
	v_cndmask_b32_e64 v36, v36, 0, s7
	v_add_nc_u32_e32 v35, v35, v36
	s_and_saveexec_b32 s8, s6
	s_cbranch_execz .LBB479_386
; %bb.385:
	v_lshlrev_b32_e32 v36, 2, v58
	ds_store_b32 v36, v35
.LBB479_386:
	s_or_b32 exec_lo, exec_lo, s8
	s_delay_alu instid0(SALU_CYCLE_1)
	s_mov_b32 s8, exec_lo
	s_waitcnt lgkmcnt(0)
	s_barrier
	buffer_gl0_inv
	v_cmpx_gt_u32_e32 16, v0
	s_cbranch_execz .LBB479_388
; %bb.387:
	v_lshlrev_b32_e32 v36, 2, v0
	ds_load_b32 v37, v36
	s_waitcnt lgkmcnt(0)
	v_mov_b32_dpp v38, v37 row_shr:1 row_mask:0xf bank_mask:0xf
	s_delay_alu instid0(VALU_DEP_1) | instskip(NEXT) | instid1(VALU_DEP_1)
	v_cndmask_b32_e64 v38, v38, 0, s4
	v_add_nc_u32_e32 v37, v38, v37
	s_delay_alu instid0(VALU_DEP_1) | instskip(NEXT) | instid1(VALU_DEP_1)
	v_mov_b32_dpp v38, v37 row_shr:2 row_mask:0xf bank_mask:0xf
	v_cndmask_b32_e64 v38, 0, v38, s2
	s_delay_alu instid0(VALU_DEP_1) | instskip(NEXT) | instid1(VALU_DEP_1)
	v_add_nc_u32_e32 v37, v37, v38
	v_mov_b32_dpp v38, v37 row_shr:4 row_mask:0xf bank_mask:0xf
	s_delay_alu instid0(VALU_DEP_1) | instskip(NEXT) | instid1(VALU_DEP_1)
	v_cndmask_b32_e64 v38, 0, v38, s5
	v_add_nc_u32_e32 v37, v37, v38
	s_delay_alu instid0(VALU_DEP_1) | instskip(NEXT) | instid1(VALU_DEP_1)
	v_mov_b32_dpp v38, v37 row_shr:8 row_mask:0xf bank_mask:0xf
	v_cndmask_b32_e64 v38, 0, v38, s3
	s_delay_alu instid0(VALU_DEP_1)
	v_add_nc_u32_e32 v37, v37, v38
	ds_store_b32 v36, v37
.LBB479_388:
	s_or_b32 exec_lo, exec_lo, s8
	v_cmp_gt_u32_e32 vcc_lo, 32, v0
	s_mov_b32 s9, exec_lo
	s_waitcnt lgkmcnt(0)
	s_barrier
	buffer_gl0_inv
                                        ; implicit-def: $vgpr43
	v_cmpx_lt_u32_e32 31, v0
	s_cbranch_execz .LBB479_390
; %bb.389:
	v_lshl_add_u32 v36, v58, 2, -4
	ds_load_b32 v43, v36
	s_waitcnt lgkmcnt(0)
	v_add_nc_u32_e32 v35, v43, v35
.LBB479_390:
	s_or_b32 exec_lo, exec_lo, s9
	v_add_nc_u32_e32 v36, -1, v57
	s_delay_alu instid0(VALU_DEP_1) | instskip(NEXT) | instid1(VALU_DEP_1)
	v_cmp_gt_i32_e64 s8, 0, v36
	v_cndmask_b32_e64 v36, v36, v57, s8
	v_cmp_eq_u32_e64 s8, 0, v57
	s_delay_alu instid0(VALU_DEP_2)
	v_lshlrev_b32_e32 v36, 2, v36
	ds_bpermute_b32 v45, v36, v35
	s_and_saveexec_b32 s9, vcc_lo
	s_cbranch_execz .LBB479_408
; %bb.391:
	v_mov_b32_e32 v38, 0
	ds_load_b32 v35, v38 offset:60
	s_and_saveexec_b32 s18, s8
	s_cbranch_execz .LBB479_393
; %bb.392:
	s_add_i32 s22, s15, 32
	s_mov_b32 s23, 0
	v_mov_b32_e32 v36, 1
	s_lshl_b64 s[22:23], s[22:23], 3
	s_delay_alu instid0(SALU_CYCLE_1)
	s_add_u32 s22, s10, s22
	s_addc_u32 s23, s11, s23
	s_waitcnt lgkmcnt(0)
	global_store_b64 v38, v[35:36], s[22:23]
.LBB479_393:
	s_or_b32 exec_lo, exec_lo, s18
	v_xad_u32 v36, v57, -1, s15
	s_mov_b32 s19, 0
	s_mov_b32 s18, exec_lo
	s_delay_alu instid0(VALU_DEP_1) | instskip(NEXT) | instid1(VALU_DEP_1)
	v_add_nc_u32_e32 v37, 32, v36
	v_lshlrev_b64 v[37:38], 3, v[37:38]
	s_delay_alu instid0(VALU_DEP_1) | instskip(NEXT) | instid1(VALU_DEP_2)
	v_add_co_u32 v40, vcc_lo, s10, v37
	v_add_co_ci_u32_e32 v41, vcc_lo, s11, v38, vcc_lo
	global_load_b64 v[38:39], v[40:41], off glc
	s_waitcnt vmcnt(0)
	v_and_b32_e32 v37, 0xff, v39
	s_delay_alu instid0(VALU_DEP_1)
	v_cmpx_eq_u16_e32 0, v37
	s_cbranch_execz .LBB479_396
.LBB479_394:                            ; =>This Inner Loop Header: Depth=1
	global_load_b64 v[38:39], v[40:41], off glc
	s_waitcnt vmcnt(0)
	v_and_b32_e32 v37, 0xff, v39
	s_delay_alu instid0(VALU_DEP_1) | instskip(SKIP_1) | instid1(SALU_CYCLE_1)
	v_cmp_ne_u16_e32 vcc_lo, 0, v37
	s_or_b32 s19, vcc_lo, s19
	s_and_not1_b32 exec_lo, exec_lo, s19
	s_cbranch_execnz .LBB479_394
; %bb.395:
	s_or_b32 exec_lo, exec_lo, s19
.LBB479_396:
	s_delay_alu instid0(SALU_CYCLE_1)
	s_or_b32 exec_lo, exec_lo, s18
	v_cmp_ne_u32_e32 vcc_lo, 31, v57
	v_lshlrev_b32_e64 v49, v57, -1
	v_add_nc_u32_e32 v53, 2, v57
	v_add_nc_u32_e32 v62, 4, v57
	;; [unrolled: 1-line block ×3, first 2 shown]
	v_add_co_ci_u32_e32 v37, vcc_lo, 0, v57, vcc_lo
	v_add_nc_u32_e32 v66, 16, v57
	s_delay_alu instid0(VALU_DEP_2)
	v_lshlrev_b32_e32 v47, 2, v37
	v_and_b32_e32 v37, 0xff, v39
	ds_bpermute_b32 v40, v47, v38
	v_cmp_eq_u16_e32 vcc_lo, 2, v37
	v_and_or_b32 v37, vcc_lo, v49, 0x80000000
	v_cmp_gt_u32_e32 vcc_lo, 30, v57
	s_delay_alu instid0(VALU_DEP_2) | instskip(SKIP_1) | instid1(VALU_DEP_2)
	v_ctz_i32_b32_e32 v37, v37
	v_cndmask_b32_e64 v41, 0, 1, vcc_lo
	v_cmp_lt_u32_e32 vcc_lo, v57, v37
	s_waitcnt lgkmcnt(0)
	s_delay_alu instid0(VALU_DEP_2) | instskip(NEXT) | instid1(VALU_DEP_1)
	v_dual_cndmask_b32 v40, 0, v40 :: v_dual_lshlrev_b32 v41, 1, v41
	v_add_lshl_u32 v51, v41, v57, 2
	v_cmp_gt_u32_e32 vcc_lo, 28, v57
	s_delay_alu instid0(VALU_DEP_3) | instskip(SKIP_4) | instid1(VALU_DEP_1)
	v_add_nc_u32_e32 v38, v40, v38
	v_cndmask_b32_e64 v41, 0, 1, vcc_lo
	v_cmp_le_u32_e32 vcc_lo, v53, v37
	ds_bpermute_b32 v40, v51, v38
	v_lshlrev_b32_e32 v41, 2, v41
	v_add_lshl_u32 v60, v41, v57, 2
	s_waitcnt lgkmcnt(0)
	v_cndmask_b32_e32 v40, 0, v40, vcc_lo
	v_cmp_gt_u32_e32 vcc_lo, 24, v57
	s_delay_alu instid0(VALU_DEP_2) | instskip(SKIP_4) | instid1(VALU_DEP_1)
	v_add_nc_u32_e32 v38, v38, v40
	v_cndmask_b32_e64 v41, 0, 1, vcc_lo
	v_cmp_le_u32_e32 vcc_lo, v62, v37
	ds_bpermute_b32 v40, v60, v38
	v_lshlrev_b32_e32 v41, 3, v41
	v_add_lshl_u32 v63, v41, v57, 2
	s_waitcnt lgkmcnt(0)
	v_cndmask_b32_e32 v40, 0, v40, vcc_lo
	v_cmp_gt_u32_e32 vcc_lo, 16, v57
	s_delay_alu instid0(VALU_DEP_2) | instskip(SKIP_4) | instid1(VALU_DEP_1)
	v_add_nc_u32_e32 v38, v38, v40
	v_cndmask_b32_e64 v41, 0, 1, vcc_lo
	v_cmp_le_u32_e32 vcc_lo, v64, v37
	ds_bpermute_b32 v40, v63, v38
	v_lshlrev_b32_e32 v41, 4, v41
	v_add_lshl_u32 v65, v41, v57, 2
	s_waitcnt lgkmcnt(0)
	v_cndmask_b32_e32 v40, 0, v40, vcc_lo
	v_cmp_le_u32_e32 vcc_lo, v66, v37
	s_delay_alu instid0(VALU_DEP_2) | instskip(SKIP_3) | instid1(VALU_DEP_1)
	v_add_nc_u32_e32 v38, v38, v40
	ds_bpermute_b32 v40, v65, v38
	s_waitcnt lgkmcnt(0)
	v_cndmask_b32_e32 v37, 0, v40, vcc_lo
	v_dual_mov_b32 v37, 0 :: v_dual_add_nc_u32 v38, v38, v37
	s_branch .LBB479_398
.LBB479_397:                            ;   in Loop: Header=BB479_398 Depth=1
	s_or_b32 exec_lo, exec_lo, s18
	ds_bpermute_b32 v41, v47, v38
	v_and_b32_e32 v40, 0xff, v39
	v_subrev_nc_u32_e32 v36, 32, v36
	s_delay_alu instid0(VALU_DEP_2) | instskip(SKIP_1) | instid1(VALU_DEP_1)
	v_cmp_eq_u16_e32 vcc_lo, 2, v40
	v_and_or_b32 v40, vcc_lo, v49, 0x80000000
	v_ctz_i32_b32_e32 v40, v40
	s_delay_alu instid0(VALU_DEP_1) | instskip(SKIP_3) | instid1(VALU_DEP_2)
	v_cmp_lt_u32_e32 vcc_lo, v57, v40
	s_waitcnt lgkmcnt(0)
	v_cndmask_b32_e32 v41, 0, v41, vcc_lo
	v_cmp_le_u32_e32 vcc_lo, v53, v40
	v_add_nc_u32_e32 v38, v41, v38
	ds_bpermute_b32 v41, v51, v38
	s_waitcnt lgkmcnt(0)
	v_cndmask_b32_e32 v41, 0, v41, vcc_lo
	v_cmp_le_u32_e32 vcc_lo, v62, v40
	s_delay_alu instid0(VALU_DEP_2) | instskip(SKIP_4) | instid1(VALU_DEP_2)
	v_add_nc_u32_e32 v38, v38, v41
	ds_bpermute_b32 v41, v60, v38
	s_waitcnt lgkmcnt(0)
	v_cndmask_b32_e32 v41, 0, v41, vcc_lo
	v_cmp_le_u32_e32 vcc_lo, v64, v40
	v_add_nc_u32_e32 v38, v38, v41
	ds_bpermute_b32 v41, v63, v38
	s_waitcnt lgkmcnt(0)
	v_cndmask_b32_e32 v41, 0, v41, vcc_lo
	v_cmp_le_u32_e32 vcc_lo, v66, v40
	s_delay_alu instid0(VALU_DEP_2) | instskip(SKIP_3) | instid1(VALU_DEP_1)
	v_add_nc_u32_e32 v38, v38, v41
	ds_bpermute_b32 v41, v65, v38
	s_waitcnt lgkmcnt(0)
	v_cndmask_b32_e32 v40, 0, v41, vcc_lo
	v_add3_u32 v38, v40, v61, v38
.LBB479_398:                            ; =>This Loop Header: Depth=1
                                        ;     Child Loop BB479_401 Depth 2
	v_and_b32_e32 v39, 0xff, v39
	s_delay_alu instid0(VALU_DEP_2) | instskip(NEXT) | instid1(VALU_DEP_2)
	v_mov_b32_e32 v61, v38
	v_cmp_ne_u16_e32 vcc_lo, 2, v39
	v_cndmask_b32_e64 v39, 0, 1, vcc_lo
	;;#ASMSTART
	;;#ASMEND
	s_delay_alu instid0(VALU_DEP_1)
	v_cmp_ne_u32_e32 vcc_lo, 0, v39
	s_cmp_lg_u32 vcc_lo, exec_lo
	s_cbranch_scc1 .LBB479_403
; %bb.399:                              ;   in Loop: Header=BB479_398 Depth=1
	v_lshlrev_b64 v[38:39], 3, v[36:37]
	s_mov_b32 s18, exec_lo
	s_delay_alu instid0(VALU_DEP_1) | instskip(NEXT) | instid1(VALU_DEP_2)
	v_add_co_u32 v40, vcc_lo, s10, v38
	v_add_co_ci_u32_e32 v41, vcc_lo, s11, v39, vcc_lo
	global_load_b64 v[38:39], v[40:41], off glc
	s_waitcnt vmcnt(0)
	v_and_b32_e32 v67, 0xff, v39
	s_delay_alu instid0(VALU_DEP_1)
	v_cmpx_eq_u16_e32 0, v67
	s_cbranch_execz .LBB479_397
; %bb.400:                              ;   in Loop: Header=BB479_398 Depth=1
	s_mov_b32 s19, 0
.LBB479_401:                            ;   Parent Loop BB479_398 Depth=1
                                        ; =>  This Inner Loop Header: Depth=2
	global_load_b64 v[38:39], v[40:41], off glc
	s_waitcnt vmcnt(0)
	v_and_b32_e32 v67, 0xff, v39
	s_delay_alu instid0(VALU_DEP_1) | instskip(SKIP_1) | instid1(SALU_CYCLE_1)
	v_cmp_ne_u16_e32 vcc_lo, 0, v67
	s_or_b32 s19, vcc_lo, s19
	s_and_not1_b32 exec_lo, exec_lo, s19
	s_cbranch_execnz .LBB479_401
; %bb.402:                              ;   in Loop: Header=BB479_398 Depth=1
	s_or_b32 exec_lo, exec_lo, s19
	s_branch .LBB479_397
.LBB479_403:                            ;   in Loop: Header=BB479_398 Depth=1
                                        ; implicit-def: $vgpr38
                                        ; implicit-def: $vgpr39
	s_cbranch_execz .LBB479_398
; %bb.404:
	s_and_saveexec_b32 s18, s8
	s_cbranch_execz .LBB479_406
; %bb.405:
	s_add_i32 s22, s15, 32
	s_mov_b32 s23, 0
	v_dual_mov_b32 v37, 2 :: v_dual_add_nc_u32 v36, v61, v35
	s_lshl_b64 s[22:23], s[22:23], 3
	v_mov_b32_e32 v38, 0
	v_add_nc_u32_e64 v39, 0x8400, 0
	s_add_u32 s22, s10, s22
	s_addc_u32 s23, s11, s23
	global_store_b64 v38, v[36:37], s[22:23]
	ds_store_2addr_b32 v39, v35, v61 offset1:2
.LBB479_406:
	s_or_b32 exec_lo, exec_lo, s18
	v_cmp_eq_u32_e32 vcc_lo, 0, v0
	s_and_b32 exec_lo, exec_lo, vcc_lo
	s_cbranch_execz .LBB479_408
; %bb.407:
	v_mov_b32_e32 v35, 0
	ds_store_b32 v35, v61 offset:60
.LBB479_408:
	s_or_b32 exec_lo, exec_lo, s9
	s_waitcnt lgkmcnt(0)
	v_cndmask_b32_e64 v36, v45, v43, s8
	v_cmp_ne_u32_e32 vcc_lo, 0, v0
	v_mov_b32_e32 v35, 0
	s_waitcnt_vscnt null, 0x0
	s_barrier
	buffer_gl0_inv
	v_cndmask_b32_e32 v36, 0, v36, vcc_lo
	ds_load_b32 v35, v35 offset:60
	s_waitcnt lgkmcnt(0)
	s_barrier
	buffer_gl0_inv
	v_add_nc_u32_e32 v53, v35, v36
	v_add_nc_u32_e64 v35, 0x8400, 0
	s_delay_alu instid0(VALU_DEP_2) | instskip(SKIP_2) | instid1(VALU_DEP_1)
	v_add_nc_u32_e32 v51, v53, v42
	ds_load_2addr_b32 v[35:36], v35 offset1:2
	v_add_nc_u32_e32 v49, v51, v44
	v_add_nc_u32_e32 v47, v49, v46
	s_delay_alu instid0(VALU_DEP_1) | instskip(NEXT) | instid1(VALU_DEP_1)
	v_add_nc_u32_e32 v45, v47, v48
	v_add_nc_u32_e32 v43, v45, v50
	s_waitcnt lgkmcnt(0)
	v_readfirstlane_b32 s8, v36
	s_delay_alu instid0(VALU_DEP_2) | instskip(NEXT) | instid1(VALU_DEP_1)
	v_add_nc_u32_e32 v41, v43, v52
	v_add_nc_u32_e32 v39, v41, v54
	v_lshrrev_b64 v[37:38], 24, v[33:34]
	s_branch .LBB479_419
.LBB479_409:
                                        ; implicit-def: $vgpr39
                                        ; implicit-def: $vgpr41
                                        ; implicit-def: $vgpr43
                                        ; implicit-def: $vgpr45
                                        ; implicit-def: $vgpr47
                                        ; implicit-def: $vgpr49
                                        ; implicit-def: $vgpr51
                                        ; implicit-def: $vgpr53
                                        ; implicit-def: $sgpr8
                                        ; implicit-def: $vgpr35
	v_lshrrev_b64 v[37:38], 24, v[33:34]
	s_and_b32 vcc_lo, exec_lo, s9
	s_cbranch_vccz .LBB479_419
; %bb.410:
	v_mov_b32_dpp v35, v59 row_shr:1 row_mask:0xf bank_mask:0xf
	s_delay_alu instid0(VALU_DEP_1) | instskip(NEXT) | instid1(VALU_DEP_1)
	v_cndmask_b32_e64 v35, v35, 0, s4
	v_add_nc_u32_e32 v35, v35, v59
	s_delay_alu instid0(VALU_DEP_1) | instskip(NEXT) | instid1(VALU_DEP_1)
	v_mov_b32_dpp v36, v35 row_shr:2 row_mask:0xf bank_mask:0xf
	v_cndmask_b32_e64 v36, 0, v36, s2
	s_delay_alu instid0(VALU_DEP_1) | instskip(NEXT) | instid1(VALU_DEP_1)
	v_add_nc_u32_e32 v35, v35, v36
	v_mov_b32_dpp v36, v35 row_shr:4 row_mask:0xf bank_mask:0xf
	s_delay_alu instid0(VALU_DEP_1) | instskip(NEXT) | instid1(VALU_DEP_1)
	v_cndmask_b32_e64 v36, 0, v36, s5
	v_add_nc_u32_e32 v35, v35, v36
	s_delay_alu instid0(VALU_DEP_1) | instskip(NEXT) | instid1(VALU_DEP_1)
	v_mov_b32_dpp v36, v35 row_shr:8 row_mask:0xf bank_mask:0xf
	v_cndmask_b32_e64 v36, 0, v36, s3
	s_delay_alu instid0(VALU_DEP_1) | instskip(SKIP_3) | instid1(VALU_DEP_1)
	v_add_nc_u32_e32 v35, v35, v36
	ds_swizzle_b32 v36, v35 offset:swizzle(BROADCAST,32,15)
	s_waitcnt lgkmcnt(0)
	v_cndmask_b32_e64 v36, v36, 0, s7
	v_add_nc_u32_e32 v35, v35, v36
	s_and_saveexec_b32 s7, s6
	s_cbranch_execz .LBB479_412
; %bb.411:
	v_lshlrev_b32_e32 v36, 2, v58
	ds_store_b32 v36, v35
.LBB479_412:
	s_or_b32 exec_lo, exec_lo, s7
	s_delay_alu instid0(SALU_CYCLE_1)
	s_mov_b32 s6, exec_lo
	s_waitcnt lgkmcnt(0)
	s_barrier
	buffer_gl0_inv
	v_cmpx_gt_u32_e32 16, v0
	s_cbranch_execz .LBB479_414
; %bb.413:
	v_lshlrev_b32_e32 v36, 2, v0
	ds_load_b32 v38, v36
	s_waitcnt lgkmcnt(0)
	v_mov_b32_dpp v39, v38 row_shr:1 row_mask:0xf bank_mask:0xf
	s_delay_alu instid0(VALU_DEP_1) | instskip(NEXT) | instid1(VALU_DEP_1)
	v_cndmask_b32_e64 v39, v39, 0, s4
	v_add_nc_u32_e32 v38, v39, v38
	s_delay_alu instid0(VALU_DEP_1) | instskip(NEXT) | instid1(VALU_DEP_1)
	v_mov_b32_dpp v39, v38 row_shr:2 row_mask:0xf bank_mask:0xf
	v_cndmask_b32_e64 v39, 0, v39, s2
	s_delay_alu instid0(VALU_DEP_1) | instskip(NEXT) | instid1(VALU_DEP_1)
	v_add_nc_u32_e32 v38, v38, v39
	v_mov_b32_dpp v39, v38 row_shr:4 row_mask:0xf bank_mask:0xf
	s_delay_alu instid0(VALU_DEP_1) | instskip(NEXT) | instid1(VALU_DEP_1)
	v_cndmask_b32_e64 v39, 0, v39, s5
	v_add_nc_u32_e32 v38, v38, v39
	s_delay_alu instid0(VALU_DEP_1) | instskip(NEXT) | instid1(VALU_DEP_1)
	v_mov_b32_dpp v39, v38 row_shr:8 row_mask:0xf bank_mask:0xf
	v_cndmask_b32_e64 v39, 0, v39, s3
	s_delay_alu instid0(VALU_DEP_1)
	v_add_nc_u32_e32 v38, v38, v39
	ds_store_b32 v36, v38
.LBB479_414:
	s_or_b32 exec_lo, exec_lo, s6
	v_mov_b32_e32 v36, 0
	v_mov_b32_e32 v38, 0
	s_mov_b32 s2, exec_lo
	s_waitcnt lgkmcnt(0)
	s_barrier
	buffer_gl0_inv
	v_cmpx_lt_u32_e32 31, v0
	s_cbranch_execz .LBB479_416
; %bb.415:
	v_lshl_add_u32 v38, v58, 2, -4
	ds_load_b32 v38, v38
.LBB479_416:
	s_or_b32 exec_lo, exec_lo, s2
	v_add_nc_u32_e32 v39, -1, v57
	s_waitcnt lgkmcnt(0)
	v_add_nc_u32_e32 v35, v38, v35
	s_mov_b32 s8, 0
	s_delay_alu instid0(VALU_DEP_2) | instskip(SKIP_2) | instid1(VALU_DEP_2)
	v_cmp_gt_i32_e32 vcc_lo, 0, v39
	v_cndmask_b32_e32 v39, v39, v57, vcc_lo
	v_cmp_eq_u32_e32 vcc_lo, 0, v0
	v_lshlrev_b32_e32 v39, 2, v39
	ds_bpermute_b32 v39, v39, v35
	ds_load_b32 v35, v36 offset:60
	s_and_saveexec_b32 s2, vcc_lo
	s_cbranch_execz .LBB479_418
; %bb.417:
	v_mov_b32_e32 v40, 0
	v_mov_b32_e32 v36, 2
	s_waitcnt lgkmcnt(0)
	global_store_b64 v40, v[35:36], s[10:11] offset:256
.LBB479_418:
	s_or_b32 exec_lo, exec_lo, s2
	v_cmp_eq_u32_e64 s2, 0, v57
	s_waitcnt lgkmcnt(0)
	s_waitcnt_vscnt null, 0x0
	s_barrier
	buffer_gl0_inv
	v_cndmask_b32_e64 v36, v39, v38, s2
	s_delay_alu instid0(VALU_DEP_1) | instskip(NEXT) | instid1(VALU_DEP_1)
	v_cndmask_b32_e64 v53, v36, 0, vcc_lo
	v_add_nc_u32_e32 v51, v53, v42
	s_delay_alu instid0(VALU_DEP_1) | instskip(NEXT) | instid1(VALU_DEP_1)
	v_add_nc_u32_e32 v49, v51, v44
	v_add_nc_u32_e32 v47, v49, v46
	s_delay_alu instid0(VALU_DEP_1) | instskip(NEXT) | instid1(VALU_DEP_1)
	v_add_nc_u32_e32 v45, v47, v48
	;; [unrolled: 3-line block ×3, first 2 shown]
	v_add_nc_u32_e32 v39, v41, v54
.LBB479_419:
	s_load_b128 s[4:7], s[0:1], 0x28
	v_add_nc_u32_e32 v59, s8, v35
	v_cmp_gt_u32_e64 s0, 0x201, v35
	v_lshrrev_b32_e32 v58, 8, v33
	v_lshrrev_b32_e32 v57, 16, v33
	;; [unrolled: 1-line block ×4, first 2 shown]
	v_cmp_lt_u32_e64 s1, v53, v59
	s_and_b32 vcc_lo, exec_lo, s0
	s_mov_b32 s2, -1
	s_cbranch_vccz .LBB479_445
; %bb.420:
	s_delay_alu instid0(VALU_DEP_1) | instskip(NEXT) | instid1(SALU_CYCLE_1)
	s_or_b32 s2, s20, s1
	s_and_saveexec_b32 s1, s2
	s_cbranch_execz .LBB479_423
; %bb.421:
	v_and_b32_e32 v40, 1, v33
	s_delay_alu instid0(VALU_DEP_1)
	v_cmp_eq_u32_e32 vcc_lo, 1, v40
	s_and_b32 exec_lo, exec_lo, vcc_lo
	s_cbranch_execz .LBB479_423
; %bb.422:
	v_mov_b32_e32 v54, 0
	s_lshl_b64 s[2:3], s[12:13], 3
	s_waitcnt lgkmcnt(0)
	s_add_u32 s2, s4, s2
	s_addc_u32 s3, s5, s3
	v_lshlrev_b64 v[60:61], 3, v[53:54]
	s_delay_alu instid0(VALU_DEP_1) | instskip(NEXT) | instid1(VALU_DEP_2)
	v_add_co_u32 v60, vcc_lo, s2, v60
	v_add_co_ci_u32_e32 v61, vcc_lo, s3, v61, vcc_lo
	global_store_b64 v[60:61], v[29:30], off
.LBB479_423:
	s_or_b32 exec_lo, exec_lo, s1
	v_cmp_lt_u32_e32 vcc_lo, v51, v59
	s_or_b32 s2, s20, vcc_lo
	s_delay_alu instid0(SALU_CYCLE_1)
	s_and_saveexec_b32 s1, s2
	s_cbranch_execz .LBB479_426
; %bb.424:
	v_and_b32_e32 v40, 1, v58
	s_delay_alu instid0(VALU_DEP_1)
	v_cmp_eq_u32_e32 vcc_lo, 1, v40
	s_and_b32 exec_lo, exec_lo, vcc_lo
	s_cbranch_execz .LBB479_426
; %bb.425:
	v_mov_b32_e32 v52, 0
	s_lshl_b64 s[2:3], s[12:13], 3
	s_waitcnt lgkmcnt(0)
	s_add_u32 s2, s4, s2
	s_addc_u32 s3, s5, s3
	v_lshlrev_b64 v[60:61], 3, v[51:52]
	s_delay_alu instid0(VALU_DEP_1) | instskip(NEXT) | instid1(VALU_DEP_2)
	v_add_co_u32 v60, vcc_lo, s2, v60
	v_add_co_ci_u32_e32 v61, vcc_lo, s3, v61, vcc_lo
	global_store_b64 v[60:61], v[31:32], off
.LBB479_426:
	s_or_b32 exec_lo, exec_lo, s1
	v_cmp_lt_u32_e32 vcc_lo, v49, v59
	s_or_b32 s2, s20, vcc_lo
	s_delay_alu instid0(SALU_CYCLE_1)
	;; [unrolled: 24-line block ×7, first 2 shown]
	s_and_saveexec_b32 s1, s2
	s_cbranch_execz .LBB479_444
; %bb.442:
	v_and_b32_e32 v40, 1, v56
	s_delay_alu instid0(VALU_DEP_1)
	v_cmp_eq_u32_e32 vcc_lo, 1, v40
	s_and_b32 exec_lo, exec_lo, vcc_lo
	s_cbranch_execz .LBB479_444
; %bb.443:
	v_mov_b32_e32 v40, 0
	s_lshl_b64 s[2:3], s[12:13], 3
	s_waitcnt lgkmcnt(0)
	s_add_u32 s2, s4, s2
	s_addc_u32 s3, s5, s3
	v_lshlrev_b64 v[60:61], 3, v[39:40]
	s_delay_alu instid0(VALU_DEP_1) | instskip(NEXT) | instid1(VALU_DEP_2)
	v_add_co_u32 v60, vcc_lo, s2, v60
	v_add_co_ci_u32_e32 v61, vcc_lo, s3, v61, vcc_lo
	global_store_b64 v[60:61], v[19:20], off
.LBB479_444:
	s_or_b32 exec_lo, exec_lo, s1
	s_mov_b32 s2, 0
.LBB479_445:
	v_and_b32_e32 v33, 1, v33
	s_and_b32 vcc_lo, exec_lo, s2
	s_delay_alu instid0(VALU_DEP_1)
	v_cmp_eq_u32_e64 s1, 1, v33
	s_cbranch_vccz .LBB479_466
; %bb.446:
	s_delay_alu instid0(VALU_DEP_1)
	s_and_saveexec_b32 s2, s1
	s_cbranch_execz .LBB479_448
; %bb.447:
	v_subrev_nc_u32_e32 v40, s8, v53
	s_delay_alu instid0(VALU_DEP_1)
	v_lshlrev_b32_e32 v40, 3, v40
	ds_store_b64 v40, v[29:30]
.LBB479_448:
	s_or_b32 exec_lo, exec_lo, s2
	v_and_b32_e32 v29, 1, v58
	s_mov_b32 s1, exec_lo
	s_delay_alu instid0(VALU_DEP_1)
	v_cmpx_eq_u32_e32 1, v29
	s_cbranch_execz .LBB479_450
; %bb.449:
	v_subrev_nc_u32_e32 v29, s8, v51
	s_delay_alu instid0(VALU_DEP_1)
	v_lshlrev_b32_e32 v29, 3, v29
	ds_store_b64 v29, v[31:32]
.LBB479_450:
	s_or_b32 exec_lo, exec_lo, s1
	v_and_b32_e32 v29, 1, v57
	s_mov_b32 s1, exec_lo
	s_delay_alu instid0(VALU_DEP_1)
	v_cmpx_eq_u32_e32 1, v29
	;; [unrolled: 12-line block ×7, first 2 shown]
	s_cbranch_execz .LBB479_462
; %bb.461:
	v_subrev_nc_u32_e32 v17, s8, v39
	s_delay_alu instid0(VALU_DEP_1)
	v_lshlrev_b32_e32 v17, 3, v17
	ds_store_b64 v17, v[19:20]
.LBB479_462:
	s_or_b32 exec_lo, exec_lo, s1
	s_delay_alu instid0(SALU_CYCLE_1)
	s_mov_b32 s2, exec_lo
	s_waitcnt lgkmcnt(0)
	s_waitcnt_vscnt null, 0x0
	s_barrier
	buffer_gl0_inv
	v_cmpx_lt_u32_e64 v0, v35
	s_cbranch_execz .LBB479_465
; %bb.463:
	s_mov_b32 s9, 0
	s_lshl_b64 s[10:11], s[12:13], 3
	s_lshl_b64 s[18:19], s[8:9], 3
	v_dual_mov_b32 v19, v55 :: v_dual_mov_b32 v20, v0
	s_add_u32 s1, s10, s18
	s_addc_u32 s3, s11, s19
	s_add_u32 s1, s4, s1
	s_addc_u32 s3, s5, s3
	v_add_co_u32 v17, s1, s1, v55
	s_delay_alu instid0(VALU_DEP_1)
	v_add_co_ci_u32_e64 v18, null, s3, 0, s1
	.p2align	6
.LBB479_464:                            ; =>This Inner Loop Header: Depth=1
	ds_load_b64 v[21:22], v19
	v_add_nc_u32_e32 v20, 0x200, v20
	v_add_nc_u32_e32 v19, 0x1000, v19
	s_delay_alu instid0(VALU_DEP_2) | instskip(SKIP_4) | instid1(VALU_DEP_1)
	v_cmp_ge_u32_e32 vcc_lo, v20, v35
	s_or_b32 s9, vcc_lo, s9
	s_waitcnt lgkmcnt(0)
	global_store_b64 v[17:18], v[21:22], off
	v_add_co_u32 v17, s1, 0x1000, v17
	v_add_co_ci_u32_e64 v18, s1, 0, v18, s1
	s_and_not1_b32 exec_lo, exec_lo, s9
	s_cbranch_execnz .LBB479_464
.LBB479_465:
	s_or_b32 exec_lo, exec_lo, s2
.LBB479_466:
	s_delay_alu instid0(SALU_CYCLE_1)
	s_and_b32 vcc_lo, exec_lo, s0
	s_mov_b32 s0, -1
	s_waitcnt lgkmcnt(0)
	s_waitcnt_vscnt null, 0x0
	s_barrier
	buffer_gl0_inv
	s_cbranch_vccz .LBB479_494
; %bb.467:
	v_cmp_lt_u32_e32 vcc_lo, v53, v59
	s_or_b32 s1, s20, vcc_lo
	s_delay_alu instid0(SALU_CYCLE_1)
	s_and_saveexec_b32 s0, s1
	s_cbranch_execz .LBB479_470
; %bb.468:
	v_cmp_eq_u32_e32 vcc_lo, 1, v33
	s_and_b32 exec_lo, exec_lo, vcc_lo
	s_cbranch_execz .LBB479_470
; %bb.469:
	v_mov_b32_e32 v54, 0
	s_lshl_b64 s[2:3], s[12:13], 3
	s_delay_alu instid0(SALU_CYCLE_1) | instskip(SKIP_1) | instid1(VALU_DEP_1)
	s_add_u32 s1, s6, s2
	s_addc_u32 s2, s7, s3
	v_lshlrev_b64 v[17:18], 3, v[53:54]
	s_delay_alu instid0(VALU_DEP_1) | instskip(NEXT) | instid1(VALU_DEP_2)
	v_add_co_u32 v17, vcc_lo, s1, v17
	v_add_co_ci_u32_e32 v18, vcc_lo, s2, v18, vcc_lo
	global_store_b64 v[17:18], v[13:14], off
.LBB479_470:
	s_or_b32 exec_lo, exec_lo, s0
	v_cmp_lt_u32_e32 vcc_lo, v51, v59
	s_or_b32 s1, s20, vcc_lo
	s_delay_alu instid0(SALU_CYCLE_1)
	s_and_saveexec_b32 s0, s1
	s_cbranch_execz .LBB479_473
; %bb.471:
	v_and_b32_e32 v17, 1, v58
	s_delay_alu instid0(VALU_DEP_1)
	v_cmp_eq_u32_e32 vcc_lo, 1, v17
	s_and_b32 exec_lo, exec_lo, vcc_lo
	s_cbranch_execz .LBB479_473
; %bb.472:
	v_mov_b32_e32 v52, 0
	s_lshl_b64 s[2:3], s[12:13], 3
	s_delay_alu instid0(SALU_CYCLE_1) | instskip(SKIP_1) | instid1(VALU_DEP_1)
	s_add_u32 s1, s6, s2
	s_addc_u32 s2, s7, s3
	v_lshlrev_b64 v[17:18], 3, v[51:52]
	s_delay_alu instid0(VALU_DEP_1) | instskip(NEXT) | instid1(VALU_DEP_2)
	v_add_co_u32 v17, vcc_lo, s1, v17
	v_add_co_ci_u32_e32 v18, vcc_lo, s2, v18, vcc_lo
	global_store_b64 v[17:18], v[15:16], off
.LBB479_473:
	s_or_b32 exec_lo, exec_lo, s0
	v_cmp_lt_u32_e32 vcc_lo, v49, v59
	s_or_b32 s1, s20, vcc_lo
	s_delay_alu instid0(SALU_CYCLE_1)
	s_and_saveexec_b32 s0, s1
	s_cbranch_execz .LBB479_476
; %bb.474:
	v_and_b32_e32 v17, 1, v57
	s_delay_alu instid0(VALU_DEP_1)
	v_cmp_eq_u32_e32 vcc_lo, 1, v17
	s_and_b32 exec_lo, exec_lo, vcc_lo
	s_cbranch_execz .LBB479_476
; %bb.475:
	v_mov_b32_e32 v50, 0
	s_lshl_b64 s[2:3], s[12:13], 3
	s_delay_alu instid0(SALU_CYCLE_1) | instskip(SKIP_1) | instid1(VALU_DEP_1)
	s_add_u32 s1, s6, s2
	s_addc_u32 s2, s7, s3
	v_lshlrev_b64 v[17:18], 3, v[49:50]
	s_delay_alu instid0(VALU_DEP_1) | instskip(NEXT) | instid1(VALU_DEP_2)
	v_add_co_u32 v17, vcc_lo, s1, v17
	v_add_co_ci_u32_e32 v18, vcc_lo, s2, v18, vcc_lo
	global_store_b64 v[17:18], v[9:10], off
.LBB479_476:
	;; [unrolled: 24-line block ×7, first 2 shown]
	s_or_b32 exec_lo, exec_lo, s0
.LBB479_492:
	v_cmp_eq_u32_e32 vcc_lo, 0, v0
	s_and_b32 s0, vcc_lo, s14
	s_delay_alu instid0(SALU_CYCLE_1)
	s_and_saveexec_b32 s1, s0
	s_cbranch_execz .LBB479_515
.LBB479_493:
	v_add_co_u32 v0, s0, s12, v35
	s_delay_alu instid0(VALU_DEP_1) | instskip(SKIP_1) | instid1(VALU_DEP_3)
	v_add_co_ci_u32_e64 v1, null, s13, 0, s0
	v_mov_b32_e32 v2, 0
	v_add_co_u32 v0, vcc_lo, v0, s8
	s_delay_alu instid0(VALU_DEP_3)
	v_add_co_ci_u32_e32 v1, vcc_lo, 0, v1, vcc_lo
	global_store_b64 v2, v[0:1], s[16:17]
	s_nop 0
	s_sendmsg sendmsg(MSG_DEALLOC_VGPRS)
	s_endpgm
.LBB479_494:
	s_and_b32 vcc_lo, exec_lo, s0
	s_cbranch_vccz .LBB479_492
; %bb.495:
	s_mov_b32 s0, exec_lo
	v_cmpx_eq_u32_e32 1, v33
	s_cbranch_execz .LBB479_497
; %bb.496:
	v_subrev_nc_u32_e32 v17, s8, v53
	s_delay_alu instid0(VALU_DEP_1)
	v_lshlrev_b32_e32 v17, 3, v17
	ds_store_b64 v17, v[13:14]
.LBB479_497:
	s_or_b32 exec_lo, exec_lo, s0
	v_and_b32_e32 v13, 1, v58
	s_mov_b32 s0, exec_lo
	s_delay_alu instid0(VALU_DEP_1)
	v_cmpx_eq_u32_e32 1, v13
	s_cbranch_execz .LBB479_499
; %bb.498:
	v_subrev_nc_u32_e32 v13, s8, v51
	s_delay_alu instid0(VALU_DEP_1)
	v_lshlrev_b32_e32 v13, 3, v13
	ds_store_b64 v13, v[15:16]
.LBB479_499:
	s_or_b32 exec_lo, exec_lo, s0
	v_and_b32_e32 v13, 1, v57
	s_mov_b32 s0, exec_lo
	s_delay_alu instid0(VALU_DEP_1)
	;; [unrolled: 12-line block ×7, first 2 shown]
	v_cmpx_eq_u32_e32 1, v1
	s_cbranch_execz .LBB479_511
; %bb.510:
	v_subrev_nc_u32_e32 v1, s8, v39
	s_delay_alu instid0(VALU_DEP_1)
	v_lshlrev_b32_e32 v1, 3, v1
	ds_store_b64 v1, v[3:4]
.LBB479_511:
	s_or_b32 exec_lo, exec_lo, s0
	s_delay_alu instid0(SALU_CYCLE_1)
	s_mov_b32 s1, exec_lo
	s_waitcnt lgkmcnt(0)
	s_waitcnt_vscnt null, 0x0
	s_barrier
	buffer_gl0_inv
	v_cmpx_lt_u32_e64 v0, v35
	s_cbranch_execz .LBB479_514
; %bb.512:
	s_mov_b32 s9, 0
	s_lshl_b64 s[2:3], s[12:13], 3
	s_lshl_b64 s[4:5], s[8:9], 3
	v_mov_b32_e32 v3, v0
	s_add_u32 s0, s2, s4
	s_addc_u32 s2, s3, s5
	s_add_u32 s0, s6, s0
	s_addc_u32 s2, s7, s2
	v_add_co_u32 v1, s0, s0, v55
	s_delay_alu instid0(VALU_DEP_1)
	v_add_co_ci_u32_e64 v2, null, s2, 0, s0
	.p2align	6
.LBB479_513:                            ; =>This Inner Loop Header: Depth=1
	ds_load_b64 v[4:5], v55
	v_add_nc_u32_e32 v3, 0x200, v3
	v_add_nc_u32_e32 v55, 0x1000, v55
	s_delay_alu instid0(VALU_DEP_2) | instskip(SKIP_4) | instid1(VALU_DEP_1)
	v_cmp_ge_u32_e32 vcc_lo, v3, v35
	s_or_b32 s9, vcc_lo, s9
	s_waitcnt lgkmcnt(0)
	global_store_b64 v[1:2], v[4:5], off
	v_add_co_u32 v1, s0, 0x1000, v1
	v_add_co_ci_u32_e64 v2, s0, 0, v2, s0
	s_and_not1_b32 exec_lo, exec_lo, s9
	s_cbranch_execnz .LBB479_513
.LBB479_514:
	s_or_b32 exec_lo, exec_lo, s1
	v_cmp_eq_u32_e32 vcc_lo, 0, v0
	s_and_b32 s0, vcc_lo, s14
	s_delay_alu instid0(SALU_CYCLE_1)
	s_and_saveexec_b32 s1, s0
	s_cbranch_execnz .LBB479_493
.LBB479_515:
	s_nop 0
	s_sendmsg sendmsg(MSG_DEALLOC_VGPRS)
	s_endpgm
	.section	.rodata,"a",@progbits
	.p2align	6, 0x0
	.amdhsa_kernel _ZN7rocprim17ROCPRIM_400000_NS6detail17trampoline_kernelINS0_14default_configENS1_25partition_config_selectorILNS1_17partition_subalgoE9EllbEEZZNS1_14partition_implILS5_9ELb0ES3_jPlS8_PNS0_10empty_typeENS0_5tupleIJS8_S9_EEENSB_IJS8_SA_EEENS0_18inequality_wrapperIZN2at6native12_GLOBAL__N_124unique_dim_cuda_templateIiEESt5tupleIJNSF_6TensorESK_SK_EERKSK_lbbbEUlllE0_EEPmJS9_EEE10hipError_tPvRmT3_T4_T5_T6_T7_T9_mT8_P12ihipStream_tbDpT10_ENKUlT_T0_E_clISt17integral_constantIbLb0EES1A_EEDaS15_S16_EUlS15_E_NS1_11comp_targetILNS1_3genE9ELNS1_11target_archE1100ELNS1_3gpuE3ELNS1_3repE0EEENS1_30default_config_static_selectorELNS0_4arch9wavefront6targetE0EEEvT1_
		.amdhsa_group_segment_fixed_size 33804
		.amdhsa_private_segment_fixed_size 0
		.amdhsa_kernarg_size 120
		.amdhsa_user_sgpr_count 15
		.amdhsa_user_sgpr_dispatch_ptr 0
		.amdhsa_user_sgpr_queue_ptr 0
		.amdhsa_user_sgpr_kernarg_segment_ptr 1
		.amdhsa_user_sgpr_dispatch_id 0
		.amdhsa_user_sgpr_private_segment_size 0
		.amdhsa_wavefront_size32 1
		.amdhsa_uses_dynamic_stack 0
		.amdhsa_enable_private_segment 0
		.amdhsa_system_sgpr_workgroup_id_x 1
		.amdhsa_system_sgpr_workgroup_id_y 0
		.amdhsa_system_sgpr_workgroup_id_z 0
		.amdhsa_system_sgpr_workgroup_info 0
		.amdhsa_system_vgpr_workitem_id 0
		.amdhsa_next_free_vgpr 68
		.amdhsa_next_free_sgpr 36
		.amdhsa_reserve_vcc 1
		.amdhsa_float_round_mode_32 0
		.amdhsa_float_round_mode_16_64 0
		.amdhsa_float_denorm_mode_32 3
		.amdhsa_float_denorm_mode_16_64 3
		.amdhsa_dx10_clamp 1
		.amdhsa_ieee_mode 1
		.amdhsa_fp16_overflow 0
		.amdhsa_workgroup_processor_mode 1
		.amdhsa_memory_ordered 1
		.amdhsa_forward_progress 0
		.amdhsa_shared_vgpr_count 0
		.amdhsa_exception_fp_ieee_invalid_op 0
		.amdhsa_exception_fp_denorm_src 0
		.amdhsa_exception_fp_ieee_div_zero 0
		.amdhsa_exception_fp_ieee_overflow 0
		.amdhsa_exception_fp_ieee_underflow 0
		.amdhsa_exception_fp_ieee_inexact 0
		.amdhsa_exception_int_div_zero 0
	.end_amdhsa_kernel
	.section	.text._ZN7rocprim17ROCPRIM_400000_NS6detail17trampoline_kernelINS0_14default_configENS1_25partition_config_selectorILNS1_17partition_subalgoE9EllbEEZZNS1_14partition_implILS5_9ELb0ES3_jPlS8_PNS0_10empty_typeENS0_5tupleIJS8_S9_EEENSB_IJS8_SA_EEENS0_18inequality_wrapperIZN2at6native12_GLOBAL__N_124unique_dim_cuda_templateIiEESt5tupleIJNSF_6TensorESK_SK_EERKSK_lbbbEUlllE0_EEPmJS9_EEE10hipError_tPvRmT3_T4_T5_T6_T7_T9_mT8_P12ihipStream_tbDpT10_ENKUlT_T0_E_clISt17integral_constantIbLb0EES1A_EEDaS15_S16_EUlS15_E_NS1_11comp_targetILNS1_3genE9ELNS1_11target_archE1100ELNS1_3gpuE3ELNS1_3repE0EEENS1_30default_config_static_selectorELNS0_4arch9wavefront6targetE0EEEvT1_,"axG",@progbits,_ZN7rocprim17ROCPRIM_400000_NS6detail17trampoline_kernelINS0_14default_configENS1_25partition_config_selectorILNS1_17partition_subalgoE9EllbEEZZNS1_14partition_implILS5_9ELb0ES3_jPlS8_PNS0_10empty_typeENS0_5tupleIJS8_S9_EEENSB_IJS8_SA_EEENS0_18inequality_wrapperIZN2at6native12_GLOBAL__N_124unique_dim_cuda_templateIiEESt5tupleIJNSF_6TensorESK_SK_EERKSK_lbbbEUlllE0_EEPmJS9_EEE10hipError_tPvRmT3_T4_T5_T6_T7_T9_mT8_P12ihipStream_tbDpT10_ENKUlT_T0_E_clISt17integral_constantIbLb0EES1A_EEDaS15_S16_EUlS15_E_NS1_11comp_targetILNS1_3genE9ELNS1_11target_archE1100ELNS1_3gpuE3ELNS1_3repE0EEENS1_30default_config_static_selectorELNS0_4arch9wavefront6targetE0EEEvT1_,comdat
.Lfunc_end479:
	.size	_ZN7rocprim17ROCPRIM_400000_NS6detail17trampoline_kernelINS0_14default_configENS1_25partition_config_selectorILNS1_17partition_subalgoE9EllbEEZZNS1_14partition_implILS5_9ELb0ES3_jPlS8_PNS0_10empty_typeENS0_5tupleIJS8_S9_EEENSB_IJS8_SA_EEENS0_18inequality_wrapperIZN2at6native12_GLOBAL__N_124unique_dim_cuda_templateIiEESt5tupleIJNSF_6TensorESK_SK_EERKSK_lbbbEUlllE0_EEPmJS9_EEE10hipError_tPvRmT3_T4_T5_T6_T7_T9_mT8_P12ihipStream_tbDpT10_ENKUlT_T0_E_clISt17integral_constantIbLb0EES1A_EEDaS15_S16_EUlS15_E_NS1_11comp_targetILNS1_3genE9ELNS1_11target_archE1100ELNS1_3gpuE3ELNS1_3repE0EEENS1_30default_config_static_selectorELNS0_4arch9wavefront6targetE0EEEvT1_, .Lfunc_end479-_ZN7rocprim17ROCPRIM_400000_NS6detail17trampoline_kernelINS0_14default_configENS1_25partition_config_selectorILNS1_17partition_subalgoE9EllbEEZZNS1_14partition_implILS5_9ELb0ES3_jPlS8_PNS0_10empty_typeENS0_5tupleIJS8_S9_EEENSB_IJS8_SA_EEENS0_18inequality_wrapperIZN2at6native12_GLOBAL__N_124unique_dim_cuda_templateIiEESt5tupleIJNSF_6TensorESK_SK_EERKSK_lbbbEUlllE0_EEPmJS9_EEE10hipError_tPvRmT3_T4_T5_T6_T7_T9_mT8_P12ihipStream_tbDpT10_ENKUlT_T0_E_clISt17integral_constantIbLb0EES1A_EEDaS15_S16_EUlS15_E_NS1_11comp_targetILNS1_3genE9ELNS1_11target_archE1100ELNS1_3gpuE3ELNS1_3repE0EEENS1_30default_config_static_selectorELNS0_4arch9wavefront6targetE0EEEvT1_
                                        ; -- End function
	.section	.AMDGPU.csdata,"",@progbits
; Kernel info:
; codeLenInByte = 20488
; NumSgprs: 38
; NumVgprs: 68
; ScratchSize: 0
; MemoryBound: 0
; FloatMode: 240
; IeeeMode: 1
; LDSByteSize: 33804 bytes/workgroup (compile time only)
; SGPRBlocks: 4
; VGPRBlocks: 8
; NumSGPRsForWavesPerEU: 38
; NumVGPRsForWavesPerEU: 68
; Occupancy: 12
; WaveLimiterHint : 1
; COMPUTE_PGM_RSRC2:SCRATCH_EN: 0
; COMPUTE_PGM_RSRC2:USER_SGPR: 15
; COMPUTE_PGM_RSRC2:TRAP_HANDLER: 0
; COMPUTE_PGM_RSRC2:TGID_X_EN: 1
; COMPUTE_PGM_RSRC2:TGID_Y_EN: 0
; COMPUTE_PGM_RSRC2:TGID_Z_EN: 0
; COMPUTE_PGM_RSRC2:TIDIG_COMP_CNT: 0
	.section	.text._ZN7rocprim17ROCPRIM_400000_NS6detail17trampoline_kernelINS0_14default_configENS1_25partition_config_selectorILNS1_17partition_subalgoE9EllbEEZZNS1_14partition_implILS5_9ELb0ES3_jPlS8_PNS0_10empty_typeENS0_5tupleIJS8_S9_EEENSB_IJS8_SA_EEENS0_18inequality_wrapperIZN2at6native12_GLOBAL__N_124unique_dim_cuda_templateIiEESt5tupleIJNSF_6TensorESK_SK_EERKSK_lbbbEUlllE0_EEPmJS9_EEE10hipError_tPvRmT3_T4_T5_T6_T7_T9_mT8_P12ihipStream_tbDpT10_ENKUlT_T0_E_clISt17integral_constantIbLb0EES1A_EEDaS15_S16_EUlS15_E_NS1_11comp_targetILNS1_3genE8ELNS1_11target_archE1030ELNS1_3gpuE2ELNS1_3repE0EEENS1_30default_config_static_selectorELNS0_4arch9wavefront6targetE0EEEvT1_,"axG",@progbits,_ZN7rocprim17ROCPRIM_400000_NS6detail17trampoline_kernelINS0_14default_configENS1_25partition_config_selectorILNS1_17partition_subalgoE9EllbEEZZNS1_14partition_implILS5_9ELb0ES3_jPlS8_PNS0_10empty_typeENS0_5tupleIJS8_S9_EEENSB_IJS8_SA_EEENS0_18inequality_wrapperIZN2at6native12_GLOBAL__N_124unique_dim_cuda_templateIiEESt5tupleIJNSF_6TensorESK_SK_EERKSK_lbbbEUlllE0_EEPmJS9_EEE10hipError_tPvRmT3_T4_T5_T6_T7_T9_mT8_P12ihipStream_tbDpT10_ENKUlT_T0_E_clISt17integral_constantIbLb0EES1A_EEDaS15_S16_EUlS15_E_NS1_11comp_targetILNS1_3genE8ELNS1_11target_archE1030ELNS1_3gpuE2ELNS1_3repE0EEENS1_30default_config_static_selectorELNS0_4arch9wavefront6targetE0EEEvT1_,comdat
	.globl	_ZN7rocprim17ROCPRIM_400000_NS6detail17trampoline_kernelINS0_14default_configENS1_25partition_config_selectorILNS1_17partition_subalgoE9EllbEEZZNS1_14partition_implILS5_9ELb0ES3_jPlS8_PNS0_10empty_typeENS0_5tupleIJS8_S9_EEENSB_IJS8_SA_EEENS0_18inequality_wrapperIZN2at6native12_GLOBAL__N_124unique_dim_cuda_templateIiEESt5tupleIJNSF_6TensorESK_SK_EERKSK_lbbbEUlllE0_EEPmJS9_EEE10hipError_tPvRmT3_T4_T5_T6_T7_T9_mT8_P12ihipStream_tbDpT10_ENKUlT_T0_E_clISt17integral_constantIbLb0EES1A_EEDaS15_S16_EUlS15_E_NS1_11comp_targetILNS1_3genE8ELNS1_11target_archE1030ELNS1_3gpuE2ELNS1_3repE0EEENS1_30default_config_static_selectorELNS0_4arch9wavefront6targetE0EEEvT1_ ; -- Begin function _ZN7rocprim17ROCPRIM_400000_NS6detail17trampoline_kernelINS0_14default_configENS1_25partition_config_selectorILNS1_17partition_subalgoE9EllbEEZZNS1_14partition_implILS5_9ELb0ES3_jPlS8_PNS0_10empty_typeENS0_5tupleIJS8_S9_EEENSB_IJS8_SA_EEENS0_18inequality_wrapperIZN2at6native12_GLOBAL__N_124unique_dim_cuda_templateIiEESt5tupleIJNSF_6TensorESK_SK_EERKSK_lbbbEUlllE0_EEPmJS9_EEE10hipError_tPvRmT3_T4_T5_T6_T7_T9_mT8_P12ihipStream_tbDpT10_ENKUlT_T0_E_clISt17integral_constantIbLb0EES1A_EEDaS15_S16_EUlS15_E_NS1_11comp_targetILNS1_3genE8ELNS1_11target_archE1030ELNS1_3gpuE2ELNS1_3repE0EEENS1_30default_config_static_selectorELNS0_4arch9wavefront6targetE0EEEvT1_
	.p2align	8
	.type	_ZN7rocprim17ROCPRIM_400000_NS6detail17trampoline_kernelINS0_14default_configENS1_25partition_config_selectorILNS1_17partition_subalgoE9EllbEEZZNS1_14partition_implILS5_9ELb0ES3_jPlS8_PNS0_10empty_typeENS0_5tupleIJS8_S9_EEENSB_IJS8_SA_EEENS0_18inequality_wrapperIZN2at6native12_GLOBAL__N_124unique_dim_cuda_templateIiEESt5tupleIJNSF_6TensorESK_SK_EERKSK_lbbbEUlllE0_EEPmJS9_EEE10hipError_tPvRmT3_T4_T5_T6_T7_T9_mT8_P12ihipStream_tbDpT10_ENKUlT_T0_E_clISt17integral_constantIbLb0EES1A_EEDaS15_S16_EUlS15_E_NS1_11comp_targetILNS1_3genE8ELNS1_11target_archE1030ELNS1_3gpuE2ELNS1_3repE0EEENS1_30default_config_static_selectorELNS0_4arch9wavefront6targetE0EEEvT1_,@function
_ZN7rocprim17ROCPRIM_400000_NS6detail17trampoline_kernelINS0_14default_configENS1_25partition_config_selectorILNS1_17partition_subalgoE9EllbEEZZNS1_14partition_implILS5_9ELb0ES3_jPlS8_PNS0_10empty_typeENS0_5tupleIJS8_S9_EEENSB_IJS8_SA_EEENS0_18inequality_wrapperIZN2at6native12_GLOBAL__N_124unique_dim_cuda_templateIiEESt5tupleIJNSF_6TensorESK_SK_EERKSK_lbbbEUlllE0_EEPmJS9_EEE10hipError_tPvRmT3_T4_T5_T6_T7_T9_mT8_P12ihipStream_tbDpT10_ENKUlT_T0_E_clISt17integral_constantIbLb0EES1A_EEDaS15_S16_EUlS15_E_NS1_11comp_targetILNS1_3genE8ELNS1_11target_archE1030ELNS1_3gpuE2ELNS1_3repE0EEENS1_30default_config_static_selectorELNS0_4arch9wavefront6targetE0EEEvT1_: ; @_ZN7rocprim17ROCPRIM_400000_NS6detail17trampoline_kernelINS0_14default_configENS1_25partition_config_selectorILNS1_17partition_subalgoE9EllbEEZZNS1_14partition_implILS5_9ELb0ES3_jPlS8_PNS0_10empty_typeENS0_5tupleIJS8_S9_EEENSB_IJS8_SA_EEENS0_18inequality_wrapperIZN2at6native12_GLOBAL__N_124unique_dim_cuda_templateIiEESt5tupleIJNSF_6TensorESK_SK_EERKSK_lbbbEUlllE0_EEPmJS9_EEE10hipError_tPvRmT3_T4_T5_T6_T7_T9_mT8_P12ihipStream_tbDpT10_ENKUlT_T0_E_clISt17integral_constantIbLb0EES1A_EEDaS15_S16_EUlS15_E_NS1_11comp_targetILNS1_3genE8ELNS1_11target_archE1030ELNS1_3gpuE2ELNS1_3repE0EEENS1_30default_config_static_selectorELNS0_4arch9wavefront6targetE0EEEvT1_
; %bb.0:
	.section	.rodata,"a",@progbits
	.p2align	6, 0x0
	.amdhsa_kernel _ZN7rocprim17ROCPRIM_400000_NS6detail17trampoline_kernelINS0_14default_configENS1_25partition_config_selectorILNS1_17partition_subalgoE9EllbEEZZNS1_14partition_implILS5_9ELb0ES3_jPlS8_PNS0_10empty_typeENS0_5tupleIJS8_S9_EEENSB_IJS8_SA_EEENS0_18inequality_wrapperIZN2at6native12_GLOBAL__N_124unique_dim_cuda_templateIiEESt5tupleIJNSF_6TensorESK_SK_EERKSK_lbbbEUlllE0_EEPmJS9_EEE10hipError_tPvRmT3_T4_T5_T6_T7_T9_mT8_P12ihipStream_tbDpT10_ENKUlT_T0_E_clISt17integral_constantIbLb0EES1A_EEDaS15_S16_EUlS15_E_NS1_11comp_targetILNS1_3genE8ELNS1_11target_archE1030ELNS1_3gpuE2ELNS1_3repE0EEENS1_30default_config_static_selectorELNS0_4arch9wavefront6targetE0EEEvT1_
		.amdhsa_group_segment_fixed_size 0
		.amdhsa_private_segment_fixed_size 0
		.amdhsa_kernarg_size 120
		.amdhsa_user_sgpr_count 15
		.amdhsa_user_sgpr_dispatch_ptr 0
		.amdhsa_user_sgpr_queue_ptr 0
		.amdhsa_user_sgpr_kernarg_segment_ptr 1
		.amdhsa_user_sgpr_dispatch_id 0
		.amdhsa_user_sgpr_private_segment_size 0
		.amdhsa_wavefront_size32 1
		.amdhsa_uses_dynamic_stack 0
		.amdhsa_enable_private_segment 0
		.amdhsa_system_sgpr_workgroup_id_x 1
		.amdhsa_system_sgpr_workgroup_id_y 0
		.amdhsa_system_sgpr_workgroup_id_z 0
		.amdhsa_system_sgpr_workgroup_info 0
		.amdhsa_system_vgpr_workitem_id 0
		.amdhsa_next_free_vgpr 1
		.amdhsa_next_free_sgpr 1
		.amdhsa_reserve_vcc 0
		.amdhsa_float_round_mode_32 0
		.amdhsa_float_round_mode_16_64 0
		.amdhsa_float_denorm_mode_32 3
		.amdhsa_float_denorm_mode_16_64 3
		.amdhsa_dx10_clamp 1
		.amdhsa_ieee_mode 1
		.amdhsa_fp16_overflow 0
		.amdhsa_workgroup_processor_mode 1
		.amdhsa_memory_ordered 1
		.amdhsa_forward_progress 0
		.amdhsa_shared_vgpr_count 0
		.amdhsa_exception_fp_ieee_invalid_op 0
		.amdhsa_exception_fp_denorm_src 0
		.amdhsa_exception_fp_ieee_div_zero 0
		.amdhsa_exception_fp_ieee_overflow 0
		.amdhsa_exception_fp_ieee_underflow 0
		.amdhsa_exception_fp_ieee_inexact 0
		.amdhsa_exception_int_div_zero 0
	.end_amdhsa_kernel
	.section	.text._ZN7rocprim17ROCPRIM_400000_NS6detail17trampoline_kernelINS0_14default_configENS1_25partition_config_selectorILNS1_17partition_subalgoE9EllbEEZZNS1_14partition_implILS5_9ELb0ES3_jPlS8_PNS0_10empty_typeENS0_5tupleIJS8_S9_EEENSB_IJS8_SA_EEENS0_18inequality_wrapperIZN2at6native12_GLOBAL__N_124unique_dim_cuda_templateIiEESt5tupleIJNSF_6TensorESK_SK_EERKSK_lbbbEUlllE0_EEPmJS9_EEE10hipError_tPvRmT3_T4_T5_T6_T7_T9_mT8_P12ihipStream_tbDpT10_ENKUlT_T0_E_clISt17integral_constantIbLb0EES1A_EEDaS15_S16_EUlS15_E_NS1_11comp_targetILNS1_3genE8ELNS1_11target_archE1030ELNS1_3gpuE2ELNS1_3repE0EEENS1_30default_config_static_selectorELNS0_4arch9wavefront6targetE0EEEvT1_,"axG",@progbits,_ZN7rocprim17ROCPRIM_400000_NS6detail17trampoline_kernelINS0_14default_configENS1_25partition_config_selectorILNS1_17partition_subalgoE9EllbEEZZNS1_14partition_implILS5_9ELb0ES3_jPlS8_PNS0_10empty_typeENS0_5tupleIJS8_S9_EEENSB_IJS8_SA_EEENS0_18inequality_wrapperIZN2at6native12_GLOBAL__N_124unique_dim_cuda_templateIiEESt5tupleIJNSF_6TensorESK_SK_EERKSK_lbbbEUlllE0_EEPmJS9_EEE10hipError_tPvRmT3_T4_T5_T6_T7_T9_mT8_P12ihipStream_tbDpT10_ENKUlT_T0_E_clISt17integral_constantIbLb0EES1A_EEDaS15_S16_EUlS15_E_NS1_11comp_targetILNS1_3genE8ELNS1_11target_archE1030ELNS1_3gpuE2ELNS1_3repE0EEENS1_30default_config_static_selectorELNS0_4arch9wavefront6targetE0EEEvT1_,comdat
.Lfunc_end480:
	.size	_ZN7rocprim17ROCPRIM_400000_NS6detail17trampoline_kernelINS0_14default_configENS1_25partition_config_selectorILNS1_17partition_subalgoE9EllbEEZZNS1_14partition_implILS5_9ELb0ES3_jPlS8_PNS0_10empty_typeENS0_5tupleIJS8_S9_EEENSB_IJS8_SA_EEENS0_18inequality_wrapperIZN2at6native12_GLOBAL__N_124unique_dim_cuda_templateIiEESt5tupleIJNSF_6TensorESK_SK_EERKSK_lbbbEUlllE0_EEPmJS9_EEE10hipError_tPvRmT3_T4_T5_T6_T7_T9_mT8_P12ihipStream_tbDpT10_ENKUlT_T0_E_clISt17integral_constantIbLb0EES1A_EEDaS15_S16_EUlS15_E_NS1_11comp_targetILNS1_3genE8ELNS1_11target_archE1030ELNS1_3gpuE2ELNS1_3repE0EEENS1_30default_config_static_selectorELNS0_4arch9wavefront6targetE0EEEvT1_, .Lfunc_end480-_ZN7rocprim17ROCPRIM_400000_NS6detail17trampoline_kernelINS0_14default_configENS1_25partition_config_selectorILNS1_17partition_subalgoE9EllbEEZZNS1_14partition_implILS5_9ELb0ES3_jPlS8_PNS0_10empty_typeENS0_5tupleIJS8_S9_EEENSB_IJS8_SA_EEENS0_18inequality_wrapperIZN2at6native12_GLOBAL__N_124unique_dim_cuda_templateIiEESt5tupleIJNSF_6TensorESK_SK_EERKSK_lbbbEUlllE0_EEPmJS9_EEE10hipError_tPvRmT3_T4_T5_T6_T7_T9_mT8_P12ihipStream_tbDpT10_ENKUlT_T0_E_clISt17integral_constantIbLb0EES1A_EEDaS15_S16_EUlS15_E_NS1_11comp_targetILNS1_3genE8ELNS1_11target_archE1030ELNS1_3gpuE2ELNS1_3repE0EEENS1_30default_config_static_selectorELNS0_4arch9wavefront6targetE0EEEvT1_
                                        ; -- End function
	.section	.AMDGPU.csdata,"",@progbits
; Kernel info:
; codeLenInByte = 0
; NumSgprs: 0
; NumVgprs: 0
; ScratchSize: 0
; MemoryBound: 0
; FloatMode: 240
; IeeeMode: 1
; LDSByteSize: 0 bytes/workgroup (compile time only)
; SGPRBlocks: 0
; VGPRBlocks: 0
; NumSGPRsForWavesPerEU: 1
; NumVGPRsForWavesPerEU: 1
; Occupancy: 16
; WaveLimiterHint : 0
; COMPUTE_PGM_RSRC2:SCRATCH_EN: 0
; COMPUTE_PGM_RSRC2:USER_SGPR: 15
; COMPUTE_PGM_RSRC2:TRAP_HANDLER: 0
; COMPUTE_PGM_RSRC2:TGID_X_EN: 1
; COMPUTE_PGM_RSRC2:TGID_Y_EN: 0
; COMPUTE_PGM_RSRC2:TGID_Z_EN: 0
; COMPUTE_PGM_RSRC2:TIDIG_COMP_CNT: 0
	.section	.text._ZN7rocprim17ROCPRIM_400000_NS6detail17trampoline_kernelINS0_14default_configENS1_25partition_config_selectorILNS1_17partition_subalgoE9EllbEEZZNS1_14partition_implILS5_9ELb0ES3_jPlS8_PNS0_10empty_typeENS0_5tupleIJS8_S9_EEENSB_IJS8_SA_EEENS0_18inequality_wrapperIZN2at6native12_GLOBAL__N_124unique_dim_cuda_templateIiEESt5tupleIJNSF_6TensorESK_SK_EERKSK_lbbbEUlllE0_EEPmJS9_EEE10hipError_tPvRmT3_T4_T5_T6_T7_T9_mT8_P12ihipStream_tbDpT10_ENKUlT_T0_E_clISt17integral_constantIbLb1EES1A_EEDaS15_S16_EUlS15_E_NS1_11comp_targetILNS1_3genE0ELNS1_11target_archE4294967295ELNS1_3gpuE0ELNS1_3repE0EEENS1_30default_config_static_selectorELNS0_4arch9wavefront6targetE0EEEvT1_,"axG",@progbits,_ZN7rocprim17ROCPRIM_400000_NS6detail17trampoline_kernelINS0_14default_configENS1_25partition_config_selectorILNS1_17partition_subalgoE9EllbEEZZNS1_14partition_implILS5_9ELb0ES3_jPlS8_PNS0_10empty_typeENS0_5tupleIJS8_S9_EEENSB_IJS8_SA_EEENS0_18inequality_wrapperIZN2at6native12_GLOBAL__N_124unique_dim_cuda_templateIiEESt5tupleIJNSF_6TensorESK_SK_EERKSK_lbbbEUlllE0_EEPmJS9_EEE10hipError_tPvRmT3_T4_T5_T6_T7_T9_mT8_P12ihipStream_tbDpT10_ENKUlT_T0_E_clISt17integral_constantIbLb1EES1A_EEDaS15_S16_EUlS15_E_NS1_11comp_targetILNS1_3genE0ELNS1_11target_archE4294967295ELNS1_3gpuE0ELNS1_3repE0EEENS1_30default_config_static_selectorELNS0_4arch9wavefront6targetE0EEEvT1_,comdat
	.globl	_ZN7rocprim17ROCPRIM_400000_NS6detail17trampoline_kernelINS0_14default_configENS1_25partition_config_selectorILNS1_17partition_subalgoE9EllbEEZZNS1_14partition_implILS5_9ELb0ES3_jPlS8_PNS0_10empty_typeENS0_5tupleIJS8_S9_EEENSB_IJS8_SA_EEENS0_18inequality_wrapperIZN2at6native12_GLOBAL__N_124unique_dim_cuda_templateIiEESt5tupleIJNSF_6TensorESK_SK_EERKSK_lbbbEUlllE0_EEPmJS9_EEE10hipError_tPvRmT3_T4_T5_T6_T7_T9_mT8_P12ihipStream_tbDpT10_ENKUlT_T0_E_clISt17integral_constantIbLb1EES1A_EEDaS15_S16_EUlS15_E_NS1_11comp_targetILNS1_3genE0ELNS1_11target_archE4294967295ELNS1_3gpuE0ELNS1_3repE0EEENS1_30default_config_static_selectorELNS0_4arch9wavefront6targetE0EEEvT1_ ; -- Begin function _ZN7rocprim17ROCPRIM_400000_NS6detail17trampoline_kernelINS0_14default_configENS1_25partition_config_selectorILNS1_17partition_subalgoE9EllbEEZZNS1_14partition_implILS5_9ELb0ES3_jPlS8_PNS0_10empty_typeENS0_5tupleIJS8_S9_EEENSB_IJS8_SA_EEENS0_18inequality_wrapperIZN2at6native12_GLOBAL__N_124unique_dim_cuda_templateIiEESt5tupleIJNSF_6TensorESK_SK_EERKSK_lbbbEUlllE0_EEPmJS9_EEE10hipError_tPvRmT3_T4_T5_T6_T7_T9_mT8_P12ihipStream_tbDpT10_ENKUlT_T0_E_clISt17integral_constantIbLb1EES1A_EEDaS15_S16_EUlS15_E_NS1_11comp_targetILNS1_3genE0ELNS1_11target_archE4294967295ELNS1_3gpuE0ELNS1_3repE0EEENS1_30default_config_static_selectorELNS0_4arch9wavefront6targetE0EEEvT1_
	.p2align	8
	.type	_ZN7rocprim17ROCPRIM_400000_NS6detail17trampoline_kernelINS0_14default_configENS1_25partition_config_selectorILNS1_17partition_subalgoE9EllbEEZZNS1_14partition_implILS5_9ELb0ES3_jPlS8_PNS0_10empty_typeENS0_5tupleIJS8_S9_EEENSB_IJS8_SA_EEENS0_18inequality_wrapperIZN2at6native12_GLOBAL__N_124unique_dim_cuda_templateIiEESt5tupleIJNSF_6TensorESK_SK_EERKSK_lbbbEUlllE0_EEPmJS9_EEE10hipError_tPvRmT3_T4_T5_T6_T7_T9_mT8_P12ihipStream_tbDpT10_ENKUlT_T0_E_clISt17integral_constantIbLb1EES1A_EEDaS15_S16_EUlS15_E_NS1_11comp_targetILNS1_3genE0ELNS1_11target_archE4294967295ELNS1_3gpuE0ELNS1_3repE0EEENS1_30default_config_static_selectorELNS0_4arch9wavefront6targetE0EEEvT1_,@function
_ZN7rocprim17ROCPRIM_400000_NS6detail17trampoline_kernelINS0_14default_configENS1_25partition_config_selectorILNS1_17partition_subalgoE9EllbEEZZNS1_14partition_implILS5_9ELb0ES3_jPlS8_PNS0_10empty_typeENS0_5tupleIJS8_S9_EEENSB_IJS8_SA_EEENS0_18inequality_wrapperIZN2at6native12_GLOBAL__N_124unique_dim_cuda_templateIiEESt5tupleIJNSF_6TensorESK_SK_EERKSK_lbbbEUlllE0_EEPmJS9_EEE10hipError_tPvRmT3_T4_T5_T6_T7_T9_mT8_P12ihipStream_tbDpT10_ENKUlT_T0_E_clISt17integral_constantIbLb1EES1A_EEDaS15_S16_EUlS15_E_NS1_11comp_targetILNS1_3genE0ELNS1_11target_archE4294967295ELNS1_3gpuE0ELNS1_3repE0EEENS1_30default_config_static_selectorELNS0_4arch9wavefront6targetE0EEEvT1_: ; @_ZN7rocprim17ROCPRIM_400000_NS6detail17trampoline_kernelINS0_14default_configENS1_25partition_config_selectorILNS1_17partition_subalgoE9EllbEEZZNS1_14partition_implILS5_9ELb0ES3_jPlS8_PNS0_10empty_typeENS0_5tupleIJS8_S9_EEENSB_IJS8_SA_EEENS0_18inequality_wrapperIZN2at6native12_GLOBAL__N_124unique_dim_cuda_templateIiEESt5tupleIJNSF_6TensorESK_SK_EERKSK_lbbbEUlllE0_EEPmJS9_EEE10hipError_tPvRmT3_T4_T5_T6_T7_T9_mT8_P12ihipStream_tbDpT10_ENKUlT_T0_E_clISt17integral_constantIbLb1EES1A_EEDaS15_S16_EUlS15_E_NS1_11comp_targetILNS1_3genE0ELNS1_11target_archE4294967295ELNS1_3gpuE0ELNS1_3repE0EEENS1_30default_config_static_selectorELNS0_4arch9wavefront6targetE0EEEvT1_
; %bb.0:
	.section	.rodata,"a",@progbits
	.p2align	6, 0x0
	.amdhsa_kernel _ZN7rocprim17ROCPRIM_400000_NS6detail17trampoline_kernelINS0_14default_configENS1_25partition_config_selectorILNS1_17partition_subalgoE9EllbEEZZNS1_14partition_implILS5_9ELb0ES3_jPlS8_PNS0_10empty_typeENS0_5tupleIJS8_S9_EEENSB_IJS8_SA_EEENS0_18inequality_wrapperIZN2at6native12_GLOBAL__N_124unique_dim_cuda_templateIiEESt5tupleIJNSF_6TensorESK_SK_EERKSK_lbbbEUlllE0_EEPmJS9_EEE10hipError_tPvRmT3_T4_T5_T6_T7_T9_mT8_P12ihipStream_tbDpT10_ENKUlT_T0_E_clISt17integral_constantIbLb1EES1A_EEDaS15_S16_EUlS15_E_NS1_11comp_targetILNS1_3genE0ELNS1_11target_archE4294967295ELNS1_3gpuE0ELNS1_3repE0EEENS1_30default_config_static_selectorELNS0_4arch9wavefront6targetE0EEEvT1_
		.amdhsa_group_segment_fixed_size 0
		.amdhsa_private_segment_fixed_size 0
		.amdhsa_kernarg_size 136
		.amdhsa_user_sgpr_count 15
		.amdhsa_user_sgpr_dispatch_ptr 0
		.amdhsa_user_sgpr_queue_ptr 0
		.amdhsa_user_sgpr_kernarg_segment_ptr 1
		.amdhsa_user_sgpr_dispatch_id 0
		.amdhsa_user_sgpr_private_segment_size 0
		.amdhsa_wavefront_size32 1
		.amdhsa_uses_dynamic_stack 0
		.amdhsa_enable_private_segment 0
		.amdhsa_system_sgpr_workgroup_id_x 1
		.amdhsa_system_sgpr_workgroup_id_y 0
		.amdhsa_system_sgpr_workgroup_id_z 0
		.amdhsa_system_sgpr_workgroup_info 0
		.amdhsa_system_vgpr_workitem_id 0
		.amdhsa_next_free_vgpr 1
		.amdhsa_next_free_sgpr 1
		.amdhsa_reserve_vcc 0
		.amdhsa_float_round_mode_32 0
		.amdhsa_float_round_mode_16_64 0
		.amdhsa_float_denorm_mode_32 3
		.amdhsa_float_denorm_mode_16_64 3
		.amdhsa_dx10_clamp 1
		.amdhsa_ieee_mode 1
		.amdhsa_fp16_overflow 0
		.amdhsa_workgroup_processor_mode 1
		.amdhsa_memory_ordered 1
		.amdhsa_forward_progress 0
		.amdhsa_shared_vgpr_count 0
		.amdhsa_exception_fp_ieee_invalid_op 0
		.amdhsa_exception_fp_denorm_src 0
		.amdhsa_exception_fp_ieee_div_zero 0
		.amdhsa_exception_fp_ieee_overflow 0
		.amdhsa_exception_fp_ieee_underflow 0
		.amdhsa_exception_fp_ieee_inexact 0
		.amdhsa_exception_int_div_zero 0
	.end_amdhsa_kernel
	.section	.text._ZN7rocprim17ROCPRIM_400000_NS6detail17trampoline_kernelINS0_14default_configENS1_25partition_config_selectorILNS1_17partition_subalgoE9EllbEEZZNS1_14partition_implILS5_9ELb0ES3_jPlS8_PNS0_10empty_typeENS0_5tupleIJS8_S9_EEENSB_IJS8_SA_EEENS0_18inequality_wrapperIZN2at6native12_GLOBAL__N_124unique_dim_cuda_templateIiEESt5tupleIJNSF_6TensorESK_SK_EERKSK_lbbbEUlllE0_EEPmJS9_EEE10hipError_tPvRmT3_T4_T5_T6_T7_T9_mT8_P12ihipStream_tbDpT10_ENKUlT_T0_E_clISt17integral_constantIbLb1EES1A_EEDaS15_S16_EUlS15_E_NS1_11comp_targetILNS1_3genE0ELNS1_11target_archE4294967295ELNS1_3gpuE0ELNS1_3repE0EEENS1_30default_config_static_selectorELNS0_4arch9wavefront6targetE0EEEvT1_,"axG",@progbits,_ZN7rocprim17ROCPRIM_400000_NS6detail17trampoline_kernelINS0_14default_configENS1_25partition_config_selectorILNS1_17partition_subalgoE9EllbEEZZNS1_14partition_implILS5_9ELb0ES3_jPlS8_PNS0_10empty_typeENS0_5tupleIJS8_S9_EEENSB_IJS8_SA_EEENS0_18inequality_wrapperIZN2at6native12_GLOBAL__N_124unique_dim_cuda_templateIiEESt5tupleIJNSF_6TensorESK_SK_EERKSK_lbbbEUlllE0_EEPmJS9_EEE10hipError_tPvRmT3_T4_T5_T6_T7_T9_mT8_P12ihipStream_tbDpT10_ENKUlT_T0_E_clISt17integral_constantIbLb1EES1A_EEDaS15_S16_EUlS15_E_NS1_11comp_targetILNS1_3genE0ELNS1_11target_archE4294967295ELNS1_3gpuE0ELNS1_3repE0EEENS1_30default_config_static_selectorELNS0_4arch9wavefront6targetE0EEEvT1_,comdat
.Lfunc_end481:
	.size	_ZN7rocprim17ROCPRIM_400000_NS6detail17trampoline_kernelINS0_14default_configENS1_25partition_config_selectorILNS1_17partition_subalgoE9EllbEEZZNS1_14partition_implILS5_9ELb0ES3_jPlS8_PNS0_10empty_typeENS0_5tupleIJS8_S9_EEENSB_IJS8_SA_EEENS0_18inequality_wrapperIZN2at6native12_GLOBAL__N_124unique_dim_cuda_templateIiEESt5tupleIJNSF_6TensorESK_SK_EERKSK_lbbbEUlllE0_EEPmJS9_EEE10hipError_tPvRmT3_T4_T5_T6_T7_T9_mT8_P12ihipStream_tbDpT10_ENKUlT_T0_E_clISt17integral_constantIbLb1EES1A_EEDaS15_S16_EUlS15_E_NS1_11comp_targetILNS1_3genE0ELNS1_11target_archE4294967295ELNS1_3gpuE0ELNS1_3repE0EEENS1_30default_config_static_selectorELNS0_4arch9wavefront6targetE0EEEvT1_, .Lfunc_end481-_ZN7rocprim17ROCPRIM_400000_NS6detail17trampoline_kernelINS0_14default_configENS1_25partition_config_selectorILNS1_17partition_subalgoE9EllbEEZZNS1_14partition_implILS5_9ELb0ES3_jPlS8_PNS0_10empty_typeENS0_5tupleIJS8_S9_EEENSB_IJS8_SA_EEENS0_18inequality_wrapperIZN2at6native12_GLOBAL__N_124unique_dim_cuda_templateIiEESt5tupleIJNSF_6TensorESK_SK_EERKSK_lbbbEUlllE0_EEPmJS9_EEE10hipError_tPvRmT3_T4_T5_T6_T7_T9_mT8_P12ihipStream_tbDpT10_ENKUlT_T0_E_clISt17integral_constantIbLb1EES1A_EEDaS15_S16_EUlS15_E_NS1_11comp_targetILNS1_3genE0ELNS1_11target_archE4294967295ELNS1_3gpuE0ELNS1_3repE0EEENS1_30default_config_static_selectorELNS0_4arch9wavefront6targetE0EEEvT1_
                                        ; -- End function
	.section	.AMDGPU.csdata,"",@progbits
; Kernel info:
; codeLenInByte = 0
; NumSgprs: 0
; NumVgprs: 0
; ScratchSize: 0
; MemoryBound: 0
; FloatMode: 240
; IeeeMode: 1
; LDSByteSize: 0 bytes/workgroup (compile time only)
; SGPRBlocks: 0
; VGPRBlocks: 0
; NumSGPRsForWavesPerEU: 1
; NumVGPRsForWavesPerEU: 1
; Occupancy: 16
; WaveLimiterHint : 0
; COMPUTE_PGM_RSRC2:SCRATCH_EN: 0
; COMPUTE_PGM_RSRC2:USER_SGPR: 15
; COMPUTE_PGM_RSRC2:TRAP_HANDLER: 0
; COMPUTE_PGM_RSRC2:TGID_X_EN: 1
; COMPUTE_PGM_RSRC2:TGID_Y_EN: 0
; COMPUTE_PGM_RSRC2:TGID_Z_EN: 0
; COMPUTE_PGM_RSRC2:TIDIG_COMP_CNT: 0
	.section	.text._ZN7rocprim17ROCPRIM_400000_NS6detail17trampoline_kernelINS0_14default_configENS1_25partition_config_selectorILNS1_17partition_subalgoE9EllbEEZZNS1_14partition_implILS5_9ELb0ES3_jPlS8_PNS0_10empty_typeENS0_5tupleIJS8_S9_EEENSB_IJS8_SA_EEENS0_18inequality_wrapperIZN2at6native12_GLOBAL__N_124unique_dim_cuda_templateIiEESt5tupleIJNSF_6TensorESK_SK_EERKSK_lbbbEUlllE0_EEPmJS9_EEE10hipError_tPvRmT3_T4_T5_T6_T7_T9_mT8_P12ihipStream_tbDpT10_ENKUlT_T0_E_clISt17integral_constantIbLb1EES1A_EEDaS15_S16_EUlS15_E_NS1_11comp_targetILNS1_3genE5ELNS1_11target_archE942ELNS1_3gpuE9ELNS1_3repE0EEENS1_30default_config_static_selectorELNS0_4arch9wavefront6targetE0EEEvT1_,"axG",@progbits,_ZN7rocprim17ROCPRIM_400000_NS6detail17trampoline_kernelINS0_14default_configENS1_25partition_config_selectorILNS1_17partition_subalgoE9EllbEEZZNS1_14partition_implILS5_9ELb0ES3_jPlS8_PNS0_10empty_typeENS0_5tupleIJS8_S9_EEENSB_IJS8_SA_EEENS0_18inequality_wrapperIZN2at6native12_GLOBAL__N_124unique_dim_cuda_templateIiEESt5tupleIJNSF_6TensorESK_SK_EERKSK_lbbbEUlllE0_EEPmJS9_EEE10hipError_tPvRmT3_T4_T5_T6_T7_T9_mT8_P12ihipStream_tbDpT10_ENKUlT_T0_E_clISt17integral_constantIbLb1EES1A_EEDaS15_S16_EUlS15_E_NS1_11comp_targetILNS1_3genE5ELNS1_11target_archE942ELNS1_3gpuE9ELNS1_3repE0EEENS1_30default_config_static_selectorELNS0_4arch9wavefront6targetE0EEEvT1_,comdat
	.globl	_ZN7rocprim17ROCPRIM_400000_NS6detail17trampoline_kernelINS0_14default_configENS1_25partition_config_selectorILNS1_17partition_subalgoE9EllbEEZZNS1_14partition_implILS5_9ELb0ES3_jPlS8_PNS0_10empty_typeENS0_5tupleIJS8_S9_EEENSB_IJS8_SA_EEENS0_18inequality_wrapperIZN2at6native12_GLOBAL__N_124unique_dim_cuda_templateIiEESt5tupleIJNSF_6TensorESK_SK_EERKSK_lbbbEUlllE0_EEPmJS9_EEE10hipError_tPvRmT3_T4_T5_T6_T7_T9_mT8_P12ihipStream_tbDpT10_ENKUlT_T0_E_clISt17integral_constantIbLb1EES1A_EEDaS15_S16_EUlS15_E_NS1_11comp_targetILNS1_3genE5ELNS1_11target_archE942ELNS1_3gpuE9ELNS1_3repE0EEENS1_30default_config_static_selectorELNS0_4arch9wavefront6targetE0EEEvT1_ ; -- Begin function _ZN7rocprim17ROCPRIM_400000_NS6detail17trampoline_kernelINS0_14default_configENS1_25partition_config_selectorILNS1_17partition_subalgoE9EllbEEZZNS1_14partition_implILS5_9ELb0ES3_jPlS8_PNS0_10empty_typeENS0_5tupleIJS8_S9_EEENSB_IJS8_SA_EEENS0_18inequality_wrapperIZN2at6native12_GLOBAL__N_124unique_dim_cuda_templateIiEESt5tupleIJNSF_6TensorESK_SK_EERKSK_lbbbEUlllE0_EEPmJS9_EEE10hipError_tPvRmT3_T4_T5_T6_T7_T9_mT8_P12ihipStream_tbDpT10_ENKUlT_T0_E_clISt17integral_constantIbLb1EES1A_EEDaS15_S16_EUlS15_E_NS1_11comp_targetILNS1_3genE5ELNS1_11target_archE942ELNS1_3gpuE9ELNS1_3repE0EEENS1_30default_config_static_selectorELNS0_4arch9wavefront6targetE0EEEvT1_
	.p2align	8
	.type	_ZN7rocprim17ROCPRIM_400000_NS6detail17trampoline_kernelINS0_14default_configENS1_25partition_config_selectorILNS1_17partition_subalgoE9EllbEEZZNS1_14partition_implILS5_9ELb0ES3_jPlS8_PNS0_10empty_typeENS0_5tupleIJS8_S9_EEENSB_IJS8_SA_EEENS0_18inequality_wrapperIZN2at6native12_GLOBAL__N_124unique_dim_cuda_templateIiEESt5tupleIJNSF_6TensorESK_SK_EERKSK_lbbbEUlllE0_EEPmJS9_EEE10hipError_tPvRmT3_T4_T5_T6_T7_T9_mT8_P12ihipStream_tbDpT10_ENKUlT_T0_E_clISt17integral_constantIbLb1EES1A_EEDaS15_S16_EUlS15_E_NS1_11comp_targetILNS1_3genE5ELNS1_11target_archE942ELNS1_3gpuE9ELNS1_3repE0EEENS1_30default_config_static_selectorELNS0_4arch9wavefront6targetE0EEEvT1_,@function
_ZN7rocprim17ROCPRIM_400000_NS6detail17trampoline_kernelINS0_14default_configENS1_25partition_config_selectorILNS1_17partition_subalgoE9EllbEEZZNS1_14partition_implILS5_9ELb0ES3_jPlS8_PNS0_10empty_typeENS0_5tupleIJS8_S9_EEENSB_IJS8_SA_EEENS0_18inequality_wrapperIZN2at6native12_GLOBAL__N_124unique_dim_cuda_templateIiEESt5tupleIJNSF_6TensorESK_SK_EERKSK_lbbbEUlllE0_EEPmJS9_EEE10hipError_tPvRmT3_T4_T5_T6_T7_T9_mT8_P12ihipStream_tbDpT10_ENKUlT_T0_E_clISt17integral_constantIbLb1EES1A_EEDaS15_S16_EUlS15_E_NS1_11comp_targetILNS1_3genE5ELNS1_11target_archE942ELNS1_3gpuE9ELNS1_3repE0EEENS1_30default_config_static_selectorELNS0_4arch9wavefront6targetE0EEEvT1_: ; @_ZN7rocprim17ROCPRIM_400000_NS6detail17trampoline_kernelINS0_14default_configENS1_25partition_config_selectorILNS1_17partition_subalgoE9EllbEEZZNS1_14partition_implILS5_9ELb0ES3_jPlS8_PNS0_10empty_typeENS0_5tupleIJS8_S9_EEENSB_IJS8_SA_EEENS0_18inequality_wrapperIZN2at6native12_GLOBAL__N_124unique_dim_cuda_templateIiEESt5tupleIJNSF_6TensorESK_SK_EERKSK_lbbbEUlllE0_EEPmJS9_EEE10hipError_tPvRmT3_T4_T5_T6_T7_T9_mT8_P12ihipStream_tbDpT10_ENKUlT_T0_E_clISt17integral_constantIbLb1EES1A_EEDaS15_S16_EUlS15_E_NS1_11comp_targetILNS1_3genE5ELNS1_11target_archE942ELNS1_3gpuE9ELNS1_3repE0EEENS1_30default_config_static_selectorELNS0_4arch9wavefront6targetE0EEEvT1_
; %bb.0:
	.section	.rodata,"a",@progbits
	.p2align	6, 0x0
	.amdhsa_kernel _ZN7rocprim17ROCPRIM_400000_NS6detail17trampoline_kernelINS0_14default_configENS1_25partition_config_selectorILNS1_17partition_subalgoE9EllbEEZZNS1_14partition_implILS5_9ELb0ES3_jPlS8_PNS0_10empty_typeENS0_5tupleIJS8_S9_EEENSB_IJS8_SA_EEENS0_18inequality_wrapperIZN2at6native12_GLOBAL__N_124unique_dim_cuda_templateIiEESt5tupleIJNSF_6TensorESK_SK_EERKSK_lbbbEUlllE0_EEPmJS9_EEE10hipError_tPvRmT3_T4_T5_T6_T7_T9_mT8_P12ihipStream_tbDpT10_ENKUlT_T0_E_clISt17integral_constantIbLb1EES1A_EEDaS15_S16_EUlS15_E_NS1_11comp_targetILNS1_3genE5ELNS1_11target_archE942ELNS1_3gpuE9ELNS1_3repE0EEENS1_30default_config_static_selectorELNS0_4arch9wavefront6targetE0EEEvT1_
		.amdhsa_group_segment_fixed_size 0
		.amdhsa_private_segment_fixed_size 0
		.amdhsa_kernarg_size 136
		.amdhsa_user_sgpr_count 15
		.amdhsa_user_sgpr_dispatch_ptr 0
		.amdhsa_user_sgpr_queue_ptr 0
		.amdhsa_user_sgpr_kernarg_segment_ptr 1
		.amdhsa_user_sgpr_dispatch_id 0
		.amdhsa_user_sgpr_private_segment_size 0
		.amdhsa_wavefront_size32 1
		.amdhsa_uses_dynamic_stack 0
		.amdhsa_enable_private_segment 0
		.amdhsa_system_sgpr_workgroup_id_x 1
		.amdhsa_system_sgpr_workgroup_id_y 0
		.amdhsa_system_sgpr_workgroup_id_z 0
		.amdhsa_system_sgpr_workgroup_info 0
		.amdhsa_system_vgpr_workitem_id 0
		.amdhsa_next_free_vgpr 1
		.amdhsa_next_free_sgpr 1
		.amdhsa_reserve_vcc 0
		.amdhsa_float_round_mode_32 0
		.amdhsa_float_round_mode_16_64 0
		.amdhsa_float_denorm_mode_32 3
		.amdhsa_float_denorm_mode_16_64 3
		.amdhsa_dx10_clamp 1
		.amdhsa_ieee_mode 1
		.amdhsa_fp16_overflow 0
		.amdhsa_workgroup_processor_mode 1
		.amdhsa_memory_ordered 1
		.amdhsa_forward_progress 0
		.amdhsa_shared_vgpr_count 0
		.amdhsa_exception_fp_ieee_invalid_op 0
		.amdhsa_exception_fp_denorm_src 0
		.amdhsa_exception_fp_ieee_div_zero 0
		.amdhsa_exception_fp_ieee_overflow 0
		.amdhsa_exception_fp_ieee_underflow 0
		.amdhsa_exception_fp_ieee_inexact 0
		.amdhsa_exception_int_div_zero 0
	.end_amdhsa_kernel
	.section	.text._ZN7rocprim17ROCPRIM_400000_NS6detail17trampoline_kernelINS0_14default_configENS1_25partition_config_selectorILNS1_17partition_subalgoE9EllbEEZZNS1_14partition_implILS5_9ELb0ES3_jPlS8_PNS0_10empty_typeENS0_5tupleIJS8_S9_EEENSB_IJS8_SA_EEENS0_18inequality_wrapperIZN2at6native12_GLOBAL__N_124unique_dim_cuda_templateIiEESt5tupleIJNSF_6TensorESK_SK_EERKSK_lbbbEUlllE0_EEPmJS9_EEE10hipError_tPvRmT3_T4_T5_T6_T7_T9_mT8_P12ihipStream_tbDpT10_ENKUlT_T0_E_clISt17integral_constantIbLb1EES1A_EEDaS15_S16_EUlS15_E_NS1_11comp_targetILNS1_3genE5ELNS1_11target_archE942ELNS1_3gpuE9ELNS1_3repE0EEENS1_30default_config_static_selectorELNS0_4arch9wavefront6targetE0EEEvT1_,"axG",@progbits,_ZN7rocprim17ROCPRIM_400000_NS6detail17trampoline_kernelINS0_14default_configENS1_25partition_config_selectorILNS1_17partition_subalgoE9EllbEEZZNS1_14partition_implILS5_9ELb0ES3_jPlS8_PNS0_10empty_typeENS0_5tupleIJS8_S9_EEENSB_IJS8_SA_EEENS0_18inequality_wrapperIZN2at6native12_GLOBAL__N_124unique_dim_cuda_templateIiEESt5tupleIJNSF_6TensorESK_SK_EERKSK_lbbbEUlllE0_EEPmJS9_EEE10hipError_tPvRmT3_T4_T5_T6_T7_T9_mT8_P12ihipStream_tbDpT10_ENKUlT_T0_E_clISt17integral_constantIbLb1EES1A_EEDaS15_S16_EUlS15_E_NS1_11comp_targetILNS1_3genE5ELNS1_11target_archE942ELNS1_3gpuE9ELNS1_3repE0EEENS1_30default_config_static_selectorELNS0_4arch9wavefront6targetE0EEEvT1_,comdat
.Lfunc_end482:
	.size	_ZN7rocprim17ROCPRIM_400000_NS6detail17trampoline_kernelINS0_14default_configENS1_25partition_config_selectorILNS1_17partition_subalgoE9EllbEEZZNS1_14partition_implILS5_9ELb0ES3_jPlS8_PNS0_10empty_typeENS0_5tupleIJS8_S9_EEENSB_IJS8_SA_EEENS0_18inequality_wrapperIZN2at6native12_GLOBAL__N_124unique_dim_cuda_templateIiEESt5tupleIJNSF_6TensorESK_SK_EERKSK_lbbbEUlllE0_EEPmJS9_EEE10hipError_tPvRmT3_T4_T5_T6_T7_T9_mT8_P12ihipStream_tbDpT10_ENKUlT_T0_E_clISt17integral_constantIbLb1EES1A_EEDaS15_S16_EUlS15_E_NS1_11comp_targetILNS1_3genE5ELNS1_11target_archE942ELNS1_3gpuE9ELNS1_3repE0EEENS1_30default_config_static_selectorELNS0_4arch9wavefront6targetE0EEEvT1_, .Lfunc_end482-_ZN7rocprim17ROCPRIM_400000_NS6detail17trampoline_kernelINS0_14default_configENS1_25partition_config_selectorILNS1_17partition_subalgoE9EllbEEZZNS1_14partition_implILS5_9ELb0ES3_jPlS8_PNS0_10empty_typeENS0_5tupleIJS8_S9_EEENSB_IJS8_SA_EEENS0_18inequality_wrapperIZN2at6native12_GLOBAL__N_124unique_dim_cuda_templateIiEESt5tupleIJNSF_6TensorESK_SK_EERKSK_lbbbEUlllE0_EEPmJS9_EEE10hipError_tPvRmT3_T4_T5_T6_T7_T9_mT8_P12ihipStream_tbDpT10_ENKUlT_T0_E_clISt17integral_constantIbLb1EES1A_EEDaS15_S16_EUlS15_E_NS1_11comp_targetILNS1_3genE5ELNS1_11target_archE942ELNS1_3gpuE9ELNS1_3repE0EEENS1_30default_config_static_selectorELNS0_4arch9wavefront6targetE0EEEvT1_
                                        ; -- End function
	.section	.AMDGPU.csdata,"",@progbits
; Kernel info:
; codeLenInByte = 0
; NumSgprs: 0
; NumVgprs: 0
; ScratchSize: 0
; MemoryBound: 0
; FloatMode: 240
; IeeeMode: 1
; LDSByteSize: 0 bytes/workgroup (compile time only)
; SGPRBlocks: 0
; VGPRBlocks: 0
; NumSGPRsForWavesPerEU: 1
; NumVGPRsForWavesPerEU: 1
; Occupancy: 16
; WaveLimiterHint : 0
; COMPUTE_PGM_RSRC2:SCRATCH_EN: 0
; COMPUTE_PGM_RSRC2:USER_SGPR: 15
; COMPUTE_PGM_RSRC2:TRAP_HANDLER: 0
; COMPUTE_PGM_RSRC2:TGID_X_EN: 1
; COMPUTE_PGM_RSRC2:TGID_Y_EN: 0
; COMPUTE_PGM_RSRC2:TGID_Z_EN: 0
; COMPUTE_PGM_RSRC2:TIDIG_COMP_CNT: 0
	.section	.text._ZN7rocprim17ROCPRIM_400000_NS6detail17trampoline_kernelINS0_14default_configENS1_25partition_config_selectorILNS1_17partition_subalgoE9EllbEEZZNS1_14partition_implILS5_9ELb0ES3_jPlS8_PNS0_10empty_typeENS0_5tupleIJS8_S9_EEENSB_IJS8_SA_EEENS0_18inequality_wrapperIZN2at6native12_GLOBAL__N_124unique_dim_cuda_templateIiEESt5tupleIJNSF_6TensorESK_SK_EERKSK_lbbbEUlllE0_EEPmJS9_EEE10hipError_tPvRmT3_T4_T5_T6_T7_T9_mT8_P12ihipStream_tbDpT10_ENKUlT_T0_E_clISt17integral_constantIbLb1EES1A_EEDaS15_S16_EUlS15_E_NS1_11comp_targetILNS1_3genE4ELNS1_11target_archE910ELNS1_3gpuE8ELNS1_3repE0EEENS1_30default_config_static_selectorELNS0_4arch9wavefront6targetE0EEEvT1_,"axG",@progbits,_ZN7rocprim17ROCPRIM_400000_NS6detail17trampoline_kernelINS0_14default_configENS1_25partition_config_selectorILNS1_17partition_subalgoE9EllbEEZZNS1_14partition_implILS5_9ELb0ES3_jPlS8_PNS0_10empty_typeENS0_5tupleIJS8_S9_EEENSB_IJS8_SA_EEENS0_18inequality_wrapperIZN2at6native12_GLOBAL__N_124unique_dim_cuda_templateIiEESt5tupleIJNSF_6TensorESK_SK_EERKSK_lbbbEUlllE0_EEPmJS9_EEE10hipError_tPvRmT3_T4_T5_T6_T7_T9_mT8_P12ihipStream_tbDpT10_ENKUlT_T0_E_clISt17integral_constantIbLb1EES1A_EEDaS15_S16_EUlS15_E_NS1_11comp_targetILNS1_3genE4ELNS1_11target_archE910ELNS1_3gpuE8ELNS1_3repE0EEENS1_30default_config_static_selectorELNS0_4arch9wavefront6targetE0EEEvT1_,comdat
	.globl	_ZN7rocprim17ROCPRIM_400000_NS6detail17trampoline_kernelINS0_14default_configENS1_25partition_config_selectorILNS1_17partition_subalgoE9EllbEEZZNS1_14partition_implILS5_9ELb0ES3_jPlS8_PNS0_10empty_typeENS0_5tupleIJS8_S9_EEENSB_IJS8_SA_EEENS0_18inequality_wrapperIZN2at6native12_GLOBAL__N_124unique_dim_cuda_templateIiEESt5tupleIJNSF_6TensorESK_SK_EERKSK_lbbbEUlllE0_EEPmJS9_EEE10hipError_tPvRmT3_T4_T5_T6_T7_T9_mT8_P12ihipStream_tbDpT10_ENKUlT_T0_E_clISt17integral_constantIbLb1EES1A_EEDaS15_S16_EUlS15_E_NS1_11comp_targetILNS1_3genE4ELNS1_11target_archE910ELNS1_3gpuE8ELNS1_3repE0EEENS1_30default_config_static_selectorELNS0_4arch9wavefront6targetE0EEEvT1_ ; -- Begin function _ZN7rocprim17ROCPRIM_400000_NS6detail17trampoline_kernelINS0_14default_configENS1_25partition_config_selectorILNS1_17partition_subalgoE9EllbEEZZNS1_14partition_implILS5_9ELb0ES3_jPlS8_PNS0_10empty_typeENS0_5tupleIJS8_S9_EEENSB_IJS8_SA_EEENS0_18inequality_wrapperIZN2at6native12_GLOBAL__N_124unique_dim_cuda_templateIiEESt5tupleIJNSF_6TensorESK_SK_EERKSK_lbbbEUlllE0_EEPmJS9_EEE10hipError_tPvRmT3_T4_T5_T6_T7_T9_mT8_P12ihipStream_tbDpT10_ENKUlT_T0_E_clISt17integral_constantIbLb1EES1A_EEDaS15_S16_EUlS15_E_NS1_11comp_targetILNS1_3genE4ELNS1_11target_archE910ELNS1_3gpuE8ELNS1_3repE0EEENS1_30default_config_static_selectorELNS0_4arch9wavefront6targetE0EEEvT1_
	.p2align	8
	.type	_ZN7rocprim17ROCPRIM_400000_NS6detail17trampoline_kernelINS0_14default_configENS1_25partition_config_selectorILNS1_17partition_subalgoE9EllbEEZZNS1_14partition_implILS5_9ELb0ES3_jPlS8_PNS0_10empty_typeENS0_5tupleIJS8_S9_EEENSB_IJS8_SA_EEENS0_18inequality_wrapperIZN2at6native12_GLOBAL__N_124unique_dim_cuda_templateIiEESt5tupleIJNSF_6TensorESK_SK_EERKSK_lbbbEUlllE0_EEPmJS9_EEE10hipError_tPvRmT3_T4_T5_T6_T7_T9_mT8_P12ihipStream_tbDpT10_ENKUlT_T0_E_clISt17integral_constantIbLb1EES1A_EEDaS15_S16_EUlS15_E_NS1_11comp_targetILNS1_3genE4ELNS1_11target_archE910ELNS1_3gpuE8ELNS1_3repE0EEENS1_30default_config_static_selectorELNS0_4arch9wavefront6targetE0EEEvT1_,@function
_ZN7rocprim17ROCPRIM_400000_NS6detail17trampoline_kernelINS0_14default_configENS1_25partition_config_selectorILNS1_17partition_subalgoE9EllbEEZZNS1_14partition_implILS5_9ELb0ES3_jPlS8_PNS0_10empty_typeENS0_5tupleIJS8_S9_EEENSB_IJS8_SA_EEENS0_18inequality_wrapperIZN2at6native12_GLOBAL__N_124unique_dim_cuda_templateIiEESt5tupleIJNSF_6TensorESK_SK_EERKSK_lbbbEUlllE0_EEPmJS9_EEE10hipError_tPvRmT3_T4_T5_T6_T7_T9_mT8_P12ihipStream_tbDpT10_ENKUlT_T0_E_clISt17integral_constantIbLb1EES1A_EEDaS15_S16_EUlS15_E_NS1_11comp_targetILNS1_3genE4ELNS1_11target_archE910ELNS1_3gpuE8ELNS1_3repE0EEENS1_30default_config_static_selectorELNS0_4arch9wavefront6targetE0EEEvT1_: ; @_ZN7rocprim17ROCPRIM_400000_NS6detail17trampoline_kernelINS0_14default_configENS1_25partition_config_selectorILNS1_17partition_subalgoE9EllbEEZZNS1_14partition_implILS5_9ELb0ES3_jPlS8_PNS0_10empty_typeENS0_5tupleIJS8_S9_EEENSB_IJS8_SA_EEENS0_18inequality_wrapperIZN2at6native12_GLOBAL__N_124unique_dim_cuda_templateIiEESt5tupleIJNSF_6TensorESK_SK_EERKSK_lbbbEUlllE0_EEPmJS9_EEE10hipError_tPvRmT3_T4_T5_T6_T7_T9_mT8_P12ihipStream_tbDpT10_ENKUlT_T0_E_clISt17integral_constantIbLb1EES1A_EEDaS15_S16_EUlS15_E_NS1_11comp_targetILNS1_3genE4ELNS1_11target_archE910ELNS1_3gpuE8ELNS1_3repE0EEENS1_30default_config_static_selectorELNS0_4arch9wavefront6targetE0EEEvT1_
; %bb.0:
	.section	.rodata,"a",@progbits
	.p2align	6, 0x0
	.amdhsa_kernel _ZN7rocprim17ROCPRIM_400000_NS6detail17trampoline_kernelINS0_14default_configENS1_25partition_config_selectorILNS1_17partition_subalgoE9EllbEEZZNS1_14partition_implILS5_9ELb0ES3_jPlS8_PNS0_10empty_typeENS0_5tupleIJS8_S9_EEENSB_IJS8_SA_EEENS0_18inequality_wrapperIZN2at6native12_GLOBAL__N_124unique_dim_cuda_templateIiEESt5tupleIJNSF_6TensorESK_SK_EERKSK_lbbbEUlllE0_EEPmJS9_EEE10hipError_tPvRmT3_T4_T5_T6_T7_T9_mT8_P12ihipStream_tbDpT10_ENKUlT_T0_E_clISt17integral_constantIbLb1EES1A_EEDaS15_S16_EUlS15_E_NS1_11comp_targetILNS1_3genE4ELNS1_11target_archE910ELNS1_3gpuE8ELNS1_3repE0EEENS1_30default_config_static_selectorELNS0_4arch9wavefront6targetE0EEEvT1_
		.amdhsa_group_segment_fixed_size 0
		.amdhsa_private_segment_fixed_size 0
		.amdhsa_kernarg_size 136
		.amdhsa_user_sgpr_count 15
		.amdhsa_user_sgpr_dispatch_ptr 0
		.amdhsa_user_sgpr_queue_ptr 0
		.amdhsa_user_sgpr_kernarg_segment_ptr 1
		.amdhsa_user_sgpr_dispatch_id 0
		.amdhsa_user_sgpr_private_segment_size 0
		.amdhsa_wavefront_size32 1
		.amdhsa_uses_dynamic_stack 0
		.amdhsa_enable_private_segment 0
		.amdhsa_system_sgpr_workgroup_id_x 1
		.amdhsa_system_sgpr_workgroup_id_y 0
		.amdhsa_system_sgpr_workgroup_id_z 0
		.amdhsa_system_sgpr_workgroup_info 0
		.amdhsa_system_vgpr_workitem_id 0
		.amdhsa_next_free_vgpr 1
		.amdhsa_next_free_sgpr 1
		.amdhsa_reserve_vcc 0
		.amdhsa_float_round_mode_32 0
		.amdhsa_float_round_mode_16_64 0
		.amdhsa_float_denorm_mode_32 3
		.amdhsa_float_denorm_mode_16_64 3
		.amdhsa_dx10_clamp 1
		.amdhsa_ieee_mode 1
		.amdhsa_fp16_overflow 0
		.amdhsa_workgroup_processor_mode 1
		.amdhsa_memory_ordered 1
		.amdhsa_forward_progress 0
		.amdhsa_shared_vgpr_count 0
		.amdhsa_exception_fp_ieee_invalid_op 0
		.amdhsa_exception_fp_denorm_src 0
		.amdhsa_exception_fp_ieee_div_zero 0
		.amdhsa_exception_fp_ieee_overflow 0
		.amdhsa_exception_fp_ieee_underflow 0
		.amdhsa_exception_fp_ieee_inexact 0
		.amdhsa_exception_int_div_zero 0
	.end_amdhsa_kernel
	.section	.text._ZN7rocprim17ROCPRIM_400000_NS6detail17trampoline_kernelINS0_14default_configENS1_25partition_config_selectorILNS1_17partition_subalgoE9EllbEEZZNS1_14partition_implILS5_9ELb0ES3_jPlS8_PNS0_10empty_typeENS0_5tupleIJS8_S9_EEENSB_IJS8_SA_EEENS0_18inequality_wrapperIZN2at6native12_GLOBAL__N_124unique_dim_cuda_templateIiEESt5tupleIJNSF_6TensorESK_SK_EERKSK_lbbbEUlllE0_EEPmJS9_EEE10hipError_tPvRmT3_T4_T5_T6_T7_T9_mT8_P12ihipStream_tbDpT10_ENKUlT_T0_E_clISt17integral_constantIbLb1EES1A_EEDaS15_S16_EUlS15_E_NS1_11comp_targetILNS1_3genE4ELNS1_11target_archE910ELNS1_3gpuE8ELNS1_3repE0EEENS1_30default_config_static_selectorELNS0_4arch9wavefront6targetE0EEEvT1_,"axG",@progbits,_ZN7rocprim17ROCPRIM_400000_NS6detail17trampoline_kernelINS0_14default_configENS1_25partition_config_selectorILNS1_17partition_subalgoE9EllbEEZZNS1_14partition_implILS5_9ELb0ES3_jPlS8_PNS0_10empty_typeENS0_5tupleIJS8_S9_EEENSB_IJS8_SA_EEENS0_18inequality_wrapperIZN2at6native12_GLOBAL__N_124unique_dim_cuda_templateIiEESt5tupleIJNSF_6TensorESK_SK_EERKSK_lbbbEUlllE0_EEPmJS9_EEE10hipError_tPvRmT3_T4_T5_T6_T7_T9_mT8_P12ihipStream_tbDpT10_ENKUlT_T0_E_clISt17integral_constantIbLb1EES1A_EEDaS15_S16_EUlS15_E_NS1_11comp_targetILNS1_3genE4ELNS1_11target_archE910ELNS1_3gpuE8ELNS1_3repE0EEENS1_30default_config_static_selectorELNS0_4arch9wavefront6targetE0EEEvT1_,comdat
.Lfunc_end483:
	.size	_ZN7rocprim17ROCPRIM_400000_NS6detail17trampoline_kernelINS0_14default_configENS1_25partition_config_selectorILNS1_17partition_subalgoE9EllbEEZZNS1_14partition_implILS5_9ELb0ES3_jPlS8_PNS0_10empty_typeENS0_5tupleIJS8_S9_EEENSB_IJS8_SA_EEENS0_18inequality_wrapperIZN2at6native12_GLOBAL__N_124unique_dim_cuda_templateIiEESt5tupleIJNSF_6TensorESK_SK_EERKSK_lbbbEUlllE0_EEPmJS9_EEE10hipError_tPvRmT3_T4_T5_T6_T7_T9_mT8_P12ihipStream_tbDpT10_ENKUlT_T0_E_clISt17integral_constantIbLb1EES1A_EEDaS15_S16_EUlS15_E_NS1_11comp_targetILNS1_3genE4ELNS1_11target_archE910ELNS1_3gpuE8ELNS1_3repE0EEENS1_30default_config_static_selectorELNS0_4arch9wavefront6targetE0EEEvT1_, .Lfunc_end483-_ZN7rocprim17ROCPRIM_400000_NS6detail17trampoline_kernelINS0_14default_configENS1_25partition_config_selectorILNS1_17partition_subalgoE9EllbEEZZNS1_14partition_implILS5_9ELb0ES3_jPlS8_PNS0_10empty_typeENS0_5tupleIJS8_S9_EEENSB_IJS8_SA_EEENS0_18inequality_wrapperIZN2at6native12_GLOBAL__N_124unique_dim_cuda_templateIiEESt5tupleIJNSF_6TensorESK_SK_EERKSK_lbbbEUlllE0_EEPmJS9_EEE10hipError_tPvRmT3_T4_T5_T6_T7_T9_mT8_P12ihipStream_tbDpT10_ENKUlT_T0_E_clISt17integral_constantIbLb1EES1A_EEDaS15_S16_EUlS15_E_NS1_11comp_targetILNS1_3genE4ELNS1_11target_archE910ELNS1_3gpuE8ELNS1_3repE0EEENS1_30default_config_static_selectorELNS0_4arch9wavefront6targetE0EEEvT1_
                                        ; -- End function
	.section	.AMDGPU.csdata,"",@progbits
; Kernel info:
; codeLenInByte = 0
; NumSgprs: 0
; NumVgprs: 0
; ScratchSize: 0
; MemoryBound: 0
; FloatMode: 240
; IeeeMode: 1
; LDSByteSize: 0 bytes/workgroup (compile time only)
; SGPRBlocks: 0
; VGPRBlocks: 0
; NumSGPRsForWavesPerEU: 1
; NumVGPRsForWavesPerEU: 1
; Occupancy: 16
; WaveLimiterHint : 0
; COMPUTE_PGM_RSRC2:SCRATCH_EN: 0
; COMPUTE_PGM_RSRC2:USER_SGPR: 15
; COMPUTE_PGM_RSRC2:TRAP_HANDLER: 0
; COMPUTE_PGM_RSRC2:TGID_X_EN: 1
; COMPUTE_PGM_RSRC2:TGID_Y_EN: 0
; COMPUTE_PGM_RSRC2:TGID_Z_EN: 0
; COMPUTE_PGM_RSRC2:TIDIG_COMP_CNT: 0
	.section	.text._ZN7rocprim17ROCPRIM_400000_NS6detail17trampoline_kernelINS0_14default_configENS1_25partition_config_selectorILNS1_17partition_subalgoE9EllbEEZZNS1_14partition_implILS5_9ELb0ES3_jPlS8_PNS0_10empty_typeENS0_5tupleIJS8_S9_EEENSB_IJS8_SA_EEENS0_18inequality_wrapperIZN2at6native12_GLOBAL__N_124unique_dim_cuda_templateIiEESt5tupleIJNSF_6TensorESK_SK_EERKSK_lbbbEUlllE0_EEPmJS9_EEE10hipError_tPvRmT3_T4_T5_T6_T7_T9_mT8_P12ihipStream_tbDpT10_ENKUlT_T0_E_clISt17integral_constantIbLb1EES1A_EEDaS15_S16_EUlS15_E_NS1_11comp_targetILNS1_3genE3ELNS1_11target_archE908ELNS1_3gpuE7ELNS1_3repE0EEENS1_30default_config_static_selectorELNS0_4arch9wavefront6targetE0EEEvT1_,"axG",@progbits,_ZN7rocprim17ROCPRIM_400000_NS6detail17trampoline_kernelINS0_14default_configENS1_25partition_config_selectorILNS1_17partition_subalgoE9EllbEEZZNS1_14partition_implILS5_9ELb0ES3_jPlS8_PNS0_10empty_typeENS0_5tupleIJS8_S9_EEENSB_IJS8_SA_EEENS0_18inequality_wrapperIZN2at6native12_GLOBAL__N_124unique_dim_cuda_templateIiEESt5tupleIJNSF_6TensorESK_SK_EERKSK_lbbbEUlllE0_EEPmJS9_EEE10hipError_tPvRmT3_T4_T5_T6_T7_T9_mT8_P12ihipStream_tbDpT10_ENKUlT_T0_E_clISt17integral_constantIbLb1EES1A_EEDaS15_S16_EUlS15_E_NS1_11comp_targetILNS1_3genE3ELNS1_11target_archE908ELNS1_3gpuE7ELNS1_3repE0EEENS1_30default_config_static_selectorELNS0_4arch9wavefront6targetE0EEEvT1_,comdat
	.globl	_ZN7rocprim17ROCPRIM_400000_NS6detail17trampoline_kernelINS0_14default_configENS1_25partition_config_selectorILNS1_17partition_subalgoE9EllbEEZZNS1_14partition_implILS5_9ELb0ES3_jPlS8_PNS0_10empty_typeENS0_5tupleIJS8_S9_EEENSB_IJS8_SA_EEENS0_18inequality_wrapperIZN2at6native12_GLOBAL__N_124unique_dim_cuda_templateIiEESt5tupleIJNSF_6TensorESK_SK_EERKSK_lbbbEUlllE0_EEPmJS9_EEE10hipError_tPvRmT3_T4_T5_T6_T7_T9_mT8_P12ihipStream_tbDpT10_ENKUlT_T0_E_clISt17integral_constantIbLb1EES1A_EEDaS15_S16_EUlS15_E_NS1_11comp_targetILNS1_3genE3ELNS1_11target_archE908ELNS1_3gpuE7ELNS1_3repE0EEENS1_30default_config_static_selectorELNS0_4arch9wavefront6targetE0EEEvT1_ ; -- Begin function _ZN7rocprim17ROCPRIM_400000_NS6detail17trampoline_kernelINS0_14default_configENS1_25partition_config_selectorILNS1_17partition_subalgoE9EllbEEZZNS1_14partition_implILS5_9ELb0ES3_jPlS8_PNS0_10empty_typeENS0_5tupleIJS8_S9_EEENSB_IJS8_SA_EEENS0_18inequality_wrapperIZN2at6native12_GLOBAL__N_124unique_dim_cuda_templateIiEESt5tupleIJNSF_6TensorESK_SK_EERKSK_lbbbEUlllE0_EEPmJS9_EEE10hipError_tPvRmT3_T4_T5_T6_T7_T9_mT8_P12ihipStream_tbDpT10_ENKUlT_T0_E_clISt17integral_constantIbLb1EES1A_EEDaS15_S16_EUlS15_E_NS1_11comp_targetILNS1_3genE3ELNS1_11target_archE908ELNS1_3gpuE7ELNS1_3repE0EEENS1_30default_config_static_selectorELNS0_4arch9wavefront6targetE0EEEvT1_
	.p2align	8
	.type	_ZN7rocprim17ROCPRIM_400000_NS6detail17trampoline_kernelINS0_14default_configENS1_25partition_config_selectorILNS1_17partition_subalgoE9EllbEEZZNS1_14partition_implILS5_9ELb0ES3_jPlS8_PNS0_10empty_typeENS0_5tupleIJS8_S9_EEENSB_IJS8_SA_EEENS0_18inequality_wrapperIZN2at6native12_GLOBAL__N_124unique_dim_cuda_templateIiEESt5tupleIJNSF_6TensorESK_SK_EERKSK_lbbbEUlllE0_EEPmJS9_EEE10hipError_tPvRmT3_T4_T5_T6_T7_T9_mT8_P12ihipStream_tbDpT10_ENKUlT_T0_E_clISt17integral_constantIbLb1EES1A_EEDaS15_S16_EUlS15_E_NS1_11comp_targetILNS1_3genE3ELNS1_11target_archE908ELNS1_3gpuE7ELNS1_3repE0EEENS1_30default_config_static_selectorELNS0_4arch9wavefront6targetE0EEEvT1_,@function
_ZN7rocprim17ROCPRIM_400000_NS6detail17trampoline_kernelINS0_14default_configENS1_25partition_config_selectorILNS1_17partition_subalgoE9EllbEEZZNS1_14partition_implILS5_9ELb0ES3_jPlS8_PNS0_10empty_typeENS0_5tupleIJS8_S9_EEENSB_IJS8_SA_EEENS0_18inequality_wrapperIZN2at6native12_GLOBAL__N_124unique_dim_cuda_templateIiEESt5tupleIJNSF_6TensorESK_SK_EERKSK_lbbbEUlllE0_EEPmJS9_EEE10hipError_tPvRmT3_T4_T5_T6_T7_T9_mT8_P12ihipStream_tbDpT10_ENKUlT_T0_E_clISt17integral_constantIbLb1EES1A_EEDaS15_S16_EUlS15_E_NS1_11comp_targetILNS1_3genE3ELNS1_11target_archE908ELNS1_3gpuE7ELNS1_3repE0EEENS1_30default_config_static_selectorELNS0_4arch9wavefront6targetE0EEEvT1_: ; @_ZN7rocprim17ROCPRIM_400000_NS6detail17trampoline_kernelINS0_14default_configENS1_25partition_config_selectorILNS1_17partition_subalgoE9EllbEEZZNS1_14partition_implILS5_9ELb0ES3_jPlS8_PNS0_10empty_typeENS0_5tupleIJS8_S9_EEENSB_IJS8_SA_EEENS0_18inequality_wrapperIZN2at6native12_GLOBAL__N_124unique_dim_cuda_templateIiEESt5tupleIJNSF_6TensorESK_SK_EERKSK_lbbbEUlllE0_EEPmJS9_EEE10hipError_tPvRmT3_T4_T5_T6_T7_T9_mT8_P12ihipStream_tbDpT10_ENKUlT_T0_E_clISt17integral_constantIbLb1EES1A_EEDaS15_S16_EUlS15_E_NS1_11comp_targetILNS1_3genE3ELNS1_11target_archE908ELNS1_3gpuE7ELNS1_3repE0EEENS1_30default_config_static_selectorELNS0_4arch9wavefront6targetE0EEEvT1_
; %bb.0:
	.section	.rodata,"a",@progbits
	.p2align	6, 0x0
	.amdhsa_kernel _ZN7rocprim17ROCPRIM_400000_NS6detail17trampoline_kernelINS0_14default_configENS1_25partition_config_selectorILNS1_17partition_subalgoE9EllbEEZZNS1_14partition_implILS5_9ELb0ES3_jPlS8_PNS0_10empty_typeENS0_5tupleIJS8_S9_EEENSB_IJS8_SA_EEENS0_18inequality_wrapperIZN2at6native12_GLOBAL__N_124unique_dim_cuda_templateIiEESt5tupleIJNSF_6TensorESK_SK_EERKSK_lbbbEUlllE0_EEPmJS9_EEE10hipError_tPvRmT3_T4_T5_T6_T7_T9_mT8_P12ihipStream_tbDpT10_ENKUlT_T0_E_clISt17integral_constantIbLb1EES1A_EEDaS15_S16_EUlS15_E_NS1_11comp_targetILNS1_3genE3ELNS1_11target_archE908ELNS1_3gpuE7ELNS1_3repE0EEENS1_30default_config_static_selectorELNS0_4arch9wavefront6targetE0EEEvT1_
		.amdhsa_group_segment_fixed_size 0
		.amdhsa_private_segment_fixed_size 0
		.amdhsa_kernarg_size 136
		.amdhsa_user_sgpr_count 15
		.amdhsa_user_sgpr_dispatch_ptr 0
		.amdhsa_user_sgpr_queue_ptr 0
		.amdhsa_user_sgpr_kernarg_segment_ptr 1
		.amdhsa_user_sgpr_dispatch_id 0
		.amdhsa_user_sgpr_private_segment_size 0
		.amdhsa_wavefront_size32 1
		.amdhsa_uses_dynamic_stack 0
		.amdhsa_enable_private_segment 0
		.amdhsa_system_sgpr_workgroup_id_x 1
		.amdhsa_system_sgpr_workgroup_id_y 0
		.amdhsa_system_sgpr_workgroup_id_z 0
		.amdhsa_system_sgpr_workgroup_info 0
		.amdhsa_system_vgpr_workitem_id 0
		.amdhsa_next_free_vgpr 1
		.amdhsa_next_free_sgpr 1
		.amdhsa_reserve_vcc 0
		.amdhsa_float_round_mode_32 0
		.amdhsa_float_round_mode_16_64 0
		.amdhsa_float_denorm_mode_32 3
		.amdhsa_float_denorm_mode_16_64 3
		.amdhsa_dx10_clamp 1
		.amdhsa_ieee_mode 1
		.amdhsa_fp16_overflow 0
		.amdhsa_workgroup_processor_mode 1
		.amdhsa_memory_ordered 1
		.amdhsa_forward_progress 0
		.amdhsa_shared_vgpr_count 0
		.amdhsa_exception_fp_ieee_invalid_op 0
		.amdhsa_exception_fp_denorm_src 0
		.amdhsa_exception_fp_ieee_div_zero 0
		.amdhsa_exception_fp_ieee_overflow 0
		.amdhsa_exception_fp_ieee_underflow 0
		.amdhsa_exception_fp_ieee_inexact 0
		.amdhsa_exception_int_div_zero 0
	.end_amdhsa_kernel
	.section	.text._ZN7rocprim17ROCPRIM_400000_NS6detail17trampoline_kernelINS0_14default_configENS1_25partition_config_selectorILNS1_17partition_subalgoE9EllbEEZZNS1_14partition_implILS5_9ELb0ES3_jPlS8_PNS0_10empty_typeENS0_5tupleIJS8_S9_EEENSB_IJS8_SA_EEENS0_18inequality_wrapperIZN2at6native12_GLOBAL__N_124unique_dim_cuda_templateIiEESt5tupleIJNSF_6TensorESK_SK_EERKSK_lbbbEUlllE0_EEPmJS9_EEE10hipError_tPvRmT3_T4_T5_T6_T7_T9_mT8_P12ihipStream_tbDpT10_ENKUlT_T0_E_clISt17integral_constantIbLb1EES1A_EEDaS15_S16_EUlS15_E_NS1_11comp_targetILNS1_3genE3ELNS1_11target_archE908ELNS1_3gpuE7ELNS1_3repE0EEENS1_30default_config_static_selectorELNS0_4arch9wavefront6targetE0EEEvT1_,"axG",@progbits,_ZN7rocprim17ROCPRIM_400000_NS6detail17trampoline_kernelINS0_14default_configENS1_25partition_config_selectorILNS1_17partition_subalgoE9EllbEEZZNS1_14partition_implILS5_9ELb0ES3_jPlS8_PNS0_10empty_typeENS0_5tupleIJS8_S9_EEENSB_IJS8_SA_EEENS0_18inequality_wrapperIZN2at6native12_GLOBAL__N_124unique_dim_cuda_templateIiEESt5tupleIJNSF_6TensorESK_SK_EERKSK_lbbbEUlllE0_EEPmJS9_EEE10hipError_tPvRmT3_T4_T5_T6_T7_T9_mT8_P12ihipStream_tbDpT10_ENKUlT_T0_E_clISt17integral_constantIbLb1EES1A_EEDaS15_S16_EUlS15_E_NS1_11comp_targetILNS1_3genE3ELNS1_11target_archE908ELNS1_3gpuE7ELNS1_3repE0EEENS1_30default_config_static_selectorELNS0_4arch9wavefront6targetE0EEEvT1_,comdat
.Lfunc_end484:
	.size	_ZN7rocprim17ROCPRIM_400000_NS6detail17trampoline_kernelINS0_14default_configENS1_25partition_config_selectorILNS1_17partition_subalgoE9EllbEEZZNS1_14partition_implILS5_9ELb0ES3_jPlS8_PNS0_10empty_typeENS0_5tupleIJS8_S9_EEENSB_IJS8_SA_EEENS0_18inequality_wrapperIZN2at6native12_GLOBAL__N_124unique_dim_cuda_templateIiEESt5tupleIJNSF_6TensorESK_SK_EERKSK_lbbbEUlllE0_EEPmJS9_EEE10hipError_tPvRmT3_T4_T5_T6_T7_T9_mT8_P12ihipStream_tbDpT10_ENKUlT_T0_E_clISt17integral_constantIbLb1EES1A_EEDaS15_S16_EUlS15_E_NS1_11comp_targetILNS1_3genE3ELNS1_11target_archE908ELNS1_3gpuE7ELNS1_3repE0EEENS1_30default_config_static_selectorELNS0_4arch9wavefront6targetE0EEEvT1_, .Lfunc_end484-_ZN7rocprim17ROCPRIM_400000_NS6detail17trampoline_kernelINS0_14default_configENS1_25partition_config_selectorILNS1_17partition_subalgoE9EllbEEZZNS1_14partition_implILS5_9ELb0ES3_jPlS8_PNS0_10empty_typeENS0_5tupleIJS8_S9_EEENSB_IJS8_SA_EEENS0_18inequality_wrapperIZN2at6native12_GLOBAL__N_124unique_dim_cuda_templateIiEESt5tupleIJNSF_6TensorESK_SK_EERKSK_lbbbEUlllE0_EEPmJS9_EEE10hipError_tPvRmT3_T4_T5_T6_T7_T9_mT8_P12ihipStream_tbDpT10_ENKUlT_T0_E_clISt17integral_constantIbLb1EES1A_EEDaS15_S16_EUlS15_E_NS1_11comp_targetILNS1_3genE3ELNS1_11target_archE908ELNS1_3gpuE7ELNS1_3repE0EEENS1_30default_config_static_selectorELNS0_4arch9wavefront6targetE0EEEvT1_
                                        ; -- End function
	.section	.AMDGPU.csdata,"",@progbits
; Kernel info:
; codeLenInByte = 0
; NumSgprs: 0
; NumVgprs: 0
; ScratchSize: 0
; MemoryBound: 0
; FloatMode: 240
; IeeeMode: 1
; LDSByteSize: 0 bytes/workgroup (compile time only)
; SGPRBlocks: 0
; VGPRBlocks: 0
; NumSGPRsForWavesPerEU: 1
; NumVGPRsForWavesPerEU: 1
; Occupancy: 16
; WaveLimiterHint : 0
; COMPUTE_PGM_RSRC2:SCRATCH_EN: 0
; COMPUTE_PGM_RSRC2:USER_SGPR: 15
; COMPUTE_PGM_RSRC2:TRAP_HANDLER: 0
; COMPUTE_PGM_RSRC2:TGID_X_EN: 1
; COMPUTE_PGM_RSRC2:TGID_Y_EN: 0
; COMPUTE_PGM_RSRC2:TGID_Z_EN: 0
; COMPUTE_PGM_RSRC2:TIDIG_COMP_CNT: 0
	.section	.text._ZN7rocprim17ROCPRIM_400000_NS6detail17trampoline_kernelINS0_14default_configENS1_25partition_config_selectorILNS1_17partition_subalgoE9EllbEEZZNS1_14partition_implILS5_9ELb0ES3_jPlS8_PNS0_10empty_typeENS0_5tupleIJS8_S9_EEENSB_IJS8_SA_EEENS0_18inequality_wrapperIZN2at6native12_GLOBAL__N_124unique_dim_cuda_templateIiEESt5tupleIJNSF_6TensorESK_SK_EERKSK_lbbbEUlllE0_EEPmJS9_EEE10hipError_tPvRmT3_T4_T5_T6_T7_T9_mT8_P12ihipStream_tbDpT10_ENKUlT_T0_E_clISt17integral_constantIbLb1EES1A_EEDaS15_S16_EUlS15_E_NS1_11comp_targetILNS1_3genE2ELNS1_11target_archE906ELNS1_3gpuE6ELNS1_3repE0EEENS1_30default_config_static_selectorELNS0_4arch9wavefront6targetE0EEEvT1_,"axG",@progbits,_ZN7rocprim17ROCPRIM_400000_NS6detail17trampoline_kernelINS0_14default_configENS1_25partition_config_selectorILNS1_17partition_subalgoE9EllbEEZZNS1_14partition_implILS5_9ELb0ES3_jPlS8_PNS0_10empty_typeENS0_5tupleIJS8_S9_EEENSB_IJS8_SA_EEENS0_18inequality_wrapperIZN2at6native12_GLOBAL__N_124unique_dim_cuda_templateIiEESt5tupleIJNSF_6TensorESK_SK_EERKSK_lbbbEUlllE0_EEPmJS9_EEE10hipError_tPvRmT3_T4_T5_T6_T7_T9_mT8_P12ihipStream_tbDpT10_ENKUlT_T0_E_clISt17integral_constantIbLb1EES1A_EEDaS15_S16_EUlS15_E_NS1_11comp_targetILNS1_3genE2ELNS1_11target_archE906ELNS1_3gpuE6ELNS1_3repE0EEENS1_30default_config_static_selectorELNS0_4arch9wavefront6targetE0EEEvT1_,comdat
	.globl	_ZN7rocprim17ROCPRIM_400000_NS6detail17trampoline_kernelINS0_14default_configENS1_25partition_config_selectorILNS1_17partition_subalgoE9EllbEEZZNS1_14partition_implILS5_9ELb0ES3_jPlS8_PNS0_10empty_typeENS0_5tupleIJS8_S9_EEENSB_IJS8_SA_EEENS0_18inequality_wrapperIZN2at6native12_GLOBAL__N_124unique_dim_cuda_templateIiEESt5tupleIJNSF_6TensorESK_SK_EERKSK_lbbbEUlllE0_EEPmJS9_EEE10hipError_tPvRmT3_T4_T5_T6_T7_T9_mT8_P12ihipStream_tbDpT10_ENKUlT_T0_E_clISt17integral_constantIbLb1EES1A_EEDaS15_S16_EUlS15_E_NS1_11comp_targetILNS1_3genE2ELNS1_11target_archE906ELNS1_3gpuE6ELNS1_3repE0EEENS1_30default_config_static_selectorELNS0_4arch9wavefront6targetE0EEEvT1_ ; -- Begin function _ZN7rocprim17ROCPRIM_400000_NS6detail17trampoline_kernelINS0_14default_configENS1_25partition_config_selectorILNS1_17partition_subalgoE9EllbEEZZNS1_14partition_implILS5_9ELb0ES3_jPlS8_PNS0_10empty_typeENS0_5tupleIJS8_S9_EEENSB_IJS8_SA_EEENS0_18inequality_wrapperIZN2at6native12_GLOBAL__N_124unique_dim_cuda_templateIiEESt5tupleIJNSF_6TensorESK_SK_EERKSK_lbbbEUlllE0_EEPmJS9_EEE10hipError_tPvRmT3_T4_T5_T6_T7_T9_mT8_P12ihipStream_tbDpT10_ENKUlT_T0_E_clISt17integral_constantIbLb1EES1A_EEDaS15_S16_EUlS15_E_NS1_11comp_targetILNS1_3genE2ELNS1_11target_archE906ELNS1_3gpuE6ELNS1_3repE0EEENS1_30default_config_static_selectorELNS0_4arch9wavefront6targetE0EEEvT1_
	.p2align	8
	.type	_ZN7rocprim17ROCPRIM_400000_NS6detail17trampoline_kernelINS0_14default_configENS1_25partition_config_selectorILNS1_17partition_subalgoE9EllbEEZZNS1_14partition_implILS5_9ELb0ES3_jPlS8_PNS0_10empty_typeENS0_5tupleIJS8_S9_EEENSB_IJS8_SA_EEENS0_18inequality_wrapperIZN2at6native12_GLOBAL__N_124unique_dim_cuda_templateIiEESt5tupleIJNSF_6TensorESK_SK_EERKSK_lbbbEUlllE0_EEPmJS9_EEE10hipError_tPvRmT3_T4_T5_T6_T7_T9_mT8_P12ihipStream_tbDpT10_ENKUlT_T0_E_clISt17integral_constantIbLb1EES1A_EEDaS15_S16_EUlS15_E_NS1_11comp_targetILNS1_3genE2ELNS1_11target_archE906ELNS1_3gpuE6ELNS1_3repE0EEENS1_30default_config_static_selectorELNS0_4arch9wavefront6targetE0EEEvT1_,@function
_ZN7rocprim17ROCPRIM_400000_NS6detail17trampoline_kernelINS0_14default_configENS1_25partition_config_selectorILNS1_17partition_subalgoE9EllbEEZZNS1_14partition_implILS5_9ELb0ES3_jPlS8_PNS0_10empty_typeENS0_5tupleIJS8_S9_EEENSB_IJS8_SA_EEENS0_18inequality_wrapperIZN2at6native12_GLOBAL__N_124unique_dim_cuda_templateIiEESt5tupleIJNSF_6TensorESK_SK_EERKSK_lbbbEUlllE0_EEPmJS9_EEE10hipError_tPvRmT3_T4_T5_T6_T7_T9_mT8_P12ihipStream_tbDpT10_ENKUlT_T0_E_clISt17integral_constantIbLb1EES1A_EEDaS15_S16_EUlS15_E_NS1_11comp_targetILNS1_3genE2ELNS1_11target_archE906ELNS1_3gpuE6ELNS1_3repE0EEENS1_30default_config_static_selectorELNS0_4arch9wavefront6targetE0EEEvT1_: ; @_ZN7rocprim17ROCPRIM_400000_NS6detail17trampoline_kernelINS0_14default_configENS1_25partition_config_selectorILNS1_17partition_subalgoE9EllbEEZZNS1_14partition_implILS5_9ELb0ES3_jPlS8_PNS0_10empty_typeENS0_5tupleIJS8_S9_EEENSB_IJS8_SA_EEENS0_18inequality_wrapperIZN2at6native12_GLOBAL__N_124unique_dim_cuda_templateIiEESt5tupleIJNSF_6TensorESK_SK_EERKSK_lbbbEUlllE0_EEPmJS9_EEE10hipError_tPvRmT3_T4_T5_T6_T7_T9_mT8_P12ihipStream_tbDpT10_ENKUlT_T0_E_clISt17integral_constantIbLb1EES1A_EEDaS15_S16_EUlS15_E_NS1_11comp_targetILNS1_3genE2ELNS1_11target_archE906ELNS1_3gpuE6ELNS1_3repE0EEENS1_30default_config_static_selectorELNS0_4arch9wavefront6targetE0EEEvT1_
; %bb.0:
	.section	.rodata,"a",@progbits
	.p2align	6, 0x0
	.amdhsa_kernel _ZN7rocprim17ROCPRIM_400000_NS6detail17trampoline_kernelINS0_14default_configENS1_25partition_config_selectorILNS1_17partition_subalgoE9EllbEEZZNS1_14partition_implILS5_9ELb0ES3_jPlS8_PNS0_10empty_typeENS0_5tupleIJS8_S9_EEENSB_IJS8_SA_EEENS0_18inequality_wrapperIZN2at6native12_GLOBAL__N_124unique_dim_cuda_templateIiEESt5tupleIJNSF_6TensorESK_SK_EERKSK_lbbbEUlllE0_EEPmJS9_EEE10hipError_tPvRmT3_T4_T5_T6_T7_T9_mT8_P12ihipStream_tbDpT10_ENKUlT_T0_E_clISt17integral_constantIbLb1EES1A_EEDaS15_S16_EUlS15_E_NS1_11comp_targetILNS1_3genE2ELNS1_11target_archE906ELNS1_3gpuE6ELNS1_3repE0EEENS1_30default_config_static_selectorELNS0_4arch9wavefront6targetE0EEEvT1_
		.amdhsa_group_segment_fixed_size 0
		.amdhsa_private_segment_fixed_size 0
		.amdhsa_kernarg_size 136
		.amdhsa_user_sgpr_count 15
		.amdhsa_user_sgpr_dispatch_ptr 0
		.amdhsa_user_sgpr_queue_ptr 0
		.amdhsa_user_sgpr_kernarg_segment_ptr 1
		.amdhsa_user_sgpr_dispatch_id 0
		.amdhsa_user_sgpr_private_segment_size 0
		.amdhsa_wavefront_size32 1
		.amdhsa_uses_dynamic_stack 0
		.amdhsa_enable_private_segment 0
		.amdhsa_system_sgpr_workgroup_id_x 1
		.amdhsa_system_sgpr_workgroup_id_y 0
		.amdhsa_system_sgpr_workgroup_id_z 0
		.amdhsa_system_sgpr_workgroup_info 0
		.amdhsa_system_vgpr_workitem_id 0
		.amdhsa_next_free_vgpr 1
		.amdhsa_next_free_sgpr 1
		.amdhsa_reserve_vcc 0
		.amdhsa_float_round_mode_32 0
		.amdhsa_float_round_mode_16_64 0
		.amdhsa_float_denorm_mode_32 3
		.amdhsa_float_denorm_mode_16_64 3
		.amdhsa_dx10_clamp 1
		.amdhsa_ieee_mode 1
		.amdhsa_fp16_overflow 0
		.amdhsa_workgroup_processor_mode 1
		.amdhsa_memory_ordered 1
		.amdhsa_forward_progress 0
		.amdhsa_shared_vgpr_count 0
		.amdhsa_exception_fp_ieee_invalid_op 0
		.amdhsa_exception_fp_denorm_src 0
		.amdhsa_exception_fp_ieee_div_zero 0
		.amdhsa_exception_fp_ieee_overflow 0
		.amdhsa_exception_fp_ieee_underflow 0
		.amdhsa_exception_fp_ieee_inexact 0
		.amdhsa_exception_int_div_zero 0
	.end_amdhsa_kernel
	.section	.text._ZN7rocprim17ROCPRIM_400000_NS6detail17trampoline_kernelINS0_14default_configENS1_25partition_config_selectorILNS1_17partition_subalgoE9EllbEEZZNS1_14partition_implILS5_9ELb0ES3_jPlS8_PNS0_10empty_typeENS0_5tupleIJS8_S9_EEENSB_IJS8_SA_EEENS0_18inequality_wrapperIZN2at6native12_GLOBAL__N_124unique_dim_cuda_templateIiEESt5tupleIJNSF_6TensorESK_SK_EERKSK_lbbbEUlllE0_EEPmJS9_EEE10hipError_tPvRmT3_T4_T5_T6_T7_T9_mT8_P12ihipStream_tbDpT10_ENKUlT_T0_E_clISt17integral_constantIbLb1EES1A_EEDaS15_S16_EUlS15_E_NS1_11comp_targetILNS1_3genE2ELNS1_11target_archE906ELNS1_3gpuE6ELNS1_3repE0EEENS1_30default_config_static_selectorELNS0_4arch9wavefront6targetE0EEEvT1_,"axG",@progbits,_ZN7rocprim17ROCPRIM_400000_NS6detail17trampoline_kernelINS0_14default_configENS1_25partition_config_selectorILNS1_17partition_subalgoE9EllbEEZZNS1_14partition_implILS5_9ELb0ES3_jPlS8_PNS0_10empty_typeENS0_5tupleIJS8_S9_EEENSB_IJS8_SA_EEENS0_18inequality_wrapperIZN2at6native12_GLOBAL__N_124unique_dim_cuda_templateIiEESt5tupleIJNSF_6TensorESK_SK_EERKSK_lbbbEUlllE0_EEPmJS9_EEE10hipError_tPvRmT3_T4_T5_T6_T7_T9_mT8_P12ihipStream_tbDpT10_ENKUlT_T0_E_clISt17integral_constantIbLb1EES1A_EEDaS15_S16_EUlS15_E_NS1_11comp_targetILNS1_3genE2ELNS1_11target_archE906ELNS1_3gpuE6ELNS1_3repE0EEENS1_30default_config_static_selectorELNS0_4arch9wavefront6targetE0EEEvT1_,comdat
.Lfunc_end485:
	.size	_ZN7rocprim17ROCPRIM_400000_NS6detail17trampoline_kernelINS0_14default_configENS1_25partition_config_selectorILNS1_17partition_subalgoE9EllbEEZZNS1_14partition_implILS5_9ELb0ES3_jPlS8_PNS0_10empty_typeENS0_5tupleIJS8_S9_EEENSB_IJS8_SA_EEENS0_18inequality_wrapperIZN2at6native12_GLOBAL__N_124unique_dim_cuda_templateIiEESt5tupleIJNSF_6TensorESK_SK_EERKSK_lbbbEUlllE0_EEPmJS9_EEE10hipError_tPvRmT3_T4_T5_T6_T7_T9_mT8_P12ihipStream_tbDpT10_ENKUlT_T0_E_clISt17integral_constantIbLb1EES1A_EEDaS15_S16_EUlS15_E_NS1_11comp_targetILNS1_3genE2ELNS1_11target_archE906ELNS1_3gpuE6ELNS1_3repE0EEENS1_30default_config_static_selectorELNS0_4arch9wavefront6targetE0EEEvT1_, .Lfunc_end485-_ZN7rocprim17ROCPRIM_400000_NS6detail17trampoline_kernelINS0_14default_configENS1_25partition_config_selectorILNS1_17partition_subalgoE9EllbEEZZNS1_14partition_implILS5_9ELb0ES3_jPlS8_PNS0_10empty_typeENS0_5tupleIJS8_S9_EEENSB_IJS8_SA_EEENS0_18inequality_wrapperIZN2at6native12_GLOBAL__N_124unique_dim_cuda_templateIiEESt5tupleIJNSF_6TensorESK_SK_EERKSK_lbbbEUlllE0_EEPmJS9_EEE10hipError_tPvRmT3_T4_T5_T6_T7_T9_mT8_P12ihipStream_tbDpT10_ENKUlT_T0_E_clISt17integral_constantIbLb1EES1A_EEDaS15_S16_EUlS15_E_NS1_11comp_targetILNS1_3genE2ELNS1_11target_archE906ELNS1_3gpuE6ELNS1_3repE0EEENS1_30default_config_static_selectorELNS0_4arch9wavefront6targetE0EEEvT1_
                                        ; -- End function
	.section	.AMDGPU.csdata,"",@progbits
; Kernel info:
; codeLenInByte = 0
; NumSgprs: 0
; NumVgprs: 0
; ScratchSize: 0
; MemoryBound: 0
; FloatMode: 240
; IeeeMode: 1
; LDSByteSize: 0 bytes/workgroup (compile time only)
; SGPRBlocks: 0
; VGPRBlocks: 0
; NumSGPRsForWavesPerEU: 1
; NumVGPRsForWavesPerEU: 1
; Occupancy: 15
; WaveLimiterHint : 0
; COMPUTE_PGM_RSRC2:SCRATCH_EN: 0
; COMPUTE_PGM_RSRC2:USER_SGPR: 15
; COMPUTE_PGM_RSRC2:TRAP_HANDLER: 0
; COMPUTE_PGM_RSRC2:TGID_X_EN: 1
; COMPUTE_PGM_RSRC2:TGID_Y_EN: 0
; COMPUTE_PGM_RSRC2:TGID_Z_EN: 0
; COMPUTE_PGM_RSRC2:TIDIG_COMP_CNT: 0
	.section	.text._ZN7rocprim17ROCPRIM_400000_NS6detail17trampoline_kernelINS0_14default_configENS1_25partition_config_selectorILNS1_17partition_subalgoE9EllbEEZZNS1_14partition_implILS5_9ELb0ES3_jPlS8_PNS0_10empty_typeENS0_5tupleIJS8_S9_EEENSB_IJS8_SA_EEENS0_18inequality_wrapperIZN2at6native12_GLOBAL__N_124unique_dim_cuda_templateIiEESt5tupleIJNSF_6TensorESK_SK_EERKSK_lbbbEUlllE0_EEPmJS9_EEE10hipError_tPvRmT3_T4_T5_T6_T7_T9_mT8_P12ihipStream_tbDpT10_ENKUlT_T0_E_clISt17integral_constantIbLb1EES1A_EEDaS15_S16_EUlS15_E_NS1_11comp_targetILNS1_3genE10ELNS1_11target_archE1200ELNS1_3gpuE4ELNS1_3repE0EEENS1_30default_config_static_selectorELNS0_4arch9wavefront6targetE0EEEvT1_,"axG",@progbits,_ZN7rocprim17ROCPRIM_400000_NS6detail17trampoline_kernelINS0_14default_configENS1_25partition_config_selectorILNS1_17partition_subalgoE9EllbEEZZNS1_14partition_implILS5_9ELb0ES3_jPlS8_PNS0_10empty_typeENS0_5tupleIJS8_S9_EEENSB_IJS8_SA_EEENS0_18inequality_wrapperIZN2at6native12_GLOBAL__N_124unique_dim_cuda_templateIiEESt5tupleIJNSF_6TensorESK_SK_EERKSK_lbbbEUlllE0_EEPmJS9_EEE10hipError_tPvRmT3_T4_T5_T6_T7_T9_mT8_P12ihipStream_tbDpT10_ENKUlT_T0_E_clISt17integral_constantIbLb1EES1A_EEDaS15_S16_EUlS15_E_NS1_11comp_targetILNS1_3genE10ELNS1_11target_archE1200ELNS1_3gpuE4ELNS1_3repE0EEENS1_30default_config_static_selectorELNS0_4arch9wavefront6targetE0EEEvT1_,comdat
	.globl	_ZN7rocprim17ROCPRIM_400000_NS6detail17trampoline_kernelINS0_14default_configENS1_25partition_config_selectorILNS1_17partition_subalgoE9EllbEEZZNS1_14partition_implILS5_9ELb0ES3_jPlS8_PNS0_10empty_typeENS0_5tupleIJS8_S9_EEENSB_IJS8_SA_EEENS0_18inequality_wrapperIZN2at6native12_GLOBAL__N_124unique_dim_cuda_templateIiEESt5tupleIJNSF_6TensorESK_SK_EERKSK_lbbbEUlllE0_EEPmJS9_EEE10hipError_tPvRmT3_T4_T5_T6_T7_T9_mT8_P12ihipStream_tbDpT10_ENKUlT_T0_E_clISt17integral_constantIbLb1EES1A_EEDaS15_S16_EUlS15_E_NS1_11comp_targetILNS1_3genE10ELNS1_11target_archE1200ELNS1_3gpuE4ELNS1_3repE0EEENS1_30default_config_static_selectorELNS0_4arch9wavefront6targetE0EEEvT1_ ; -- Begin function _ZN7rocprim17ROCPRIM_400000_NS6detail17trampoline_kernelINS0_14default_configENS1_25partition_config_selectorILNS1_17partition_subalgoE9EllbEEZZNS1_14partition_implILS5_9ELb0ES3_jPlS8_PNS0_10empty_typeENS0_5tupleIJS8_S9_EEENSB_IJS8_SA_EEENS0_18inequality_wrapperIZN2at6native12_GLOBAL__N_124unique_dim_cuda_templateIiEESt5tupleIJNSF_6TensorESK_SK_EERKSK_lbbbEUlllE0_EEPmJS9_EEE10hipError_tPvRmT3_T4_T5_T6_T7_T9_mT8_P12ihipStream_tbDpT10_ENKUlT_T0_E_clISt17integral_constantIbLb1EES1A_EEDaS15_S16_EUlS15_E_NS1_11comp_targetILNS1_3genE10ELNS1_11target_archE1200ELNS1_3gpuE4ELNS1_3repE0EEENS1_30default_config_static_selectorELNS0_4arch9wavefront6targetE0EEEvT1_
	.p2align	8
	.type	_ZN7rocprim17ROCPRIM_400000_NS6detail17trampoline_kernelINS0_14default_configENS1_25partition_config_selectorILNS1_17partition_subalgoE9EllbEEZZNS1_14partition_implILS5_9ELb0ES3_jPlS8_PNS0_10empty_typeENS0_5tupleIJS8_S9_EEENSB_IJS8_SA_EEENS0_18inequality_wrapperIZN2at6native12_GLOBAL__N_124unique_dim_cuda_templateIiEESt5tupleIJNSF_6TensorESK_SK_EERKSK_lbbbEUlllE0_EEPmJS9_EEE10hipError_tPvRmT3_T4_T5_T6_T7_T9_mT8_P12ihipStream_tbDpT10_ENKUlT_T0_E_clISt17integral_constantIbLb1EES1A_EEDaS15_S16_EUlS15_E_NS1_11comp_targetILNS1_3genE10ELNS1_11target_archE1200ELNS1_3gpuE4ELNS1_3repE0EEENS1_30default_config_static_selectorELNS0_4arch9wavefront6targetE0EEEvT1_,@function
_ZN7rocprim17ROCPRIM_400000_NS6detail17trampoline_kernelINS0_14default_configENS1_25partition_config_selectorILNS1_17partition_subalgoE9EllbEEZZNS1_14partition_implILS5_9ELb0ES3_jPlS8_PNS0_10empty_typeENS0_5tupleIJS8_S9_EEENSB_IJS8_SA_EEENS0_18inequality_wrapperIZN2at6native12_GLOBAL__N_124unique_dim_cuda_templateIiEESt5tupleIJNSF_6TensorESK_SK_EERKSK_lbbbEUlllE0_EEPmJS9_EEE10hipError_tPvRmT3_T4_T5_T6_T7_T9_mT8_P12ihipStream_tbDpT10_ENKUlT_T0_E_clISt17integral_constantIbLb1EES1A_EEDaS15_S16_EUlS15_E_NS1_11comp_targetILNS1_3genE10ELNS1_11target_archE1200ELNS1_3gpuE4ELNS1_3repE0EEENS1_30default_config_static_selectorELNS0_4arch9wavefront6targetE0EEEvT1_: ; @_ZN7rocprim17ROCPRIM_400000_NS6detail17trampoline_kernelINS0_14default_configENS1_25partition_config_selectorILNS1_17partition_subalgoE9EllbEEZZNS1_14partition_implILS5_9ELb0ES3_jPlS8_PNS0_10empty_typeENS0_5tupleIJS8_S9_EEENSB_IJS8_SA_EEENS0_18inequality_wrapperIZN2at6native12_GLOBAL__N_124unique_dim_cuda_templateIiEESt5tupleIJNSF_6TensorESK_SK_EERKSK_lbbbEUlllE0_EEPmJS9_EEE10hipError_tPvRmT3_T4_T5_T6_T7_T9_mT8_P12ihipStream_tbDpT10_ENKUlT_T0_E_clISt17integral_constantIbLb1EES1A_EEDaS15_S16_EUlS15_E_NS1_11comp_targetILNS1_3genE10ELNS1_11target_archE1200ELNS1_3gpuE4ELNS1_3repE0EEENS1_30default_config_static_selectorELNS0_4arch9wavefront6targetE0EEEvT1_
; %bb.0:
	.section	.rodata,"a",@progbits
	.p2align	6, 0x0
	.amdhsa_kernel _ZN7rocprim17ROCPRIM_400000_NS6detail17trampoline_kernelINS0_14default_configENS1_25partition_config_selectorILNS1_17partition_subalgoE9EllbEEZZNS1_14partition_implILS5_9ELb0ES3_jPlS8_PNS0_10empty_typeENS0_5tupleIJS8_S9_EEENSB_IJS8_SA_EEENS0_18inequality_wrapperIZN2at6native12_GLOBAL__N_124unique_dim_cuda_templateIiEESt5tupleIJNSF_6TensorESK_SK_EERKSK_lbbbEUlllE0_EEPmJS9_EEE10hipError_tPvRmT3_T4_T5_T6_T7_T9_mT8_P12ihipStream_tbDpT10_ENKUlT_T0_E_clISt17integral_constantIbLb1EES1A_EEDaS15_S16_EUlS15_E_NS1_11comp_targetILNS1_3genE10ELNS1_11target_archE1200ELNS1_3gpuE4ELNS1_3repE0EEENS1_30default_config_static_selectorELNS0_4arch9wavefront6targetE0EEEvT1_
		.amdhsa_group_segment_fixed_size 0
		.amdhsa_private_segment_fixed_size 0
		.amdhsa_kernarg_size 136
		.amdhsa_user_sgpr_count 15
		.amdhsa_user_sgpr_dispatch_ptr 0
		.amdhsa_user_sgpr_queue_ptr 0
		.amdhsa_user_sgpr_kernarg_segment_ptr 1
		.amdhsa_user_sgpr_dispatch_id 0
		.amdhsa_user_sgpr_private_segment_size 0
		.amdhsa_wavefront_size32 1
		.amdhsa_uses_dynamic_stack 0
		.amdhsa_enable_private_segment 0
		.amdhsa_system_sgpr_workgroup_id_x 1
		.amdhsa_system_sgpr_workgroup_id_y 0
		.amdhsa_system_sgpr_workgroup_id_z 0
		.amdhsa_system_sgpr_workgroup_info 0
		.amdhsa_system_vgpr_workitem_id 0
		.amdhsa_next_free_vgpr 1
		.amdhsa_next_free_sgpr 1
		.amdhsa_reserve_vcc 0
		.amdhsa_float_round_mode_32 0
		.amdhsa_float_round_mode_16_64 0
		.amdhsa_float_denorm_mode_32 3
		.amdhsa_float_denorm_mode_16_64 3
		.amdhsa_dx10_clamp 1
		.amdhsa_ieee_mode 1
		.amdhsa_fp16_overflow 0
		.amdhsa_workgroup_processor_mode 1
		.amdhsa_memory_ordered 1
		.amdhsa_forward_progress 0
		.amdhsa_shared_vgpr_count 0
		.amdhsa_exception_fp_ieee_invalid_op 0
		.amdhsa_exception_fp_denorm_src 0
		.amdhsa_exception_fp_ieee_div_zero 0
		.amdhsa_exception_fp_ieee_overflow 0
		.amdhsa_exception_fp_ieee_underflow 0
		.amdhsa_exception_fp_ieee_inexact 0
		.amdhsa_exception_int_div_zero 0
	.end_amdhsa_kernel
	.section	.text._ZN7rocprim17ROCPRIM_400000_NS6detail17trampoline_kernelINS0_14default_configENS1_25partition_config_selectorILNS1_17partition_subalgoE9EllbEEZZNS1_14partition_implILS5_9ELb0ES3_jPlS8_PNS0_10empty_typeENS0_5tupleIJS8_S9_EEENSB_IJS8_SA_EEENS0_18inequality_wrapperIZN2at6native12_GLOBAL__N_124unique_dim_cuda_templateIiEESt5tupleIJNSF_6TensorESK_SK_EERKSK_lbbbEUlllE0_EEPmJS9_EEE10hipError_tPvRmT3_T4_T5_T6_T7_T9_mT8_P12ihipStream_tbDpT10_ENKUlT_T0_E_clISt17integral_constantIbLb1EES1A_EEDaS15_S16_EUlS15_E_NS1_11comp_targetILNS1_3genE10ELNS1_11target_archE1200ELNS1_3gpuE4ELNS1_3repE0EEENS1_30default_config_static_selectorELNS0_4arch9wavefront6targetE0EEEvT1_,"axG",@progbits,_ZN7rocprim17ROCPRIM_400000_NS6detail17trampoline_kernelINS0_14default_configENS1_25partition_config_selectorILNS1_17partition_subalgoE9EllbEEZZNS1_14partition_implILS5_9ELb0ES3_jPlS8_PNS0_10empty_typeENS0_5tupleIJS8_S9_EEENSB_IJS8_SA_EEENS0_18inequality_wrapperIZN2at6native12_GLOBAL__N_124unique_dim_cuda_templateIiEESt5tupleIJNSF_6TensorESK_SK_EERKSK_lbbbEUlllE0_EEPmJS9_EEE10hipError_tPvRmT3_T4_T5_T6_T7_T9_mT8_P12ihipStream_tbDpT10_ENKUlT_T0_E_clISt17integral_constantIbLb1EES1A_EEDaS15_S16_EUlS15_E_NS1_11comp_targetILNS1_3genE10ELNS1_11target_archE1200ELNS1_3gpuE4ELNS1_3repE0EEENS1_30default_config_static_selectorELNS0_4arch9wavefront6targetE0EEEvT1_,comdat
.Lfunc_end486:
	.size	_ZN7rocprim17ROCPRIM_400000_NS6detail17trampoline_kernelINS0_14default_configENS1_25partition_config_selectorILNS1_17partition_subalgoE9EllbEEZZNS1_14partition_implILS5_9ELb0ES3_jPlS8_PNS0_10empty_typeENS0_5tupleIJS8_S9_EEENSB_IJS8_SA_EEENS0_18inequality_wrapperIZN2at6native12_GLOBAL__N_124unique_dim_cuda_templateIiEESt5tupleIJNSF_6TensorESK_SK_EERKSK_lbbbEUlllE0_EEPmJS9_EEE10hipError_tPvRmT3_T4_T5_T6_T7_T9_mT8_P12ihipStream_tbDpT10_ENKUlT_T0_E_clISt17integral_constantIbLb1EES1A_EEDaS15_S16_EUlS15_E_NS1_11comp_targetILNS1_3genE10ELNS1_11target_archE1200ELNS1_3gpuE4ELNS1_3repE0EEENS1_30default_config_static_selectorELNS0_4arch9wavefront6targetE0EEEvT1_, .Lfunc_end486-_ZN7rocprim17ROCPRIM_400000_NS6detail17trampoline_kernelINS0_14default_configENS1_25partition_config_selectorILNS1_17partition_subalgoE9EllbEEZZNS1_14partition_implILS5_9ELb0ES3_jPlS8_PNS0_10empty_typeENS0_5tupleIJS8_S9_EEENSB_IJS8_SA_EEENS0_18inequality_wrapperIZN2at6native12_GLOBAL__N_124unique_dim_cuda_templateIiEESt5tupleIJNSF_6TensorESK_SK_EERKSK_lbbbEUlllE0_EEPmJS9_EEE10hipError_tPvRmT3_T4_T5_T6_T7_T9_mT8_P12ihipStream_tbDpT10_ENKUlT_T0_E_clISt17integral_constantIbLb1EES1A_EEDaS15_S16_EUlS15_E_NS1_11comp_targetILNS1_3genE10ELNS1_11target_archE1200ELNS1_3gpuE4ELNS1_3repE0EEENS1_30default_config_static_selectorELNS0_4arch9wavefront6targetE0EEEvT1_
                                        ; -- End function
	.section	.AMDGPU.csdata,"",@progbits
; Kernel info:
; codeLenInByte = 0
; NumSgprs: 0
; NumVgprs: 0
; ScratchSize: 0
; MemoryBound: 0
; FloatMode: 240
; IeeeMode: 1
; LDSByteSize: 0 bytes/workgroup (compile time only)
; SGPRBlocks: 0
; VGPRBlocks: 0
; NumSGPRsForWavesPerEU: 1
; NumVGPRsForWavesPerEU: 1
; Occupancy: 15
; WaveLimiterHint : 0
; COMPUTE_PGM_RSRC2:SCRATCH_EN: 0
; COMPUTE_PGM_RSRC2:USER_SGPR: 15
; COMPUTE_PGM_RSRC2:TRAP_HANDLER: 0
; COMPUTE_PGM_RSRC2:TGID_X_EN: 1
; COMPUTE_PGM_RSRC2:TGID_Y_EN: 0
; COMPUTE_PGM_RSRC2:TGID_Z_EN: 0
; COMPUTE_PGM_RSRC2:TIDIG_COMP_CNT: 0
	.section	.text._ZN7rocprim17ROCPRIM_400000_NS6detail17trampoline_kernelINS0_14default_configENS1_25partition_config_selectorILNS1_17partition_subalgoE9EllbEEZZNS1_14partition_implILS5_9ELb0ES3_jPlS8_PNS0_10empty_typeENS0_5tupleIJS8_S9_EEENSB_IJS8_SA_EEENS0_18inequality_wrapperIZN2at6native12_GLOBAL__N_124unique_dim_cuda_templateIiEESt5tupleIJNSF_6TensorESK_SK_EERKSK_lbbbEUlllE0_EEPmJS9_EEE10hipError_tPvRmT3_T4_T5_T6_T7_T9_mT8_P12ihipStream_tbDpT10_ENKUlT_T0_E_clISt17integral_constantIbLb1EES1A_EEDaS15_S16_EUlS15_E_NS1_11comp_targetILNS1_3genE9ELNS1_11target_archE1100ELNS1_3gpuE3ELNS1_3repE0EEENS1_30default_config_static_selectorELNS0_4arch9wavefront6targetE0EEEvT1_,"axG",@progbits,_ZN7rocprim17ROCPRIM_400000_NS6detail17trampoline_kernelINS0_14default_configENS1_25partition_config_selectorILNS1_17partition_subalgoE9EllbEEZZNS1_14partition_implILS5_9ELb0ES3_jPlS8_PNS0_10empty_typeENS0_5tupleIJS8_S9_EEENSB_IJS8_SA_EEENS0_18inequality_wrapperIZN2at6native12_GLOBAL__N_124unique_dim_cuda_templateIiEESt5tupleIJNSF_6TensorESK_SK_EERKSK_lbbbEUlllE0_EEPmJS9_EEE10hipError_tPvRmT3_T4_T5_T6_T7_T9_mT8_P12ihipStream_tbDpT10_ENKUlT_T0_E_clISt17integral_constantIbLb1EES1A_EEDaS15_S16_EUlS15_E_NS1_11comp_targetILNS1_3genE9ELNS1_11target_archE1100ELNS1_3gpuE3ELNS1_3repE0EEENS1_30default_config_static_selectorELNS0_4arch9wavefront6targetE0EEEvT1_,comdat
	.globl	_ZN7rocprim17ROCPRIM_400000_NS6detail17trampoline_kernelINS0_14default_configENS1_25partition_config_selectorILNS1_17partition_subalgoE9EllbEEZZNS1_14partition_implILS5_9ELb0ES3_jPlS8_PNS0_10empty_typeENS0_5tupleIJS8_S9_EEENSB_IJS8_SA_EEENS0_18inequality_wrapperIZN2at6native12_GLOBAL__N_124unique_dim_cuda_templateIiEESt5tupleIJNSF_6TensorESK_SK_EERKSK_lbbbEUlllE0_EEPmJS9_EEE10hipError_tPvRmT3_T4_T5_T6_T7_T9_mT8_P12ihipStream_tbDpT10_ENKUlT_T0_E_clISt17integral_constantIbLb1EES1A_EEDaS15_S16_EUlS15_E_NS1_11comp_targetILNS1_3genE9ELNS1_11target_archE1100ELNS1_3gpuE3ELNS1_3repE0EEENS1_30default_config_static_selectorELNS0_4arch9wavefront6targetE0EEEvT1_ ; -- Begin function _ZN7rocprim17ROCPRIM_400000_NS6detail17trampoline_kernelINS0_14default_configENS1_25partition_config_selectorILNS1_17partition_subalgoE9EllbEEZZNS1_14partition_implILS5_9ELb0ES3_jPlS8_PNS0_10empty_typeENS0_5tupleIJS8_S9_EEENSB_IJS8_SA_EEENS0_18inequality_wrapperIZN2at6native12_GLOBAL__N_124unique_dim_cuda_templateIiEESt5tupleIJNSF_6TensorESK_SK_EERKSK_lbbbEUlllE0_EEPmJS9_EEE10hipError_tPvRmT3_T4_T5_T6_T7_T9_mT8_P12ihipStream_tbDpT10_ENKUlT_T0_E_clISt17integral_constantIbLb1EES1A_EEDaS15_S16_EUlS15_E_NS1_11comp_targetILNS1_3genE9ELNS1_11target_archE1100ELNS1_3gpuE3ELNS1_3repE0EEENS1_30default_config_static_selectorELNS0_4arch9wavefront6targetE0EEEvT1_
	.p2align	8
	.type	_ZN7rocprim17ROCPRIM_400000_NS6detail17trampoline_kernelINS0_14default_configENS1_25partition_config_selectorILNS1_17partition_subalgoE9EllbEEZZNS1_14partition_implILS5_9ELb0ES3_jPlS8_PNS0_10empty_typeENS0_5tupleIJS8_S9_EEENSB_IJS8_SA_EEENS0_18inequality_wrapperIZN2at6native12_GLOBAL__N_124unique_dim_cuda_templateIiEESt5tupleIJNSF_6TensorESK_SK_EERKSK_lbbbEUlllE0_EEPmJS9_EEE10hipError_tPvRmT3_T4_T5_T6_T7_T9_mT8_P12ihipStream_tbDpT10_ENKUlT_T0_E_clISt17integral_constantIbLb1EES1A_EEDaS15_S16_EUlS15_E_NS1_11comp_targetILNS1_3genE9ELNS1_11target_archE1100ELNS1_3gpuE3ELNS1_3repE0EEENS1_30default_config_static_selectorELNS0_4arch9wavefront6targetE0EEEvT1_,@function
_ZN7rocprim17ROCPRIM_400000_NS6detail17trampoline_kernelINS0_14default_configENS1_25partition_config_selectorILNS1_17partition_subalgoE9EllbEEZZNS1_14partition_implILS5_9ELb0ES3_jPlS8_PNS0_10empty_typeENS0_5tupleIJS8_S9_EEENSB_IJS8_SA_EEENS0_18inequality_wrapperIZN2at6native12_GLOBAL__N_124unique_dim_cuda_templateIiEESt5tupleIJNSF_6TensorESK_SK_EERKSK_lbbbEUlllE0_EEPmJS9_EEE10hipError_tPvRmT3_T4_T5_T6_T7_T9_mT8_P12ihipStream_tbDpT10_ENKUlT_T0_E_clISt17integral_constantIbLb1EES1A_EEDaS15_S16_EUlS15_E_NS1_11comp_targetILNS1_3genE9ELNS1_11target_archE1100ELNS1_3gpuE3ELNS1_3repE0EEENS1_30default_config_static_selectorELNS0_4arch9wavefront6targetE0EEEvT1_: ; @_ZN7rocprim17ROCPRIM_400000_NS6detail17trampoline_kernelINS0_14default_configENS1_25partition_config_selectorILNS1_17partition_subalgoE9EllbEEZZNS1_14partition_implILS5_9ELb0ES3_jPlS8_PNS0_10empty_typeENS0_5tupleIJS8_S9_EEENSB_IJS8_SA_EEENS0_18inequality_wrapperIZN2at6native12_GLOBAL__N_124unique_dim_cuda_templateIiEESt5tupleIJNSF_6TensorESK_SK_EERKSK_lbbbEUlllE0_EEPmJS9_EEE10hipError_tPvRmT3_T4_T5_T6_T7_T9_mT8_P12ihipStream_tbDpT10_ENKUlT_T0_E_clISt17integral_constantIbLb1EES1A_EEDaS15_S16_EUlS15_E_NS1_11comp_targetILNS1_3genE9ELNS1_11target_archE1100ELNS1_3gpuE3ELNS1_3repE0EEENS1_30default_config_static_selectorELNS0_4arch9wavefront6targetE0EEEvT1_
; %bb.0:
	s_clause 0x3
	s_load_b128 s[4:7], s[0:1], 0x8
	s_load_b64 s[24:25], s[0:1], 0x18
	s_load_b256 s[8:15], s[0:1], 0x40
	s_load_b128 s[20:23], s[0:1], 0x60
	v_cmp_ne_u32_e64 s3, 0, v0
	v_cmp_eq_u32_e64 s2, 0, v0
	s_delay_alu instid0(VALU_DEP_1)
	s_and_saveexec_b32 s16, s2
	s_cbranch_execz .LBB487_4
; %bb.1:
	s_mov_b32 s18, exec_lo
	s_mov_b32 s17, exec_lo
	v_mbcnt_lo_u32_b32 v1, s18, 0
                                        ; implicit-def: $vgpr2
	s_delay_alu instid0(VALU_DEP_1)
	v_cmpx_eq_u32_e32 0, v1
	s_cbranch_execz .LBB487_3
; %bb.2:
	s_load_b64 s[26:27], s[0:1], 0x78
	s_bcnt1_i32_b32 s18, s18
	s_delay_alu instid0(SALU_CYCLE_1)
	v_dual_mov_b32 v2, 0 :: v_dual_mov_b32 v3, s18
	s_waitcnt lgkmcnt(0)
	global_atomic_add_u32 v2, v2, v3, s[26:27] glc
.LBB487_3:
	s_or_b32 exec_lo, exec_lo, s17
	s_waitcnt vmcnt(0)
	v_readfirstlane_b32 s17, v2
	s_delay_alu instid0(VALU_DEP_1)
	v_dual_mov_b32 v2, 0 :: v_dual_add_nc_u32 v1, s17, v1
	ds_store_b32 v2, v1
.LBB487_4:
	s_or_b32 exec_lo, exec_lo, s16
	v_mov_b32_e32 v1, 0
	s_clause 0x1
	s_load_b128 s[16:19], s[0:1], 0x28
	s_load_b32 s0, s[0:1], 0x70
	s_waitcnt lgkmcnt(0)
	s_barrier
	buffer_gl0_inv
	ds_load_b32 v3, v1
	s_waitcnt lgkmcnt(0)
	s_barrier
	buffer_gl0_inv
	global_load_b64 v[1:2], v1, s[10:11]
	s_lshl_b64 s[26:27], s[6:7], 3
	s_mov_b32 s1, 0
	s_add_u32 s10, s4, s26
	s_addc_u32 s11, s5, s27
	v_lshlrev_b32_e32 v55, 3, v0
	v_lshrrev_b32_e32 v34, 2, v0
	v_or_b32_e32 v39, 0x200, v0
	v_or_b32_e32 v38, 0x400, v0
	v_or_b32_e32 v40, 0x600, v0
	v_or_b32_e32 v37, 0x800, v0
	v_or_b32_e32 v35, 0xa00, v0
	s_add_i32 s28, s0, -1
	s_lshl_b32 s5, s0, 12
	s_lshl_b32 s4, s28, 12
	v_or_b32_e32 v33, 0xc00, v0
	v_readfirstlane_b32 s30, v3
	s_add_i32 s4, s6, s4
	v_or_b32_e32 v36, 0xe00, v0
	s_sub_i32 s31, s12, s4
	s_delay_alu instid0(VALU_DEP_2)
	s_lshl_b32 s0, s30, 12
	s_add_u32 s4, s6, s5
	s_addc_u32 s5, s7, 0
	s_cmp_eq_u32 s30, s28
	v_cmp_ge_u64_e64 s4, s[4:5], s[12:13]
	s_cselect_b32 s28, -1, 0
	s_lshl_b64 s[12:13], s[0:1], 3
	s_mov_b32 s1, -1
	s_delay_alu instid0(VALU_DEP_1) | instskip(NEXT) | instid1(SALU_CYCLE_1)
	s_and_b32 s33, s4, s28
	s_xor_b32 s29, s33, -1
	s_add_u32 s4, s10, s12
	s_addc_u32 s5, s11, s13
	s_and_b32 vcc_lo, exec_lo, s29
	s_waitcnt vmcnt(0)
	v_readfirstlane_b32 s10, v1
	v_readfirstlane_b32 s11, v2
	s_cbranch_vccz .LBB487_6
; %bb.5:
	v_add_co_u32 v9, s0, s4, v55
	s_delay_alu instid0(VALU_DEP_1)
	v_add_co_ci_u32_e64 v10, null, s5, 0, s0
	global_load_b64 v[1:2], v55, s[4:5]
	v_add_co_u32 v3, vcc_lo, v9, 0x2000
	v_add_co_ci_u32_e32 v4, vcc_lo, 0, v10, vcc_lo
	v_add_co_u32 v5, vcc_lo, v9, 0x4000
	v_add_co_ci_u32_e32 v6, vcc_lo, 0, v10, vcc_lo
	;; [unrolled: 2-line block ×4, first 2 shown]
	s_clause 0x6
	global_load_b64 v[11:12], v[3:4], off offset:-4096
	global_load_b64 v[3:4], v[3:4], off
	global_load_b64 v[13:14], v[5:6], off offset:-4096
	global_load_b64 v[5:6], v[5:6], off
	;; [unrolled: 2-line block ×3, first 2 shown]
	global_load_b64 v[9:10], v[9:10], off
	v_lshrrev_b32_e32 v18, 2, v39
	v_lshrrev_b32_e32 v19, 2, v38
	;; [unrolled: 1-line block ×4, first 2 shown]
	v_and_b32_e32 v17, 0x78, v34
	v_lshrrev_b32_e32 v22, 2, v35
	v_lshrrev_b32_e32 v23, 2, v33
	;; [unrolled: 1-line block ×3, first 2 shown]
	v_and_b32_e32 v18, 0xf8, v18
	v_and_b32_e32 v19, 0x178, v19
	;; [unrolled: 1-line block ×4, first 2 shown]
	v_add_nc_u32_e32 v17, v17, v55
	v_and_b32_e32 v22, 0x2f8, v22
	v_and_b32_e32 v23, 0x378, v23
	;; [unrolled: 1-line block ×3, first 2 shown]
	v_add_nc_u32_e32 v18, v18, v55
	v_add_nc_u32_e32 v19, v19, v55
	;; [unrolled: 1-line block ×4, first 2 shown]
	s_mov_b32 s1, 0
	v_add_nc_u32_e32 v22, v22, v55
	v_add_nc_u32_e32 v23, v23, v55
	;; [unrolled: 1-line block ×3, first 2 shown]
	s_waitcnt vmcnt(7)
	ds_store_b64 v17, v[1:2]
	s_waitcnt vmcnt(6)
	ds_store_b64 v18, v[11:12] offset:4096
	s_waitcnt vmcnt(5)
	ds_store_b64 v19, v[3:4] offset:8192
	s_waitcnt vmcnt(4)
	ds_store_b64 v20, v[13:14] offset:12288
	s_waitcnt vmcnt(3)
	ds_store_b64 v21, v[5:6] offset:16384
	s_waitcnt vmcnt(2)
	ds_store_b64 v22, v[15:16] offset:20480
	s_waitcnt vmcnt(1)
	ds_store_b64 v23, v[7:8] offset:24576
	s_waitcnt vmcnt(0)
	ds_store_b64 v24, v[9:10] offset:28672
	s_waitcnt lgkmcnt(0)
	s_barrier
.LBB487_6:
	v_cmp_gt_u32_e64 s0, s31, v0
	s_and_not1_b32 vcc_lo, exec_lo, s1
	s_cbranch_vccnz .LBB487_24
; %bb.7:
                                        ; implicit-def: $vgpr1_vgpr2_vgpr3_vgpr4_vgpr5_vgpr6_vgpr7_vgpr8_vgpr9_vgpr10_vgpr11_vgpr12_vgpr13_vgpr14_vgpr15_vgpr16
	s_delay_alu instid0(VALU_DEP_1)
	s_and_saveexec_b32 s1, s0
	s_cbranch_execz .LBB487_15
; %bb.8:
	global_load_b64 v[1:2], v55, s[4:5]
	s_or_b32 exec_lo, exec_lo, s1
	s_delay_alu instid0(SALU_CYCLE_1)
	s_mov_b32 s0, exec_lo
	v_cmpx_gt_u32_e64 s31, v39
	s_cbranch_execnz .LBB487_16
.LBB487_9:
	s_or_b32 exec_lo, exec_lo, s0
	s_delay_alu instid0(SALU_CYCLE_1)
	s_mov_b32 s0, exec_lo
	v_cmpx_gt_u32_e64 s31, v38
	s_cbranch_execz .LBB487_17
.LBB487_10:
	v_lshlrev_b32_e32 v5, 3, v38
	global_load_b64 v[5:6], v5, s[4:5]
	s_or_b32 exec_lo, exec_lo, s0
	s_delay_alu instid0(SALU_CYCLE_1)
	s_mov_b32 s0, exec_lo
	v_cmpx_gt_u32_e64 s31, v40
	s_cbranch_execnz .LBB487_18
.LBB487_11:
	s_or_b32 exec_lo, exec_lo, s0
	s_delay_alu instid0(SALU_CYCLE_1)
	s_mov_b32 s0, exec_lo
	v_cmpx_gt_u32_e64 s31, v37
	s_cbranch_execz .LBB487_19
.LBB487_12:
	v_lshlrev_b32_e32 v9, 3, v37
	global_load_b64 v[9:10], v9, s[4:5]
	s_or_b32 exec_lo, exec_lo, s0
	s_delay_alu instid0(SALU_CYCLE_1)
	s_mov_b32 s0, exec_lo
	v_cmpx_gt_u32_e64 s31, v35
	s_cbranch_execnz .LBB487_20
.LBB487_13:
	s_or_b32 exec_lo, exec_lo, s0
	s_delay_alu instid0(SALU_CYCLE_1)
	s_mov_b32 s0, exec_lo
	v_cmpx_gt_u32_e64 s31, v33
	s_cbranch_execz .LBB487_21
.LBB487_14:
	v_lshlrev_b32_e32 v13, 3, v33
	global_load_b64 v[13:14], v13, s[4:5]
	s_or_b32 exec_lo, exec_lo, s0
	s_delay_alu instid0(SALU_CYCLE_1)
	s_mov_b32 s0, exec_lo
	v_cmpx_gt_u32_e64 s31, v36
	s_cbranch_execnz .LBB487_22
	s_branch .LBB487_23
.LBB487_15:
	s_or_b32 exec_lo, exec_lo, s1
	s_delay_alu instid0(SALU_CYCLE_1)
	s_mov_b32 s0, exec_lo
	v_cmpx_gt_u32_e64 s31, v39
	s_cbranch_execz .LBB487_9
.LBB487_16:
	v_lshlrev_b32_e32 v3, 3, v39
	global_load_b64 v[3:4], v3, s[4:5]
	s_or_b32 exec_lo, exec_lo, s0
	s_delay_alu instid0(SALU_CYCLE_1)
	s_mov_b32 s0, exec_lo
	v_cmpx_gt_u32_e64 s31, v38
	s_cbranch_execnz .LBB487_10
.LBB487_17:
	s_or_b32 exec_lo, exec_lo, s0
	s_delay_alu instid0(SALU_CYCLE_1)
	s_mov_b32 s0, exec_lo
	v_cmpx_gt_u32_e64 s31, v40
	s_cbranch_execz .LBB487_11
.LBB487_18:
	v_lshlrev_b32_e32 v7, 3, v40
	global_load_b64 v[7:8], v7, s[4:5]
	s_or_b32 exec_lo, exec_lo, s0
	s_delay_alu instid0(SALU_CYCLE_1)
	s_mov_b32 s0, exec_lo
	v_cmpx_gt_u32_e64 s31, v37
	s_cbranch_execnz .LBB487_12
.LBB487_19:
	s_or_b32 exec_lo, exec_lo, s0
	s_delay_alu instid0(SALU_CYCLE_1)
	s_mov_b32 s0, exec_lo
	v_cmpx_gt_u32_e64 s31, v35
	s_cbranch_execz .LBB487_13
.LBB487_20:
	v_lshlrev_b32_e32 v11, 3, v35
	global_load_b64 v[11:12], v11, s[4:5]
	s_or_b32 exec_lo, exec_lo, s0
	s_delay_alu instid0(SALU_CYCLE_1)
	s_mov_b32 s0, exec_lo
	v_cmpx_gt_u32_e64 s31, v33
	s_cbranch_execnz .LBB487_14
.LBB487_21:
	s_or_b32 exec_lo, exec_lo, s0
	s_delay_alu instid0(SALU_CYCLE_1)
	s_mov_b32 s0, exec_lo
	v_cmpx_gt_u32_e64 s31, v36
	s_cbranch_execz .LBB487_23
.LBB487_22:
	v_lshlrev_b32_e32 v15, 3, v36
	global_load_b64 v[15:16], v15, s[4:5]
.LBB487_23:
	s_or_b32 exec_lo, exec_lo, s0
	v_lshrrev_b32_e32 v17, 2, v39
	v_lshrrev_b32_e32 v18, 2, v38
	;; [unrolled: 1-line block ×4, first 2 shown]
	v_and_b32_e32 v19, 0x78, v34
	v_lshrrev_b32_e32 v22, 2, v35
	v_lshrrev_b32_e32 v23, 2, v33
	;; [unrolled: 1-line block ×3, first 2 shown]
	v_and_b32_e32 v17, 0xf8, v17
	v_and_b32_e32 v18, 0x1f8, v18
	;; [unrolled: 1-line block ×4, first 2 shown]
	v_add_nc_u32_e32 v19, v19, v55
	v_and_b32_e32 v22, 0x3f8, v22
	v_and_b32_e32 v23, 0x3f8, v23
	;; [unrolled: 1-line block ×3, first 2 shown]
	v_add_nc_u32_e32 v17, v17, v55
	v_add_nc_u32_e32 v18, v18, v55
	;; [unrolled: 1-line block ×7, first 2 shown]
	s_waitcnt vmcnt(0)
	ds_store_b64 v19, v[1:2]
	ds_store_b64 v17, v[3:4] offset:4096
	ds_store_b64 v18, v[5:6] offset:8192
	;; [unrolled: 1-line block ×7, first 2 shown]
	s_waitcnt lgkmcnt(0)
	s_barrier
.LBB487_24:
	v_add_lshl_u32 v41, v34, v55, 3
	buffer_gl0_inv
	s_add_u32 s0, s24, s26
	s_addc_u32 s1, s25, s27
	s_add_u32 s0, s0, s12
	ds_load_2addr_b64 v[29:32], v41 offset1:1
	ds_load_2addr_b64 v[25:28], v41 offset0:2 offset1:3
	ds_load_2addr_b64 v[21:24], v41 offset0:4 offset1:5
	;; [unrolled: 1-line block ×3, first 2 shown]
	s_addc_u32 s1, s1, s13
	s_and_b32 vcc_lo, exec_lo, s29
	s_mov_b32 s12, -1
	s_waitcnt lgkmcnt(0)
	s_barrier
	buffer_gl0_inv
	s_cbranch_vccz .LBB487_26
; %bb.25:
	v_add_co_u32 v9, s12, s0, v55
	s_delay_alu instid0(VALU_DEP_1)
	v_add_co_ci_u32_e64 v10, null, s1, 0, s12
	global_load_b64 v[1:2], v55, s[0:1]
	v_add_co_u32 v3, vcc_lo, v9, 0x2000
	v_add_co_ci_u32_e32 v4, vcc_lo, 0, v10, vcc_lo
	v_add_co_u32 v5, vcc_lo, v9, 0x4000
	v_add_co_ci_u32_e32 v6, vcc_lo, 0, v10, vcc_lo
	;; [unrolled: 2-line block ×4, first 2 shown]
	s_clause 0x6
	global_load_b64 v[11:12], v[3:4], off offset:-4096
	global_load_b64 v[3:4], v[3:4], off
	global_load_b64 v[13:14], v[5:6], off offset:-4096
	global_load_b64 v[5:6], v[5:6], off
	;; [unrolled: 2-line block ×3, first 2 shown]
	global_load_b64 v[9:10], v[9:10], off
	v_lshrrev_b32_e32 v43, 2, v39
	v_lshrrev_b32_e32 v44, 2, v38
	;; [unrolled: 1-line block ×4, first 2 shown]
	v_and_b32_e32 v42, 0x78, v34
	v_lshrrev_b32_e32 v47, 2, v35
	v_lshrrev_b32_e32 v48, 2, v33
	;; [unrolled: 1-line block ×3, first 2 shown]
	v_and_b32_e32 v43, 0xf8, v43
	v_and_b32_e32 v44, 0x178, v44
	v_and_b32_e32 v45, 0x1f8, v45
	v_and_b32_e32 v46, 0x278, v46
	v_add_nc_u32_e32 v42, v42, v55
	v_and_b32_e32 v47, 0x2f8, v47
	v_and_b32_e32 v48, 0x378, v48
	;; [unrolled: 1-line block ×3, first 2 shown]
	v_add_nc_u32_e32 v43, v43, v55
	v_add_nc_u32_e32 v44, v44, v55
	;; [unrolled: 1-line block ×4, first 2 shown]
	s_mov_b32 s12, 0
	v_add_nc_u32_e32 v47, v47, v55
	v_add_nc_u32_e32 v48, v48, v55
	;; [unrolled: 1-line block ×3, first 2 shown]
	s_waitcnt vmcnt(7)
	ds_store_b64 v42, v[1:2]
	s_waitcnt vmcnt(6)
	ds_store_b64 v43, v[11:12] offset:4096
	s_waitcnt vmcnt(5)
	ds_store_b64 v44, v[3:4] offset:8192
	;; [unrolled: 2-line block ×7, first 2 shown]
	s_waitcnt lgkmcnt(0)
	s_barrier
.LBB487_26:
	s_and_not1_b32 vcc_lo, exec_lo, s12
	s_cbranch_vccnz .LBB487_44
; %bb.27:
	s_mov_b32 s12, exec_lo
                                        ; implicit-def: $vgpr1_vgpr2
	v_cmpx_gt_u32_e64 s31, v0
	s_cbranch_execz .LBB487_29
; %bb.28:
	global_load_b64 v[1:2], v55, s[0:1]
.LBB487_29:
	s_or_b32 exec_lo, exec_lo, s12
	s_delay_alu instid0(SALU_CYCLE_1)
	s_mov_b32 s12, exec_lo
                                        ; implicit-def: $vgpr3_vgpr4
	v_cmpx_gt_u32_e64 s31, v39
	s_cbranch_execz .LBB487_31
; %bb.30:
	v_lshlrev_b32_e32 v3, 3, v39
	global_load_b64 v[3:4], v3, s[0:1]
.LBB487_31:
	s_or_b32 exec_lo, exec_lo, s12
	s_delay_alu instid0(SALU_CYCLE_1)
	s_mov_b32 s12, exec_lo
                                        ; implicit-def: $vgpr5_vgpr6
	v_cmpx_gt_u32_e64 s31, v38
	s_cbranch_execz .LBB487_33
; %bb.32:
	v_lshlrev_b32_e32 v5, 3, v38
	global_load_b64 v[5:6], v5, s[0:1]
.LBB487_33:
	s_or_b32 exec_lo, exec_lo, s12
	s_delay_alu instid0(SALU_CYCLE_1)
	s_mov_b32 s12, exec_lo
                                        ; implicit-def: $vgpr7_vgpr8
	v_cmpx_gt_u32_e64 s31, v40
	s_cbranch_execz .LBB487_35
; %bb.34:
	v_lshlrev_b32_e32 v7, 3, v40
	global_load_b64 v[7:8], v7, s[0:1]
.LBB487_35:
	s_or_b32 exec_lo, exec_lo, s12
	s_delay_alu instid0(SALU_CYCLE_1)
	s_mov_b32 s12, exec_lo
                                        ; implicit-def: $vgpr9_vgpr10
	v_cmpx_gt_u32_e64 s31, v37
	s_cbranch_execz .LBB487_37
; %bb.36:
	v_lshlrev_b32_e32 v9, 3, v37
	global_load_b64 v[9:10], v9, s[0:1]
.LBB487_37:
	s_or_b32 exec_lo, exec_lo, s12
	s_delay_alu instid0(SALU_CYCLE_1)
	s_mov_b32 s12, exec_lo
                                        ; implicit-def: $vgpr11_vgpr12
	v_cmpx_gt_u32_e64 s31, v35
	s_cbranch_execz .LBB487_39
; %bb.38:
	v_lshlrev_b32_e32 v11, 3, v35
	global_load_b64 v[11:12], v11, s[0:1]
.LBB487_39:
	s_or_b32 exec_lo, exec_lo, s12
	s_delay_alu instid0(SALU_CYCLE_1)
	s_mov_b32 s12, exec_lo
                                        ; implicit-def: $vgpr13_vgpr14
	v_cmpx_gt_u32_e64 s31, v33
	s_cbranch_execz .LBB487_41
; %bb.40:
	v_lshlrev_b32_e32 v13, 3, v33
	global_load_b64 v[13:14], v13, s[0:1]
.LBB487_41:
	s_or_b32 exec_lo, exec_lo, s12
	s_delay_alu instid0(SALU_CYCLE_1)
	s_mov_b32 s12, exec_lo
                                        ; implicit-def: $vgpr15_vgpr16
	v_cmpx_gt_u32_e64 s31, v36
	s_cbranch_execz .LBB487_43
; %bb.42:
	v_lshlrev_b32_e32 v15, 3, v36
	global_load_b64 v[15:16], v15, s[0:1]
.LBB487_43:
	s_or_b32 exec_lo, exec_lo, s12
	v_lshrrev_b32_e32 v39, 2, v39
	v_lshrrev_b32_e32 v38, 2, v38
	;; [unrolled: 1-line block ×4, first 2 shown]
	v_and_b32_e32 v34, 0x78, v34
	v_lshrrev_b32_e32 v35, 2, v35
	v_lshrrev_b32_e32 v33, 2, v33
	v_lshrrev_b32_e32 v36, 2, v36
	v_and_b32_e32 v39, 0xf8, v39
	v_and_b32_e32 v38, 0x1f8, v38
	v_and_b32_e32 v40, 0x1f8, v40
	v_and_b32_e32 v37, 0x3f8, v37
	v_add_nc_u32_e32 v34, v34, v55
	v_and_b32_e32 v35, 0x3f8, v35
	v_and_b32_e32 v33, 0x3f8, v33
	v_and_b32_e32 v36, 0x3f8, v36
	v_add_nc_u32_e32 v39, v39, v55
	v_add_nc_u32_e32 v38, v38, v55
	v_add_nc_u32_e32 v40, v40, v55
	v_add_nc_u32_e32 v37, v37, v55
	v_add_nc_u32_e32 v35, v35, v55
	v_add_nc_u32_e32 v33, v33, v55
	v_add_nc_u32_e32 v36, v36, v55
	s_waitcnt vmcnt(0)
	ds_store_b64 v34, v[1:2]
	ds_store_b64 v39, v[3:4] offset:4096
	ds_store_b64 v38, v[5:6] offset:8192
	;; [unrolled: 1-line block ×7, first 2 shown]
	s_waitcnt lgkmcnt(0)
	s_barrier
.LBB487_44:
	buffer_gl0_inv
	ds_load_2addr_b64 v[13:16], v41 offset1:1
	ds_load_2addr_b64 v[9:12], v41 offset0:2 offset1:3
	ds_load_2addr_b64 v[5:8], v41 offset0:4 offset1:5
	ds_load_2addr_b64 v[1:4], v41 offset0:6 offset1:7
	s_cmp_lg_u32 s30, 0
	v_cmp_gt_i64_e64 s13, s[14:15], 0
	s_cselect_b32 s12, -1, 0
	s_cmp_lg_u64 s[6:7], 0
	s_mov_b32 s1, 0
	s_cselect_b32 s0, -1, 0
	s_waitcnt lgkmcnt(0)
	s_or_b32 s0, s0, s12
	s_barrier
	s_and_b32 vcc_lo, exec_lo, s0
	buffer_gl0_inv
	s_cbranch_vccz .LBB487_53
; %bb.45:
	v_mov_b32_e32 v33, 0
	v_cndmask_b32_e64 v43, 0, 1, s13
	s_and_b32 vcc_lo, exec_lo, s29
	ds_store_b64 v55, v[19:20]
	global_load_b64 v[33:34], v33, s[4:5] offset:-8
	v_cmp_ne_u32_e64 s0, 1, v43
	s_cbranch_vccz .LBB487_54
; %bb.46:
	v_mul_lo_u32 v37, v18, s14
	v_mul_lo_u32 v38, v17, s15
	v_mad_u64_u32 v[35:36], null, v17, s14, 0
	s_and_b32 vcc_lo, exec_lo, s0
	s_mov_b32 s24, 0
	s_delay_alu instid0(VALU_DEP_1) | instskip(NEXT) | instid1(VALU_DEP_1)
	v_add3_u32 v36, v36, v38, v37
	v_lshlrev_b64 v[35:36], 2, v[35:36]
	s_cbranch_vccnz .LBB487_57
; %bb.47:
	v_mul_lo_u32 v39, v20, s14
	v_mul_lo_u32 v40, v19, s15
	v_mad_u64_u32 v[37:38], null, v19, s14, 0
	s_mov_b32 s24, -1
	s_mov_b32 s25, exec_lo
	s_delay_alu instid0(VALU_DEP_1) | instskip(SKIP_2) | instid1(VALU_DEP_3)
	v_add3_u32 v38, v38, v40, v39
	v_add_co_u32 v39, vcc_lo, s20, v35
	v_add_co_ci_u32_e32 v40, vcc_lo, s21, v36, vcc_lo
	v_lshlrev_b64 v[37:38], 2, v[37:38]
	s_delay_alu instid0(VALU_DEP_1) | instskip(NEXT) | instid1(VALU_DEP_2)
	v_add_co_u32 v37, vcc_lo, s20, v37
	v_add_co_ci_u32_e32 v38, vcc_lo, s21, v38, vcc_lo
	s_clause 0x1
	global_load_b32 v41, v[39:40], off
	global_load_b32 v42, v[37:38], off
	s_waitcnt vmcnt(0)
	v_cmpx_eq_u32_e64 v41, v42
	s_cbranch_execz .LBB487_56
; %bb.48:
	v_add_co_u32 v37, vcc_lo, v37, 4
	v_add_co_ci_u32_e32 v38, vcc_lo, 0, v38, vcc_lo
	v_add_co_u32 v39, vcc_lo, v39, 4
	v_add_co_ci_u32_e32 v40, vcc_lo, 0, v40, vcc_lo
	s_add_u32 s4, s14, -1
	s_addc_u32 s5, s15, -1
	s_mov_b64 s[6:7], 0
	s_mov_b32 s24, 0
                                        ; implicit-def: $sgpr26
	s_set_inst_prefetch_distance 0x1
	s_branch .LBB487_51
	.p2align	6
.LBB487_49:                             ;   in Loop: Header=BB487_51 Depth=1
	global_load_b32 v41, v[39:40], off
	global_load_b32 v42, v[37:38], off
	v_add_co_u32 v37, vcc_lo, v37, 4
	v_add_co_ci_u32_e32 v38, vcc_lo, 0, v38, vcc_lo
	v_add_co_u32 v39, s0, v39, 4
	s_delay_alu instid0(VALU_DEP_1)
	v_add_co_ci_u32_e64 v40, s0, 0, v40, s0
	s_add_u32 s6, s6, 1
	s_addc_u32 s7, s7, 0
	s_and_not1_b32 s0, s26, exec_lo
	s_waitcnt vmcnt(0)
	v_cmp_ne_u32_e32 vcc_lo, v41, v42
	s_and_b32 s26, vcc_lo, exec_lo
	s_delay_alu instid0(SALU_CYCLE_1)
	s_or_b32 s26, s0, s26
.LBB487_50:                             ;   in Loop: Header=BB487_51 Depth=1
	v_dual_mov_b32 v42, s7 :: v_dual_mov_b32 v41, s6
	s_and_b32 s0, exec_lo, s26
	s_delay_alu instid0(SALU_CYCLE_1) | instskip(NEXT) | instid1(SALU_CYCLE_1)
	s_or_b32 s24, s0, s24
	s_and_not1_b32 exec_lo, exec_lo, s24
	s_cbranch_execz .LBB487_55
.LBB487_51:                             ; =>This Inner Loop Header: Depth=1
	s_or_b32 s26, s26, exec_lo
	s_cmp_eq_u64 s[4:5], s[6:7]
	s_cbranch_scc0 .LBB487_49
; %bb.52:                               ;   in Loop: Header=BB487_51 Depth=1
	s_mov_b64 s[6:7], s[14:15]
                                        ; implicit-def: $vgpr37_vgpr38
                                        ; implicit-def: $vgpr39_vgpr40
	s_branch .LBB487_50
.LBB487_53:
                                        ; implicit-def: $sgpr0
                                        ; implicit-def: $vgpr36
	s_branch .LBB487_215
.LBB487_54:
                                        ; implicit-def: $sgpr0
                                        ; implicit-def: $vgpr36
	s_cbranch_execnz .LBB487_123
	s_branch .LBB487_214
.LBB487_55:
	s_set_inst_prefetch_distance 0x2
	s_or_b32 exec_lo, exec_lo, s24
	v_cmp_gt_i64_e32 vcc_lo, s[14:15], v[41:42]
	s_or_not1_b32 s24, vcc_lo, exec_lo
.LBB487_56:
	s_or_b32 exec_lo, exec_lo, s25
.LBB487_57:
	v_mul_lo_u32 v39, v24, s14
	v_mul_lo_u32 v40, v23, s15
	v_mad_u64_u32 v[37:38], null, v23, s14, 0
	s_and_not1_b32 vcc_lo, exec_lo, s13
	s_delay_alu instid0(VALU_DEP_1) | instskip(NEXT) | instid1(VALU_DEP_1)
	v_add3_u32 v38, v38, v40, v39
	v_lshlrev_b64 v[37:38], 2, v[37:38]
	s_cbranch_vccnz .LBB487_66
; %bb.58:
	s_delay_alu instid0(VALU_DEP_1) | instskip(NEXT) | instid1(VALU_DEP_2)
	v_add_co_u32 v39, vcc_lo, s20, v37
	v_add_co_ci_u32_e32 v40, vcc_lo, s21, v38, vcc_lo
	v_add_co_u32 v35, vcc_lo, s20, v35
	v_add_co_ci_u32_e32 v36, vcc_lo, s21, v36, vcc_lo
	s_mov_b32 s1, -1
	s_clause 0x1
	global_load_b32 v41, v[39:40], off
	global_load_b32 v42, v[35:36], off
	s_mov_b32 s25, exec_lo
	s_waitcnt vmcnt(0)
	v_cmpx_eq_u32_e64 v41, v42
	s_cbranch_execz .LBB487_65
; %bb.59:
	v_add_co_u32 v35, vcc_lo, v35, 4
	v_add_co_ci_u32_e32 v36, vcc_lo, 0, v36, vcc_lo
	v_add_co_u32 v39, vcc_lo, v39, 4
	v_add_co_ci_u32_e32 v40, vcc_lo, 0, v40, vcc_lo
	s_add_u32 s4, s14, -1
	s_addc_u32 s5, s15, -1
	s_mov_b64 s[6:7], 0
	s_mov_b32 s1, 0
                                        ; implicit-def: $sgpr26
	s_set_inst_prefetch_distance 0x1
	s_branch .LBB487_62
	.p2align	6
.LBB487_60:                             ;   in Loop: Header=BB487_62 Depth=1
	global_load_b32 v41, v[39:40], off
	global_load_b32 v42, v[35:36], off
	v_add_co_u32 v35, vcc_lo, v35, 4
	v_add_co_ci_u32_e32 v36, vcc_lo, 0, v36, vcc_lo
	v_add_co_u32 v39, s0, v39, 4
	s_delay_alu instid0(VALU_DEP_1)
	v_add_co_ci_u32_e64 v40, s0, 0, v40, s0
	s_add_u32 s6, s6, 1
	s_addc_u32 s7, s7, 0
	s_and_not1_b32 s0, s26, exec_lo
	s_waitcnt vmcnt(0)
	v_cmp_ne_u32_e32 vcc_lo, v41, v42
	s_and_b32 s26, vcc_lo, exec_lo
	s_delay_alu instid0(SALU_CYCLE_1)
	s_or_b32 s26, s0, s26
.LBB487_61:                             ;   in Loop: Header=BB487_62 Depth=1
	v_dual_mov_b32 v42, s7 :: v_dual_mov_b32 v41, s6
	s_and_b32 s0, exec_lo, s26
	s_delay_alu instid0(SALU_CYCLE_1) | instskip(NEXT) | instid1(SALU_CYCLE_1)
	s_or_b32 s1, s0, s1
	s_and_not1_b32 exec_lo, exec_lo, s1
	s_cbranch_execz .LBB487_64
.LBB487_62:                             ; =>This Inner Loop Header: Depth=1
	s_or_b32 s26, s26, exec_lo
	s_cmp_eq_u64 s[4:5], s[6:7]
	s_cbranch_scc0 .LBB487_60
; %bb.63:                               ;   in Loop: Header=BB487_62 Depth=1
	s_mov_b64 s[6:7], s[14:15]
                                        ; implicit-def: $vgpr35_vgpr36
                                        ; implicit-def: $vgpr39_vgpr40
	s_branch .LBB487_61
.LBB487_64:
	s_set_inst_prefetch_distance 0x2
	s_or_b32 exec_lo, exec_lo, s1
	v_cmp_gt_i64_e32 vcc_lo, s[14:15], v[41:42]
	s_or_not1_b32 s1, vcc_lo, exec_lo
.LBB487_65:
	s_or_b32 exec_lo, exec_lo, s25
.LBB487_66:
	v_mul_lo_u32 v39, v22, s14
	v_mul_lo_u32 v40, v21, s15
	v_mad_u64_u32 v[35:36], null, v21, s14, 0
	s_mov_b32 s25, 0
	s_and_not1_b32 vcc_lo, exec_lo, s13
	s_mov_b32 s26, 0
	s_delay_alu instid0(VALU_DEP_1) | instskip(NEXT) | instid1(VALU_DEP_1)
	v_add3_u32 v36, v36, v40, v39
	v_lshlrev_b64 v[39:40], 2, v[35:36]
	s_cbranch_vccnz .LBB487_75
; %bb.67:
	s_delay_alu instid0(VALU_DEP_1) | instskip(NEXT) | instid1(VALU_DEP_2)
	v_add_co_u32 v41, vcc_lo, s20, v39
	v_add_co_ci_u32_e32 v42, vcc_lo, s21, v40, vcc_lo
	v_add_co_u32 v35, vcc_lo, s20, v37
	v_add_co_ci_u32_e32 v36, vcc_lo, s21, v38, vcc_lo
	s_mov_b32 s26, -1
	s_clause 0x1
	global_load_b32 v37, v[41:42], off
	global_load_b32 v38, v[35:36], off
	s_mov_b32 s27, exec_lo
	s_waitcnt vmcnt(0)
	v_cmpx_eq_u32_e64 v37, v38
	s_cbranch_execz .LBB487_74
; %bb.68:
	v_add_co_u32 v35, vcc_lo, v35, 4
	v_add_co_ci_u32_e32 v36, vcc_lo, 0, v36, vcc_lo
	v_add_co_u32 v37, vcc_lo, v41, 4
	v_add_co_ci_u32_e32 v38, vcc_lo, 0, v42, vcc_lo
	s_add_u32 s4, s14, -1
	s_addc_u32 s5, s15, -1
	s_mov_b64 s[6:7], 0
	s_mov_b32 s26, 0
                                        ; implicit-def: $sgpr34
	s_set_inst_prefetch_distance 0x1
	s_branch .LBB487_71
	.p2align	6
.LBB487_69:                             ;   in Loop: Header=BB487_71 Depth=1
	global_load_b32 v41, v[37:38], off
	global_load_b32 v42, v[35:36], off
	v_add_co_u32 v35, vcc_lo, v35, 4
	v_add_co_ci_u32_e32 v36, vcc_lo, 0, v36, vcc_lo
	v_add_co_u32 v37, s0, v37, 4
	s_delay_alu instid0(VALU_DEP_1)
	v_add_co_ci_u32_e64 v38, s0, 0, v38, s0
	s_add_u32 s6, s6, 1
	s_addc_u32 s7, s7, 0
	s_and_not1_b32 s0, s34, exec_lo
	s_waitcnt vmcnt(0)
	v_cmp_ne_u32_e32 vcc_lo, v41, v42
	s_and_b32 s34, vcc_lo, exec_lo
	s_delay_alu instid0(SALU_CYCLE_1)
	s_or_b32 s34, s0, s34
.LBB487_70:                             ;   in Loop: Header=BB487_71 Depth=1
	v_dual_mov_b32 v42, s7 :: v_dual_mov_b32 v41, s6
	s_and_b32 s0, exec_lo, s34
	s_delay_alu instid0(SALU_CYCLE_1) | instskip(NEXT) | instid1(SALU_CYCLE_1)
	s_or_b32 s26, s0, s26
	s_and_not1_b32 exec_lo, exec_lo, s26
	s_cbranch_execz .LBB487_73
.LBB487_71:                             ; =>This Inner Loop Header: Depth=1
	s_or_b32 s34, s34, exec_lo
	s_cmp_eq_u64 s[4:5], s[6:7]
	s_cbranch_scc0 .LBB487_69
; %bb.72:                               ;   in Loop: Header=BB487_71 Depth=1
	s_mov_b64 s[6:7], s[14:15]
                                        ; implicit-def: $vgpr35_vgpr36
                                        ; implicit-def: $vgpr37_vgpr38
	s_branch .LBB487_70
.LBB487_73:
	s_set_inst_prefetch_distance 0x2
	s_or_b32 exec_lo, exec_lo, s26
	v_cmp_gt_i64_e32 vcc_lo, s[14:15], v[41:42]
	s_or_not1_b32 s26, vcc_lo, exec_lo
.LBB487_74:
	s_or_b32 exec_lo, exec_lo, s27
.LBB487_75:
	v_mul_lo_u32 v37, v28, s14
	v_mul_lo_u32 v38, v27, s15
	v_mad_u64_u32 v[35:36], null, v27, s14, 0
	s_and_not1_b32 vcc_lo, exec_lo, s13
	s_delay_alu instid0(VALU_DEP_1) | instskip(NEXT) | instid1(VALU_DEP_1)
	v_add3_u32 v36, v36, v38, v37
	v_lshlrev_b64 v[35:36], 2, v[35:36]
	s_cbranch_vccnz .LBB487_84
; %bb.76:
	s_delay_alu instid0(VALU_DEP_1) | instskip(NEXT) | instid1(VALU_DEP_2)
	v_add_co_u32 v41, vcc_lo, s20, v35
	v_add_co_ci_u32_e32 v42, vcc_lo, s21, v36, vcc_lo
	v_add_co_u32 v37, vcc_lo, s20, v39
	v_add_co_ci_u32_e32 v38, vcc_lo, s21, v40, vcc_lo
	s_mov_b32 s25, -1
	s_clause 0x1
	global_load_b32 v39, v[41:42], off
	global_load_b32 v40, v[37:38], off
	s_mov_b32 s27, exec_lo
	s_waitcnt vmcnt(0)
	v_cmpx_eq_u32_e64 v39, v40
	s_cbranch_execz .LBB487_83
; %bb.77:
	v_add_co_u32 v37, vcc_lo, v37, 4
	v_add_co_ci_u32_e32 v38, vcc_lo, 0, v38, vcc_lo
	v_add_co_u32 v39, vcc_lo, v41, 4
	v_add_co_ci_u32_e32 v40, vcc_lo, 0, v42, vcc_lo
	s_add_u32 s4, s14, -1
	s_addc_u32 s5, s15, -1
	s_mov_b64 s[6:7], 0
	s_mov_b32 s25, 0
                                        ; implicit-def: $sgpr34
	s_set_inst_prefetch_distance 0x1
	s_branch .LBB487_80
	.p2align	6
.LBB487_78:                             ;   in Loop: Header=BB487_80 Depth=1
	global_load_b32 v41, v[39:40], off
	global_load_b32 v42, v[37:38], off
	v_add_co_u32 v37, vcc_lo, v37, 4
	v_add_co_ci_u32_e32 v38, vcc_lo, 0, v38, vcc_lo
	v_add_co_u32 v39, s0, v39, 4
	s_delay_alu instid0(VALU_DEP_1)
	v_add_co_ci_u32_e64 v40, s0, 0, v40, s0
	s_add_u32 s6, s6, 1
	s_addc_u32 s7, s7, 0
	s_and_not1_b32 s0, s34, exec_lo
	s_waitcnt vmcnt(0)
	v_cmp_ne_u32_e32 vcc_lo, v41, v42
	s_and_b32 s34, vcc_lo, exec_lo
	s_delay_alu instid0(SALU_CYCLE_1)
	s_or_b32 s34, s0, s34
.LBB487_79:                             ;   in Loop: Header=BB487_80 Depth=1
	v_dual_mov_b32 v42, s7 :: v_dual_mov_b32 v41, s6
	s_and_b32 s0, exec_lo, s34
	s_delay_alu instid0(SALU_CYCLE_1) | instskip(NEXT) | instid1(SALU_CYCLE_1)
	s_or_b32 s25, s0, s25
	s_and_not1_b32 exec_lo, exec_lo, s25
	s_cbranch_execz .LBB487_82
.LBB487_80:                             ; =>This Inner Loop Header: Depth=1
	s_or_b32 s34, s34, exec_lo
	s_cmp_eq_u64 s[4:5], s[6:7]
	s_cbranch_scc0 .LBB487_78
; %bb.81:                               ;   in Loop: Header=BB487_80 Depth=1
	s_mov_b64 s[6:7], s[14:15]
                                        ; implicit-def: $vgpr37_vgpr38
                                        ; implicit-def: $vgpr39_vgpr40
	s_branch .LBB487_79
.LBB487_82:
	s_set_inst_prefetch_distance 0x2
	s_or_b32 exec_lo, exec_lo, s25
	v_cmp_gt_i64_e32 vcc_lo, s[14:15], v[41:42]
	s_or_not1_b32 s25, vcc_lo, exec_lo
.LBB487_83:
	s_or_b32 exec_lo, exec_lo, s27
.LBB487_84:
	v_mul_lo_u32 v39, v26, s14
	v_mul_lo_u32 v40, v25, s15
	v_mad_u64_u32 v[37:38], null, v25, s14, 0
	s_mov_b32 s27, 0
	s_and_not1_b32 vcc_lo, exec_lo, s13
	s_mov_b32 s34, 0
	s_delay_alu instid0(VALU_DEP_1) | instskip(NEXT) | instid1(VALU_DEP_1)
	v_add3_u32 v38, v38, v40, v39
	v_lshlrev_b64 v[39:40], 2, v[37:38]
	s_cbranch_vccnz .LBB487_93
; %bb.85:
	s_delay_alu instid0(VALU_DEP_1) | instskip(NEXT) | instid1(VALU_DEP_2)
	v_add_co_u32 v37, vcc_lo, s20, v39
	v_add_co_ci_u32_e32 v38, vcc_lo, s21, v40, vcc_lo
	v_add_co_u32 v35, vcc_lo, s20, v35
	v_add_co_ci_u32_e32 v36, vcc_lo, s21, v36, vcc_lo
	s_mov_b32 s34, -1
	s_clause 0x1
	global_load_b32 v41, v[37:38], off
	global_load_b32 v42, v[35:36], off
	s_mov_b32 s35, exec_lo
	s_waitcnt vmcnt(0)
	v_cmpx_eq_u32_e64 v41, v42
	s_cbranch_execz .LBB487_92
; %bb.86:
	v_add_co_u32 v35, vcc_lo, v35, 4
	v_add_co_ci_u32_e32 v36, vcc_lo, 0, v36, vcc_lo
	v_add_co_u32 v37, vcc_lo, v37, 4
	v_add_co_ci_u32_e32 v38, vcc_lo, 0, v38, vcc_lo
	s_add_u32 s4, s14, -1
	s_addc_u32 s5, s15, -1
	s_mov_b64 s[6:7], 0
	s_mov_b32 s34, 0
                                        ; implicit-def: $sgpr36
	s_set_inst_prefetch_distance 0x1
	s_branch .LBB487_89
	.p2align	6
.LBB487_87:                             ;   in Loop: Header=BB487_89 Depth=1
	global_load_b32 v41, v[37:38], off
	global_load_b32 v42, v[35:36], off
	v_add_co_u32 v35, vcc_lo, v35, 4
	v_add_co_ci_u32_e32 v36, vcc_lo, 0, v36, vcc_lo
	v_add_co_u32 v37, s0, v37, 4
	s_delay_alu instid0(VALU_DEP_1)
	v_add_co_ci_u32_e64 v38, s0, 0, v38, s0
	s_add_u32 s6, s6, 1
	s_addc_u32 s7, s7, 0
	s_and_not1_b32 s0, s36, exec_lo
	s_waitcnt vmcnt(0)
	v_cmp_ne_u32_e32 vcc_lo, v41, v42
	s_and_b32 s36, vcc_lo, exec_lo
	s_delay_alu instid0(SALU_CYCLE_1)
	s_or_b32 s36, s0, s36
.LBB487_88:                             ;   in Loop: Header=BB487_89 Depth=1
	v_dual_mov_b32 v42, s7 :: v_dual_mov_b32 v41, s6
	s_and_b32 s0, exec_lo, s36
	s_delay_alu instid0(SALU_CYCLE_1) | instskip(NEXT) | instid1(SALU_CYCLE_1)
	s_or_b32 s34, s0, s34
	s_and_not1_b32 exec_lo, exec_lo, s34
	s_cbranch_execz .LBB487_91
.LBB487_89:                             ; =>This Inner Loop Header: Depth=1
	s_or_b32 s36, s36, exec_lo
	s_cmp_eq_u64 s[4:5], s[6:7]
	s_cbranch_scc0 .LBB487_87
; %bb.90:                               ;   in Loop: Header=BB487_89 Depth=1
	s_mov_b64 s[6:7], s[14:15]
                                        ; implicit-def: $vgpr35_vgpr36
                                        ; implicit-def: $vgpr37_vgpr38
	s_branch .LBB487_88
.LBB487_91:
	s_set_inst_prefetch_distance 0x2
	s_or_b32 exec_lo, exec_lo, s34
	v_cmp_gt_i64_e32 vcc_lo, s[14:15], v[41:42]
	s_or_not1_b32 s34, vcc_lo, exec_lo
.LBB487_92:
	s_or_b32 exec_lo, exec_lo, s35
.LBB487_93:
	v_mul_lo_u32 v37, v32, s14
	v_mul_lo_u32 v38, v31, s15
	v_mad_u64_u32 v[35:36], null, v31, s14, 0
	s_and_not1_b32 vcc_lo, exec_lo, s13
	s_delay_alu instid0(VALU_DEP_1) | instskip(NEXT) | instid1(VALU_DEP_1)
	v_add3_u32 v36, v36, v38, v37
	v_lshlrev_b64 v[37:38], 2, v[35:36]
	s_cbranch_vccnz .LBB487_102
; %bb.94:
	s_delay_alu instid0(VALU_DEP_1) | instskip(NEXT) | instid1(VALU_DEP_2)
	v_add_co_u32 v41, vcc_lo, s20, v37
	v_add_co_ci_u32_e32 v42, vcc_lo, s21, v38, vcc_lo
	v_add_co_u32 v35, vcc_lo, s20, v39
	v_add_co_ci_u32_e32 v36, vcc_lo, s21, v40, vcc_lo
	s_mov_b32 s27, -1
	s_clause 0x1
	global_load_b32 v39, v[41:42], off
	global_load_b32 v40, v[35:36], off
	s_mov_b32 s35, exec_lo
	s_waitcnt vmcnt(0)
	v_cmpx_eq_u32_e64 v39, v40
	s_cbranch_execz .LBB487_101
; %bb.95:
	v_add_co_u32 v35, vcc_lo, v35, 4
	v_add_co_ci_u32_e32 v36, vcc_lo, 0, v36, vcc_lo
	v_add_co_u32 v39, vcc_lo, v41, 4
	v_add_co_ci_u32_e32 v40, vcc_lo, 0, v42, vcc_lo
	s_add_u32 s4, s14, -1
	s_addc_u32 s5, s15, -1
	s_mov_b64 s[6:7], 0
	s_mov_b32 s27, 0
                                        ; implicit-def: $sgpr36
	s_set_inst_prefetch_distance 0x1
	s_branch .LBB487_98
	.p2align	6
.LBB487_96:                             ;   in Loop: Header=BB487_98 Depth=1
	global_load_b32 v41, v[39:40], off
	global_load_b32 v42, v[35:36], off
	v_add_co_u32 v35, vcc_lo, v35, 4
	v_add_co_ci_u32_e32 v36, vcc_lo, 0, v36, vcc_lo
	v_add_co_u32 v39, s0, v39, 4
	s_delay_alu instid0(VALU_DEP_1)
	v_add_co_ci_u32_e64 v40, s0, 0, v40, s0
	s_add_u32 s6, s6, 1
	s_addc_u32 s7, s7, 0
	s_and_not1_b32 s0, s36, exec_lo
	s_waitcnt vmcnt(0)
	v_cmp_ne_u32_e32 vcc_lo, v41, v42
	s_and_b32 s36, vcc_lo, exec_lo
	s_delay_alu instid0(SALU_CYCLE_1)
	s_or_b32 s36, s0, s36
.LBB487_97:                             ;   in Loop: Header=BB487_98 Depth=1
	v_dual_mov_b32 v42, s7 :: v_dual_mov_b32 v41, s6
	s_and_b32 s0, exec_lo, s36
	s_delay_alu instid0(SALU_CYCLE_1) | instskip(NEXT) | instid1(SALU_CYCLE_1)
	s_or_b32 s27, s0, s27
	s_and_not1_b32 exec_lo, exec_lo, s27
	s_cbranch_execz .LBB487_100
.LBB487_98:                             ; =>This Inner Loop Header: Depth=1
	s_or_b32 s36, s36, exec_lo
	s_cmp_eq_u64 s[4:5], s[6:7]
	s_cbranch_scc0 .LBB487_96
; %bb.99:                               ;   in Loop: Header=BB487_98 Depth=1
	s_mov_b64 s[6:7], s[14:15]
                                        ; implicit-def: $vgpr35_vgpr36
                                        ; implicit-def: $vgpr39_vgpr40
	s_branch .LBB487_97
.LBB487_100:
	s_set_inst_prefetch_distance 0x2
	s_or_b32 exec_lo, exec_lo, s27
	v_cmp_gt_i64_e32 vcc_lo, s[14:15], v[41:42]
	s_or_not1_b32 s27, vcc_lo, exec_lo
.LBB487_101:
	s_or_b32 exec_lo, exec_lo, s35
.LBB487_102:
	v_mul_lo_u32 v39, v30, s14
	v_mul_lo_u32 v40, v29, s15
	v_mad_u64_u32 v[35:36], null, v29, s14, 0
	s_and_not1_b32 vcc_lo, exec_lo, s13
	s_mov_b32 s0, 0
	s_delay_alu instid0(VALU_DEP_1) | instskip(NEXT) | instid1(VALU_DEP_1)
	v_add3_u32 v36, v36, v40, v39
	v_lshlrev_b64 v[35:36], 2, v[35:36]
	s_cbranch_vccnz .LBB487_111
; %bb.103:
	s_delay_alu instid0(VALU_DEP_1) | instskip(NEXT) | instid1(VALU_DEP_2)
	v_add_co_u32 v39, vcc_lo, s20, v35
	v_add_co_ci_u32_e32 v40, vcc_lo, s21, v36, vcc_lo
	v_add_co_u32 v37, vcc_lo, s20, v37
	v_add_co_ci_u32_e32 v38, vcc_lo, s21, v38, vcc_lo
	s_mov_b32 s0, -1
	s_clause 0x1
	global_load_b32 v41, v[39:40], off
	global_load_b32 v42, v[37:38], off
	s_mov_b32 s35, exec_lo
	s_waitcnt vmcnt(0)
	v_cmpx_eq_u32_e64 v41, v42
	s_cbranch_execz .LBB487_110
; %bb.104:
	v_add_co_u32 v37, vcc_lo, v37, 4
	v_add_co_ci_u32_e32 v38, vcc_lo, 0, v38, vcc_lo
	v_add_co_u32 v39, vcc_lo, v39, 4
	v_add_co_ci_u32_e32 v40, vcc_lo, 0, v40, vcc_lo
	s_add_u32 s4, s14, -1
	s_addc_u32 s5, s15, -1
	s_mov_b64 s[6:7], 0
	s_mov_b32 s36, 0
                                        ; implicit-def: $sgpr37
	s_set_inst_prefetch_distance 0x1
	s_branch .LBB487_107
	.p2align	6
.LBB487_105:                            ;   in Loop: Header=BB487_107 Depth=1
	global_load_b32 v41, v[39:40], off
	global_load_b32 v42, v[37:38], off
	v_add_co_u32 v37, vcc_lo, v37, 4
	v_add_co_ci_u32_e32 v38, vcc_lo, 0, v38, vcc_lo
	v_add_co_u32 v39, s0, v39, 4
	s_delay_alu instid0(VALU_DEP_1)
	v_add_co_ci_u32_e64 v40, s0, 0, v40, s0
	s_add_u32 s6, s6, 1
	s_addc_u32 s7, s7, 0
	s_and_not1_b32 s0, s37, exec_lo
	s_waitcnt vmcnt(0)
	v_cmp_ne_u32_e32 vcc_lo, v41, v42
	s_and_b32 s37, vcc_lo, exec_lo
	s_delay_alu instid0(SALU_CYCLE_1)
	s_or_b32 s37, s0, s37
.LBB487_106:                            ;   in Loop: Header=BB487_107 Depth=1
	v_dual_mov_b32 v42, s7 :: v_dual_mov_b32 v41, s6
	s_and_b32 s0, exec_lo, s37
	s_delay_alu instid0(SALU_CYCLE_1) | instskip(NEXT) | instid1(SALU_CYCLE_1)
	s_or_b32 s36, s0, s36
	s_and_not1_b32 exec_lo, exec_lo, s36
	s_cbranch_execz .LBB487_109
.LBB487_107:                            ; =>This Inner Loop Header: Depth=1
	s_or_b32 s37, s37, exec_lo
	s_cmp_eq_u64 s[4:5], s[6:7]
	s_cbranch_scc0 .LBB487_105
; %bb.108:                              ;   in Loop: Header=BB487_107 Depth=1
	s_mov_b64 s[6:7], s[14:15]
                                        ; implicit-def: $vgpr37_vgpr38
                                        ; implicit-def: $vgpr39_vgpr40
	s_branch .LBB487_106
.LBB487_109:
	s_set_inst_prefetch_distance 0x2
	s_or_b32 exec_lo, exec_lo, s36
	v_cmp_gt_i64_e32 vcc_lo, s[14:15], v[41:42]
	s_or_not1_b32 s0, vcc_lo, exec_lo
.LBB487_110:
	s_or_b32 exec_lo, exec_lo, s35
.LBB487_111:
	s_waitcnt vmcnt(0)
	v_dual_mov_b32 v38, v34 :: v_dual_mov_b32 v37, v33
	s_waitcnt lgkmcnt(0)
	s_barrier
	buffer_gl0_inv
	s_and_saveexec_b32 s4, s3
	s_cbranch_execz .LBB487_113
; %bb.112:
	v_add_nc_u32_e32 v37, -8, v55
	ds_load_b64 v[37:38], v37
.LBB487_113:
	s_or_b32 exec_lo, exec_lo, s4
	v_cndmask_b32_e64 v40, 0, 1, s34
	v_cndmask_b32_e64 v42, 0, 1, s26
	;; [unrolled: 1-line block ×7, first 2 shown]
	v_lshlrev_b16 v40, 8, v40
	v_lshlrev_b16 v42, 8, v42
	;; [unrolled: 1-line block ×4, first 2 shown]
	s_mov_b32 s1, 0
	v_or_b32_e32 v39, v39, v40
	v_or_b32_e32 v40, v41, v42
	;; [unrolled: 1-line block ×3, first 2 shown]
	v_and_b32_e32 v41, 0xffff, v45
	s_and_not1_b32 vcc_lo, exec_lo, s13
	v_lshlrev_b32_e32 v42, 16, v39
	v_and_b32_e32 v44, 0xffff, v40
	v_lshlrev_b32_e32 v45, 16, v46
	s_mov_b32 s0, 0
	s_cbranch_vccnz .LBB487_122
; %bb.114:
	s_waitcnt lgkmcnt(0)
	v_mul_lo_u32 v40, v38, s14
	v_mul_lo_u32 v46, v37, s15
	v_mad_u64_u32 v[38:39], null, v37, s14, 0
	s_mov_b32 s0, -1
	s_mov_b32 s24, exec_lo
	s_delay_alu instid0(VALU_DEP_1) | instskip(NEXT) | instid1(VALU_DEP_1)
	v_add3_u32 v39, v39, v46, v40
	v_lshlrev_b64 v[37:38], 2, v[38:39]
	s_delay_alu instid0(VALU_DEP_1) | instskip(NEXT) | instid1(VALU_DEP_2)
	v_add_co_u32 v37, vcc_lo, s20, v37
	v_add_co_ci_u32_e32 v38, vcc_lo, s21, v38, vcc_lo
	v_add_co_u32 v35, vcc_lo, s20, v35
	v_add_co_ci_u32_e32 v36, vcc_lo, s21, v36, vcc_lo
	s_clause 0x1
	global_load_b32 v39, v[37:38], off
	global_load_b32 v40, v[35:36], off
	s_waitcnt vmcnt(0)
	v_cmpx_eq_u32_e64 v39, v40
	s_cbranch_execz .LBB487_121
; %bb.115:
	v_add_co_u32 v35, vcc_lo, v35, 4
	v_add_co_ci_u32_e32 v36, vcc_lo, 0, v36, vcc_lo
	v_add_co_u32 v37, vcc_lo, v37, 4
	v_add_co_ci_u32_e32 v38, vcc_lo, 0, v38, vcc_lo
	s_add_u32 s4, s14, -1
	s_addc_u32 s5, s15, -1
	s_mov_b64 s[6:7], 0
	s_mov_b32 s25, 0
                                        ; implicit-def: $sgpr26
	s_set_inst_prefetch_distance 0x1
	s_branch .LBB487_118
	.p2align	6
.LBB487_116:                            ;   in Loop: Header=BB487_118 Depth=1
	global_load_b32 v39, v[37:38], off
	global_load_b32 v40, v[35:36], off
	v_add_co_u32 v35, vcc_lo, v35, 4
	v_add_co_ci_u32_e32 v36, vcc_lo, 0, v36, vcc_lo
	v_add_co_u32 v37, s0, v37, 4
	s_delay_alu instid0(VALU_DEP_1)
	v_add_co_ci_u32_e64 v38, s0, 0, v38, s0
	s_add_u32 s6, s6, 1
	s_addc_u32 s7, s7, 0
	s_and_not1_b32 s0, s26, exec_lo
	s_waitcnt vmcnt(0)
	v_cmp_ne_u32_e32 vcc_lo, v39, v40
	s_and_b32 s26, vcc_lo, exec_lo
	s_delay_alu instid0(SALU_CYCLE_1)
	s_or_b32 s26, s0, s26
.LBB487_117:                            ;   in Loop: Header=BB487_118 Depth=1
	v_dual_mov_b32 v40, s7 :: v_dual_mov_b32 v39, s6
	s_and_b32 s0, exec_lo, s26
	s_delay_alu instid0(SALU_CYCLE_1) | instskip(NEXT) | instid1(SALU_CYCLE_1)
	s_or_b32 s25, s0, s25
	s_and_not1_b32 exec_lo, exec_lo, s25
	s_cbranch_execz .LBB487_120
.LBB487_118:                            ; =>This Inner Loop Header: Depth=1
	s_or_b32 s26, s26, exec_lo
	s_cmp_eq_u64 s[4:5], s[6:7]
	s_cbranch_scc0 .LBB487_116
; %bb.119:                              ;   in Loop: Header=BB487_118 Depth=1
	s_mov_b64 s[6:7], s[14:15]
                                        ; implicit-def: $vgpr35_vgpr36
                                        ; implicit-def: $vgpr37_vgpr38
	s_branch .LBB487_117
.LBB487_120:
	s_set_inst_prefetch_distance 0x2
	s_or_b32 exec_lo, exec_lo, s25
	v_cmp_gt_i64_e32 vcc_lo, s[14:15], v[39:40]
	s_or_not1_b32 s0, vcc_lo, exec_lo
.LBB487_121:
	s_or_b32 exec_lo, exec_lo, s24
.LBB487_122:
	v_or_b32_e32 v35, v41, v42
	s_delay_alu instid0(VALU_DEP_2)
	v_or_b32_e32 v36, v44, v45
	s_and_b32 vcc_lo, exec_lo, s1
	s_cbranch_vccz .LBB487_214
.LBB487_123:
	v_or_b32_e32 v35, 7, v55
	s_mov_b32 s1, 0
	s_mov_b32 s24, 0
	s_mov_b32 s25, exec_lo
	s_delay_alu instid0(VALU_DEP_1)
	v_cmpx_gt_u32_e64 s31, v35
	s_cbranch_execz .LBB487_134
; %bb.124:
	s_and_not1_b32 vcc_lo, exec_lo, s13
	s_mov_b32 s0, 0
	s_cbranch_vccnz .LBB487_133
; %bb.125:
	v_mul_lo_u32 v39, v18, s14
	v_mul_lo_u32 v40, v17, s15
	v_mad_u64_u32 v[35:36], null, v17, s14, 0
	v_mul_lo_u32 v41, v20, s14
	v_mul_lo_u32 v42, v19, s15
	s_waitcnt lgkmcnt(0)
	v_mad_u64_u32 v[37:38], null, v19, s14, 0
	s_mov_b32 s0, -1
	s_mov_b32 s13, exec_lo
	s_delay_alu instid0(VALU_DEP_4) | instskip(NEXT) | instid1(VALU_DEP_2)
	v_add3_u32 v36, v36, v40, v39
	v_add3_u32 v38, v38, v42, v41
	s_delay_alu instid0(VALU_DEP_2) | instskip(NEXT) | instid1(VALU_DEP_2)
	v_lshlrev_b64 v[35:36], 2, v[35:36]
	v_lshlrev_b64 v[39:40], 2, v[37:38]
	s_delay_alu instid0(VALU_DEP_2) | instskip(NEXT) | instid1(VALU_DEP_3)
	v_add_co_u32 v37, vcc_lo, s20, v35
	v_add_co_ci_u32_e32 v38, vcc_lo, s21, v36, vcc_lo
	s_delay_alu instid0(VALU_DEP_3) | instskip(NEXT) | instid1(VALU_DEP_4)
	v_add_co_u32 v35, vcc_lo, s20, v39
	v_add_co_ci_u32_e32 v36, vcc_lo, s21, v40, vcc_lo
	s_clause 0x1
	global_load_b32 v39, v[37:38], off
	global_load_b32 v40, v[35:36], off
	s_waitcnt vmcnt(0)
	v_cmpx_eq_u32_e64 v39, v40
	s_cbranch_execz .LBB487_132
; %bb.126:
	v_add_co_u32 v35, vcc_lo, v35, 4
	v_add_co_ci_u32_e32 v36, vcc_lo, 0, v36, vcc_lo
	v_add_co_u32 v37, vcc_lo, v37, 4
	v_add_co_ci_u32_e32 v38, vcc_lo, 0, v38, vcc_lo
	s_add_u32 s4, s14, -1
	s_addc_u32 s5, s15, -1
	s_mov_b64 s[6:7], 0
                                        ; implicit-def: $sgpr26
	s_set_inst_prefetch_distance 0x1
	s_branch .LBB487_129
	.p2align	6
.LBB487_127:                            ;   in Loop: Header=BB487_129 Depth=1
	global_load_b32 v39, v[37:38], off
	global_load_b32 v40, v[35:36], off
	v_add_co_u32 v35, vcc_lo, v35, 4
	v_add_co_ci_u32_e32 v36, vcc_lo, 0, v36, vcc_lo
	v_add_co_u32 v37, s0, v37, 4
	s_delay_alu instid0(VALU_DEP_1)
	v_add_co_ci_u32_e64 v38, s0, 0, v38, s0
	s_add_u32 s6, s6, 1
	s_addc_u32 s7, s7, 0
	s_and_not1_b32 s0, s26, exec_lo
	s_waitcnt vmcnt(0)
	v_cmp_ne_u32_e32 vcc_lo, v39, v40
	s_and_b32 s26, vcc_lo, exec_lo
	s_delay_alu instid0(SALU_CYCLE_1)
	s_or_b32 s26, s0, s26
.LBB487_128:                            ;   in Loop: Header=BB487_129 Depth=1
	v_dual_mov_b32 v40, s7 :: v_dual_mov_b32 v39, s6
	s_and_b32 s0, exec_lo, s26
	s_delay_alu instid0(SALU_CYCLE_1) | instskip(NEXT) | instid1(SALU_CYCLE_1)
	s_or_b32 s24, s0, s24
	s_and_not1_b32 exec_lo, exec_lo, s24
	s_cbranch_execz .LBB487_131
.LBB487_129:                            ; =>This Inner Loop Header: Depth=1
	s_or_b32 s26, s26, exec_lo
	s_cmp_eq_u64 s[4:5], s[6:7]
	s_cbranch_scc0 .LBB487_127
; %bb.130:                              ;   in Loop: Header=BB487_129 Depth=1
	s_mov_b64 s[6:7], s[14:15]
                                        ; implicit-def: $vgpr35_vgpr36
                                        ; implicit-def: $vgpr37_vgpr38
	s_branch .LBB487_128
.LBB487_131:
	s_set_inst_prefetch_distance 0x2
	s_or_b32 exec_lo, exec_lo, s24
	v_cmp_gt_i64_e32 vcc_lo, s[14:15], v[39:40]
	s_or_not1_b32 s0, vcc_lo, exec_lo
.LBB487_132:
	s_or_b32 exec_lo, exec_lo, s13
.LBB487_133:
	s_delay_alu instid0(SALU_CYCLE_1)
	s_and_b32 s24, s0, exec_lo
.LBB487_134:
	s_or_b32 exec_lo, exec_lo, s25
	v_or_b32_e32 v35, 6, v55
	s_mov_b32 s13, exec_lo
	s_delay_alu instid0(VALU_DEP_1)
	v_cmpx_gt_u32_e64 s31, v35
	s_cbranch_execz .LBB487_145
; %bb.135:
	v_cmp_ne_u32_e32 vcc_lo, 1, v43
	s_mov_b32 s0, 0
	s_cbranch_vccnz .LBB487_144
; %bb.136:
	v_mul_lo_u32 v39, v24, s14
	v_mul_lo_u32 v40, v23, s15
	v_mad_u64_u32 v[35:36], null, v23, s14, 0
	v_mul_lo_u32 v41, v18, s14
	v_mul_lo_u32 v42, v17, s15
	s_waitcnt lgkmcnt(0)
	v_mad_u64_u32 v[37:38], null, v17, s14, 0
	s_mov_b32 s0, -1
	s_mov_b32 s1, exec_lo
	s_delay_alu instid0(VALU_DEP_4) | instskip(NEXT) | instid1(VALU_DEP_2)
	v_add3_u32 v36, v36, v40, v39
	v_add3_u32 v38, v38, v42, v41
	s_delay_alu instid0(VALU_DEP_2) | instskip(NEXT) | instid1(VALU_DEP_2)
	v_lshlrev_b64 v[35:36], 2, v[35:36]
	v_lshlrev_b64 v[39:40], 2, v[37:38]
	s_delay_alu instid0(VALU_DEP_2) | instskip(NEXT) | instid1(VALU_DEP_3)
	v_add_co_u32 v37, vcc_lo, s20, v35
	v_add_co_ci_u32_e32 v38, vcc_lo, s21, v36, vcc_lo
	s_delay_alu instid0(VALU_DEP_3) | instskip(NEXT) | instid1(VALU_DEP_4)
	v_add_co_u32 v35, vcc_lo, s20, v39
	v_add_co_ci_u32_e32 v36, vcc_lo, s21, v40, vcc_lo
	s_clause 0x1
	global_load_b32 v39, v[37:38], off
	global_load_b32 v40, v[35:36], off
	s_waitcnt vmcnt(0)
	v_cmpx_eq_u32_e64 v39, v40
	s_cbranch_execz .LBB487_143
; %bb.137:
	v_add_co_u32 v35, vcc_lo, v35, 4
	v_add_co_ci_u32_e32 v36, vcc_lo, 0, v36, vcc_lo
	v_add_co_u32 v37, vcc_lo, v37, 4
	v_add_co_ci_u32_e32 v38, vcc_lo, 0, v38, vcc_lo
	s_add_u32 s4, s14, -1
	s_addc_u32 s5, s15, -1
	s_mov_b64 s[6:7], 0
	s_mov_b32 s25, 0
                                        ; implicit-def: $sgpr26
	s_set_inst_prefetch_distance 0x1
	s_branch .LBB487_140
	.p2align	6
.LBB487_138:                            ;   in Loop: Header=BB487_140 Depth=1
	global_load_b32 v39, v[37:38], off
	global_load_b32 v40, v[35:36], off
	v_add_co_u32 v35, vcc_lo, v35, 4
	v_add_co_ci_u32_e32 v36, vcc_lo, 0, v36, vcc_lo
	v_add_co_u32 v37, s0, v37, 4
	s_delay_alu instid0(VALU_DEP_1)
	v_add_co_ci_u32_e64 v38, s0, 0, v38, s0
	s_add_u32 s6, s6, 1
	s_addc_u32 s7, s7, 0
	s_and_not1_b32 s0, s26, exec_lo
	s_waitcnt vmcnt(0)
	v_cmp_ne_u32_e32 vcc_lo, v39, v40
	s_and_b32 s26, vcc_lo, exec_lo
	s_delay_alu instid0(SALU_CYCLE_1)
	s_or_b32 s26, s0, s26
.LBB487_139:                            ;   in Loop: Header=BB487_140 Depth=1
	v_dual_mov_b32 v40, s7 :: v_dual_mov_b32 v39, s6
	s_and_b32 s0, exec_lo, s26
	s_delay_alu instid0(SALU_CYCLE_1) | instskip(NEXT) | instid1(SALU_CYCLE_1)
	s_or_b32 s25, s0, s25
	s_and_not1_b32 exec_lo, exec_lo, s25
	s_cbranch_execz .LBB487_142
.LBB487_140:                            ; =>This Inner Loop Header: Depth=1
	s_or_b32 s26, s26, exec_lo
	s_cmp_eq_u64 s[4:5], s[6:7]
	s_cbranch_scc0 .LBB487_138
; %bb.141:                              ;   in Loop: Header=BB487_140 Depth=1
	s_mov_b64 s[6:7], s[14:15]
                                        ; implicit-def: $vgpr35_vgpr36
                                        ; implicit-def: $vgpr37_vgpr38
	s_branch .LBB487_139
.LBB487_142:
	s_set_inst_prefetch_distance 0x2
	s_or_b32 exec_lo, exec_lo, s25
	v_cmp_gt_i64_e32 vcc_lo, s[14:15], v[39:40]
	s_or_not1_b32 s0, vcc_lo, exec_lo
.LBB487_143:
	s_or_b32 exec_lo, exec_lo, s1
.LBB487_144:
	s_delay_alu instid0(SALU_CYCLE_1)
	s_and_b32 s1, s0, exec_lo
.LBB487_145:
	s_or_b32 exec_lo, exec_lo, s13
	v_or_b32_e32 v35, 5, v55
	s_mov_b32 s25, 0
	s_mov_b32 s13, 0
	s_mov_b32 s26, exec_lo
	s_delay_alu instid0(VALU_DEP_1)
	v_cmpx_gt_u32_e64 s31, v35
	s_cbranch_execz .LBB487_156
; %bb.146:
	v_cmp_ne_u32_e32 vcc_lo, 1, v43
	s_mov_b32 s0, 0
	s_cbranch_vccnz .LBB487_155
; %bb.147:
	v_mul_lo_u32 v39, v22, s14
	v_mul_lo_u32 v40, v21, s15
	v_mad_u64_u32 v[35:36], null, v21, s14, 0
	v_mul_lo_u32 v41, v24, s14
	v_mul_lo_u32 v42, v23, s15
	s_waitcnt lgkmcnt(0)
	v_mad_u64_u32 v[37:38], null, v23, s14, 0
	s_mov_b32 s0, -1
	s_mov_b32 s13, exec_lo
	s_delay_alu instid0(VALU_DEP_4) | instskip(NEXT) | instid1(VALU_DEP_2)
	v_add3_u32 v36, v36, v40, v39
	v_add3_u32 v38, v38, v42, v41
	s_delay_alu instid0(VALU_DEP_2) | instskip(NEXT) | instid1(VALU_DEP_2)
	v_lshlrev_b64 v[35:36], 2, v[35:36]
	v_lshlrev_b64 v[39:40], 2, v[37:38]
	s_delay_alu instid0(VALU_DEP_2) | instskip(NEXT) | instid1(VALU_DEP_3)
	v_add_co_u32 v37, vcc_lo, s20, v35
	v_add_co_ci_u32_e32 v38, vcc_lo, s21, v36, vcc_lo
	s_delay_alu instid0(VALU_DEP_3) | instskip(NEXT) | instid1(VALU_DEP_4)
	v_add_co_u32 v35, vcc_lo, s20, v39
	v_add_co_ci_u32_e32 v36, vcc_lo, s21, v40, vcc_lo
	s_clause 0x1
	global_load_b32 v39, v[37:38], off
	global_load_b32 v40, v[35:36], off
	s_waitcnt vmcnt(0)
	v_cmpx_eq_u32_e64 v39, v40
	s_cbranch_execz .LBB487_154
; %bb.148:
	v_add_co_u32 v35, vcc_lo, v35, 4
	v_add_co_ci_u32_e32 v36, vcc_lo, 0, v36, vcc_lo
	v_add_co_u32 v37, vcc_lo, v37, 4
	v_add_co_ci_u32_e32 v38, vcc_lo, 0, v38, vcc_lo
	s_add_u32 s4, s14, -1
	s_addc_u32 s5, s15, -1
	s_mov_b64 s[6:7], 0
	s_mov_b32 s27, 0
                                        ; implicit-def: $sgpr34
	s_set_inst_prefetch_distance 0x1
	s_branch .LBB487_151
	.p2align	6
.LBB487_149:                            ;   in Loop: Header=BB487_151 Depth=1
	global_load_b32 v39, v[37:38], off
	global_load_b32 v40, v[35:36], off
	v_add_co_u32 v35, vcc_lo, v35, 4
	v_add_co_ci_u32_e32 v36, vcc_lo, 0, v36, vcc_lo
	v_add_co_u32 v37, s0, v37, 4
	s_delay_alu instid0(VALU_DEP_1)
	v_add_co_ci_u32_e64 v38, s0, 0, v38, s0
	s_add_u32 s6, s6, 1
	s_addc_u32 s7, s7, 0
	s_and_not1_b32 s0, s34, exec_lo
	s_waitcnt vmcnt(0)
	v_cmp_ne_u32_e32 vcc_lo, v39, v40
	s_and_b32 s34, vcc_lo, exec_lo
	s_delay_alu instid0(SALU_CYCLE_1)
	s_or_b32 s34, s0, s34
.LBB487_150:                            ;   in Loop: Header=BB487_151 Depth=1
	v_dual_mov_b32 v40, s7 :: v_dual_mov_b32 v39, s6
	s_and_b32 s0, exec_lo, s34
	s_delay_alu instid0(SALU_CYCLE_1) | instskip(NEXT) | instid1(SALU_CYCLE_1)
	s_or_b32 s27, s0, s27
	s_and_not1_b32 exec_lo, exec_lo, s27
	s_cbranch_execz .LBB487_153
.LBB487_151:                            ; =>This Inner Loop Header: Depth=1
	s_or_b32 s34, s34, exec_lo
	s_cmp_eq_u64 s[4:5], s[6:7]
	s_cbranch_scc0 .LBB487_149
; %bb.152:                              ;   in Loop: Header=BB487_151 Depth=1
	s_mov_b64 s[6:7], s[14:15]
                                        ; implicit-def: $vgpr35_vgpr36
                                        ; implicit-def: $vgpr37_vgpr38
	s_branch .LBB487_150
.LBB487_153:
	s_set_inst_prefetch_distance 0x2
	s_or_b32 exec_lo, exec_lo, s27
	v_cmp_gt_i64_e32 vcc_lo, s[14:15], v[39:40]
	s_or_not1_b32 s0, vcc_lo, exec_lo
.LBB487_154:
	s_or_b32 exec_lo, exec_lo, s13
.LBB487_155:
	s_delay_alu instid0(SALU_CYCLE_1)
	s_and_b32 s13, s0, exec_lo
.LBB487_156:
	s_or_b32 exec_lo, exec_lo, s26
	v_or_b32_e32 v35, 4, v55
	s_mov_b32 s26, exec_lo
	s_delay_alu instid0(VALU_DEP_1)
	v_cmpx_gt_u32_e64 s31, v35
	s_cbranch_execz .LBB487_167
; %bb.157:
	v_cmp_ne_u32_e32 vcc_lo, 1, v43
	s_mov_b32 s0, 0
	s_cbranch_vccnz .LBB487_166
; %bb.158:
	v_mul_lo_u32 v39, v28, s14
	v_mul_lo_u32 v40, v27, s15
	v_mad_u64_u32 v[35:36], null, v27, s14, 0
	v_mul_lo_u32 v41, v22, s14
	v_mul_lo_u32 v42, v21, s15
	s_waitcnt lgkmcnt(0)
	v_mad_u64_u32 v[37:38], null, v21, s14, 0
	s_mov_b32 s0, -1
	s_mov_b32 s25, exec_lo
	s_delay_alu instid0(VALU_DEP_4) | instskip(NEXT) | instid1(VALU_DEP_2)
	v_add3_u32 v36, v36, v40, v39
	v_add3_u32 v38, v38, v42, v41
	s_delay_alu instid0(VALU_DEP_2) | instskip(NEXT) | instid1(VALU_DEP_2)
	v_lshlrev_b64 v[35:36], 2, v[35:36]
	v_lshlrev_b64 v[39:40], 2, v[37:38]
	s_delay_alu instid0(VALU_DEP_2) | instskip(NEXT) | instid1(VALU_DEP_3)
	v_add_co_u32 v37, vcc_lo, s20, v35
	v_add_co_ci_u32_e32 v38, vcc_lo, s21, v36, vcc_lo
	s_delay_alu instid0(VALU_DEP_3) | instskip(NEXT) | instid1(VALU_DEP_4)
	v_add_co_u32 v35, vcc_lo, s20, v39
	v_add_co_ci_u32_e32 v36, vcc_lo, s21, v40, vcc_lo
	s_clause 0x1
	global_load_b32 v39, v[37:38], off
	global_load_b32 v40, v[35:36], off
	s_waitcnt vmcnt(0)
	v_cmpx_eq_u32_e64 v39, v40
	s_cbranch_execz .LBB487_165
; %bb.159:
	v_add_co_u32 v35, vcc_lo, v35, 4
	v_add_co_ci_u32_e32 v36, vcc_lo, 0, v36, vcc_lo
	v_add_co_u32 v37, vcc_lo, v37, 4
	v_add_co_ci_u32_e32 v38, vcc_lo, 0, v38, vcc_lo
	s_add_u32 s4, s14, -1
	s_addc_u32 s5, s15, -1
	s_mov_b64 s[6:7], 0
	s_mov_b32 s27, 0
                                        ; implicit-def: $sgpr34
	s_set_inst_prefetch_distance 0x1
	s_branch .LBB487_162
	.p2align	6
.LBB487_160:                            ;   in Loop: Header=BB487_162 Depth=1
	global_load_b32 v39, v[37:38], off
	global_load_b32 v40, v[35:36], off
	v_add_co_u32 v35, vcc_lo, v35, 4
	v_add_co_ci_u32_e32 v36, vcc_lo, 0, v36, vcc_lo
	v_add_co_u32 v37, s0, v37, 4
	s_delay_alu instid0(VALU_DEP_1)
	v_add_co_ci_u32_e64 v38, s0, 0, v38, s0
	s_add_u32 s6, s6, 1
	s_addc_u32 s7, s7, 0
	s_and_not1_b32 s0, s34, exec_lo
	s_waitcnt vmcnt(0)
	v_cmp_ne_u32_e32 vcc_lo, v39, v40
	s_and_b32 s34, vcc_lo, exec_lo
	s_delay_alu instid0(SALU_CYCLE_1)
	s_or_b32 s34, s0, s34
.LBB487_161:                            ;   in Loop: Header=BB487_162 Depth=1
	v_dual_mov_b32 v40, s7 :: v_dual_mov_b32 v39, s6
	s_and_b32 s0, exec_lo, s34
	s_delay_alu instid0(SALU_CYCLE_1) | instskip(NEXT) | instid1(SALU_CYCLE_1)
	s_or_b32 s27, s0, s27
	s_and_not1_b32 exec_lo, exec_lo, s27
	s_cbranch_execz .LBB487_164
.LBB487_162:                            ; =>This Inner Loop Header: Depth=1
	s_or_b32 s34, s34, exec_lo
	s_cmp_eq_u64 s[4:5], s[6:7]
	s_cbranch_scc0 .LBB487_160
; %bb.163:                              ;   in Loop: Header=BB487_162 Depth=1
	s_mov_b64 s[6:7], s[14:15]
                                        ; implicit-def: $vgpr35_vgpr36
                                        ; implicit-def: $vgpr37_vgpr38
	s_branch .LBB487_161
.LBB487_164:
	s_set_inst_prefetch_distance 0x2
	s_or_b32 exec_lo, exec_lo, s27
	v_cmp_gt_i64_e32 vcc_lo, s[14:15], v[39:40]
	s_or_not1_b32 s0, vcc_lo, exec_lo
.LBB487_165:
	s_or_b32 exec_lo, exec_lo, s25
.LBB487_166:
	s_delay_alu instid0(SALU_CYCLE_1)
	s_and_b32 s25, s0, exec_lo
.LBB487_167:
	s_or_b32 exec_lo, exec_lo, s26
	v_or_b32_e32 v35, 3, v55
	s_mov_b32 s27, 0
	s_mov_b32 s26, 0
	s_mov_b32 s34, exec_lo
	s_delay_alu instid0(VALU_DEP_1)
	v_cmpx_gt_u32_e64 s31, v35
	s_cbranch_execz .LBB487_178
; %bb.168:
	v_cmp_ne_u32_e32 vcc_lo, 1, v43
	s_mov_b32 s0, 0
	s_cbranch_vccnz .LBB487_177
; %bb.169:
	v_mul_lo_u32 v39, v26, s14
	v_mul_lo_u32 v40, v25, s15
	v_mad_u64_u32 v[35:36], null, v25, s14, 0
	v_mul_lo_u32 v41, v28, s14
	v_mul_lo_u32 v42, v27, s15
	s_waitcnt lgkmcnt(0)
	v_mad_u64_u32 v[37:38], null, v27, s14, 0
	s_mov_b32 s0, -1
	s_mov_b32 s26, exec_lo
	s_delay_alu instid0(VALU_DEP_4) | instskip(NEXT) | instid1(VALU_DEP_2)
	v_add3_u32 v36, v36, v40, v39
	v_add3_u32 v38, v38, v42, v41
	s_delay_alu instid0(VALU_DEP_2) | instskip(NEXT) | instid1(VALU_DEP_2)
	v_lshlrev_b64 v[35:36], 2, v[35:36]
	v_lshlrev_b64 v[39:40], 2, v[37:38]
	s_delay_alu instid0(VALU_DEP_2) | instskip(NEXT) | instid1(VALU_DEP_3)
	v_add_co_u32 v37, vcc_lo, s20, v35
	v_add_co_ci_u32_e32 v38, vcc_lo, s21, v36, vcc_lo
	s_delay_alu instid0(VALU_DEP_3) | instskip(NEXT) | instid1(VALU_DEP_4)
	v_add_co_u32 v35, vcc_lo, s20, v39
	v_add_co_ci_u32_e32 v36, vcc_lo, s21, v40, vcc_lo
	s_clause 0x1
	global_load_b32 v39, v[37:38], off
	global_load_b32 v40, v[35:36], off
	s_waitcnt vmcnt(0)
	v_cmpx_eq_u32_e64 v39, v40
	s_cbranch_execz .LBB487_176
; %bb.170:
	v_add_co_u32 v35, vcc_lo, v35, 4
	v_add_co_ci_u32_e32 v36, vcc_lo, 0, v36, vcc_lo
	v_add_co_u32 v37, vcc_lo, v37, 4
	v_add_co_ci_u32_e32 v38, vcc_lo, 0, v38, vcc_lo
	s_add_u32 s4, s14, -1
	s_addc_u32 s5, s15, -1
	s_mov_b64 s[6:7], 0
	s_mov_b32 s35, 0
                                        ; implicit-def: $sgpr36
	s_set_inst_prefetch_distance 0x1
	s_branch .LBB487_173
	.p2align	6
.LBB487_171:                            ;   in Loop: Header=BB487_173 Depth=1
	global_load_b32 v39, v[37:38], off
	global_load_b32 v40, v[35:36], off
	v_add_co_u32 v35, vcc_lo, v35, 4
	v_add_co_ci_u32_e32 v36, vcc_lo, 0, v36, vcc_lo
	v_add_co_u32 v37, s0, v37, 4
	s_delay_alu instid0(VALU_DEP_1)
	v_add_co_ci_u32_e64 v38, s0, 0, v38, s0
	s_add_u32 s6, s6, 1
	s_addc_u32 s7, s7, 0
	s_and_not1_b32 s0, s36, exec_lo
	s_waitcnt vmcnt(0)
	v_cmp_ne_u32_e32 vcc_lo, v39, v40
	s_and_b32 s36, vcc_lo, exec_lo
	s_delay_alu instid0(SALU_CYCLE_1)
	s_or_b32 s36, s0, s36
.LBB487_172:                            ;   in Loop: Header=BB487_173 Depth=1
	v_dual_mov_b32 v40, s7 :: v_dual_mov_b32 v39, s6
	s_and_b32 s0, exec_lo, s36
	s_delay_alu instid0(SALU_CYCLE_1) | instskip(NEXT) | instid1(SALU_CYCLE_1)
	s_or_b32 s35, s0, s35
	s_and_not1_b32 exec_lo, exec_lo, s35
	s_cbranch_execz .LBB487_175
.LBB487_173:                            ; =>This Inner Loop Header: Depth=1
	s_or_b32 s36, s36, exec_lo
	s_cmp_eq_u64 s[4:5], s[6:7]
	s_cbranch_scc0 .LBB487_171
; %bb.174:                              ;   in Loop: Header=BB487_173 Depth=1
	s_mov_b64 s[6:7], s[14:15]
                                        ; implicit-def: $vgpr35_vgpr36
                                        ; implicit-def: $vgpr37_vgpr38
	s_branch .LBB487_172
.LBB487_175:
	s_set_inst_prefetch_distance 0x2
	s_or_b32 exec_lo, exec_lo, s35
	v_cmp_gt_i64_e32 vcc_lo, s[14:15], v[39:40]
	s_or_not1_b32 s0, vcc_lo, exec_lo
.LBB487_176:
	s_or_b32 exec_lo, exec_lo, s26
.LBB487_177:
	s_delay_alu instid0(SALU_CYCLE_1)
	s_and_b32 s26, s0, exec_lo
.LBB487_178:
	s_or_b32 exec_lo, exec_lo, s34
	v_or_b32_e32 v35, 2, v55
	s_mov_b32 s34, exec_lo
	s_delay_alu instid0(VALU_DEP_1)
	v_cmpx_gt_u32_e64 s31, v35
	s_cbranch_execz .LBB487_189
; %bb.179:
	v_cmp_ne_u32_e32 vcc_lo, 1, v43
	s_mov_b32 s0, 0
	s_cbranch_vccnz .LBB487_188
; %bb.180:
	v_mul_lo_u32 v39, v32, s14
	v_mul_lo_u32 v40, v31, s15
	v_mad_u64_u32 v[35:36], null, v31, s14, 0
	v_mul_lo_u32 v41, v26, s14
	v_mul_lo_u32 v42, v25, s15
	s_waitcnt lgkmcnt(0)
	v_mad_u64_u32 v[37:38], null, v25, s14, 0
	s_mov_b32 s0, -1
	s_mov_b32 s27, exec_lo
	s_delay_alu instid0(VALU_DEP_4) | instskip(NEXT) | instid1(VALU_DEP_2)
	v_add3_u32 v36, v36, v40, v39
	v_add3_u32 v38, v38, v42, v41
	s_delay_alu instid0(VALU_DEP_2) | instskip(NEXT) | instid1(VALU_DEP_2)
	v_lshlrev_b64 v[35:36], 2, v[35:36]
	v_lshlrev_b64 v[39:40], 2, v[37:38]
	s_delay_alu instid0(VALU_DEP_2) | instskip(NEXT) | instid1(VALU_DEP_3)
	v_add_co_u32 v37, vcc_lo, s20, v35
	v_add_co_ci_u32_e32 v38, vcc_lo, s21, v36, vcc_lo
	s_delay_alu instid0(VALU_DEP_3) | instskip(NEXT) | instid1(VALU_DEP_4)
	v_add_co_u32 v35, vcc_lo, s20, v39
	v_add_co_ci_u32_e32 v36, vcc_lo, s21, v40, vcc_lo
	s_clause 0x1
	global_load_b32 v39, v[37:38], off
	global_load_b32 v40, v[35:36], off
	s_waitcnt vmcnt(0)
	v_cmpx_eq_u32_e64 v39, v40
	s_cbranch_execz .LBB487_187
; %bb.181:
	v_add_co_u32 v35, vcc_lo, v35, 4
	v_add_co_ci_u32_e32 v36, vcc_lo, 0, v36, vcc_lo
	v_add_co_u32 v37, vcc_lo, v37, 4
	v_add_co_ci_u32_e32 v38, vcc_lo, 0, v38, vcc_lo
	s_add_u32 s4, s14, -1
	s_addc_u32 s5, s15, -1
	s_mov_b64 s[6:7], 0
	s_mov_b32 s35, 0
                                        ; implicit-def: $sgpr36
	s_set_inst_prefetch_distance 0x1
	s_branch .LBB487_184
	.p2align	6
.LBB487_182:                            ;   in Loop: Header=BB487_184 Depth=1
	global_load_b32 v39, v[37:38], off
	global_load_b32 v40, v[35:36], off
	v_add_co_u32 v35, vcc_lo, v35, 4
	v_add_co_ci_u32_e32 v36, vcc_lo, 0, v36, vcc_lo
	v_add_co_u32 v37, s0, v37, 4
	s_delay_alu instid0(VALU_DEP_1)
	v_add_co_ci_u32_e64 v38, s0, 0, v38, s0
	s_add_u32 s6, s6, 1
	s_addc_u32 s7, s7, 0
	s_and_not1_b32 s0, s36, exec_lo
	s_waitcnt vmcnt(0)
	v_cmp_ne_u32_e32 vcc_lo, v39, v40
	s_and_b32 s36, vcc_lo, exec_lo
	s_delay_alu instid0(SALU_CYCLE_1)
	s_or_b32 s36, s0, s36
.LBB487_183:                            ;   in Loop: Header=BB487_184 Depth=1
	v_dual_mov_b32 v40, s7 :: v_dual_mov_b32 v39, s6
	s_and_b32 s0, exec_lo, s36
	s_delay_alu instid0(SALU_CYCLE_1) | instskip(NEXT) | instid1(SALU_CYCLE_1)
	s_or_b32 s35, s0, s35
	s_and_not1_b32 exec_lo, exec_lo, s35
	s_cbranch_execz .LBB487_186
.LBB487_184:                            ; =>This Inner Loop Header: Depth=1
	s_or_b32 s36, s36, exec_lo
	s_cmp_eq_u64 s[4:5], s[6:7]
	s_cbranch_scc0 .LBB487_182
; %bb.185:                              ;   in Loop: Header=BB487_184 Depth=1
	s_mov_b64 s[6:7], s[14:15]
                                        ; implicit-def: $vgpr35_vgpr36
                                        ; implicit-def: $vgpr37_vgpr38
	s_branch .LBB487_183
.LBB487_186:
	s_set_inst_prefetch_distance 0x2
	s_or_b32 exec_lo, exec_lo, s35
	v_cmp_gt_i64_e32 vcc_lo, s[14:15], v[39:40]
	s_or_not1_b32 s0, vcc_lo, exec_lo
.LBB487_187:
	s_or_b32 exec_lo, exec_lo, s27
.LBB487_188:
	s_delay_alu instid0(SALU_CYCLE_1)
	s_and_b32 s27, s0, exec_lo
.LBB487_189:
	s_or_b32 exec_lo, exec_lo, s34
	v_or_b32_e32 v35, 1, v55
	s_mov_b32 s0, 0
	s_mov_b32 s34, exec_lo
	s_delay_alu instid0(VALU_DEP_1)
	v_cmpx_gt_u32_e64 s31, v35
	s_cbranch_execz .LBB487_200
; %bb.190:
	v_cmp_ne_u32_e32 vcc_lo, 1, v43
	s_cbranch_vccnz .LBB487_199
; %bb.191:
	v_mul_lo_u32 v39, v30, s14
	v_mul_lo_u32 v40, v29, s15
	v_mad_u64_u32 v[35:36], null, v29, s14, 0
	v_mul_lo_u32 v41, v32, s14
	v_mul_lo_u32 v42, v31, s15
	s_waitcnt lgkmcnt(0)
	v_mad_u64_u32 v[37:38], null, v31, s14, 0
	s_mov_b32 s0, -1
	s_mov_b32 s35, exec_lo
	s_delay_alu instid0(VALU_DEP_4) | instskip(NEXT) | instid1(VALU_DEP_2)
	v_add3_u32 v36, v36, v40, v39
	v_add3_u32 v38, v38, v42, v41
	s_delay_alu instid0(VALU_DEP_2) | instskip(NEXT) | instid1(VALU_DEP_2)
	v_lshlrev_b64 v[35:36], 2, v[35:36]
	v_lshlrev_b64 v[39:40], 2, v[37:38]
	s_delay_alu instid0(VALU_DEP_2) | instskip(NEXT) | instid1(VALU_DEP_3)
	v_add_co_u32 v37, vcc_lo, s20, v35
	v_add_co_ci_u32_e32 v38, vcc_lo, s21, v36, vcc_lo
	s_delay_alu instid0(VALU_DEP_3) | instskip(NEXT) | instid1(VALU_DEP_4)
	v_add_co_u32 v35, vcc_lo, s20, v39
	v_add_co_ci_u32_e32 v36, vcc_lo, s21, v40, vcc_lo
	s_clause 0x1
	global_load_b32 v39, v[37:38], off
	global_load_b32 v40, v[35:36], off
	s_waitcnt vmcnt(0)
	v_cmpx_eq_u32_e64 v39, v40
	s_cbranch_execz .LBB487_198
; %bb.192:
	v_add_co_u32 v35, vcc_lo, v35, 4
	v_add_co_ci_u32_e32 v36, vcc_lo, 0, v36, vcc_lo
	v_add_co_u32 v37, vcc_lo, v37, 4
	v_add_co_ci_u32_e32 v38, vcc_lo, 0, v38, vcc_lo
	s_add_u32 s4, s14, -1
	s_addc_u32 s5, s15, -1
	s_mov_b64 s[6:7], 0
	s_mov_b32 s36, 0
                                        ; implicit-def: $sgpr37
	s_set_inst_prefetch_distance 0x1
	s_branch .LBB487_195
	.p2align	6
.LBB487_193:                            ;   in Loop: Header=BB487_195 Depth=1
	global_load_b32 v39, v[37:38], off
	global_load_b32 v40, v[35:36], off
	v_add_co_u32 v35, vcc_lo, v35, 4
	v_add_co_ci_u32_e32 v36, vcc_lo, 0, v36, vcc_lo
	v_add_co_u32 v37, s0, v37, 4
	s_delay_alu instid0(VALU_DEP_1)
	v_add_co_ci_u32_e64 v38, s0, 0, v38, s0
	s_add_u32 s6, s6, 1
	s_addc_u32 s7, s7, 0
	s_and_not1_b32 s0, s37, exec_lo
	s_waitcnt vmcnt(0)
	v_cmp_ne_u32_e32 vcc_lo, v39, v40
	s_and_b32 s37, vcc_lo, exec_lo
	s_delay_alu instid0(SALU_CYCLE_1)
	s_or_b32 s37, s0, s37
.LBB487_194:                            ;   in Loop: Header=BB487_195 Depth=1
	v_dual_mov_b32 v40, s7 :: v_dual_mov_b32 v39, s6
	s_and_b32 s0, exec_lo, s37
	s_delay_alu instid0(SALU_CYCLE_1) | instskip(NEXT) | instid1(SALU_CYCLE_1)
	s_or_b32 s36, s0, s36
	s_and_not1_b32 exec_lo, exec_lo, s36
	s_cbranch_execz .LBB487_197
.LBB487_195:                            ; =>This Inner Loop Header: Depth=1
	s_or_b32 s37, s37, exec_lo
	s_cmp_eq_u64 s[4:5], s[6:7]
	s_cbranch_scc0 .LBB487_193
; %bb.196:                              ;   in Loop: Header=BB487_195 Depth=1
	s_mov_b64 s[6:7], s[14:15]
                                        ; implicit-def: $vgpr35_vgpr36
                                        ; implicit-def: $vgpr37_vgpr38
	s_branch .LBB487_194
.LBB487_197:
	s_set_inst_prefetch_distance 0x2
	s_or_b32 exec_lo, exec_lo, s36
	v_cmp_gt_i64_e32 vcc_lo, s[14:15], v[39:40]
	s_or_not1_b32 s0, vcc_lo, exec_lo
.LBB487_198:
	s_or_b32 exec_lo, exec_lo, s35
.LBB487_199:
	s_delay_alu instid0(SALU_CYCLE_1)
	s_and_b32 s0, s0, exec_lo
.LBB487_200:
	s_or_b32 exec_lo, exec_lo, s34
	s_waitcnt vmcnt(0) lgkmcnt(0)
	s_barrier
	buffer_gl0_inv
	s_and_saveexec_b32 s4, s3
	s_cbranch_execz .LBB487_202
; %bb.201:
	v_add_nc_u32_e32 v33, -8, v55
	ds_load_b64 v[33:34], v33
.LBB487_202:
	s_or_b32 exec_lo, exec_lo, s4
	v_cndmask_b32_e64 v36, 0, 1, s26
	v_cndmask_b32_e64 v38, 0, 1, s13
	;; [unrolled: 1-line block ×7, first 2 shown]
	v_lshlrev_b16 v36, 8, v36
	v_lshlrev_b16 v38, 8, v38
	;; [unrolled: 1-line block ×3, first 2 shown]
	s_mov_b32 s0, 0
	v_lshlrev_b16 v41, 8, v41
	v_or_b32_e32 v35, v35, v36
	v_or_b32_e32 v36, v37, v38
	;; [unrolled: 1-line block ×3, first 2 shown]
	s_mov_b32 s1, exec_lo
	v_and_b32_e32 v39, 0xffff, v41
	v_lshlrev_b32_e32 v40, 16, v35
	v_and_b32_e32 v41, 0xffff, v36
	v_lshlrev_b32_e32 v42, 16, v37
	v_cmpx_gt_u32_e64 s31, v55
	s_cbranch_execz .LBB487_213
; %bb.203:
	v_cmp_ne_u32_e32 vcc_lo, 1, v43
	s_cbranch_vccnz .LBB487_212
; %bb.204:
	s_waitcnt lgkmcnt(0)
	v_mul_lo_u32 v38, v34, s14
	v_mul_lo_u32 v43, v33, s15
	v_mad_u64_u32 v[34:35], null, v33, s14, 0
	v_mul_lo_u32 v33, v30, s14
	v_mul_lo_u32 v44, v29, s15
	v_mad_u64_u32 v[36:37], null, v29, s14, 0
	s_mov_b32 s0, -1
	s_mov_b32 s13, exec_lo
	s_delay_alu instid0(VALU_DEP_4) | instskip(NEXT) | instid1(VALU_DEP_2)
	v_add3_u32 v35, v35, v43, v38
	v_add3_u32 v37, v37, v44, v33
	s_delay_alu instid0(VALU_DEP_2) | instskip(NEXT) | instid1(VALU_DEP_2)
	v_lshlrev_b64 v[33:34], 2, v[34:35]
	v_lshlrev_b64 v[37:38], 2, v[36:37]
	s_delay_alu instid0(VALU_DEP_2) | instskip(NEXT) | instid1(VALU_DEP_3)
	v_add_co_u32 v35, vcc_lo, s20, v33
	v_add_co_ci_u32_e32 v36, vcc_lo, s21, v34, vcc_lo
	s_delay_alu instid0(VALU_DEP_3) | instskip(NEXT) | instid1(VALU_DEP_4)
	v_add_co_u32 v33, vcc_lo, s20, v37
	v_add_co_ci_u32_e32 v34, vcc_lo, s21, v38, vcc_lo
	s_clause 0x1
	global_load_b32 v37, v[35:36], off
	global_load_b32 v38, v[33:34], off
	s_waitcnt vmcnt(0)
	v_cmpx_eq_u32_e64 v37, v38
	s_cbranch_execz .LBB487_211
; %bb.205:
	v_add_co_u32 v33, vcc_lo, v33, 4
	v_add_co_ci_u32_e32 v34, vcc_lo, 0, v34, vcc_lo
	v_add_co_u32 v35, vcc_lo, v35, 4
	v_add_co_ci_u32_e32 v36, vcc_lo, 0, v36, vcc_lo
	s_add_u32 s4, s14, -1
	s_addc_u32 s5, s15, -1
	s_mov_b64 s[6:7], 0
	s_mov_b32 s24, 0
                                        ; implicit-def: $sgpr25
	s_set_inst_prefetch_distance 0x1
	s_branch .LBB487_208
	.p2align	6
.LBB487_206:                            ;   in Loop: Header=BB487_208 Depth=1
	global_load_b32 v37, v[35:36], off
	global_load_b32 v38, v[33:34], off
	v_add_co_u32 v33, vcc_lo, v33, 4
	v_add_co_ci_u32_e32 v34, vcc_lo, 0, v34, vcc_lo
	v_add_co_u32 v35, s0, v35, 4
	s_delay_alu instid0(VALU_DEP_1)
	v_add_co_ci_u32_e64 v36, s0, 0, v36, s0
	s_add_u32 s6, s6, 1
	s_addc_u32 s7, s7, 0
	s_and_not1_b32 s0, s25, exec_lo
	s_waitcnt vmcnt(0)
	v_cmp_ne_u32_e32 vcc_lo, v37, v38
	s_and_b32 s25, vcc_lo, exec_lo
	s_delay_alu instid0(SALU_CYCLE_1)
	s_or_b32 s25, s0, s25
.LBB487_207:                            ;   in Loop: Header=BB487_208 Depth=1
	v_dual_mov_b32 v38, s7 :: v_dual_mov_b32 v37, s6
	s_and_b32 s0, exec_lo, s25
	s_delay_alu instid0(SALU_CYCLE_1) | instskip(NEXT) | instid1(SALU_CYCLE_1)
	s_or_b32 s24, s0, s24
	s_and_not1_b32 exec_lo, exec_lo, s24
	s_cbranch_execz .LBB487_210
.LBB487_208:                            ; =>This Inner Loop Header: Depth=1
	s_or_b32 s25, s25, exec_lo
	s_cmp_eq_u64 s[4:5], s[6:7]
	s_cbranch_scc0 .LBB487_206
; %bb.209:                              ;   in Loop: Header=BB487_208 Depth=1
	s_mov_b64 s[6:7], s[14:15]
                                        ; implicit-def: $vgpr33_vgpr34
                                        ; implicit-def: $vgpr35_vgpr36
	s_branch .LBB487_207
.LBB487_210:
	s_set_inst_prefetch_distance 0x2
	s_or_b32 exec_lo, exec_lo, s24
	v_cmp_gt_i64_e32 vcc_lo, s[14:15], v[37:38]
	s_or_not1_b32 s0, vcc_lo, exec_lo
.LBB487_211:
	s_or_b32 exec_lo, exec_lo, s13
.LBB487_212:
	s_delay_alu instid0(SALU_CYCLE_1)
	s_and_b32 s0, s0, exec_lo
.LBB487_213:
	s_or_b32 exec_lo, exec_lo, s1
	v_or_b32_e32 v35, v39, v40
	v_or_b32_e32 v36, v41, v42
.LBB487_214:
	s_mov_b32 s1, -1
	s_cbranch_execnz .LBB487_383
.LBB487_215:
	v_cmp_gt_i64_e64 s13, s[14:15], 0
	s_and_b32 vcc_lo, exec_lo, s29
	ds_store_b64 v55, v[19:20]
	s_cbranch_vccz .LBB487_223
; %bb.216:
	v_mul_lo_u32 v35, v18, s14
	v_mul_lo_u32 v36, v17, s15
	s_waitcnt vmcnt(0) lgkmcnt(1)
	v_mad_u64_u32 v[33:34], null, v17, s14, 0
	s_mov_b32 s24, 0
	s_and_not1_b32 vcc_lo, exec_lo, s13
	s_mov_b32 s25, 0
	s_delay_alu instid0(VALU_DEP_1) | instskip(NEXT) | instid1(VALU_DEP_1)
	v_add3_u32 v34, v34, v36, v35
	v_lshlrev_b64 v[33:34], 2, v[33:34]
	s_cbranch_vccnz .LBB487_226
; %bb.217:
	v_mul_lo_u32 v37, v20, s14
	v_mul_lo_u32 v38, v19, s15
	v_mad_u64_u32 v[35:36], null, v19, s14, 0
	s_mov_b32 s25, -1
	s_mov_b32 s26, exec_lo
	s_delay_alu instid0(VALU_DEP_1) | instskip(SKIP_2) | instid1(VALU_DEP_3)
	v_add3_u32 v36, v36, v38, v37
	v_add_co_u32 v37, vcc_lo, s20, v33
	v_add_co_ci_u32_e32 v38, vcc_lo, s21, v34, vcc_lo
	v_lshlrev_b64 v[35:36], 2, v[35:36]
	s_delay_alu instid0(VALU_DEP_1) | instskip(NEXT) | instid1(VALU_DEP_2)
	v_add_co_u32 v35, vcc_lo, s20, v35
	v_add_co_ci_u32_e32 v36, vcc_lo, s21, v36, vcc_lo
	s_clause 0x1
	global_load_b32 v39, v[37:38], off
	global_load_b32 v40, v[35:36], off
	s_waitcnt vmcnt(0)
	v_cmpx_eq_u32_e64 v39, v40
	s_cbranch_execz .LBB487_225
; %bb.218:
	v_add_co_u32 v35, vcc_lo, v35, 4
	v_add_co_ci_u32_e32 v36, vcc_lo, 0, v36, vcc_lo
	v_add_co_u32 v37, vcc_lo, v37, 4
	v_add_co_ci_u32_e32 v38, vcc_lo, 0, v38, vcc_lo
	s_add_u32 s4, s14, -1
	s_addc_u32 s5, s15, -1
	s_mov_b64 s[6:7], 0
	s_mov_b32 s25, 0
                                        ; implicit-def: $sgpr27
	s_set_inst_prefetch_distance 0x1
	s_branch .LBB487_221
	.p2align	6
.LBB487_219:                            ;   in Loop: Header=BB487_221 Depth=1
	global_load_b32 v39, v[37:38], off
	global_load_b32 v40, v[35:36], off
	v_add_co_u32 v35, vcc_lo, v35, 4
	v_add_co_ci_u32_e32 v36, vcc_lo, 0, v36, vcc_lo
	v_add_co_u32 v37, s0, v37, 4
	s_delay_alu instid0(VALU_DEP_1)
	v_add_co_ci_u32_e64 v38, s0, 0, v38, s0
	s_add_u32 s6, s6, 1
	s_addc_u32 s7, s7, 0
	s_and_not1_b32 s0, s27, exec_lo
	s_waitcnt vmcnt(0)
	v_cmp_ne_u32_e32 vcc_lo, v39, v40
	s_and_b32 s27, vcc_lo, exec_lo
	s_delay_alu instid0(SALU_CYCLE_1)
	s_or_b32 s27, s0, s27
.LBB487_220:                            ;   in Loop: Header=BB487_221 Depth=1
	v_dual_mov_b32 v40, s7 :: v_dual_mov_b32 v39, s6
	s_and_b32 s0, exec_lo, s27
	s_delay_alu instid0(SALU_CYCLE_1) | instskip(NEXT) | instid1(SALU_CYCLE_1)
	s_or_b32 s25, s0, s25
	s_and_not1_b32 exec_lo, exec_lo, s25
	s_cbranch_execz .LBB487_224
.LBB487_221:                            ; =>This Inner Loop Header: Depth=1
	s_or_b32 s27, s27, exec_lo
	s_cmp_eq_u64 s[4:5], s[6:7]
	s_cbranch_scc0 .LBB487_219
; %bb.222:                              ;   in Loop: Header=BB487_221 Depth=1
	s_mov_b64 s[6:7], s[14:15]
                                        ; implicit-def: $vgpr35_vgpr36
                                        ; implicit-def: $vgpr37_vgpr38
	s_branch .LBB487_220
.LBB487_223:
                                        ; implicit-def: $sgpr0
                                        ; implicit-def: $vgpr36
	s_cbranch_execnz .LBB487_292
	s_branch .LBB487_383
.LBB487_224:
	s_set_inst_prefetch_distance 0x2
	s_or_b32 exec_lo, exec_lo, s25
	v_cmp_gt_i64_e32 vcc_lo, s[14:15], v[39:40]
	s_or_not1_b32 s25, vcc_lo, exec_lo
.LBB487_225:
	s_or_b32 exec_lo, exec_lo, s26
.LBB487_226:
	v_mul_lo_u32 v37, v24, s14
	v_mul_lo_u32 v38, v23, s15
	v_mad_u64_u32 v[35:36], null, v23, s14, 0
	s_and_not1_b32 vcc_lo, exec_lo, s13
	s_delay_alu instid0(VALU_DEP_1) | instskip(NEXT) | instid1(VALU_DEP_1)
	v_add3_u32 v36, v36, v38, v37
	v_lshlrev_b64 v[35:36], 2, v[35:36]
	s_cbranch_vccnz .LBB487_235
; %bb.227:
	s_delay_alu instid0(VALU_DEP_1) | instskip(NEXT) | instid1(VALU_DEP_2)
	v_add_co_u32 v37, vcc_lo, s20, v35
	v_add_co_ci_u32_e32 v38, vcc_lo, s21, v36, vcc_lo
	v_add_co_u32 v33, vcc_lo, s20, v33
	v_add_co_ci_u32_e32 v34, vcc_lo, s21, v34, vcc_lo
	s_mov_b32 s24, -1
	s_clause 0x1
	global_load_b32 v39, v[37:38], off
	global_load_b32 v40, v[33:34], off
	s_mov_b32 s26, exec_lo
	s_waitcnt vmcnt(0)
	v_cmpx_eq_u32_e64 v39, v40
	s_cbranch_execz .LBB487_234
; %bb.228:
	v_add_co_u32 v33, vcc_lo, v33, 4
	v_add_co_ci_u32_e32 v34, vcc_lo, 0, v34, vcc_lo
	v_add_co_u32 v37, vcc_lo, v37, 4
	v_add_co_ci_u32_e32 v38, vcc_lo, 0, v38, vcc_lo
	s_add_u32 s4, s14, -1
	s_addc_u32 s5, s15, -1
	s_mov_b64 s[6:7], 0
	s_mov_b32 s24, 0
                                        ; implicit-def: $sgpr27
	s_set_inst_prefetch_distance 0x1
	s_branch .LBB487_231
	.p2align	6
.LBB487_229:                            ;   in Loop: Header=BB487_231 Depth=1
	global_load_b32 v39, v[37:38], off
	global_load_b32 v40, v[33:34], off
	v_add_co_u32 v33, vcc_lo, v33, 4
	v_add_co_ci_u32_e32 v34, vcc_lo, 0, v34, vcc_lo
	v_add_co_u32 v37, s0, v37, 4
	s_delay_alu instid0(VALU_DEP_1)
	v_add_co_ci_u32_e64 v38, s0, 0, v38, s0
	s_add_u32 s6, s6, 1
	s_addc_u32 s7, s7, 0
	s_and_not1_b32 s0, s27, exec_lo
	s_waitcnt vmcnt(0)
	v_cmp_ne_u32_e32 vcc_lo, v39, v40
	s_and_b32 s27, vcc_lo, exec_lo
	s_delay_alu instid0(SALU_CYCLE_1)
	s_or_b32 s27, s0, s27
.LBB487_230:                            ;   in Loop: Header=BB487_231 Depth=1
	v_dual_mov_b32 v40, s7 :: v_dual_mov_b32 v39, s6
	s_and_b32 s0, exec_lo, s27
	s_delay_alu instid0(SALU_CYCLE_1) | instskip(NEXT) | instid1(SALU_CYCLE_1)
	s_or_b32 s24, s0, s24
	s_and_not1_b32 exec_lo, exec_lo, s24
	s_cbranch_execz .LBB487_233
.LBB487_231:                            ; =>This Inner Loop Header: Depth=1
	s_or_b32 s27, s27, exec_lo
	s_cmp_eq_u64 s[4:5], s[6:7]
	s_cbranch_scc0 .LBB487_229
; %bb.232:                              ;   in Loop: Header=BB487_231 Depth=1
	s_mov_b64 s[6:7], s[14:15]
                                        ; implicit-def: $vgpr33_vgpr34
                                        ; implicit-def: $vgpr37_vgpr38
	s_branch .LBB487_230
.LBB487_233:
	s_set_inst_prefetch_distance 0x2
	s_or_b32 exec_lo, exec_lo, s24
	v_cmp_gt_i64_e32 vcc_lo, s[14:15], v[39:40]
	s_or_not1_b32 s24, vcc_lo, exec_lo
.LBB487_234:
	s_or_b32 exec_lo, exec_lo, s26
.LBB487_235:
	v_mul_lo_u32 v37, v22, s14
	v_mul_lo_u32 v38, v21, s15
	v_mad_u64_u32 v[33:34], null, v21, s14, 0
	s_mov_b32 s26, 0
	s_and_not1_b32 vcc_lo, exec_lo, s13
	s_mov_b32 s27, 0
	s_delay_alu instid0(VALU_DEP_1) | instskip(NEXT) | instid1(VALU_DEP_1)
	v_add3_u32 v34, v34, v38, v37
	v_lshlrev_b64 v[37:38], 2, v[33:34]
	s_cbranch_vccnz .LBB487_244
; %bb.236:
	s_delay_alu instid0(VALU_DEP_1) | instskip(NEXT) | instid1(VALU_DEP_2)
	v_add_co_u32 v39, vcc_lo, s20, v37
	v_add_co_ci_u32_e32 v40, vcc_lo, s21, v38, vcc_lo
	v_add_co_u32 v33, vcc_lo, s20, v35
	v_add_co_ci_u32_e32 v34, vcc_lo, s21, v36, vcc_lo
	s_mov_b32 s27, -1
	s_clause 0x1
	global_load_b32 v35, v[39:40], off
	global_load_b32 v36, v[33:34], off
	s_mov_b32 s34, exec_lo
	s_waitcnt vmcnt(0)
	v_cmpx_eq_u32_e64 v35, v36
	s_cbranch_execz .LBB487_243
; %bb.237:
	v_add_co_u32 v33, vcc_lo, v33, 4
	v_add_co_ci_u32_e32 v34, vcc_lo, 0, v34, vcc_lo
	v_add_co_u32 v35, vcc_lo, v39, 4
	v_add_co_ci_u32_e32 v36, vcc_lo, 0, v40, vcc_lo
	s_add_u32 s4, s14, -1
	s_addc_u32 s5, s15, -1
	s_mov_b64 s[6:7], 0
	s_mov_b32 s27, 0
                                        ; implicit-def: $sgpr35
	s_set_inst_prefetch_distance 0x1
	s_branch .LBB487_240
	.p2align	6
.LBB487_238:                            ;   in Loop: Header=BB487_240 Depth=1
	global_load_b32 v39, v[35:36], off
	global_load_b32 v40, v[33:34], off
	v_add_co_u32 v33, vcc_lo, v33, 4
	v_add_co_ci_u32_e32 v34, vcc_lo, 0, v34, vcc_lo
	v_add_co_u32 v35, s0, v35, 4
	s_delay_alu instid0(VALU_DEP_1)
	v_add_co_ci_u32_e64 v36, s0, 0, v36, s0
	s_add_u32 s6, s6, 1
	s_addc_u32 s7, s7, 0
	s_and_not1_b32 s0, s35, exec_lo
	s_waitcnt vmcnt(0)
	v_cmp_ne_u32_e32 vcc_lo, v39, v40
	s_and_b32 s35, vcc_lo, exec_lo
	s_delay_alu instid0(SALU_CYCLE_1)
	s_or_b32 s35, s0, s35
.LBB487_239:                            ;   in Loop: Header=BB487_240 Depth=1
	v_dual_mov_b32 v40, s7 :: v_dual_mov_b32 v39, s6
	s_and_b32 s0, exec_lo, s35
	s_delay_alu instid0(SALU_CYCLE_1) | instskip(NEXT) | instid1(SALU_CYCLE_1)
	s_or_b32 s27, s0, s27
	s_and_not1_b32 exec_lo, exec_lo, s27
	s_cbranch_execz .LBB487_242
.LBB487_240:                            ; =>This Inner Loop Header: Depth=1
	s_or_b32 s35, s35, exec_lo
	s_cmp_eq_u64 s[4:5], s[6:7]
	s_cbranch_scc0 .LBB487_238
; %bb.241:                              ;   in Loop: Header=BB487_240 Depth=1
	s_mov_b64 s[6:7], s[14:15]
                                        ; implicit-def: $vgpr33_vgpr34
                                        ; implicit-def: $vgpr35_vgpr36
	s_branch .LBB487_239
.LBB487_242:
	s_set_inst_prefetch_distance 0x2
	s_or_b32 exec_lo, exec_lo, s27
	v_cmp_gt_i64_e32 vcc_lo, s[14:15], v[39:40]
	s_or_not1_b32 s27, vcc_lo, exec_lo
.LBB487_243:
	s_or_b32 exec_lo, exec_lo, s34
.LBB487_244:
	v_mul_lo_u32 v35, v28, s14
	v_mul_lo_u32 v36, v27, s15
	v_mad_u64_u32 v[33:34], null, v27, s14, 0
	s_and_not1_b32 vcc_lo, exec_lo, s13
	s_delay_alu instid0(VALU_DEP_1) | instskip(NEXT) | instid1(VALU_DEP_1)
	v_add3_u32 v34, v34, v36, v35
	v_lshlrev_b64 v[33:34], 2, v[33:34]
	s_cbranch_vccnz .LBB487_253
; %bb.245:
	s_delay_alu instid0(VALU_DEP_1) | instskip(NEXT) | instid1(VALU_DEP_2)
	v_add_co_u32 v39, vcc_lo, s20, v33
	v_add_co_ci_u32_e32 v40, vcc_lo, s21, v34, vcc_lo
	v_add_co_u32 v35, vcc_lo, s20, v37
	v_add_co_ci_u32_e32 v36, vcc_lo, s21, v38, vcc_lo
	s_mov_b32 s26, -1
	s_clause 0x1
	global_load_b32 v37, v[39:40], off
	global_load_b32 v38, v[35:36], off
	s_mov_b32 s34, exec_lo
	s_waitcnt vmcnt(0)
	v_cmpx_eq_u32_e64 v37, v38
	s_cbranch_execz .LBB487_252
; %bb.246:
	v_add_co_u32 v35, vcc_lo, v35, 4
	v_add_co_ci_u32_e32 v36, vcc_lo, 0, v36, vcc_lo
	v_add_co_u32 v37, vcc_lo, v39, 4
	v_add_co_ci_u32_e32 v38, vcc_lo, 0, v40, vcc_lo
	s_add_u32 s4, s14, -1
	s_addc_u32 s5, s15, -1
	s_mov_b64 s[6:7], 0
	s_mov_b32 s26, 0
                                        ; implicit-def: $sgpr35
	s_set_inst_prefetch_distance 0x1
	s_branch .LBB487_249
	.p2align	6
.LBB487_247:                            ;   in Loop: Header=BB487_249 Depth=1
	global_load_b32 v39, v[37:38], off
	global_load_b32 v40, v[35:36], off
	v_add_co_u32 v35, vcc_lo, v35, 4
	v_add_co_ci_u32_e32 v36, vcc_lo, 0, v36, vcc_lo
	v_add_co_u32 v37, s0, v37, 4
	s_delay_alu instid0(VALU_DEP_1)
	v_add_co_ci_u32_e64 v38, s0, 0, v38, s0
	s_add_u32 s6, s6, 1
	s_addc_u32 s7, s7, 0
	s_and_not1_b32 s0, s35, exec_lo
	s_waitcnt vmcnt(0)
	v_cmp_ne_u32_e32 vcc_lo, v39, v40
	s_and_b32 s35, vcc_lo, exec_lo
	s_delay_alu instid0(SALU_CYCLE_1)
	s_or_b32 s35, s0, s35
.LBB487_248:                            ;   in Loop: Header=BB487_249 Depth=1
	v_dual_mov_b32 v40, s7 :: v_dual_mov_b32 v39, s6
	s_and_b32 s0, exec_lo, s35
	s_delay_alu instid0(SALU_CYCLE_1) | instskip(NEXT) | instid1(SALU_CYCLE_1)
	s_or_b32 s26, s0, s26
	s_and_not1_b32 exec_lo, exec_lo, s26
	s_cbranch_execz .LBB487_251
.LBB487_249:                            ; =>This Inner Loop Header: Depth=1
	s_or_b32 s35, s35, exec_lo
	s_cmp_eq_u64 s[4:5], s[6:7]
	s_cbranch_scc0 .LBB487_247
; %bb.250:                              ;   in Loop: Header=BB487_249 Depth=1
	s_mov_b64 s[6:7], s[14:15]
                                        ; implicit-def: $vgpr35_vgpr36
                                        ; implicit-def: $vgpr37_vgpr38
	s_branch .LBB487_248
.LBB487_251:
	s_set_inst_prefetch_distance 0x2
	s_or_b32 exec_lo, exec_lo, s26
	v_cmp_gt_i64_e32 vcc_lo, s[14:15], v[39:40]
	s_or_not1_b32 s26, vcc_lo, exec_lo
.LBB487_252:
	s_or_b32 exec_lo, exec_lo, s34
.LBB487_253:
	v_mul_lo_u32 v37, v26, s14
	v_mul_lo_u32 v38, v25, s15
	v_mad_u64_u32 v[35:36], null, v25, s14, 0
	s_mov_b32 s34, 0
	s_and_not1_b32 vcc_lo, exec_lo, s13
	s_mov_b32 s35, 0
	s_delay_alu instid0(VALU_DEP_1) | instskip(NEXT) | instid1(VALU_DEP_1)
	v_add3_u32 v36, v36, v38, v37
	v_lshlrev_b64 v[37:38], 2, v[35:36]
	s_cbranch_vccnz .LBB487_262
; %bb.254:
	s_delay_alu instid0(VALU_DEP_1) | instskip(NEXT) | instid1(VALU_DEP_2)
	v_add_co_u32 v35, vcc_lo, s20, v37
	v_add_co_ci_u32_e32 v36, vcc_lo, s21, v38, vcc_lo
	v_add_co_u32 v33, vcc_lo, s20, v33
	v_add_co_ci_u32_e32 v34, vcc_lo, s21, v34, vcc_lo
	s_mov_b32 s35, -1
	s_clause 0x1
	global_load_b32 v39, v[35:36], off
	global_load_b32 v40, v[33:34], off
	s_mov_b32 s36, exec_lo
	s_waitcnt vmcnt(0)
	v_cmpx_eq_u32_e64 v39, v40
	s_cbranch_execz .LBB487_261
; %bb.255:
	v_add_co_u32 v33, vcc_lo, v33, 4
	v_add_co_ci_u32_e32 v34, vcc_lo, 0, v34, vcc_lo
	v_add_co_u32 v35, vcc_lo, v35, 4
	v_add_co_ci_u32_e32 v36, vcc_lo, 0, v36, vcc_lo
	s_add_u32 s4, s14, -1
	s_addc_u32 s5, s15, -1
	s_mov_b64 s[6:7], 0
	s_mov_b32 s35, 0
                                        ; implicit-def: $sgpr37
	s_set_inst_prefetch_distance 0x1
	s_branch .LBB487_258
	.p2align	6
.LBB487_256:                            ;   in Loop: Header=BB487_258 Depth=1
	global_load_b32 v39, v[35:36], off
	global_load_b32 v40, v[33:34], off
	v_add_co_u32 v33, vcc_lo, v33, 4
	v_add_co_ci_u32_e32 v34, vcc_lo, 0, v34, vcc_lo
	v_add_co_u32 v35, s0, v35, 4
	s_delay_alu instid0(VALU_DEP_1)
	v_add_co_ci_u32_e64 v36, s0, 0, v36, s0
	s_add_u32 s6, s6, 1
	s_addc_u32 s7, s7, 0
	s_and_not1_b32 s0, s37, exec_lo
	s_waitcnt vmcnt(0)
	v_cmp_ne_u32_e32 vcc_lo, v39, v40
	s_and_b32 s37, vcc_lo, exec_lo
	s_delay_alu instid0(SALU_CYCLE_1)
	s_or_b32 s37, s0, s37
.LBB487_257:                            ;   in Loop: Header=BB487_258 Depth=1
	v_dual_mov_b32 v40, s7 :: v_dual_mov_b32 v39, s6
	s_and_b32 s0, exec_lo, s37
	s_delay_alu instid0(SALU_CYCLE_1) | instskip(NEXT) | instid1(SALU_CYCLE_1)
	s_or_b32 s35, s0, s35
	s_and_not1_b32 exec_lo, exec_lo, s35
	s_cbranch_execz .LBB487_260
.LBB487_258:                            ; =>This Inner Loop Header: Depth=1
	s_or_b32 s37, s37, exec_lo
	s_cmp_eq_u64 s[4:5], s[6:7]
	s_cbranch_scc0 .LBB487_256
; %bb.259:                              ;   in Loop: Header=BB487_258 Depth=1
	s_mov_b64 s[6:7], s[14:15]
                                        ; implicit-def: $vgpr33_vgpr34
                                        ; implicit-def: $vgpr35_vgpr36
	s_branch .LBB487_257
.LBB487_260:
	s_set_inst_prefetch_distance 0x2
	s_or_b32 exec_lo, exec_lo, s35
	v_cmp_gt_i64_e32 vcc_lo, s[14:15], v[39:40]
	s_or_not1_b32 s35, vcc_lo, exec_lo
.LBB487_261:
	s_or_b32 exec_lo, exec_lo, s36
.LBB487_262:
	v_mul_lo_u32 v35, v32, s14
	v_mul_lo_u32 v36, v31, s15
	v_mad_u64_u32 v[33:34], null, v31, s14, 0
	s_and_not1_b32 vcc_lo, exec_lo, s13
	s_delay_alu instid0(VALU_DEP_1) | instskip(NEXT) | instid1(VALU_DEP_1)
	v_add3_u32 v34, v34, v36, v35
	v_lshlrev_b64 v[35:36], 2, v[33:34]
	s_cbranch_vccnz .LBB487_271
; %bb.263:
	s_delay_alu instid0(VALU_DEP_1) | instskip(NEXT) | instid1(VALU_DEP_2)
	v_add_co_u32 v39, vcc_lo, s20, v35
	v_add_co_ci_u32_e32 v40, vcc_lo, s21, v36, vcc_lo
	v_add_co_u32 v33, vcc_lo, s20, v37
	v_add_co_ci_u32_e32 v34, vcc_lo, s21, v38, vcc_lo
	s_mov_b32 s34, -1
	s_clause 0x1
	global_load_b32 v37, v[39:40], off
	global_load_b32 v38, v[33:34], off
	s_mov_b32 s36, exec_lo
	s_waitcnt vmcnt(0)
	v_cmpx_eq_u32_e64 v37, v38
	s_cbranch_execz .LBB487_270
; %bb.264:
	v_add_co_u32 v33, vcc_lo, v33, 4
	v_add_co_ci_u32_e32 v34, vcc_lo, 0, v34, vcc_lo
	v_add_co_u32 v37, vcc_lo, v39, 4
	v_add_co_ci_u32_e32 v38, vcc_lo, 0, v40, vcc_lo
	s_add_u32 s4, s14, -1
	s_addc_u32 s5, s15, -1
	s_mov_b64 s[6:7], 0
	s_mov_b32 s34, 0
                                        ; implicit-def: $sgpr37
	s_set_inst_prefetch_distance 0x1
	s_branch .LBB487_267
	.p2align	6
.LBB487_265:                            ;   in Loop: Header=BB487_267 Depth=1
	global_load_b32 v39, v[37:38], off
	global_load_b32 v40, v[33:34], off
	v_add_co_u32 v33, vcc_lo, v33, 4
	v_add_co_ci_u32_e32 v34, vcc_lo, 0, v34, vcc_lo
	v_add_co_u32 v37, s0, v37, 4
	s_delay_alu instid0(VALU_DEP_1)
	v_add_co_ci_u32_e64 v38, s0, 0, v38, s0
	s_add_u32 s6, s6, 1
	s_addc_u32 s7, s7, 0
	s_and_not1_b32 s0, s37, exec_lo
	s_waitcnt vmcnt(0)
	v_cmp_ne_u32_e32 vcc_lo, v39, v40
	s_and_b32 s37, vcc_lo, exec_lo
	s_delay_alu instid0(SALU_CYCLE_1)
	s_or_b32 s37, s0, s37
.LBB487_266:                            ;   in Loop: Header=BB487_267 Depth=1
	v_dual_mov_b32 v40, s7 :: v_dual_mov_b32 v39, s6
	s_and_b32 s0, exec_lo, s37
	s_delay_alu instid0(SALU_CYCLE_1) | instskip(NEXT) | instid1(SALU_CYCLE_1)
	s_or_b32 s34, s0, s34
	s_and_not1_b32 exec_lo, exec_lo, s34
	s_cbranch_execz .LBB487_269
.LBB487_267:                            ; =>This Inner Loop Header: Depth=1
	s_or_b32 s37, s37, exec_lo
	s_cmp_eq_u64 s[4:5], s[6:7]
	s_cbranch_scc0 .LBB487_265
; %bb.268:                              ;   in Loop: Header=BB487_267 Depth=1
	s_mov_b64 s[6:7], s[14:15]
                                        ; implicit-def: $vgpr33_vgpr34
                                        ; implicit-def: $vgpr37_vgpr38
	s_branch .LBB487_266
.LBB487_269:
	s_set_inst_prefetch_distance 0x2
	s_or_b32 exec_lo, exec_lo, s34
	v_cmp_gt_i64_e32 vcc_lo, s[14:15], v[39:40]
	s_or_not1_b32 s34, vcc_lo, exec_lo
.LBB487_270:
	s_or_b32 exec_lo, exec_lo, s36
.LBB487_271:
	v_mul_lo_u32 v37, v30, s14
	v_mul_lo_u32 v38, v29, s15
	v_mad_u64_u32 v[33:34], null, v29, s14, 0
	s_and_not1_b32 vcc_lo, exec_lo, s13
	s_mov_b32 s0, 0
	s_delay_alu instid0(VALU_DEP_1)
	v_add3_u32 v34, v34, v38, v37
	s_cbranch_vccnz .LBB487_280
; %bb.272:
	s_delay_alu instid0(VALU_DEP_1) | instskip(SKIP_2) | instid1(VALU_DEP_1)
	v_lshlrev_b64 v[37:38], 2, v[33:34]
	s_mov_b32 s0, -1
	s_mov_b32 s36, exec_lo
	v_add_co_u32 v37, vcc_lo, s20, v37
	s_delay_alu instid0(VALU_DEP_2)
	v_add_co_ci_u32_e32 v38, vcc_lo, s21, v38, vcc_lo
	v_add_co_u32 v35, vcc_lo, s20, v35
	v_add_co_ci_u32_e32 v36, vcc_lo, s21, v36, vcc_lo
	s_clause 0x1
	global_load_b32 v39, v[37:38], off
	global_load_b32 v40, v[35:36], off
	s_waitcnt vmcnt(0)
	v_cmpx_eq_u32_e64 v39, v40
	s_cbranch_execz .LBB487_279
; %bb.273:
	v_add_co_u32 v35, vcc_lo, v35, 4
	v_add_co_ci_u32_e32 v36, vcc_lo, 0, v36, vcc_lo
	v_add_co_u32 v37, vcc_lo, v37, 4
	v_add_co_ci_u32_e32 v38, vcc_lo, 0, v38, vcc_lo
	s_add_u32 s4, s14, -1
	s_addc_u32 s5, s15, -1
	s_mov_b64 s[6:7], 0
	s_mov_b32 s37, 0
                                        ; implicit-def: $sgpr38
	s_set_inst_prefetch_distance 0x1
	s_branch .LBB487_276
	.p2align	6
.LBB487_274:                            ;   in Loop: Header=BB487_276 Depth=1
	global_load_b32 v39, v[37:38], off
	global_load_b32 v40, v[35:36], off
	v_add_co_u32 v35, vcc_lo, v35, 4
	v_add_co_ci_u32_e32 v36, vcc_lo, 0, v36, vcc_lo
	v_add_co_u32 v37, s0, v37, 4
	s_delay_alu instid0(VALU_DEP_1)
	v_add_co_ci_u32_e64 v38, s0, 0, v38, s0
	s_add_u32 s6, s6, 1
	s_addc_u32 s7, s7, 0
	s_and_not1_b32 s0, s38, exec_lo
	s_waitcnt vmcnt(0)
	v_cmp_ne_u32_e32 vcc_lo, v39, v40
	s_and_b32 s38, vcc_lo, exec_lo
	s_delay_alu instid0(SALU_CYCLE_1)
	s_or_b32 s38, s0, s38
.LBB487_275:                            ;   in Loop: Header=BB487_276 Depth=1
	v_dual_mov_b32 v40, s7 :: v_dual_mov_b32 v39, s6
	s_and_b32 s0, exec_lo, s38
	s_delay_alu instid0(SALU_CYCLE_1) | instskip(NEXT) | instid1(SALU_CYCLE_1)
	s_or_b32 s37, s0, s37
	s_and_not1_b32 exec_lo, exec_lo, s37
	s_cbranch_execz .LBB487_278
.LBB487_276:                            ; =>This Inner Loop Header: Depth=1
	s_or_b32 s38, s38, exec_lo
	s_cmp_eq_u64 s[4:5], s[6:7]
	s_cbranch_scc0 .LBB487_274
; %bb.277:                              ;   in Loop: Header=BB487_276 Depth=1
	s_mov_b64 s[6:7], s[14:15]
                                        ; implicit-def: $vgpr35_vgpr36
                                        ; implicit-def: $vgpr37_vgpr38
	s_branch .LBB487_275
.LBB487_278:
	s_set_inst_prefetch_distance 0x2
	s_or_b32 exec_lo, exec_lo, s37
	v_cmp_gt_i64_e32 vcc_lo, s[14:15], v[39:40]
	s_or_not1_b32 s0, vcc_lo, exec_lo
.LBB487_279:
	s_or_b32 exec_lo, exec_lo, s36
.LBB487_280:
	v_cndmask_b32_e64 v36, 0, 1, s35
	v_cndmask_b32_e64 v37, 0, 1, s27
	;; [unrolled: 1-line block ×7, first 2 shown]
	v_lshlrev_b16 v37, 8, v37
	v_lshlrev_b16 v38, 8, v38
	;; [unrolled: 1-line block ×4, first 2 shown]
	s_waitcnt lgkmcnt(0)
	v_or_b32_e32 v37, v40, v37
	v_or_b32_e32 v38, v41, v38
	;; [unrolled: 1-line block ×4, first 2 shown]
	s_barrier
	v_and_b32_e32 v36, 0xffff, v37
	v_lshlrev_b32_e32 v37, 16, v38
	v_and_b32_e32 v38, 0xffff, v39
	v_lshlrev_b32_e32 v35, 16, v35
	buffer_gl0_inv
                                        ; implicit-def: $sgpr0
	v_or_b32_e32 v36, v36, v37
	v_or_b32_e32 v35, v38, v35
	s_and_saveexec_b32 s4, s3
	s_delay_alu instid0(SALU_CYCLE_1)
	s_xor_b32 s24, exec_lo, s4
	s_cbranch_execz .LBB487_291
; %bb.281:
	s_and_not1_b32 vcc_lo, exec_lo, s13
	s_mov_b32 s0, 0
	s_cbranch_vccnz .LBB487_290
; %bb.282:
	v_add_nc_u32_e32 v37, -8, v55
	v_lshlrev_b64 v[33:34], 2, v[33:34]
	s_mov_b32 s0, -1
	s_mov_b32 s25, exec_lo
	ds_load_b64 v[37:38], v37
	s_waitcnt lgkmcnt(0)
	v_mul_lo_u32 v40, v38, s14
	v_mul_lo_u32 v41, v37, s15
	v_mad_u64_u32 v[38:39], null, v37, s14, 0
	s_delay_alu instid0(VALU_DEP_1) | instskip(NEXT) | instid1(VALU_DEP_1)
	v_add3_u32 v39, v39, v41, v40
	v_lshlrev_b64 v[37:38], 2, v[38:39]
	s_delay_alu instid0(VALU_DEP_1) | instskip(NEXT) | instid1(VALU_DEP_2)
	v_add_co_u32 v37, vcc_lo, s20, v37
	v_add_co_ci_u32_e32 v38, vcc_lo, s21, v38, vcc_lo
	v_add_co_u32 v33, vcc_lo, s20, v33
	v_add_co_ci_u32_e32 v34, vcc_lo, s21, v34, vcc_lo
	s_clause 0x1
	global_load_b32 v39, v[37:38], off
	global_load_b32 v40, v[33:34], off
	s_waitcnt vmcnt(0)
	v_cmpx_eq_u32_e64 v39, v40
	s_cbranch_execz .LBB487_289
; %bb.283:
	v_add_co_u32 v33, vcc_lo, v33, 4
	v_add_co_ci_u32_e32 v34, vcc_lo, 0, v34, vcc_lo
	v_add_co_u32 v37, vcc_lo, v37, 4
	v_add_co_ci_u32_e32 v38, vcc_lo, 0, v38, vcc_lo
	s_add_u32 s4, s14, -1
	s_addc_u32 s5, s15, -1
	s_mov_b64 s[6:7], 0
	s_mov_b32 s26, 0
                                        ; implicit-def: $sgpr27
	s_set_inst_prefetch_distance 0x1
	s_branch .LBB487_286
	.p2align	6
.LBB487_284:                            ;   in Loop: Header=BB487_286 Depth=1
	global_load_b32 v39, v[37:38], off
	global_load_b32 v40, v[33:34], off
	v_add_co_u32 v33, vcc_lo, v33, 4
	v_add_co_ci_u32_e32 v34, vcc_lo, 0, v34, vcc_lo
	v_add_co_u32 v37, s0, v37, 4
	s_delay_alu instid0(VALU_DEP_1)
	v_add_co_ci_u32_e64 v38, s0, 0, v38, s0
	s_add_u32 s6, s6, 1
	s_addc_u32 s7, s7, 0
	s_and_not1_b32 s0, s27, exec_lo
	s_waitcnt vmcnt(0)
	v_cmp_ne_u32_e32 vcc_lo, v39, v40
	s_and_b32 s27, vcc_lo, exec_lo
	s_delay_alu instid0(SALU_CYCLE_1)
	s_or_b32 s27, s0, s27
.LBB487_285:                            ;   in Loop: Header=BB487_286 Depth=1
	v_dual_mov_b32 v40, s7 :: v_dual_mov_b32 v39, s6
	s_and_b32 s0, exec_lo, s27
	s_delay_alu instid0(SALU_CYCLE_1) | instskip(NEXT) | instid1(SALU_CYCLE_1)
	s_or_b32 s26, s0, s26
	s_and_not1_b32 exec_lo, exec_lo, s26
	s_cbranch_execz .LBB487_288
.LBB487_286:                            ; =>This Inner Loop Header: Depth=1
	s_or_b32 s27, s27, exec_lo
	s_cmp_eq_u64 s[4:5], s[6:7]
	s_cbranch_scc0 .LBB487_284
; %bb.287:                              ;   in Loop: Header=BB487_286 Depth=1
	s_mov_b64 s[6:7], s[14:15]
                                        ; implicit-def: $vgpr33_vgpr34
                                        ; implicit-def: $vgpr37_vgpr38
	s_branch .LBB487_285
.LBB487_288:
	s_set_inst_prefetch_distance 0x2
	s_or_b32 exec_lo, exec_lo, s26
	v_cmp_gt_i64_e32 vcc_lo, s[14:15], v[39:40]
	s_or_not1_b32 s0, vcc_lo, exec_lo
.LBB487_289:
	s_or_b32 exec_lo, exec_lo, s25
.LBB487_290:
	s_delay_alu instid0(SALU_CYCLE_1)
	s_and_b32 s0, s0, exec_lo
	s_or_b32 s1, s1, exec_lo
.LBB487_291:
	s_or_b32 exec_lo, exec_lo, s24
	s_branch .LBB487_383
.LBB487_292:
	s_waitcnt vmcnt(0) lgkmcnt(1)
	v_or_b32_e32 v33, 7, v55
	s_mov_b32 s24, 0
	s_mov_b32 s25, 0
	s_mov_b32 s26, exec_lo
	s_delay_alu instid0(VALU_DEP_1)
	v_cmpx_gt_u32_e64 s31, v33
	s_cbranch_execz .LBB487_303
; %bb.293:
	s_and_not1_b32 vcc_lo, exec_lo, s13
	s_mov_b32 s0, 0
	s_cbranch_vccnz .LBB487_302
; %bb.294:
	v_mul_lo_u32 v37, v18, s14
	v_mul_lo_u32 v38, v17, s15
	v_mad_u64_u32 v[33:34], null, v17, s14, 0
	v_mul_lo_u32 v39, v20, s14
	v_mul_lo_u32 v40, v19, s15
	v_mad_u64_u32 v[35:36], null, v19, s14, 0
	s_mov_b32 s0, -1
	s_mov_b32 s25, exec_lo
	s_delay_alu instid0(VALU_DEP_4) | instskip(NEXT) | instid1(VALU_DEP_2)
	v_add3_u32 v34, v34, v38, v37
	v_add3_u32 v36, v36, v40, v39
	s_delay_alu instid0(VALU_DEP_2) | instskip(NEXT) | instid1(VALU_DEP_2)
	v_lshlrev_b64 v[33:34], 2, v[33:34]
	v_lshlrev_b64 v[37:38], 2, v[35:36]
	s_delay_alu instid0(VALU_DEP_2) | instskip(NEXT) | instid1(VALU_DEP_3)
	v_add_co_u32 v35, vcc_lo, s20, v33
	v_add_co_ci_u32_e32 v36, vcc_lo, s21, v34, vcc_lo
	s_delay_alu instid0(VALU_DEP_3) | instskip(NEXT) | instid1(VALU_DEP_4)
	v_add_co_u32 v33, vcc_lo, s20, v37
	v_add_co_ci_u32_e32 v34, vcc_lo, s21, v38, vcc_lo
	s_clause 0x1
	global_load_b32 v37, v[35:36], off
	global_load_b32 v38, v[33:34], off
	s_waitcnt vmcnt(0)
	v_cmpx_eq_u32_e64 v37, v38
	s_cbranch_execz .LBB487_301
; %bb.295:
	v_add_co_u32 v33, vcc_lo, v33, 4
	v_add_co_ci_u32_e32 v34, vcc_lo, 0, v34, vcc_lo
	v_add_co_u32 v35, vcc_lo, v35, 4
	v_add_co_ci_u32_e32 v36, vcc_lo, 0, v36, vcc_lo
	s_add_u32 s4, s14, -1
	s_addc_u32 s5, s15, -1
	s_mov_b64 s[6:7], 0
	s_mov_b32 s27, 0
                                        ; implicit-def: $sgpr34
	s_set_inst_prefetch_distance 0x1
	s_branch .LBB487_298
	.p2align	6
.LBB487_296:                            ;   in Loop: Header=BB487_298 Depth=1
	global_load_b32 v37, v[35:36], off
	global_load_b32 v38, v[33:34], off
	v_add_co_u32 v33, vcc_lo, v33, 4
	v_add_co_ci_u32_e32 v34, vcc_lo, 0, v34, vcc_lo
	v_add_co_u32 v35, s0, v35, 4
	s_delay_alu instid0(VALU_DEP_1)
	v_add_co_ci_u32_e64 v36, s0, 0, v36, s0
	s_add_u32 s6, s6, 1
	s_addc_u32 s7, s7, 0
	s_and_not1_b32 s0, s34, exec_lo
	s_waitcnt vmcnt(0)
	v_cmp_ne_u32_e32 vcc_lo, v37, v38
	s_and_b32 s34, vcc_lo, exec_lo
	s_delay_alu instid0(SALU_CYCLE_1)
	s_or_b32 s34, s0, s34
.LBB487_297:                            ;   in Loop: Header=BB487_298 Depth=1
	v_dual_mov_b32 v38, s7 :: v_dual_mov_b32 v37, s6
	s_and_b32 s0, exec_lo, s34
	s_delay_alu instid0(SALU_CYCLE_1) | instskip(NEXT) | instid1(SALU_CYCLE_1)
	s_or_b32 s27, s0, s27
	s_and_not1_b32 exec_lo, exec_lo, s27
	s_cbranch_execz .LBB487_300
.LBB487_298:                            ; =>This Inner Loop Header: Depth=1
	s_or_b32 s34, s34, exec_lo
	s_cmp_eq_u64 s[4:5], s[6:7]
	s_cbranch_scc0 .LBB487_296
; %bb.299:                              ;   in Loop: Header=BB487_298 Depth=1
	s_mov_b64 s[6:7], s[14:15]
                                        ; implicit-def: $vgpr33_vgpr34
                                        ; implicit-def: $vgpr35_vgpr36
	s_branch .LBB487_297
.LBB487_300:
	s_set_inst_prefetch_distance 0x2
	s_or_b32 exec_lo, exec_lo, s27
	v_cmp_gt_i64_e32 vcc_lo, s[14:15], v[37:38]
	s_or_not1_b32 s0, vcc_lo, exec_lo
.LBB487_301:
	s_or_b32 exec_lo, exec_lo, s25
.LBB487_302:
	s_delay_alu instid0(SALU_CYCLE_1)
	s_and_b32 s25, s0, exec_lo
.LBB487_303:
	s_or_b32 exec_lo, exec_lo, s26
	v_or_b32_e32 v33, 6, v55
	s_mov_b32 s26, exec_lo
	s_delay_alu instid0(VALU_DEP_1)
	v_cmpx_gt_u32_e64 s31, v33
	s_cbranch_execz .LBB487_314
; %bb.304:
	s_and_not1_b32 vcc_lo, exec_lo, s13
	s_mov_b32 s0, 0
	s_cbranch_vccnz .LBB487_313
; %bb.305:
	v_mul_lo_u32 v37, v24, s14
	v_mul_lo_u32 v38, v23, s15
	v_mad_u64_u32 v[33:34], null, v23, s14, 0
	v_mul_lo_u32 v39, v18, s14
	v_mul_lo_u32 v40, v17, s15
	v_mad_u64_u32 v[35:36], null, v17, s14, 0
	s_mov_b32 s0, -1
	s_mov_b32 s24, exec_lo
	s_delay_alu instid0(VALU_DEP_4) | instskip(NEXT) | instid1(VALU_DEP_2)
	v_add3_u32 v34, v34, v38, v37
	v_add3_u32 v36, v36, v40, v39
	s_delay_alu instid0(VALU_DEP_2) | instskip(NEXT) | instid1(VALU_DEP_2)
	v_lshlrev_b64 v[33:34], 2, v[33:34]
	v_lshlrev_b64 v[37:38], 2, v[35:36]
	s_delay_alu instid0(VALU_DEP_2) | instskip(NEXT) | instid1(VALU_DEP_3)
	v_add_co_u32 v35, vcc_lo, s20, v33
	v_add_co_ci_u32_e32 v36, vcc_lo, s21, v34, vcc_lo
	s_delay_alu instid0(VALU_DEP_3) | instskip(NEXT) | instid1(VALU_DEP_4)
	v_add_co_u32 v33, vcc_lo, s20, v37
	v_add_co_ci_u32_e32 v34, vcc_lo, s21, v38, vcc_lo
	s_clause 0x1
	global_load_b32 v37, v[35:36], off
	global_load_b32 v38, v[33:34], off
	s_waitcnt vmcnt(0)
	v_cmpx_eq_u32_e64 v37, v38
	s_cbranch_execz .LBB487_312
; %bb.306:
	v_add_co_u32 v33, vcc_lo, v33, 4
	v_add_co_ci_u32_e32 v34, vcc_lo, 0, v34, vcc_lo
	v_add_co_u32 v35, vcc_lo, v35, 4
	v_add_co_ci_u32_e32 v36, vcc_lo, 0, v36, vcc_lo
	s_add_u32 s4, s14, -1
	s_addc_u32 s5, s15, -1
	s_mov_b64 s[6:7], 0
	s_mov_b32 s27, 0
                                        ; implicit-def: $sgpr34
	s_set_inst_prefetch_distance 0x1
	s_branch .LBB487_309
	.p2align	6
.LBB487_307:                            ;   in Loop: Header=BB487_309 Depth=1
	global_load_b32 v37, v[35:36], off
	global_load_b32 v38, v[33:34], off
	v_add_co_u32 v33, vcc_lo, v33, 4
	v_add_co_ci_u32_e32 v34, vcc_lo, 0, v34, vcc_lo
	v_add_co_u32 v35, s0, v35, 4
	s_delay_alu instid0(VALU_DEP_1)
	v_add_co_ci_u32_e64 v36, s0, 0, v36, s0
	s_add_u32 s6, s6, 1
	s_addc_u32 s7, s7, 0
	s_and_not1_b32 s0, s34, exec_lo
	s_waitcnt vmcnt(0)
	v_cmp_ne_u32_e32 vcc_lo, v37, v38
	s_and_b32 s34, vcc_lo, exec_lo
	s_delay_alu instid0(SALU_CYCLE_1)
	s_or_b32 s34, s0, s34
.LBB487_308:                            ;   in Loop: Header=BB487_309 Depth=1
	v_dual_mov_b32 v38, s7 :: v_dual_mov_b32 v37, s6
	s_and_b32 s0, exec_lo, s34
	s_delay_alu instid0(SALU_CYCLE_1) | instskip(NEXT) | instid1(SALU_CYCLE_1)
	s_or_b32 s27, s0, s27
	s_and_not1_b32 exec_lo, exec_lo, s27
	s_cbranch_execz .LBB487_311
.LBB487_309:                            ; =>This Inner Loop Header: Depth=1
	s_or_b32 s34, s34, exec_lo
	s_cmp_eq_u64 s[4:5], s[6:7]
	s_cbranch_scc0 .LBB487_307
; %bb.310:                              ;   in Loop: Header=BB487_309 Depth=1
	s_mov_b64 s[6:7], s[14:15]
                                        ; implicit-def: $vgpr33_vgpr34
                                        ; implicit-def: $vgpr35_vgpr36
	s_branch .LBB487_308
.LBB487_311:
	s_set_inst_prefetch_distance 0x2
	s_or_b32 exec_lo, exec_lo, s27
	v_cmp_gt_i64_e32 vcc_lo, s[14:15], v[37:38]
	s_or_not1_b32 s0, vcc_lo, exec_lo
.LBB487_312:
	s_or_b32 exec_lo, exec_lo, s24
.LBB487_313:
	s_delay_alu instid0(SALU_CYCLE_1)
	s_and_b32 s24, s0, exec_lo
.LBB487_314:
	s_or_b32 exec_lo, exec_lo, s26
	v_or_b32_e32 v33, 5, v55
	s_mov_b32 s26, 0
	s_mov_b32 s27, 0
	s_mov_b32 s34, exec_lo
	s_delay_alu instid0(VALU_DEP_1)
	v_cmpx_gt_u32_e64 s31, v33
	s_cbranch_execz .LBB487_325
; %bb.315:
	s_and_not1_b32 vcc_lo, exec_lo, s13
	s_mov_b32 s0, 0
	s_cbranch_vccnz .LBB487_324
; %bb.316:
	v_mul_lo_u32 v37, v22, s14
	v_mul_lo_u32 v38, v21, s15
	v_mad_u64_u32 v[33:34], null, v21, s14, 0
	v_mul_lo_u32 v39, v24, s14
	v_mul_lo_u32 v40, v23, s15
	v_mad_u64_u32 v[35:36], null, v23, s14, 0
	s_mov_b32 s0, -1
	s_mov_b32 s27, exec_lo
	s_delay_alu instid0(VALU_DEP_4) | instskip(NEXT) | instid1(VALU_DEP_2)
	v_add3_u32 v34, v34, v38, v37
	v_add3_u32 v36, v36, v40, v39
	s_delay_alu instid0(VALU_DEP_2) | instskip(NEXT) | instid1(VALU_DEP_2)
	v_lshlrev_b64 v[33:34], 2, v[33:34]
	v_lshlrev_b64 v[37:38], 2, v[35:36]
	s_delay_alu instid0(VALU_DEP_2) | instskip(NEXT) | instid1(VALU_DEP_3)
	v_add_co_u32 v35, vcc_lo, s20, v33
	v_add_co_ci_u32_e32 v36, vcc_lo, s21, v34, vcc_lo
	s_delay_alu instid0(VALU_DEP_3) | instskip(NEXT) | instid1(VALU_DEP_4)
	v_add_co_u32 v33, vcc_lo, s20, v37
	v_add_co_ci_u32_e32 v34, vcc_lo, s21, v38, vcc_lo
	s_clause 0x1
	global_load_b32 v37, v[35:36], off
	global_load_b32 v38, v[33:34], off
	s_waitcnt vmcnt(0)
	v_cmpx_eq_u32_e64 v37, v38
	s_cbranch_execz .LBB487_323
; %bb.317:
	v_add_co_u32 v33, vcc_lo, v33, 4
	v_add_co_ci_u32_e32 v34, vcc_lo, 0, v34, vcc_lo
	v_add_co_u32 v35, vcc_lo, v35, 4
	v_add_co_ci_u32_e32 v36, vcc_lo, 0, v36, vcc_lo
	s_add_u32 s4, s14, -1
	s_addc_u32 s5, s15, -1
	s_mov_b64 s[6:7], 0
	s_mov_b32 s35, 0
                                        ; implicit-def: $sgpr36
	s_set_inst_prefetch_distance 0x1
	s_branch .LBB487_320
	.p2align	6
.LBB487_318:                            ;   in Loop: Header=BB487_320 Depth=1
	global_load_b32 v37, v[35:36], off
	global_load_b32 v38, v[33:34], off
	v_add_co_u32 v33, vcc_lo, v33, 4
	v_add_co_ci_u32_e32 v34, vcc_lo, 0, v34, vcc_lo
	v_add_co_u32 v35, s0, v35, 4
	s_delay_alu instid0(VALU_DEP_1)
	v_add_co_ci_u32_e64 v36, s0, 0, v36, s0
	s_add_u32 s6, s6, 1
	s_addc_u32 s7, s7, 0
	s_and_not1_b32 s0, s36, exec_lo
	s_waitcnt vmcnt(0)
	v_cmp_ne_u32_e32 vcc_lo, v37, v38
	s_and_b32 s36, vcc_lo, exec_lo
	s_delay_alu instid0(SALU_CYCLE_1)
	s_or_b32 s36, s0, s36
.LBB487_319:                            ;   in Loop: Header=BB487_320 Depth=1
	v_dual_mov_b32 v38, s7 :: v_dual_mov_b32 v37, s6
	s_and_b32 s0, exec_lo, s36
	s_delay_alu instid0(SALU_CYCLE_1) | instskip(NEXT) | instid1(SALU_CYCLE_1)
	s_or_b32 s35, s0, s35
	s_and_not1_b32 exec_lo, exec_lo, s35
	s_cbranch_execz .LBB487_322
.LBB487_320:                            ; =>This Inner Loop Header: Depth=1
	s_or_b32 s36, s36, exec_lo
	s_cmp_eq_u64 s[4:5], s[6:7]
	s_cbranch_scc0 .LBB487_318
; %bb.321:                              ;   in Loop: Header=BB487_320 Depth=1
	s_mov_b64 s[6:7], s[14:15]
                                        ; implicit-def: $vgpr33_vgpr34
                                        ; implicit-def: $vgpr35_vgpr36
	s_branch .LBB487_319
.LBB487_322:
	s_set_inst_prefetch_distance 0x2
	s_or_b32 exec_lo, exec_lo, s35
	v_cmp_gt_i64_e32 vcc_lo, s[14:15], v[37:38]
	s_or_not1_b32 s0, vcc_lo, exec_lo
.LBB487_323:
	s_or_b32 exec_lo, exec_lo, s27
.LBB487_324:
	s_delay_alu instid0(SALU_CYCLE_1)
	s_and_b32 s27, s0, exec_lo
.LBB487_325:
	s_or_b32 exec_lo, exec_lo, s34
	v_or_b32_e32 v33, 4, v55
	s_mov_b32 s34, exec_lo
	s_delay_alu instid0(VALU_DEP_1)
	v_cmpx_gt_u32_e64 s31, v33
	s_cbranch_execz .LBB487_336
; %bb.326:
	s_and_not1_b32 vcc_lo, exec_lo, s13
	s_mov_b32 s0, 0
	s_cbranch_vccnz .LBB487_335
; %bb.327:
	v_mul_lo_u32 v37, v28, s14
	v_mul_lo_u32 v38, v27, s15
	v_mad_u64_u32 v[33:34], null, v27, s14, 0
	v_mul_lo_u32 v39, v22, s14
	v_mul_lo_u32 v40, v21, s15
	v_mad_u64_u32 v[35:36], null, v21, s14, 0
	s_mov_b32 s0, -1
	s_mov_b32 s26, exec_lo
	s_delay_alu instid0(VALU_DEP_4) | instskip(NEXT) | instid1(VALU_DEP_2)
	v_add3_u32 v34, v34, v38, v37
	v_add3_u32 v36, v36, v40, v39
	s_delay_alu instid0(VALU_DEP_2) | instskip(NEXT) | instid1(VALU_DEP_2)
	v_lshlrev_b64 v[33:34], 2, v[33:34]
	v_lshlrev_b64 v[37:38], 2, v[35:36]
	s_delay_alu instid0(VALU_DEP_2) | instskip(NEXT) | instid1(VALU_DEP_3)
	v_add_co_u32 v35, vcc_lo, s20, v33
	v_add_co_ci_u32_e32 v36, vcc_lo, s21, v34, vcc_lo
	s_delay_alu instid0(VALU_DEP_3) | instskip(NEXT) | instid1(VALU_DEP_4)
	v_add_co_u32 v33, vcc_lo, s20, v37
	v_add_co_ci_u32_e32 v34, vcc_lo, s21, v38, vcc_lo
	s_clause 0x1
	global_load_b32 v37, v[35:36], off
	global_load_b32 v38, v[33:34], off
	s_waitcnt vmcnt(0)
	v_cmpx_eq_u32_e64 v37, v38
	s_cbranch_execz .LBB487_334
; %bb.328:
	v_add_co_u32 v33, vcc_lo, v33, 4
	v_add_co_ci_u32_e32 v34, vcc_lo, 0, v34, vcc_lo
	v_add_co_u32 v35, vcc_lo, v35, 4
	v_add_co_ci_u32_e32 v36, vcc_lo, 0, v36, vcc_lo
	s_add_u32 s4, s14, -1
	s_addc_u32 s5, s15, -1
	s_mov_b64 s[6:7], 0
	s_mov_b32 s35, 0
                                        ; implicit-def: $sgpr36
	s_set_inst_prefetch_distance 0x1
	s_branch .LBB487_331
	.p2align	6
.LBB487_329:                            ;   in Loop: Header=BB487_331 Depth=1
	global_load_b32 v37, v[35:36], off
	global_load_b32 v38, v[33:34], off
	v_add_co_u32 v33, vcc_lo, v33, 4
	v_add_co_ci_u32_e32 v34, vcc_lo, 0, v34, vcc_lo
	v_add_co_u32 v35, s0, v35, 4
	s_delay_alu instid0(VALU_DEP_1)
	v_add_co_ci_u32_e64 v36, s0, 0, v36, s0
	s_add_u32 s6, s6, 1
	s_addc_u32 s7, s7, 0
	s_and_not1_b32 s0, s36, exec_lo
	s_waitcnt vmcnt(0)
	v_cmp_ne_u32_e32 vcc_lo, v37, v38
	s_and_b32 s36, vcc_lo, exec_lo
	s_delay_alu instid0(SALU_CYCLE_1)
	s_or_b32 s36, s0, s36
.LBB487_330:                            ;   in Loop: Header=BB487_331 Depth=1
	v_dual_mov_b32 v38, s7 :: v_dual_mov_b32 v37, s6
	s_and_b32 s0, exec_lo, s36
	s_delay_alu instid0(SALU_CYCLE_1) | instskip(NEXT) | instid1(SALU_CYCLE_1)
	s_or_b32 s35, s0, s35
	s_and_not1_b32 exec_lo, exec_lo, s35
	s_cbranch_execz .LBB487_333
.LBB487_331:                            ; =>This Inner Loop Header: Depth=1
	s_or_b32 s36, s36, exec_lo
	s_cmp_eq_u64 s[4:5], s[6:7]
	s_cbranch_scc0 .LBB487_329
; %bb.332:                              ;   in Loop: Header=BB487_331 Depth=1
	s_mov_b64 s[6:7], s[14:15]
                                        ; implicit-def: $vgpr33_vgpr34
                                        ; implicit-def: $vgpr35_vgpr36
	s_branch .LBB487_330
.LBB487_333:
	s_set_inst_prefetch_distance 0x2
	s_or_b32 exec_lo, exec_lo, s35
	v_cmp_gt_i64_e32 vcc_lo, s[14:15], v[37:38]
	s_or_not1_b32 s0, vcc_lo, exec_lo
.LBB487_334:
	s_or_b32 exec_lo, exec_lo, s26
.LBB487_335:
	s_delay_alu instid0(SALU_CYCLE_1)
	s_and_b32 s26, s0, exec_lo
.LBB487_336:
	s_or_b32 exec_lo, exec_lo, s34
	v_or_b32_e32 v33, 3, v55
	s_mov_b32 s35, 0
	s_mov_b32 s34, 0
	s_mov_b32 s36, exec_lo
	s_delay_alu instid0(VALU_DEP_1)
	v_cmpx_gt_u32_e64 s31, v33
	s_cbranch_execz .LBB487_347
; %bb.337:
	s_and_not1_b32 vcc_lo, exec_lo, s13
	s_mov_b32 s0, 0
	s_cbranch_vccnz .LBB487_346
; %bb.338:
	v_mul_lo_u32 v37, v26, s14
	v_mul_lo_u32 v38, v25, s15
	v_mad_u64_u32 v[33:34], null, v25, s14, 0
	v_mul_lo_u32 v39, v28, s14
	v_mul_lo_u32 v40, v27, s15
	v_mad_u64_u32 v[35:36], null, v27, s14, 0
	s_mov_b32 s0, -1
	s_mov_b32 s34, exec_lo
	s_delay_alu instid0(VALU_DEP_4) | instskip(NEXT) | instid1(VALU_DEP_2)
	v_add3_u32 v34, v34, v38, v37
	v_add3_u32 v36, v36, v40, v39
	s_delay_alu instid0(VALU_DEP_2) | instskip(NEXT) | instid1(VALU_DEP_2)
	v_lshlrev_b64 v[33:34], 2, v[33:34]
	v_lshlrev_b64 v[37:38], 2, v[35:36]
	s_delay_alu instid0(VALU_DEP_2) | instskip(NEXT) | instid1(VALU_DEP_3)
	v_add_co_u32 v35, vcc_lo, s20, v33
	v_add_co_ci_u32_e32 v36, vcc_lo, s21, v34, vcc_lo
	s_delay_alu instid0(VALU_DEP_3) | instskip(NEXT) | instid1(VALU_DEP_4)
	v_add_co_u32 v33, vcc_lo, s20, v37
	v_add_co_ci_u32_e32 v34, vcc_lo, s21, v38, vcc_lo
	s_clause 0x1
	global_load_b32 v37, v[35:36], off
	global_load_b32 v38, v[33:34], off
	s_waitcnt vmcnt(0)
	v_cmpx_eq_u32_e64 v37, v38
	s_cbranch_execz .LBB487_345
; %bb.339:
	v_add_co_u32 v33, vcc_lo, v33, 4
	v_add_co_ci_u32_e32 v34, vcc_lo, 0, v34, vcc_lo
	v_add_co_u32 v35, vcc_lo, v35, 4
	v_add_co_ci_u32_e32 v36, vcc_lo, 0, v36, vcc_lo
	s_add_u32 s4, s14, -1
	s_addc_u32 s5, s15, -1
	s_mov_b64 s[6:7], 0
	s_mov_b32 s37, 0
                                        ; implicit-def: $sgpr38
	s_set_inst_prefetch_distance 0x1
	s_branch .LBB487_342
	.p2align	6
.LBB487_340:                            ;   in Loop: Header=BB487_342 Depth=1
	global_load_b32 v37, v[35:36], off
	global_load_b32 v38, v[33:34], off
	v_add_co_u32 v33, vcc_lo, v33, 4
	v_add_co_ci_u32_e32 v34, vcc_lo, 0, v34, vcc_lo
	v_add_co_u32 v35, s0, v35, 4
	s_delay_alu instid0(VALU_DEP_1)
	v_add_co_ci_u32_e64 v36, s0, 0, v36, s0
	s_add_u32 s6, s6, 1
	s_addc_u32 s7, s7, 0
	s_and_not1_b32 s0, s38, exec_lo
	s_waitcnt vmcnt(0)
	v_cmp_ne_u32_e32 vcc_lo, v37, v38
	s_and_b32 s38, vcc_lo, exec_lo
	s_delay_alu instid0(SALU_CYCLE_1)
	s_or_b32 s38, s0, s38
.LBB487_341:                            ;   in Loop: Header=BB487_342 Depth=1
	v_dual_mov_b32 v38, s7 :: v_dual_mov_b32 v37, s6
	s_and_b32 s0, exec_lo, s38
	s_delay_alu instid0(SALU_CYCLE_1) | instskip(NEXT) | instid1(SALU_CYCLE_1)
	s_or_b32 s37, s0, s37
	s_and_not1_b32 exec_lo, exec_lo, s37
	s_cbranch_execz .LBB487_344
.LBB487_342:                            ; =>This Inner Loop Header: Depth=1
	s_or_b32 s38, s38, exec_lo
	s_cmp_eq_u64 s[4:5], s[6:7]
	s_cbranch_scc0 .LBB487_340
; %bb.343:                              ;   in Loop: Header=BB487_342 Depth=1
	s_mov_b64 s[6:7], s[14:15]
                                        ; implicit-def: $vgpr33_vgpr34
                                        ; implicit-def: $vgpr35_vgpr36
	s_branch .LBB487_341
.LBB487_344:
	s_set_inst_prefetch_distance 0x2
	s_or_b32 exec_lo, exec_lo, s37
	v_cmp_gt_i64_e32 vcc_lo, s[14:15], v[37:38]
	s_or_not1_b32 s0, vcc_lo, exec_lo
.LBB487_345:
	s_or_b32 exec_lo, exec_lo, s34
.LBB487_346:
	s_delay_alu instid0(SALU_CYCLE_1)
	s_and_b32 s34, s0, exec_lo
.LBB487_347:
	s_or_b32 exec_lo, exec_lo, s36
	v_or_b32_e32 v33, 2, v55
	s_mov_b32 s36, exec_lo
	s_delay_alu instid0(VALU_DEP_1)
	v_cmpx_gt_u32_e64 s31, v33
	s_cbranch_execz .LBB487_358
; %bb.348:
	s_and_not1_b32 vcc_lo, exec_lo, s13
	s_mov_b32 s0, 0
	s_cbranch_vccnz .LBB487_357
; %bb.349:
	v_mul_lo_u32 v37, v32, s14
	v_mul_lo_u32 v38, v31, s15
	v_mad_u64_u32 v[33:34], null, v31, s14, 0
	v_mul_lo_u32 v39, v26, s14
	v_mul_lo_u32 v40, v25, s15
	v_mad_u64_u32 v[35:36], null, v25, s14, 0
	s_mov_b32 s0, -1
	s_mov_b32 s35, exec_lo
	s_delay_alu instid0(VALU_DEP_4) | instskip(NEXT) | instid1(VALU_DEP_2)
	v_add3_u32 v34, v34, v38, v37
	v_add3_u32 v36, v36, v40, v39
	s_delay_alu instid0(VALU_DEP_2) | instskip(NEXT) | instid1(VALU_DEP_2)
	v_lshlrev_b64 v[33:34], 2, v[33:34]
	v_lshlrev_b64 v[37:38], 2, v[35:36]
	s_delay_alu instid0(VALU_DEP_2) | instskip(NEXT) | instid1(VALU_DEP_3)
	v_add_co_u32 v35, vcc_lo, s20, v33
	v_add_co_ci_u32_e32 v36, vcc_lo, s21, v34, vcc_lo
	s_delay_alu instid0(VALU_DEP_3) | instskip(NEXT) | instid1(VALU_DEP_4)
	v_add_co_u32 v33, vcc_lo, s20, v37
	v_add_co_ci_u32_e32 v34, vcc_lo, s21, v38, vcc_lo
	s_clause 0x1
	global_load_b32 v37, v[35:36], off
	global_load_b32 v38, v[33:34], off
	s_waitcnt vmcnt(0)
	v_cmpx_eq_u32_e64 v37, v38
	s_cbranch_execz .LBB487_356
; %bb.350:
	v_add_co_u32 v33, vcc_lo, v33, 4
	v_add_co_ci_u32_e32 v34, vcc_lo, 0, v34, vcc_lo
	v_add_co_u32 v35, vcc_lo, v35, 4
	v_add_co_ci_u32_e32 v36, vcc_lo, 0, v36, vcc_lo
	s_add_u32 s4, s14, -1
	s_addc_u32 s5, s15, -1
	s_mov_b64 s[6:7], 0
	s_mov_b32 s37, 0
                                        ; implicit-def: $sgpr38
	s_set_inst_prefetch_distance 0x1
	s_branch .LBB487_353
	.p2align	6
.LBB487_351:                            ;   in Loop: Header=BB487_353 Depth=1
	global_load_b32 v37, v[35:36], off
	global_load_b32 v38, v[33:34], off
	v_add_co_u32 v33, vcc_lo, v33, 4
	v_add_co_ci_u32_e32 v34, vcc_lo, 0, v34, vcc_lo
	v_add_co_u32 v35, s0, v35, 4
	s_delay_alu instid0(VALU_DEP_1)
	v_add_co_ci_u32_e64 v36, s0, 0, v36, s0
	s_add_u32 s6, s6, 1
	s_addc_u32 s7, s7, 0
	s_and_not1_b32 s0, s38, exec_lo
	s_waitcnt vmcnt(0)
	v_cmp_ne_u32_e32 vcc_lo, v37, v38
	s_and_b32 s38, vcc_lo, exec_lo
	s_delay_alu instid0(SALU_CYCLE_1)
	s_or_b32 s38, s0, s38
.LBB487_352:                            ;   in Loop: Header=BB487_353 Depth=1
	v_dual_mov_b32 v38, s7 :: v_dual_mov_b32 v37, s6
	s_and_b32 s0, exec_lo, s38
	s_delay_alu instid0(SALU_CYCLE_1) | instskip(NEXT) | instid1(SALU_CYCLE_1)
	s_or_b32 s37, s0, s37
	s_and_not1_b32 exec_lo, exec_lo, s37
	s_cbranch_execz .LBB487_355
.LBB487_353:                            ; =>This Inner Loop Header: Depth=1
	s_or_b32 s38, s38, exec_lo
	s_cmp_eq_u64 s[4:5], s[6:7]
	s_cbranch_scc0 .LBB487_351
; %bb.354:                              ;   in Loop: Header=BB487_353 Depth=1
	s_mov_b64 s[6:7], s[14:15]
                                        ; implicit-def: $vgpr33_vgpr34
                                        ; implicit-def: $vgpr35_vgpr36
	s_branch .LBB487_352
.LBB487_355:
	s_set_inst_prefetch_distance 0x2
	s_or_b32 exec_lo, exec_lo, s37
	v_cmp_gt_i64_e32 vcc_lo, s[14:15], v[37:38]
	s_or_not1_b32 s0, vcc_lo, exec_lo
.LBB487_356:
	s_or_b32 exec_lo, exec_lo, s35
.LBB487_357:
	s_delay_alu instid0(SALU_CYCLE_1)
	s_and_b32 s35, s0, exec_lo
.LBB487_358:
	s_or_b32 exec_lo, exec_lo, s36
	v_or_b32_e32 v33, 1, v55
	s_mov_b32 s0, 0
	s_mov_b32 s36, exec_lo
	s_delay_alu instid0(VALU_DEP_1)
	v_cmpx_gt_u32_e64 s31, v33
	s_cbranch_execz .LBB487_369
; %bb.359:
	s_and_not1_b32 vcc_lo, exec_lo, s13
	s_cbranch_vccnz .LBB487_368
; %bb.360:
	v_mul_lo_u32 v37, v30, s14
	v_mul_lo_u32 v38, v29, s15
	v_mad_u64_u32 v[33:34], null, v29, s14, 0
	v_mul_lo_u32 v39, v32, s14
	v_mul_lo_u32 v40, v31, s15
	v_mad_u64_u32 v[35:36], null, v31, s14, 0
	s_mov_b32 s0, -1
	s_mov_b32 s37, exec_lo
	s_delay_alu instid0(VALU_DEP_4) | instskip(NEXT) | instid1(VALU_DEP_2)
	v_add3_u32 v34, v34, v38, v37
	v_add3_u32 v36, v36, v40, v39
	s_delay_alu instid0(VALU_DEP_2) | instskip(NEXT) | instid1(VALU_DEP_2)
	v_lshlrev_b64 v[33:34], 2, v[33:34]
	v_lshlrev_b64 v[37:38], 2, v[35:36]
	s_delay_alu instid0(VALU_DEP_2) | instskip(NEXT) | instid1(VALU_DEP_3)
	v_add_co_u32 v35, vcc_lo, s20, v33
	v_add_co_ci_u32_e32 v36, vcc_lo, s21, v34, vcc_lo
	s_delay_alu instid0(VALU_DEP_3) | instskip(NEXT) | instid1(VALU_DEP_4)
	v_add_co_u32 v33, vcc_lo, s20, v37
	v_add_co_ci_u32_e32 v34, vcc_lo, s21, v38, vcc_lo
	s_clause 0x1
	global_load_b32 v37, v[35:36], off
	global_load_b32 v38, v[33:34], off
	s_waitcnt vmcnt(0)
	v_cmpx_eq_u32_e64 v37, v38
	s_cbranch_execz .LBB487_367
; %bb.361:
	v_add_co_u32 v33, vcc_lo, v33, 4
	v_add_co_ci_u32_e32 v34, vcc_lo, 0, v34, vcc_lo
	v_add_co_u32 v35, vcc_lo, v35, 4
	v_add_co_ci_u32_e32 v36, vcc_lo, 0, v36, vcc_lo
	s_add_u32 s4, s14, -1
	s_addc_u32 s5, s15, -1
	s_mov_b64 s[6:7], 0
	s_mov_b32 s38, 0
                                        ; implicit-def: $sgpr39
	s_set_inst_prefetch_distance 0x1
	s_branch .LBB487_364
	.p2align	6
.LBB487_362:                            ;   in Loop: Header=BB487_364 Depth=1
	global_load_b32 v37, v[35:36], off
	global_load_b32 v38, v[33:34], off
	v_add_co_u32 v33, vcc_lo, v33, 4
	v_add_co_ci_u32_e32 v34, vcc_lo, 0, v34, vcc_lo
	v_add_co_u32 v35, s0, v35, 4
	s_delay_alu instid0(VALU_DEP_1)
	v_add_co_ci_u32_e64 v36, s0, 0, v36, s0
	s_add_u32 s6, s6, 1
	s_addc_u32 s7, s7, 0
	s_and_not1_b32 s0, s39, exec_lo
	s_waitcnt vmcnt(0)
	v_cmp_ne_u32_e32 vcc_lo, v37, v38
	s_and_b32 s39, vcc_lo, exec_lo
	s_delay_alu instid0(SALU_CYCLE_1)
	s_or_b32 s39, s0, s39
.LBB487_363:                            ;   in Loop: Header=BB487_364 Depth=1
	v_dual_mov_b32 v38, s7 :: v_dual_mov_b32 v37, s6
	s_and_b32 s0, exec_lo, s39
	s_delay_alu instid0(SALU_CYCLE_1) | instskip(NEXT) | instid1(SALU_CYCLE_1)
	s_or_b32 s38, s0, s38
	s_and_not1_b32 exec_lo, exec_lo, s38
	s_cbranch_execz .LBB487_366
.LBB487_364:                            ; =>This Inner Loop Header: Depth=1
	s_or_b32 s39, s39, exec_lo
	s_cmp_eq_u64 s[4:5], s[6:7]
	s_cbranch_scc0 .LBB487_362
; %bb.365:                              ;   in Loop: Header=BB487_364 Depth=1
	s_mov_b64 s[6:7], s[14:15]
                                        ; implicit-def: $vgpr33_vgpr34
                                        ; implicit-def: $vgpr35_vgpr36
	s_branch .LBB487_363
.LBB487_366:
	s_set_inst_prefetch_distance 0x2
	s_or_b32 exec_lo, exec_lo, s38
	v_cmp_gt_i64_e32 vcc_lo, s[14:15], v[37:38]
	s_or_not1_b32 s0, vcc_lo, exec_lo
.LBB487_367:
	s_or_b32 exec_lo, exec_lo, s37
.LBB487_368:
	s_delay_alu instid0(SALU_CYCLE_1)
	s_and_b32 s0, s0, exec_lo
.LBB487_369:
	s_or_b32 exec_lo, exec_lo, s36
	v_cndmask_b32_e64 v34, 0, 1, s34
	v_cndmask_b32_e64 v35, 0, 1, s27
	;; [unrolled: 1-line block ×7, first 2 shown]
	v_lshlrev_b16 v35, 8, v35
	v_lshlrev_b16 v36, 8, v36
	;; [unrolled: 1-line block ×4, first 2 shown]
	s_waitcnt lgkmcnt(0)
	v_or_b32_e32 v35, v38, v35
	v_or_b32_e32 v36, v39, v36
	;; [unrolled: 1-line block ×4, first 2 shown]
	s_barrier
	v_and_b32_e32 v34, 0xffff, v35
	v_lshlrev_b32_e32 v35, 16, v36
	v_and_b32_e32 v37, 0xffff, v37
	v_lshlrev_b32_e32 v33, 16, v33
	buffer_gl0_inv
                                        ; implicit-def: $sgpr0
	v_or_b32_e32 v36, v34, v35
	v_or_b32_e32 v35, v37, v33
	s_and_saveexec_b32 s24, s3
	s_cbranch_execz .LBB487_382
; %bb.370:
	s_mov_b32 s0, 0
	s_mov_b32 s3, exec_lo
	v_cmpx_gt_u32_e64 s31, v55
	s_cbranch_execz .LBB487_381
; %bb.371:
	s_and_not1_b32 vcc_lo, exec_lo, s13
	s_cbranch_vccnz .LBB487_380
; %bb.372:
	v_add_nc_u32_e32 v33, -8, v55
	v_mul_lo_u32 v41, v30, s14
	v_mul_lo_u32 v42, v29, s15
	s_mov_b32 s0, -1
	s_mov_b32 s13, exec_lo
	ds_load_b64 v[33:34], v33
	s_waitcnt lgkmcnt(0)
	v_mul_lo_u32 v39, v34, s14
	v_mul_lo_u32 v40, v33, s15
	v_mad_u64_u32 v[37:38], null, v33, s14, 0
	v_mad_u64_u32 v[33:34], null, v29, s14, 0
	s_delay_alu instid0(VALU_DEP_2) | instskip(NEXT) | instid1(VALU_DEP_2)
	v_add3_u32 v38, v38, v40, v39
	v_add3_u32 v34, v34, v42, v41
	s_delay_alu instid0(VALU_DEP_2) | instskip(NEXT) | instid1(VALU_DEP_2)
	v_lshlrev_b64 v[37:38], 2, v[37:38]
	v_lshlrev_b64 v[33:34], 2, v[33:34]
	s_delay_alu instid0(VALU_DEP_2) | instskip(NEXT) | instid1(VALU_DEP_3)
	v_add_co_u32 v37, vcc_lo, s20, v37
	v_add_co_ci_u32_e32 v38, vcc_lo, s21, v38, vcc_lo
	s_delay_alu instid0(VALU_DEP_3) | instskip(NEXT) | instid1(VALU_DEP_4)
	v_add_co_u32 v33, vcc_lo, s20, v33
	v_add_co_ci_u32_e32 v34, vcc_lo, s21, v34, vcc_lo
	s_clause 0x1
	global_load_b32 v39, v[37:38], off
	global_load_b32 v40, v[33:34], off
	s_waitcnt vmcnt(0)
	v_cmpx_eq_u32_e64 v39, v40
	s_cbranch_execz .LBB487_379
; %bb.373:
	v_add_co_u32 v33, vcc_lo, v33, 4
	v_add_co_ci_u32_e32 v34, vcc_lo, 0, v34, vcc_lo
	v_add_co_u32 v37, vcc_lo, v37, 4
	v_add_co_ci_u32_e32 v38, vcc_lo, 0, v38, vcc_lo
	s_add_u32 s4, s14, -1
	s_addc_u32 s5, s15, -1
	s_mov_b64 s[6:7], 0
	s_mov_b32 s20, 0
                                        ; implicit-def: $sgpr21
	s_set_inst_prefetch_distance 0x1
	s_branch .LBB487_376
	.p2align	6
.LBB487_374:                            ;   in Loop: Header=BB487_376 Depth=1
	global_load_b32 v39, v[37:38], off
	global_load_b32 v40, v[33:34], off
	v_add_co_u32 v33, vcc_lo, v33, 4
	v_add_co_ci_u32_e32 v34, vcc_lo, 0, v34, vcc_lo
	v_add_co_u32 v37, s0, v37, 4
	s_delay_alu instid0(VALU_DEP_1)
	v_add_co_ci_u32_e64 v38, s0, 0, v38, s0
	s_add_u32 s6, s6, 1
	s_addc_u32 s7, s7, 0
	s_and_not1_b32 s0, s21, exec_lo
	s_waitcnt vmcnt(0)
	v_cmp_ne_u32_e32 vcc_lo, v39, v40
	s_and_b32 s21, vcc_lo, exec_lo
	s_delay_alu instid0(SALU_CYCLE_1)
	s_or_b32 s21, s0, s21
.LBB487_375:                            ;   in Loop: Header=BB487_376 Depth=1
	v_dual_mov_b32 v40, s7 :: v_dual_mov_b32 v39, s6
	s_and_b32 s0, exec_lo, s21
	s_delay_alu instid0(SALU_CYCLE_1) | instskip(NEXT) | instid1(SALU_CYCLE_1)
	s_or_b32 s20, s0, s20
	s_and_not1_b32 exec_lo, exec_lo, s20
	s_cbranch_execz .LBB487_378
.LBB487_376:                            ; =>This Inner Loop Header: Depth=1
	s_or_b32 s21, s21, exec_lo
	s_cmp_eq_u64 s[4:5], s[6:7]
	s_cbranch_scc0 .LBB487_374
; %bb.377:                              ;   in Loop: Header=BB487_376 Depth=1
	s_mov_b64 s[6:7], s[14:15]
                                        ; implicit-def: $vgpr33_vgpr34
                                        ; implicit-def: $vgpr37_vgpr38
	s_branch .LBB487_375
.LBB487_378:
	s_set_inst_prefetch_distance 0x2
	s_or_b32 exec_lo, exec_lo, s20
	v_cmp_gt_i64_e32 vcc_lo, s[14:15], v[39:40]
	s_or_not1_b32 s0, vcc_lo, exec_lo
.LBB487_379:
	s_or_b32 exec_lo, exec_lo, s13
.LBB487_380:
	s_delay_alu instid0(SALU_CYCLE_1)
	s_and_b32 s0, s0, exec_lo
.LBB487_381:
	s_or_b32 exec_lo, exec_lo, s3
	s_delay_alu instid0(SALU_CYCLE_1)
	s_and_b32 s0, s0, exec_lo
	s_or_b32 s1, s1, exec_lo
.LBB487_382:
	s_or_b32 exec_lo, exec_lo, s24
.LBB487_383:
	s_and_saveexec_b32 s3, s1
	s_cbranch_execz .LBB487_385
; %bb.384:
	s_waitcnt vmcnt(0) lgkmcnt(0)
	v_and_b32_e32 v33, 0xffffff00, v35
	v_cndmask_b32_e64 v34, 0, 1, s0
	s_delay_alu instid0(VALU_DEP_1) | instskip(NEXT) | instid1(VALU_DEP_1)
	v_or_b32_e32 v33, v34, v33
	v_and_b32_e32 v33, 0xffff, v33
	s_delay_alu instid0(VALU_DEP_1)
	v_and_or_b32 v35, 0xffff0000, v35, v33
.LBB487_385:
	s_or_b32 exec_lo, exec_lo, s3
	s_delay_alu instid0(SALU_CYCLE_1)
	s_and_not1_b32 vcc_lo, exec_lo, s33
	s_cbranch_vccnz .LBB487_387
; %bb.386:
	v_cmp_gt_u32_e32 vcc_lo, s31, v55
	s_waitcnt vmcnt(0) lgkmcnt(0)
	v_or_b32_e32 v34, 1, v55
	v_and_b32_e32 v37, 0xffffff00, v36
	v_or_b32_e32 v38, 2, v55
	v_cndmask_b32_e32 v33, 0, v35, vcc_lo
	s_delay_alu instid0(VALU_DEP_4) | instskip(SKIP_1) | instid1(VALU_DEP_4)
	v_cmp_gt_u32_e32 vcc_lo, s31, v34
	v_or_b32_e32 v34, 4, v55
	v_cmp_gt_u32_e64 s0, s31, v38
	v_or_b32_e32 v38, 3, v55
	v_and_b32_e32 v33, 0xff, v33
	s_delay_alu instid0(VALU_DEP_2) | instskip(NEXT) | instid1(VALU_DEP_2)
	v_cmp_gt_u32_e64 s1, s31, v38
	v_cndmask_b32_e32 v33, v33, v35, vcc_lo
	v_cmp_gt_u32_e32 vcc_lo, s31, v34
	v_cndmask_b32_e32 v34, v37, v36, vcc_lo
	v_or_b32_e32 v37, 5, v55
	s_delay_alu instid0(VALU_DEP_2) | instskip(SKIP_1) | instid1(VALU_DEP_1)
	v_and_b32_e32 v34, 0xffff00ff, v34
	v_and_b32_e32 v33, 0xffff, v33
	v_cndmask_b32_e64 v33, v33, v35, s0
	s_delay_alu instid0(VALU_DEP_4) | instskip(SKIP_1) | instid1(VALU_DEP_3)
	v_cmp_gt_u32_e64 s0, s31, v37
	v_or_b32_e32 v37, 6, v55
	v_and_b32_e32 v33, 0xffffff, v33
	s_delay_alu instid0(VALU_DEP_3) | instskip(NEXT) | instid1(VALU_DEP_2)
	v_cndmask_b32_e64 v34, v34, v36, s0
	v_cndmask_b32_e64 v33, v33, v35, s1
	s_delay_alu instid0(VALU_DEP_1) | instskip(SKIP_2) | instid1(VALU_DEP_3)
	v_dual_cndmask_b32 v33, v33, v35 :: v_dual_and_b32 v34, 0xff00ffff, v34
	v_cmp_gt_u32_e32 vcc_lo, s31, v37
	v_or_b32_e32 v37, 7, v55
	v_cndmask_b32_e64 v33, v33, v35, s0
	s_delay_alu instid0(VALU_DEP_1) | instskip(NEXT) | instid1(VALU_DEP_1)
	v_dual_cndmask_b32 v34, v34, v36 :: v_dual_cndmask_b32 v33, v33, v35
	v_and_b32_e32 v34, 0xffffff, v34
	s_delay_alu instid0(VALU_DEP_4) | instskip(NEXT) | instid1(VALU_DEP_2)
	v_cmp_gt_u32_e32 vcc_lo, s31, v37
	v_dual_cndmask_b32 v36, v34, v36 :: v_dual_cndmask_b32 v35, v33, v35
.LBB487_387:
	s_delay_alu instid0(VALU_DEP_1) | instskip(SKIP_1) | instid1(VALU_DEP_2)
	v_and_b32_e32 v44, 0xff, v35
	s_waitcnt vmcnt(0) lgkmcnt(0)
	v_alignbit_b32 v33, v36, v35, 24
	v_bfe_u32 v46, v35, 8, 8
	v_bfe_u32 v48, v35, 16, 8
	v_and_b32_e32 v52, 0xff, v36
	v_bfe_u32 v54, v36, 8, 8
	v_and_b32_e32 v50, 0xff, v33
	v_add_nc_u32_e32 v33, v46, v44
	v_mbcnt_lo_u32_b32 v58, -1, 0
	v_bfe_u32 v57, v36, 16, 8
	v_lshrrev_b32_e32 v56, 24, v36
	v_lshrrev_b32_e32 v59, 5, v0
	v_add3_u32 v33, v33, v48, v50
	v_and_b32_e32 v34, 15, v58
	v_and_b32_e32 v37, 16, v58
	s_and_b32 vcc_lo, exec_lo, s12
	s_mov_b32 s7, -1
	v_add3_u32 v33, v33, v52, v54
	v_cmp_eq_u32_e64 s3, 0, v34
	v_cmp_lt_u32_e64 s0, 1, v34
	v_cmp_lt_u32_e64 s4, 3, v34
	;; [unrolled: 1-line block ×3, first 2 shown]
	v_add3_u32 v60, v33, v57, v56
	v_or_b32_e32 v33, 31, v0
	v_cmp_eq_u32_e64 s6, 0, v37
	s_barrier
	buffer_gl0_inv
	v_cmp_eq_u32_e64 s5, v33, v0
	s_cbranch_vccz .LBB487_418
; %bb.388:
	v_mov_b32_dpp v33, v60 row_shr:1 row_mask:0xf bank_mask:0xf
	s_delay_alu instid0(VALU_DEP_1) | instskip(NEXT) | instid1(VALU_DEP_1)
	v_cndmask_b32_e64 v33, v33, 0, s3
	v_add_nc_u32_e32 v33, v33, v60
	s_delay_alu instid0(VALU_DEP_1) | instskip(NEXT) | instid1(VALU_DEP_1)
	v_mov_b32_dpp v34, v33 row_shr:2 row_mask:0xf bank_mask:0xf
	v_cndmask_b32_e64 v34, 0, v34, s0
	s_delay_alu instid0(VALU_DEP_1) | instskip(NEXT) | instid1(VALU_DEP_1)
	v_add_nc_u32_e32 v33, v33, v34
	v_mov_b32_dpp v34, v33 row_shr:4 row_mask:0xf bank_mask:0xf
	s_delay_alu instid0(VALU_DEP_1) | instskip(NEXT) | instid1(VALU_DEP_1)
	v_cndmask_b32_e64 v34, 0, v34, s4
	v_add_nc_u32_e32 v33, v33, v34
	s_delay_alu instid0(VALU_DEP_1) | instskip(NEXT) | instid1(VALU_DEP_1)
	v_mov_b32_dpp v34, v33 row_shr:8 row_mask:0xf bank_mask:0xf
	v_cndmask_b32_e64 v34, 0, v34, s1
	s_delay_alu instid0(VALU_DEP_1) | instskip(SKIP_3) | instid1(VALU_DEP_1)
	v_add_nc_u32_e32 v33, v33, v34
	ds_swizzle_b32 v34, v33 offset:swizzle(BROADCAST,32,15)
	s_waitcnt lgkmcnt(0)
	v_cndmask_b32_e64 v34, v34, 0, s6
	v_add_nc_u32_e32 v33, v33, v34
	s_and_saveexec_b32 s7, s5
	s_cbranch_execz .LBB487_390
; %bb.389:
	v_lshlrev_b32_e32 v34, 2, v59
	ds_store_b32 v34, v33
.LBB487_390:
	s_or_b32 exec_lo, exec_lo, s7
	s_delay_alu instid0(SALU_CYCLE_1)
	s_mov_b32 s7, exec_lo
	s_waitcnt lgkmcnt(0)
	s_barrier
	buffer_gl0_inv
	v_cmpx_gt_u32_e32 16, v0
	s_cbranch_execz .LBB487_392
; %bb.391:
	v_lshlrev_b32_e32 v34, 2, v0
	ds_load_b32 v37, v34
	s_waitcnt lgkmcnt(0)
	v_mov_b32_dpp v38, v37 row_shr:1 row_mask:0xf bank_mask:0xf
	s_delay_alu instid0(VALU_DEP_1) | instskip(NEXT) | instid1(VALU_DEP_1)
	v_cndmask_b32_e64 v38, v38, 0, s3
	v_add_nc_u32_e32 v37, v38, v37
	s_delay_alu instid0(VALU_DEP_1) | instskip(NEXT) | instid1(VALU_DEP_1)
	v_mov_b32_dpp v38, v37 row_shr:2 row_mask:0xf bank_mask:0xf
	v_cndmask_b32_e64 v38, 0, v38, s0
	s_delay_alu instid0(VALU_DEP_1) | instskip(NEXT) | instid1(VALU_DEP_1)
	v_add_nc_u32_e32 v37, v37, v38
	v_mov_b32_dpp v38, v37 row_shr:4 row_mask:0xf bank_mask:0xf
	s_delay_alu instid0(VALU_DEP_1) | instskip(NEXT) | instid1(VALU_DEP_1)
	v_cndmask_b32_e64 v38, 0, v38, s4
	v_add_nc_u32_e32 v37, v37, v38
	s_delay_alu instid0(VALU_DEP_1) | instskip(NEXT) | instid1(VALU_DEP_1)
	v_mov_b32_dpp v38, v37 row_shr:8 row_mask:0xf bank_mask:0xf
	v_cndmask_b32_e64 v38, 0, v38, s1
	s_delay_alu instid0(VALU_DEP_1)
	v_add_nc_u32_e32 v37, v37, v38
	ds_store_b32 v34, v37
.LBB487_392:
	s_or_b32 exec_lo, exec_lo, s7
	v_cmp_gt_u32_e32 vcc_lo, 32, v0
	s_mov_b32 s12, exec_lo
	s_waitcnt lgkmcnt(0)
	s_barrier
	buffer_gl0_inv
                                        ; implicit-def: $vgpr43
	v_cmpx_lt_u32_e32 31, v0
	s_cbranch_execz .LBB487_394
; %bb.393:
	v_lshl_add_u32 v34, v59, 2, -4
	ds_load_b32 v43, v34
	s_waitcnt lgkmcnt(0)
	v_add_nc_u32_e32 v33, v43, v33
.LBB487_394:
	s_or_b32 exec_lo, exec_lo, s12
	v_add_nc_u32_e32 v34, -1, v58
	s_delay_alu instid0(VALU_DEP_1) | instskip(NEXT) | instid1(VALU_DEP_1)
	v_cmp_gt_i32_e64 s7, 0, v34
	v_cndmask_b32_e64 v34, v34, v58, s7
	v_cmp_eq_u32_e64 s7, 0, v58
	s_delay_alu instid0(VALU_DEP_2)
	v_lshlrev_b32_e32 v34, 2, v34
	ds_bpermute_b32 v45, v34, v33
	s_and_saveexec_b32 s12, vcc_lo
	s_cbranch_execz .LBB487_417
; %bb.395:
	v_mov_b32_e32 v39, 0
	ds_load_b32 v33, v39 offset:60
	s_and_saveexec_b32 s13, s7
	s_cbranch_execz .LBB487_397
; %bb.396:
	s_add_i32 s14, s30, 32
	s_mov_b32 s15, 0
	v_mov_b32_e32 v34, 1
	s_lshl_b64 s[14:15], s[14:15], 3
	s_delay_alu instid0(SALU_CYCLE_1)
	s_add_u32 s14, s22, s14
	s_addc_u32 s15, s23, s15
	s_waitcnt lgkmcnt(0)
	global_store_b64 v39, v[33:34], s[14:15]
.LBB487_397:
	s_or_b32 exec_lo, exec_lo, s13
	v_xad_u32 v37, v58, -1, s30
	s_mov_b32 s14, 0
	s_mov_b32 s13, exec_lo
	s_delay_alu instid0(VALU_DEP_1) | instskip(NEXT) | instid1(VALU_DEP_1)
	v_add_nc_u32_e32 v38, 32, v37
	v_lshlrev_b64 v[38:39], 3, v[38:39]
	s_delay_alu instid0(VALU_DEP_1) | instskip(NEXT) | instid1(VALU_DEP_2)
	v_add_co_u32 v41, vcc_lo, s22, v38
	v_add_co_ci_u32_e32 v42, vcc_lo, s23, v39, vcc_lo
	global_load_b64 v[39:40], v[41:42], off glc
	s_waitcnt vmcnt(0)
	v_and_b32_e32 v34, 0xff, v40
	s_delay_alu instid0(VALU_DEP_1)
	v_cmpx_eq_u16_e32 0, v34
	s_cbranch_execz .LBB487_403
; %bb.398:
	s_mov_b32 s15, 1
	.p2align	6
.LBB487_399:                            ; =>This Loop Header: Depth=1
                                        ;     Child Loop BB487_400 Depth 2
	s_delay_alu instid0(SALU_CYCLE_1)
	s_max_u32 s20, s15, 1
.LBB487_400:                            ;   Parent Loop BB487_399 Depth=1
                                        ; =>  This Inner Loop Header: Depth=2
	s_delay_alu instid0(SALU_CYCLE_1)
	s_add_i32 s20, s20, -1
	s_sleep 1
	s_cmp_eq_u32 s20, 0
	s_cbranch_scc0 .LBB487_400
; %bb.401:                              ;   in Loop: Header=BB487_399 Depth=1
	global_load_b64 v[39:40], v[41:42], off glc
	s_cmp_lt_u32 s15, 32
	s_cselect_b32 s20, -1, 0
	s_delay_alu instid0(SALU_CYCLE_1) | instskip(SKIP_3) | instid1(VALU_DEP_1)
	s_cmp_lg_u32 s20, 0
	s_addc_u32 s15, s15, 0
	s_waitcnt vmcnt(0)
	v_and_b32_e32 v34, 0xff, v40
	v_cmp_ne_u16_e32 vcc_lo, 0, v34
	s_or_b32 s14, vcc_lo, s14
	s_delay_alu instid0(SALU_CYCLE_1)
	s_and_not1_b32 exec_lo, exec_lo, s14
	s_cbranch_execnz .LBB487_399
; %bb.402:
	s_or_b32 exec_lo, exec_lo, s14
.LBB487_403:
	s_delay_alu instid0(SALU_CYCLE_1)
	s_or_b32 exec_lo, exec_lo, s13
	v_cmp_ne_u32_e32 vcc_lo, 31, v58
	v_and_b32_e32 v38, 0xff, v40
	v_lshlrev_b32_e64 v47, v58, -1
	v_add_nc_u32_e32 v51, 2, v58
	v_add_nc_u32_e32 v61, 4, v58
	v_add_co_ci_u32_e32 v34, vcc_lo, 0, v58, vcc_lo
	v_cmp_eq_u16_e32 vcc_lo, 2, v38
	v_add_nc_u32_e32 v64, 8, v58
	v_add_nc_u32_e32 v66, 16, v58
	v_and_or_b32 v38, vcc_lo, v47, 0x80000000
	v_cmp_gt_u32_e32 vcc_lo, 30, v58
	s_delay_alu instid0(VALU_DEP_2) | instskip(SKIP_1) | instid1(VALU_DEP_2)
	v_ctz_i32_b32_e32 v38, v38
	v_cndmask_b32_e64 v42, 0, 1, vcc_lo
	v_cmp_lt_u32_e32 vcc_lo, v58, v38
	v_lshlrev_b32_e32 v34, 2, v34
	s_delay_alu instid0(VALU_DEP_3)
	v_lshlrev_b32_e32 v42, 1, v42
	ds_bpermute_b32 v41, v34, v39
	v_add_lshl_u32 v49, v42, v58, 2
	s_waitcnt lgkmcnt(0)
	v_cndmask_b32_e32 v41, 0, v41, vcc_lo
	v_cmp_gt_u32_e32 vcc_lo, 28, v58
	s_delay_alu instid0(VALU_DEP_2) | instskip(SKIP_4) | instid1(VALU_DEP_1)
	v_add_nc_u32_e32 v39, v41, v39
	v_cndmask_b32_e64 v42, 0, 1, vcc_lo
	v_cmp_le_u32_e32 vcc_lo, v51, v38
	ds_bpermute_b32 v41, v49, v39
	v_lshlrev_b32_e32 v42, 2, v42
	v_add_lshl_u32 v53, v42, v58, 2
	s_waitcnt lgkmcnt(0)
	v_cndmask_b32_e32 v41, 0, v41, vcc_lo
	v_cmp_gt_u32_e32 vcc_lo, 24, v58
	s_delay_alu instid0(VALU_DEP_2) | instskip(SKIP_4) | instid1(VALU_DEP_1)
	v_add_nc_u32_e32 v39, v39, v41
	v_cndmask_b32_e64 v42, 0, 1, vcc_lo
	v_cmp_le_u32_e32 vcc_lo, v61, v38
	ds_bpermute_b32 v41, v53, v39
	v_lshlrev_b32_e32 v42, 3, v42
	;; [unrolled: 10-line block ×3, first 2 shown]
	v_add_lshl_u32 v65, v42, v58, 2
	s_waitcnt lgkmcnt(0)
	v_cndmask_b32_e32 v41, 0, v41, vcc_lo
	v_cmp_le_u32_e32 vcc_lo, v66, v38
	s_delay_alu instid0(VALU_DEP_2) | instskip(SKIP_3) | instid1(VALU_DEP_1)
	v_add_nc_u32_e32 v39, v39, v41
	ds_bpermute_b32 v41, v65, v39
	s_waitcnt lgkmcnt(0)
	v_cndmask_b32_e32 v38, 0, v41, vcc_lo
	v_dual_mov_b32 v38, 0 :: v_dual_add_nc_u32 v39, v39, v38
	s_branch .LBB487_405
.LBB487_404:                            ;   in Loop: Header=BB487_405 Depth=1
	s_or_b32 exec_lo, exec_lo, s13
	ds_bpermute_b32 v42, v34, v39
	v_and_b32_e32 v41, 0xff, v40
	v_subrev_nc_u32_e32 v37, 32, v37
	s_delay_alu instid0(VALU_DEP_2) | instskip(SKIP_1) | instid1(VALU_DEP_1)
	v_cmp_eq_u16_e32 vcc_lo, 2, v41
	v_and_or_b32 v41, vcc_lo, v47, 0x80000000
	v_ctz_i32_b32_e32 v41, v41
	s_delay_alu instid0(VALU_DEP_1) | instskip(SKIP_3) | instid1(VALU_DEP_2)
	v_cmp_lt_u32_e32 vcc_lo, v58, v41
	s_waitcnt lgkmcnt(0)
	v_cndmask_b32_e32 v42, 0, v42, vcc_lo
	v_cmp_le_u32_e32 vcc_lo, v51, v41
	v_add_nc_u32_e32 v39, v42, v39
	ds_bpermute_b32 v42, v49, v39
	s_waitcnt lgkmcnt(0)
	v_cndmask_b32_e32 v42, 0, v42, vcc_lo
	v_cmp_le_u32_e32 vcc_lo, v61, v41
	s_delay_alu instid0(VALU_DEP_2) | instskip(SKIP_4) | instid1(VALU_DEP_2)
	v_add_nc_u32_e32 v39, v39, v42
	ds_bpermute_b32 v42, v53, v39
	s_waitcnt lgkmcnt(0)
	v_cndmask_b32_e32 v42, 0, v42, vcc_lo
	v_cmp_le_u32_e32 vcc_lo, v64, v41
	v_add_nc_u32_e32 v39, v39, v42
	ds_bpermute_b32 v42, v63, v39
	s_waitcnt lgkmcnt(0)
	v_cndmask_b32_e32 v42, 0, v42, vcc_lo
	v_cmp_le_u32_e32 vcc_lo, v66, v41
	s_delay_alu instid0(VALU_DEP_2) | instskip(SKIP_3) | instid1(VALU_DEP_1)
	v_add_nc_u32_e32 v39, v39, v42
	ds_bpermute_b32 v42, v65, v39
	s_waitcnt lgkmcnt(0)
	v_cndmask_b32_e32 v41, 0, v42, vcc_lo
	v_add3_u32 v39, v41, v62, v39
.LBB487_405:                            ; =>This Loop Header: Depth=1
                                        ;     Child Loop BB487_408 Depth 2
                                        ;       Child Loop BB487_409 Depth 3
	v_and_b32_e32 v40, 0xff, v40
	s_delay_alu instid0(VALU_DEP_2) | instskip(NEXT) | instid1(VALU_DEP_2)
	v_mov_b32_e32 v62, v39
	v_cmp_ne_u16_e32 vcc_lo, 2, v40
	v_cndmask_b32_e64 v40, 0, 1, vcc_lo
	;;#ASMSTART
	;;#ASMEND
	s_delay_alu instid0(VALU_DEP_1)
	v_cmp_ne_u32_e32 vcc_lo, 0, v40
	s_cmp_lg_u32 vcc_lo, exec_lo
	s_cbranch_scc1 .LBB487_412
; %bb.406:                              ;   in Loop: Header=BB487_405 Depth=1
	v_lshlrev_b64 v[39:40], 3, v[37:38]
	s_mov_b32 s13, exec_lo
	s_delay_alu instid0(VALU_DEP_1) | instskip(NEXT) | instid1(VALU_DEP_2)
	v_add_co_u32 v41, vcc_lo, s22, v39
	v_add_co_ci_u32_e32 v42, vcc_lo, s23, v40, vcc_lo
	global_load_b64 v[39:40], v[41:42], off glc
	s_waitcnt vmcnt(0)
	v_and_b32_e32 v67, 0xff, v40
	s_delay_alu instid0(VALU_DEP_1)
	v_cmpx_eq_u16_e32 0, v67
	s_cbranch_execz .LBB487_404
; %bb.407:                              ;   in Loop: Header=BB487_405 Depth=1
	s_mov_b32 s15, 1
	s_mov_b32 s14, 0
	.p2align	6
.LBB487_408:                            ;   Parent Loop BB487_405 Depth=1
                                        ; =>  This Loop Header: Depth=2
                                        ;       Child Loop BB487_409 Depth 3
	s_max_u32 s20, s15, 1
.LBB487_409:                            ;   Parent Loop BB487_405 Depth=1
                                        ;     Parent Loop BB487_408 Depth=2
                                        ; =>    This Inner Loop Header: Depth=3
	s_delay_alu instid0(SALU_CYCLE_1)
	s_add_i32 s20, s20, -1
	s_sleep 1
	s_cmp_eq_u32 s20, 0
	s_cbranch_scc0 .LBB487_409
; %bb.410:                              ;   in Loop: Header=BB487_408 Depth=2
	global_load_b64 v[39:40], v[41:42], off glc
	s_cmp_lt_u32 s15, 32
	s_cselect_b32 s20, -1, 0
	s_delay_alu instid0(SALU_CYCLE_1) | instskip(SKIP_3) | instid1(VALU_DEP_1)
	s_cmp_lg_u32 s20, 0
	s_addc_u32 s15, s15, 0
	s_waitcnt vmcnt(0)
	v_and_b32_e32 v67, 0xff, v40
	v_cmp_ne_u16_e32 vcc_lo, 0, v67
	s_or_b32 s14, vcc_lo, s14
	s_delay_alu instid0(SALU_CYCLE_1)
	s_and_not1_b32 exec_lo, exec_lo, s14
	s_cbranch_execnz .LBB487_408
; %bb.411:                              ;   in Loop: Header=BB487_405 Depth=1
	s_or_b32 exec_lo, exec_lo, s14
	s_branch .LBB487_404
.LBB487_412:                            ;   in Loop: Header=BB487_405 Depth=1
                                        ; implicit-def: $vgpr39
                                        ; implicit-def: $vgpr40
	s_cbranch_execz .LBB487_405
; %bb.413:
	s_and_saveexec_b32 s13, s7
	s_cbranch_execz .LBB487_415
; %bb.414:
	s_add_i32 s14, s30, 32
	s_mov_b32 s15, 0
	v_dual_mov_b32 v38, 2 :: v_dual_add_nc_u32 v37, v62, v33
	s_lshl_b64 s[14:15], s[14:15], 3
	v_mov_b32_e32 v34, 0
	v_add_nc_u32_e64 v39, 0x8400, 0
	s_add_u32 s14, s22, s14
	s_addc_u32 s15, s23, s15
	global_store_b64 v34, v[37:38], s[14:15]
	ds_store_2addr_b32 v39, v33, v62 offset1:2
.LBB487_415:
	s_or_b32 exec_lo, exec_lo, s13
	s_delay_alu instid0(SALU_CYCLE_1)
	s_and_b32 exec_lo, exec_lo, s2
	s_cbranch_execz .LBB487_417
; %bb.416:
	v_mov_b32_e32 v33, 0
	ds_store_b32 v33, v62 offset:60
.LBB487_417:
	s_or_b32 exec_lo, exec_lo, s12
	v_mov_b32_e32 v33, 0
	s_waitcnt lgkmcnt(0)
	s_waitcnt_vscnt null, 0x0
	s_barrier
	buffer_gl0_inv
	v_cndmask_b32_e64 v34, v45, v43, s7
	ds_load_b32 v33, v33 offset:60
	s_waitcnt lgkmcnt(0)
	s_barrier
	buffer_gl0_inv
	v_cndmask_b32_e64 v34, v34, 0, s2
	s_delay_alu instid0(VALU_DEP_1) | instskip(SKIP_1) | instid1(VALU_DEP_2)
	v_add_nc_u32_e32 v53, v33, v34
	v_add_nc_u32_e64 v33, 0x8400, 0
	v_add_nc_u32_e32 v51, v53, v44
	ds_load_2addr_b32 v[33:34], v33 offset1:2
	v_add_nc_u32_e32 v49, v51, v46
	s_delay_alu instid0(VALU_DEP_1) | instskip(NEXT) | instid1(VALU_DEP_1)
	v_add_nc_u32_e32 v47, v49, v48
	v_add_nc_u32_e32 v45, v47, v50
	s_delay_alu instid0(VALU_DEP_1) | instskip(SKIP_2) | instid1(VALU_DEP_2)
	v_add_nc_u32_e32 v43, v45, v52
	s_waitcnt lgkmcnt(0)
	v_readfirstlane_b32 s12, v34
	v_add_nc_u32_e32 v41, v43, v54
	s_delay_alu instid0(VALU_DEP_1)
	v_add_nc_u32_e32 v39, v41, v57
	v_lshrrev_b64 v[37:38], 24, v[35:36]
	s_branch .LBB487_428
.LBB487_418:
                                        ; implicit-def: $vgpr39
                                        ; implicit-def: $vgpr41
                                        ; implicit-def: $vgpr43
                                        ; implicit-def: $vgpr45
                                        ; implicit-def: $vgpr47
                                        ; implicit-def: $vgpr49
                                        ; implicit-def: $vgpr51
                                        ; implicit-def: $vgpr53
                                        ; implicit-def: $sgpr12
                                        ; implicit-def: $vgpr33
	v_lshrrev_b64 v[37:38], 24, v[35:36]
	s_and_b32 vcc_lo, exec_lo, s7
	s_cbranch_vccz .LBB487_428
; %bb.419:
	v_mov_b32_dpp v33, v60 row_shr:1 row_mask:0xf bank_mask:0xf
	s_delay_alu instid0(VALU_DEP_1) | instskip(NEXT) | instid1(VALU_DEP_1)
	v_cndmask_b32_e64 v33, v33, 0, s3
	v_add_nc_u32_e32 v33, v33, v60
	s_delay_alu instid0(VALU_DEP_1) | instskip(NEXT) | instid1(VALU_DEP_1)
	v_mov_b32_dpp v34, v33 row_shr:2 row_mask:0xf bank_mask:0xf
	v_cndmask_b32_e64 v34, 0, v34, s0
	s_delay_alu instid0(VALU_DEP_1) | instskip(NEXT) | instid1(VALU_DEP_1)
	v_add_nc_u32_e32 v33, v33, v34
	v_mov_b32_dpp v34, v33 row_shr:4 row_mask:0xf bank_mask:0xf
	s_delay_alu instid0(VALU_DEP_1) | instskip(NEXT) | instid1(VALU_DEP_1)
	v_cndmask_b32_e64 v34, 0, v34, s4
	v_add_nc_u32_e32 v33, v33, v34
	s_delay_alu instid0(VALU_DEP_1) | instskip(NEXT) | instid1(VALU_DEP_1)
	v_mov_b32_dpp v34, v33 row_shr:8 row_mask:0xf bank_mask:0xf
	v_cndmask_b32_e64 v34, 0, v34, s1
	s_delay_alu instid0(VALU_DEP_1) | instskip(SKIP_3) | instid1(VALU_DEP_1)
	v_add_nc_u32_e32 v33, v33, v34
	ds_swizzle_b32 v34, v33 offset:swizzle(BROADCAST,32,15)
	s_waitcnt lgkmcnt(0)
	v_cndmask_b32_e64 v34, v34, 0, s6
	v_add_nc_u32_e32 v33, v33, v34
	s_and_saveexec_b32 s6, s5
	s_cbranch_execz .LBB487_421
; %bb.420:
	v_lshlrev_b32_e32 v34, 2, v59
	ds_store_b32 v34, v33
.LBB487_421:
	s_or_b32 exec_lo, exec_lo, s6
	s_delay_alu instid0(SALU_CYCLE_1)
	s_mov_b32 s5, exec_lo
	s_waitcnt lgkmcnt(0)
	s_barrier
	buffer_gl0_inv
	v_cmpx_gt_u32_e32 16, v0
	s_cbranch_execz .LBB487_423
; %bb.422:
	v_lshlrev_b32_e32 v34, 2, v0
	ds_load_b32 v38, v34
	s_waitcnt lgkmcnt(0)
	v_mov_b32_dpp v39, v38 row_shr:1 row_mask:0xf bank_mask:0xf
	s_delay_alu instid0(VALU_DEP_1) | instskip(NEXT) | instid1(VALU_DEP_1)
	v_cndmask_b32_e64 v39, v39, 0, s3
	v_add_nc_u32_e32 v38, v39, v38
	s_delay_alu instid0(VALU_DEP_1) | instskip(NEXT) | instid1(VALU_DEP_1)
	v_mov_b32_dpp v39, v38 row_shr:2 row_mask:0xf bank_mask:0xf
	v_cndmask_b32_e64 v39, 0, v39, s0
	s_delay_alu instid0(VALU_DEP_1) | instskip(NEXT) | instid1(VALU_DEP_1)
	v_add_nc_u32_e32 v38, v38, v39
	v_mov_b32_dpp v39, v38 row_shr:4 row_mask:0xf bank_mask:0xf
	s_delay_alu instid0(VALU_DEP_1) | instskip(NEXT) | instid1(VALU_DEP_1)
	v_cndmask_b32_e64 v39, 0, v39, s4
	v_add_nc_u32_e32 v38, v38, v39
	s_delay_alu instid0(VALU_DEP_1) | instskip(NEXT) | instid1(VALU_DEP_1)
	v_mov_b32_dpp v39, v38 row_shr:8 row_mask:0xf bank_mask:0xf
	v_cndmask_b32_e64 v39, 0, v39, s1
	s_delay_alu instid0(VALU_DEP_1)
	v_add_nc_u32_e32 v38, v38, v39
	ds_store_b32 v34, v38
.LBB487_423:
	s_or_b32 exec_lo, exec_lo, s5
	v_mov_b32_e32 v34, 0
	v_mov_b32_e32 v38, 0
	s_mov_b32 s0, exec_lo
	s_waitcnt lgkmcnt(0)
	s_barrier
	buffer_gl0_inv
	v_cmpx_lt_u32_e32 31, v0
	s_cbranch_execz .LBB487_425
; %bb.424:
	v_lshl_add_u32 v38, v59, 2, -4
	ds_load_b32 v38, v38
.LBB487_425:
	s_or_b32 exec_lo, exec_lo, s0
	v_add_nc_u32_e32 v39, -1, v58
	s_waitcnt lgkmcnt(0)
	v_add_nc_u32_e32 v33, v38, v33
	s_mov_b32 s12, 0
	s_delay_alu instid0(VALU_DEP_2) | instskip(SKIP_1) | instid1(VALU_DEP_1)
	v_cmp_gt_i32_e32 vcc_lo, 0, v39
	v_cndmask_b32_e32 v39, v39, v58, vcc_lo
	v_lshlrev_b32_e32 v39, 2, v39
	ds_bpermute_b32 v39, v39, v33
	ds_load_b32 v33, v34 offset:60
	s_and_saveexec_b32 s0, s2
	s_cbranch_execz .LBB487_427
; %bb.426:
	v_mov_b32_e32 v40, 0
	v_mov_b32_e32 v34, 2
	s_waitcnt lgkmcnt(0)
	global_store_b64 v40, v[33:34], s[22:23] offset:256
.LBB487_427:
	s_or_b32 exec_lo, exec_lo, s0
	v_cmp_eq_u32_e32 vcc_lo, 0, v58
	s_waitcnt lgkmcnt(0)
	s_waitcnt_vscnt null, 0x0
	s_barrier
	buffer_gl0_inv
	v_cndmask_b32_e32 v34, v39, v38, vcc_lo
	s_delay_alu instid0(VALU_DEP_1) | instskip(NEXT) | instid1(VALU_DEP_1)
	v_cndmask_b32_e64 v53, v34, 0, s2
	v_add_nc_u32_e32 v51, v53, v44
	s_delay_alu instid0(VALU_DEP_1) | instskip(NEXT) | instid1(VALU_DEP_1)
	v_add_nc_u32_e32 v49, v51, v46
	v_add_nc_u32_e32 v47, v49, v48
	s_delay_alu instid0(VALU_DEP_1) | instskip(NEXT) | instid1(VALU_DEP_1)
	v_add_nc_u32_e32 v45, v47, v50
	;; [unrolled: 3-line block ×3, first 2 shown]
	v_add_nc_u32_e32 v39, v41, v57
.LBB487_428:
	v_add_nc_u32_e32 v59, s12, v33
	v_cmp_gt_u32_e64 s0, 0x201, v33
	v_lshrrev_b32_e32 v58, 8, v35
	v_lshrrev_b32_e32 v57, 16, v35
	;; [unrolled: 1-line block ×4, first 2 shown]
	v_cmp_lt_u32_e64 s1, v53, v59
	s_and_b32 vcc_lo, exec_lo, s0
	s_mov_b32 s3, -1
	s_cbranch_vccz .LBB487_454
; %bb.429:
	s_delay_alu instid0(VALU_DEP_1) | instskip(NEXT) | instid1(SALU_CYCLE_1)
	s_or_b32 s3, s29, s1
	s_and_saveexec_b32 s1, s3
	s_cbranch_execz .LBB487_432
; %bb.430:
	v_and_b32_e32 v40, 1, v35
	s_delay_alu instid0(VALU_DEP_1)
	v_cmp_eq_u32_e32 vcc_lo, 1, v40
	s_and_b32 exec_lo, exec_lo, vcc_lo
	s_cbranch_execz .LBB487_432
; %bb.431:
	v_mov_b32_e32 v54, 0
	s_lshl_b64 s[4:5], s[10:11], 3
	s_delay_alu instid0(SALU_CYCLE_1) | instskip(SKIP_1) | instid1(VALU_DEP_1)
	s_add_u32 s3, s16, s4
	s_addc_u32 s4, s17, s5
	v_lshlrev_b64 v[60:61], 3, v[53:54]
	s_delay_alu instid0(VALU_DEP_1) | instskip(NEXT) | instid1(VALU_DEP_2)
	v_add_co_u32 v60, vcc_lo, s3, v60
	v_add_co_ci_u32_e32 v61, vcc_lo, s4, v61, vcc_lo
	global_store_b64 v[60:61], v[29:30], off
.LBB487_432:
	s_or_b32 exec_lo, exec_lo, s1
	v_cmp_lt_u32_e32 vcc_lo, v51, v59
	s_or_b32 s3, s29, vcc_lo
	s_delay_alu instid0(SALU_CYCLE_1)
	s_and_saveexec_b32 s1, s3
	s_cbranch_execz .LBB487_435
; %bb.433:
	v_and_b32_e32 v40, 1, v58
	s_delay_alu instid0(VALU_DEP_1)
	v_cmp_eq_u32_e32 vcc_lo, 1, v40
	s_and_b32 exec_lo, exec_lo, vcc_lo
	s_cbranch_execz .LBB487_435
; %bb.434:
	v_mov_b32_e32 v52, 0
	s_lshl_b64 s[4:5], s[10:11], 3
	s_delay_alu instid0(SALU_CYCLE_1) | instskip(SKIP_1) | instid1(VALU_DEP_1)
	s_add_u32 s3, s16, s4
	s_addc_u32 s4, s17, s5
	v_lshlrev_b64 v[60:61], 3, v[51:52]
	s_delay_alu instid0(VALU_DEP_1) | instskip(NEXT) | instid1(VALU_DEP_2)
	v_add_co_u32 v60, vcc_lo, s3, v60
	v_add_co_ci_u32_e32 v61, vcc_lo, s4, v61, vcc_lo
	global_store_b64 v[60:61], v[31:32], off
.LBB487_435:
	s_or_b32 exec_lo, exec_lo, s1
	v_cmp_lt_u32_e32 vcc_lo, v49, v59
	s_or_b32 s3, s29, vcc_lo
	s_delay_alu instid0(SALU_CYCLE_1)
	;; [unrolled: 24-line block ×7, first 2 shown]
	s_and_saveexec_b32 s1, s3
	s_cbranch_execz .LBB487_453
; %bb.451:
	v_and_b32_e32 v40, 1, v56
	s_delay_alu instid0(VALU_DEP_1)
	v_cmp_eq_u32_e32 vcc_lo, 1, v40
	s_and_b32 exec_lo, exec_lo, vcc_lo
	s_cbranch_execz .LBB487_453
; %bb.452:
	v_mov_b32_e32 v40, 0
	s_lshl_b64 s[4:5], s[10:11], 3
	s_delay_alu instid0(SALU_CYCLE_1) | instskip(SKIP_1) | instid1(VALU_DEP_1)
	s_add_u32 s3, s16, s4
	s_addc_u32 s4, s17, s5
	v_lshlrev_b64 v[60:61], 3, v[39:40]
	s_delay_alu instid0(VALU_DEP_1) | instskip(NEXT) | instid1(VALU_DEP_2)
	v_add_co_u32 v60, vcc_lo, s3, v60
	v_add_co_ci_u32_e32 v61, vcc_lo, s4, v61, vcc_lo
	global_store_b64 v[60:61], v[19:20], off
.LBB487_453:
	s_or_b32 exec_lo, exec_lo, s1
	s_mov_b32 s3, 0
.LBB487_454:
	v_and_b32_e32 v35, 1, v35
	s_and_b32 vcc_lo, exec_lo, s3
	s_delay_alu instid0(VALU_DEP_1)
	v_cmp_eq_u32_e64 s1, 1, v35
	s_cbranch_vccz .LBB487_475
; %bb.455:
	s_delay_alu instid0(VALU_DEP_1)
	s_and_saveexec_b32 s3, s1
	s_cbranch_execz .LBB487_457
; %bb.456:
	v_subrev_nc_u32_e32 v40, s12, v53
	s_delay_alu instid0(VALU_DEP_1)
	v_lshlrev_b32_e32 v40, 3, v40
	ds_store_b64 v40, v[29:30]
.LBB487_457:
	s_or_b32 exec_lo, exec_lo, s3
	v_and_b32_e32 v29, 1, v58
	s_mov_b32 s1, exec_lo
	s_delay_alu instid0(VALU_DEP_1)
	v_cmpx_eq_u32_e32 1, v29
	s_cbranch_execz .LBB487_459
; %bb.458:
	v_subrev_nc_u32_e32 v29, s12, v51
	s_delay_alu instid0(VALU_DEP_1)
	v_lshlrev_b32_e32 v29, 3, v29
	ds_store_b64 v29, v[31:32]
.LBB487_459:
	s_or_b32 exec_lo, exec_lo, s1
	v_and_b32_e32 v29, 1, v57
	s_mov_b32 s1, exec_lo
	s_delay_alu instid0(VALU_DEP_1)
	v_cmpx_eq_u32_e32 1, v29
	;; [unrolled: 12-line block ×7, first 2 shown]
	s_cbranch_execz .LBB487_471
; %bb.470:
	v_subrev_nc_u32_e32 v17, s12, v39
	s_delay_alu instid0(VALU_DEP_1)
	v_lshlrev_b32_e32 v17, 3, v17
	ds_store_b64 v17, v[19:20]
.LBB487_471:
	s_or_b32 exec_lo, exec_lo, s1
	s_delay_alu instid0(SALU_CYCLE_1)
	s_mov_b32 s3, exec_lo
	s_waitcnt lgkmcnt(0)
	s_waitcnt_vscnt null, 0x0
	s_barrier
	buffer_gl0_inv
	v_cmpx_lt_u32_e64 v0, v33
	s_cbranch_execz .LBB487_474
; %bb.472:
	s_mov_b32 s13, 0
	s_lshl_b64 s[4:5], s[10:11], 3
	s_lshl_b64 s[6:7], s[12:13], 3
	v_dual_mov_b32 v19, v55 :: v_dual_mov_b32 v20, v0
	s_add_u32 s1, s4, s6
	s_addc_u32 s4, s5, s7
	s_add_u32 s1, s16, s1
	s_addc_u32 s4, s17, s4
	v_add_co_u32 v17, s1, s1, v55
	s_delay_alu instid0(VALU_DEP_1)
	v_add_co_ci_u32_e64 v18, null, s4, 0, s1
	.p2align	6
.LBB487_473:                            ; =>This Inner Loop Header: Depth=1
	ds_load_b64 v[21:22], v19
	v_add_nc_u32_e32 v20, 0x200, v20
	v_add_nc_u32_e32 v19, 0x1000, v19
	s_delay_alu instid0(VALU_DEP_2) | instskip(SKIP_4) | instid1(VALU_DEP_1)
	v_cmp_ge_u32_e32 vcc_lo, v20, v33
	s_or_b32 s13, vcc_lo, s13
	s_waitcnt lgkmcnt(0)
	global_store_b64 v[17:18], v[21:22], off
	v_add_co_u32 v17, s1, 0x1000, v17
	v_add_co_ci_u32_e64 v18, s1, 0, v18, s1
	s_and_not1_b32 exec_lo, exec_lo, s13
	s_cbranch_execnz .LBB487_473
.LBB487_474:
	s_or_b32 exec_lo, exec_lo, s3
.LBB487_475:
	s_delay_alu instid0(SALU_CYCLE_1)
	s_and_b32 vcc_lo, exec_lo, s0
	s_mov_b32 s0, -1
	s_waitcnt_vscnt null, 0x0
	s_barrier
	buffer_gl0_inv
	s_cbranch_vccz .LBB487_503
; %bb.476:
	v_cmp_lt_u32_e32 vcc_lo, v53, v59
	s_or_b32 s1, s29, vcc_lo
	s_delay_alu instid0(SALU_CYCLE_1)
	s_and_saveexec_b32 s0, s1
	s_cbranch_execz .LBB487_479
; %bb.477:
	v_cmp_eq_u32_e32 vcc_lo, 1, v35
	s_and_b32 exec_lo, exec_lo, vcc_lo
	s_cbranch_execz .LBB487_479
; %bb.478:
	v_mov_b32_e32 v54, 0
	s_lshl_b64 s[4:5], s[10:11], 3
	s_delay_alu instid0(SALU_CYCLE_1) | instskip(SKIP_1) | instid1(VALU_DEP_1)
	s_add_u32 s1, s18, s4
	s_addc_u32 s3, s19, s5
	v_lshlrev_b64 v[17:18], 3, v[53:54]
	s_delay_alu instid0(VALU_DEP_1) | instskip(NEXT) | instid1(VALU_DEP_2)
	v_add_co_u32 v17, vcc_lo, s1, v17
	v_add_co_ci_u32_e32 v18, vcc_lo, s3, v18, vcc_lo
	global_store_b64 v[17:18], v[13:14], off
.LBB487_479:
	s_or_b32 exec_lo, exec_lo, s0
	v_cmp_lt_u32_e32 vcc_lo, v51, v59
	s_or_b32 s1, s29, vcc_lo
	s_delay_alu instid0(SALU_CYCLE_1)
	s_and_saveexec_b32 s0, s1
	s_cbranch_execz .LBB487_482
; %bb.480:
	v_and_b32_e32 v17, 1, v58
	s_delay_alu instid0(VALU_DEP_1)
	v_cmp_eq_u32_e32 vcc_lo, 1, v17
	s_and_b32 exec_lo, exec_lo, vcc_lo
	s_cbranch_execz .LBB487_482
; %bb.481:
	v_mov_b32_e32 v52, 0
	s_lshl_b64 s[4:5], s[10:11], 3
	s_delay_alu instid0(SALU_CYCLE_1) | instskip(SKIP_1) | instid1(VALU_DEP_1)
	s_add_u32 s1, s18, s4
	s_addc_u32 s3, s19, s5
	v_lshlrev_b64 v[17:18], 3, v[51:52]
	s_delay_alu instid0(VALU_DEP_1) | instskip(NEXT) | instid1(VALU_DEP_2)
	v_add_co_u32 v17, vcc_lo, s1, v17
	v_add_co_ci_u32_e32 v18, vcc_lo, s3, v18, vcc_lo
	global_store_b64 v[17:18], v[15:16], off
.LBB487_482:
	s_or_b32 exec_lo, exec_lo, s0
	v_cmp_lt_u32_e32 vcc_lo, v49, v59
	s_or_b32 s1, s29, vcc_lo
	s_delay_alu instid0(SALU_CYCLE_1)
	s_and_saveexec_b32 s0, s1
	s_cbranch_execz .LBB487_485
; %bb.483:
	v_and_b32_e32 v17, 1, v57
	s_delay_alu instid0(VALU_DEP_1)
	v_cmp_eq_u32_e32 vcc_lo, 1, v17
	s_and_b32 exec_lo, exec_lo, vcc_lo
	s_cbranch_execz .LBB487_485
; %bb.484:
	v_mov_b32_e32 v50, 0
	s_lshl_b64 s[4:5], s[10:11], 3
	s_delay_alu instid0(SALU_CYCLE_1) | instskip(SKIP_1) | instid1(VALU_DEP_1)
	s_add_u32 s1, s18, s4
	s_addc_u32 s3, s19, s5
	v_lshlrev_b64 v[17:18], 3, v[49:50]
	s_delay_alu instid0(VALU_DEP_1) | instskip(NEXT) | instid1(VALU_DEP_2)
	v_add_co_u32 v17, vcc_lo, s1, v17
	v_add_co_ci_u32_e32 v18, vcc_lo, s3, v18, vcc_lo
	global_store_b64 v[17:18], v[9:10], off
.LBB487_485:
	;; [unrolled: 24-line block ×7, first 2 shown]
	s_or_b32 exec_lo, exec_lo, s0
.LBB487_501:
	s_and_b32 s0, s2, s28
	s_delay_alu instid0(SALU_CYCLE_1)
	s_and_saveexec_b32 s1, s0
	s_cbranch_execz .LBB487_524
.LBB487_502:
	v_add_co_u32 v0, s0, s10, v33
	s_delay_alu instid0(VALU_DEP_1) | instskip(SKIP_1) | instid1(VALU_DEP_3)
	v_add_co_ci_u32_e64 v1, null, s11, 0, s0
	v_mov_b32_e32 v2, 0
	v_add_co_u32 v0, vcc_lo, v0, s12
	s_delay_alu instid0(VALU_DEP_3)
	v_add_co_ci_u32_e32 v1, vcc_lo, 0, v1, vcc_lo
	global_store_b64 v2, v[0:1], s[8:9]
	s_nop 0
	s_sendmsg sendmsg(MSG_DEALLOC_VGPRS)
	s_endpgm
.LBB487_503:
	s_and_b32 vcc_lo, exec_lo, s0
	s_cbranch_vccz .LBB487_501
; %bb.504:
	s_mov_b32 s0, exec_lo
	v_cmpx_eq_u32_e32 1, v35
	s_cbranch_execz .LBB487_506
; %bb.505:
	v_subrev_nc_u32_e32 v17, s12, v53
	s_delay_alu instid0(VALU_DEP_1)
	v_lshlrev_b32_e32 v17, 3, v17
	ds_store_b64 v17, v[13:14]
.LBB487_506:
	s_or_b32 exec_lo, exec_lo, s0
	v_and_b32_e32 v13, 1, v58
	s_mov_b32 s0, exec_lo
	s_delay_alu instid0(VALU_DEP_1)
	v_cmpx_eq_u32_e32 1, v13
	s_cbranch_execz .LBB487_508
; %bb.507:
	v_subrev_nc_u32_e32 v13, s12, v51
	s_delay_alu instid0(VALU_DEP_1)
	v_lshlrev_b32_e32 v13, 3, v13
	ds_store_b64 v13, v[15:16]
.LBB487_508:
	s_or_b32 exec_lo, exec_lo, s0
	v_and_b32_e32 v13, 1, v57
	s_mov_b32 s0, exec_lo
	s_delay_alu instid0(VALU_DEP_1)
	;; [unrolled: 12-line block ×7, first 2 shown]
	v_cmpx_eq_u32_e32 1, v1
	s_cbranch_execz .LBB487_520
; %bb.519:
	v_subrev_nc_u32_e32 v1, s12, v39
	s_delay_alu instid0(VALU_DEP_1)
	v_lshlrev_b32_e32 v1, 3, v1
	ds_store_b64 v1, v[3:4]
.LBB487_520:
	s_or_b32 exec_lo, exec_lo, s0
	s_delay_alu instid0(SALU_CYCLE_1)
	s_mov_b32 s1, exec_lo
	s_waitcnt lgkmcnt(0)
	s_waitcnt_vscnt null, 0x0
	s_barrier
	buffer_gl0_inv
	v_cmpx_lt_u32_e64 v0, v33
	s_cbranch_execz .LBB487_523
; %bb.521:
	s_mov_b32 s13, 0
	s_lshl_b64 s[4:5], s[10:11], 3
	s_lshl_b64 s[6:7], s[12:13], 3
	s_delay_alu instid0(SALU_CYCLE_1) | instskip(SKIP_4) | instid1(VALU_DEP_1)
	s_add_u32 s0, s4, s6
	s_addc_u32 s3, s5, s7
	s_add_u32 s0, s18, s0
	s_addc_u32 s3, s19, s3
	v_add_co_u32 v1, s0, s0, v55
	v_add_co_ci_u32_e64 v2, null, s3, 0, s0
	.p2align	6
.LBB487_522:                            ; =>This Inner Loop Header: Depth=1
	ds_load_b64 v[3:4], v55
	v_add_nc_u32_e32 v0, 0x200, v0
	v_add_nc_u32_e32 v55, 0x1000, v55
	s_delay_alu instid0(VALU_DEP_2) | instskip(SKIP_4) | instid1(VALU_DEP_1)
	v_cmp_ge_u32_e32 vcc_lo, v0, v33
	s_or_b32 s13, vcc_lo, s13
	s_waitcnt lgkmcnt(0)
	global_store_b64 v[1:2], v[3:4], off
	v_add_co_u32 v1, s0, 0x1000, v1
	v_add_co_ci_u32_e64 v2, s0, 0, v2, s0
	s_and_not1_b32 exec_lo, exec_lo, s13
	s_cbranch_execnz .LBB487_522
.LBB487_523:
	s_or_b32 exec_lo, exec_lo, s1
	s_and_b32 s0, s2, s28
	s_delay_alu instid0(SALU_CYCLE_1)
	s_and_saveexec_b32 s1, s0
	s_cbranch_execnz .LBB487_502
.LBB487_524:
	s_nop 0
	s_sendmsg sendmsg(MSG_DEALLOC_VGPRS)
	s_endpgm
	.section	.rodata,"a",@progbits
	.p2align	6, 0x0
	.amdhsa_kernel _ZN7rocprim17ROCPRIM_400000_NS6detail17trampoline_kernelINS0_14default_configENS1_25partition_config_selectorILNS1_17partition_subalgoE9EllbEEZZNS1_14partition_implILS5_9ELb0ES3_jPlS8_PNS0_10empty_typeENS0_5tupleIJS8_S9_EEENSB_IJS8_SA_EEENS0_18inequality_wrapperIZN2at6native12_GLOBAL__N_124unique_dim_cuda_templateIiEESt5tupleIJNSF_6TensorESK_SK_EERKSK_lbbbEUlllE0_EEPmJS9_EEE10hipError_tPvRmT3_T4_T5_T6_T7_T9_mT8_P12ihipStream_tbDpT10_ENKUlT_T0_E_clISt17integral_constantIbLb1EES1A_EEDaS15_S16_EUlS15_E_NS1_11comp_targetILNS1_3genE9ELNS1_11target_archE1100ELNS1_3gpuE3ELNS1_3repE0EEENS1_30default_config_static_selectorELNS0_4arch9wavefront6targetE0EEEvT1_
		.amdhsa_group_segment_fixed_size 33804
		.amdhsa_private_segment_fixed_size 0
		.amdhsa_kernarg_size 136
		.amdhsa_user_sgpr_count 15
		.amdhsa_user_sgpr_dispatch_ptr 0
		.amdhsa_user_sgpr_queue_ptr 0
		.amdhsa_user_sgpr_kernarg_segment_ptr 1
		.amdhsa_user_sgpr_dispatch_id 0
		.amdhsa_user_sgpr_private_segment_size 0
		.amdhsa_wavefront_size32 1
		.amdhsa_uses_dynamic_stack 0
		.amdhsa_enable_private_segment 0
		.amdhsa_system_sgpr_workgroup_id_x 1
		.amdhsa_system_sgpr_workgroup_id_y 0
		.amdhsa_system_sgpr_workgroup_id_z 0
		.amdhsa_system_sgpr_workgroup_info 0
		.amdhsa_system_vgpr_workitem_id 0
		.amdhsa_next_free_vgpr 68
		.amdhsa_next_free_sgpr 40
		.amdhsa_reserve_vcc 1
		.amdhsa_float_round_mode_32 0
		.amdhsa_float_round_mode_16_64 0
		.amdhsa_float_denorm_mode_32 3
		.amdhsa_float_denorm_mode_16_64 3
		.amdhsa_dx10_clamp 1
		.amdhsa_ieee_mode 1
		.amdhsa_fp16_overflow 0
		.amdhsa_workgroup_processor_mode 1
		.amdhsa_memory_ordered 1
		.amdhsa_forward_progress 0
		.amdhsa_shared_vgpr_count 0
		.amdhsa_exception_fp_ieee_invalid_op 0
		.amdhsa_exception_fp_denorm_src 0
		.amdhsa_exception_fp_ieee_div_zero 0
		.amdhsa_exception_fp_ieee_overflow 0
		.amdhsa_exception_fp_ieee_underflow 0
		.amdhsa_exception_fp_ieee_inexact 0
		.amdhsa_exception_int_div_zero 0
	.end_amdhsa_kernel
	.section	.text._ZN7rocprim17ROCPRIM_400000_NS6detail17trampoline_kernelINS0_14default_configENS1_25partition_config_selectorILNS1_17partition_subalgoE9EllbEEZZNS1_14partition_implILS5_9ELb0ES3_jPlS8_PNS0_10empty_typeENS0_5tupleIJS8_S9_EEENSB_IJS8_SA_EEENS0_18inequality_wrapperIZN2at6native12_GLOBAL__N_124unique_dim_cuda_templateIiEESt5tupleIJNSF_6TensorESK_SK_EERKSK_lbbbEUlllE0_EEPmJS9_EEE10hipError_tPvRmT3_T4_T5_T6_T7_T9_mT8_P12ihipStream_tbDpT10_ENKUlT_T0_E_clISt17integral_constantIbLb1EES1A_EEDaS15_S16_EUlS15_E_NS1_11comp_targetILNS1_3genE9ELNS1_11target_archE1100ELNS1_3gpuE3ELNS1_3repE0EEENS1_30default_config_static_selectorELNS0_4arch9wavefront6targetE0EEEvT1_,"axG",@progbits,_ZN7rocprim17ROCPRIM_400000_NS6detail17trampoline_kernelINS0_14default_configENS1_25partition_config_selectorILNS1_17partition_subalgoE9EllbEEZZNS1_14partition_implILS5_9ELb0ES3_jPlS8_PNS0_10empty_typeENS0_5tupleIJS8_S9_EEENSB_IJS8_SA_EEENS0_18inequality_wrapperIZN2at6native12_GLOBAL__N_124unique_dim_cuda_templateIiEESt5tupleIJNSF_6TensorESK_SK_EERKSK_lbbbEUlllE0_EEPmJS9_EEE10hipError_tPvRmT3_T4_T5_T6_T7_T9_mT8_P12ihipStream_tbDpT10_ENKUlT_T0_E_clISt17integral_constantIbLb1EES1A_EEDaS15_S16_EUlS15_E_NS1_11comp_targetILNS1_3genE9ELNS1_11target_archE1100ELNS1_3gpuE3ELNS1_3repE0EEENS1_30default_config_static_selectorELNS0_4arch9wavefront6targetE0EEEvT1_,comdat
.Lfunc_end487:
	.size	_ZN7rocprim17ROCPRIM_400000_NS6detail17trampoline_kernelINS0_14default_configENS1_25partition_config_selectorILNS1_17partition_subalgoE9EllbEEZZNS1_14partition_implILS5_9ELb0ES3_jPlS8_PNS0_10empty_typeENS0_5tupleIJS8_S9_EEENSB_IJS8_SA_EEENS0_18inequality_wrapperIZN2at6native12_GLOBAL__N_124unique_dim_cuda_templateIiEESt5tupleIJNSF_6TensorESK_SK_EERKSK_lbbbEUlllE0_EEPmJS9_EEE10hipError_tPvRmT3_T4_T5_T6_T7_T9_mT8_P12ihipStream_tbDpT10_ENKUlT_T0_E_clISt17integral_constantIbLb1EES1A_EEDaS15_S16_EUlS15_E_NS1_11comp_targetILNS1_3genE9ELNS1_11target_archE1100ELNS1_3gpuE3ELNS1_3repE0EEENS1_30default_config_static_selectorELNS0_4arch9wavefront6targetE0EEEvT1_, .Lfunc_end487-_ZN7rocprim17ROCPRIM_400000_NS6detail17trampoline_kernelINS0_14default_configENS1_25partition_config_selectorILNS1_17partition_subalgoE9EllbEEZZNS1_14partition_implILS5_9ELb0ES3_jPlS8_PNS0_10empty_typeENS0_5tupleIJS8_S9_EEENSB_IJS8_SA_EEENS0_18inequality_wrapperIZN2at6native12_GLOBAL__N_124unique_dim_cuda_templateIiEESt5tupleIJNSF_6TensorESK_SK_EERKSK_lbbbEUlllE0_EEPmJS9_EEE10hipError_tPvRmT3_T4_T5_T6_T7_T9_mT8_P12ihipStream_tbDpT10_ENKUlT_T0_E_clISt17integral_constantIbLb1EES1A_EEDaS15_S16_EUlS15_E_NS1_11comp_targetILNS1_3genE9ELNS1_11target_archE1100ELNS1_3gpuE3ELNS1_3repE0EEENS1_30default_config_static_selectorELNS0_4arch9wavefront6targetE0EEEvT1_
                                        ; -- End function
	.section	.AMDGPU.csdata,"",@progbits
; Kernel info:
; codeLenInByte = 20732
; NumSgprs: 42
; NumVgprs: 68
; ScratchSize: 0
; MemoryBound: 0
; FloatMode: 240
; IeeeMode: 1
; LDSByteSize: 33804 bytes/workgroup (compile time only)
; SGPRBlocks: 5
; VGPRBlocks: 8
; NumSGPRsForWavesPerEU: 42
; NumVGPRsForWavesPerEU: 68
; Occupancy: 12
; WaveLimiterHint : 1
; COMPUTE_PGM_RSRC2:SCRATCH_EN: 0
; COMPUTE_PGM_RSRC2:USER_SGPR: 15
; COMPUTE_PGM_RSRC2:TRAP_HANDLER: 0
; COMPUTE_PGM_RSRC2:TGID_X_EN: 1
; COMPUTE_PGM_RSRC2:TGID_Y_EN: 0
; COMPUTE_PGM_RSRC2:TGID_Z_EN: 0
; COMPUTE_PGM_RSRC2:TIDIG_COMP_CNT: 0
	.section	.text._ZN7rocprim17ROCPRIM_400000_NS6detail17trampoline_kernelINS0_14default_configENS1_25partition_config_selectorILNS1_17partition_subalgoE9EllbEEZZNS1_14partition_implILS5_9ELb0ES3_jPlS8_PNS0_10empty_typeENS0_5tupleIJS8_S9_EEENSB_IJS8_SA_EEENS0_18inequality_wrapperIZN2at6native12_GLOBAL__N_124unique_dim_cuda_templateIiEESt5tupleIJNSF_6TensorESK_SK_EERKSK_lbbbEUlllE0_EEPmJS9_EEE10hipError_tPvRmT3_T4_T5_T6_T7_T9_mT8_P12ihipStream_tbDpT10_ENKUlT_T0_E_clISt17integral_constantIbLb1EES1A_EEDaS15_S16_EUlS15_E_NS1_11comp_targetILNS1_3genE8ELNS1_11target_archE1030ELNS1_3gpuE2ELNS1_3repE0EEENS1_30default_config_static_selectorELNS0_4arch9wavefront6targetE0EEEvT1_,"axG",@progbits,_ZN7rocprim17ROCPRIM_400000_NS6detail17trampoline_kernelINS0_14default_configENS1_25partition_config_selectorILNS1_17partition_subalgoE9EllbEEZZNS1_14partition_implILS5_9ELb0ES3_jPlS8_PNS0_10empty_typeENS0_5tupleIJS8_S9_EEENSB_IJS8_SA_EEENS0_18inequality_wrapperIZN2at6native12_GLOBAL__N_124unique_dim_cuda_templateIiEESt5tupleIJNSF_6TensorESK_SK_EERKSK_lbbbEUlllE0_EEPmJS9_EEE10hipError_tPvRmT3_T4_T5_T6_T7_T9_mT8_P12ihipStream_tbDpT10_ENKUlT_T0_E_clISt17integral_constantIbLb1EES1A_EEDaS15_S16_EUlS15_E_NS1_11comp_targetILNS1_3genE8ELNS1_11target_archE1030ELNS1_3gpuE2ELNS1_3repE0EEENS1_30default_config_static_selectorELNS0_4arch9wavefront6targetE0EEEvT1_,comdat
	.globl	_ZN7rocprim17ROCPRIM_400000_NS6detail17trampoline_kernelINS0_14default_configENS1_25partition_config_selectorILNS1_17partition_subalgoE9EllbEEZZNS1_14partition_implILS5_9ELb0ES3_jPlS8_PNS0_10empty_typeENS0_5tupleIJS8_S9_EEENSB_IJS8_SA_EEENS0_18inequality_wrapperIZN2at6native12_GLOBAL__N_124unique_dim_cuda_templateIiEESt5tupleIJNSF_6TensorESK_SK_EERKSK_lbbbEUlllE0_EEPmJS9_EEE10hipError_tPvRmT3_T4_T5_T6_T7_T9_mT8_P12ihipStream_tbDpT10_ENKUlT_T0_E_clISt17integral_constantIbLb1EES1A_EEDaS15_S16_EUlS15_E_NS1_11comp_targetILNS1_3genE8ELNS1_11target_archE1030ELNS1_3gpuE2ELNS1_3repE0EEENS1_30default_config_static_selectorELNS0_4arch9wavefront6targetE0EEEvT1_ ; -- Begin function _ZN7rocprim17ROCPRIM_400000_NS6detail17trampoline_kernelINS0_14default_configENS1_25partition_config_selectorILNS1_17partition_subalgoE9EllbEEZZNS1_14partition_implILS5_9ELb0ES3_jPlS8_PNS0_10empty_typeENS0_5tupleIJS8_S9_EEENSB_IJS8_SA_EEENS0_18inequality_wrapperIZN2at6native12_GLOBAL__N_124unique_dim_cuda_templateIiEESt5tupleIJNSF_6TensorESK_SK_EERKSK_lbbbEUlllE0_EEPmJS9_EEE10hipError_tPvRmT3_T4_T5_T6_T7_T9_mT8_P12ihipStream_tbDpT10_ENKUlT_T0_E_clISt17integral_constantIbLb1EES1A_EEDaS15_S16_EUlS15_E_NS1_11comp_targetILNS1_3genE8ELNS1_11target_archE1030ELNS1_3gpuE2ELNS1_3repE0EEENS1_30default_config_static_selectorELNS0_4arch9wavefront6targetE0EEEvT1_
	.p2align	8
	.type	_ZN7rocprim17ROCPRIM_400000_NS6detail17trampoline_kernelINS0_14default_configENS1_25partition_config_selectorILNS1_17partition_subalgoE9EllbEEZZNS1_14partition_implILS5_9ELb0ES3_jPlS8_PNS0_10empty_typeENS0_5tupleIJS8_S9_EEENSB_IJS8_SA_EEENS0_18inequality_wrapperIZN2at6native12_GLOBAL__N_124unique_dim_cuda_templateIiEESt5tupleIJNSF_6TensorESK_SK_EERKSK_lbbbEUlllE0_EEPmJS9_EEE10hipError_tPvRmT3_T4_T5_T6_T7_T9_mT8_P12ihipStream_tbDpT10_ENKUlT_T0_E_clISt17integral_constantIbLb1EES1A_EEDaS15_S16_EUlS15_E_NS1_11comp_targetILNS1_3genE8ELNS1_11target_archE1030ELNS1_3gpuE2ELNS1_3repE0EEENS1_30default_config_static_selectorELNS0_4arch9wavefront6targetE0EEEvT1_,@function
_ZN7rocprim17ROCPRIM_400000_NS6detail17trampoline_kernelINS0_14default_configENS1_25partition_config_selectorILNS1_17partition_subalgoE9EllbEEZZNS1_14partition_implILS5_9ELb0ES3_jPlS8_PNS0_10empty_typeENS0_5tupleIJS8_S9_EEENSB_IJS8_SA_EEENS0_18inequality_wrapperIZN2at6native12_GLOBAL__N_124unique_dim_cuda_templateIiEESt5tupleIJNSF_6TensorESK_SK_EERKSK_lbbbEUlllE0_EEPmJS9_EEE10hipError_tPvRmT3_T4_T5_T6_T7_T9_mT8_P12ihipStream_tbDpT10_ENKUlT_T0_E_clISt17integral_constantIbLb1EES1A_EEDaS15_S16_EUlS15_E_NS1_11comp_targetILNS1_3genE8ELNS1_11target_archE1030ELNS1_3gpuE2ELNS1_3repE0EEENS1_30default_config_static_selectorELNS0_4arch9wavefront6targetE0EEEvT1_: ; @_ZN7rocprim17ROCPRIM_400000_NS6detail17trampoline_kernelINS0_14default_configENS1_25partition_config_selectorILNS1_17partition_subalgoE9EllbEEZZNS1_14partition_implILS5_9ELb0ES3_jPlS8_PNS0_10empty_typeENS0_5tupleIJS8_S9_EEENSB_IJS8_SA_EEENS0_18inequality_wrapperIZN2at6native12_GLOBAL__N_124unique_dim_cuda_templateIiEESt5tupleIJNSF_6TensorESK_SK_EERKSK_lbbbEUlllE0_EEPmJS9_EEE10hipError_tPvRmT3_T4_T5_T6_T7_T9_mT8_P12ihipStream_tbDpT10_ENKUlT_T0_E_clISt17integral_constantIbLb1EES1A_EEDaS15_S16_EUlS15_E_NS1_11comp_targetILNS1_3genE8ELNS1_11target_archE1030ELNS1_3gpuE2ELNS1_3repE0EEENS1_30default_config_static_selectorELNS0_4arch9wavefront6targetE0EEEvT1_
; %bb.0:
	.section	.rodata,"a",@progbits
	.p2align	6, 0x0
	.amdhsa_kernel _ZN7rocprim17ROCPRIM_400000_NS6detail17trampoline_kernelINS0_14default_configENS1_25partition_config_selectorILNS1_17partition_subalgoE9EllbEEZZNS1_14partition_implILS5_9ELb0ES3_jPlS8_PNS0_10empty_typeENS0_5tupleIJS8_S9_EEENSB_IJS8_SA_EEENS0_18inequality_wrapperIZN2at6native12_GLOBAL__N_124unique_dim_cuda_templateIiEESt5tupleIJNSF_6TensorESK_SK_EERKSK_lbbbEUlllE0_EEPmJS9_EEE10hipError_tPvRmT3_T4_T5_T6_T7_T9_mT8_P12ihipStream_tbDpT10_ENKUlT_T0_E_clISt17integral_constantIbLb1EES1A_EEDaS15_S16_EUlS15_E_NS1_11comp_targetILNS1_3genE8ELNS1_11target_archE1030ELNS1_3gpuE2ELNS1_3repE0EEENS1_30default_config_static_selectorELNS0_4arch9wavefront6targetE0EEEvT1_
		.amdhsa_group_segment_fixed_size 0
		.amdhsa_private_segment_fixed_size 0
		.amdhsa_kernarg_size 136
		.amdhsa_user_sgpr_count 15
		.amdhsa_user_sgpr_dispatch_ptr 0
		.amdhsa_user_sgpr_queue_ptr 0
		.amdhsa_user_sgpr_kernarg_segment_ptr 1
		.amdhsa_user_sgpr_dispatch_id 0
		.amdhsa_user_sgpr_private_segment_size 0
		.amdhsa_wavefront_size32 1
		.amdhsa_uses_dynamic_stack 0
		.amdhsa_enable_private_segment 0
		.amdhsa_system_sgpr_workgroup_id_x 1
		.amdhsa_system_sgpr_workgroup_id_y 0
		.amdhsa_system_sgpr_workgroup_id_z 0
		.amdhsa_system_sgpr_workgroup_info 0
		.amdhsa_system_vgpr_workitem_id 0
		.amdhsa_next_free_vgpr 1
		.amdhsa_next_free_sgpr 1
		.amdhsa_reserve_vcc 0
		.amdhsa_float_round_mode_32 0
		.amdhsa_float_round_mode_16_64 0
		.amdhsa_float_denorm_mode_32 3
		.amdhsa_float_denorm_mode_16_64 3
		.amdhsa_dx10_clamp 1
		.amdhsa_ieee_mode 1
		.amdhsa_fp16_overflow 0
		.amdhsa_workgroup_processor_mode 1
		.amdhsa_memory_ordered 1
		.amdhsa_forward_progress 0
		.amdhsa_shared_vgpr_count 0
		.amdhsa_exception_fp_ieee_invalid_op 0
		.amdhsa_exception_fp_denorm_src 0
		.amdhsa_exception_fp_ieee_div_zero 0
		.amdhsa_exception_fp_ieee_overflow 0
		.amdhsa_exception_fp_ieee_underflow 0
		.amdhsa_exception_fp_ieee_inexact 0
		.amdhsa_exception_int_div_zero 0
	.end_amdhsa_kernel
	.section	.text._ZN7rocprim17ROCPRIM_400000_NS6detail17trampoline_kernelINS0_14default_configENS1_25partition_config_selectorILNS1_17partition_subalgoE9EllbEEZZNS1_14partition_implILS5_9ELb0ES3_jPlS8_PNS0_10empty_typeENS0_5tupleIJS8_S9_EEENSB_IJS8_SA_EEENS0_18inequality_wrapperIZN2at6native12_GLOBAL__N_124unique_dim_cuda_templateIiEESt5tupleIJNSF_6TensorESK_SK_EERKSK_lbbbEUlllE0_EEPmJS9_EEE10hipError_tPvRmT3_T4_T5_T6_T7_T9_mT8_P12ihipStream_tbDpT10_ENKUlT_T0_E_clISt17integral_constantIbLb1EES1A_EEDaS15_S16_EUlS15_E_NS1_11comp_targetILNS1_3genE8ELNS1_11target_archE1030ELNS1_3gpuE2ELNS1_3repE0EEENS1_30default_config_static_selectorELNS0_4arch9wavefront6targetE0EEEvT1_,"axG",@progbits,_ZN7rocprim17ROCPRIM_400000_NS6detail17trampoline_kernelINS0_14default_configENS1_25partition_config_selectorILNS1_17partition_subalgoE9EllbEEZZNS1_14partition_implILS5_9ELb0ES3_jPlS8_PNS0_10empty_typeENS0_5tupleIJS8_S9_EEENSB_IJS8_SA_EEENS0_18inequality_wrapperIZN2at6native12_GLOBAL__N_124unique_dim_cuda_templateIiEESt5tupleIJNSF_6TensorESK_SK_EERKSK_lbbbEUlllE0_EEPmJS9_EEE10hipError_tPvRmT3_T4_T5_T6_T7_T9_mT8_P12ihipStream_tbDpT10_ENKUlT_T0_E_clISt17integral_constantIbLb1EES1A_EEDaS15_S16_EUlS15_E_NS1_11comp_targetILNS1_3genE8ELNS1_11target_archE1030ELNS1_3gpuE2ELNS1_3repE0EEENS1_30default_config_static_selectorELNS0_4arch9wavefront6targetE0EEEvT1_,comdat
.Lfunc_end488:
	.size	_ZN7rocprim17ROCPRIM_400000_NS6detail17trampoline_kernelINS0_14default_configENS1_25partition_config_selectorILNS1_17partition_subalgoE9EllbEEZZNS1_14partition_implILS5_9ELb0ES3_jPlS8_PNS0_10empty_typeENS0_5tupleIJS8_S9_EEENSB_IJS8_SA_EEENS0_18inequality_wrapperIZN2at6native12_GLOBAL__N_124unique_dim_cuda_templateIiEESt5tupleIJNSF_6TensorESK_SK_EERKSK_lbbbEUlllE0_EEPmJS9_EEE10hipError_tPvRmT3_T4_T5_T6_T7_T9_mT8_P12ihipStream_tbDpT10_ENKUlT_T0_E_clISt17integral_constantIbLb1EES1A_EEDaS15_S16_EUlS15_E_NS1_11comp_targetILNS1_3genE8ELNS1_11target_archE1030ELNS1_3gpuE2ELNS1_3repE0EEENS1_30default_config_static_selectorELNS0_4arch9wavefront6targetE0EEEvT1_, .Lfunc_end488-_ZN7rocprim17ROCPRIM_400000_NS6detail17trampoline_kernelINS0_14default_configENS1_25partition_config_selectorILNS1_17partition_subalgoE9EllbEEZZNS1_14partition_implILS5_9ELb0ES3_jPlS8_PNS0_10empty_typeENS0_5tupleIJS8_S9_EEENSB_IJS8_SA_EEENS0_18inequality_wrapperIZN2at6native12_GLOBAL__N_124unique_dim_cuda_templateIiEESt5tupleIJNSF_6TensorESK_SK_EERKSK_lbbbEUlllE0_EEPmJS9_EEE10hipError_tPvRmT3_T4_T5_T6_T7_T9_mT8_P12ihipStream_tbDpT10_ENKUlT_T0_E_clISt17integral_constantIbLb1EES1A_EEDaS15_S16_EUlS15_E_NS1_11comp_targetILNS1_3genE8ELNS1_11target_archE1030ELNS1_3gpuE2ELNS1_3repE0EEENS1_30default_config_static_selectorELNS0_4arch9wavefront6targetE0EEEvT1_
                                        ; -- End function
	.section	.AMDGPU.csdata,"",@progbits
; Kernel info:
; codeLenInByte = 0
; NumSgprs: 0
; NumVgprs: 0
; ScratchSize: 0
; MemoryBound: 0
; FloatMode: 240
; IeeeMode: 1
; LDSByteSize: 0 bytes/workgroup (compile time only)
; SGPRBlocks: 0
; VGPRBlocks: 0
; NumSGPRsForWavesPerEU: 1
; NumVGPRsForWavesPerEU: 1
; Occupancy: 16
; WaveLimiterHint : 0
; COMPUTE_PGM_RSRC2:SCRATCH_EN: 0
; COMPUTE_PGM_RSRC2:USER_SGPR: 15
; COMPUTE_PGM_RSRC2:TRAP_HANDLER: 0
; COMPUTE_PGM_RSRC2:TGID_X_EN: 1
; COMPUTE_PGM_RSRC2:TGID_Y_EN: 0
; COMPUTE_PGM_RSRC2:TGID_Z_EN: 0
; COMPUTE_PGM_RSRC2:TIDIG_COMP_CNT: 0
	.section	.text._ZN7rocprim17ROCPRIM_400000_NS6detail17trampoline_kernelINS0_14default_configENS1_25partition_config_selectorILNS1_17partition_subalgoE9EllbEEZZNS1_14partition_implILS5_9ELb0ES3_jPlS8_PNS0_10empty_typeENS0_5tupleIJS8_S9_EEENSB_IJS8_SA_EEENS0_18inequality_wrapperIZN2at6native12_GLOBAL__N_124unique_dim_cuda_templateIiEESt5tupleIJNSF_6TensorESK_SK_EERKSK_lbbbEUlllE0_EEPmJS9_EEE10hipError_tPvRmT3_T4_T5_T6_T7_T9_mT8_P12ihipStream_tbDpT10_ENKUlT_T0_E_clISt17integral_constantIbLb1EES19_IbLb0EEEEDaS15_S16_EUlS15_E_NS1_11comp_targetILNS1_3genE0ELNS1_11target_archE4294967295ELNS1_3gpuE0ELNS1_3repE0EEENS1_30default_config_static_selectorELNS0_4arch9wavefront6targetE0EEEvT1_,"axG",@progbits,_ZN7rocprim17ROCPRIM_400000_NS6detail17trampoline_kernelINS0_14default_configENS1_25partition_config_selectorILNS1_17partition_subalgoE9EllbEEZZNS1_14partition_implILS5_9ELb0ES3_jPlS8_PNS0_10empty_typeENS0_5tupleIJS8_S9_EEENSB_IJS8_SA_EEENS0_18inequality_wrapperIZN2at6native12_GLOBAL__N_124unique_dim_cuda_templateIiEESt5tupleIJNSF_6TensorESK_SK_EERKSK_lbbbEUlllE0_EEPmJS9_EEE10hipError_tPvRmT3_T4_T5_T6_T7_T9_mT8_P12ihipStream_tbDpT10_ENKUlT_T0_E_clISt17integral_constantIbLb1EES19_IbLb0EEEEDaS15_S16_EUlS15_E_NS1_11comp_targetILNS1_3genE0ELNS1_11target_archE4294967295ELNS1_3gpuE0ELNS1_3repE0EEENS1_30default_config_static_selectorELNS0_4arch9wavefront6targetE0EEEvT1_,comdat
	.globl	_ZN7rocprim17ROCPRIM_400000_NS6detail17trampoline_kernelINS0_14default_configENS1_25partition_config_selectorILNS1_17partition_subalgoE9EllbEEZZNS1_14partition_implILS5_9ELb0ES3_jPlS8_PNS0_10empty_typeENS0_5tupleIJS8_S9_EEENSB_IJS8_SA_EEENS0_18inequality_wrapperIZN2at6native12_GLOBAL__N_124unique_dim_cuda_templateIiEESt5tupleIJNSF_6TensorESK_SK_EERKSK_lbbbEUlllE0_EEPmJS9_EEE10hipError_tPvRmT3_T4_T5_T6_T7_T9_mT8_P12ihipStream_tbDpT10_ENKUlT_T0_E_clISt17integral_constantIbLb1EES19_IbLb0EEEEDaS15_S16_EUlS15_E_NS1_11comp_targetILNS1_3genE0ELNS1_11target_archE4294967295ELNS1_3gpuE0ELNS1_3repE0EEENS1_30default_config_static_selectorELNS0_4arch9wavefront6targetE0EEEvT1_ ; -- Begin function _ZN7rocprim17ROCPRIM_400000_NS6detail17trampoline_kernelINS0_14default_configENS1_25partition_config_selectorILNS1_17partition_subalgoE9EllbEEZZNS1_14partition_implILS5_9ELb0ES3_jPlS8_PNS0_10empty_typeENS0_5tupleIJS8_S9_EEENSB_IJS8_SA_EEENS0_18inequality_wrapperIZN2at6native12_GLOBAL__N_124unique_dim_cuda_templateIiEESt5tupleIJNSF_6TensorESK_SK_EERKSK_lbbbEUlllE0_EEPmJS9_EEE10hipError_tPvRmT3_T4_T5_T6_T7_T9_mT8_P12ihipStream_tbDpT10_ENKUlT_T0_E_clISt17integral_constantIbLb1EES19_IbLb0EEEEDaS15_S16_EUlS15_E_NS1_11comp_targetILNS1_3genE0ELNS1_11target_archE4294967295ELNS1_3gpuE0ELNS1_3repE0EEENS1_30default_config_static_selectorELNS0_4arch9wavefront6targetE0EEEvT1_
	.p2align	8
	.type	_ZN7rocprim17ROCPRIM_400000_NS6detail17trampoline_kernelINS0_14default_configENS1_25partition_config_selectorILNS1_17partition_subalgoE9EllbEEZZNS1_14partition_implILS5_9ELb0ES3_jPlS8_PNS0_10empty_typeENS0_5tupleIJS8_S9_EEENSB_IJS8_SA_EEENS0_18inequality_wrapperIZN2at6native12_GLOBAL__N_124unique_dim_cuda_templateIiEESt5tupleIJNSF_6TensorESK_SK_EERKSK_lbbbEUlllE0_EEPmJS9_EEE10hipError_tPvRmT3_T4_T5_T6_T7_T9_mT8_P12ihipStream_tbDpT10_ENKUlT_T0_E_clISt17integral_constantIbLb1EES19_IbLb0EEEEDaS15_S16_EUlS15_E_NS1_11comp_targetILNS1_3genE0ELNS1_11target_archE4294967295ELNS1_3gpuE0ELNS1_3repE0EEENS1_30default_config_static_selectorELNS0_4arch9wavefront6targetE0EEEvT1_,@function
_ZN7rocprim17ROCPRIM_400000_NS6detail17trampoline_kernelINS0_14default_configENS1_25partition_config_selectorILNS1_17partition_subalgoE9EllbEEZZNS1_14partition_implILS5_9ELb0ES3_jPlS8_PNS0_10empty_typeENS0_5tupleIJS8_S9_EEENSB_IJS8_SA_EEENS0_18inequality_wrapperIZN2at6native12_GLOBAL__N_124unique_dim_cuda_templateIiEESt5tupleIJNSF_6TensorESK_SK_EERKSK_lbbbEUlllE0_EEPmJS9_EEE10hipError_tPvRmT3_T4_T5_T6_T7_T9_mT8_P12ihipStream_tbDpT10_ENKUlT_T0_E_clISt17integral_constantIbLb1EES19_IbLb0EEEEDaS15_S16_EUlS15_E_NS1_11comp_targetILNS1_3genE0ELNS1_11target_archE4294967295ELNS1_3gpuE0ELNS1_3repE0EEENS1_30default_config_static_selectorELNS0_4arch9wavefront6targetE0EEEvT1_: ; @_ZN7rocprim17ROCPRIM_400000_NS6detail17trampoline_kernelINS0_14default_configENS1_25partition_config_selectorILNS1_17partition_subalgoE9EllbEEZZNS1_14partition_implILS5_9ELb0ES3_jPlS8_PNS0_10empty_typeENS0_5tupleIJS8_S9_EEENSB_IJS8_SA_EEENS0_18inequality_wrapperIZN2at6native12_GLOBAL__N_124unique_dim_cuda_templateIiEESt5tupleIJNSF_6TensorESK_SK_EERKSK_lbbbEUlllE0_EEPmJS9_EEE10hipError_tPvRmT3_T4_T5_T6_T7_T9_mT8_P12ihipStream_tbDpT10_ENKUlT_T0_E_clISt17integral_constantIbLb1EES19_IbLb0EEEEDaS15_S16_EUlS15_E_NS1_11comp_targetILNS1_3genE0ELNS1_11target_archE4294967295ELNS1_3gpuE0ELNS1_3repE0EEENS1_30default_config_static_selectorELNS0_4arch9wavefront6targetE0EEEvT1_
; %bb.0:
	.section	.rodata,"a",@progbits
	.p2align	6, 0x0
	.amdhsa_kernel _ZN7rocprim17ROCPRIM_400000_NS6detail17trampoline_kernelINS0_14default_configENS1_25partition_config_selectorILNS1_17partition_subalgoE9EllbEEZZNS1_14partition_implILS5_9ELb0ES3_jPlS8_PNS0_10empty_typeENS0_5tupleIJS8_S9_EEENSB_IJS8_SA_EEENS0_18inequality_wrapperIZN2at6native12_GLOBAL__N_124unique_dim_cuda_templateIiEESt5tupleIJNSF_6TensorESK_SK_EERKSK_lbbbEUlllE0_EEPmJS9_EEE10hipError_tPvRmT3_T4_T5_T6_T7_T9_mT8_P12ihipStream_tbDpT10_ENKUlT_T0_E_clISt17integral_constantIbLb1EES19_IbLb0EEEEDaS15_S16_EUlS15_E_NS1_11comp_targetILNS1_3genE0ELNS1_11target_archE4294967295ELNS1_3gpuE0ELNS1_3repE0EEENS1_30default_config_static_selectorELNS0_4arch9wavefront6targetE0EEEvT1_
		.amdhsa_group_segment_fixed_size 0
		.amdhsa_private_segment_fixed_size 0
		.amdhsa_kernarg_size 120
		.amdhsa_user_sgpr_count 15
		.amdhsa_user_sgpr_dispatch_ptr 0
		.amdhsa_user_sgpr_queue_ptr 0
		.amdhsa_user_sgpr_kernarg_segment_ptr 1
		.amdhsa_user_sgpr_dispatch_id 0
		.amdhsa_user_sgpr_private_segment_size 0
		.amdhsa_wavefront_size32 1
		.amdhsa_uses_dynamic_stack 0
		.amdhsa_enable_private_segment 0
		.amdhsa_system_sgpr_workgroup_id_x 1
		.amdhsa_system_sgpr_workgroup_id_y 0
		.amdhsa_system_sgpr_workgroup_id_z 0
		.amdhsa_system_sgpr_workgroup_info 0
		.amdhsa_system_vgpr_workitem_id 0
		.amdhsa_next_free_vgpr 1
		.amdhsa_next_free_sgpr 1
		.amdhsa_reserve_vcc 0
		.amdhsa_float_round_mode_32 0
		.amdhsa_float_round_mode_16_64 0
		.amdhsa_float_denorm_mode_32 3
		.amdhsa_float_denorm_mode_16_64 3
		.amdhsa_dx10_clamp 1
		.amdhsa_ieee_mode 1
		.amdhsa_fp16_overflow 0
		.amdhsa_workgroup_processor_mode 1
		.amdhsa_memory_ordered 1
		.amdhsa_forward_progress 0
		.amdhsa_shared_vgpr_count 0
		.amdhsa_exception_fp_ieee_invalid_op 0
		.amdhsa_exception_fp_denorm_src 0
		.amdhsa_exception_fp_ieee_div_zero 0
		.amdhsa_exception_fp_ieee_overflow 0
		.amdhsa_exception_fp_ieee_underflow 0
		.amdhsa_exception_fp_ieee_inexact 0
		.amdhsa_exception_int_div_zero 0
	.end_amdhsa_kernel
	.section	.text._ZN7rocprim17ROCPRIM_400000_NS6detail17trampoline_kernelINS0_14default_configENS1_25partition_config_selectorILNS1_17partition_subalgoE9EllbEEZZNS1_14partition_implILS5_9ELb0ES3_jPlS8_PNS0_10empty_typeENS0_5tupleIJS8_S9_EEENSB_IJS8_SA_EEENS0_18inequality_wrapperIZN2at6native12_GLOBAL__N_124unique_dim_cuda_templateIiEESt5tupleIJNSF_6TensorESK_SK_EERKSK_lbbbEUlllE0_EEPmJS9_EEE10hipError_tPvRmT3_T4_T5_T6_T7_T9_mT8_P12ihipStream_tbDpT10_ENKUlT_T0_E_clISt17integral_constantIbLb1EES19_IbLb0EEEEDaS15_S16_EUlS15_E_NS1_11comp_targetILNS1_3genE0ELNS1_11target_archE4294967295ELNS1_3gpuE0ELNS1_3repE0EEENS1_30default_config_static_selectorELNS0_4arch9wavefront6targetE0EEEvT1_,"axG",@progbits,_ZN7rocprim17ROCPRIM_400000_NS6detail17trampoline_kernelINS0_14default_configENS1_25partition_config_selectorILNS1_17partition_subalgoE9EllbEEZZNS1_14partition_implILS5_9ELb0ES3_jPlS8_PNS0_10empty_typeENS0_5tupleIJS8_S9_EEENSB_IJS8_SA_EEENS0_18inequality_wrapperIZN2at6native12_GLOBAL__N_124unique_dim_cuda_templateIiEESt5tupleIJNSF_6TensorESK_SK_EERKSK_lbbbEUlllE0_EEPmJS9_EEE10hipError_tPvRmT3_T4_T5_T6_T7_T9_mT8_P12ihipStream_tbDpT10_ENKUlT_T0_E_clISt17integral_constantIbLb1EES19_IbLb0EEEEDaS15_S16_EUlS15_E_NS1_11comp_targetILNS1_3genE0ELNS1_11target_archE4294967295ELNS1_3gpuE0ELNS1_3repE0EEENS1_30default_config_static_selectorELNS0_4arch9wavefront6targetE0EEEvT1_,comdat
.Lfunc_end489:
	.size	_ZN7rocprim17ROCPRIM_400000_NS6detail17trampoline_kernelINS0_14default_configENS1_25partition_config_selectorILNS1_17partition_subalgoE9EllbEEZZNS1_14partition_implILS5_9ELb0ES3_jPlS8_PNS0_10empty_typeENS0_5tupleIJS8_S9_EEENSB_IJS8_SA_EEENS0_18inequality_wrapperIZN2at6native12_GLOBAL__N_124unique_dim_cuda_templateIiEESt5tupleIJNSF_6TensorESK_SK_EERKSK_lbbbEUlllE0_EEPmJS9_EEE10hipError_tPvRmT3_T4_T5_T6_T7_T9_mT8_P12ihipStream_tbDpT10_ENKUlT_T0_E_clISt17integral_constantIbLb1EES19_IbLb0EEEEDaS15_S16_EUlS15_E_NS1_11comp_targetILNS1_3genE0ELNS1_11target_archE4294967295ELNS1_3gpuE0ELNS1_3repE0EEENS1_30default_config_static_selectorELNS0_4arch9wavefront6targetE0EEEvT1_, .Lfunc_end489-_ZN7rocprim17ROCPRIM_400000_NS6detail17trampoline_kernelINS0_14default_configENS1_25partition_config_selectorILNS1_17partition_subalgoE9EllbEEZZNS1_14partition_implILS5_9ELb0ES3_jPlS8_PNS0_10empty_typeENS0_5tupleIJS8_S9_EEENSB_IJS8_SA_EEENS0_18inequality_wrapperIZN2at6native12_GLOBAL__N_124unique_dim_cuda_templateIiEESt5tupleIJNSF_6TensorESK_SK_EERKSK_lbbbEUlllE0_EEPmJS9_EEE10hipError_tPvRmT3_T4_T5_T6_T7_T9_mT8_P12ihipStream_tbDpT10_ENKUlT_T0_E_clISt17integral_constantIbLb1EES19_IbLb0EEEEDaS15_S16_EUlS15_E_NS1_11comp_targetILNS1_3genE0ELNS1_11target_archE4294967295ELNS1_3gpuE0ELNS1_3repE0EEENS1_30default_config_static_selectorELNS0_4arch9wavefront6targetE0EEEvT1_
                                        ; -- End function
	.section	.AMDGPU.csdata,"",@progbits
; Kernel info:
; codeLenInByte = 0
; NumSgprs: 0
; NumVgprs: 0
; ScratchSize: 0
; MemoryBound: 0
; FloatMode: 240
; IeeeMode: 1
; LDSByteSize: 0 bytes/workgroup (compile time only)
; SGPRBlocks: 0
; VGPRBlocks: 0
; NumSGPRsForWavesPerEU: 1
; NumVGPRsForWavesPerEU: 1
; Occupancy: 16
; WaveLimiterHint : 0
; COMPUTE_PGM_RSRC2:SCRATCH_EN: 0
; COMPUTE_PGM_RSRC2:USER_SGPR: 15
; COMPUTE_PGM_RSRC2:TRAP_HANDLER: 0
; COMPUTE_PGM_RSRC2:TGID_X_EN: 1
; COMPUTE_PGM_RSRC2:TGID_Y_EN: 0
; COMPUTE_PGM_RSRC2:TGID_Z_EN: 0
; COMPUTE_PGM_RSRC2:TIDIG_COMP_CNT: 0
	.section	.text._ZN7rocprim17ROCPRIM_400000_NS6detail17trampoline_kernelINS0_14default_configENS1_25partition_config_selectorILNS1_17partition_subalgoE9EllbEEZZNS1_14partition_implILS5_9ELb0ES3_jPlS8_PNS0_10empty_typeENS0_5tupleIJS8_S9_EEENSB_IJS8_SA_EEENS0_18inequality_wrapperIZN2at6native12_GLOBAL__N_124unique_dim_cuda_templateIiEESt5tupleIJNSF_6TensorESK_SK_EERKSK_lbbbEUlllE0_EEPmJS9_EEE10hipError_tPvRmT3_T4_T5_T6_T7_T9_mT8_P12ihipStream_tbDpT10_ENKUlT_T0_E_clISt17integral_constantIbLb1EES19_IbLb0EEEEDaS15_S16_EUlS15_E_NS1_11comp_targetILNS1_3genE5ELNS1_11target_archE942ELNS1_3gpuE9ELNS1_3repE0EEENS1_30default_config_static_selectorELNS0_4arch9wavefront6targetE0EEEvT1_,"axG",@progbits,_ZN7rocprim17ROCPRIM_400000_NS6detail17trampoline_kernelINS0_14default_configENS1_25partition_config_selectorILNS1_17partition_subalgoE9EllbEEZZNS1_14partition_implILS5_9ELb0ES3_jPlS8_PNS0_10empty_typeENS0_5tupleIJS8_S9_EEENSB_IJS8_SA_EEENS0_18inequality_wrapperIZN2at6native12_GLOBAL__N_124unique_dim_cuda_templateIiEESt5tupleIJNSF_6TensorESK_SK_EERKSK_lbbbEUlllE0_EEPmJS9_EEE10hipError_tPvRmT3_T4_T5_T6_T7_T9_mT8_P12ihipStream_tbDpT10_ENKUlT_T0_E_clISt17integral_constantIbLb1EES19_IbLb0EEEEDaS15_S16_EUlS15_E_NS1_11comp_targetILNS1_3genE5ELNS1_11target_archE942ELNS1_3gpuE9ELNS1_3repE0EEENS1_30default_config_static_selectorELNS0_4arch9wavefront6targetE0EEEvT1_,comdat
	.globl	_ZN7rocprim17ROCPRIM_400000_NS6detail17trampoline_kernelINS0_14default_configENS1_25partition_config_selectorILNS1_17partition_subalgoE9EllbEEZZNS1_14partition_implILS5_9ELb0ES3_jPlS8_PNS0_10empty_typeENS0_5tupleIJS8_S9_EEENSB_IJS8_SA_EEENS0_18inequality_wrapperIZN2at6native12_GLOBAL__N_124unique_dim_cuda_templateIiEESt5tupleIJNSF_6TensorESK_SK_EERKSK_lbbbEUlllE0_EEPmJS9_EEE10hipError_tPvRmT3_T4_T5_T6_T7_T9_mT8_P12ihipStream_tbDpT10_ENKUlT_T0_E_clISt17integral_constantIbLb1EES19_IbLb0EEEEDaS15_S16_EUlS15_E_NS1_11comp_targetILNS1_3genE5ELNS1_11target_archE942ELNS1_3gpuE9ELNS1_3repE0EEENS1_30default_config_static_selectorELNS0_4arch9wavefront6targetE0EEEvT1_ ; -- Begin function _ZN7rocprim17ROCPRIM_400000_NS6detail17trampoline_kernelINS0_14default_configENS1_25partition_config_selectorILNS1_17partition_subalgoE9EllbEEZZNS1_14partition_implILS5_9ELb0ES3_jPlS8_PNS0_10empty_typeENS0_5tupleIJS8_S9_EEENSB_IJS8_SA_EEENS0_18inequality_wrapperIZN2at6native12_GLOBAL__N_124unique_dim_cuda_templateIiEESt5tupleIJNSF_6TensorESK_SK_EERKSK_lbbbEUlllE0_EEPmJS9_EEE10hipError_tPvRmT3_T4_T5_T6_T7_T9_mT8_P12ihipStream_tbDpT10_ENKUlT_T0_E_clISt17integral_constantIbLb1EES19_IbLb0EEEEDaS15_S16_EUlS15_E_NS1_11comp_targetILNS1_3genE5ELNS1_11target_archE942ELNS1_3gpuE9ELNS1_3repE0EEENS1_30default_config_static_selectorELNS0_4arch9wavefront6targetE0EEEvT1_
	.p2align	8
	.type	_ZN7rocprim17ROCPRIM_400000_NS6detail17trampoline_kernelINS0_14default_configENS1_25partition_config_selectorILNS1_17partition_subalgoE9EllbEEZZNS1_14partition_implILS5_9ELb0ES3_jPlS8_PNS0_10empty_typeENS0_5tupleIJS8_S9_EEENSB_IJS8_SA_EEENS0_18inequality_wrapperIZN2at6native12_GLOBAL__N_124unique_dim_cuda_templateIiEESt5tupleIJNSF_6TensorESK_SK_EERKSK_lbbbEUlllE0_EEPmJS9_EEE10hipError_tPvRmT3_T4_T5_T6_T7_T9_mT8_P12ihipStream_tbDpT10_ENKUlT_T0_E_clISt17integral_constantIbLb1EES19_IbLb0EEEEDaS15_S16_EUlS15_E_NS1_11comp_targetILNS1_3genE5ELNS1_11target_archE942ELNS1_3gpuE9ELNS1_3repE0EEENS1_30default_config_static_selectorELNS0_4arch9wavefront6targetE0EEEvT1_,@function
_ZN7rocprim17ROCPRIM_400000_NS6detail17trampoline_kernelINS0_14default_configENS1_25partition_config_selectorILNS1_17partition_subalgoE9EllbEEZZNS1_14partition_implILS5_9ELb0ES3_jPlS8_PNS0_10empty_typeENS0_5tupleIJS8_S9_EEENSB_IJS8_SA_EEENS0_18inequality_wrapperIZN2at6native12_GLOBAL__N_124unique_dim_cuda_templateIiEESt5tupleIJNSF_6TensorESK_SK_EERKSK_lbbbEUlllE0_EEPmJS9_EEE10hipError_tPvRmT3_T4_T5_T6_T7_T9_mT8_P12ihipStream_tbDpT10_ENKUlT_T0_E_clISt17integral_constantIbLb1EES19_IbLb0EEEEDaS15_S16_EUlS15_E_NS1_11comp_targetILNS1_3genE5ELNS1_11target_archE942ELNS1_3gpuE9ELNS1_3repE0EEENS1_30default_config_static_selectorELNS0_4arch9wavefront6targetE0EEEvT1_: ; @_ZN7rocprim17ROCPRIM_400000_NS6detail17trampoline_kernelINS0_14default_configENS1_25partition_config_selectorILNS1_17partition_subalgoE9EllbEEZZNS1_14partition_implILS5_9ELb0ES3_jPlS8_PNS0_10empty_typeENS0_5tupleIJS8_S9_EEENSB_IJS8_SA_EEENS0_18inequality_wrapperIZN2at6native12_GLOBAL__N_124unique_dim_cuda_templateIiEESt5tupleIJNSF_6TensorESK_SK_EERKSK_lbbbEUlllE0_EEPmJS9_EEE10hipError_tPvRmT3_T4_T5_T6_T7_T9_mT8_P12ihipStream_tbDpT10_ENKUlT_T0_E_clISt17integral_constantIbLb1EES19_IbLb0EEEEDaS15_S16_EUlS15_E_NS1_11comp_targetILNS1_3genE5ELNS1_11target_archE942ELNS1_3gpuE9ELNS1_3repE0EEENS1_30default_config_static_selectorELNS0_4arch9wavefront6targetE0EEEvT1_
; %bb.0:
	.section	.rodata,"a",@progbits
	.p2align	6, 0x0
	.amdhsa_kernel _ZN7rocprim17ROCPRIM_400000_NS6detail17trampoline_kernelINS0_14default_configENS1_25partition_config_selectorILNS1_17partition_subalgoE9EllbEEZZNS1_14partition_implILS5_9ELb0ES3_jPlS8_PNS0_10empty_typeENS0_5tupleIJS8_S9_EEENSB_IJS8_SA_EEENS0_18inequality_wrapperIZN2at6native12_GLOBAL__N_124unique_dim_cuda_templateIiEESt5tupleIJNSF_6TensorESK_SK_EERKSK_lbbbEUlllE0_EEPmJS9_EEE10hipError_tPvRmT3_T4_T5_T6_T7_T9_mT8_P12ihipStream_tbDpT10_ENKUlT_T0_E_clISt17integral_constantIbLb1EES19_IbLb0EEEEDaS15_S16_EUlS15_E_NS1_11comp_targetILNS1_3genE5ELNS1_11target_archE942ELNS1_3gpuE9ELNS1_3repE0EEENS1_30default_config_static_selectorELNS0_4arch9wavefront6targetE0EEEvT1_
		.amdhsa_group_segment_fixed_size 0
		.amdhsa_private_segment_fixed_size 0
		.amdhsa_kernarg_size 120
		.amdhsa_user_sgpr_count 15
		.amdhsa_user_sgpr_dispatch_ptr 0
		.amdhsa_user_sgpr_queue_ptr 0
		.amdhsa_user_sgpr_kernarg_segment_ptr 1
		.amdhsa_user_sgpr_dispatch_id 0
		.amdhsa_user_sgpr_private_segment_size 0
		.amdhsa_wavefront_size32 1
		.amdhsa_uses_dynamic_stack 0
		.amdhsa_enable_private_segment 0
		.amdhsa_system_sgpr_workgroup_id_x 1
		.amdhsa_system_sgpr_workgroup_id_y 0
		.amdhsa_system_sgpr_workgroup_id_z 0
		.amdhsa_system_sgpr_workgroup_info 0
		.amdhsa_system_vgpr_workitem_id 0
		.amdhsa_next_free_vgpr 1
		.amdhsa_next_free_sgpr 1
		.amdhsa_reserve_vcc 0
		.amdhsa_float_round_mode_32 0
		.amdhsa_float_round_mode_16_64 0
		.amdhsa_float_denorm_mode_32 3
		.amdhsa_float_denorm_mode_16_64 3
		.amdhsa_dx10_clamp 1
		.amdhsa_ieee_mode 1
		.amdhsa_fp16_overflow 0
		.amdhsa_workgroup_processor_mode 1
		.amdhsa_memory_ordered 1
		.amdhsa_forward_progress 0
		.amdhsa_shared_vgpr_count 0
		.amdhsa_exception_fp_ieee_invalid_op 0
		.amdhsa_exception_fp_denorm_src 0
		.amdhsa_exception_fp_ieee_div_zero 0
		.amdhsa_exception_fp_ieee_overflow 0
		.amdhsa_exception_fp_ieee_underflow 0
		.amdhsa_exception_fp_ieee_inexact 0
		.amdhsa_exception_int_div_zero 0
	.end_amdhsa_kernel
	.section	.text._ZN7rocprim17ROCPRIM_400000_NS6detail17trampoline_kernelINS0_14default_configENS1_25partition_config_selectorILNS1_17partition_subalgoE9EllbEEZZNS1_14partition_implILS5_9ELb0ES3_jPlS8_PNS0_10empty_typeENS0_5tupleIJS8_S9_EEENSB_IJS8_SA_EEENS0_18inequality_wrapperIZN2at6native12_GLOBAL__N_124unique_dim_cuda_templateIiEESt5tupleIJNSF_6TensorESK_SK_EERKSK_lbbbEUlllE0_EEPmJS9_EEE10hipError_tPvRmT3_T4_T5_T6_T7_T9_mT8_P12ihipStream_tbDpT10_ENKUlT_T0_E_clISt17integral_constantIbLb1EES19_IbLb0EEEEDaS15_S16_EUlS15_E_NS1_11comp_targetILNS1_3genE5ELNS1_11target_archE942ELNS1_3gpuE9ELNS1_3repE0EEENS1_30default_config_static_selectorELNS0_4arch9wavefront6targetE0EEEvT1_,"axG",@progbits,_ZN7rocprim17ROCPRIM_400000_NS6detail17trampoline_kernelINS0_14default_configENS1_25partition_config_selectorILNS1_17partition_subalgoE9EllbEEZZNS1_14partition_implILS5_9ELb0ES3_jPlS8_PNS0_10empty_typeENS0_5tupleIJS8_S9_EEENSB_IJS8_SA_EEENS0_18inequality_wrapperIZN2at6native12_GLOBAL__N_124unique_dim_cuda_templateIiEESt5tupleIJNSF_6TensorESK_SK_EERKSK_lbbbEUlllE0_EEPmJS9_EEE10hipError_tPvRmT3_T4_T5_T6_T7_T9_mT8_P12ihipStream_tbDpT10_ENKUlT_T0_E_clISt17integral_constantIbLb1EES19_IbLb0EEEEDaS15_S16_EUlS15_E_NS1_11comp_targetILNS1_3genE5ELNS1_11target_archE942ELNS1_3gpuE9ELNS1_3repE0EEENS1_30default_config_static_selectorELNS0_4arch9wavefront6targetE0EEEvT1_,comdat
.Lfunc_end490:
	.size	_ZN7rocprim17ROCPRIM_400000_NS6detail17trampoline_kernelINS0_14default_configENS1_25partition_config_selectorILNS1_17partition_subalgoE9EllbEEZZNS1_14partition_implILS5_9ELb0ES3_jPlS8_PNS0_10empty_typeENS0_5tupleIJS8_S9_EEENSB_IJS8_SA_EEENS0_18inequality_wrapperIZN2at6native12_GLOBAL__N_124unique_dim_cuda_templateIiEESt5tupleIJNSF_6TensorESK_SK_EERKSK_lbbbEUlllE0_EEPmJS9_EEE10hipError_tPvRmT3_T4_T5_T6_T7_T9_mT8_P12ihipStream_tbDpT10_ENKUlT_T0_E_clISt17integral_constantIbLb1EES19_IbLb0EEEEDaS15_S16_EUlS15_E_NS1_11comp_targetILNS1_3genE5ELNS1_11target_archE942ELNS1_3gpuE9ELNS1_3repE0EEENS1_30default_config_static_selectorELNS0_4arch9wavefront6targetE0EEEvT1_, .Lfunc_end490-_ZN7rocprim17ROCPRIM_400000_NS6detail17trampoline_kernelINS0_14default_configENS1_25partition_config_selectorILNS1_17partition_subalgoE9EllbEEZZNS1_14partition_implILS5_9ELb0ES3_jPlS8_PNS0_10empty_typeENS0_5tupleIJS8_S9_EEENSB_IJS8_SA_EEENS0_18inequality_wrapperIZN2at6native12_GLOBAL__N_124unique_dim_cuda_templateIiEESt5tupleIJNSF_6TensorESK_SK_EERKSK_lbbbEUlllE0_EEPmJS9_EEE10hipError_tPvRmT3_T4_T5_T6_T7_T9_mT8_P12ihipStream_tbDpT10_ENKUlT_T0_E_clISt17integral_constantIbLb1EES19_IbLb0EEEEDaS15_S16_EUlS15_E_NS1_11comp_targetILNS1_3genE5ELNS1_11target_archE942ELNS1_3gpuE9ELNS1_3repE0EEENS1_30default_config_static_selectorELNS0_4arch9wavefront6targetE0EEEvT1_
                                        ; -- End function
	.section	.AMDGPU.csdata,"",@progbits
; Kernel info:
; codeLenInByte = 0
; NumSgprs: 0
; NumVgprs: 0
; ScratchSize: 0
; MemoryBound: 0
; FloatMode: 240
; IeeeMode: 1
; LDSByteSize: 0 bytes/workgroup (compile time only)
; SGPRBlocks: 0
; VGPRBlocks: 0
; NumSGPRsForWavesPerEU: 1
; NumVGPRsForWavesPerEU: 1
; Occupancy: 16
; WaveLimiterHint : 0
; COMPUTE_PGM_RSRC2:SCRATCH_EN: 0
; COMPUTE_PGM_RSRC2:USER_SGPR: 15
; COMPUTE_PGM_RSRC2:TRAP_HANDLER: 0
; COMPUTE_PGM_RSRC2:TGID_X_EN: 1
; COMPUTE_PGM_RSRC2:TGID_Y_EN: 0
; COMPUTE_PGM_RSRC2:TGID_Z_EN: 0
; COMPUTE_PGM_RSRC2:TIDIG_COMP_CNT: 0
	.section	.text._ZN7rocprim17ROCPRIM_400000_NS6detail17trampoline_kernelINS0_14default_configENS1_25partition_config_selectorILNS1_17partition_subalgoE9EllbEEZZNS1_14partition_implILS5_9ELb0ES3_jPlS8_PNS0_10empty_typeENS0_5tupleIJS8_S9_EEENSB_IJS8_SA_EEENS0_18inequality_wrapperIZN2at6native12_GLOBAL__N_124unique_dim_cuda_templateIiEESt5tupleIJNSF_6TensorESK_SK_EERKSK_lbbbEUlllE0_EEPmJS9_EEE10hipError_tPvRmT3_T4_T5_T6_T7_T9_mT8_P12ihipStream_tbDpT10_ENKUlT_T0_E_clISt17integral_constantIbLb1EES19_IbLb0EEEEDaS15_S16_EUlS15_E_NS1_11comp_targetILNS1_3genE4ELNS1_11target_archE910ELNS1_3gpuE8ELNS1_3repE0EEENS1_30default_config_static_selectorELNS0_4arch9wavefront6targetE0EEEvT1_,"axG",@progbits,_ZN7rocprim17ROCPRIM_400000_NS6detail17trampoline_kernelINS0_14default_configENS1_25partition_config_selectorILNS1_17partition_subalgoE9EllbEEZZNS1_14partition_implILS5_9ELb0ES3_jPlS8_PNS0_10empty_typeENS0_5tupleIJS8_S9_EEENSB_IJS8_SA_EEENS0_18inequality_wrapperIZN2at6native12_GLOBAL__N_124unique_dim_cuda_templateIiEESt5tupleIJNSF_6TensorESK_SK_EERKSK_lbbbEUlllE0_EEPmJS9_EEE10hipError_tPvRmT3_T4_T5_T6_T7_T9_mT8_P12ihipStream_tbDpT10_ENKUlT_T0_E_clISt17integral_constantIbLb1EES19_IbLb0EEEEDaS15_S16_EUlS15_E_NS1_11comp_targetILNS1_3genE4ELNS1_11target_archE910ELNS1_3gpuE8ELNS1_3repE0EEENS1_30default_config_static_selectorELNS0_4arch9wavefront6targetE0EEEvT1_,comdat
	.globl	_ZN7rocprim17ROCPRIM_400000_NS6detail17trampoline_kernelINS0_14default_configENS1_25partition_config_selectorILNS1_17partition_subalgoE9EllbEEZZNS1_14partition_implILS5_9ELb0ES3_jPlS8_PNS0_10empty_typeENS0_5tupleIJS8_S9_EEENSB_IJS8_SA_EEENS0_18inequality_wrapperIZN2at6native12_GLOBAL__N_124unique_dim_cuda_templateIiEESt5tupleIJNSF_6TensorESK_SK_EERKSK_lbbbEUlllE0_EEPmJS9_EEE10hipError_tPvRmT3_T4_T5_T6_T7_T9_mT8_P12ihipStream_tbDpT10_ENKUlT_T0_E_clISt17integral_constantIbLb1EES19_IbLb0EEEEDaS15_S16_EUlS15_E_NS1_11comp_targetILNS1_3genE4ELNS1_11target_archE910ELNS1_3gpuE8ELNS1_3repE0EEENS1_30default_config_static_selectorELNS0_4arch9wavefront6targetE0EEEvT1_ ; -- Begin function _ZN7rocprim17ROCPRIM_400000_NS6detail17trampoline_kernelINS0_14default_configENS1_25partition_config_selectorILNS1_17partition_subalgoE9EllbEEZZNS1_14partition_implILS5_9ELb0ES3_jPlS8_PNS0_10empty_typeENS0_5tupleIJS8_S9_EEENSB_IJS8_SA_EEENS0_18inequality_wrapperIZN2at6native12_GLOBAL__N_124unique_dim_cuda_templateIiEESt5tupleIJNSF_6TensorESK_SK_EERKSK_lbbbEUlllE0_EEPmJS9_EEE10hipError_tPvRmT3_T4_T5_T6_T7_T9_mT8_P12ihipStream_tbDpT10_ENKUlT_T0_E_clISt17integral_constantIbLb1EES19_IbLb0EEEEDaS15_S16_EUlS15_E_NS1_11comp_targetILNS1_3genE4ELNS1_11target_archE910ELNS1_3gpuE8ELNS1_3repE0EEENS1_30default_config_static_selectorELNS0_4arch9wavefront6targetE0EEEvT1_
	.p2align	8
	.type	_ZN7rocprim17ROCPRIM_400000_NS6detail17trampoline_kernelINS0_14default_configENS1_25partition_config_selectorILNS1_17partition_subalgoE9EllbEEZZNS1_14partition_implILS5_9ELb0ES3_jPlS8_PNS0_10empty_typeENS0_5tupleIJS8_S9_EEENSB_IJS8_SA_EEENS0_18inequality_wrapperIZN2at6native12_GLOBAL__N_124unique_dim_cuda_templateIiEESt5tupleIJNSF_6TensorESK_SK_EERKSK_lbbbEUlllE0_EEPmJS9_EEE10hipError_tPvRmT3_T4_T5_T6_T7_T9_mT8_P12ihipStream_tbDpT10_ENKUlT_T0_E_clISt17integral_constantIbLb1EES19_IbLb0EEEEDaS15_S16_EUlS15_E_NS1_11comp_targetILNS1_3genE4ELNS1_11target_archE910ELNS1_3gpuE8ELNS1_3repE0EEENS1_30default_config_static_selectorELNS0_4arch9wavefront6targetE0EEEvT1_,@function
_ZN7rocprim17ROCPRIM_400000_NS6detail17trampoline_kernelINS0_14default_configENS1_25partition_config_selectorILNS1_17partition_subalgoE9EllbEEZZNS1_14partition_implILS5_9ELb0ES3_jPlS8_PNS0_10empty_typeENS0_5tupleIJS8_S9_EEENSB_IJS8_SA_EEENS0_18inequality_wrapperIZN2at6native12_GLOBAL__N_124unique_dim_cuda_templateIiEESt5tupleIJNSF_6TensorESK_SK_EERKSK_lbbbEUlllE0_EEPmJS9_EEE10hipError_tPvRmT3_T4_T5_T6_T7_T9_mT8_P12ihipStream_tbDpT10_ENKUlT_T0_E_clISt17integral_constantIbLb1EES19_IbLb0EEEEDaS15_S16_EUlS15_E_NS1_11comp_targetILNS1_3genE4ELNS1_11target_archE910ELNS1_3gpuE8ELNS1_3repE0EEENS1_30default_config_static_selectorELNS0_4arch9wavefront6targetE0EEEvT1_: ; @_ZN7rocprim17ROCPRIM_400000_NS6detail17trampoline_kernelINS0_14default_configENS1_25partition_config_selectorILNS1_17partition_subalgoE9EllbEEZZNS1_14partition_implILS5_9ELb0ES3_jPlS8_PNS0_10empty_typeENS0_5tupleIJS8_S9_EEENSB_IJS8_SA_EEENS0_18inequality_wrapperIZN2at6native12_GLOBAL__N_124unique_dim_cuda_templateIiEESt5tupleIJNSF_6TensorESK_SK_EERKSK_lbbbEUlllE0_EEPmJS9_EEE10hipError_tPvRmT3_T4_T5_T6_T7_T9_mT8_P12ihipStream_tbDpT10_ENKUlT_T0_E_clISt17integral_constantIbLb1EES19_IbLb0EEEEDaS15_S16_EUlS15_E_NS1_11comp_targetILNS1_3genE4ELNS1_11target_archE910ELNS1_3gpuE8ELNS1_3repE0EEENS1_30default_config_static_selectorELNS0_4arch9wavefront6targetE0EEEvT1_
; %bb.0:
	.section	.rodata,"a",@progbits
	.p2align	6, 0x0
	.amdhsa_kernel _ZN7rocprim17ROCPRIM_400000_NS6detail17trampoline_kernelINS0_14default_configENS1_25partition_config_selectorILNS1_17partition_subalgoE9EllbEEZZNS1_14partition_implILS5_9ELb0ES3_jPlS8_PNS0_10empty_typeENS0_5tupleIJS8_S9_EEENSB_IJS8_SA_EEENS0_18inequality_wrapperIZN2at6native12_GLOBAL__N_124unique_dim_cuda_templateIiEESt5tupleIJNSF_6TensorESK_SK_EERKSK_lbbbEUlllE0_EEPmJS9_EEE10hipError_tPvRmT3_T4_T5_T6_T7_T9_mT8_P12ihipStream_tbDpT10_ENKUlT_T0_E_clISt17integral_constantIbLb1EES19_IbLb0EEEEDaS15_S16_EUlS15_E_NS1_11comp_targetILNS1_3genE4ELNS1_11target_archE910ELNS1_3gpuE8ELNS1_3repE0EEENS1_30default_config_static_selectorELNS0_4arch9wavefront6targetE0EEEvT1_
		.amdhsa_group_segment_fixed_size 0
		.amdhsa_private_segment_fixed_size 0
		.amdhsa_kernarg_size 120
		.amdhsa_user_sgpr_count 15
		.amdhsa_user_sgpr_dispatch_ptr 0
		.amdhsa_user_sgpr_queue_ptr 0
		.amdhsa_user_sgpr_kernarg_segment_ptr 1
		.amdhsa_user_sgpr_dispatch_id 0
		.amdhsa_user_sgpr_private_segment_size 0
		.amdhsa_wavefront_size32 1
		.amdhsa_uses_dynamic_stack 0
		.amdhsa_enable_private_segment 0
		.amdhsa_system_sgpr_workgroup_id_x 1
		.amdhsa_system_sgpr_workgroup_id_y 0
		.amdhsa_system_sgpr_workgroup_id_z 0
		.amdhsa_system_sgpr_workgroup_info 0
		.amdhsa_system_vgpr_workitem_id 0
		.amdhsa_next_free_vgpr 1
		.amdhsa_next_free_sgpr 1
		.amdhsa_reserve_vcc 0
		.amdhsa_float_round_mode_32 0
		.amdhsa_float_round_mode_16_64 0
		.amdhsa_float_denorm_mode_32 3
		.amdhsa_float_denorm_mode_16_64 3
		.amdhsa_dx10_clamp 1
		.amdhsa_ieee_mode 1
		.amdhsa_fp16_overflow 0
		.amdhsa_workgroup_processor_mode 1
		.amdhsa_memory_ordered 1
		.amdhsa_forward_progress 0
		.amdhsa_shared_vgpr_count 0
		.amdhsa_exception_fp_ieee_invalid_op 0
		.amdhsa_exception_fp_denorm_src 0
		.amdhsa_exception_fp_ieee_div_zero 0
		.amdhsa_exception_fp_ieee_overflow 0
		.amdhsa_exception_fp_ieee_underflow 0
		.amdhsa_exception_fp_ieee_inexact 0
		.amdhsa_exception_int_div_zero 0
	.end_amdhsa_kernel
	.section	.text._ZN7rocprim17ROCPRIM_400000_NS6detail17trampoline_kernelINS0_14default_configENS1_25partition_config_selectorILNS1_17partition_subalgoE9EllbEEZZNS1_14partition_implILS5_9ELb0ES3_jPlS8_PNS0_10empty_typeENS0_5tupleIJS8_S9_EEENSB_IJS8_SA_EEENS0_18inequality_wrapperIZN2at6native12_GLOBAL__N_124unique_dim_cuda_templateIiEESt5tupleIJNSF_6TensorESK_SK_EERKSK_lbbbEUlllE0_EEPmJS9_EEE10hipError_tPvRmT3_T4_T5_T6_T7_T9_mT8_P12ihipStream_tbDpT10_ENKUlT_T0_E_clISt17integral_constantIbLb1EES19_IbLb0EEEEDaS15_S16_EUlS15_E_NS1_11comp_targetILNS1_3genE4ELNS1_11target_archE910ELNS1_3gpuE8ELNS1_3repE0EEENS1_30default_config_static_selectorELNS0_4arch9wavefront6targetE0EEEvT1_,"axG",@progbits,_ZN7rocprim17ROCPRIM_400000_NS6detail17trampoline_kernelINS0_14default_configENS1_25partition_config_selectorILNS1_17partition_subalgoE9EllbEEZZNS1_14partition_implILS5_9ELb0ES3_jPlS8_PNS0_10empty_typeENS0_5tupleIJS8_S9_EEENSB_IJS8_SA_EEENS0_18inequality_wrapperIZN2at6native12_GLOBAL__N_124unique_dim_cuda_templateIiEESt5tupleIJNSF_6TensorESK_SK_EERKSK_lbbbEUlllE0_EEPmJS9_EEE10hipError_tPvRmT3_T4_T5_T6_T7_T9_mT8_P12ihipStream_tbDpT10_ENKUlT_T0_E_clISt17integral_constantIbLb1EES19_IbLb0EEEEDaS15_S16_EUlS15_E_NS1_11comp_targetILNS1_3genE4ELNS1_11target_archE910ELNS1_3gpuE8ELNS1_3repE0EEENS1_30default_config_static_selectorELNS0_4arch9wavefront6targetE0EEEvT1_,comdat
.Lfunc_end491:
	.size	_ZN7rocprim17ROCPRIM_400000_NS6detail17trampoline_kernelINS0_14default_configENS1_25partition_config_selectorILNS1_17partition_subalgoE9EllbEEZZNS1_14partition_implILS5_9ELb0ES3_jPlS8_PNS0_10empty_typeENS0_5tupleIJS8_S9_EEENSB_IJS8_SA_EEENS0_18inequality_wrapperIZN2at6native12_GLOBAL__N_124unique_dim_cuda_templateIiEESt5tupleIJNSF_6TensorESK_SK_EERKSK_lbbbEUlllE0_EEPmJS9_EEE10hipError_tPvRmT3_T4_T5_T6_T7_T9_mT8_P12ihipStream_tbDpT10_ENKUlT_T0_E_clISt17integral_constantIbLb1EES19_IbLb0EEEEDaS15_S16_EUlS15_E_NS1_11comp_targetILNS1_3genE4ELNS1_11target_archE910ELNS1_3gpuE8ELNS1_3repE0EEENS1_30default_config_static_selectorELNS0_4arch9wavefront6targetE0EEEvT1_, .Lfunc_end491-_ZN7rocprim17ROCPRIM_400000_NS6detail17trampoline_kernelINS0_14default_configENS1_25partition_config_selectorILNS1_17partition_subalgoE9EllbEEZZNS1_14partition_implILS5_9ELb0ES3_jPlS8_PNS0_10empty_typeENS0_5tupleIJS8_S9_EEENSB_IJS8_SA_EEENS0_18inequality_wrapperIZN2at6native12_GLOBAL__N_124unique_dim_cuda_templateIiEESt5tupleIJNSF_6TensorESK_SK_EERKSK_lbbbEUlllE0_EEPmJS9_EEE10hipError_tPvRmT3_T4_T5_T6_T7_T9_mT8_P12ihipStream_tbDpT10_ENKUlT_T0_E_clISt17integral_constantIbLb1EES19_IbLb0EEEEDaS15_S16_EUlS15_E_NS1_11comp_targetILNS1_3genE4ELNS1_11target_archE910ELNS1_3gpuE8ELNS1_3repE0EEENS1_30default_config_static_selectorELNS0_4arch9wavefront6targetE0EEEvT1_
                                        ; -- End function
	.section	.AMDGPU.csdata,"",@progbits
; Kernel info:
; codeLenInByte = 0
; NumSgprs: 0
; NumVgprs: 0
; ScratchSize: 0
; MemoryBound: 0
; FloatMode: 240
; IeeeMode: 1
; LDSByteSize: 0 bytes/workgroup (compile time only)
; SGPRBlocks: 0
; VGPRBlocks: 0
; NumSGPRsForWavesPerEU: 1
; NumVGPRsForWavesPerEU: 1
; Occupancy: 16
; WaveLimiterHint : 0
; COMPUTE_PGM_RSRC2:SCRATCH_EN: 0
; COMPUTE_PGM_RSRC2:USER_SGPR: 15
; COMPUTE_PGM_RSRC2:TRAP_HANDLER: 0
; COMPUTE_PGM_RSRC2:TGID_X_EN: 1
; COMPUTE_PGM_RSRC2:TGID_Y_EN: 0
; COMPUTE_PGM_RSRC2:TGID_Z_EN: 0
; COMPUTE_PGM_RSRC2:TIDIG_COMP_CNT: 0
	.section	.text._ZN7rocprim17ROCPRIM_400000_NS6detail17trampoline_kernelINS0_14default_configENS1_25partition_config_selectorILNS1_17partition_subalgoE9EllbEEZZNS1_14partition_implILS5_9ELb0ES3_jPlS8_PNS0_10empty_typeENS0_5tupleIJS8_S9_EEENSB_IJS8_SA_EEENS0_18inequality_wrapperIZN2at6native12_GLOBAL__N_124unique_dim_cuda_templateIiEESt5tupleIJNSF_6TensorESK_SK_EERKSK_lbbbEUlllE0_EEPmJS9_EEE10hipError_tPvRmT3_T4_T5_T6_T7_T9_mT8_P12ihipStream_tbDpT10_ENKUlT_T0_E_clISt17integral_constantIbLb1EES19_IbLb0EEEEDaS15_S16_EUlS15_E_NS1_11comp_targetILNS1_3genE3ELNS1_11target_archE908ELNS1_3gpuE7ELNS1_3repE0EEENS1_30default_config_static_selectorELNS0_4arch9wavefront6targetE0EEEvT1_,"axG",@progbits,_ZN7rocprim17ROCPRIM_400000_NS6detail17trampoline_kernelINS0_14default_configENS1_25partition_config_selectorILNS1_17partition_subalgoE9EllbEEZZNS1_14partition_implILS5_9ELb0ES3_jPlS8_PNS0_10empty_typeENS0_5tupleIJS8_S9_EEENSB_IJS8_SA_EEENS0_18inequality_wrapperIZN2at6native12_GLOBAL__N_124unique_dim_cuda_templateIiEESt5tupleIJNSF_6TensorESK_SK_EERKSK_lbbbEUlllE0_EEPmJS9_EEE10hipError_tPvRmT3_T4_T5_T6_T7_T9_mT8_P12ihipStream_tbDpT10_ENKUlT_T0_E_clISt17integral_constantIbLb1EES19_IbLb0EEEEDaS15_S16_EUlS15_E_NS1_11comp_targetILNS1_3genE3ELNS1_11target_archE908ELNS1_3gpuE7ELNS1_3repE0EEENS1_30default_config_static_selectorELNS0_4arch9wavefront6targetE0EEEvT1_,comdat
	.globl	_ZN7rocprim17ROCPRIM_400000_NS6detail17trampoline_kernelINS0_14default_configENS1_25partition_config_selectorILNS1_17partition_subalgoE9EllbEEZZNS1_14partition_implILS5_9ELb0ES3_jPlS8_PNS0_10empty_typeENS0_5tupleIJS8_S9_EEENSB_IJS8_SA_EEENS0_18inequality_wrapperIZN2at6native12_GLOBAL__N_124unique_dim_cuda_templateIiEESt5tupleIJNSF_6TensorESK_SK_EERKSK_lbbbEUlllE0_EEPmJS9_EEE10hipError_tPvRmT3_T4_T5_T6_T7_T9_mT8_P12ihipStream_tbDpT10_ENKUlT_T0_E_clISt17integral_constantIbLb1EES19_IbLb0EEEEDaS15_S16_EUlS15_E_NS1_11comp_targetILNS1_3genE3ELNS1_11target_archE908ELNS1_3gpuE7ELNS1_3repE0EEENS1_30default_config_static_selectorELNS0_4arch9wavefront6targetE0EEEvT1_ ; -- Begin function _ZN7rocprim17ROCPRIM_400000_NS6detail17trampoline_kernelINS0_14default_configENS1_25partition_config_selectorILNS1_17partition_subalgoE9EllbEEZZNS1_14partition_implILS5_9ELb0ES3_jPlS8_PNS0_10empty_typeENS0_5tupleIJS8_S9_EEENSB_IJS8_SA_EEENS0_18inequality_wrapperIZN2at6native12_GLOBAL__N_124unique_dim_cuda_templateIiEESt5tupleIJNSF_6TensorESK_SK_EERKSK_lbbbEUlllE0_EEPmJS9_EEE10hipError_tPvRmT3_T4_T5_T6_T7_T9_mT8_P12ihipStream_tbDpT10_ENKUlT_T0_E_clISt17integral_constantIbLb1EES19_IbLb0EEEEDaS15_S16_EUlS15_E_NS1_11comp_targetILNS1_3genE3ELNS1_11target_archE908ELNS1_3gpuE7ELNS1_3repE0EEENS1_30default_config_static_selectorELNS0_4arch9wavefront6targetE0EEEvT1_
	.p2align	8
	.type	_ZN7rocprim17ROCPRIM_400000_NS6detail17trampoline_kernelINS0_14default_configENS1_25partition_config_selectorILNS1_17partition_subalgoE9EllbEEZZNS1_14partition_implILS5_9ELb0ES3_jPlS8_PNS0_10empty_typeENS0_5tupleIJS8_S9_EEENSB_IJS8_SA_EEENS0_18inequality_wrapperIZN2at6native12_GLOBAL__N_124unique_dim_cuda_templateIiEESt5tupleIJNSF_6TensorESK_SK_EERKSK_lbbbEUlllE0_EEPmJS9_EEE10hipError_tPvRmT3_T4_T5_T6_T7_T9_mT8_P12ihipStream_tbDpT10_ENKUlT_T0_E_clISt17integral_constantIbLb1EES19_IbLb0EEEEDaS15_S16_EUlS15_E_NS1_11comp_targetILNS1_3genE3ELNS1_11target_archE908ELNS1_3gpuE7ELNS1_3repE0EEENS1_30default_config_static_selectorELNS0_4arch9wavefront6targetE0EEEvT1_,@function
_ZN7rocprim17ROCPRIM_400000_NS6detail17trampoline_kernelINS0_14default_configENS1_25partition_config_selectorILNS1_17partition_subalgoE9EllbEEZZNS1_14partition_implILS5_9ELb0ES3_jPlS8_PNS0_10empty_typeENS0_5tupleIJS8_S9_EEENSB_IJS8_SA_EEENS0_18inequality_wrapperIZN2at6native12_GLOBAL__N_124unique_dim_cuda_templateIiEESt5tupleIJNSF_6TensorESK_SK_EERKSK_lbbbEUlllE0_EEPmJS9_EEE10hipError_tPvRmT3_T4_T5_T6_T7_T9_mT8_P12ihipStream_tbDpT10_ENKUlT_T0_E_clISt17integral_constantIbLb1EES19_IbLb0EEEEDaS15_S16_EUlS15_E_NS1_11comp_targetILNS1_3genE3ELNS1_11target_archE908ELNS1_3gpuE7ELNS1_3repE0EEENS1_30default_config_static_selectorELNS0_4arch9wavefront6targetE0EEEvT1_: ; @_ZN7rocprim17ROCPRIM_400000_NS6detail17trampoline_kernelINS0_14default_configENS1_25partition_config_selectorILNS1_17partition_subalgoE9EllbEEZZNS1_14partition_implILS5_9ELb0ES3_jPlS8_PNS0_10empty_typeENS0_5tupleIJS8_S9_EEENSB_IJS8_SA_EEENS0_18inequality_wrapperIZN2at6native12_GLOBAL__N_124unique_dim_cuda_templateIiEESt5tupleIJNSF_6TensorESK_SK_EERKSK_lbbbEUlllE0_EEPmJS9_EEE10hipError_tPvRmT3_T4_T5_T6_T7_T9_mT8_P12ihipStream_tbDpT10_ENKUlT_T0_E_clISt17integral_constantIbLb1EES19_IbLb0EEEEDaS15_S16_EUlS15_E_NS1_11comp_targetILNS1_3genE3ELNS1_11target_archE908ELNS1_3gpuE7ELNS1_3repE0EEENS1_30default_config_static_selectorELNS0_4arch9wavefront6targetE0EEEvT1_
; %bb.0:
	.section	.rodata,"a",@progbits
	.p2align	6, 0x0
	.amdhsa_kernel _ZN7rocprim17ROCPRIM_400000_NS6detail17trampoline_kernelINS0_14default_configENS1_25partition_config_selectorILNS1_17partition_subalgoE9EllbEEZZNS1_14partition_implILS5_9ELb0ES3_jPlS8_PNS0_10empty_typeENS0_5tupleIJS8_S9_EEENSB_IJS8_SA_EEENS0_18inequality_wrapperIZN2at6native12_GLOBAL__N_124unique_dim_cuda_templateIiEESt5tupleIJNSF_6TensorESK_SK_EERKSK_lbbbEUlllE0_EEPmJS9_EEE10hipError_tPvRmT3_T4_T5_T6_T7_T9_mT8_P12ihipStream_tbDpT10_ENKUlT_T0_E_clISt17integral_constantIbLb1EES19_IbLb0EEEEDaS15_S16_EUlS15_E_NS1_11comp_targetILNS1_3genE3ELNS1_11target_archE908ELNS1_3gpuE7ELNS1_3repE0EEENS1_30default_config_static_selectorELNS0_4arch9wavefront6targetE0EEEvT1_
		.amdhsa_group_segment_fixed_size 0
		.amdhsa_private_segment_fixed_size 0
		.amdhsa_kernarg_size 120
		.amdhsa_user_sgpr_count 15
		.amdhsa_user_sgpr_dispatch_ptr 0
		.amdhsa_user_sgpr_queue_ptr 0
		.amdhsa_user_sgpr_kernarg_segment_ptr 1
		.amdhsa_user_sgpr_dispatch_id 0
		.amdhsa_user_sgpr_private_segment_size 0
		.amdhsa_wavefront_size32 1
		.amdhsa_uses_dynamic_stack 0
		.amdhsa_enable_private_segment 0
		.amdhsa_system_sgpr_workgroup_id_x 1
		.amdhsa_system_sgpr_workgroup_id_y 0
		.amdhsa_system_sgpr_workgroup_id_z 0
		.amdhsa_system_sgpr_workgroup_info 0
		.amdhsa_system_vgpr_workitem_id 0
		.amdhsa_next_free_vgpr 1
		.amdhsa_next_free_sgpr 1
		.amdhsa_reserve_vcc 0
		.amdhsa_float_round_mode_32 0
		.amdhsa_float_round_mode_16_64 0
		.amdhsa_float_denorm_mode_32 3
		.amdhsa_float_denorm_mode_16_64 3
		.amdhsa_dx10_clamp 1
		.amdhsa_ieee_mode 1
		.amdhsa_fp16_overflow 0
		.amdhsa_workgroup_processor_mode 1
		.amdhsa_memory_ordered 1
		.amdhsa_forward_progress 0
		.amdhsa_shared_vgpr_count 0
		.amdhsa_exception_fp_ieee_invalid_op 0
		.amdhsa_exception_fp_denorm_src 0
		.amdhsa_exception_fp_ieee_div_zero 0
		.amdhsa_exception_fp_ieee_overflow 0
		.amdhsa_exception_fp_ieee_underflow 0
		.amdhsa_exception_fp_ieee_inexact 0
		.amdhsa_exception_int_div_zero 0
	.end_amdhsa_kernel
	.section	.text._ZN7rocprim17ROCPRIM_400000_NS6detail17trampoline_kernelINS0_14default_configENS1_25partition_config_selectorILNS1_17partition_subalgoE9EllbEEZZNS1_14partition_implILS5_9ELb0ES3_jPlS8_PNS0_10empty_typeENS0_5tupleIJS8_S9_EEENSB_IJS8_SA_EEENS0_18inequality_wrapperIZN2at6native12_GLOBAL__N_124unique_dim_cuda_templateIiEESt5tupleIJNSF_6TensorESK_SK_EERKSK_lbbbEUlllE0_EEPmJS9_EEE10hipError_tPvRmT3_T4_T5_T6_T7_T9_mT8_P12ihipStream_tbDpT10_ENKUlT_T0_E_clISt17integral_constantIbLb1EES19_IbLb0EEEEDaS15_S16_EUlS15_E_NS1_11comp_targetILNS1_3genE3ELNS1_11target_archE908ELNS1_3gpuE7ELNS1_3repE0EEENS1_30default_config_static_selectorELNS0_4arch9wavefront6targetE0EEEvT1_,"axG",@progbits,_ZN7rocprim17ROCPRIM_400000_NS6detail17trampoline_kernelINS0_14default_configENS1_25partition_config_selectorILNS1_17partition_subalgoE9EllbEEZZNS1_14partition_implILS5_9ELb0ES3_jPlS8_PNS0_10empty_typeENS0_5tupleIJS8_S9_EEENSB_IJS8_SA_EEENS0_18inequality_wrapperIZN2at6native12_GLOBAL__N_124unique_dim_cuda_templateIiEESt5tupleIJNSF_6TensorESK_SK_EERKSK_lbbbEUlllE0_EEPmJS9_EEE10hipError_tPvRmT3_T4_T5_T6_T7_T9_mT8_P12ihipStream_tbDpT10_ENKUlT_T0_E_clISt17integral_constantIbLb1EES19_IbLb0EEEEDaS15_S16_EUlS15_E_NS1_11comp_targetILNS1_3genE3ELNS1_11target_archE908ELNS1_3gpuE7ELNS1_3repE0EEENS1_30default_config_static_selectorELNS0_4arch9wavefront6targetE0EEEvT1_,comdat
.Lfunc_end492:
	.size	_ZN7rocprim17ROCPRIM_400000_NS6detail17trampoline_kernelINS0_14default_configENS1_25partition_config_selectorILNS1_17partition_subalgoE9EllbEEZZNS1_14partition_implILS5_9ELb0ES3_jPlS8_PNS0_10empty_typeENS0_5tupleIJS8_S9_EEENSB_IJS8_SA_EEENS0_18inequality_wrapperIZN2at6native12_GLOBAL__N_124unique_dim_cuda_templateIiEESt5tupleIJNSF_6TensorESK_SK_EERKSK_lbbbEUlllE0_EEPmJS9_EEE10hipError_tPvRmT3_T4_T5_T6_T7_T9_mT8_P12ihipStream_tbDpT10_ENKUlT_T0_E_clISt17integral_constantIbLb1EES19_IbLb0EEEEDaS15_S16_EUlS15_E_NS1_11comp_targetILNS1_3genE3ELNS1_11target_archE908ELNS1_3gpuE7ELNS1_3repE0EEENS1_30default_config_static_selectorELNS0_4arch9wavefront6targetE0EEEvT1_, .Lfunc_end492-_ZN7rocprim17ROCPRIM_400000_NS6detail17trampoline_kernelINS0_14default_configENS1_25partition_config_selectorILNS1_17partition_subalgoE9EllbEEZZNS1_14partition_implILS5_9ELb0ES3_jPlS8_PNS0_10empty_typeENS0_5tupleIJS8_S9_EEENSB_IJS8_SA_EEENS0_18inequality_wrapperIZN2at6native12_GLOBAL__N_124unique_dim_cuda_templateIiEESt5tupleIJNSF_6TensorESK_SK_EERKSK_lbbbEUlllE0_EEPmJS9_EEE10hipError_tPvRmT3_T4_T5_T6_T7_T9_mT8_P12ihipStream_tbDpT10_ENKUlT_T0_E_clISt17integral_constantIbLb1EES19_IbLb0EEEEDaS15_S16_EUlS15_E_NS1_11comp_targetILNS1_3genE3ELNS1_11target_archE908ELNS1_3gpuE7ELNS1_3repE0EEENS1_30default_config_static_selectorELNS0_4arch9wavefront6targetE0EEEvT1_
                                        ; -- End function
	.section	.AMDGPU.csdata,"",@progbits
; Kernel info:
; codeLenInByte = 0
; NumSgprs: 0
; NumVgprs: 0
; ScratchSize: 0
; MemoryBound: 0
; FloatMode: 240
; IeeeMode: 1
; LDSByteSize: 0 bytes/workgroup (compile time only)
; SGPRBlocks: 0
; VGPRBlocks: 0
; NumSGPRsForWavesPerEU: 1
; NumVGPRsForWavesPerEU: 1
; Occupancy: 16
; WaveLimiterHint : 0
; COMPUTE_PGM_RSRC2:SCRATCH_EN: 0
; COMPUTE_PGM_RSRC2:USER_SGPR: 15
; COMPUTE_PGM_RSRC2:TRAP_HANDLER: 0
; COMPUTE_PGM_RSRC2:TGID_X_EN: 1
; COMPUTE_PGM_RSRC2:TGID_Y_EN: 0
; COMPUTE_PGM_RSRC2:TGID_Z_EN: 0
; COMPUTE_PGM_RSRC2:TIDIG_COMP_CNT: 0
	.section	.text._ZN7rocprim17ROCPRIM_400000_NS6detail17trampoline_kernelINS0_14default_configENS1_25partition_config_selectorILNS1_17partition_subalgoE9EllbEEZZNS1_14partition_implILS5_9ELb0ES3_jPlS8_PNS0_10empty_typeENS0_5tupleIJS8_S9_EEENSB_IJS8_SA_EEENS0_18inequality_wrapperIZN2at6native12_GLOBAL__N_124unique_dim_cuda_templateIiEESt5tupleIJNSF_6TensorESK_SK_EERKSK_lbbbEUlllE0_EEPmJS9_EEE10hipError_tPvRmT3_T4_T5_T6_T7_T9_mT8_P12ihipStream_tbDpT10_ENKUlT_T0_E_clISt17integral_constantIbLb1EES19_IbLb0EEEEDaS15_S16_EUlS15_E_NS1_11comp_targetILNS1_3genE2ELNS1_11target_archE906ELNS1_3gpuE6ELNS1_3repE0EEENS1_30default_config_static_selectorELNS0_4arch9wavefront6targetE0EEEvT1_,"axG",@progbits,_ZN7rocprim17ROCPRIM_400000_NS6detail17trampoline_kernelINS0_14default_configENS1_25partition_config_selectorILNS1_17partition_subalgoE9EllbEEZZNS1_14partition_implILS5_9ELb0ES3_jPlS8_PNS0_10empty_typeENS0_5tupleIJS8_S9_EEENSB_IJS8_SA_EEENS0_18inequality_wrapperIZN2at6native12_GLOBAL__N_124unique_dim_cuda_templateIiEESt5tupleIJNSF_6TensorESK_SK_EERKSK_lbbbEUlllE0_EEPmJS9_EEE10hipError_tPvRmT3_T4_T5_T6_T7_T9_mT8_P12ihipStream_tbDpT10_ENKUlT_T0_E_clISt17integral_constantIbLb1EES19_IbLb0EEEEDaS15_S16_EUlS15_E_NS1_11comp_targetILNS1_3genE2ELNS1_11target_archE906ELNS1_3gpuE6ELNS1_3repE0EEENS1_30default_config_static_selectorELNS0_4arch9wavefront6targetE0EEEvT1_,comdat
	.globl	_ZN7rocprim17ROCPRIM_400000_NS6detail17trampoline_kernelINS0_14default_configENS1_25partition_config_selectorILNS1_17partition_subalgoE9EllbEEZZNS1_14partition_implILS5_9ELb0ES3_jPlS8_PNS0_10empty_typeENS0_5tupleIJS8_S9_EEENSB_IJS8_SA_EEENS0_18inequality_wrapperIZN2at6native12_GLOBAL__N_124unique_dim_cuda_templateIiEESt5tupleIJNSF_6TensorESK_SK_EERKSK_lbbbEUlllE0_EEPmJS9_EEE10hipError_tPvRmT3_T4_T5_T6_T7_T9_mT8_P12ihipStream_tbDpT10_ENKUlT_T0_E_clISt17integral_constantIbLb1EES19_IbLb0EEEEDaS15_S16_EUlS15_E_NS1_11comp_targetILNS1_3genE2ELNS1_11target_archE906ELNS1_3gpuE6ELNS1_3repE0EEENS1_30default_config_static_selectorELNS0_4arch9wavefront6targetE0EEEvT1_ ; -- Begin function _ZN7rocprim17ROCPRIM_400000_NS6detail17trampoline_kernelINS0_14default_configENS1_25partition_config_selectorILNS1_17partition_subalgoE9EllbEEZZNS1_14partition_implILS5_9ELb0ES3_jPlS8_PNS0_10empty_typeENS0_5tupleIJS8_S9_EEENSB_IJS8_SA_EEENS0_18inequality_wrapperIZN2at6native12_GLOBAL__N_124unique_dim_cuda_templateIiEESt5tupleIJNSF_6TensorESK_SK_EERKSK_lbbbEUlllE0_EEPmJS9_EEE10hipError_tPvRmT3_T4_T5_T6_T7_T9_mT8_P12ihipStream_tbDpT10_ENKUlT_T0_E_clISt17integral_constantIbLb1EES19_IbLb0EEEEDaS15_S16_EUlS15_E_NS1_11comp_targetILNS1_3genE2ELNS1_11target_archE906ELNS1_3gpuE6ELNS1_3repE0EEENS1_30default_config_static_selectorELNS0_4arch9wavefront6targetE0EEEvT1_
	.p2align	8
	.type	_ZN7rocprim17ROCPRIM_400000_NS6detail17trampoline_kernelINS0_14default_configENS1_25partition_config_selectorILNS1_17partition_subalgoE9EllbEEZZNS1_14partition_implILS5_9ELb0ES3_jPlS8_PNS0_10empty_typeENS0_5tupleIJS8_S9_EEENSB_IJS8_SA_EEENS0_18inequality_wrapperIZN2at6native12_GLOBAL__N_124unique_dim_cuda_templateIiEESt5tupleIJNSF_6TensorESK_SK_EERKSK_lbbbEUlllE0_EEPmJS9_EEE10hipError_tPvRmT3_T4_T5_T6_T7_T9_mT8_P12ihipStream_tbDpT10_ENKUlT_T0_E_clISt17integral_constantIbLb1EES19_IbLb0EEEEDaS15_S16_EUlS15_E_NS1_11comp_targetILNS1_3genE2ELNS1_11target_archE906ELNS1_3gpuE6ELNS1_3repE0EEENS1_30default_config_static_selectorELNS0_4arch9wavefront6targetE0EEEvT1_,@function
_ZN7rocprim17ROCPRIM_400000_NS6detail17trampoline_kernelINS0_14default_configENS1_25partition_config_selectorILNS1_17partition_subalgoE9EllbEEZZNS1_14partition_implILS5_9ELb0ES3_jPlS8_PNS0_10empty_typeENS0_5tupleIJS8_S9_EEENSB_IJS8_SA_EEENS0_18inequality_wrapperIZN2at6native12_GLOBAL__N_124unique_dim_cuda_templateIiEESt5tupleIJNSF_6TensorESK_SK_EERKSK_lbbbEUlllE0_EEPmJS9_EEE10hipError_tPvRmT3_T4_T5_T6_T7_T9_mT8_P12ihipStream_tbDpT10_ENKUlT_T0_E_clISt17integral_constantIbLb1EES19_IbLb0EEEEDaS15_S16_EUlS15_E_NS1_11comp_targetILNS1_3genE2ELNS1_11target_archE906ELNS1_3gpuE6ELNS1_3repE0EEENS1_30default_config_static_selectorELNS0_4arch9wavefront6targetE0EEEvT1_: ; @_ZN7rocprim17ROCPRIM_400000_NS6detail17trampoline_kernelINS0_14default_configENS1_25partition_config_selectorILNS1_17partition_subalgoE9EllbEEZZNS1_14partition_implILS5_9ELb0ES3_jPlS8_PNS0_10empty_typeENS0_5tupleIJS8_S9_EEENSB_IJS8_SA_EEENS0_18inequality_wrapperIZN2at6native12_GLOBAL__N_124unique_dim_cuda_templateIiEESt5tupleIJNSF_6TensorESK_SK_EERKSK_lbbbEUlllE0_EEPmJS9_EEE10hipError_tPvRmT3_T4_T5_T6_T7_T9_mT8_P12ihipStream_tbDpT10_ENKUlT_T0_E_clISt17integral_constantIbLb1EES19_IbLb0EEEEDaS15_S16_EUlS15_E_NS1_11comp_targetILNS1_3genE2ELNS1_11target_archE906ELNS1_3gpuE6ELNS1_3repE0EEENS1_30default_config_static_selectorELNS0_4arch9wavefront6targetE0EEEvT1_
; %bb.0:
	.section	.rodata,"a",@progbits
	.p2align	6, 0x0
	.amdhsa_kernel _ZN7rocprim17ROCPRIM_400000_NS6detail17trampoline_kernelINS0_14default_configENS1_25partition_config_selectorILNS1_17partition_subalgoE9EllbEEZZNS1_14partition_implILS5_9ELb0ES3_jPlS8_PNS0_10empty_typeENS0_5tupleIJS8_S9_EEENSB_IJS8_SA_EEENS0_18inequality_wrapperIZN2at6native12_GLOBAL__N_124unique_dim_cuda_templateIiEESt5tupleIJNSF_6TensorESK_SK_EERKSK_lbbbEUlllE0_EEPmJS9_EEE10hipError_tPvRmT3_T4_T5_T6_T7_T9_mT8_P12ihipStream_tbDpT10_ENKUlT_T0_E_clISt17integral_constantIbLb1EES19_IbLb0EEEEDaS15_S16_EUlS15_E_NS1_11comp_targetILNS1_3genE2ELNS1_11target_archE906ELNS1_3gpuE6ELNS1_3repE0EEENS1_30default_config_static_selectorELNS0_4arch9wavefront6targetE0EEEvT1_
		.amdhsa_group_segment_fixed_size 0
		.amdhsa_private_segment_fixed_size 0
		.amdhsa_kernarg_size 120
		.amdhsa_user_sgpr_count 15
		.amdhsa_user_sgpr_dispatch_ptr 0
		.amdhsa_user_sgpr_queue_ptr 0
		.amdhsa_user_sgpr_kernarg_segment_ptr 1
		.amdhsa_user_sgpr_dispatch_id 0
		.amdhsa_user_sgpr_private_segment_size 0
		.amdhsa_wavefront_size32 1
		.amdhsa_uses_dynamic_stack 0
		.amdhsa_enable_private_segment 0
		.amdhsa_system_sgpr_workgroup_id_x 1
		.amdhsa_system_sgpr_workgroup_id_y 0
		.amdhsa_system_sgpr_workgroup_id_z 0
		.amdhsa_system_sgpr_workgroup_info 0
		.amdhsa_system_vgpr_workitem_id 0
		.amdhsa_next_free_vgpr 1
		.amdhsa_next_free_sgpr 1
		.amdhsa_reserve_vcc 0
		.amdhsa_float_round_mode_32 0
		.amdhsa_float_round_mode_16_64 0
		.amdhsa_float_denorm_mode_32 3
		.amdhsa_float_denorm_mode_16_64 3
		.amdhsa_dx10_clamp 1
		.amdhsa_ieee_mode 1
		.amdhsa_fp16_overflow 0
		.amdhsa_workgroup_processor_mode 1
		.amdhsa_memory_ordered 1
		.amdhsa_forward_progress 0
		.amdhsa_shared_vgpr_count 0
		.amdhsa_exception_fp_ieee_invalid_op 0
		.amdhsa_exception_fp_denorm_src 0
		.amdhsa_exception_fp_ieee_div_zero 0
		.amdhsa_exception_fp_ieee_overflow 0
		.amdhsa_exception_fp_ieee_underflow 0
		.amdhsa_exception_fp_ieee_inexact 0
		.amdhsa_exception_int_div_zero 0
	.end_amdhsa_kernel
	.section	.text._ZN7rocprim17ROCPRIM_400000_NS6detail17trampoline_kernelINS0_14default_configENS1_25partition_config_selectorILNS1_17partition_subalgoE9EllbEEZZNS1_14partition_implILS5_9ELb0ES3_jPlS8_PNS0_10empty_typeENS0_5tupleIJS8_S9_EEENSB_IJS8_SA_EEENS0_18inequality_wrapperIZN2at6native12_GLOBAL__N_124unique_dim_cuda_templateIiEESt5tupleIJNSF_6TensorESK_SK_EERKSK_lbbbEUlllE0_EEPmJS9_EEE10hipError_tPvRmT3_T4_T5_T6_T7_T9_mT8_P12ihipStream_tbDpT10_ENKUlT_T0_E_clISt17integral_constantIbLb1EES19_IbLb0EEEEDaS15_S16_EUlS15_E_NS1_11comp_targetILNS1_3genE2ELNS1_11target_archE906ELNS1_3gpuE6ELNS1_3repE0EEENS1_30default_config_static_selectorELNS0_4arch9wavefront6targetE0EEEvT1_,"axG",@progbits,_ZN7rocprim17ROCPRIM_400000_NS6detail17trampoline_kernelINS0_14default_configENS1_25partition_config_selectorILNS1_17partition_subalgoE9EllbEEZZNS1_14partition_implILS5_9ELb0ES3_jPlS8_PNS0_10empty_typeENS0_5tupleIJS8_S9_EEENSB_IJS8_SA_EEENS0_18inequality_wrapperIZN2at6native12_GLOBAL__N_124unique_dim_cuda_templateIiEESt5tupleIJNSF_6TensorESK_SK_EERKSK_lbbbEUlllE0_EEPmJS9_EEE10hipError_tPvRmT3_T4_T5_T6_T7_T9_mT8_P12ihipStream_tbDpT10_ENKUlT_T0_E_clISt17integral_constantIbLb1EES19_IbLb0EEEEDaS15_S16_EUlS15_E_NS1_11comp_targetILNS1_3genE2ELNS1_11target_archE906ELNS1_3gpuE6ELNS1_3repE0EEENS1_30default_config_static_selectorELNS0_4arch9wavefront6targetE0EEEvT1_,comdat
.Lfunc_end493:
	.size	_ZN7rocprim17ROCPRIM_400000_NS6detail17trampoline_kernelINS0_14default_configENS1_25partition_config_selectorILNS1_17partition_subalgoE9EllbEEZZNS1_14partition_implILS5_9ELb0ES3_jPlS8_PNS0_10empty_typeENS0_5tupleIJS8_S9_EEENSB_IJS8_SA_EEENS0_18inequality_wrapperIZN2at6native12_GLOBAL__N_124unique_dim_cuda_templateIiEESt5tupleIJNSF_6TensorESK_SK_EERKSK_lbbbEUlllE0_EEPmJS9_EEE10hipError_tPvRmT3_T4_T5_T6_T7_T9_mT8_P12ihipStream_tbDpT10_ENKUlT_T0_E_clISt17integral_constantIbLb1EES19_IbLb0EEEEDaS15_S16_EUlS15_E_NS1_11comp_targetILNS1_3genE2ELNS1_11target_archE906ELNS1_3gpuE6ELNS1_3repE0EEENS1_30default_config_static_selectorELNS0_4arch9wavefront6targetE0EEEvT1_, .Lfunc_end493-_ZN7rocprim17ROCPRIM_400000_NS6detail17trampoline_kernelINS0_14default_configENS1_25partition_config_selectorILNS1_17partition_subalgoE9EllbEEZZNS1_14partition_implILS5_9ELb0ES3_jPlS8_PNS0_10empty_typeENS0_5tupleIJS8_S9_EEENSB_IJS8_SA_EEENS0_18inequality_wrapperIZN2at6native12_GLOBAL__N_124unique_dim_cuda_templateIiEESt5tupleIJNSF_6TensorESK_SK_EERKSK_lbbbEUlllE0_EEPmJS9_EEE10hipError_tPvRmT3_T4_T5_T6_T7_T9_mT8_P12ihipStream_tbDpT10_ENKUlT_T0_E_clISt17integral_constantIbLb1EES19_IbLb0EEEEDaS15_S16_EUlS15_E_NS1_11comp_targetILNS1_3genE2ELNS1_11target_archE906ELNS1_3gpuE6ELNS1_3repE0EEENS1_30default_config_static_selectorELNS0_4arch9wavefront6targetE0EEEvT1_
                                        ; -- End function
	.section	.AMDGPU.csdata,"",@progbits
; Kernel info:
; codeLenInByte = 0
; NumSgprs: 0
; NumVgprs: 0
; ScratchSize: 0
; MemoryBound: 0
; FloatMode: 240
; IeeeMode: 1
; LDSByteSize: 0 bytes/workgroup (compile time only)
; SGPRBlocks: 0
; VGPRBlocks: 0
; NumSGPRsForWavesPerEU: 1
; NumVGPRsForWavesPerEU: 1
; Occupancy: 15
; WaveLimiterHint : 0
; COMPUTE_PGM_RSRC2:SCRATCH_EN: 0
; COMPUTE_PGM_RSRC2:USER_SGPR: 15
; COMPUTE_PGM_RSRC2:TRAP_HANDLER: 0
; COMPUTE_PGM_RSRC2:TGID_X_EN: 1
; COMPUTE_PGM_RSRC2:TGID_Y_EN: 0
; COMPUTE_PGM_RSRC2:TGID_Z_EN: 0
; COMPUTE_PGM_RSRC2:TIDIG_COMP_CNT: 0
	.section	.text._ZN7rocprim17ROCPRIM_400000_NS6detail17trampoline_kernelINS0_14default_configENS1_25partition_config_selectorILNS1_17partition_subalgoE9EllbEEZZNS1_14partition_implILS5_9ELb0ES3_jPlS8_PNS0_10empty_typeENS0_5tupleIJS8_S9_EEENSB_IJS8_SA_EEENS0_18inequality_wrapperIZN2at6native12_GLOBAL__N_124unique_dim_cuda_templateIiEESt5tupleIJNSF_6TensorESK_SK_EERKSK_lbbbEUlllE0_EEPmJS9_EEE10hipError_tPvRmT3_T4_T5_T6_T7_T9_mT8_P12ihipStream_tbDpT10_ENKUlT_T0_E_clISt17integral_constantIbLb1EES19_IbLb0EEEEDaS15_S16_EUlS15_E_NS1_11comp_targetILNS1_3genE10ELNS1_11target_archE1200ELNS1_3gpuE4ELNS1_3repE0EEENS1_30default_config_static_selectorELNS0_4arch9wavefront6targetE0EEEvT1_,"axG",@progbits,_ZN7rocprim17ROCPRIM_400000_NS6detail17trampoline_kernelINS0_14default_configENS1_25partition_config_selectorILNS1_17partition_subalgoE9EllbEEZZNS1_14partition_implILS5_9ELb0ES3_jPlS8_PNS0_10empty_typeENS0_5tupleIJS8_S9_EEENSB_IJS8_SA_EEENS0_18inequality_wrapperIZN2at6native12_GLOBAL__N_124unique_dim_cuda_templateIiEESt5tupleIJNSF_6TensorESK_SK_EERKSK_lbbbEUlllE0_EEPmJS9_EEE10hipError_tPvRmT3_T4_T5_T6_T7_T9_mT8_P12ihipStream_tbDpT10_ENKUlT_T0_E_clISt17integral_constantIbLb1EES19_IbLb0EEEEDaS15_S16_EUlS15_E_NS1_11comp_targetILNS1_3genE10ELNS1_11target_archE1200ELNS1_3gpuE4ELNS1_3repE0EEENS1_30default_config_static_selectorELNS0_4arch9wavefront6targetE0EEEvT1_,comdat
	.globl	_ZN7rocprim17ROCPRIM_400000_NS6detail17trampoline_kernelINS0_14default_configENS1_25partition_config_selectorILNS1_17partition_subalgoE9EllbEEZZNS1_14partition_implILS5_9ELb0ES3_jPlS8_PNS0_10empty_typeENS0_5tupleIJS8_S9_EEENSB_IJS8_SA_EEENS0_18inequality_wrapperIZN2at6native12_GLOBAL__N_124unique_dim_cuda_templateIiEESt5tupleIJNSF_6TensorESK_SK_EERKSK_lbbbEUlllE0_EEPmJS9_EEE10hipError_tPvRmT3_T4_T5_T6_T7_T9_mT8_P12ihipStream_tbDpT10_ENKUlT_T0_E_clISt17integral_constantIbLb1EES19_IbLb0EEEEDaS15_S16_EUlS15_E_NS1_11comp_targetILNS1_3genE10ELNS1_11target_archE1200ELNS1_3gpuE4ELNS1_3repE0EEENS1_30default_config_static_selectorELNS0_4arch9wavefront6targetE0EEEvT1_ ; -- Begin function _ZN7rocprim17ROCPRIM_400000_NS6detail17trampoline_kernelINS0_14default_configENS1_25partition_config_selectorILNS1_17partition_subalgoE9EllbEEZZNS1_14partition_implILS5_9ELb0ES3_jPlS8_PNS0_10empty_typeENS0_5tupleIJS8_S9_EEENSB_IJS8_SA_EEENS0_18inequality_wrapperIZN2at6native12_GLOBAL__N_124unique_dim_cuda_templateIiEESt5tupleIJNSF_6TensorESK_SK_EERKSK_lbbbEUlllE0_EEPmJS9_EEE10hipError_tPvRmT3_T4_T5_T6_T7_T9_mT8_P12ihipStream_tbDpT10_ENKUlT_T0_E_clISt17integral_constantIbLb1EES19_IbLb0EEEEDaS15_S16_EUlS15_E_NS1_11comp_targetILNS1_3genE10ELNS1_11target_archE1200ELNS1_3gpuE4ELNS1_3repE0EEENS1_30default_config_static_selectorELNS0_4arch9wavefront6targetE0EEEvT1_
	.p2align	8
	.type	_ZN7rocprim17ROCPRIM_400000_NS6detail17trampoline_kernelINS0_14default_configENS1_25partition_config_selectorILNS1_17partition_subalgoE9EllbEEZZNS1_14partition_implILS5_9ELb0ES3_jPlS8_PNS0_10empty_typeENS0_5tupleIJS8_S9_EEENSB_IJS8_SA_EEENS0_18inequality_wrapperIZN2at6native12_GLOBAL__N_124unique_dim_cuda_templateIiEESt5tupleIJNSF_6TensorESK_SK_EERKSK_lbbbEUlllE0_EEPmJS9_EEE10hipError_tPvRmT3_T4_T5_T6_T7_T9_mT8_P12ihipStream_tbDpT10_ENKUlT_T0_E_clISt17integral_constantIbLb1EES19_IbLb0EEEEDaS15_S16_EUlS15_E_NS1_11comp_targetILNS1_3genE10ELNS1_11target_archE1200ELNS1_3gpuE4ELNS1_3repE0EEENS1_30default_config_static_selectorELNS0_4arch9wavefront6targetE0EEEvT1_,@function
_ZN7rocprim17ROCPRIM_400000_NS6detail17trampoline_kernelINS0_14default_configENS1_25partition_config_selectorILNS1_17partition_subalgoE9EllbEEZZNS1_14partition_implILS5_9ELb0ES3_jPlS8_PNS0_10empty_typeENS0_5tupleIJS8_S9_EEENSB_IJS8_SA_EEENS0_18inequality_wrapperIZN2at6native12_GLOBAL__N_124unique_dim_cuda_templateIiEESt5tupleIJNSF_6TensorESK_SK_EERKSK_lbbbEUlllE0_EEPmJS9_EEE10hipError_tPvRmT3_T4_T5_T6_T7_T9_mT8_P12ihipStream_tbDpT10_ENKUlT_T0_E_clISt17integral_constantIbLb1EES19_IbLb0EEEEDaS15_S16_EUlS15_E_NS1_11comp_targetILNS1_3genE10ELNS1_11target_archE1200ELNS1_3gpuE4ELNS1_3repE0EEENS1_30default_config_static_selectorELNS0_4arch9wavefront6targetE0EEEvT1_: ; @_ZN7rocprim17ROCPRIM_400000_NS6detail17trampoline_kernelINS0_14default_configENS1_25partition_config_selectorILNS1_17partition_subalgoE9EllbEEZZNS1_14partition_implILS5_9ELb0ES3_jPlS8_PNS0_10empty_typeENS0_5tupleIJS8_S9_EEENSB_IJS8_SA_EEENS0_18inequality_wrapperIZN2at6native12_GLOBAL__N_124unique_dim_cuda_templateIiEESt5tupleIJNSF_6TensorESK_SK_EERKSK_lbbbEUlllE0_EEPmJS9_EEE10hipError_tPvRmT3_T4_T5_T6_T7_T9_mT8_P12ihipStream_tbDpT10_ENKUlT_T0_E_clISt17integral_constantIbLb1EES19_IbLb0EEEEDaS15_S16_EUlS15_E_NS1_11comp_targetILNS1_3genE10ELNS1_11target_archE1200ELNS1_3gpuE4ELNS1_3repE0EEENS1_30default_config_static_selectorELNS0_4arch9wavefront6targetE0EEEvT1_
; %bb.0:
	.section	.rodata,"a",@progbits
	.p2align	6, 0x0
	.amdhsa_kernel _ZN7rocprim17ROCPRIM_400000_NS6detail17trampoline_kernelINS0_14default_configENS1_25partition_config_selectorILNS1_17partition_subalgoE9EllbEEZZNS1_14partition_implILS5_9ELb0ES3_jPlS8_PNS0_10empty_typeENS0_5tupleIJS8_S9_EEENSB_IJS8_SA_EEENS0_18inequality_wrapperIZN2at6native12_GLOBAL__N_124unique_dim_cuda_templateIiEESt5tupleIJNSF_6TensorESK_SK_EERKSK_lbbbEUlllE0_EEPmJS9_EEE10hipError_tPvRmT3_T4_T5_T6_T7_T9_mT8_P12ihipStream_tbDpT10_ENKUlT_T0_E_clISt17integral_constantIbLb1EES19_IbLb0EEEEDaS15_S16_EUlS15_E_NS1_11comp_targetILNS1_3genE10ELNS1_11target_archE1200ELNS1_3gpuE4ELNS1_3repE0EEENS1_30default_config_static_selectorELNS0_4arch9wavefront6targetE0EEEvT1_
		.amdhsa_group_segment_fixed_size 0
		.amdhsa_private_segment_fixed_size 0
		.amdhsa_kernarg_size 120
		.amdhsa_user_sgpr_count 15
		.amdhsa_user_sgpr_dispatch_ptr 0
		.amdhsa_user_sgpr_queue_ptr 0
		.amdhsa_user_sgpr_kernarg_segment_ptr 1
		.amdhsa_user_sgpr_dispatch_id 0
		.amdhsa_user_sgpr_private_segment_size 0
		.amdhsa_wavefront_size32 1
		.amdhsa_uses_dynamic_stack 0
		.amdhsa_enable_private_segment 0
		.amdhsa_system_sgpr_workgroup_id_x 1
		.amdhsa_system_sgpr_workgroup_id_y 0
		.amdhsa_system_sgpr_workgroup_id_z 0
		.amdhsa_system_sgpr_workgroup_info 0
		.amdhsa_system_vgpr_workitem_id 0
		.amdhsa_next_free_vgpr 1
		.amdhsa_next_free_sgpr 1
		.amdhsa_reserve_vcc 0
		.amdhsa_float_round_mode_32 0
		.amdhsa_float_round_mode_16_64 0
		.amdhsa_float_denorm_mode_32 3
		.amdhsa_float_denorm_mode_16_64 3
		.amdhsa_dx10_clamp 1
		.amdhsa_ieee_mode 1
		.amdhsa_fp16_overflow 0
		.amdhsa_workgroup_processor_mode 1
		.amdhsa_memory_ordered 1
		.amdhsa_forward_progress 0
		.amdhsa_shared_vgpr_count 0
		.amdhsa_exception_fp_ieee_invalid_op 0
		.amdhsa_exception_fp_denorm_src 0
		.amdhsa_exception_fp_ieee_div_zero 0
		.amdhsa_exception_fp_ieee_overflow 0
		.amdhsa_exception_fp_ieee_underflow 0
		.amdhsa_exception_fp_ieee_inexact 0
		.amdhsa_exception_int_div_zero 0
	.end_amdhsa_kernel
	.section	.text._ZN7rocprim17ROCPRIM_400000_NS6detail17trampoline_kernelINS0_14default_configENS1_25partition_config_selectorILNS1_17partition_subalgoE9EllbEEZZNS1_14partition_implILS5_9ELb0ES3_jPlS8_PNS0_10empty_typeENS0_5tupleIJS8_S9_EEENSB_IJS8_SA_EEENS0_18inequality_wrapperIZN2at6native12_GLOBAL__N_124unique_dim_cuda_templateIiEESt5tupleIJNSF_6TensorESK_SK_EERKSK_lbbbEUlllE0_EEPmJS9_EEE10hipError_tPvRmT3_T4_T5_T6_T7_T9_mT8_P12ihipStream_tbDpT10_ENKUlT_T0_E_clISt17integral_constantIbLb1EES19_IbLb0EEEEDaS15_S16_EUlS15_E_NS1_11comp_targetILNS1_3genE10ELNS1_11target_archE1200ELNS1_3gpuE4ELNS1_3repE0EEENS1_30default_config_static_selectorELNS0_4arch9wavefront6targetE0EEEvT1_,"axG",@progbits,_ZN7rocprim17ROCPRIM_400000_NS6detail17trampoline_kernelINS0_14default_configENS1_25partition_config_selectorILNS1_17partition_subalgoE9EllbEEZZNS1_14partition_implILS5_9ELb0ES3_jPlS8_PNS0_10empty_typeENS0_5tupleIJS8_S9_EEENSB_IJS8_SA_EEENS0_18inequality_wrapperIZN2at6native12_GLOBAL__N_124unique_dim_cuda_templateIiEESt5tupleIJNSF_6TensorESK_SK_EERKSK_lbbbEUlllE0_EEPmJS9_EEE10hipError_tPvRmT3_T4_T5_T6_T7_T9_mT8_P12ihipStream_tbDpT10_ENKUlT_T0_E_clISt17integral_constantIbLb1EES19_IbLb0EEEEDaS15_S16_EUlS15_E_NS1_11comp_targetILNS1_3genE10ELNS1_11target_archE1200ELNS1_3gpuE4ELNS1_3repE0EEENS1_30default_config_static_selectorELNS0_4arch9wavefront6targetE0EEEvT1_,comdat
.Lfunc_end494:
	.size	_ZN7rocprim17ROCPRIM_400000_NS6detail17trampoline_kernelINS0_14default_configENS1_25partition_config_selectorILNS1_17partition_subalgoE9EllbEEZZNS1_14partition_implILS5_9ELb0ES3_jPlS8_PNS0_10empty_typeENS0_5tupleIJS8_S9_EEENSB_IJS8_SA_EEENS0_18inequality_wrapperIZN2at6native12_GLOBAL__N_124unique_dim_cuda_templateIiEESt5tupleIJNSF_6TensorESK_SK_EERKSK_lbbbEUlllE0_EEPmJS9_EEE10hipError_tPvRmT3_T4_T5_T6_T7_T9_mT8_P12ihipStream_tbDpT10_ENKUlT_T0_E_clISt17integral_constantIbLb1EES19_IbLb0EEEEDaS15_S16_EUlS15_E_NS1_11comp_targetILNS1_3genE10ELNS1_11target_archE1200ELNS1_3gpuE4ELNS1_3repE0EEENS1_30default_config_static_selectorELNS0_4arch9wavefront6targetE0EEEvT1_, .Lfunc_end494-_ZN7rocprim17ROCPRIM_400000_NS6detail17trampoline_kernelINS0_14default_configENS1_25partition_config_selectorILNS1_17partition_subalgoE9EllbEEZZNS1_14partition_implILS5_9ELb0ES3_jPlS8_PNS0_10empty_typeENS0_5tupleIJS8_S9_EEENSB_IJS8_SA_EEENS0_18inequality_wrapperIZN2at6native12_GLOBAL__N_124unique_dim_cuda_templateIiEESt5tupleIJNSF_6TensorESK_SK_EERKSK_lbbbEUlllE0_EEPmJS9_EEE10hipError_tPvRmT3_T4_T5_T6_T7_T9_mT8_P12ihipStream_tbDpT10_ENKUlT_T0_E_clISt17integral_constantIbLb1EES19_IbLb0EEEEDaS15_S16_EUlS15_E_NS1_11comp_targetILNS1_3genE10ELNS1_11target_archE1200ELNS1_3gpuE4ELNS1_3repE0EEENS1_30default_config_static_selectorELNS0_4arch9wavefront6targetE0EEEvT1_
                                        ; -- End function
	.section	.AMDGPU.csdata,"",@progbits
; Kernel info:
; codeLenInByte = 0
; NumSgprs: 0
; NumVgprs: 0
; ScratchSize: 0
; MemoryBound: 0
; FloatMode: 240
; IeeeMode: 1
; LDSByteSize: 0 bytes/workgroup (compile time only)
; SGPRBlocks: 0
; VGPRBlocks: 0
; NumSGPRsForWavesPerEU: 1
; NumVGPRsForWavesPerEU: 1
; Occupancy: 15
; WaveLimiterHint : 0
; COMPUTE_PGM_RSRC2:SCRATCH_EN: 0
; COMPUTE_PGM_RSRC2:USER_SGPR: 15
; COMPUTE_PGM_RSRC2:TRAP_HANDLER: 0
; COMPUTE_PGM_RSRC2:TGID_X_EN: 1
; COMPUTE_PGM_RSRC2:TGID_Y_EN: 0
; COMPUTE_PGM_RSRC2:TGID_Z_EN: 0
; COMPUTE_PGM_RSRC2:TIDIG_COMP_CNT: 0
	.section	.text._ZN7rocprim17ROCPRIM_400000_NS6detail17trampoline_kernelINS0_14default_configENS1_25partition_config_selectorILNS1_17partition_subalgoE9EllbEEZZNS1_14partition_implILS5_9ELb0ES3_jPlS8_PNS0_10empty_typeENS0_5tupleIJS8_S9_EEENSB_IJS8_SA_EEENS0_18inequality_wrapperIZN2at6native12_GLOBAL__N_124unique_dim_cuda_templateIiEESt5tupleIJNSF_6TensorESK_SK_EERKSK_lbbbEUlllE0_EEPmJS9_EEE10hipError_tPvRmT3_T4_T5_T6_T7_T9_mT8_P12ihipStream_tbDpT10_ENKUlT_T0_E_clISt17integral_constantIbLb1EES19_IbLb0EEEEDaS15_S16_EUlS15_E_NS1_11comp_targetILNS1_3genE9ELNS1_11target_archE1100ELNS1_3gpuE3ELNS1_3repE0EEENS1_30default_config_static_selectorELNS0_4arch9wavefront6targetE0EEEvT1_,"axG",@progbits,_ZN7rocprim17ROCPRIM_400000_NS6detail17trampoline_kernelINS0_14default_configENS1_25partition_config_selectorILNS1_17partition_subalgoE9EllbEEZZNS1_14partition_implILS5_9ELb0ES3_jPlS8_PNS0_10empty_typeENS0_5tupleIJS8_S9_EEENSB_IJS8_SA_EEENS0_18inequality_wrapperIZN2at6native12_GLOBAL__N_124unique_dim_cuda_templateIiEESt5tupleIJNSF_6TensorESK_SK_EERKSK_lbbbEUlllE0_EEPmJS9_EEE10hipError_tPvRmT3_T4_T5_T6_T7_T9_mT8_P12ihipStream_tbDpT10_ENKUlT_T0_E_clISt17integral_constantIbLb1EES19_IbLb0EEEEDaS15_S16_EUlS15_E_NS1_11comp_targetILNS1_3genE9ELNS1_11target_archE1100ELNS1_3gpuE3ELNS1_3repE0EEENS1_30default_config_static_selectorELNS0_4arch9wavefront6targetE0EEEvT1_,comdat
	.globl	_ZN7rocprim17ROCPRIM_400000_NS6detail17trampoline_kernelINS0_14default_configENS1_25partition_config_selectorILNS1_17partition_subalgoE9EllbEEZZNS1_14partition_implILS5_9ELb0ES3_jPlS8_PNS0_10empty_typeENS0_5tupleIJS8_S9_EEENSB_IJS8_SA_EEENS0_18inequality_wrapperIZN2at6native12_GLOBAL__N_124unique_dim_cuda_templateIiEESt5tupleIJNSF_6TensorESK_SK_EERKSK_lbbbEUlllE0_EEPmJS9_EEE10hipError_tPvRmT3_T4_T5_T6_T7_T9_mT8_P12ihipStream_tbDpT10_ENKUlT_T0_E_clISt17integral_constantIbLb1EES19_IbLb0EEEEDaS15_S16_EUlS15_E_NS1_11comp_targetILNS1_3genE9ELNS1_11target_archE1100ELNS1_3gpuE3ELNS1_3repE0EEENS1_30default_config_static_selectorELNS0_4arch9wavefront6targetE0EEEvT1_ ; -- Begin function _ZN7rocprim17ROCPRIM_400000_NS6detail17trampoline_kernelINS0_14default_configENS1_25partition_config_selectorILNS1_17partition_subalgoE9EllbEEZZNS1_14partition_implILS5_9ELb0ES3_jPlS8_PNS0_10empty_typeENS0_5tupleIJS8_S9_EEENSB_IJS8_SA_EEENS0_18inequality_wrapperIZN2at6native12_GLOBAL__N_124unique_dim_cuda_templateIiEESt5tupleIJNSF_6TensorESK_SK_EERKSK_lbbbEUlllE0_EEPmJS9_EEE10hipError_tPvRmT3_T4_T5_T6_T7_T9_mT8_P12ihipStream_tbDpT10_ENKUlT_T0_E_clISt17integral_constantIbLb1EES19_IbLb0EEEEDaS15_S16_EUlS15_E_NS1_11comp_targetILNS1_3genE9ELNS1_11target_archE1100ELNS1_3gpuE3ELNS1_3repE0EEENS1_30default_config_static_selectorELNS0_4arch9wavefront6targetE0EEEvT1_
	.p2align	8
	.type	_ZN7rocprim17ROCPRIM_400000_NS6detail17trampoline_kernelINS0_14default_configENS1_25partition_config_selectorILNS1_17partition_subalgoE9EllbEEZZNS1_14partition_implILS5_9ELb0ES3_jPlS8_PNS0_10empty_typeENS0_5tupleIJS8_S9_EEENSB_IJS8_SA_EEENS0_18inequality_wrapperIZN2at6native12_GLOBAL__N_124unique_dim_cuda_templateIiEESt5tupleIJNSF_6TensorESK_SK_EERKSK_lbbbEUlllE0_EEPmJS9_EEE10hipError_tPvRmT3_T4_T5_T6_T7_T9_mT8_P12ihipStream_tbDpT10_ENKUlT_T0_E_clISt17integral_constantIbLb1EES19_IbLb0EEEEDaS15_S16_EUlS15_E_NS1_11comp_targetILNS1_3genE9ELNS1_11target_archE1100ELNS1_3gpuE3ELNS1_3repE0EEENS1_30default_config_static_selectorELNS0_4arch9wavefront6targetE0EEEvT1_,@function
_ZN7rocprim17ROCPRIM_400000_NS6detail17trampoline_kernelINS0_14default_configENS1_25partition_config_selectorILNS1_17partition_subalgoE9EllbEEZZNS1_14partition_implILS5_9ELb0ES3_jPlS8_PNS0_10empty_typeENS0_5tupleIJS8_S9_EEENSB_IJS8_SA_EEENS0_18inequality_wrapperIZN2at6native12_GLOBAL__N_124unique_dim_cuda_templateIiEESt5tupleIJNSF_6TensorESK_SK_EERKSK_lbbbEUlllE0_EEPmJS9_EEE10hipError_tPvRmT3_T4_T5_T6_T7_T9_mT8_P12ihipStream_tbDpT10_ENKUlT_T0_E_clISt17integral_constantIbLb1EES19_IbLb0EEEEDaS15_S16_EUlS15_E_NS1_11comp_targetILNS1_3genE9ELNS1_11target_archE1100ELNS1_3gpuE3ELNS1_3repE0EEENS1_30default_config_static_selectorELNS0_4arch9wavefront6targetE0EEEvT1_: ; @_ZN7rocprim17ROCPRIM_400000_NS6detail17trampoline_kernelINS0_14default_configENS1_25partition_config_selectorILNS1_17partition_subalgoE9EllbEEZZNS1_14partition_implILS5_9ELb0ES3_jPlS8_PNS0_10empty_typeENS0_5tupleIJS8_S9_EEENSB_IJS8_SA_EEENS0_18inequality_wrapperIZN2at6native12_GLOBAL__N_124unique_dim_cuda_templateIiEESt5tupleIJNSF_6TensorESK_SK_EERKSK_lbbbEUlllE0_EEPmJS9_EEE10hipError_tPvRmT3_T4_T5_T6_T7_T9_mT8_P12ihipStream_tbDpT10_ENKUlT_T0_E_clISt17integral_constantIbLb1EES19_IbLb0EEEEDaS15_S16_EUlS15_E_NS1_11comp_targetILNS1_3genE9ELNS1_11target_archE1100ELNS1_3gpuE3ELNS1_3repE0EEENS1_30default_config_static_selectorELNS0_4arch9wavefront6targetE0EEEvT1_
; %bb.0:
	s_clause 0x3
	s_load_b128 s[4:7], s[0:1], 0x8
	s_load_b32 s8, s[0:1], 0x70
	s_load_b256 s[16:23], s[0:1], 0x40
	s_load_b64 s[24:25], s[0:1], 0x18
	s_mov_b32 s3, 0
	v_lshlrev_b32_e32 v55, 3, v0
	v_lshrrev_b32_e32 v33, 2, v0
	v_or_b32_e32 v38, 0x200, v0
	v_or_b32_e32 v36, 0x400, v0
	;; [unrolled: 1-line block ×7, first 2 shown]
	s_waitcnt lgkmcnt(0)
	s_lshl_b64 s[26:27], s[6:7], 3
	s_delay_alu instid0(SALU_CYCLE_1)
	s_add_u32 s9, s4, s26
	s_addc_u32 s10, s5, s27
	s_add_i32 s11, s8, -1
	s_load_b64 s[12:13], s[18:19], 0x0
	s_lshl_b32 s4, s11, 12
	s_lshl_b32 s5, s8, 12
	s_add_i32 s4, s6, s4
	s_lshl_b32 s2, s15, 12
	s_sub_i32 s28, s20, s4
	s_add_u32 s4, s6, s5
	s_addc_u32 s5, s7, 0
	s_cmp_eq_u32 s15, s11
	v_cmp_ge_u64_e64 s4, s[4:5], s[20:21]
	s_cselect_b32 s14, -1, 0
	s_lshl_b64 s[18:19], s[2:3], 3
	s_mov_b32 s3, -1
	s_delay_alu instid0(VALU_DEP_1) | instskip(NEXT) | instid1(SALU_CYCLE_1)
	s_and_b32 s21, s14, s4
	s_xor_b32 s20, s21, -1
	s_add_u32 s4, s9, s18
	s_addc_u32 s5, s10, s19
	s_and_b32 vcc_lo, exec_lo, s20
	s_cbranch_vccz .LBB495_2
; %bb.1:
	v_add_co_u32 v9, s2, s4, v55
	s_delay_alu instid0(VALU_DEP_1)
	v_add_co_ci_u32_e64 v10, null, s5, 0, s2
	global_load_b64 v[1:2], v55, s[4:5]
	v_add_co_u32 v3, vcc_lo, v9, 0x2000
	v_add_co_ci_u32_e32 v4, vcc_lo, 0, v10, vcc_lo
	v_add_co_u32 v5, vcc_lo, v9, 0x4000
	v_add_co_ci_u32_e32 v6, vcc_lo, 0, v10, vcc_lo
	;; [unrolled: 2-line block ×4, first 2 shown]
	s_clause 0x6
	global_load_b64 v[11:12], v[3:4], off offset:-4096
	global_load_b64 v[3:4], v[3:4], off
	global_load_b64 v[13:14], v[5:6], off offset:-4096
	global_load_b64 v[5:6], v[5:6], off
	global_load_b64 v[15:16], v[7:8], off offset:-4096
	global_load_b64 v[7:8], v[7:8], off
	global_load_b64 v[9:10], v[9:10], off
	v_lshrrev_b32_e32 v18, 2, v38
	v_lshrrev_b32_e32 v19, 2, v36
	;; [unrolled: 1-line block ×4, first 2 shown]
	v_and_b32_e32 v17, 0x78, v33
	v_lshrrev_b32_e32 v22, 2, v37
	v_lshrrev_b32_e32 v23, 2, v34
	;; [unrolled: 1-line block ×3, first 2 shown]
	v_and_b32_e32 v18, 0xf8, v18
	v_and_b32_e32 v19, 0x178, v19
	;; [unrolled: 1-line block ×4, first 2 shown]
	v_add_nc_u32_e32 v17, v17, v55
	v_and_b32_e32 v22, 0x2f8, v22
	v_and_b32_e32 v23, 0x378, v23
	;; [unrolled: 1-line block ×3, first 2 shown]
	v_add_nc_u32_e32 v18, v18, v55
	v_add_nc_u32_e32 v19, v19, v55
	;; [unrolled: 1-line block ×4, first 2 shown]
	s_mov_b32 s3, 0
	v_add_nc_u32_e32 v22, v22, v55
	v_add_nc_u32_e32 v23, v23, v55
	;; [unrolled: 1-line block ×3, first 2 shown]
	s_waitcnt vmcnt(7)
	ds_store_b64 v17, v[1:2]
	s_waitcnt vmcnt(6)
	ds_store_b64 v18, v[11:12] offset:4096
	s_waitcnt vmcnt(5)
	ds_store_b64 v19, v[3:4] offset:8192
	;; [unrolled: 2-line block ×7, first 2 shown]
	s_waitcnt lgkmcnt(0)
	s_barrier
.LBB495_2:
	s_load_b128 s[8:11], s[0:1], 0x60
	v_cmp_gt_u32_e64 s2, s28, v0
	s_and_not1_b32 vcc_lo, exec_lo, s3
	s_cbranch_vccnz .LBB495_20
; %bb.3:
                                        ; implicit-def: $vgpr1_vgpr2_vgpr3_vgpr4_vgpr5_vgpr6_vgpr7_vgpr8_vgpr9_vgpr10_vgpr11_vgpr12_vgpr13_vgpr14_vgpr15_vgpr16
	s_delay_alu instid0(VALU_DEP_1)
	s_and_saveexec_b32 s3, s2
	s_cbranch_execz .LBB495_11
; %bb.4:
	global_load_b64 v[1:2], v55, s[4:5]
	s_or_b32 exec_lo, exec_lo, s3
	s_delay_alu instid0(SALU_CYCLE_1)
	s_mov_b32 s2, exec_lo
	v_cmpx_gt_u32_e64 s28, v38
	s_cbranch_execnz .LBB495_12
.LBB495_5:
	s_or_b32 exec_lo, exec_lo, s2
	s_delay_alu instid0(SALU_CYCLE_1)
	s_mov_b32 s2, exec_lo
	v_cmpx_gt_u32_e64 s28, v36
	s_cbranch_execz .LBB495_13
.LBB495_6:
	v_lshlrev_b32_e32 v5, 3, v36
	global_load_b64 v[5:6], v5, s[4:5]
	s_or_b32 exec_lo, exec_lo, s2
	s_delay_alu instid0(SALU_CYCLE_1)
	s_mov_b32 s2, exec_lo
	v_cmpx_gt_u32_e64 s28, v40
	s_cbranch_execnz .LBB495_14
.LBB495_7:
	s_or_b32 exec_lo, exec_lo, s2
	s_delay_alu instid0(SALU_CYCLE_1)
	s_mov_b32 s2, exec_lo
	v_cmpx_gt_u32_e64 s28, v39
	s_cbranch_execz .LBB495_15
.LBB495_8:
	v_lshlrev_b32_e32 v9, 3, v39
	global_load_b64 v[9:10], v9, s[4:5]
	s_or_b32 exec_lo, exec_lo, s2
	s_delay_alu instid0(SALU_CYCLE_1)
	s_mov_b32 s2, exec_lo
	v_cmpx_gt_u32_e64 s28, v37
	s_cbranch_execnz .LBB495_16
.LBB495_9:
	s_or_b32 exec_lo, exec_lo, s2
	s_delay_alu instid0(SALU_CYCLE_1)
	s_mov_b32 s2, exec_lo
	v_cmpx_gt_u32_e64 s28, v34
	s_cbranch_execz .LBB495_17
.LBB495_10:
	v_lshlrev_b32_e32 v13, 3, v34
	global_load_b64 v[13:14], v13, s[4:5]
	s_or_b32 exec_lo, exec_lo, s2
	s_delay_alu instid0(SALU_CYCLE_1)
	s_mov_b32 s2, exec_lo
	v_cmpx_gt_u32_e64 s28, v35
	s_cbranch_execnz .LBB495_18
	s_branch .LBB495_19
.LBB495_11:
	s_or_b32 exec_lo, exec_lo, s3
	s_delay_alu instid0(SALU_CYCLE_1)
	s_mov_b32 s2, exec_lo
	v_cmpx_gt_u32_e64 s28, v38
	s_cbranch_execz .LBB495_5
.LBB495_12:
	v_lshlrev_b32_e32 v3, 3, v38
	global_load_b64 v[3:4], v3, s[4:5]
	s_or_b32 exec_lo, exec_lo, s2
	s_delay_alu instid0(SALU_CYCLE_1)
	s_mov_b32 s2, exec_lo
	v_cmpx_gt_u32_e64 s28, v36
	s_cbranch_execnz .LBB495_6
.LBB495_13:
	s_or_b32 exec_lo, exec_lo, s2
	s_delay_alu instid0(SALU_CYCLE_1)
	s_mov_b32 s2, exec_lo
	v_cmpx_gt_u32_e64 s28, v40
	s_cbranch_execz .LBB495_7
.LBB495_14:
	v_lshlrev_b32_e32 v7, 3, v40
	global_load_b64 v[7:8], v7, s[4:5]
	s_or_b32 exec_lo, exec_lo, s2
	s_delay_alu instid0(SALU_CYCLE_1)
	s_mov_b32 s2, exec_lo
	v_cmpx_gt_u32_e64 s28, v39
	s_cbranch_execnz .LBB495_8
.LBB495_15:
	s_or_b32 exec_lo, exec_lo, s2
	s_delay_alu instid0(SALU_CYCLE_1)
	s_mov_b32 s2, exec_lo
	v_cmpx_gt_u32_e64 s28, v37
	s_cbranch_execz .LBB495_9
.LBB495_16:
	v_lshlrev_b32_e32 v11, 3, v37
	global_load_b64 v[11:12], v11, s[4:5]
	s_or_b32 exec_lo, exec_lo, s2
	s_delay_alu instid0(SALU_CYCLE_1)
	s_mov_b32 s2, exec_lo
	v_cmpx_gt_u32_e64 s28, v34
	s_cbranch_execnz .LBB495_10
.LBB495_17:
	s_or_b32 exec_lo, exec_lo, s2
	s_delay_alu instid0(SALU_CYCLE_1)
	s_mov_b32 s2, exec_lo
	v_cmpx_gt_u32_e64 s28, v35
	s_cbranch_execz .LBB495_19
.LBB495_18:
	v_lshlrev_b32_e32 v15, 3, v35
	global_load_b64 v[15:16], v15, s[4:5]
.LBB495_19:
	s_or_b32 exec_lo, exec_lo, s2
	v_lshrrev_b32_e32 v17, 2, v38
	v_lshrrev_b32_e32 v18, 2, v36
	;; [unrolled: 1-line block ×4, first 2 shown]
	v_and_b32_e32 v19, 0x78, v33
	v_lshrrev_b32_e32 v22, 2, v37
	v_lshrrev_b32_e32 v23, 2, v34
	;; [unrolled: 1-line block ×3, first 2 shown]
	v_and_b32_e32 v17, 0xf8, v17
	v_and_b32_e32 v18, 0x1f8, v18
	;; [unrolled: 1-line block ×4, first 2 shown]
	v_add_nc_u32_e32 v19, v19, v55
	v_and_b32_e32 v22, 0x3f8, v22
	v_and_b32_e32 v23, 0x3f8, v23
	;; [unrolled: 1-line block ×3, first 2 shown]
	v_add_nc_u32_e32 v17, v17, v55
	v_add_nc_u32_e32 v18, v18, v55
	;; [unrolled: 1-line block ×7, first 2 shown]
	s_waitcnt vmcnt(0)
	ds_store_b64 v19, v[1:2]
	ds_store_b64 v17, v[3:4] offset:4096
	ds_store_b64 v18, v[5:6] offset:8192
	;; [unrolled: 1-line block ×7, first 2 shown]
	s_waitcnt lgkmcnt(0)
	s_barrier
.LBB495_20:
	v_add_lshl_u32 v41, v33, v55, 3
	s_waitcnt lgkmcnt(0)
	buffer_gl0_inv
	s_add_u32 s2, s24, s26
	s_addc_u32 s3, s25, s27
	s_add_u32 s2, s2, s18
	ds_load_2addr_b64 v[29:32], v41 offset1:1
	ds_load_2addr_b64 v[25:28], v41 offset0:2 offset1:3
	ds_load_2addr_b64 v[21:24], v41 offset0:4 offset1:5
	ds_load_2addr_b64 v[17:20], v41 offset0:6 offset1:7
	s_addc_u32 s3, s3, s19
	s_and_b32 vcc_lo, exec_lo, s20
	s_mov_b32 s18, -1
	s_waitcnt lgkmcnt(0)
	s_barrier
	buffer_gl0_inv
	s_cbranch_vccz .LBB495_22
; %bb.21:
	v_add_co_u32 v9, s18, s2, v55
	s_delay_alu instid0(VALU_DEP_1)
	v_add_co_ci_u32_e64 v10, null, s3, 0, s18
	global_load_b64 v[1:2], v55, s[2:3]
	v_add_co_u32 v3, vcc_lo, v9, 0x2000
	v_add_co_ci_u32_e32 v4, vcc_lo, 0, v10, vcc_lo
	v_add_co_u32 v5, vcc_lo, v9, 0x4000
	v_add_co_ci_u32_e32 v6, vcc_lo, 0, v10, vcc_lo
	;; [unrolled: 2-line block ×4, first 2 shown]
	s_clause 0x6
	global_load_b64 v[11:12], v[3:4], off offset:-4096
	global_load_b64 v[3:4], v[3:4], off
	global_load_b64 v[13:14], v[5:6], off offset:-4096
	global_load_b64 v[5:6], v[5:6], off
	;; [unrolled: 2-line block ×3, first 2 shown]
	global_load_b64 v[9:10], v[9:10], off
	v_lshrrev_b32_e32 v43, 2, v38
	v_lshrrev_b32_e32 v44, 2, v36
	;; [unrolled: 1-line block ×4, first 2 shown]
	v_and_b32_e32 v42, 0x78, v33
	v_lshrrev_b32_e32 v47, 2, v37
	v_lshrrev_b32_e32 v48, 2, v34
	;; [unrolled: 1-line block ×3, first 2 shown]
	v_and_b32_e32 v43, 0xf8, v43
	v_and_b32_e32 v44, 0x178, v44
	;; [unrolled: 1-line block ×4, first 2 shown]
	v_add_nc_u32_e32 v42, v42, v55
	v_and_b32_e32 v47, 0x2f8, v47
	v_and_b32_e32 v48, 0x378, v48
	;; [unrolled: 1-line block ×3, first 2 shown]
	v_add_nc_u32_e32 v43, v43, v55
	v_add_nc_u32_e32 v44, v44, v55
	;; [unrolled: 1-line block ×4, first 2 shown]
	s_mov_b32 s18, 0
	v_add_nc_u32_e32 v47, v47, v55
	v_add_nc_u32_e32 v48, v48, v55
	;; [unrolled: 1-line block ×3, first 2 shown]
	s_waitcnt vmcnt(7)
	ds_store_b64 v42, v[1:2]
	s_waitcnt vmcnt(6)
	ds_store_b64 v43, v[11:12] offset:4096
	s_waitcnt vmcnt(5)
	ds_store_b64 v44, v[3:4] offset:8192
	;; [unrolled: 2-line block ×7, first 2 shown]
	s_waitcnt lgkmcnt(0)
	s_barrier
.LBB495_22:
	s_and_not1_b32 vcc_lo, exec_lo, s18
	s_cbranch_vccnz .LBB495_40
; %bb.23:
	s_mov_b32 s18, exec_lo
                                        ; implicit-def: $vgpr1_vgpr2
	v_cmpx_gt_u32_e64 s28, v0
	s_cbranch_execz .LBB495_25
; %bb.24:
	global_load_b64 v[1:2], v55, s[2:3]
.LBB495_25:
	s_or_b32 exec_lo, exec_lo, s18
	s_delay_alu instid0(SALU_CYCLE_1)
	s_mov_b32 s18, exec_lo
                                        ; implicit-def: $vgpr3_vgpr4
	v_cmpx_gt_u32_e64 s28, v38
	s_cbranch_execz .LBB495_27
; %bb.26:
	v_lshlrev_b32_e32 v3, 3, v38
	global_load_b64 v[3:4], v3, s[2:3]
.LBB495_27:
	s_or_b32 exec_lo, exec_lo, s18
	s_delay_alu instid0(SALU_CYCLE_1)
	s_mov_b32 s18, exec_lo
                                        ; implicit-def: $vgpr5_vgpr6
	v_cmpx_gt_u32_e64 s28, v36
	s_cbranch_execz .LBB495_29
; %bb.28:
	v_lshlrev_b32_e32 v5, 3, v36
	global_load_b64 v[5:6], v5, s[2:3]
.LBB495_29:
	s_or_b32 exec_lo, exec_lo, s18
	s_delay_alu instid0(SALU_CYCLE_1)
	s_mov_b32 s18, exec_lo
                                        ; implicit-def: $vgpr7_vgpr8
	v_cmpx_gt_u32_e64 s28, v40
	s_cbranch_execz .LBB495_31
; %bb.30:
	v_lshlrev_b32_e32 v7, 3, v40
	global_load_b64 v[7:8], v7, s[2:3]
.LBB495_31:
	s_or_b32 exec_lo, exec_lo, s18
	s_delay_alu instid0(SALU_CYCLE_1)
	s_mov_b32 s18, exec_lo
                                        ; implicit-def: $vgpr9_vgpr10
	v_cmpx_gt_u32_e64 s28, v39
	s_cbranch_execz .LBB495_33
; %bb.32:
	v_lshlrev_b32_e32 v9, 3, v39
	global_load_b64 v[9:10], v9, s[2:3]
.LBB495_33:
	s_or_b32 exec_lo, exec_lo, s18
	s_delay_alu instid0(SALU_CYCLE_1)
	s_mov_b32 s18, exec_lo
                                        ; implicit-def: $vgpr11_vgpr12
	v_cmpx_gt_u32_e64 s28, v37
	s_cbranch_execz .LBB495_35
; %bb.34:
	v_lshlrev_b32_e32 v11, 3, v37
	global_load_b64 v[11:12], v11, s[2:3]
.LBB495_35:
	s_or_b32 exec_lo, exec_lo, s18
	s_delay_alu instid0(SALU_CYCLE_1)
	s_mov_b32 s18, exec_lo
                                        ; implicit-def: $vgpr13_vgpr14
	v_cmpx_gt_u32_e64 s28, v34
	s_cbranch_execz .LBB495_37
; %bb.36:
	v_lshlrev_b32_e32 v13, 3, v34
	global_load_b64 v[13:14], v13, s[2:3]
.LBB495_37:
	s_or_b32 exec_lo, exec_lo, s18
	s_delay_alu instid0(SALU_CYCLE_1)
	s_mov_b32 s18, exec_lo
                                        ; implicit-def: $vgpr15_vgpr16
	v_cmpx_gt_u32_e64 s28, v35
	s_cbranch_execz .LBB495_39
; %bb.38:
	v_lshlrev_b32_e32 v15, 3, v35
	global_load_b64 v[15:16], v15, s[2:3]
.LBB495_39:
	s_or_b32 exec_lo, exec_lo, s18
	v_lshrrev_b32_e32 v38, 2, v38
	v_lshrrev_b32_e32 v36, 2, v36
	;; [unrolled: 1-line block ×4, first 2 shown]
	v_and_b32_e32 v33, 0x78, v33
	v_lshrrev_b32_e32 v37, 2, v37
	v_lshrrev_b32_e32 v34, 2, v34
	;; [unrolled: 1-line block ×3, first 2 shown]
	v_and_b32_e32 v38, 0xf8, v38
	v_and_b32_e32 v36, 0x1f8, v36
	;; [unrolled: 1-line block ×4, first 2 shown]
	v_add_nc_u32_e32 v33, v33, v55
	v_and_b32_e32 v37, 0x3f8, v37
	v_and_b32_e32 v34, 0x3f8, v34
	v_and_b32_e32 v35, 0x3f8, v35
	v_add_nc_u32_e32 v38, v38, v55
	v_add_nc_u32_e32 v36, v36, v55
	;; [unrolled: 1-line block ×7, first 2 shown]
	s_waitcnt vmcnt(0)
	ds_store_b64 v33, v[1:2]
	ds_store_b64 v38, v[3:4] offset:4096
	ds_store_b64 v36, v[5:6] offset:8192
	;; [unrolled: 1-line block ×7, first 2 shown]
	s_waitcnt lgkmcnt(0)
	s_barrier
.LBB495_40:
	buffer_gl0_inv
	ds_load_2addr_b64 v[13:16], v41 offset1:1
	ds_load_2addr_b64 v[9:12], v41 offset0:2 offset1:3
	ds_load_2addr_b64 v[5:8], v41 offset0:4 offset1:5
	;; [unrolled: 1-line block ×3, first 2 shown]
	s_cmp_lg_u32 s15, 0
	v_cmp_gt_i64_e64 s25, s[22:23], 0
	s_cselect_b32 s24, -1, 0
	s_cmp_lg_u64 s[6:7], 0
	s_mov_b32 s3, 0
	s_cselect_b32 s2, -1, 0
	s_waitcnt lgkmcnt(0)
	s_or_b32 s2, s24, s2
	s_barrier
	s_and_b32 vcc_lo, exec_lo, s2
	buffer_gl0_inv
	s_cbranch_vccz .LBB495_49
; %bb.41:
	s_add_u32 s2, s4, -8
	s_addc_u32 s3, s5, -1
	v_cndmask_b32_e64 v41, 0, 1, s25
	s_load_b64 s[4:5], s[2:3], 0x0
	s_and_b32 vcc_lo, exec_lo, s20
	ds_store_b64 v55, v[19:20]
	v_cmp_ne_u32_e64 s2, 1, v41
	s_cbranch_vccz .LBB495_50
; %bb.42:
	v_mul_lo_u32 v35, v18, s22
	v_mul_lo_u32 v36, v17, s23
	v_mad_u64_u32 v[33:34], null, v17, s22, 0
	s_mov_b32 s3, 0
	s_and_b32 vcc_lo, exec_lo, s2
	s_mov_b32 s26, 0
	s_delay_alu instid0(VALU_DEP_1) | instskip(NEXT) | instid1(VALU_DEP_1)
	v_add3_u32 v34, v34, v36, v35
	v_lshlrev_b64 v[33:34], 2, v[33:34]
	s_cbranch_vccnz .LBB495_53
; %bb.43:
	v_mul_lo_u32 v37, v20, s22
	v_mul_lo_u32 v38, v19, s23
	v_mad_u64_u32 v[35:36], null, v19, s22, 0
	s_mov_b32 s26, -1
	s_mov_b32 s27, exec_lo
	s_delay_alu instid0(VALU_DEP_1) | instskip(SKIP_2) | instid1(VALU_DEP_3)
	v_add3_u32 v36, v36, v38, v37
	v_add_co_u32 v37, vcc_lo, s8, v33
	v_add_co_ci_u32_e32 v38, vcc_lo, s9, v34, vcc_lo
	v_lshlrev_b64 v[35:36], 2, v[35:36]
	s_delay_alu instid0(VALU_DEP_1) | instskip(NEXT) | instid1(VALU_DEP_2)
	v_add_co_u32 v35, vcc_lo, s8, v35
	v_add_co_ci_u32_e32 v36, vcc_lo, s9, v36, vcc_lo
	s_clause 0x1
	global_load_b32 v39, v[37:38], off
	global_load_b32 v40, v[35:36], off
	s_waitcnt vmcnt(0)
	v_cmpx_eq_u32_e64 v39, v40
	s_cbranch_execz .LBB495_52
; %bb.44:
	v_add_co_u32 v35, vcc_lo, v35, 4
	v_add_co_ci_u32_e32 v36, vcc_lo, 0, v36, vcc_lo
	v_add_co_u32 v37, vcc_lo, v37, 4
	v_add_co_ci_u32_e32 v38, vcc_lo, 0, v38, vcc_lo
	s_add_u32 s6, s22, -1
	s_addc_u32 s7, s23, -1
	s_mov_b64 s[18:19], 0
	s_mov_b32 s26, 0
                                        ; implicit-def: $sgpr29
	s_set_inst_prefetch_distance 0x1
	s_branch .LBB495_47
	.p2align	6
.LBB495_45:                             ;   in Loop: Header=BB495_47 Depth=1
	global_load_b32 v39, v[37:38], off
	global_load_b32 v40, v[35:36], off
	v_add_co_u32 v35, vcc_lo, v35, 4
	v_add_co_ci_u32_e32 v36, vcc_lo, 0, v36, vcc_lo
	v_add_co_u32 v37, s2, v37, 4
	s_delay_alu instid0(VALU_DEP_1)
	v_add_co_ci_u32_e64 v38, s2, 0, v38, s2
	s_add_u32 s18, s18, 1
	s_addc_u32 s19, s19, 0
	s_and_not1_b32 s2, s29, exec_lo
	s_waitcnt vmcnt(0)
	v_cmp_ne_u32_e32 vcc_lo, v39, v40
	s_and_b32 s29, vcc_lo, exec_lo
	s_delay_alu instid0(SALU_CYCLE_1)
	s_or_b32 s29, s2, s29
.LBB495_46:                             ;   in Loop: Header=BB495_47 Depth=1
	v_dual_mov_b32 v40, s19 :: v_dual_mov_b32 v39, s18
	s_and_b32 s2, exec_lo, s29
	s_delay_alu instid0(SALU_CYCLE_1) | instskip(NEXT) | instid1(SALU_CYCLE_1)
	s_or_b32 s26, s2, s26
	s_and_not1_b32 exec_lo, exec_lo, s26
	s_cbranch_execz .LBB495_51
.LBB495_47:                             ; =>This Inner Loop Header: Depth=1
	s_or_b32 s29, s29, exec_lo
	s_cmp_eq_u64 s[6:7], s[18:19]
	s_cbranch_scc0 .LBB495_45
; %bb.48:                               ;   in Loop: Header=BB495_47 Depth=1
	s_mov_b64 s[18:19], s[22:23]
                                        ; implicit-def: $vgpr35_vgpr36
                                        ; implicit-def: $vgpr37_vgpr38
	s_branch .LBB495_46
.LBB495_49:
                                        ; implicit-def: $sgpr2
                                        ; implicit-def: $vgpr34
	s_branch .LBB495_211
.LBB495_50:
                                        ; implicit-def: $sgpr2
                                        ; implicit-def: $vgpr34
	s_cbranch_execnz .LBB495_119
	s_branch .LBB495_210
.LBB495_51:
	s_set_inst_prefetch_distance 0x2
	s_or_b32 exec_lo, exec_lo, s26
	v_cmp_gt_i64_e32 vcc_lo, s[22:23], v[39:40]
	s_or_not1_b32 s26, vcc_lo, exec_lo
.LBB495_52:
	s_or_b32 exec_lo, exec_lo, s27
.LBB495_53:
	v_mul_lo_u32 v37, v24, s22
	v_mul_lo_u32 v38, v23, s23
	v_mad_u64_u32 v[35:36], null, v23, s22, 0
	s_and_not1_b32 vcc_lo, exec_lo, s25
	s_delay_alu instid0(VALU_DEP_1) | instskip(NEXT) | instid1(VALU_DEP_1)
	v_add3_u32 v36, v36, v38, v37
	v_lshlrev_b64 v[35:36], 2, v[35:36]
	s_cbranch_vccnz .LBB495_62
; %bb.54:
	s_delay_alu instid0(VALU_DEP_1) | instskip(NEXT) | instid1(VALU_DEP_2)
	v_add_co_u32 v37, vcc_lo, s8, v35
	v_add_co_ci_u32_e32 v38, vcc_lo, s9, v36, vcc_lo
	v_add_co_u32 v33, vcc_lo, s8, v33
	v_add_co_ci_u32_e32 v34, vcc_lo, s9, v34, vcc_lo
	s_mov_b32 s3, -1
	s_clause 0x1
	global_load_b32 v39, v[37:38], off
	global_load_b32 v40, v[33:34], off
	s_mov_b32 s27, exec_lo
	s_waitcnt vmcnt(0)
	v_cmpx_eq_u32_e64 v39, v40
	s_cbranch_execz .LBB495_61
; %bb.55:
	v_add_co_u32 v33, vcc_lo, v33, 4
	v_add_co_ci_u32_e32 v34, vcc_lo, 0, v34, vcc_lo
	v_add_co_u32 v37, vcc_lo, v37, 4
	v_add_co_ci_u32_e32 v38, vcc_lo, 0, v38, vcc_lo
	s_add_u32 s6, s22, -1
	s_addc_u32 s7, s23, -1
	s_mov_b64 s[18:19], 0
	s_mov_b32 s3, 0
                                        ; implicit-def: $sgpr29
	s_set_inst_prefetch_distance 0x1
	s_branch .LBB495_58
	.p2align	6
.LBB495_56:                             ;   in Loop: Header=BB495_58 Depth=1
	global_load_b32 v39, v[37:38], off
	global_load_b32 v40, v[33:34], off
	v_add_co_u32 v33, vcc_lo, v33, 4
	v_add_co_ci_u32_e32 v34, vcc_lo, 0, v34, vcc_lo
	v_add_co_u32 v37, s2, v37, 4
	s_delay_alu instid0(VALU_DEP_1)
	v_add_co_ci_u32_e64 v38, s2, 0, v38, s2
	s_add_u32 s18, s18, 1
	s_addc_u32 s19, s19, 0
	s_and_not1_b32 s2, s29, exec_lo
	s_waitcnt vmcnt(0)
	v_cmp_ne_u32_e32 vcc_lo, v39, v40
	s_and_b32 s29, vcc_lo, exec_lo
	s_delay_alu instid0(SALU_CYCLE_1)
	s_or_b32 s29, s2, s29
.LBB495_57:                             ;   in Loop: Header=BB495_58 Depth=1
	v_dual_mov_b32 v40, s19 :: v_dual_mov_b32 v39, s18
	s_and_b32 s2, exec_lo, s29
	s_delay_alu instid0(SALU_CYCLE_1) | instskip(NEXT) | instid1(SALU_CYCLE_1)
	s_or_b32 s3, s2, s3
	s_and_not1_b32 exec_lo, exec_lo, s3
	s_cbranch_execz .LBB495_60
.LBB495_58:                             ; =>This Inner Loop Header: Depth=1
	s_or_b32 s29, s29, exec_lo
	s_cmp_eq_u64 s[6:7], s[18:19]
	s_cbranch_scc0 .LBB495_56
; %bb.59:                               ;   in Loop: Header=BB495_58 Depth=1
	s_mov_b64 s[18:19], s[22:23]
                                        ; implicit-def: $vgpr33_vgpr34
                                        ; implicit-def: $vgpr37_vgpr38
	s_branch .LBB495_57
.LBB495_60:
	s_set_inst_prefetch_distance 0x2
	s_or_b32 exec_lo, exec_lo, s3
	v_cmp_gt_i64_e32 vcc_lo, s[22:23], v[39:40]
	s_or_not1_b32 s3, vcc_lo, exec_lo
.LBB495_61:
	s_or_b32 exec_lo, exec_lo, s27
.LBB495_62:
	v_mul_lo_u32 v37, v22, s22
	v_mul_lo_u32 v38, v21, s23
	v_mad_u64_u32 v[33:34], null, v21, s22, 0
	s_mov_b32 s27, 0
	s_and_not1_b32 vcc_lo, exec_lo, s25
	s_mov_b32 s29, 0
	s_delay_alu instid0(VALU_DEP_1) | instskip(NEXT) | instid1(VALU_DEP_1)
	v_add3_u32 v34, v34, v38, v37
	v_lshlrev_b64 v[37:38], 2, v[33:34]
	s_cbranch_vccnz .LBB495_71
; %bb.63:
	s_delay_alu instid0(VALU_DEP_1) | instskip(NEXT) | instid1(VALU_DEP_2)
	v_add_co_u32 v39, vcc_lo, s8, v37
	v_add_co_ci_u32_e32 v40, vcc_lo, s9, v38, vcc_lo
	v_add_co_u32 v33, vcc_lo, s8, v35
	v_add_co_ci_u32_e32 v34, vcc_lo, s9, v36, vcc_lo
	s_mov_b32 s29, -1
	s_clause 0x1
	global_load_b32 v35, v[39:40], off
	global_load_b32 v36, v[33:34], off
	s_mov_b32 s30, exec_lo
	s_waitcnt vmcnt(0)
	v_cmpx_eq_u32_e64 v35, v36
	s_cbranch_execz .LBB495_70
; %bb.64:
	v_add_co_u32 v33, vcc_lo, v33, 4
	v_add_co_ci_u32_e32 v34, vcc_lo, 0, v34, vcc_lo
	v_add_co_u32 v35, vcc_lo, v39, 4
	v_add_co_ci_u32_e32 v36, vcc_lo, 0, v40, vcc_lo
	s_add_u32 s6, s22, -1
	s_addc_u32 s7, s23, -1
	s_mov_b64 s[18:19], 0
	s_mov_b32 s29, 0
                                        ; implicit-def: $sgpr31
	s_set_inst_prefetch_distance 0x1
	s_branch .LBB495_67
	.p2align	6
.LBB495_65:                             ;   in Loop: Header=BB495_67 Depth=1
	global_load_b32 v39, v[35:36], off
	global_load_b32 v40, v[33:34], off
	v_add_co_u32 v33, vcc_lo, v33, 4
	v_add_co_ci_u32_e32 v34, vcc_lo, 0, v34, vcc_lo
	v_add_co_u32 v35, s2, v35, 4
	s_delay_alu instid0(VALU_DEP_1)
	v_add_co_ci_u32_e64 v36, s2, 0, v36, s2
	s_add_u32 s18, s18, 1
	s_addc_u32 s19, s19, 0
	s_and_not1_b32 s2, s31, exec_lo
	s_waitcnt vmcnt(0)
	v_cmp_ne_u32_e32 vcc_lo, v39, v40
	s_and_b32 s31, vcc_lo, exec_lo
	s_delay_alu instid0(SALU_CYCLE_1)
	s_or_b32 s31, s2, s31
.LBB495_66:                             ;   in Loop: Header=BB495_67 Depth=1
	v_dual_mov_b32 v40, s19 :: v_dual_mov_b32 v39, s18
	s_and_b32 s2, exec_lo, s31
	s_delay_alu instid0(SALU_CYCLE_1) | instskip(NEXT) | instid1(SALU_CYCLE_1)
	s_or_b32 s29, s2, s29
	s_and_not1_b32 exec_lo, exec_lo, s29
	s_cbranch_execz .LBB495_69
.LBB495_67:                             ; =>This Inner Loop Header: Depth=1
	s_or_b32 s31, s31, exec_lo
	s_cmp_eq_u64 s[6:7], s[18:19]
	s_cbranch_scc0 .LBB495_65
; %bb.68:                               ;   in Loop: Header=BB495_67 Depth=1
	s_mov_b64 s[18:19], s[22:23]
                                        ; implicit-def: $vgpr33_vgpr34
                                        ; implicit-def: $vgpr35_vgpr36
	s_branch .LBB495_66
.LBB495_69:
	s_set_inst_prefetch_distance 0x2
	s_or_b32 exec_lo, exec_lo, s29
	v_cmp_gt_i64_e32 vcc_lo, s[22:23], v[39:40]
	s_or_not1_b32 s29, vcc_lo, exec_lo
.LBB495_70:
	s_or_b32 exec_lo, exec_lo, s30
.LBB495_71:
	v_mul_lo_u32 v35, v28, s22
	v_mul_lo_u32 v36, v27, s23
	v_mad_u64_u32 v[33:34], null, v27, s22, 0
	s_and_not1_b32 vcc_lo, exec_lo, s25
	s_delay_alu instid0(VALU_DEP_1) | instskip(NEXT) | instid1(VALU_DEP_1)
	v_add3_u32 v34, v34, v36, v35
	v_lshlrev_b64 v[33:34], 2, v[33:34]
	s_cbranch_vccnz .LBB495_80
; %bb.72:
	s_delay_alu instid0(VALU_DEP_1) | instskip(NEXT) | instid1(VALU_DEP_2)
	v_add_co_u32 v39, vcc_lo, s8, v33
	v_add_co_ci_u32_e32 v40, vcc_lo, s9, v34, vcc_lo
	v_add_co_u32 v35, vcc_lo, s8, v37
	v_add_co_ci_u32_e32 v36, vcc_lo, s9, v38, vcc_lo
	s_mov_b32 s27, -1
	s_clause 0x1
	global_load_b32 v37, v[39:40], off
	global_load_b32 v38, v[35:36], off
	s_mov_b32 s30, exec_lo
	s_waitcnt vmcnt(0)
	v_cmpx_eq_u32_e64 v37, v38
	s_cbranch_execz .LBB495_79
; %bb.73:
	v_add_co_u32 v35, vcc_lo, v35, 4
	v_add_co_ci_u32_e32 v36, vcc_lo, 0, v36, vcc_lo
	v_add_co_u32 v37, vcc_lo, v39, 4
	v_add_co_ci_u32_e32 v38, vcc_lo, 0, v40, vcc_lo
	s_add_u32 s6, s22, -1
	s_addc_u32 s7, s23, -1
	s_mov_b64 s[18:19], 0
	s_mov_b32 s27, 0
                                        ; implicit-def: $sgpr31
	s_set_inst_prefetch_distance 0x1
	s_branch .LBB495_76
	.p2align	6
.LBB495_74:                             ;   in Loop: Header=BB495_76 Depth=1
	global_load_b32 v39, v[37:38], off
	global_load_b32 v40, v[35:36], off
	v_add_co_u32 v35, vcc_lo, v35, 4
	v_add_co_ci_u32_e32 v36, vcc_lo, 0, v36, vcc_lo
	v_add_co_u32 v37, s2, v37, 4
	s_delay_alu instid0(VALU_DEP_1)
	v_add_co_ci_u32_e64 v38, s2, 0, v38, s2
	s_add_u32 s18, s18, 1
	s_addc_u32 s19, s19, 0
	s_and_not1_b32 s2, s31, exec_lo
	s_waitcnt vmcnt(0)
	v_cmp_ne_u32_e32 vcc_lo, v39, v40
	s_and_b32 s31, vcc_lo, exec_lo
	s_delay_alu instid0(SALU_CYCLE_1)
	s_or_b32 s31, s2, s31
.LBB495_75:                             ;   in Loop: Header=BB495_76 Depth=1
	v_dual_mov_b32 v40, s19 :: v_dual_mov_b32 v39, s18
	s_and_b32 s2, exec_lo, s31
	s_delay_alu instid0(SALU_CYCLE_1) | instskip(NEXT) | instid1(SALU_CYCLE_1)
	s_or_b32 s27, s2, s27
	s_and_not1_b32 exec_lo, exec_lo, s27
	s_cbranch_execz .LBB495_78
.LBB495_76:                             ; =>This Inner Loop Header: Depth=1
	s_or_b32 s31, s31, exec_lo
	s_cmp_eq_u64 s[6:7], s[18:19]
	s_cbranch_scc0 .LBB495_74
; %bb.77:                               ;   in Loop: Header=BB495_76 Depth=1
	s_mov_b64 s[18:19], s[22:23]
                                        ; implicit-def: $vgpr35_vgpr36
                                        ; implicit-def: $vgpr37_vgpr38
	s_branch .LBB495_75
.LBB495_78:
	s_set_inst_prefetch_distance 0x2
	s_or_b32 exec_lo, exec_lo, s27
	v_cmp_gt_i64_e32 vcc_lo, s[22:23], v[39:40]
	s_or_not1_b32 s27, vcc_lo, exec_lo
.LBB495_79:
	s_or_b32 exec_lo, exec_lo, s30
.LBB495_80:
	v_mul_lo_u32 v37, v26, s22
	v_mul_lo_u32 v38, v25, s23
	v_mad_u64_u32 v[35:36], null, v25, s22, 0
	s_mov_b32 s30, 0
	s_and_not1_b32 vcc_lo, exec_lo, s25
	s_mov_b32 s31, 0
	s_delay_alu instid0(VALU_DEP_1) | instskip(NEXT) | instid1(VALU_DEP_1)
	v_add3_u32 v36, v36, v38, v37
	v_lshlrev_b64 v[37:38], 2, v[35:36]
	s_cbranch_vccnz .LBB495_89
; %bb.81:
	s_delay_alu instid0(VALU_DEP_1) | instskip(NEXT) | instid1(VALU_DEP_2)
	v_add_co_u32 v35, vcc_lo, s8, v37
	v_add_co_ci_u32_e32 v36, vcc_lo, s9, v38, vcc_lo
	v_add_co_u32 v33, vcc_lo, s8, v33
	v_add_co_ci_u32_e32 v34, vcc_lo, s9, v34, vcc_lo
	s_mov_b32 s31, -1
	s_clause 0x1
	global_load_b32 v39, v[35:36], off
	global_load_b32 v40, v[33:34], off
	s_mov_b32 s33, exec_lo
	s_waitcnt vmcnt(0)
	v_cmpx_eq_u32_e64 v39, v40
	s_cbranch_execz .LBB495_88
; %bb.82:
	v_add_co_u32 v33, vcc_lo, v33, 4
	v_add_co_ci_u32_e32 v34, vcc_lo, 0, v34, vcc_lo
	v_add_co_u32 v35, vcc_lo, v35, 4
	v_add_co_ci_u32_e32 v36, vcc_lo, 0, v36, vcc_lo
	s_add_u32 s6, s22, -1
	s_addc_u32 s7, s23, -1
	s_mov_b64 s[18:19], 0
	s_mov_b32 s31, 0
                                        ; implicit-def: $sgpr34
	s_set_inst_prefetch_distance 0x1
	s_branch .LBB495_85
	.p2align	6
.LBB495_83:                             ;   in Loop: Header=BB495_85 Depth=1
	global_load_b32 v39, v[35:36], off
	global_load_b32 v40, v[33:34], off
	v_add_co_u32 v33, vcc_lo, v33, 4
	v_add_co_ci_u32_e32 v34, vcc_lo, 0, v34, vcc_lo
	v_add_co_u32 v35, s2, v35, 4
	s_delay_alu instid0(VALU_DEP_1)
	v_add_co_ci_u32_e64 v36, s2, 0, v36, s2
	s_add_u32 s18, s18, 1
	s_addc_u32 s19, s19, 0
	s_and_not1_b32 s2, s34, exec_lo
	s_waitcnt vmcnt(0)
	v_cmp_ne_u32_e32 vcc_lo, v39, v40
	s_and_b32 s34, vcc_lo, exec_lo
	s_delay_alu instid0(SALU_CYCLE_1)
	s_or_b32 s34, s2, s34
.LBB495_84:                             ;   in Loop: Header=BB495_85 Depth=1
	v_dual_mov_b32 v40, s19 :: v_dual_mov_b32 v39, s18
	s_and_b32 s2, exec_lo, s34
	s_delay_alu instid0(SALU_CYCLE_1) | instskip(NEXT) | instid1(SALU_CYCLE_1)
	s_or_b32 s31, s2, s31
	s_and_not1_b32 exec_lo, exec_lo, s31
	s_cbranch_execz .LBB495_87
.LBB495_85:                             ; =>This Inner Loop Header: Depth=1
	s_or_b32 s34, s34, exec_lo
	s_cmp_eq_u64 s[6:7], s[18:19]
	s_cbranch_scc0 .LBB495_83
; %bb.86:                               ;   in Loop: Header=BB495_85 Depth=1
	s_mov_b64 s[18:19], s[22:23]
                                        ; implicit-def: $vgpr33_vgpr34
                                        ; implicit-def: $vgpr35_vgpr36
	s_branch .LBB495_84
.LBB495_87:
	s_set_inst_prefetch_distance 0x2
	s_or_b32 exec_lo, exec_lo, s31
	v_cmp_gt_i64_e32 vcc_lo, s[22:23], v[39:40]
	s_or_not1_b32 s31, vcc_lo, exec_lo
.LBB495_88:
	s_or_b32 exec_lo, exec_lo, s33
.LBB495_89:
	v_mul_lo_u32 v35, v32, s22
	v_mul_lo_u32 v36, v31, s23
	v_mad_u64_u32 v[33:34], null, v31, s22, 0
	s_and_not1_b32 vcc_lo, exec_lo, s25
	s_delay_alu instid0(VALU_DEP_1) | instskip(NEXT) | instid1(VALU_DEP_1)
	v_add3_u32 v34, v34, v36, v35
	v_lshlrev_b64 v[35:36], 2, v[33:34]
	s_cbranch_vccnz .LBB495_98
; %bb.90:
	s_delay_alu instid0(VALU_DEP_1) | instskip(NEXT) | instid1(VALU_DEP_2)
	v_add_co_u32 v39, vcc_lo, s8, v35
	v_add_co_ci_u32_e32 v40, vcc_lo, s9, v36, vcc_lo
	v_add_co_u32 v33, vcc_lo, s8, v37
	v_add_co_ci_u32_e32 v34, vcc_lo, s9, v38, vcc_lo
	s_mov_b32 s30, -1
	s_clause 0x1
	global_load_b32 v37, v[39:40], off
	global_load_b32 v38, v[33:34], off
	s_mov_b32 s33, exec_lo
	s_waitcnt vmcnt(0)
	v_cmpx_eq_u32_e64 v37, v38
	s_cbranch_execz .LBB495_97
; %bb.91:
	v_add_co_u32 v33, vcc_lo, v33, 4
	v_add_co_ci_u32_e32 v34, vcc_lo, 0, v34, vcc_lo
	v_add_co_u32 v37, vcc_lo, v39, 4
	v_add_co_ci_u32_e32 v38, vcc_lo, 0, v40, vcc_lo
	s_add_u32 s6, s22, -1
	s_addc_u32 s7, s23, -1
	s_mov_b64 s[18:19], 0
	s_mov_b32 s30, 0
                                        ; implicit-def: $sgpr34
	s_set_inst_prefetch_distance 0x1
	s_branch .LBB495_94
	.p2align	6
.LBB495_92:                             ;   in Loop: Header=BB495_94 Depth=1
	global_load_b32 v39, v[37:38], off
	global_load_b32 v40, v[33:34], off
	v_add_co_u32 v33, vcc_lo, v33, 4
	v_add_co_ci_u32_e32 v34, vcc_lo, 0, v34, vcc_lo
	v_add_co_u32 v37, s2, v37, 4
	s_delay_alu instid0(VALU_DEP_1)
	v_add_co_ci_u32_e64 v38, s2, 0, v38, s2
	s_add_u32 s18, s18, 1
	s_addc_u32 s19, s19, 0
	s_and_not1_b32 s2, s34, exec_lo
	s_waitcnt vmcnt(0)
	v_cmp_ne_u32_e32 vcc_lo, v39, v40
	s_and_b32 s34, vcc_lo, exec_lo
	s_delay_alu instid0(SALU_CYCLE_1)
	s_or_b32 s34, s2, s34
.LBB495_93:                             ;   in Loop: Header=BB495_94 Depth=1
	v_dual_mov_b32 v40, s19 :: v_dual_mov_b32 v39, s18
	s_and_b32 s2, exec_lo, s34
	s_delay_alu instid0(SALU_CYCLE_1) | instskip(NEXT) | instid1(SALU_CYCLE_1)
	s_or_b32 s30, s2, s30
	s_and_not1_b32 exec_lo, exec_lo, s30
	s_cbranch_execz .LBB495_96
.LBB495_94:                             ; =>This Inner Loop Header: Depth=1
	s_or_b32 s34, s34, exec_lo
	s_cmp_eq_u64 s[6:7], s[18:19]
	s_cbranch_scc0 .LBB495_92
; %bb.95:                               ;   in Loop: Header=BB495_94 Depth=1
	s_mov_b64 s[18:19], s[22:23]
                                        ; implicit-def: $vgpr33_vgpr34
                                        ; implicit-def: $vgpr37_vgpr38
	s_branch .LBB495_93
.LBB495_96:
	s_set_inst_prefetch_distance 0x2
	s_or_b32 exec_lo, exec_lo, s30
	v_cmp_gt_i64_e32 vcc_lo, s[22:23], v[39:40]
	s_or_not1_b32 s30, vcc_lo, exec_lo
.LBB495_97:
	s_or_b32 exec_lo, exec_lo, s33
.LBB495_98:
	v_mul_lo_u32 v37, v30, s22
	v_mul_lo_u32 v38, v29, s23
	v_mad_u64_u32 v[33:34], null, v29, s22, 0
	s_and_not1_b32 vcc_lo, exec_lo, s25
	s_mov_b32 s2, 0
	s_delay_alu instid0(VALU_DEP_1) | instskip(NEXT) | instid1(VALU_DEP_1)
	v_add3_u32 v34, v34, v38, v37
	v_lshlrev_b64 v[33:34], 2, v[33:34]
	s_cbranch_vccnz .LBB495_107
; %bb.99:
	s_delay_alu instid0(VALU_DEP_1) | instskip(NEXT) | instid1(VALU_DEP_2)
	v_add_co_u32 v37, vcc_lo, s8, v33
	v_add_co_ci_u32_e32 v38, vcc_lo, s9, v34, vcc_lo
	v_add_co_u32 v35, vcc_lo, s8, v35
	v_add_co_ci_u32_e32 v36, vcc_lo, s9, v36, vcc_lo
	s_mov_b32 s2, -1
	s_clause 0x1
	global_load_b32 v39, v[37:38], off
	global_load_b32 v40, v[35:36], off
	s_mov_b32 s33, exec_lo
	s_waitcnt vmcnt(0)
	v_cmpx_eq_u32_e64 v39, v40
	s_cbranch_execz .LBB495_106
; %bb.100:
	v_add_co_u32 v35, vcc_lo, v35, 4
	v_add_co_ci_u32_e32 v36, vcc_lo, 0, v36, vcc_lo
	v_add_co_u32 v37, vcc_lo, v37, 4
	v_add_co_ci_u32_e32 v38, vcc_lo, 0, v38, vcc_lo
	s_add_u32 s6, s22, -1
	s_addc_u32 s7, s23, -1
	s_mov_b64 s[18:19], 0
	s_mov_b32 s34, 0
                                        ; implicit-def: $sgpr35
	s_set_inst_prefetch_distance 0x1
	s_branch .LBB495_103
	.p2align	6
.LBB495_101:                            ;   in Loop: Header=BB495_103 Depth=1
	global_load_b32 v39, v[37:38], off
	global_load_b32 v40, v[35:36], off
	v_add_co_u32 v35, vcc_lo, v35, 4
	v_add_co_ci_u32_e32 v36, vcc_lo, 0, v36, vcc_lo
	v_add_co_u32 v37, s2, v37, 4
	s_delay_alu instid0(VALU_DEP_1)
	v_add_co_ci_u32_e64 v38, s2, 0, v38, s2
	s_add_u32 s18, s18, 1
	s_addc_u32 s19, s19, 0
	s_and_not1_b32 s2, s35, exec_lo
	s_waitcnt vmcnt(0)
	v_cmp_ne_u32_e32 vcc_lo, v39, v40
	s_and_b32 s35, vcc_lo, exec_lo
	s_delay_alu instid0(SALU_CYCLE_1)
	s_or_b32 s35, s2, s35
.LBB495_102:                            ;   in Loop: Header=BB495_103 Depth=1
	v_dual_mov_b32 v40, s19 :: v_dual_mov_b32 v39, s18
	s_and_b32 s2, exec_lo, s35
	s_delay_alu instid0(SALU_CYCLE_1) | instskip(NEXT) | instid1(SALU_CYCLE_1)
	s_or_b32 s34, s2, s34
	s_and_not1_b32 exec_lo, exec_lo, s34
	s_cbranch_execz .LBB495_105
.LBB495_103:                            ; =>This Inner Loop Header: Depth=1
	s_or_b32 s35, s35, exec_lo
	s_cmp_eq_u64 s[6:7], s[18:19]
	s_cbranch_scc0 .LBB495_101
; %bb.104:                              ;   in Loop: Header=BB495_103 Depth=1
	s_mov_b64 s[18:19], s[22:23]
                                        ; implicit-def: $vgpr35_vgpr36
                                        ; implicit-def: $vgpr37_vgpr38
	s_branch .LBB495_102
.LBB495_105:
	s_set_inst_prefetch_distance 0x2
	s_or_b32 exec_lo, exec_lo, s34
	v_cmp_gt_i64_e32 vcc_lo, s[22:23], v[39:40]
	s_or_not1_b32 s2, vcc_lo, exec_lo
.LBB495_106:
	s_or_b32 exec_lo, exec_lo, s33
.LBB495_107:
	s_waitcnt lgkmcnt(0)
	v_dual_mov_b32 v36, s5 :: v_dual_mov_b32 v35, s4
	s_mov_b32 s6, exec_lo
	s_barrier
	buffer_gl0_inv
	v_cmpx_ne_u32_e32 0, v0
	s_cbranch_execz .LBB495_109
; %bb.108:
	v_add_nc_u32_e32 v35, -8, v55
	ds_load_b64 v[35:36], v35
.LBB495_109:
	s_or_b32 exec_lo, exec_lo, s6
	v_cndmask_b32_e64 v38, 0, 1, s31
	v_cndmask_b32_e64 v40, 0, 1, s29
	;; [unrolled: 1-line block ×7, first 2 shown]
	v_lshlrev_b16 v38, 8, v38
	v_lshlrev_b16 v40, 8, v40
	;; [unrolled: 1-line block ×4, first 2 shown]
	s_mov_b32 s3, 0
	v_or_b32_e32 v37, v37, v38
	v_or_b32_e32 v38, v39, v40
	;; [unrolled: 1-line block ×3, first 2 shown]
	v_and_b32_e32 v39, 0xffff, v43
	s_and_not1_b32 vcc_lo, exec_lo, s25
	v_lshlrev_b32_e32 v40, 16, v37
	v_and_b32_e32 v42, 0xffff, v38
	v_lshlrev_b32_e32 v43, 16, v44
	s_mov_b32 s2, 0
	s_cbranch_vccnz .LBB495_118
; %bb.110:
	s_waitcnt lgkmcnt(0)
	v_mul_lo_u32 v38, v36, s22
	v_mul_lo_u32 v44, v35, s23
	v_mad_u64_u32 v[36:37], null, v35, s22, 0
	s_mov_b32 s2, -1
	s_mov_b32 s26, exec_lo
	s_delay_alu instid0(VALU_DEP_1) | instskip(NEXT) | instid1(VALU_DEP_1)
	v_add3_u32 v37, v37, v44, v38
	v_lshlrev_b64 v[35:36], 2, v[36:37]
	s_delay_alu instid0(VALU_DEP_1) | instskip(NEXT) | instid1(VALU_DEP_2)
	v_add_co_u32 v35, vcc_lo, s8, v35
	v_add_co_ci_u32_e32 v36, vcc_lo, s9, v36, vcc_lo
	v_add_co_u32 v33, vcc_lo, s8, v33
	v_add_co_ci_u32_e32 v34, vcc_lo, s9, v34, vcc_lo
	s_clause 0x1
	global_load_b32 v37, v[35:36], off
	global_load_b32 v38, v[33:34], off
	s_waitcnt vmcnt(0)
	v_cmpx_eq_u32_e64 v37, v38
	s_cbranch_execz .LBB495_117
; %bb.111:
	v_add_co_u32 v33, vcc_lo, v33, 4
	v_add_co_ci_u32_e32 v34, vcc_lo, 0, v34, vcc_lo
	v_add_co_u32 v35, vcc_lo, v35, 4
	v_add_co_ci_u32_e32 v36, vcc_lo, 0, v36, vcc_lo
	s_add_u32 s6, s22, -1
	s_addc_u32 s7, s23, -1
	s_mov_b64 s[18:19], 0
	s_mov_b32 s27, 0
                                        ; implicit-def: $sgpr29
	s_set_inst_prefetch_distance 0x1
	s_branch .LBB495_114
	.p2align	6
.LBB495_112:                            ;   in Loop: Header=BB495_114 Depth=1
	global_load_b32 v37, v[35:36], off
	global_load_b32 v38, v[33:34], off
	v_add_co_u32 v33, vcc_lo, v33, 4
	v_add_co_ci_u32_e32 v34, vcc_lo, 0, v34, vcc_lo
	v_add_co_u32 v35, s2, v35, 4
	s_delay_alu instid0(VALU_DEP_1)
	v_add_co_ci_u32_e64 v36, s2, 0, v36, s2
	s_add_u32 s18, s18, 1
	s_addc_u32 s19, s19, 0
	s_and_not1_b32 s2, s29, exec_lo
	s_waitcnt vmcnt(0)
	v_cmp_ne_u32_e32 vcc_lo, v37, v38
	s_and_b32 s29, vcc_lo, exec_lo
	s_delay_alu instid0(SALU_CYCLE_1)
	s_or_b32 s29, s2, s29
.LBB495_113:                            ;   in Loop: Header=BB495_114 Depth=1
	v_dual_mov_b32 v38, s19 :: v_dual_mov_b32 v37, s18
	s_and_b32 s2, exec_lo, s29
	s_delay_alu instid0(SALU_CYCLE_1) | instskip(NEXT) | instid1(SALU_CYCLE_1)
	s_or_b32 s27, s2, s27
	s_and_not1_b32 exec_lo, exec_lo, s27
	s_cbranch_execz .LBB495_116
.LBB495_114:                            ; =>This Inner Loop Header: Depth=1
	s_or_b32 s29, s29, exec_lo
	s_cmp_eq_u64 s[6:7], s[18:19]
	s_cbranch_scc0 .LBB495_112
; %bb.115:                              ;   in Loop: Header=BB495_114 Depth=1
	s_mov_b64 s[18:19], s[22:23]
                                        ; implicit-def: $vgpr33_vgpr34
                                        ; implicit-def: $vgpr35_vgpr36
	s_branch .LBB495_113
.LBB495_116:
	s_set_inst_prefetch_distance 0x2
	s_or_b32 exec_lo, exec_lo, s27
	v_cmp_gt_i64_e32 vcc_lo, s[22:23], v[37:38]
	s_or_not1_b32 s2, vcc_lo, exec_lo
.LBB495_117:
	s_or_b32 exec_lo, exec_lo, s26
.LBB495_118:
	v_or_b32_e32 v33, v39, v40
	s_delay_alu instid0(VALU_DEP_2)
	v_or_b32_e32 v34, v42, v43
	s_and_b32 vcc_lo, exec_lo, s3
	s_cbranch_vccz .LBB495_210
.LBB495_119:
	v_or_b32_e32 v33, 7, v55
	s_mov_b32 s3, 0
	s_mov_b32 s26, 0
	s_mov_b32 s27, exec_lo
	s_delay_alu instid0(VALU_DEP_1)
	v_cmpx_gt_u32_e64 s28, v33
	s_cbranch_execz .LBB495_130
; %bb.120:
	s_and_not1_b32 vcc_lo, exec_lo, s25
	s_mov_b32 s2, 0
	s_cbranch_vccnz .LBB495_129
; %bb.121:
	v_mul_lo_u32 v37, v18, s22
	v_mul_lo_u32 v38, v17, s23
	v_mad_u64_u32 v[33:34], null, v17, s22, 0
	v_mul_lo_u32 v39, v20, s22
	v_mul_lo_u32 v40, v19, s23
	s_waitcnt lgkmcnt(0)
	v_mad_u64_u32 v[35:36], null, v19, s22, 0
	s_mov_b32 s2, -1
	s_mov_b32 s25, exec_lo
	s_delay_alu instid0(VALU_DEP_4) | instskip(NEXT) | instid1(VALU_DEP_2)
	v_add3_u32 v34, v34, v38, v37
	v_add3_u32 v36, v36, v40, v39
	s_delay_alu instid0(VALU_DEP_2) | instskip(NEXT) | instid1(VALU_DEP_2)
	v_lshlrev_b64 v[33:34], 2, v[33:34]
	v_lshlrev_b64 v[37:38], 2, v[35:36]
	s_delay_alu instid0(VALU_DEP_2) | instskip(NEXT) | instid1(VALU_DEP_3)
	v_add_co_u32 v35, vcc_lo, s8, v33
	v_add_co_ci_u32_e32 v36, vcc_lo, s9, v34, vcc_lo
	s_delay_alu instid0(VALU_DEP_3) | instskip(NEXT) | instid1(VALU_DEP_4)
	v_add_co_u32 v33, vcc_lo, s8, v37
	v_add_co_ci_u32_e32 v34, vcc_lo, s9, v38, vcc_lo
	s_clause 0x1
	global_load_b32 v37, v[35:36], off
	global_load_b32 v38, v[33:34], off
	s_waitcnt vmcnt(0)
	v_cmpx_eq_u32_e64 v37, v38
	s_cbranch_execz .LBB495_128
; %bb.122:
	v_add_co_u32 v33, vcc_lo, v33, 4
	v_add_co_ci_u32_e32 v34, vcc_lo, 0, v34, vcc_lo
	v_add_co_u32 v35, vcc_lo, v35, 4
	v_add_co_ci_u32_e32 v36, vcc_lo, 0, v36, vcc_lo
	s_add_u32 s6, s22, -1
	s_addc_u32 s7, s23, -1
	s_mov_b64 s[18:19], 0
                                        ; implicit-def: $sgpr29
	s_set_inst_prefetch_distance 0x1
	s_branch .LBB495_125
	.p2align	6
.LBB495_123:                            ;   in Loop: Header=BB495_125 Depth=1
	global_load_b32 v37, v[35:36], off
	global_load_b32 v38, v[33:34], off
	v_add_co_u32 v33, vcc_lo, v33, 4
	v_add_co_ci_u32_e32 v34, vcc_lo, 0, v34, vcc_lo
	v_add_co_u32 v35, s2, v35, 4
	s_delay_alu instid0(VALU_DEP_1)
	v_add_co_ci_u32_e64 v36, s2, 0, v36, s2
	s_add_u32 s18, s18, 1
	s_addc_u32 s19, s19, 0
	s_and_not1_b32 s2, s29, exec_lo
	s_waitcnt vmcnt(0)
	v_cmp_ne_u32_e32 vcc_lo, v37, v38
	s_and_b32 s29, vcc_lo, exec_lo
	s_delay_alu instid0(SALU_CYCLE_1)
	s_or_b32 s29, s2, s29
.LBB495_124:                            ;   in Loop: Header=BB495_125 Depth=1
	v_dual_mov_b32 v38, s19 :: v_dual_mov_b32 v37, s18
	s_and_b32 s2, exec_lo, s29
	s_delay_alu instid0(SALU_CYCLE_1) | instskip(NEXT) | instid1(SALU_CYCLE_1)
	s_or_b32 s26, s2, s26
	s_and_not1_b32 exec_lo, exec_lo, s26
	s_cbranch_execz .LBB495_127
.LBB495_125:                            ; =>This Inner Loop Header: Depth=1
	s_or_b32 s29, s29, exec_lo
	s_cmp_eq_u64 s[6:7], s[18:19]
	s_cbranch_scc0 .LBB495_123
; %bb.126:                              ;   in Loop: Header=BB495_125 Depth=1
	s_mov_b64 s[18:19], s[22:23]
                                        ; implicit-def: $vgpr33_vgpr34
                                        ; implicit-def: $vgpr35_vgpr36
	s_branch .LBB495_124
.LBB495_127:
	s_set_inst_prefetch_distance 0x2
	s_or_b32 exec_lo, exec_lo, s26
	v_cmp_gt_i64_e32 vcc_lo, s[22:23], v[37:38]
	s_or_not1_b32 s2, vcc_lo, exec_lo
.LBB495_128:
	s_or_b32 exec_lo, exec_lo, s25
.LBB495_129:
	s_delay_alu instid0(SALU_CYCLE_1)
	s_and_b32 s26, s2, exec_lo
.LBB495_130:
	s_or_b32 exec_lo, exec_lo, s27
	v_or_b32_e32 v33, 6, v55
	s_mov_b32 s25, exec_lo
	s_delay_alu instid0(VALU_DEP_1)
	v_cmpx_gt_u32_e64 s28, v33
	s_cbranch_execz .LBB495_141
; %bb.131:
	v_cmp_ne_u32_e32 vcc_lo, 1, v41
	s_mov_b32 s2, 0
	s_cbranch_vccnz .LBB495_140
; %bb.132:
	v_mul_lo_u32 v37, v24, s22
	v_mul_lo_u32 v38, v23, s23
	v_mad_u64_u32 v[33:34], null, v23, s22, 0
	v_mul_lo_u32 v39, v18, s22
	v_mul_lo_u32 v40, v17, s23
	s_waitcnt lgkmcnt(0)
	v_mad_u64_u32 v[35:36], null, v17, s22, 0
	s_mov_b32 s2, -1
	s_mov_b32 s3, exec_lo
	s_delay_alu instid0(VALU_DEP_4) | instskip(NEXT) | instid1(VALU_DEP_2)
	v_add3_u32 v34, v34, v38, v37
	v_add3_u32 v36, v36, v40, v39
	s_delay_alu instid0(VALU_DEP_2) | instskip(NEXT) | instid1(VALU_DEP_2)
	v_lshlrev_b64 v[33:34], 2, v[33:34]
	v_lshlrev_b64 v[37:38], 2, v[35:36]
	s_delay_alu instid0(VALU_DEP_2) | instskip(NEXT) | instid1(VALU_DEP_3)
	v_add_co_u32 v35, vcc_lo, s8, v33
	v_add_co_ci_u32_e32 v36, vcc_lo, s9, v34, vcc_lo
	s_delay_alu instid0(VALU_DEP_3) | instskip(NEXT) | instid1(VALU_DEP_4)
	v_add_co_u32 v33, vcc_lo, s8, v37
	v_add_co_ci_u32_e32 v34, vcc_lo, s9, v38, vcc_lo
	s_clause 0x1
	global_load_b32 v37, v[35:36], off
	global_load_b32 v38, v[33:34], off
	s_waitcnt vmcnt(0)
	v_cmpx_eq_u32_e64 v37, v38
	s_cbranch_execz .LBB495_139
; %bb.133:
	v_add_co_u32 v33, vcc_lo, v33, 4
	v_add_co_ci_u32_e32 v34, vcc_lo, 0, v34, vcc_lo
	v_add_co_u32 v35, vcc_lo, v35, 4
	v_add_co_ci_u32_e32 v36, vcc_lo, 0, v36, vcc_lo
	s_add_u32 s6, s22, -1
	s_addc_u32 s7, s23, -1
	s_mov_b64 s[18:19], 0
	s_mov_b32 s27, 0
                                        ; implicit-def: $sgpr29
	s_set_inst_prefetch_distance 0x1
	s_branch .LBB495_136
	.p2align	6
.LBB495_134:                            ;   in Loop: Header=BB495_136 Depth=1
	global_load_b32 v37, v[35:36], off
	global_load_b32 v38, v[33:34], off
	v_add_co_u32 v33, vcc_lo, v33, 4
	v_add_co_ci_u32_e32 v34, vcc_lo, 0, v34, vcc_lo
	v_add_co_u32 v35, s2, v35, 4
	s_delay_alu instid0(VALU_DEP_1)
	v_add_co_ci_u32_e64 v36, s2, 0, v36, s2
	s_add_u32 s18, s18, 1
	s_addc_u32 s19, s19, 0
	s_and_not1_b32 s2, s29, exec_lo
	s_waitcnt vmcnt(0)
	v_cmp_ne_u32_e32 vcc_lo, v37, v38
	s_and_b32 s29, vcc_lo, exec_lo
	s_delay_alu instid0(SALU_CYCLE_1)
	s_or_b32 s29, s2, s29
.LBB495_135:                            ;   in Loop: Header=BB495_136 Depth=1
	v_dual_mov_b32 v38, s19 :: v_dual_mov_b32 v37, s18
	s_and_b32 s2, exec_lo, s29
	s_delay_alu instid0(SALU_CYCLE_1) | instskip(NEXT) | instid1(SALU_CYCLE_1)
	s_or_b32 s27, s2, s27
	s_and_not1_b32 exec_lo, exec_lo, s27
	s_cbranch_execz .LBB495_138
.LBB495_136:                            ; =>This Inner Loop Header: Depth=1
	s_or_b32 s29, s29, exec_lo
	s_cmp_eq_u64 s[6:7], s[18:19]
	s_cbranch_scc0 .LBB495_134
; %bb.137:                              ;   in Loop: Header=BB495_136 Depth=1
	s_mov_b64 s[18:19], s[22:23]
                                        ; implicit-def: $vgpr33_vgpr34
                                        ; implicit-def: $vgpr35_vgpr36
	s_branch .LBB495_135
.LBB495_138:
	s_set_inst_prefetch_distance 0x2
	s_or_b32 exec_lo, exec_lo, s27
	v_cmp_gt_i64_e32 vcc_lo, s[22:23], v[37:38]
	s_or_not1_b32 s2, vcc_lo, exec_lo
.LBB495_139:
	s_or_b32 exec_lo, exec_lo, s3
.LBB495_140:
	s_delay_alu instid0(SALU_CYCLE_1)
	s_and_b32 s3, s2, exec_lo
.LBB495_141:
	s_or_b32 exec_lo, exec_lo, s25
	v_or_b32_e32 v33, 5, v55
	s_mov_b32 s27, 0
	s_mov_b32 s25, 0
	s_mov_b32 s29, exec_lo
	s_delay_alu instid0(VALU_DEP_1)
	v_cmpx_gt_u32_e64 s28, v33
	s_cbranch_execz .LBB495_152
; %bb.142:
	v_cmp_ne_u32_e32 vcc_lo, 1, v41
	s_mov_b32 s2, 0
	s_cbranch_vccnz .LBB495_151
; %bb.143:
	v_mul_lo_u32 v37, v22, s22
	v_mul_lo_u32 v38, v21, s23
	v_mad_u64_u32 v[33:34], null, v21, s22, 0
	v_mul_lo_u32 v39, v24, s22
	v_mul_lo_u32 v40, v23, s23
	s_waitcnt lgkmcnt(0)
	v_mad_u64_u32 v[35:36], null, v23, s22, 0
	s_mov_b32 s2, -1
	s_mov_b32 s25, exec_lo
	s_delay_alu instid0(VALU_DEP_4) | instskip(NEXT) | instid1(VALU_DEP_2)
	v_add3_u32 v34, v34, v38, v37
	v_add3_u32 v36, v36, v40, v39
	s_delay_alu instid0(VALU_DEP_2) | instskip(NEXT) | instid1(VALU_DEP_2)
	v_lshlrev_b64 v[33:34], 2, v[33:34]
	v_lshlrev_b64 v[37:38], 2, v[35:36]
	s_delay_alu instid0(VALU_DEP_2) | instskip(NEXT) | instid1(VALU_DEP_3)
	v_add_co_u32 v35, vcc_lo, s8, v33
	v_add_co_ci_u32_e32 v36, vcc_lo, s9, v34, vcc_lo
	s_delay_alu instid0(VALU_DEP_3) | instskip(NEXT) | instid1(VALU_DEP_4)
	v_add_co_u32 v33, vcc_lo, s8, v37
	v_add_co_ci_u32_e32 v34, vcc_lo, s9, v38, vcc_lo
	s_clause 0x1
	global_load_b32 v37, v[35:36], off
	global_load_b32 v38, v[33:34], off
	s_waitcnt vmcnt(0)
	v_cmpx_eq_u32_e64 v37, v38
	s_cbranch_execz .LBB495_150
; %bb.144:
	v_add_co_u32 v33, vcc_lo, v33, 4
	v_add_co_ci_u32_e32 v34, vcc_lo, 0, v34, vcc_lo
	v_add_co_u32 v35, vcc_lo, v35, 4
	v_add_co_ci_u32_e32 v36, vcc_lo, 0, v36, vcc_lo
	s_add_u32 s6, s22, -1
	s_addc_u32 s7, s23, -1
	s_mov_b64 s[18:19], 0
	s_mov_b32 s30, 0
                                        ; implicit-def: $sgpr31
	s_set_inst_prefetch_distance 0x1
	s_branch .LBB495_147
	.p2align	6
.LBB495_145:                            ;   in Loop: Header=BB495_147 Depth=1
	global_load_b32 v37, v[35:36], off
	global_load_b32 v38, v[33:34], off
	v_add_co_u32 v33, vcc_lo, v33, 4
	v_add_co_ci_u32_e32 v34, vcc_lo, 0, v34, vcc_lo
	v_add_co_u32 v35, s2, v35, 4
	s_delay_alu instid0(VALU_DEP_1)
	v_add_co_ci_u32_e64 v36, s2, 0, v36, s2
	s_add_u32 s18, s18, 1
	s_addc_u32 s19, s19, 0
	s_and_not1_b32 s2, s31, exec_lo
	s_waitcnt vmcnt(0)
	v_cmp_ne_u32_e32 vcc_lo, v37, v38
	s_and_b32 s31, vcc_lo, exec_lo
	s_delay_alu instid0(SALU_CYCLE_1)
	s_or_b32 s31, s2, s31
.LBB495_146:                            ;   in Loop: Header=BB495_147 Depth=1
	v_dual_mov_b32 v38, s19 :: v_dual_mov_b32 v37, s18
	s_and_b32 s2, exec_lo, s31
	s_delay_alu instid0(SALU_CYCLE_1) | instskip(NEXT) | instid1(SALU_CYCLE_1)
	s_or_b32 s30, s2, s30
	s_and_not1_b32 exec_lo, exec_lo, s30
	s_cbranch_execz .LBB495_149
.LBB495_147:                            ; =>This Inner Loop Header: Depth=1
	s_or_b32 s31, s31, exec_lo
	s_cmp_eq_u64 s[6:7], s[18:19]
	s_cbranch_scc0 .LBB495_145
; %bb.148:                              ;   in Loop: Header=BB495_147 Depth=1
	s_mov_b64 s[18:19], s[22:23]
                                        ; implicit-def: $vgpr33_vgpr34
                                        ; implicit-def: $vgpr35_vgpr36
	s_branch .LBB495_146
.LBB495_149:
	s_set_inst_prefetch_distance 0x2
	s_or_b32 exec_lo, exec_lo, s30
	v_cmp_gt_i64_e32 vcc_lo, s[22:23], v[37:38]
	s_or_not1_b32 s2, vcc_lo, exec_lo
.LBB495_150:
	s_or_b32 exec_lo, exec_lo, s25
.LBB495_151:
	s_delay_alu instid0(SALU_CYCLE_1)
	s_and_b32 s25, s2, exec_lo
.LBB495_152:
	s_or_b32 exec_lo, exec_lo, s29
	v_or_b32_e32 v33, 4, v55
	s_mov_b32 s29, exec_lo
	s_delay_alu instid0(VALU_DEP_1)
	v_cmpx_gt_u32_e64 s28, v33
	s_cbranch_execz .LBB495_163
; %bb.153:
	v_cmp_ne_u32_e32 vcc_lo, 1, v41
	s_mov_b32 s2, 0
	s_cbranch_vccnz .LBB495_162
; %bb.154:
	v_mul_lo_u32 v37, v28, s22
	v_mul_lo_u32 v38, v27, s23
	v_mad_u64_u32 v[33:34], null, v27, s22, 0
	v_mul_lo_u32 v39, v22, s22
	v_mul_lo_u32 v40, v21, s23
	s_waitcnt lgkmcnt(0)
	v_mad_u64_u32 v[35:36], null, v21, s22, 0
	s_mov_b32 s2, -1
	s_mov_b32 s27, exec_lo
	s_delay_alu instid0(VALU_DEP_4) | instskip(NEXT) | instid1(VALU_DEP_2)
	v_add3_u32 v34, v34, v38, v37
	v_add3_u32 v36, v36, v40, v39
	s_delay_alu instid0(VALU_DEP_2) | instskip(NEXT) | instid1(VALU_DEP_2)
	v_lshlrev_b64 v[33:34], 2, v[33:34]
	v_lshlrev_b64 v[37:38], 2, v[35:36]
	s_delay_alu instid0(VALU_DEP_2) | instskip(NEXT) | instid1(VALU_DEP_3)
	v_add_co_u32 v35, vcc_lo, s8, v33
	v_add_co_ci_u32_e32 v36, vcc_lo, s9, v34, vcc_lo
	s_delay_alu instid0(VALU_DEP_3) | instskip(NEXT) | instid1(VALU_DEP_4)
	v_add_co_u32 v33, vcc_lo, s8, v37
	v_add_co_ci_u32_e32 v34, vcc_lo, s9, v38, vcc_lo
	s_clause 0x1
	global_load_b32 v37, v[35:36], off
	global_load_b32 v38, v[33:34], off
	s_waitcnt vmcnt(0)
	v_cmpx_eq_u32_e64 v37, v38
	s_cbranch_execz .LBB495_161
; %bb.155:
	v_add_co_u32 v33, vcc_lo, v33, 4
	v_add_co_ci_u32_e32 v34, vcc_lo, 0, v34, vcc_lo
	v_add_co_u32 v35, vcc_lo, v35, 4
	v_add_co_ci_u32_e32 v36, vcc_lo, 0, v36, vcc_lo
	s_add_u32 s6, s22, -1
	s_addc_u32 s7, s23, -1
	s_mov_b64 s[18:19], 0
	s_mov_b32 s30, 0
                                        ; implicit-def: $sgpr31
	s_set_inst_prefetch_distance 0x1
	s_branch .LBB495_158
	.p2align	6
.LBB495_156:                            ;   in Loop: Header=BB495_158 Depth=1
	global_load_b32 v37, v[35:36], off
	global_load_b32 v38, v[33:34], off
	v_add_co_u32 v33, vcc_lo, v33, 4
	v_add_co_ci_u32_e32 v34, vcc_lo, 0, v34, vcc_lo
	v_add_co_u32 v35, s2, v35, 4
	s_delay_alu instid0(VALU_DEP_1)
	v_add_co_ci_u32_e64 v36, s2, 0, v36, s2
	s_add_u32 s18, s18, 1
	s_addc_u32 s19, s19, 0
	s_and_not1_b32 s2, s31, exec_lo
	s_waitcnt vmcnt(0)
	v_cmp_ne_u32_e32 vcc_lo, v37, v38
	s_and_b32 s31, vcc_lo, exec_lo
	s_delay_alu instid0(SALU_CYCLE_1)
	s_or_b32 s31, s2, s31
.LBB495_157:                            ;   in Loop: Header=BB495_158 Depth=1
	v_dual_mov_b32 v38, s19 :: v_dual_mov_b32 v37, s18
	s_and_b32 s2, exec_lo, s31
	s_delay_alu instid0(SALU_CYCLE_1) | instskip(NEXT) | instid1(SALU_CYCLE_1)
	s_or_b32 s30, s2, s30
	s_and_not1_b32 exec_lo, exec_lo, s30
	s_cbranch_execz .LBB495_160
.LBB495_158:                            ; =>This Inner Loop Header: Depth=1
	s_or_b32 s31, s31, exec_lo
	s_cmp_eq_u64 s[6:7], s[18:19]
	s_cbranch_scc0 .LBB495_156
; %bb.159:                              ;   in Loop: Header=BB495_158 Depth=1
	s_mov_b64 s[18:19], s[22:23]
                                        ; implicit-def: $vgpr33_vgpr34
                                        ; implicit-def: $vgpr35_vgpr36
	s_branch .LBB495_157
.LBB495_160:
	s_set_inst_prefetch_distance 0x2
	s_or_b32 exec_lo, exec_lo, s30
	v_cmp_gt_i64_e32 vcc_lo, s[22:23], v[37:38]
	s_or_not1_b32 s2, vcc_lo, exec_lo
.LBB495_161:
	s_or_b32 exec_lo, exec_lo, s27
.LBB495_162:
	s_delay_alu instid0(SALU_CYCLE_1)
	s_and_b32 s27, s2, exec_lo
.LBB495_163:
	s_or_b32 exec_lo, exec_lo, s29
	v_or_b32_e32 v33, 3, v55
	s_mov_b32 s30, 0
	s_mov_b32 s29, 0
	s_mov_b32 s31, exec_lo
	s_delay_alu instid0(VALU_DEP_1)
	v_cmpx_gt_u32_e64 s28, v33
	s_cbranch_execz .LBB495_174
; %bb.164:
	v_cmp_ne_u32_e32 vcc_lo, 1, v41
	s_mov_b32 s2, 0
	s_cbranch_vccnz .LBB495_173
; %bb.165:
	v_mul_lo_u32 v37, v26, s22
	v_mul_lo_u32 v38, v25, s23
	v_mad_u64_u32 v[33:34], null, v25, s22, 0
	v_mul_lo_u32 v39, v28, s22
	v_mul_lo_u32 v40, v27, s23
	s_waitcnt lgkmcnt(0)
	v_mad_u64_u32 v[35:36], null, v27, s22, 0
	s_mov_b32 s2, -1
	s_mov_b32 s29, exec_lo
	s_delay_alu instid0(VALU_DEP_4) | instskip(NEXT) | instid1(VALU_DEP_2)
	v_add3_u32 v34, v34, v38, v37
	v_add3_u32 v36, v36, v40, v39
	s_delay_alu instid0(VALU_DEP_2) | instskip(NEXT) | instid1(VALU_DEP_2)
	v_lshlrev_b64 v[33:34], 2, v[33:34]
	v_lshlrev_b64 v[37:38], 2, v[35:36]
	s_delay_alu instid0(VALU_DEP_2) | instskip(NEXT) | instid1(VALU_DEP_3)
	v_add_co_u32 v35, vcc_lo, s8, v33
	v_add_co_ci_u32_e32 v36, vcc_lo, s9, v34, vcc_lo
	s_delay_alu instid0(VALU_DEP_3) | instskip(NEXT) | instid1(VALU_DEP_4)
	v_add_co_u32 v33, vcc_lo, s8, v37
	v_add_co_ci_u32_e32 v34, vcc_lo, s9, v38, vcc_lo
	s_clause 0x1
	global_load_b32 v37, v[35:36], off
	global_load_b32 v38, v[33:34], off
	s_waitcnt vmcnt(0)
	v_cmpx_eq_u32_e64 v37, v38
	s_cbranch_execz .LBB495_172
; %bb.166:
	v_add_co_u32 v33, vcc_lo, v33, 4
	v_add_co_ci_u32_e32 v34, vcc_lo, 0, v34, vcc_lo
	v_add_co_u32 v35, vcc_lo, v35, 4
	v_add_co_ci_u32_e32 v36, vcc_lo, 0, v36, vcc_lo
	s_add_u32 s6, s22, -1
	s_addc_u32 s7, s23, -1
	s_mov_b64 s[18:19], 0
	s_mov_b32 s33, 0
                                        ; implicit-def: $sgpr34
	s_set_inst_prefetch_distance 0x1
	s_branch .LBB495_169
	.p2align	6
.LBB495_167:                            ;   in Loop: Header=BB495_169 Depth=1
	global_load_b32 v37, v[35:36], off
	global_load_b32 v38, v[33:34], off
	v_add_co_u32 v33, vcc_lo, v33, 4
	v_add_co_ci_u32_e32 v34, vcc_lo, 0, v34, vcc_lo
	v_add_co_u32 v35, s2, v35, 4
	s_delay_alu instid0(VALU_DEP_1)
	v_add_co_ci_u32_e64 v36, s2, 0, v36, s2
	s_add_u32 s18, s18, 1
	s_addc_u32 s19, s19, 0
	s_and_not1_b32 s2, s34, exec_lo
	s_waitcnt vmcnt(0)
	v_cmp_ne_u32_e32 vcc_lo, v37, v38
	s_and_b32 s34, vcc_lo, exec_lo
	s_delay_alu instid0(SALU_CYCLE_1)
	s_or_b32 s34, s2, s34
.LBB495_168:                            ;   in Loop: Header=BB495_169 Depth=1
	v_dual_mov_b32 v38, s19 :: v_dual_mov_b32 v37, s18
	s_and_b32 s2, exec_lo, s34
	s_delay_alu instid0(SALU_CYCLE_1) | instskip(NEXT) | instid1(SALU_CYCLE_1)
	s_or_b32 s33, s2, s33
	s_and_not1_b32 exec_lo, exec_lo, s33
	s_cbranch_execz .LBB495_171
.LBB495_169:                            ; =>This Inner Loop Header: Depth=1
	s_or_b32 s34, s34, exec_lo
	s_cmp_eq_u64 s[6:7], s[18:19]
	s_cbranch_scc0 .LBB495_167
; %bb.170:                              ;   in Loop: Header=BB495_169 Depth=1
	s_mov_b64 s[18:19], s[22:23]
                                        ; implicit-def: $vgpr33_vgpr34
                                        ; implicit-def: $vgpr35_vgpr36
	s_branch .LBB495_168
.LBB495_171:
	s_set_inst_prefetch_distance 0x2
	s_or_b32 exec_lo, exec_lo, s33
	v_cmp_gt_i64_e32 vcc_lo, s[22:23], v[37:38]
	s_or_not1_b32 s2, vcc_lo, exec_lo
.LBB495_172:
	s_or_b32 exec_lo, exec_lo, s29
.LBB495_173:
	s_delay_alu instid0(SALU_CYCLE_1)
	s_and_b32 s29, s2, exec_lo
.LBB495_174:
	s_or_b32 exec_lo, exec_lo, s31
	v_or_b32_e32 v33, 2, v55
	s_mov_b32 s31, exec_lo
	s_delay_alu instid0(VALU_DEP_1)
	v_cmpx_gt_u32_e64 s28, v33
	s_cbranch_execz .LBB495_185
; %bb.175:
	v_cmp_ne_u32_e32 vcc_lo, 1, v41
	s_mov_b32 s2, 0
	s_cbranch_vccnz .LBB495_184
; %bb.176:
	v_mul_lo_u32 v37, v32, s22
	v_mul_lo_u32 v38, v31, s23
	v_mad_u64_u32 v[33:34], null, v31, s22, 0
	v_mul_lo_u32 v39, v26, s22
	v_mul_lo_u32 v40, v25, s23
	s_waitcnt lgkmcnt(0)
	v_mad_u64_u32 v[35:36], null, v25, s22, 0
	s_mov_b32 s2, -1
	s_mov_b32 s30, exec_lo
	s_delay_alu instid0(VALU_DEP_4) | instskip(NEXT) | instid1(VALU_DEP_2)
	v_add3_u32 v34, v34, v38, v37
	v_add3_u32 v36, v36, v40, v39
	s_delay_alu instid0(VALU_DEP_2) | instskip(NEXT) | instid1(VALU_DEP_2)
	v_lshlrev_b64 v[33:34], 2, v[33:34]
	v_lshlrev_b64 v[37:38], 2, v[35:36]
	s_delay_alu instid0(VALU_DEP_2) | instskip(NEXT) | instid1(VALU_DEP_3)
	v_add_co_u32 v35, vcc_lo, s8, v33
	v_add_co_ci_u32_e32 v36, vcc_lo, s9, v34, vcc_lo
	s_delay_alu instid0(VALU_DEP_3) | instskip(NEXT) | instid1(VALU_DEP_4)
	v_add_co_u32 v33, vcc_lo, s8, v37
	v_add_co_ci_u32_e32 v34, vcc_lo, s9, v38, vcc_lo
	s_clause 0x1
	global_load_b32 v37, v[35:36], off
	global_load_b32 v38, v[33:34], off
	s_waitcnt vmcnt(0)
	v_cmpx_eq_u32_e64 v37, v38
	s_cbranch_execz .LBB495_183
; %bb.177:
	v_add_co_u32 v33, vcc_lo, v33, 4
	v_add_co_ci_u32_e32 v34, vcc_lo, 0, v34, vcc_lo
	v_add_co_u32 v35, vcc_lo, v35, 4
	v_add_co_ci_u32_e32 v36, vcc_lo, 0, v36, vcc_lo
	s_add_u32 s6, s22, -1
	s_addc_u32 s7, s23, -1
	s_mov_b64 s[18:19], 0
	s_mov_b32 s33, 0
                                        ; implicit-def: $sgpr34
	s_set_inst_prefetch_distance 0x1
	s_branch .LBB495_180
	.p2align	6
.LBB495_178:                            ;   in Loop: Header=BB495_180 Depth=1
	global_load_b32 v37, v[35:36], off
	global_load_b32 v38, v[33:34], off
	v_add_co_u32 v33, vcc_lo, v33, 4
	v_add_co_ci_u32_e32 v34, vcc_lo, 0, v34, vcc_lo
	v_add_co_u32 v35, s2, v35, 4
	s_delay_alu instid0(VALU_DEP_1)
	v_add_co_ci_u32_e64 v36, s2, 0, v36, s2
	s_add_u32 s18, s18, 1
	s_addc_u32 s19, s19, 0
	s_and_not1_b32 s2, s34, exec_lo
	s_waitcnt vmcnt(0)
	v_cmp_ne_u32_e32 vcc_lo, v37, v38
	s_and_b32 s34, vcc_lo, exec_lo
	s_delay_alu instid0(SALU_CYCLE_1)
	s_or_b32 s34, s2, s34
.LBB495_179:                            ;   in Loop: Header=BB495_180 Depth=1
	v_dual_mov_b32 v38, s19 :: v_dual_mov_b32 v37, s18
	s_and_b32 s2, exec_lo, s34
	s_delay_alu instid0(SALU_CYCLE_1) | instskip(NEXT) | instid1(SALU_CYCLE_1)
	s_or_b32 s33, s2, s33
	s_and_not1_b32 exec_lo, exec_lo, s33
	s_cbranch_execz .LBB495_182
.LBB495_180:                            ; =>This Inner Loop Header: Depth=1
	s_or_b32 s34, s34, exec_lo
	s_cmp_eq_u64 s[6:7], s[18:19]
	s_cbranch_scc0 .LBB495_178
; %bb.181:                              ;   in Loop: Header=BB495_180 Depth=1
	s_mov_b64 s[18:19], s[22:23]
                                        ; implicit-def: $vgpr33_vgpr34
                                        ; implicit-def: $vgpr35_vgpr36
	s_branch .LBB495_179
.LBB495_182:
	s_set_inst_prefetch_distance 0x2
	s_or_b32 exec_lo, exec_lo, s33
	v_cmp_gt_i64_e32 vcc_lo, s[22:23], v[37:38]
	s_or_not1_b32 s2, vcc_lo, exec_lo
.LBB495_183:
	s_or_b32 exec_lo, exec_lo, s30
.LBB495_184:
	s_delay_alu instid0(SALU_CYCLE_1)
	s_and_b32 s30, s2, exec_lo
.LBB495_185:
	s_or_b32 exec_lo, exec_lo, s31
	v_or_b32_e32 v33, 1, v55
	s_mov_b32 s2, 0
	s_mov_b32 s31, exec_lo
	s_delay_alu instid0(VALU_DEP_1)
	v_cmpx_gt_u32_e64 s28, v33
	s_cbranch_execz .LBB495_196
; %bb.186:
	v_cmp_ne_u32_e32 vcc_lo, 1, v41
	s_cbranch_vccnz .LBB495_195
; %bb.187:
	v_mul_lo_u32 v37, v30, s22
	v_mul_lo_u32 v38, v29, s23
	v_mad_u64_u32 v[33:34], null, v29, s22, 0
	v_mul_lo_u32 v39, v32, s22
	v_mul_lo_u32 v40, v31, s23
	s_waitcnt lgkmcnt(0)
	v_mad_u64_u32 v[35:36], null, v31, s22, 0
	s_mov_b32 s2, -1
	s_mov_b32 s33, exec_lo
	s_delay_alu instid0(VALU_DEP_4) | instskip(NEXT) | instid1(VALU_DEP_2)
	v_add3_u32 v34, v34, v38, v37
	v_add3_u32 v36, v36, v40, v39
	s_delay_alu instid0(VALU_DEP_2) | instskip(NEXT) | instid1(VALU_DEP_2)
	v_lshlrev_b64 v[33:34], 2, v[33:34]
	v_lshlrev_b64 v[37:38], 2, v[35:36]
	s_delay_alu instid0(VALU_DEP_2) | instskip(NEXT) | instid1(VALU_DEP_3)
	v_add_co_u32 v35, vcc_lo, s8, v33
	v_add_co_ci_u32_e32 v36, vcc_lo, s9, v34, vcc_lo
	s_delay_alu instid0(VALU_DEP_3) | instskip(NEXT) | instid1(VALU_DEP_4)
	v_add_co_u32 v33, vcc_lo, s8, v37
	v_add_co_ci_u32_e32 v34, vcc_lo, s9, v38, vcc_lo
	s_clause 0x1
	global_load_b32 v37, v[35:36], off
	global_load_b32 v38, v[33:34], off
	s_waitcnt vmcnt(0)
	v_cmpx_eq_u32_e64 v37, v38
	s_cbranch_execz .LBB495_194
; %bb.188:
	v_add_co_u32 v33, vcc_lo, v33, 4
	v_add_co_ci_u32_e32 v34, vcc_lo, 0, v34, vcc_lo
	v_add_co_u32 v35, vcc_lo, v35, 4
	v_add_co_ci_u32_e32 v36, vcc_lo, 0, v36, vcc_lo
	s_add_u32 s6, s22, -1
	s_addc_u32 s7, s23, -1
	s_mov_b64 s[18:19], 0
	s_mov_b32 s34, 0
                                        ; implicit-def: $sgpr35
	s_set_inst_prefetch_distance 0x1
	s_branch .LBB495_191
	.p2align	6
.LBB495_189:                            ;   in Loop: Header=BB495_191 Depth=1
	global_load_b32 v37, v[35:36], off
	global_load_b32 v38, v[33:34], off
	v_add_co_u32 v33, vcc_lo, v33, 4
	v_add_co_ci_u32_e32 v34, vcc_lo, 0, v34, vcc_lo
	v_add_co_u32 v35, s2, v35, 4
	s_delay_alu instid0(VALU_DEP_1)
	v_add_co_ci_u32_e64 v36, s2, 0, v36, s2
	s_add_u32 s18, s18, 1
	s_addc_u32 s19, s19, 0
	s_and_not1_b32 s2, s35, exec_lo
	s_waitcnt vmcnt(0)
	v_cmp_ne_u32_e32 vcc_lo, v37, v38
	s_and_b32 s35, vcc_lo, exec_lo
	s_delay_alu instid0(SALU_CYCLE_1)
	s_or_b32 s35, s2, s35
.LBB495_190:                            ;   in Loop: Header=BB495_191 Depth=1
	v_dual_mov_b32 v38, s19 :: v_dual_mov_b32 v37, s18
	s_and_b32 s2, exec_lo, s35
	s_delay_alu instid0(SALU_CYCLE_1) | instskip(NEXT) | instid1(SALU_CYCLE_1)
	s_or_b32 s34, s2, s34
	s_and_not1_b32 exec_lo, exec_lo, s34
	s_cbranch_execz .LBB495_193
.LBB495_191:                            ; =>This Inner Loop Header: Depth=1
	s_or_b32 s35, s35, exec_lo
	s_cmp_eq_u64 s[6:7], s[18:19]
	s_cbranch_scc0 .LBB495_189
; %bb.192:                              ;   in Loop: Header=BB495_191 Depth=1
	s_mov_b64 s[18:19], s[22:23]
                                        ; implicit-def: $vgpr33_vgpr34
                                        ; implicit-def: $vgpr35_vgpr36
	s_branch .LBB495_190
.LBB495_193:
	s_set_inst_prefetch_distance 0x2
	s_or_b32 exec_lo, exec_lo, s34
	v_cmp_gt_i64_e32 vcc_lo, s[22:23], v[37:38]
	s_or_not1_b32 s2, vcc_lo, exec_lo
.LBB495_194:
	s_or_b32 exec_lo, exec_lo, s33
.LBB495_195:
	s_delay_alu instid0(SALU_CYCLE_1)
	s_and_b32 s2, s2, exec_lo
.LBB495_196:
	s_or_b32 exec_lo, exec_lo, s31
	s_waitcnt lgkmcnt(0)
	v_dual_mov_b32 v34, s5 :: v_dual_mov_b32 v33, s4
	s_mov_b32 s4, exec_lo
	s_barrier
	buffer_gl0_inv
	v_cmpx_ne_u32_e32 0, v0
	s_cbranch_execz .LBB495_198
; %bb.197:
	v_add_nc_u32_e32 v33, -8, v55
	ds_load_b64 v[33:34], v33
.LBB495_198:
	s_or_b32 exec_lo, exec_lo, s4
	v_cndmask_b32_e64 v36, 0, 1, s29
	v_cndmask_b32_e64 v38, 0, 1, s25
	v_cndmask_b32_e64 v39, 0, 1, s26
	v_cndmask_b32_e64 v35, 0, 1, s30
	v_cndmask_b32_e64 v37, 0, 1, s27
	v_cndmask_b32_e64 v40, 0, 1, s3
	v_cndmask_b32_e64 v42, 0, 1, s2
	v_lshlrev_b16 v36, 8, v36
	v_lshlrev_b16 v38, 8, v38
	;; [unrolled: 1-line block ×3, first 2 shown]
	s_mov_b32 s2, 0
	v_lshlrev_b16 v42, 8, v42
	v_or_b32_e32 v35, v35, v36
	v_or_b32_e32 v36, v37, v38
	;; [unrolled: 1-line block ×3, first 2 shown]
	s_mov_b32 s3, exec_lo
	v_and_b32_e32 v39, 0xffff, v42
	v_lshlrev_b32_e32 v40, 16, v35
	v_and_b32_e32 v42, 0xffff, v36
	v_lshlrev_b32_e32 v43, 16, v37
	v_cmpx_gt_u32_e64 s28, v55
	s_cbranch_execz .LBB495_209
; %bb.199:
	v_cmp_ne_u32_e32 vcc_lo, 1, v41
	s_cbranch_vccnz .LBB495_208
; %bb.200:
	s_waitcnt lgkmcnt(0)
	v_mul_lo_u32 v38, v34, s22
	v_mul_lo_u32 v41, v33, s23
	v_mad_u64_u32 v[34:35], null, v33, s22, 0
	v_mul_lo_u32 v33, v30, s22
	v_mul_lo_u32 v44, v29, s23
	v_mad_u64_u32 v[36:37], null, v29, s22, 0
	s_mov_b32 s2, -1
	s_mov_b32 s18, exec_lo
	s_delay_alu instid0(VALU_DEP_4) | instskip(NEXT) | instid1(VALU_DEP_2)
	v_add3_u32 v35, v35, v41, v38
	v_add3_u32 v37, v37, v44, v33
	s_delay_alu instid0(VALU_DEP_2) | instskip(NEXT) | instid1(VALU_DEP_2)
	v_lshlrev_b64 v[33:34], 2, v[34:35]
	v_lshlrev_b64 v[37:38], 2, v[36:37]
	s_delay_alu instid0(VALU_DEP_2) | instskip(NEXT) | instid1(VALU_DEP_3)
	v_add_co_u32 v35, vcc_lo, s8, v33
	v_add_co_ci_u32_e32 v36, vcc_lo, s9, v34, vcc_lo
	s_delay_alu instid0(VALU_DEP_3) | instskip(NEXT) | instid1(VALU_DEP_4)
	v_add_co_u32 v33, vcc_lo, s8, v37
	v_add_co_ci_u32_e32 v34, vcc_lo, s9, v38, vcc_lo
	s_clause 0x1
	global_load_b32 v37, v[35:36], off
	global_load_b32 v38, v[33:34], off
	s_waitcnt vmcnt(0)
	v_cmpx_eq_u32_e64 v37, v38
	s_cbranch_execz .LBB495_207
; %bb.201:
	v_add_co_u32 v33, vcc_lo, v33, 4
	v_add_co_ci_u32_e32 v34, vcc_lo, 0, v34, vcc_lo
	v_add_co_u32 v35, vcc_lo, v35, 4
	v_add_co_ci_u32_e32 v36, vcc_lo, 0, v36, vcc_lo
	s_add_u32 s4, s22, -1
	s_addc_u32 s5, s23, -1
	s_mov_b64 s[6:7], 0
	s_mov_b32 s19, 0
                                        ; implicit-def: $sgpr25
	s_set_inst_prefetch_distance 0x1
	s_branch .LBB495_204
	.p2align	6
.LBB495_202:                            ;   in Loop: Header=BB495_204 Depth=1
	global_load_b32 v37, v[35:36], off
	global_load_b32 v38, v[33:34], off
	v_add_co_u32 v33, vcc_lo, v33, 4
	v_add_co_ci_u32_e32 v34, vcc_lo, 0, v34, vcc_lo
	v_add_co_u32 v35, s2, v35, 4
	s_delay_alu instid0(VALU_DEP_1)
	v_add_co_ci_u32_e64 v36, s2, 0, v36, s2
	s_add_u32 s6, s6, 1
	s_addc_u32 s7, s7, 0
	s_and_not1_b32 s2, s25, exec_lo
	s_waitcnt vmcnt(0)
	v_cmp_ne_u32_e32 vcc_lo, v37, v38
	s_and_b32 s25, vcc_lo, exec_lo
	s_delay_alu instid0(SALU_CYCLE_1)
	s_or_b32 s25, s2, s25
.LBB495_203:                            ;   in Loop: Header=BB495_204 Depth=1
	v_dual_mov_b32 v38, s7 :: v_dual_mov_b32 v37, s6
	s_and_b32 s2, exec_lo, s25
	s_delay_alu instid0(SALU_CYCLE_1) | instskip(NEXT) | instid1(SALU_CYCLE_1)
	s_or_b32 s19, s2, s19
	s_and_not1_b32 exec_lo, exec_lo, s19
	s_cbranch_execz .LBB495_206
.LBB495_204:                            ; =>This Inner Loop Header: Depth=1
	s_or_b32 s25, s25, exec_lo
	s_cmp_eq_u64 s[4:5], s[6:7]
	s_cbranch_scc0 .LBB495_202
; %bb.205:                              ;   in Loop: Header=BB495_204 Depth=1
	s_mov_b64 s[6:7], s[22:23]
                                        ; implicit-def: $vgpr33_vgpr34
                                        ; implicit-def: $vgpr35_vgpr36
	s_branch .LBB495_203
.LBB495_206:
	s_set_inst_prefetch_distance 0x2
	s_or_b32 exec_lo, exec_lo, s19
	v_cmp_gt_i64_e32 vcc_lo, s[22:23], v[37:38]
	s_or_not1_b32 s2, vcc_lo, exec_lo
.LBB495_207:
	s_or_b32 exec_lo, exec_lo, s18
.LBB495_208:
	s_delay_alu instid0(SALU_CYCLE_1)
	s_and_b32 s2, s2, exec_lo
.LBB495_209:
	s_or_b32 exec_lo, exec_lo, s3
	s_waitcnt lgkmcnt(0)
	v_or_b32_e32 v33, v39, v40
	v_or_b32_e32 v34, v42, v43
.LBB495_210:
	s_waitcnt lgkmcnt(0)
	s_mov_b32 s3, -1
	s_cbranch_execnz .LBB495_379
.LBB495_211:
	v_cmp_gt_i64_e64 s18, s[22:23], 0
	s_and_b32 vcc_lo, exec_lo, s20
	ds_store_b64 v55, v[19:20]
	s_cbranch_vccz .LBB495_219
; %bb.212:
	v_mul_lo_u32 v35, v18, s22
	v_mul_lo_u32 v36, v17, s23
	v_mad_u64_u32 v[33:34], null, v17, s22, 0
	s_mov_b32 s19, 0
	s_and_not1_b32 vcc_lo, exec_lo, s18
	s_mov_b32 s25, 0
	s_delay_alu instid0(VALU_DEP_1) | instskip(NEXT) | instid1(VALU_DEP_1)
	v_add3_u32 v34, v34, v36, v35
	v_lshlrev_b64 v[33:34], 2, v[33:34]
	s_cbranch_vccnz .LBB495_222
; %bb.213:
	v_mul_lo_u32 v37, v20, s22
	v_mul_lo_u32 v38, v19, s23
	v_mad_u64_u32 v[35:36], null, v19, s22, 0
	s_mov_b32 s25, -1
	s_mov_b32 s26, exec_lo
	s_delay_alu instid0(VALU_DEP_1) | instskip(SKIP_2) | instid1(VALU_DEP_3)
	v_add3_u32 v36, v36, v38, v37
	v_add_co_u32 v37, vcc_lo, s8, v33
	v_add_co_ci_u32_e32 v38, vcc_lo, s9, v34, vcc_lo
	v_lshlrev_b64 v[35:36], 2, v[35:36]
	s_delay_alu instid0(VALU_DEP_1) | instskip(NEXT) | instid1(VALU_DEP_2)
	v_add_co_u32 v35, vcc_lo, s8, v35
	v_add_co_ci_u32_e32 v36, vcc_lo, s9, v36, vcc_lo
	s_clause 0x1
	global_load_b32 v39, v[37:38], off
	global_load_b32 v40, v[35:36], off
	s_waitcnt vmcnt(0)
	v_cmpx_eq_u32_e64 v39, v40
	s_cbranch_execz .LBB495_221
; %bb.214:
	v_add_co_u32 v35, vcc_lo, v35, 4
	v_add_co_ci_u32_e32 v36, vcc_lo, 0, v36, vcc_lo
	v_add_co_u32 v37, vcc_lo, v37, 4
	v_add_co_ci_u32_e32 v38, vcc_lo, 0, v38, vcc_lo
	s_add_u32 s4, s22, -1
	s_addc_u32 s5, s23, -1
	s_mov_b64 s[6:7], 0
	s_mov_b32 s25, 0
                                        ; implicit-def: $sgpr27
	s_set_inst_prefetch_distance 0x1
	s_branch .LBB495_217
	.p2align	6
.LBB495_215:                            ;   in Loop: Header=BB495_217 Depth=1
	global_load_b32 v39, v[37:38], off
	global_load_b32 v40, v[35:36], off
	v_add_co_u32 v35, vcc_lo, v35, 4
	v_add_co_ci_u32_e32 v36, vcc_lo, 0, v36, vcc_lo
	v_add_co_u32 v37, s2, v37, 4
	s_delay_alu instid0(VALU_DEP_1)
	v_add_co_ci_u32_e64 v38, s2, 0, v38, s2
	s_add_u32 s6, s6, 1
	s_addc_u32 s7, s7, 0
	s_and_not1_b32 s2, s27, exec_lo
	s_waitcnt vmcnt(0)
	v_cmp_ne_u32_e32 vcc_lo, v39, v40
	s_and_b32 s27, vcc_lo, exec_lo
	s_delay_alu instid0(SALU_CYCLE_1)
	s_or_b32 s27, s2, s27
.LBB495_216:                            ;   in Loop: Header=BB495_217 Depth=1
	v_dual_mov_b32 v40, s7 :: v_dual_mov_b32 v39, s6
	s_and_b32 s2, exec_lo, s27
	s_delay_alu instid0(SALU_CYCLE_1) | instskip(NEXT) | instid1(SALU_CYCLE_1)
	s_or_b32 s25, s2, s25
	s_and_not1_b32 exec_lo, exec_lo, s25
	s_cbranch_execz .LBB495_220
.LBB495_217:                            ; =>This Inner Loop Header: Depth=1
	s_or_b32 s27, s27, exec_lo
	s_cmp_eq_u64 s[4:5], s[6:7]
	s_cbranch_scc0 .LBB495_215
; %bb.218:                              ;   in Loop: Header=BB495_217 Depth=1
	s_mov_b64 s[6:7], s[22:23]
                                        ; implicit-def: $vgpr35_vgpr36
                                        ; implicit-def: $vgpr37_vgpr38
	s_branch .LBB495_216
.LBB495_219:
                                        ; implicit-def: $sgpr2
                                        ; implicit-def: $vgpr34
	s_cbranch_execnz .LBB495_288
	s_branch .LBB495_379
.LBB495_220:
	s_set_inst_prefetch_distance 0x2
	s_or_b32 exec_lo, exec_lo, s25
	v_cmp_gt_i64_e32 vcc_lo, s[22:23], v[39:40]
	s_or_not1_b32 s25, vcc_lo, exec_lo
.LBB495_221:
	s_or_b32 exec_lo, exec_lo, s26
.LBB495_222:
	v_mul_lo_u32 v37, v24, s22
	v_mul_lo_u32 v38, v23, s23
	v_mad_u64_u32 v[35:36], null, v23, s22, 0
	s_and_not1_b32 vcc_lo, exec_lo, s18
	s_delay_alu instid0(VALU_DEP_1) | instskip(NEXT) | instid1(VALU_DEP_1)
	v_add3_u32 v36, v36, v38, v37
	v_lshlrev_b64 v[35:36], 2, v[35:36]
	s_cbranch_vccnz .LBB495_231
; %bb.223:
	s_delay_alu instid0(VALU_DEP_1) | instskip(NEXT) | instid1(VALU_DEP_2)
	v_add_co_u32 v37, vcc_lo, s8, v35
	v_add_co_ci_u32_e32 v38, vcc_lo, s9, v36, vcc_lo
	v_add_co_u32 v33, vcc_lo, s8, v33
	v_add_co_ci_u32_e32 v34, vcc_lo, s9, v34, vcc_lo
	s_mov_b32 s19, -1
	s_clause 0x1
	global_load_b32 v39, v[37:38], off
	global_load_b32 v40, v[33:34], off
	s_mov_b32 s26, exec_lo
	s_waitcnt vmcnt(0)
	v_cmpx_eq_u32_e64 v39, v40
	s_cbranch_execz .LBB495_230
; %bb.224:
	v_add_co_u32 v33, vcc_lo, v33, 4
	v_add_co_ci_u32_e32 v34, vcc_lo, 0, v34, vcc_lo
	v_add_co_u32 v37, vcc_lo, v37, 4
	v_add_co_ci_u32_e32 v38, vcc_lo, 0, v38, vcc_lo
	s_add_u32 s4, s22, -1
	s_addc_u32 s5, s23, -1
	s_mov_b64 s[6:7], 0
	s_mov_b32 s19, 0
                                        ; implicit-def: $sgpr27
	s_set_inst_prefetch_distance 0x1
	s_branch .LBB495_227
	.p2align	6
.LBB495_225:                            ;   in Loop: Header=BB495_227 Depth=1
	global_load_b32 v39, v[37:38], off
	global_load_b32 v40, v[33:34], off
	v_add_co_u32 v33, vcc_lo, v33, 4
	v_add_co_ci_u32_e32 v34, vcc_lo, 0, v34, vcc_lo
	v_add_co_u32 v37, s2, v37, 4
	s_delay_alu instid0(VALU_DEP_1)
	v_add_co_ci_u32_e64 v38, s2, 0, v38, s2
	s_add_u32 s6, s6, 1
	s_addc_u32 s7, s7, 0
	s_and_not1_b32 s2, s27, exec_lo
	s_waitcnt vmcnt(0)
	v_cmp_ne_u32_e32 vcc_lo, v39, v40
	s_and_b32 s27, vcc_lo, exec_lo
	s_delay_alu instid0(SALU_CYCLE_1)
	s_or_b32 s27, s2, s27
.LBB495_226:                            ;   in Loop: Header=BB495_227 Depth=1
	v_dual_mov_b32 v40, s7 :: v_dual_mov_b32 v39, s6
	s_and_b32 s2, exec_lo, s27
	s_delay_alu instid0(SALU_CYCLE_1) | instskip(NEXT) | instid1(SALU_CYCLE_1)
	s_or_b32 s19, s2, s19
	s_and_not1_b32 exec_lo, exec_lo, s19
	s_cbranch_execz .LBB495_229
.LBB495_227:                            ; =>This Inner Loop Header: Depth=1
	s_or_b32 s27, s27, exec_lo
	s_cmp_eq_u64 s[4:5], s[6:7]
	s_cbranch_scc0 .LBB495_225
; %bb.228:                              ;   in Loop: Header=BB495_227 Depth=1
	s_mov_b64 s[6:7], s[22:23]
                                        ; implicit-def: $vgpr33_vgpr34
                                        ; implicit-def: $vgpr37_vgpr38
	s_branch .LBB495_226
.LBB495_229:
	s_set_inst_prefetch_distance 0x2
	s_or_b32 exec_lo, exec_lo, s19
	v_cmp_gt_i64_e32 vcc_lo, s[22:23], v[39:40]
	s_or_not1_b32 s19, vcc_lo, exec_lo
.LBB495_230:
	s_or_b32 exec_lo, exec_lo, s26
.LBB495_231:
	v_mul_lo_u32 v37, v22, s22
	v_mul_lo_u32 v38, v21, s23
	v_mad_u64_u32 v[33:34], null, v21, s22, 0
	s_mov_b32 s26, 0
	s_and_not1_b32 vcc_lo, exec_lo, s18
	s_mov_b32 s27, 0
	s_delay_alu instid0(VALU_DEP_1) | instskip(NEXT) | instid1(VALU_DEP_1)
	v_add3_u32 v34, v34, v38, v37
	v_lshlrev_b64 v[37:38], 2, v[33:34]
	s_cbranch_vccnz .LBB495_240
; %bb.232:
	s_delay_alu instid0(VALU_DEP_1) | instskip(NEXT) | instid1(VALU_DEP_2)
	v_add_co_u32 v39, vcc_lo, s8, v37
	v_add_co_ci_u32_e32 v40, vcc_lo, s9, v38, vcc_lo
	v_add_co_u32 v33, vcc_lo, s8, v35
	v_add_co_ci_u32_e32 v34, vcc_lo, s9, v36, vcc_lo
	s_mov_b32 s27, -1
	s_clause 0x1
	global_load_b32 v35, v[39:40], off
	global_load_b32 v36, v[33:34], off
	s_mov_b32 s29, exec_lo
	s_waitcnt vmcnt(0)
	v_cmpx_eq_u32_e64 v35, v36
	s_cbranch_execz .LBB495_239
; %bb.233:
	v_add_co_u32 v33, vcc_lo, v33, 4
	v_add_co_ci_u32_e32 v34, vcc_lo, 0, v34, vcc_lo
	v_add_co_u32 v35, vcc_lo, v39, 4
	v_add_co_ci_u32_e32 v36, vcc_lo, 0, v40, vcc_lo
	s_add_u32 s4, s22, -1
	s_addc_u32 s5, s23, -1
	s_mov_b64 s[6:7], 0
	s_mov_b32 s27, 0
                                        ; implicit-def: $sgpr30
	s_set_inst_prefetch_distance 0x1
	s_branch .LBB495_236
	.p2align	6
.LBB495_234:                            ;   in Loop: Header=BB495_236 Depth=1
	global_load_b32 v39, v[35:36], off
	global_load_b32 v40, v[33:34], off
	v_add_co_u32 v33, vcc_lo, v33, 4
	v_add_co_ci_u32_e32 v34, vcc_lo, 0, v34, vcc_lo
	v_add_co_u32 v35, s2, v35, 4
	s_delay_alu instid0(VALU_DEP_1)
	v_add_co_ci_u32_e64 v36, s2, 0, v36, s2
	s_add_u32 s6, s6, 1
	s_addc_u32 s7, s7, 0
	s_and_not1_b32 s2, s30, exec_lo
	s_waitcnt vmcnt(0)
	v_cmp_ne_u32_e32 vcc_lo, v39, v40
	s_and_b32 s30, vcc_lo, exec_lo
	s_delay_alu instid0(SALU_CYCLE_1)
	s_or_b32 s30, s2, s30
.LBB495_235:                            ;   in Loop: Header=BB495_236 Depth=1
	v_dual_mov_b32 v40, s7 :: v_dual_mov_b32 v39, s6
	s_and_b32 s2, exec_lo, s30
	s_delay_alu instid0(SALU_CYCLE_1) | instskip(NEXT) | instid1(SALU_CYCLE_1)
	s_or_b32 s27, s2, s27
	s_and_not1_b32 exec_lo, exec_lo, s27
	s_cbranch_execz .LBB495_238
.LBB495_236:                            ; =>This Inner Loop Header: Depth=1
	s_or_b32 s30, s30, exec_lo
	s_cmp_eq_u64 s[4:5], s[6:7]
	s_cbranch_scc0 .LBB495_234
; %bb.237:                              ;   in Loop: Header=BB495_236 Depth=1
	s_mov_b64 s[6:7], s[22:23]
                                        ; implicit-def: $vgpr33_vgpr34
                                        ; implicit-def: $vgpr35_vgpr36
	s_branch .LBB495_235
.LBB495_238:
	s_set_inst_prefetch_distance 0x2
	s_or_b32 exec_lo, exec_lo, s27
	v_cmp_gt_i64_e32 vcc_lo, s[22:23], v[39:40]
	s_or_not1_b32 s27, vcc_lo, exec_lo
.LBB495_239:
	s_or_b32 exec_lo, exec_lo, s29
.LBB495_240:
	v_mul_lo_u32 v35, v28, s22
	v_mul_lo_u32 v36, v27, s23
	v_mad_u64_u32 v[33:34], null, v27, s22, 0
	s_and_not1_b32 vcc_lo, exec_lo, s18
	s_delay_alu instid0(VALU_DEP_1) | instskip(NEXT) | instid1(VALU_DEP_1)
	v_add3_u32 v34, v34, v36, v35
	v_lshlrev_b64 v[33:34], 2, v[33:34]
	s_cbranch_vccnz .LBB495_249
; %bb.241:
	s_delay_alu instid0(VALU_DEP_1) | instskip(NEXT) | instid1(VALU_DEP_2)
	v_add_co_u32 v39, vcc_lo, s8, v33
	v_add_co_ci_u32_e32 v40, vcc_lo, s9, v34, vcc_lo
	v_add_co_u32 v35, vcc_lo, s8, v37
	v_add_co_ci_u32_e32 v36, vcc_lo, s9, v38, vcc_lo
	s_mov_b32 s26, -1
	s_clause 0x1
	global_load_b32 v37, v[39:40], off
	global_load_b32 v38, v[35:36], off
	s_mov_b32 s29, exec_lo
	s_waitcnt vmcnt(0)
	v_cmpx_eq_u32_e64 v37, v38
	s_cbranch_execz .LBB495_248
; %bb.242:
	v_add_co_u32 v35, vcc_lo, v35, 4
	v_add_co_ci_u32_e32 v36, vcc_lo, 0, v36, vcc_lo
	v_add_co_u32 v37, vcc_lo, v39, 4
	v_add_co_ci_u32_e32 v38, vcc_lo, 0, v40, vcc_lo
	s_add_u32 s4, s22, -1
	s_addc_u32 s5, s23, -1
	s_mov_b64 s[6:7], 0
	s_mov_b32 s26, 0
                                        ; implicit-def: $sgpr30
	s_set_inst_prefetch_distance 0x1
	s_branch .LBB495_245
	.p2align	6
.LBB495_243:                            ;   in Loop: Header=BB495_245 Depth=1
	global_load_b32 v39, v[37:38], off
	global_load_b32 v40, v[35:36], off
	v_add_co_u32 v35, vcc_lo, v35, 4
	v_add_co_ci_u32_e32 v36, vcc_lo, 0, v36, vcc_lo
	v_add_co_u32 v37, s2, v37, 4
	s_delay_alu instid0(VALU_DEP_1)
	v_add_co_ci_u32_e64 v38, s2, 0, v38, s2
	s_add_u32 s6, s6, 1
	s_addc_u32 s7, s7, 0
	s_and_not1_b32 s2, s30, exec_lo
	s_waitcnt vmcnt(0)
	v_cmp_ne_u32_e32 vcc_lo, v39, v40
	s_and_b32 s30, vcc_lo, exec_lo
	s_delay_alu instid0(SALU_CYCLE_1)
	s_or_b32 s30, s2, s30
.LBB495_244:                            ;   in Loop: Header=BB495_245 Depth=1
	v_dual_mov_b32 v40, s7 :: v_dual_mov_b32 v39, s6
	s_and_b32 s2, exec_lo, s30
	s_delay_alu instid0(SALU_CYCLE_1) | instskip(NEXT) | instid1(SALU_CYCLE_1)
	s_or_b32 s26, s2, s26
	s_and_not1_b32 exec_lo, exec_lo, s26
	s_cbranch_execz .LBB495_247
.LBB495_245:                            ; =>This Inner Loop Header: Depth=1
	s_or_b32 s30, s30, exec_lo
	s_cmp_eq_u64 s[4:5], s[6:7]
	s_cbranch_scc0 .LBB495_243
; %bb.246:                              ;   in Loop: Header=BB495_245 Depth=1
	s_mov_b64 s[6:7], s[22:23]
                                        ; implicit-def: $vgpr35_vgpr36
                                        ; implicit-def: $vgpr37_vgpr38
	s_branch .LBB495_244
.LBB495_247:
	s_set_inst_prefetch_distance 0x2
	s_or_b32 exec_lo, exec_lo, s26
	v_cmp_gt_i64_e32 vcc_lo, s[22:23], v[39:40]
	s_or_not1_b32 s26, vcc_lo, exec_lo
.LBB495_248:
	s_or_b32 exec_lo, exec_lo, s29
.LBB495_249:
	v_mul_lo_u32 v37, v26, s22
	v_mul_lo_u32 v38, v25, s23
	v_mad_u64_u32 v[35:36], null, v25, s22, 0
	s_mov_b32 s29, 0
	s_and_not1_b32 vcc_lo, exec_lo, s18
	s_mov_b32 s30, 0
	s_delay_alu instid0(VALU_DEP_1) | instskip(NEXT) | instid1(VALU_DEP_1)
	v_add3_u32 v36, v36, v38, v37
	v_lshlrev_b64 v[35:36], 2, v[35:36]
	s_cbranch_vccnz .LBB495_258
; %bb.250:
	s_delay_alu instid0(VALU_DEP_1) | instskip(NEXT) | instid1(VALU_DEP_2)
	v_add_co_u32 v37, vcc_lo, s8, v35
	v_add_co_ci_u32_e32 v38, vcc_lo, s9, v36, vcc_lo
	v_add_co_u32 v33, vcc_lo, s8, v33
	v_add_co_ci_u32_e32 v34, vcc_lo, s9, v34, vcc_lo
	s_mov_b32 s30, -1
	s_clause 0x1
	global_load_b32 v39, v[37:38], off
	global_load_b32 v40, v[33:34], off
	s_mov_b32 s31, exec_lo
	s_waitcnt vmcnt(0)
	v_cmpx_eq_u32_e64 v39, v40
	s_cbranch_execz .LBB495_257
; %bb.251:
	v_add_co_u32 v33, vcc_lo, v33, 4
	v_add_co_ci_u32_e32 v34, vcc_lo, 0, v34, vcc_lo
	v_add_co_u32 v37, vcc_lo, v37, 4
	v_add_co_ci_u32_e32 v38, vcc_lo, 0, v38, vcc_lo
	s_add_u32 s4, s22, -1
	s_addc_u32 s5, s23, -1
	s_mov_b64 s[6:7], 0
	s_mov_b32 s30, 0
                                        ; implicit-def: $sgpr33
	s_set_inst_prefetch_distance 0x1
	s_branch .LBB495_254
	.p2align	6
.LBB495_252:                            ;   in Loop: Header=BB495_254 Depth=1
	global_load_b32 v39, v[37:38], off
	global_load_b32 v40, v[33:34], off
	v_add_co_u32 v33, vcc_lo, v33, 4
	v_add_co_ci_u32_e32 v34, vcc_lo, 0, v34, vcc_lo
	v_add_co_u32 v37, s2, v37, 4
	s_delay_alu instid0(VALU_DEP_1)
	v_add_co_ci_u32_e64 v38, s2, 0, v38, s2
	s_add_u32 s6, s6, 1
	s_addc_u32 s7, s7, 0
	s_and_not1_b32 s2, s33, exec_lo
	s_waitcnt vmcnt(0)
	v_cmp_ne_u32_e32 vcc_lo, v39, v40
	s_and_b32 s33, vcc_lo, exec_lo
	s_delay_alu instid0(SALU_CYCLE_1)
	s_or_b32 s33, s2, s33
.LBB495_253:                            ;   in Loop: Header=BB495_254 Depth=1
	v_dual_mov_b32 v40, s7 :: v_dual_mov_b32 v39, s6
	s_and_b32 s2, exec_lo, s33
	s_delay_alu instid0(SALU_CYCLE_1) | instskip(NEXT) | instid1(SALU_CYCLE_1)
	s_or_b32 s30, s2, s30
	s_and_not1_b32 exec_lo, exec_lo, s30
	s_cbranch_execz .LBB495_256
.LBB495_254:                            ; =>This Inner Loop Header: Depth=1
	s_or_b32 s33, s33, exec_lo
	s_cmp_eq_u64 s[4:5], s[6:7]
	s_cbranch_scc0 .LBB495_252
; %bb.255:                              ;   in Loop: Header=BB495_254 Depth=1
	s_mov_b64 s[6:7], s[22:23]
                                        ; implicit-def: $vgpr33_vgpr34
                                        ; implicit-def: $vgpr37_vgpr38
	s_branch .LBB495_253
.LBB495_256:
	s_set_inst_prefetch_distance 0x2
	s_or_b32 exec_lo, exec_lo, s30
	v_cmp_gt_i64_e32 vcc_lo, s[22:23], v[39:40]
	s_or_not1_b32 s30, vcc_lo, exec_lo
.LBB495_257:
	s_or_b32 exec_lo, exec_lo, s31
.LBB495_258:
	v_mul_lo_u32 v37, v32, s22
	v_mul_lo_u32 v38, v31, s23
	v_mad_u64_u32 v[33:34], null, v31, s22, 0
	s_and_not1_b32 vcc_lo, exec_lo, s18
	s_delay_alu instid0(VALU_DEP_1) | instskip(NEXT) | instid1(VALU_DEP_1)
	v_add3_u32 v34, v34, v38, v37
	v_lshlrev_b64 v[33:34], 2, v[33:34]
	s_cbranch_vccnz .LBB495_267
; %bb.259:
	s_delay_alu instid0(VALU_DEP_1) | instskip(NEXT) | instid1(VALU_DEP_2)
	v_add_co_u32 v37, vcc_lo, s8, v33
	v_add_co_ci_u32_e32 v38, vcc_lo, s9, v34, vcc_lo
	v_add_co_u32 v35, vcc_lo, s8, v35
	v_add_co_ci_u32_e32 v36, vcc_lo, s9, v36, vcc_lo
	s_mov_b32 s29, -1
	s_clause 0x1
	global_load_b32 v39, v[37:38], off
	global_load_b32 v40, v[35:36], off
	s_mov_b32 s31, exec_lo
	s_waitcnt vmcnt(0)
	v_cmpx_eq_u32_e64 v39, v40
	s_cbranch_execz .LBB495_266
; %bb.260:
	v_add_co_u32 v35, vcc_lo, v35, 4
	v_add_co_ci_u32_e32 v36, vcc_lo, 0, v36, vcc_lo
	v_add_co_u32 v37, vcc_lo, v37, 4
	v_add_co_ci_u32_e32 v38, vcc_lo, 0, v38, vcc_lo
	s_add_u32 s4, s22, -1
	s_addc_u32 s5, s23, -1
	s_mov_b64 s[6:7], 0
	s_mov_b32 s29, 0
                                        ; implicit-def: $sgpr33
	s_set_inst_prefetch_distance 0x1
	s_branch .LBB495_263
	.p2align	6
.LBB495_261:                            ;   in Loop: Header=BB495_263 Depth=1
	global_load_b32 v39, v[37:38], off
	global_load_b32 v40, v[35:36], off
	v_add_co_u32 v35, vcc_lo, v35, 4
	v_add_co_ci_u32_e32 v36, vcc_lo, 0, v36, vcc_lo
	v_add_co_u32 v37, s2, v37, 4
	s_delay_alu instid0(VALU_DEP_1)
	v_add_co_ci_u32_e64 v38, s2, 0, v38, s2
	s_add_u32 s6, s6, 1
	s_addc_u32 s7, s7, 0
	s_and_not1_b32 s2, s33, exec_lo
	s_waitcnt vmcnt(0)
	v_cmp_ne_u32_e32 vcc_lo, v39, v40
	s_and_b32 s33, vcc_lo, exec_lo
	s_delay_alu instid0(SALU_CYCLE_1)
	s_or_b32 s33, s2, s33
.LBB495_262:                            ;   in Loop: Header=BB495_263 Depth=1
	v_dual_mov_b32 v40, s7 :: v_dual_mov_b32 v39, s6
	s_and_b32 s2, exec_lo, s33
	s_delay_alu instid0(SALU_CYCLE_1) | instskip(NEXT) | instid1(SALU_CYCLE_1)
	s_or_b32 s29, s2, s29
	s_and_not1_b32 exec_lo, exec_lo, s29
	s_cbranch_execz .LBB495_265
.LBB495_263:                            ; =>This Inner Loop Header: Depth=1
	s_or_b32 s33, s33, exec_lo
	s_cmp_eq_u64 s[4:5], s[6:7]
	s_cbranch_scc0 .LBB495_261
; %bb.264:                              ;   in Loop: Header=BB495_263 Depth=1
	s_mov_b64 s[6:7], s[22:23]
                                        ; implicit-def: $vgpr35_vgpr36
                                        ; implicit-def: $vgpr37_vgpr38
	s_branch .LBB495_262
.LBB495_265:
	s_set_inst_prefetch_distance 0x2
	s_or_b32 exec_lo, exec_lo, s29
	v_cmp_gt_i64_e32 vcc_lo, s[22:23], v[39:40]
	s_or_not1_b32 s29, vcc_lo, exec_lo
.LBB495_266:
	s_or_b32 exec_lo, exec_lo, s31
.LBB495_267:
	v_mul_lo_u32 v37, v30, s22
	v_mul_lo_u32 v38, v29, s23
	v_mad_u64_u32 v[35:36], null, v29, s22, 0
	s_and_not1_b32 vcc_lo, exec_lo, s18
	s_mov_b32 s2, 0
	s_delay_alu instid0(VALU_DEP_1)
	v_add3_u32 v36, v36, v38, v37
	s_cbranch_vccnz .LBB495_276
; %bb.268:
	s_delay_alu instid0(VALU_DEP_1) | instskip(SKIP_2) | instid1(VALU_DEP_1)
	v_lshlrev_b64 v[37:38], 2, v[35:36]
	s_mov_b32 s2, -1
	s_mov_b32 s31, exec_lo
	v_add_co_u32 v37, vcc_lo, s8, v37
	s_delay_alu instid0(VALU_DEP_2)
	v_add_co_ci_u32_e32 v38, vcc_lo, s9, v38, vcc_lo
	v_add_co_u32 v33, vcc_lo, s8, v33
	v_add_co_ci_u32_e32 v34, vcc_lo, s9, v34, vcc_lo
	s_clause 0x1
	global_load_b32 v39, v[37:38], off
	global_load_b32 v40, v[33:34], off
	s_waitcnt vmcnt(0)
	v_cmpx_eq_u32_e64 v39, v40
	s_cbranch_execz .LBB495_275
; %bb.269:
	v_add_co_u32 v33, vcc_lo, v33, 4
	v_add_co_ci_u32_e32 v34, vcc_lo, 0, v34, vcc_lo
	v_add_co_u32 v37, vcc_lo, v37, 4
	v_add_co_ci_u32_e32 v38, vcc_lo, 0, v38, vcc_lo
	s_add_u32 s4, s22, -1
	s_addc_u32 s5, s23, -1
	s_mov_b64 s[6:7], 0
	s_mov_b32 s33, 0
                                        ; implicit-def: $sgpr34
	s_set_inst_prefetch_distance 0x1
	s_branch .LBB495_272
	.p2align	6
.LBB495_270:                            ;   in Loop: Header=BB495_272 Depth=1
	global_load_b32 v39, v[37:38], off
	global_load_b32 v40, v[33:34], off
	v_add_co_u32 v33, vcc_lo, v33, 4
	v_add_co_ci_u32_e32 v34, vcc_lo, 0, v34, vcc_lo
	v_add_co_u32 v37, s2, v37, 4
	s_delay_alu instid0(VALU_DEP_1)
	v_add_co_ci_u32_e64 v38, s2, 0, v38, s2
	s_add_u32 s6, s6, 1
	s_addc_u32 s7, s7, 0
	s_and_not1_b32 s2, s34, exec_lo
	s_waitcnt vmcnt(0)
	v_cmp_ne_u32_e32 vcc_lo, v39, v40
	s_and_b32 s34, vcc_lo, exec_lo
	s_delay_alu instid0(SALU_CYCLE_1)
	s_or_b32 s34, s2, s34
.LBB495_271:                            ;   in Loop: Header=BB495_272 Depth=1
	v_dual_mov_b32 v40, s7 :: v_dual_mov_b32 v39, s6
	s_and_b32 s2, exec_lo, s34
	s_delay_alu instid0(SALU_CYCLE_1) | instskip(NEXT) | instid1(SALU_CYCLE_1)
	s_or_b32 s33, s2, s33
	s_and_not1_b32 exec_lo, exec_lo, s33
	s_cbranch_execz .LBB495_274
.LBB495_272:                            ; =>This Inner Loop Header: Depth=1
	s_or_b32 s34, s34, exec_lo
	s_cmp_eq_u64 s[4:5], s[6:7]
	s_cbranch_scc0 .LBB495_270
; %bb.273:                              ;   in Loop: Header=BB495_272 Depth=1
	s_mov_b64 s[6:7], s[22:23]
                                        ; implicit-def: $vgpr33_vgpr34
                                        ; implicit-def: $vgpr37_vgpr38
	s_branch .LBB495_271
.LBB495_274:
	s_set_inst_prefetch_distance 0x2
	s_or_b32 exec_lo, exec_lo, s33
	v_cmp_gt_i64_e32 vcc_lo, s[22:23], v[39:40]
	s_or_not1_b32 s2, vcc_lo, exec_lo
.LBB495_275:
	s_or_b32 exec_lo, exec_lo, s31
.LBB495_276:
	v_cndmask_b32_e64 v34, 0, 1, s30
	v_cndmask_b32_e64 v37, 0, 1, s27
	;; [unrolled: 1-line block ×7, first 2 shown]
	v_lshlrev_b16 v37, 8, v37
	v_lshlrev_b16 v38, 8, v38
	;; [unrolled: 1-line block ×4, first 2 shown]
	s_waitcnt lgkmcnt(0)
	v_or_b32_e32 v37, v40, v37
	v_or_b32_e32 v38, v41, v38
	;; [unrolled: 1-line block ×4, first 2 shown]
	s_barrier
	v_and_b32_e32 v34, 0xffff, v37
	v_lshlrev_b32_e32 v37, 16, v38
	v_and_b32_e32 v38, 0xffff, v39
	v_lshlrev_b32_e32 v33, 16, v33
	buffer_gl0_inv
                                        ; implicit-def: $sgpr2
	s_mov_b32 s4, exec_lo
	v_or_b32_e32 v34, v34, v37
	v_or_b32_e32 v33, v38, v33
	v_cmpx_ne_u32_e32 0, v0
	s_xor_b32 s19, exec_lo, s4
	s_cbranch_execz .LBB495_287
; %bb.277:
	s_and_not1_b32 vcc_lo, exec_lo, s18
	s_mov_b32 s2, 0
	s_cbranch_vccnz .LBB495_286
; %bb.278:
	v_add_nc_u32_e32 v37, -8, v55
	v_lshlrev_b64 v[35:36], 2, v[35:36]
	s_mov_b32 s2, -1
	s_mov_b32 s25, exec_lo
	ds_load_b64 v[37:38], v37
	s_waitcnt lgkmcnt(0)
	v_mul_lo_u32 v40, v38, s22
	v_mul_lo_u32 v41, v37, s23
	v_mad_u64_u32 v[38:39], null, v37, s22, 0
	s_delay_alu instid0(VALU_DEP_1) | instskip(NEXT) | instid1(VALU_DEP_1)
	v_add3_u32 v39, v39, v41, v40
	v_lshlrev_b64 v[37:38], 2, v[38:39]
	s_delay_alu instid0(VALU_DEP_1) | instskip(NEXT) | instid1(VALU_DEP_2)
	v_add_co_u32 v37, vcc_lo, s8, v37
	v_add_co_ci_u32_e32 v38, vcc_lo, s9, v38, vcc_lo
	v_add_co_u32 v35, vcc_lo, s8, v35
	v_add_co_ci_u32_e32 v36, vcc_lo, s9, v36, vcc_lo
	s_clause 0x1
	global_load_b32 v39, v[37:38], off
	global_load_b32 v40, v[35:36], off
	s_waitcnt vmcnt(0)
	v_cmpx_eq_u32_e64 v39, v40
	s_cbranch_execz .LBB495_285
; %bb.279:
	v_add_co_u32 v35, vcc_lo, v35, 4
	v_add_co_ci_u32_e32 v36, vcc_lo, 0, v36, vcc_lo
	v_add_co_u32 v37, vcc_lo, v37, 4
	v_add_co_ci_u32_e32 v38, vcc_lo, 0, v38, vcc_lo
	s_add_u32 s4, s22, -1
	s_addc_u32 s5, s23, -1
	s_mov_b64 s[6:7], 0
	s_mov_b32 s26, 0
                                        ; implicit-def: $sgpr27
	s_set_inst_prefetch_distance 0x1
	s_branch .LBB495_282
	.p2align	6
.LBB495_280:                            ;   in Loop: Header=BB495_282 Depth=1
	global_load_b32 v39, v[37:38], off
	global_load_b32 v40, v[35:36], off
	v_add_co_u32 v35, vcc_lo, v35, 4
	v_add_co_ci_u32_e32 v36, vcc_lo, 0, v36, vcc_lo
	v_add_co_u32 v37, s2, v37, 4
	s_delay_alu instid0(VALU_DEP_1)
	v_add_co_ci_u32_e64 v38, s2, 0, v38, s2
	s_add_u32 s6, s6, 1
	s_addc_u32 s7, s7, 0
	s_and_not1_b32 s2, s27, exec_lo
	s_waitcnt vmcnt(0)
	v_cmp_ne_u32_e32 vcc_lo, v39, v40
	s_and_b32 s27, vcc_lo, exec_lo
	s_delay_alu instid0(SALU_CYCLE_1)
	s_or_b32 s27, s2, s27
.LBB495_281:                            ;   in Loop: Header=BB495_282 Depth=1
	v_dual_mov_b32 v40, s7 :: v_dual_mov_b32 v39, s6
	s_and_b32 s2, exec_lo, s27
	s_delay_alu instid0(SALU_CYCLE_1) | instskip(NEXT) | instid1(SALU_CYCLE_1)
	s_or_b32 s26, s2, s26
	s_and_not1_b32 exec_lo, exec_lo, s26
	s_cbranch_execz .LBB495_284
.LBB495_282:                            ; =>This Inner Loop Header: Depth=1
	s_or_b32 s27, s27, exec_lo
	s_cmp_eq_u64 s[4:5], s[6:7]
	s_cbranch_scc0 .LBB495_280
; %bb.283:                              ;   in Loop: Header=BB495_282 Depth=1
	s_mov_b64 s[6:7], s[22:23]
                                        ; implicit-def: $vgpr35_vgpr36
                                        ; implicit-def: $vgpr37_vgpr38
	s_branch .LBB495_281
.LBB495_284:
	s_set_inst_prefetch_distance 0x2
	s_or_b32 exec_lo, exec_lo, s26
	v_cmp_gt_i64_e32 vcc_lo, s[22:23], v[39:40]
	s_or_not1_b32 s2, vcc_lo, exec_lo
.LBB495_285:
	s_or_b32 exec_lo, exec_lo, s25
.LBB495_286:
	s_delay_alu instid0(SALU_CYCLE_1)
	s_and_b32 s2, s2, exec_lo
	s_or_b32 s3, s3, exec_lo
.LBB495_287:
	s_or_b32 exec_lo, exec_lo, s19
	s_branch .LBB495_379
.LBB495_288:
	v_or_b32_e32 v33, 7, v55
	s_mov_b32 s19, 0
	s_mov_b32 s25, 0
	s_mov_b32 s26, exec_lo
	s_delay_alu instid0(VALU_DEP_1)
	v_cmpx_gt_u32_e64 s28, v33
	s_cbranch_execz .LBB495_299
; %bb.289:
	s_and_not1_b32 vcc_lo, exec_lo, s18
	s_mov_b32 s2, 0
	s_cbranch_vccnz .LBB495_298
; %bb.290:
	v_mul_lo_u32 v37, v18, s22
	v_mul_lo_u32 v38, v17, s23
	v_mad_u64_u32 v[33:34], null, v17, s22, 0
	v_mul_lo_u32 v39, v20, s22
	v_mul_lo_u32 v40, v19, s23
	v_mad_u64_u32 v[35:36], null, v19, s22, 0
	s_mov_b32 s2, -1
	s_mov_b32 s25, exec_lo
	s_delay_alu instid0(VALU_DEP_4) | instskip(NEXT) | instid1(VALU_DEP_2)
	v_add3_u32 v34, v34, v38, v37
	v_add3_u32 v36, v36, v40, v39
	s_delay_alu instid0(VALU_DEP_2) | instskip(NEXT) | instid1(VALU_DEP_2)
	v_lshlrev_b64 v[33:34], 2, v[33:34]
	v_lshlrev_b64 v[37:38], 2, v[35:36]
	s_delay_alu instid0(VALU_DEP_2) | instskip(NEXT) | instid1(VALU_DEP_3)
	v_add_co_u32 v35, vcc_lo, s8, v33
	v_add_co_ci_u32_e32 v36, vcc_lo, s9, v34, vcc_lo
	s_delay_alu instid0(VALU_DEP_3) | instskip(NEXT) | instid1(VALU_DEP_4)
	v_add_co_u32 v33, vcc_lo, s8, v37
	v_add_co_ci_u32_e32 v34, vcc_lo, s9, v38, vcc_lo
	s_clause 0x1
	global_load_b32 v37, v[35:36], off
	global_load_b32 v38, v[33:34], off
	s_waitcnt vmcnt(0)
	v_cmpx_eq_u32_e64 v37, v38
	s_cbranch_execz .LBB495_297
; %bb.291:
	v_add_co_u32 v33, vcc_lo, v33, 4
	v_add_co_ci_u32_e32 v34, vcc_lo, 0, v34, vcc_lo
	v_add_co_u32 v35, vcc_lo, v35, 4
	v_add_co_ci_u32_e32 v36, vcc_lo, 0, v36, vcc_lo
	s_add_u32 s4, s22, -1
	s_addc_u32 s5, s23, -1
	s_mov_b64 s[6:7], 0
	s_mov_b32 s27, 0
                                        ; implicit-def: $sgpr29
	s_set_inst_prefetch_distance 0x1
	s_branch .LBB495_294
	.p2align	6
.LBB495_292:                            ;   in Loop: Header=BB495_294 Depth=1
	global_load_b32 v37, v[35:36], off
	global_load_b32 v38, v[33:34], off
	v_add_co_u32 v33, vcc_lo, v33, 4
	v_add_co_ci_u32_e32 v34, vcc_lo, 0, v34, vcc_lo
	v_add_co_u32 v35, s2, v35, 4
	s_delay_alu instid0(VALU_DEP_1)
	v_add_co_ci_u32_e64 v36, s2, 0, v36, s2
	s_add_u32 s6, s6, 1
	s_addc_u32 s7, s7, 0
	s_and_not1_b32 s2, s29, exec_lo
	s_waitcnt vmcnt(0)
	v_cmp_ne_u32_e32 vcc_lo, v37, v38
	s_and_b32 s29, vcc_lo, exec_lo
	s_delay_alu instid0(SALU_CYCLE_1)
	s_or_b32 s29, s2, s29
.LBB495_293:                            ;   in Loop: Header=BB495_294 Depth=1
	v_dual_mov_b32 v38, s7 :: v_dual_mov_b32 v37, s6
	s_and_b32 s2, exec_lo, s29
	s_delay_alu instid0(SALU_CYCLE_1) | instskip(NEXT) | instid1(SALU_CYCLE_1)
	s_or_b32 s27, s2, s27
	s_and_not1_b32 exec_lo, exec_lo, s27
	s_cbranch_execz .LBB495_296
.LBB495_294:                            ; =>This Inner Loop Header: Depth=1
	s_or_b32 s29, s29, exec_lo
	s_cmp_eq_u64 s[4:5], s[6:7]
	s_cbranch_scc0 .LBB495_292
; %bb.295:                              ;   in Loop: Header=BB495_294 Depth=1
	s_mov_b64 s[6:7], s[22:23]
                                        ; implicit-def: $vgpr33_vgpr34
                                        ; implicit-def: $vgpr35_vgpr36
	s_branch .LBB495_293
.LBB495_296:
	s_set_inst_prefetch_distance 0x2
	s_or_b32 exec_lo, exec_lo, s27
	v_cmp_gt_i64_e32 vcc_lo, s[22:23], v[37:38]
	s_or_not1_b32 s2, vcc_lo, exec_lo
.LBB495_297:
	s_or_b32 exec_lo, exec_lo, s25
.LBB495_298:
	s_delay_alu instid0(SALU_CYCLE_1)
	s_and_b32 s25, s2, exec_lo
.LBB495_299:
	s_or_b32 exec_lo, exec_lo, s26
	v_or_b32_e32 v33, 6, v55
	s_mov_b32 s26, exec_lo
	s_delay_alu instid0(VALU_DEP_1)
	v_cmpx_gt_u32_e64 s28, v33
	s_cbranch_execz .LBB495_310
; %bb.300:
	s_and_not1_b32 vcc_lo, exec_lo, s18
	s_mov_b32 s2, 0
	s_cbranch_vccnz .LBB495_309
; %bb.301:
	v_mul_lo_u32 v37, v24, s22
	v_mul_lo_u32 v38, v23, s23
	v_mad_u64_u32 v[33:34], null, v23, s22, 0
	v_mul_lo_u32 v39, v18, s22
	v_mul_lo_u32 v40, v17, s23
	v_mad_u64_u32 v[35:36], null, v17, s22, 0
	s_mov_b32 s2, -1
	s_mov_b32 s19, exec_lo
	s_delay_alu instid0(VALU_DEP_4) | instskip(NEXT) | instid1(VALU_DEP_2)
	v_add3_u32 v34, v34, v38, v37
	v_add3_u32 v36, v36, v40, v39
	s_delay_alu instid0(VALU_DEP_2) | instskip(NEXT) | instid1(VALU_DEP_2)
	v_lshlrev_b64 v[33:34], 2, v[33:34]
	v_lshlrev_b64 v[37:38], 2, v[35:36]
	s_delay_alu instid0(VALU_DEP_2) | instskip(NEXT) | instid1(VALU_DEP_3)
	v_add_co_u32 v35, vcc_lo, s8, v33
	v_add_co_ci_u32_e32 v36, vcc_lo, s9, v34, vcc_lo
	s_delay_alu instid0(VALU_DEP_3) | instskip(NEXT) | instid1(VALU_DEP_4)
	v_add_co_u32 v33, vcc_lo, s8, v37
	v_add_co_ci_u32_e32 v34, vcc_lo, s9, v38, vcc_lo
	s_clause 0x1
	global_load_b32 v37, v[35:36], off
	global_load_b32 v38, v[33:34], off
	s_waitcnt vmcnt(0)
	v_cmpx_eq_u32_e64 v37, v38
	s_cbranch_execz .LBB495_308
; %bb.302:
	v_add_co_u32 v33, vcc_lo, v33, 4
	v_add_co_ci_u32_e32 v34, vcc_lo, 0, v34, vcc_lo
	v_add_co_u32 v35, vcc_lo, v35, 4
	v_add_co_ci_u32_e32 v36, vcc_lo, 0, v36, vcc_lo
	s_add_u32 s4, s22, -1
	s_addc_u32 s5, s23, -1
	s_mov_b64 s[6:7], 0
	s_mov_b32 s27, 0
                                        ; implicit-def: $sgpr29
	s_set_inst_prefetch_distance 0x1
	s_branch .LBB495_305
	.p2align	6
.LBB495_303:                            ;   in Loop: Header=BB495_305 Depth=1
	global_load_b32 v37, v[35:36], off
	global_load_b32 v38, v[33:34], off
	v_add_co_u32 v33, vcc_lo, v33, 4
	v_add_co_ci_u32_e32 v34, vcc_lo, 0, v34, vcc_lo
	v_add_co_u32 v35, s2, v35, 4
	s_delay_alu instid0(VALU_DEP_1)
	v_add_co_ci_u32_e64 v36, s2, 0, v36, s2
	s_add_u32 s6, s6, 1
	s_addc_u32 s7, s7, 0
	s_and_not1_b32 s2, s29, exec_lo
	s_waitcnt vmcnt(0)
	v_cmp_ne_u32_e32 vcc_lo, v37, v38
	s_and_b32 s29, vcc_lo, exec_lo
	s_delay_alu instid0(SALU_CYCLE_1)
	s_or_b32 s29, s2, s29
.LBB495_304:                            ;   in Loop: Header=BB495_305 Depth=1
	v_dual_mov_b32 v38, s7 :: v_dual_mov_b32 v37, s6
	s_and_b32 s2, exec_lo, s29
	s_delay_alu instid0(SALU_CYCLE_1) | instskip(NEXT) | instid1(SALU_CYCLE_1)
	s_or_b32 s27, s2, s27
	s_and_not1_b32 exec_lo, exec_lo, s27
	s_cbranch_execz .LBB495_307
.LBB495_305:                            ; =>This Inner Loop Header: Depth=1
	s_or_b32 s29, s29, exec_lo
	s_cmp_eq_u64 s[4:5], s[6:7]
	s_cbranch_scc0 .LBB495_303
; %bb.306:                              ;   in Loop: Header=BB495_305 Depth=1
	s_mov_b64 s[6:7], s[22:23]
                                        ; implicit-def: $vgpr33_vgpr34
                                        ; implicit-def: $vgpr35_vgpr36
	s_branch .LBB495_304
.LBB495_307:
	s_set_inst_prefetch_distance 0x2
	s_or_b32 exec_lo, exec_lo, s27
	v_cmp_gt_i64_e32 vcc_lo, s[22:23], v[37:38]
	s_or_not1_b32 s2, vcc_lo, exec_lo
.LBB495_308:
	s_or_b32 exec_lo, exec_lo, s19
.LBB495_309:
	s_delay_alu instid0(SALU_CYCLE_1)
	s_and_b32 s19, s2, exec_lo
.LBB495_310:
	s_or_b32 exec_lo, exec_lo, s26
	v_or_b32_e32 v33, 5, v55
	s_mov_b32 s26, 0
	s_mov_b32 s27, 0
	s_mov_b32 s29, exec_lo
	s_delay_alu instid0(VALU_DEP_1)
	v_cmpx_gt_u32_e64 s28, v33
	s_cbranch_execz .LBB495_321
; %bb.311:
	s_and_not1_b32 vcc_lo, exec_lo, s18
	s_mov_b32 s2, 0
	s_cbranch_vccnz .LBB495_320
; %bb.312:
	v_mul_lo_u32 v37, v22, s22
	v_mul_lo_u32 v38, v21, s23
	v_mad_u64_u32 v[33:34], null, v21, s22, 0
	v_mul_lo_u32 v39, v24, s22
	v_mul_lo_u32 v40, v23, s23
	v_mad_u64_u32 v[35:36], null, v23, s22, 0
	s_mov_b32 s2, -1
	s_mov_b32 s27, exec_lo
	s_delay_alu instid0(VALU_DEP_4) | instskip(NEXT) | instid1(VALU_DEP_2)
	v_add3_u32 v34, v34, v38, v37
	v_add3_u32 v36, v36, v40, v39
	s_delay_alu instid0(VALU_DEP_2) | instskip(NEXT) | instid1(VALU_DEP_2)
	v_lshlrev_b64 v[33:34], 2, v[33:34]
	v_lshlrev_b64 v[37:38], 2, v[35:36]
	s_delay_alu instid0(VALU_DEP_2) | instskip(NEXT) | instid1(VALU_DEP_3)
	v_add_co_u32 v35, vcc_lo, s8, v33
	v_add_co_ci_u32_e32 v36, vcc_lo, s9, v34, vcc_lo
	s_delay_alu instid0(VALU_DEP_3) | instskip(NEXT) | instid1(VALU_DEP_4)
	v_add_co_u32 v33, vcc_lo, s8, v37
	v_add_co_ci_u32_e32 v34, vcc_lo, s9, v38, vcc_lo
	s_clause 0x1
	global_load_b32 v37, v[35:36], off
	global_load_b32 v38, v[33:34], off
	s_waitcnt vmcnt(0)
	v_cmpx_eq_u32_e64 v37, v38
	s_cbranch_execz .LBB495_319
; %bb.313:
	v_add_co_u32 v33, vcc_lo, v33, 4
	v_add_co_ci_u32_e32 v34, vcc_lo, 0, v34, vcc_lo
	v_add_co_u32 v35, vcc_lo, v35, 4
	v_add_co_ci_u32_e32 v36, vcc_lo, 0, v36, vcc_lo
	s_add_u32 s4, s22, -1
	s_addc_u32 s5, s23, -1
	s_mov_b64 s[6:7], 0
	s_mov_b32 s30, 0
                                        ; implicit-def: $sgpr31
	s_set_inst_prefetch_distance 0x1
	s_branch .LBB495_316
	.p2align	6
.LBB495_314:                            ;   in Loop: Header=BB495_316 Depth=1
	global_load_b32 v37, v[35:36], off
	global_load_b32 v38, v[33:34], off
	v_add_co_u32 v33, vcc_lo, v33, 4
	v_add_co_ci_u32_e32 v34, vcc_lo, 0, v34, vcc_lo
	v_add_co_u32 v35, s2, v35, 4
	s_delay_alu instid0(VALU_DEP_1)
	v_add_co_ci_u32_e64 v36, s2, 0, v36, s2
	s_add_u32 s6, s6, 1
	s_addc_u32 s7, s7, 0
	s_and_not1_b32 s2, s31, exec_lo
	s_waitcnt vmcnt(0)
	v_cmp_ne_u32_e32 vcc_lo, v37, v38
	s_and_b32 s31, vcc_lo, exec_lo
	s_delay_alu instid0(SALU_CYCLE_1)
	s_or_b32 s31, s2, s31
.LBB495_315:                            ;   in Loop: Header=BB495_316 Depth=1
	v_dual_mov_b32 v38, s7 :: v_dual_mov_b32 v37, s6
	s_and_b32 s2, exec_lo, s31
	s_delay_alu instid0(SALU_CYCLE_1) | instskip(NEXT) | instid1(SALU_CYCLE_1)
	s_or_b32 s30, s2, s30
	s_and_not1_b32 exec_lo, exec_lo, s30
	s_cbranch_execz .LBB495_318
.LBB495_316:                            ; =>This Inner Loop Header: Depth=1
	s_or_b32 s31, s31, exec_lo
	s_cmp_eq_u64 s[4:5], s[6:7]
	s_cbranch_scc0 .LBB495_314
; %bb.317:                              ;   in Loop: Header=BB495_316 Depth=1
	s_mov_b64 s[6:7], s[22:23]
                                        ; implicit-def: $vgpr33_vgpr34
                                        ; implicit-def: $vgpr35_vgpr36
	s_branch .LBB495_315
.LBB495_318:
	s_set_inst_prefetch_distance 0x2
	s_or_b32 exec_lo, exec_lo, s30
	v_cmp_gt_i64_e32 vcc_lo, s[22:23], v[37:38]
	s_or_not1_b32 s2, vcc_lo, exec_lo
.LBB495_319:
	s_or_b32 exec_lo, exec_lo, s27
.LBB495_320:
	s_delay_alu instid0(SALU_CYCLE_1)
	s_and_b32 s27, s2, exec_lo
.LBB495_321:
	s_or_b32 exec_lo, exec_lo, s29
	v_or_b32_e32 v33, 4, v55
	s_mov_b32 s29, exec_lo
	s_delay_alu instid0(VALU_DEP_1)
	v_cmpx_gt_u32_e64 s28, v33
	s_cbranch_execz .LBB495_332
; %bb.322:
	s_and_not1_b32 vcc_lo, exec_lo, s18
	s_mov_b32 s2, 0
	s_cbranch_vccnz .LBB495_331
; %bb.323:
	v_mul_lo_u32 v37, v28, s22
	v_mul_lo_u32 v38, v27, s23
	v_mad_u64_u32 v[33:34], null, v27, s22, 0
	v_mul_lo_u32 v39, v22, s22
	v_mul_lo_u32 v40, v21, s23
	v_mad_u64_u32 v[35:36], null, v21, s22, 0
	s_mov_b32 s2, -1
	s_mov_b32 s26, exec_lo
	s_delay_alu instid0(VALU_DEP_4) | instskip(NEXT) | instid1(VALU_DEP_2)
	v_add3_u32 v34, v34, v38, v37
	v_add3_u32 v36, v36, v40, v39
	s_delay_alu instid0(VALU_DEP_2) | instskip(NEXT) | instid1(VALU_DEP_2)
	v_lshlrev_b64 v[33:34], 2, v[33:34]
	v_lshlrev_b64 v[37:38], 2, v[35:36]
	s_delay_alu instid0(VALU_DEP_2) | instskip(NEXT) | instid1(VALU_DEP_3)
	v_add_co_u32 v35, vcc_lo, s8, v33
	v_add_co_ci_u32_e32 v36, vcc_lo, s9, v34, vcc_lo
	s_delay_alu instid0(VALU_DEP_3) | instskip(NEXT) | instid1(VALU_DEP_4)
	v_add_co_u32 v33, vcc_lo, s8, v37
	v_add_co_ci_u32_e32 v34, vcc_lo, s9, v38, vcc_lo
	s_clause 0x1
	global_load_b32 v37, v[35:36], off
	global_load_b32 v38, v[33:34], off
	s_waitcnt vmcnt(0)
	v_cmpx_eq_u32_e64 v37, v38
	s_cbranch_execz .LBB495_330
; %bb.324:
	v_add_co_u32 v33, vcc_lo, v33, 4
	v_add_co_ci_u32_e32 v34, vcc_lo, 0, v34, vcc_lo
	v_add_co_u32 v35, vcc_lo, v35, 4
	v_add_co_ci_u32_e32 v36, vcc_lo, 0, v36, vcc_lo
	s_add_u32 s4, s22, -1
	s_addc_u32 s5, s23, -1
	s_mov_b64 s[6:7], 0
	s_mov_b32 s30, 0
                                        ; implicit-def: $sgpr31
	s_set_inst_prefetch_distance 0x1
	s_branch .LBB495_327
	.p2align	6
.LBB495_325:                            ;   in Loop: Header=BB495_327 Depth=1
	global_load_b32 v37, v[35:36], off
	global_load_b32 v38, v[33:34], off
	v_add_co_u32 v33, vcc_lo, v33, 4
	v_add_co_ci_u32_e32 v34, vcc_lo, 0, v34, vcc_lo
	v_add_co_u32 v35, s2, v35, 4
	s_delay_alu instid0(VALU_DEP_1)
	v_add_co_ci_u32_e64 v36, s2, 0, v36, s2
	s_add_u32 s6, s6, 1
	s_addc_u32 s7, s7, 0
	s_and_not1_b32 s2, s31, exec_lo
	s_waitcnt vmcnt(0)
	v_cmp_ne_u32_e32 vcc_lo, v37, v38
	s_and_b32 s31, vcc_lo, exec_lo
	s_delay_alu instid0(SALU_CYCLE_1)
	s_or_b32 s31, s2, s31
.LBB495_326:                            ;   in Loop: Header=BB495_327 Depth=1
	v_dual_mov_b32 v38, s7 :: v_dual_mov_b32 v37, s6
	s_and_b32 s2, exec_lo, s31
	s_delay_alu instid0(SALU_CYCLE_1) | instskip(NEXT) | instid1(SALU_CYCLE_1)
	s_or_b32 s30, s2, s30
	s_and_not1_b32 exec_lo, exec_lo, s30
	s_cbranch_execz .LBB495_329
.LBB495_327:                            ; =>This Inner Loop Header: Depth=1
	s_or_b32 s31, s31, exec_lo
	s_cmp_eq_u64 s[4:5], s[6:7]
	s_cbranch_scc0 .LBB495_325
; %bb.328:                              ;   in Loop: Header=BB495_327 Depth=1
	s_mov_b64 s[6:7], s[22:23]
                                        ; implicit-def: $vgpr33_vgpr34
                                        ; implicit-def: $vgpr35_vgpr36
	s_branch .LBB495_326
.LBB495_329:
	s_set_inst_prefetch_distance 0x2
	s_or_b32 exec_lo, exec_lo, s30
	v_cmp_gt_i64_e32 vcc_lo, s[22:23], v[37:38]
	s_or_not1_b32 s2, vcc_lo, exec_lo
.LBB495_330:
	s_or_b32 exec_lo, exec_lo, s26
.LBB495_331:
	s_delay_alu instid0(SALU_CYCLE_1)
	s_and_b32 s26, s2, exec_lo
.LBB495_332:
	s_or_b32 exec_lo, exec_lo, s29
	v_or_b32_e32 v33, 3, v55
	s_mov_b32 s30, 0
	s_mov_b32 s29, 0
	s_mov_b32 s31, exec_lo
	s_delay_alu instid0(VALU_DEP_1)
	v_cmpx_gt_u32_e64 s28, v33
	s_cbranch_execz .LBB495_343
; %bb.333:
	s_and_not1_b32 vcc_lo, exec_lo, s18
	s_mov_b32 s2, 0
	s_cbranch_vccnz .LBB495_342
; %bb.334:
	v_mul_lo_u32 v37, v26, s22
	v_mul_lo_u32 v38, v25, s23
	v_mad_u64_u32 v[33:34], null, v25, s22, 0
	v_mul_lo_u32 v39, v28, s22
	v_mul_lo_u32 v40, v27, s23
	v_mad_u64_u32 v[35:36], null, v27, s22, 0
	s_mov_b32 s2, -1
	s_mov_b32 s29, exec_lo
	s_delay_alu instid0(VALU_DEP_4) | instskip(NEXT) | instid1(VALU_DEP_2)
	v_add3_u32 v34, v34, v38, v37
	v_add3_u32 v36, v36, v40, v39
	s_delay_alu instid0(VALU_DEP_2) | instskip(NEXT) | instid1(VALU_DEP_2)
	v_lshlrev_b64 v[33:34], 2, v[33:34]
	v_lshlrev_b64 v[37:38], 2, v[35:36]
	s_delay_alu instid0(VALU_DEP_2) | instskip(NEXT) | instid1(VALU_DEP_3)
	v_add_co_u32 v35, vcc_lo, s8, v33
	v_add_co_ci_u32_e32 v36, vcc_lo, s9, v34, vcc_lo
	s_delay_alu instid0(VALU_DEP_3) | instskip(NEXT) | instid1(VALU_DEP_4)
	v_add_co_u32 v33, vcc_lo, s8, v37
	v_add_co_ci_u32_e32 v34, vcc_lo, s9, v38, vcc_lo
	s_clause 0x1
	global_load_b32 v37, v[35:36], off
	global_load_b32 v38, v[33:34], off
	s_waitcnt vmcnt(0)
	v_cmpx_eq_u32_e64 v37, v38
	s_cbranch_execz .LBB495_341
; %bb.335:
	v_add_co_u32 v33, vcc_lo, v33, 4
	v_add_co_ci_u32_e32 v34, vcc_lo, 0, v34, vcc_lo
	v_add_co_u32 v35, vcc_lo, v35, 4
	v_add_co_ci_u32_e32 v36, vcc_lo, 0, v36, vcc_lo
	s_add_u32 s4, s22, -1
	s_addc_u32 s5, s23, -1
	s_mov_b64 s[6:7], 0
	s_mov_b32 s33, 0
                                        ; implicit-def: $sgpr34
	s_set_inst_prefetch_distance 0x1
	s_branch .LBB495_338
	.p2align	6
.LBB495_336:                            ;   in Loop: Header=BB495_338 Depth=1
	global_load_b32 v37, v[35:36], off
	global_load_b32 v38, v[33:34], off
	v_add_co_u32 v33, vcc_lo, v33, 4
	v_add_co_ci_u32_e32 v34, vcc_lo, 0, v34, vcc_lo
	v_add_co_u32 v35, s2, v35, 4
	s_delay_alu instid0(VALU_DEP_1)
	v_add_co_ci_u32_e64 v36, s2, 0, v36, s2
	s_add_u32 s6, s6, 1
	s_addc_u32 s7, s7, 0
	s_and_not1_b32 s2, s34, exec_lo
	s_waitcnt vmcnt(0)
	v_cmp_ne_u32_e32 vcc_lo, v37, v38
	s_and_b32 s34, vcc_lo, exec_lo
	s_delay_alu instid0(SALU_CYCLE_1)
	s_or_b32 s34, s2, s34
.LBB495_337:                            ;   in Loop: Header=BB495_338 Depth=1
	v_dual_mov_b32 v38, s7 :: v_dual_mov_b32 v37, s6
	s_and_b32 s2, exec_lo, s34
	s_delay_alu instid0(SALU_CYCLE_1) | instskip(NEXT) | instid1(SALU_CYCLE_1)
	s_or_b32 s33, s2, s33
	s_and_not1_b32 exec_lo, exec_lo, s33
	s_cbranch_execz .LBB495_340
.LBB495_338:                            ; =>This Inner Loop Header: Depth=1
	s_or_b32 s34, s34, exec_lo
	s_cmp_eq_u64 s[4:5], s[6:7]
	s_cbranch_scc0 .LBB495_336
; %bb.339:                              ;   in Loop: Header=BB495_338 Depth=1
	s_mov_b64 s[6:7], s[22:23]
                                        ; implicit-def: $vgpr33_vgpr34
                                        ; implicit-def: $vgpr35_vgpr36
	s_branch .LBB495_337
.LBB495_340:
	s_set_inst_prefetch_distance 0x2
	s_or_b32 exec_lo, exec_lo, s33
	v_cmp_gt_i64_e32 vcc_lo, s[22:23], v[37:38]
	s_or_not1_b32 s2, vcc_lo, exec_lo
.LBB495_341:
	s_or_b32 exec_lo, exec_lo, s29
.LBB495_342:
	s_delay_alu instid0(SALU_CYCLE_1)
	s_and_b32 s29, s2, exec_lo
.LBB495_343:
	s_or_b32 exec_lo, exec_lo, s31
	v_or_b32_e32 v33, 2, v55
	s_mov_b32 s31, exec_lo
	s_delay_alu instid0(VALU_DEP_1)
	v_cmpx_gt_u32_e64 s28, v33
	s_cbranch_execz .LBB495_354
; %bb.344:
	s_and_not1_b32 vcc_lo, exec_lo, s18
	s_mov_b32 s2, 0
	s_cbranch_vccnz .LBB495_353
; %bb.345:
	v_mul_lo_u32 v37, v32, s22
	v_mul_lo_u32 v38, v31, s23
	v_mad_u64_u32 v[33:34], null, v31, s22, 0
	v_mul_lo_u32 v39, v26, s22
	v_mul_lo_u32 v40, v25, s23
	v_mad_u64_u32 v[35:36], null, v25, s22, 0
	s_mov_b32 s2, -1
	s_mov_b32 s30, exec_lo
	s_delay_alu instid0(VALU_DEP_4) | instskip(NEXT) | instid1(VALU_DEP_2)
	v_add3_u32 v34, v34, v38, v37
	v_add3_u32 v36, v36, v40, v39
	s_delay_alu instid0(VALU_DEP_2) | instskip(NEXT) | instid1(VALU_DEP_2)
	v_lshlrev_b64 v[33:34], 2, v[33:34]
	v_lshlrev_b64 v[37:38], 2, v[35:36]
	s_delay_alu instid0(VALU_DEP_2) | instskip(NEXT) | instid1(VALU_DEP_3)
	v_add_co_u32 v35, vcc_lo, s8, v33
	v_add_co_ci_u32_e32 v36, vcc_lo, s9, v34, vcc_lo
	s_delay_alu instid0(VALU_DEP_3) | instskip(NEXT) | instid1(VALU_DEP_4)
	v_add_co_u32 v33, vcc_lo, s8, v37
	v_add_co_ci_u32_e32 v34, vcc_lo, s9, v38, vcc_lo
	s_clause 0x1
	global_load_b32 v37, v[35:36], off
	global_load_b32 v38, v[33:34], off
	s_waitcnt vmcnt(0)
	v_cmpx_eq_u32_e64 v37, v38
	s_cbranch_execz .LBB495_352
; %bb.346:
	v_add_co_u32 v33, vcc_lo, v33, 4
	v_add_co_ci_u32_e32 v34, vcc_lo, 0, v34, vcc_lo
	v_add_co_u32 v35, vcc_lo, v35, 4
	v_add_co_ci_u32_e32 v36, vcc_lo, 0, v36, vcc_lo
	s_add_u32 s4, s22, -1
	s_addc_u32 s5, s23, -1
	s_mov_b64 s[6:7], 0
	s_mov_b32 s33, 0
                                        ; implicit-def: $sgpr34
	s_set_inst_prefetch_distance 0x1
	s_branch .LBB495_349
	.p2align	6
.LBB495_347:                            ;   in Loop: Header=BB495_349 Depth=1
	global_load_b32 v37, v[35:36], off
	global_load_b32 v38, v[33:34], off
	v_add_co_u32 v33, vcc_lo, v33, 4
	v_add_co_ci_u32_e32 v34, vcc_lo, 0, v34, vcc_lo
	v_add_co_u32 v35, s2, v35, 4
	s_delay_alu instid0(VALU_DEP_1)
	v_add_co_ci_u32_e64 v36, s2, 0, v36, s2
	s_add_u32 s6, s6, 1
	s_addc_u32 s7, s7, 0
	s_and_not1_b32 s2, s34, exec_lo
	s_waitcnt vmcnt(0)
	v_cmp_ne_u32_e32 vcc_lo, v37, v38
	s_and_b32 s34, vcc_lo, exec_lo
	s_delay_alu instid0(SALU_CYCLE_1)
	s_or_b32 s34, s2, s34
.LBB495_348:                            ;   in Loop: Header=BB495_349 Depth=1
	v_dual_mov_b32 v38, s7 :: v_dual_mov_b32 v37, s6
	s_and_b32 s2, exec_lo, s34
	s_delay_alu instid0(SALU_CYCLE_1) | instskip(NEXT) | instid1(SALU_CYCLE_1)
	s_or_b32 s33, s2, s33
	s_and_not1_b32 exec_lo, exec_lo, s33
	s_cbranch_execz .LBB495_351
.LBB495_349:                            ; =>This Inner Loop Header: Depth=1
	s_or_b32 s34, s34, exec_lo
	s_cmp_eq_u64 s[4:5], s[6:7]
	s_cbranch_scc0 .LBB495_347
; %bb.350:                              ;   in Loop: Header=BB495_349 Depth=1
	s_mov_b64 s[6:7], s[22:23]
                                        ; implicit-def: $vgpr33_vgpr34
                                        ; implicit-def: $vgpr35_vgpr36
	s_branch .LBB495_348
.LBB495_351:
	s_set_inst_prefetch_distance 0x2
	s_or_b32 exec_lo, exec_lo, s33
	v_cmp_gt_i64_e32 vcc_lo, s[22:23], v[37:38]
	s_or_not1_b32 s2, vcc_lo, exec_lo
.LBB495_352:
	s_or_b32 exec_lo, exec_lo, s30
.LBB495_353:
	s_delay_alu instid0(SALU_CYCLE_1)
	s_and_b32 s30, s2, exec_lo
.LBB495_354:
	s_or_b32 exec_lo, exec_lo, s31
	v_or_b32_e32 v33, 1, v55
	s_mov_b32 s2, 0
	s_mov_b32 s31, exec_lo
	s_delay_alu instid0(VALU_DEP_1)
	v_cmpx_gt_u32_e64 s28, v33
	s_cbranch_execz .LBB495_365
; %bb.355:
	s_and_not1_b32 vcc_lo, exec_lo, s18
	s_cbranch_vccnz .LBB495_364
; %bb.356:
	v_mul_lo_u32 v37, v30, s22
	v_mul_lo_u32 v38, v29, s23
	v_mad_u64_u32 v[33:34], null, v29, s22, 0
	v_mul_lo_u32 v39, v32, s22
	v_mul_lo_u32 v40, v31, s23
	v_mad_u64_u32 v[35:36], null, v31, s22, 0
	s_mov_b32 s2, -1
	s_mov_b32 s33, exec_lo
	s_delay_alu instid0(VALU_DEP_4) | instskip(NEXT) | instid1(VALU_DEP_2)
	v_add3_u32 v34, v34, v38, v37
	v_add3_u32 v36, v36, v40, v39
	s_delay_alu instid0(VALU_DEP_2) | instskip(NEXT) | instid1(VALU_DEP_2)
	v_lshlrev_b64 v[33:34], 2, v[33:34]
	v_lshlrev_b64 v[37:38], 2, v[35:36]
	s_delay_alu instid0(VALU_DEP_2) | instskip(NEXT) | instid1(VALU_DEP_3)
	v_add_co_u32 v35, vcc_lo, s8, v33
	v_add_co_ci_u32_e32 v36, vcc_lo, s9, v34, vcc_lo
	s_delay_alu instid0(VALU_DEP_3) | instskip(NEXT) | instid1(VALU_DEP_4)
	v_add_co_u32 v33, vcc_lo, s8, v37
	v_add_co_ci_u32_e32 v34, vcc_lo, s9, v38, vcc_lo
	s_clause 0x1
	global_load_b32 v37, v[35:36], off
	global_load_b32 v38, v[33:34], off
	s_waitcnt vmcnt(0)
	v_cmpx_eq_u32_e64 v37, v38
	s_cbranch_execz .LBB495_363
; %bb.357:
	v_add_co_u32 v33, vcc_lo, v33, 4
	v_add_co_ci_u32_e32 v34, vcc_lo, 0, v34, vcc_lo
	v_add_co_u32 v35, vcc_lo, v35, 4
	v_add_co_ci_u32_e32 v36, vcc_lo, 0, v36, vcc_lo
	s_add_u32 s4, s22, -1
	s_addc_u32 s5, s23, -1
	s_mov_b64 s[6:7], 0
	s_mov_b32 s34, 0
                                        ; implicit-def: $sgpr35
	s_set_inst_prefetch_distance 0x1
	s_branch .LBB495_360
	.p2align	6
.LBB495_358:                            ;   in Loop: Header=BB495_360 Depth=1
	global_load_b32 v37, v[35:36], off
	global_load_b32 v38, v[33:34], off
	v_add_co_u32 v33, vcc_lo, v33, 4
	v_add_co_ci_u32_e32 v34, vcc_lo, 0, v34, vcc_lo
	v_add_co_u32 v35, s2, v35, 4
	s_delay_alu instid0(VALU_DEP_1)
	v_add_co_ci_u32_e64 v36, s2, 0, v36, s2
	s_add_u32 s6, s6, 1
	s_addc_u32 s7, s7, 0
	s_and_not1_b32 s2, s35, exec_lo
	s_waitcnt vmcnt(0)
	v_cmp_ne_u32_e32 vcc_lo, v37, v38
	s_and_b32 s35, vcc_lo, exec_lo
	s_delay_alu instid0(SALU_CYCLE_1)
	s_or_b32 s35, s2, s35
.LBB495_359:                            ;   in Loop: Header=BB495_360 Depth=1
	v_dual_mov_b32 v38, s7 :: v_dual_mov_b32 v37, s6
	s_and_b32 s2, exec_lo, s35
	s_delay_alu instid0(SALU_CYCLE_1) | instskip(NEXT) | instid1(SALU_CYCLE_1)
	s_or_b32 s34, s2, s34
	s_and_not1_b32 exec_lo, exec_lo, s34
	s_cbranch_execz .LBB495_362
.LBB495_360:                            ; =>This Inner Loop Header: Depth=1
	s_or_b32 s35, s35, exec_lo
	s_cmp_eq_u64 s[4:5], s[6:7]
	s_cbranch_scc0 .LBB495_358
; %bb.361:                              ;   in Loop: Header=BB495_360 Depth=1
	s_mov_b64 s[6:7], s[22:23]
                                        ; implicit-def: $vgpr33_vgpr34
                                        ; implicit-def: $vgpr35_vgpr36
	s_branch .LBB495_359
.LBB495_362:
	s_set_inst_prefetch_distance 0x2
	s_or_b32 exec_lo, exec_lo, s34
	v_cmp_gt_i64_e32 vcc_lo, s[22:23], v[37:38]
	s_or_not1_b32 s2, vcc_lo, exec_lo
.LBB495_363:
	s_or_b32 exec_lo, exec_lo, s33
.LBB495_364:
	s_delay_alu instid0(SALU_CYCLE_1)
	s_and_b32 s2, s2, exec_lo
.LBB495_365:
	s_or_b32 exec_lo, exec_lo, s31
	v_cndmask_b32_e64 v34, 0, 1, s29
	v_cndmask_b32_e64 v35, 0, 1, s27
	;; [unrolled: 1-line block ×7, first 2 shown]
	v_lshlrev_b16 v35, 8, v35
	v_lshlrev_b16 v36, 8, v36
	v_lshlrev_b16 v37, 8, v37
	v_lshlrev_b16 v34, 8, v34
	s_mov_b32 s19, exec_lo
	v_or_b32_e32 v35, v38, v35
	v_or_b32_e32 v36, v39, v36
	;; [unrolled: 1-line block ×4, first 2 shown]
	s_waitcnt lgkmcnt(0)
	v_and_b32_e32 v34, 0xffff, v35
	v_lshlrev_b32_e32 v35, 16, v36
	v_and_b32_e32 v36, 0xffff, v37
	v_lshlrev_b32_e32 v33, 16, v33
	s_barrier
	buffer_gl0_inv
	v_or_b32_e32 v34, v34, v35
                                        ; implicit-def: $sgpr2
	v_or_b32_e32 v33, v36, v33
	v_cmpx_ne_u32_e32 0, v0
	s_cbranch_execz .LBB495_378
; %bb.366:
	s_mov_b32 s2, 0
	s_mov_b32 s25, exec_lo
	v_cmpx_gt_u32_e64 s28, v55
	s_cbranch_execz .LBB495_377
; %bb.367:
	s_and_not1_b32 vcc_lo, exec_lo, s18
	s_cbranch_vccnz .LBB495_376
; %bb.368:
	v_add_nc_u32_e32 v35, -8, v55
	v_mul_lo_u32 v42, v29, s23
	v_mad_u64_u32 v[38:39], null, v29, s22, 0
	s_mov_b32 s2, -1
	ds_load_b64 v[35:36], v35
	s_waitcnt lgkmcnt(0)
	v_mul_lo_u32 v40, v36, s22
	v_mul_lo_u32 v41, v35, s23
	v_mad_u64_u32 v[36:37], null, v35, s22, 0
	v_mul_lo_u32 v35, v30, s22
	s_delay_alu instid0(VALU_DEP_2) | instskip(NEXT) | instid1(VALU_DEP_2)
	v_add3_u32 v37, v37, v41, v40
	v_add3_u32 v39, v39, v42, v35
	s_delay_alu instid0(VALU_DEP_2) | instskip(NEXT) | instid1(VALU_DEP_2)
	v_lshlrev_b64 v[35:36], 2, v[36:37]
	v_lshlrev_b64 v[39:40], 2, v[38:39]
	s_delay_alu instid0(VALU_DEP_2) | instskip(NEXT) | instid1(VALU_DEP_3)
	v_add_co_u32 v37, vcc_lo, s8, v35
	v_add_co_ci_u32_e32 v38, vcc_lo, s9, v36, vcc_lo
	s_delay_alu instid0(VALU_DEP_3) | instskip(NEXT) | instid1(VALU_DEP_4)
	v_add_co_u32 v35, vcc_lo, s8, v39
	v_add_co_ci_u32_e32 v36, vcc_lo, s9, v40, vcc_lo
	s_clause 0x1
	global_load_b32 v39, v[37:38], off
	global_load_b32 v40, v[35:36], off
	s_mov_b32 s8, exec_lo
	s_waitcnt vmcnt(0)
	v_cmpx_eq_u32_e64 v39, v40
	s_cbranch_execz .LBB495_375
; %bb.369:
	v_add_co_u32 v35, vcc_lo, v35, 4
	v_add_co_ci_u32_e32 v36, vcc_lo, 0, v36, vcc_lo
	v_add_co_u32 v37, vcc_lo, v37, 4
	v_add_co_ci_u32_e32 v38, vcc_lo, 0, v38, vcc_lo
	s_add_u32 s4, s22, -1
	s_addc_u32 s5, s23, -1
	s_mov_b64 s[6:7], 0
	s_mov_b32 s9, 0
                                        ; implicit-def: $sgpr18
	s_set_inst_prefetch_distance 0x1
	s_branch .LBB495_372
	.p2align	6
.LBB495_370:                            ;   in Loop: Header=BB495_372 Depth=1
	global_load_b32 v39, v[37:38], off
	global_load_b32 v40, v[35:36], off
	v_add_co_u32 v35, vcc_lo, v35, 4
	v_add_co_ci_u32_e32 v36, vcc_lo, 0, v36, vcc_lo
	v_add_co_u32 v37, s2, v37, 4
	s_delay_alu instid0(VALU_DEP_1)
	v_add_co_ci_u32_e64 v38, s2, 0, v38, s2
	s_add_u32 s6, s6, 1
	s_addc_u32 s7, s7, 0
	s_and_not1_b32 s2, s18, exec_lo
	s_waitcnt vmcnt(0)
	v_cmp_ne_u32_e32 vcc_lo, v39, v40
	s_and_b32 s18, vcc_lo, exec_lo
	s_delay_alu instid0(SALU_CYCLE_1)
	s_or_b32 s18, s2, s18
.LBB495_371:                            ;   in Loop: Header=BB495_372 Depth=1
	v_dual_mov_b32 v40, s7 :: v_dual_mov_b32 v39, s6
	s_and_b32 s2, exec_lo, s18
	s_delay_alu instid0(SALU_CYCLE_1) | instskip(NEXT) | instid1(SALU_CYCLE_1)
	s_or_b32 s9, s2, s9
	s_and_not1_b32 exec_lo, exec_lo, s9
	s_cbranch_execz .LBB495_374
.LBB495_372:                            ; =>This Inner Loop Header: Depth=1
	s_or_b32 s18, s18, exec_lo
	s_cmp_eq_u64 s[4:5], s[6:7]
	s_cbranch_scc0 .LBB495_370
; %bb.373:                              ;   in Loop: Header=BB495_372 Depth=1
	s_mov_b64 s[6:7], s[22:23]
                                        ; implicit-def: $vgpr35_vgpr36
                                        ; implicit-def: $vgpr37_vgpr38
	s_branch .LBB495_371
.LBB495_374:
	s_set_inst_prefetch_distance 0x2
	s_or_b32 exec_lo, exec_lo, s9
	v_cmp_gt_i64_e32 vcc_lo, s[22:23], v[39:40]
	s_or_not1_b32 s2, vcc_lo, exec_lo
.LBB495_375:
	s_or_b32 exec_lo, exec_lo, s8
.LBB495_376:
	s_delay_alu instid0(SALU_CYCLE_1)
	s_and_b32 s2, s2, exec_lo
.LBB495_377:
	s_or_b32 exec_lo, exec_lo, s25
	s_delay_alu instid0(SALU_CYCLE_1)
	s_and_b32 s2, s2, exec_lo
	s_or_b32 s3, s3, exec_lo
.LBB495_378:
	s_or_b32 exec_lo, exec_lo, s19
.LBB495_379:
	s_and_saveexec_b32 s4, s3
; %bb.380:
	v_and_b32_e32 v35, 0xffffff00, v33
	v_cndmask_b32_e64 v36, 0, 1, s2
	s_delay_alu instid0(VALU_DEP_1) | instskip(NEXT) | instid1(VALU_DEP_1)
	v_or_b32_e32 v35, v36, v35
	v_and_b32_e32 v35, 0xffff, v35
	s_delay_alu instid0(VALU_DEP_1)
	v_and_or_b32 v33, 0xffff0000, v33, v35
; %bb.381:
	s_or_b32 exec_lo, exec_lo, s4
	s_delay_alu instid0(SALU_CYCLE_1)
	s_and_not1_b32 vcc_lo, exec_lo, s21
	s_cbranch_vccnz .LBB495_383
; %bb.382:
	v_cmp_gt_u32_e32 vcc_lo, s28, v55
	v_or_b32_e32 v36, 1, v55
	v_and_b32_e32 v37, 0xffffff00, v34
	v_or_b32_e32 v38, 2, v55
	v_cndmask_b32_e32 v35, 0, v33, vcc_lo
	s_delay_alu instid0(VALU_DEP_4) | instskip(SKIP_1) | instid1(VALU_DEP_4)
	v_cmp_gt_u32_e32 vcc_lo, s28, v36
	v_or_b32_e32 v36, 4, v55
	v_cmp_gt_u32_e64 s2, s28, v38
	v_or_b32_e32 v38, 3, v55
	v_and_b32_e32 v35, 0xff, v35
	s_delay_alu instid0(VALU_DEP_2) | instskip(NEXT) | instid1(VALU_DEP_2)
	v_cmp_gt_u32_e64 s3, s28, v38
	v_cndmask_b32_e32 v35, v35, v33, vcc_lo
	v_cmp_gt_u32_e32 vcc_lo, s28, v36
	v_cndmask_b32_e32 v36, v37, v34, vcc_lo
	v_or_b32_e32 v37, 5, v55
	s_delay_alu instid0(VALU_DEP_2) | instskip(SKIP_1) | instid1(VALU_DEP_1)
	v_and_b32_e32 v36, 0xffff00ff, v36
	v_and_b32_e32 v35, 0xffff, v35
	v_cndmask_b32_e64 v35, v35, v33, s2
	s_delay_alu instid0(VALU_DEP_4) | instskip(SKIP_1) | instid1(VALU_DEP_3)
	v_cmp_gt_u32_e64 s2, s28, v37
	v_or_b32_e32 v37, 6, v55
	v_and_b32_e32 v35, 0xffffff, v35
	s_delay_alu instid0(VALU_DEP_3) | instskip(NEXT) | instid1(VALU_DEP_2)
	v_cndmask_b32_e64 v36, v36, v34, s2
	v_cndmask_b32_e64 v35, v35, v33, s3
	s_delay_alu instid0(VALU_DEP_1) | instskip(SKIP_2) | instid1(VALU_DEP_3)
	v_dual_cndmask_b32 v35, v35, v33 :: v_dual_and_b32 v36, 0xff00ffff, v36
	v_cmp_gt_u32_e32 vcc_lo, s28, v37
	v_or_b32_e32 v37, 7, v55
	v_cndmask_b32_e64 v35, v35, v33, s2
	s_delay_alu instid0(VALU_DEP_1) | instskip(NEXT) | instid1(VALU_DEP_1)
	v_dual_cndmask_b32 v36, v36, v34 :: v_dual_cndmask_b32 v35, v35, v33
	v_and_b32_e32 v36, 0xffffff, v36
	s_delay_alu instid0(VALU_DEP_4) | instskip(NEXT) | instid1(VALU_DEP_2)
	v_cmp_gt_u32_e32 vcc_lo, s28, v37
	v_dual_cndmask_b32 v34, v36, v34 :: v_dual_cndmask_b32 v33, v35, v33
.LBB495_383:
	s_delay_alu instid0(VALU_DEP_1) | instskip(NEXT) | instid1(VALU_DEP_2)
	v_and_b32_e32 v42, 0xff, v33
	v_alignbit_b32 v35, v34, v33, 24
	v_bfe_u32 v44, v33, 8, 8
	v_bfe_u32 v46, v33, 16, 8
	v_and_b32_e32 v50, 0xff, v34
	v_bfe_u32 v52, v34, 8, 8
	v_and_b32_e32 v48, 0xff, v35
	v_add_nc_u32_e32 v35, v44, v42
	v_mbcnt_lo_u32_b32 v57, -1, 0
	v_bfe_u32 v54, v34, 16, 8
	v_lshrrev_b32_e32 v56, 24, v34
	v_lshrrev_b32_e32 v58, 5, v0
	v_add3_u32 v35, v35, v46, v48
	v_and_b32_e32 v36, 15, v57
	v_and_b32_e32 v37, 16, v57
	s_and_b32 vcc_lo, exec_lo, s24
	s_mov_b32 s9, -1
	v_add3_u32 v35, v35, v50, v52
	v_cmp_eq_u32_e64 s4, 0, v36
	v_cmp_lt_u32_e64 s2, 1, v36
	v_cmp_lt_u32_e64 s5, 3, v36
	;; [unrolled: 1-line block ×3, first 2 shown]
	v_add3_u32 v59, v35, v54, v56
	v_or_b32_e32 v35, 31, v0
	v_cmp_eq_u32_e64 s7, 0, v37
	s_waitcnt lgkmcnt(0)
	s_barrier
	buffer_gl0_inv
	v_cmp_eq_u32_e64 s6, v35, v0
	s_cbranch_vccz .LBB495_414
; %bb.384:
	v_mov_b32_dpp v35, v59 row_shr:1 row_mask:0xf bank_mask:0xf
	s_delay_alu instid0(VALU_DEP_1) | instskip(NEXT) | instid1(VALU_DEP_1)
	v_cndmask_b32_e64 v35, v35, 0, s4
	v_add_nc_u32_e32 v35, v35, v59
	s_delay_alu instid0(VALU_DEP_1) | instskip(NEXT) | instid1(VALU_DEP_1)
	v_mov_b32_dpp v36, v35 row_shr:2 row_mask:0xf bank_mask:0xf
	v_cndmask_b32_e64 v36, 0, v36, s2
	s_delay_alu instid0(VALU_DEP_1) | instskip(NEXT) | instid1(VALU_DEP_1)
	v_add_nc_u32_e32 v35, v35, v36
	v_mov_b32_dpp v36, v35 row_shr:4 row_mask:0xf bank_mask:0xf
	s_delay_alu instid0(VALU_DEP_1) | instskip(NEXT) | instid1(VALU_DEP_1)
	v_cndmask_b32_e64 v36, 0, v36, s5
	v_add_nc_u32_e32 v35, v35, v36
	s_delay_alu instid0(VALU_DEP_1) | instskip(NEXT) | instid1(VALU_DEP_1)
	v_mov_b32_dpp v36, v35 row_shr:8 row_mask:0xf bank_mask:0xf
	v_cndmask_b32_e64 v36, 0, v36, s3
	s_delay_alu instid0(VALU_DEP_1) | instskip(SKIP_3) | instid1(VALU_DEP_1)
	v_add_nc_u32_e32 v35, v35, v36
	ds_swizzle_b32 v36, v35 offset:swizzle(BROADCAST,32,15)
	s_waitcnt lgkmcnt(0)
	v_cndmask_b32_e64 v36, v36, 0, s7
	v_add_nc_u32_e32 v35, v35, v36
	s_and_saveexec_b32 s8, s6
	s_cbranch_execz .LBB495_386
; %bb.385:
	v_lshlrev_b32_e32 v36, 2, v58
	ds_store_b32 v36, v35
.LBB495_386:
	s_or_b32 exec_lo, exec_lo, s8
	s_delay_alu instid0(SALU_CYCLE_1)
	s_mov_b32 s8, exec_lo
	s_waitcnt lgkmcnt(0)
	s_barrier
	buffer_gl0_inv
	v_cmpx_gt_u32_e32 16, v0
	s_cbranch_execz .LBB495_388
; %bb.387:
	v_lshlrev_b32_e32 v36, 2, v0
	ds_load_b32 v37, v36
	s_waitcnt lgkmcnt(0)
	v_mov_b32_dpp v38, v37 row_shr:1 row_mask:0xf bank_mask:0xf
	s_delay_alu instid0(VALU_DEP_1) | instskip(NEXT) | instid1(VALU_DEP_1)
	v_cndmask_b32_e64 v38, v38, 0, s4
	v_add_nc_u32_e32 v37, v38, v37
	s_delay_alu instid0(VALU_DEP_1) | instskip(NEXT) | instid1(VALU_DEP_1)
	v_mov_b32_dpp v38, v37 row_shr:2 row_mask:0xf bank_mask:0xf
	v_cndmask_b32_e64 v38, 0, v38, s2
	s_delay_alu instid0(VALU_DEP_1) | instskip(NEXT) | instid1(VALU_DEP_1)
	v_add_nc_u32_e32 v37, v37, v38
	v_mov_b32_dpp v38, v37 row_shr:4 row_mask:0xf bank_mask:0xf
	s_delay_alu instid0(VALU_DEP_1) | instskip(NEXT) | instid1(VALU_DEP_1)
	v_cndmask_b32_e64 v38, 0, v38, s5
	v_add_nc_u32_e32 v37, v37, v38
	s_delay_alu instid0(VALU_DEP_1) | instskip(NEXT) | instid1(VALU_DEP_1)
	v_mov_b32_dpp v38, v37 row_shr:8 row_mask:0xf bank_mask:0xf
	v_cndmask_b32_e64 v38, 0, v38, s3
	s_delay_alu instid0(VALU_DEP_1)
	v_add_nc_u32_e32 v37, v37, v38
	ds_store_b32 v36, v37
.LBB495_388:
	s_or_b32 exec_lo, exec_lo, s8
	v_cmp_gt_u32_e32 vcc_lo, 32, v0
	s_mov_b32 s9, exec_lo
	s_waitcnt lgkmcnt(0)
	s_barrier
	buffer_gl0_inv
                                        ; implicit-def: $vgpr43
	v_cmpx_lt_u32_e32 31, v0
	s_cbranch_execz .LBB495_390
; %bb.389:
	v_lshl_add_u32 v36, v58, 2, -4
	ds_load_b32 v43, v36
	s_waitcnt lgkmcnt(0)
	v_add_nc_u32_e32 v35, v43, v35
.LBB495_390:
	s_or_b32 exec_lo, exec_lo, s9
	v_add_nc_u32_e32 v36, -1, v57
	s_delay_alu instid0(VALU_DEP_1) | instskip(NEXT) | instid1(VALU_DEP_1)
	v_cmp_gt_i32_e64 s8, 0, v36
	v_cndmask_b32_e64 v36, v36, v57, s8
	v_cmp_eq_u32_e64 s8, 0, v57
	s_delay_alu instid0(VALU_DEP_2)
	v_lshlrev_b32_e32 v36, 2, v36
	ds_bpermute_b32 v45, v36, v35
	s_and_saveexec_b32 s9, vcc_lo
	s_cbranch_execz .LBB495_413
; %bb.391:
	v_mov_b32_e32 v38, 0
	ds_load_b32 v35, v38 offset:60
	s_and_saveexec_b32 s18, s8
	s_cbranch_execz .LBB495_393
; %bb.392:
	s_add_i32 s22, s15, 32
	s_mov_b32 s23, 0
	v_mov_b32_e32 v36, 1
	s_lshl_b64 s[22:23], s[22:23], 3
	s_delay_alu instid0(SALU_CYCLE_1)
	s_add_u32 s22, s10, s22
	s_addc_u32 s23, s11, s23
	s_waitcnt lgkmcnt(0)
	global_store_b64 v38, v[35:36], s[22:23]
.LBB495_393:
	s_or_b32 exec_lo, exec_lo, s18
	v_xad_u32 v36, v57, -1, s15
	s_mov_b32 s19, 0
	s_mov_b32 s18, exec_lo
	s_delay_alu instid0(VALU_DEP_1) | instskip(NEXT) | instid1(VALU_DEP_1)
	v_add_nc_u32_e32 v37, 32, v36
	v_lshlrev_b64 v[37:38], 3, v[37:38]
	s_delay_alu instid0(VALU_DEP_1) | instskip(NEXT) | instid1(VALU_DEP_2)
	v_add_co_u32 v40, vcc_lo, s10, v37
	v_add_co_ci_u32_e32 v41, vcc_lo, s11, v38, vcc_lo
	global_load_b64 v[38:39], v[40:41], off glc
	s_waitcnt vmcnt(0)
	v_and_b32_e32 v37, 0xff, v39
	s_delay_alu instid0(VALU_DEP_1)
	v_cmpx_eq_u16_e32 0, v37
	s_cbranch_execz .LBB495_399
; %bb.394:
	s_mov_b32 s21, 1
	.p2align	6
.LBB495_395:                            ; =>This Loop Header: Depth=1
                                        ;     Child Loop BB495_396 Depth 2
	s_delay_alu instid0(SALU_CYCLE_1)
	s_max_u32 s22, s21, 1
.LBB495_396:                            ;   Parent Loop BB495_395 Depth=1
                                        ; =>  This Inner Loop Header: Depth=2
	s_delay_alu instid0(SALU_CYCLE_1)
	s_add_i32 s22, s22, -1
	s_sleep 1
	s_cmp_eq_u32 s22, 0
	s_cbranch_scc0 .LBB495_396
; %bb.397:                              ;   in Loop: Header=BB495_395 Depth=1
	global_load_b64 v[38:39], v[40:41], off glc
	s_cmp_lt_u32 s21, 32
	s_cselect_b32 s22, -1, 0
	s_delay_alu instid0(SALU_CYCLE_1) | instskip(SKIP_3) | instid1(VALU_DEP_1)
	s_cmp_lg_u32 s22, 0
	s_addc_u32 s21, s21, 0
	s_waitcnt vmcnt(0)
	v_and_b32_e32 v37, 0xff, v39
	v_cmp_ne_u16_e32 vcc_lo, 0, v37
	s_or_b32 s19, vcc_lo, s19
	s_delay_alu instid0(SALU_CYCLE_1)
	s_and_not1_b32 exec_lo, exec_lo, s19
	s_cbranch_execnz .LBB495_395
; %bb.398:
	s_or_b32 exec_lo, exec_lo, s19
.LBB495_399:
	s_delay_alu instid0(SALU_CYCLE_1)
	s_or_b32 exec_lo, exec_lo, s18
	v_cmp_ne_u32_e32 vcc_lo, 31, v57
	v_lshlrev_b32_e64 v49, v57, -1
	v_add_nc_u32_e32 v53, 2, v57
	v_add_nc_u32_e32 v62, 4, v57
	;; [unrolled: 1-line block ×3, first 2 shown]
	v_add_co_ci_u32_e32 v37, vcc_lo, 0, v57, vcc_lo
	v_add_nc_u32_e32 v66, 16, v57
	s_delay_alu instid0(VALU_DEP_2)
	v_lshlrev_b32_e32 v47, 2, v37
	v_and_b32_e32 v37, 0xff, v39
	ds_bpermute_b32 v40, v47, v38
	v_cmp_eq_u16_e32 vcc_lo, 2, v37
	v_and_or_b32 v37, vcc_lo, v49, 0x80000000
	v_cmp_gt_u32_e32 vcc_lo, 30, v57
	s_delay_alu instid0(VALU_DEP_2) | instskip(SKIP_1) | instid1(VALU_DEP_2)
	v_ctz_i32_b32_e32 v37, v37
	v_cndmask_b32_e64 v41, 0, 1, vcc_lo
	v_cmp_lt_u32_e32 vcc_lo, v57, v37
	s_waitcnt lgkmcnt(0)
	s_delay_alu instid0(VALU_DEP_2) | instskip(NEXT) | instid1(VALU_DEP_1)
	v_dual_cndmask_b32 v40, 0, v40 :: v_dual_lshlrev_b32 v41, 1, v41
	v_add_lshl_u32 v51, v41, v57, 2
	v_cmp_gt_u32_e32 vcc_lo, 28, v57
	s_delay_alu instid0(VALU_DEP_3) | instskip(SKIP_4) | instid1(VALU_DEP_1)
	v_add_nc_u32_e32 v38, v40, v38
	v_cndmask_b32_e64 v41, 0, 1, vcc_lo
	v_cmp_le_u32_e32 vcc_lo, v53, v37
	ds_bpermute_b32 v40, v51, v38
	v_lshlrev_b32_e32 v41, 2, v41
	v_add_lshl_u32 v60, v41, v57, 2
	s_waitcnt lgkmcnt(0)
	v_cndmask_b32_e32 v40, 0, v40, vcc_lo
	v_cmp_gt_u32_e32 vcc_lo, 24, v57
	s_delay_alu instid0(VALU_DEP_2) | instskip(SKIP_4) | instid1(VALU_DEP_1)
	v_add_nc_u32_e32 v38, v38, v40
	v_cndmask_b32_e64 v41, 0, 1, vcc_lo
	v_cmp_le_u32_e32 vcc_lo, v62, v37
	ds_bpermute_b32 v40, v60, v38
	v_lshlrev_b32_e32 v41, 3, v41
	v_add_lshl_u32 v63, v41, v57, 2
	s_waitcnt lgkmcnt(0)
	v_cndmask_b32_e32 v40, 0, v40, vcc_lo
	v_cmp_gt_u32_e32 vcc_lo, 16, v57
	s_delay_alu instid0(VALU_DEP_2) | instskip(SKIP_4) | instid1(VALU_DEP_1)
	v_add_nc_u32_e32 v38, v38, v40
	v_cndmask_b32_e64 v41, 0, 1, vcc_lo
	v_cmp_le_u32_e32 vcc_lo, v64, v37
	ds_bpermute_b32 v40, v63, v38
	v_lshlrev_b32_e32 v41, 4, v41
	v_add_lshl_u32 v65, v41, v57, 2
	s_waitcnt lgkmcnt(0)
	v_cndmask_b32_e32 v40, 0, v40, vcc_lo
	v_cmp_le_u32_e32 vcc_lo, v66, v37
	s_delay_alu instid0(VALU_DEP_2) | instskip(SKIP_3) | instid1(VALU_DEP_1)
	v_add_nc_u32_e32 v38, v38, v40
	ds_bpermute_b32 v40, v65, v38
	s_waitcnt lgkmcnt(0)
	v_cndmask_b32_e32 v37, 0, v40, vcc_lo
	v_dual_mov_b32 v37, 0 :: v_dual_add_nc_u32 v38, v38, v37
	s_branch .LBB495_401
.LBB495_400:                            ;   in Loop: Header=BB495_401 Depth=1
	s_or_b32 exec_lo, exec_lo, s18
	ds_bpermute_b32 v41, v47, v38
	v_and_b32_e32 v40, 0xff, v39
	v_subrev_nc_u32_e32 v36, 32, v36
	s_delay_alu instid0(VALU_DEP_2) | instskip(SKIP_1) | instid1(VALU_DEP_1)
	v_cmp_eq_u16_e32 vcc_lo, 2, v40
	v_and_or_b32 v40, vcc_lo, v49, 0x80000000
	v_ctz_i32_b32_e32 v40, v40
	s_delay_alu instid0(VALU_DEP_1) | instskip(SKIP_3) | instid1(VALU_DEP_2)
	v_cmp_lt_u32_e32 vcc_lo, v57, v40
	s_waitcnt lgkmcnt(0)
	v_cndmask_b32_e32 v41, 0, v41, vcc_lo
	v_cmp_le_u32_e32 vcc_lo, v53, v40
	v_add_nc_u32_e32 v38, v41, v38
	ds_bpermute_b32 v41, v51, v38
	s_waitcnt lgkmcnt(0)
	v_cndmask_b32_e32 v41, 0, v41, vcc_lo
	v_cmp_le_u32_e32 vcc_lo, v62, v40
	s_delay_alu instid0(VALU_DEP_2) | instskip(SKIP_4) | instid1(VALU_DEP_2)
	v_add_nc_u32_e32 v38, v38, v41
	ds_bpermute_b32 v41, v60, v38
	s_waitcnt lgkmcnt(0)
	v_cndmask_b32_e32 v41, 0, v41, vcc_lo
	v_cmp_le_u32_e32 vcc_lo, v64, v40
	v_add_nc_u32_e32 v38, v38, v41
	ds_bpermute_b32 v41, v63, v38
	s_waitcnt lgkmcnt(0)
	v_cndmask_b32_e32 v41, 0, v41, vcc_lo
	v_cmp_le_u32_e32 vcc_lo, v66, v40
	s_delay_alu instid0(VALU_DEP_2) | instskip(SKIP_3) | instid1(VALU_DEP_1)
	v_add_nc_u32_e32 v38, v38, v41
	ds_bpermute_b32 v41, v65, v38
	s_waitcnt lgkmcnt(0)
	v_cndmask_b32_e32 v40, 0, v41, vcc_lo
	v_add3_u32 v38, v40, v61, v38
.LBB495_401:                            ; =>This Loop Header: Depth=1
                                        ;     Child Loop BB495_404 Depth 2
                                        ;       Child Loop BB495_405 Depth 3
	v_and_b32_e32 v39, 0xff, v39
	s_delay_alu instid0(VALU_DEP_2) | instskip(NEXT) | instid1(VALU_DEP_2)
	v_mov_b32_e32 v61, v38
	v_cmp_ne_u16_e32 vcc_lo, 2, v39
	v_cndmask_b32_e64 v39, 0, 1, vcc_lo
	;;#ASMSTART
	;;#ASMEND
	s_delay_alu instid0(VALU_DEP_1)
	v_cmp_ne_u32_e32 vcc_lo, 0, v39
	s_cmp_lg_u32 vcc_lo, exec_lo
	s_cbranch_scc1 .LBB495_408
; %bb.402:                              ;   in Loop: Header=BB495_401 Depth=1
	v_lshlrev_b64 v[38:39], 3, v[36:37]
	s_mov_b32 s18, exec_lo
	s_delay_alu instid0(VALU_DEP_1) | instskip(NEXT) | instid1(VALU_DEP_2)
	v_add_co_u32 v40, vcc_lo, s10, v38
	v_add_co_ci_u32_e32 v41, vcc_lo, s11, v39, vcc_lo
	global_load_b64 v[38:39], v[40:41], off glc
	s_waitcnt vmcnt(0)
	v_and_b32_e32 v67, 0xff, v39
	s_delay_alu instid0(VALU_DEP_1)
	v_cmpx_eq_u16_e32 0, v67
	s_cbranch_execz .LBB495_400
; %bb.403:                              ;   in Loop: Header=BB495_401 Depth=1
	s_mov_b32 s21, 1
	s_mov_b32 s19, 0
	.p2align	6
.LBB495_404:                            ;   Parent Loop BB495_401 Depth=1
                                        ; =>  This Loop Header: Depth=2
                                        ;       Child Loop BB495_405 Depth 3
	s_max_u32 s22, s21, 1
.LBB495_405:                            ;   Parent Loop BB495_401 Depth=1
                                        ;     Parent Loop BB495_404 Depth=2
                                        ; =>    This Inner Loop Header: Depth=3
	s_delay_alu instid0(SALU_CYCLE_1)
	s_add_i32 s22, s22, -1
	s_sleep 1
	s_cmp_eq_u32 s22, 0
	s_cbranch_scc0 .LBB495_405
; %bb.406:                              ;   in Loop: Header=BB495_404 Depth=2
	global_load_b64 v[38:39], v[40:41], off glc
	s_cmp_lt_u32 s21, 32
	s_cselect_b32 s22, -1, 0
	s_delay_alu instid0(SALU_CYCLE_1) | instskip(SKIP_3) | instid1(VALU_DEP_1)
	s_cmp_lg_u32 s22, 0
	s_addc_u32 s21, s21, 0
	s_waitcnt vmcnt(0)
	v_and_b32_e32 v67, 0xff, v39
	v_cmp_ne_u16_e32 vcc_lo, 0, v67
	s_or_b32 s19, vcc_lo, s19
	s_delay_alu instid0(SALU_CYCLE_1)
	s_and_not1_b32 exec_lo, exec_lo, s19
	s_cbranch_execnz .LBB495_404
; %bb.407:                              ;   in Loop: Header=BB495_401 Depth=1
	s_or_b32 exec_lo, exec_lo, s19
	s_branch .LBB495_400
.LBB495_408:                            ;   in Loop: Header=BB495_401 Depth=1
                                        ; implicit-def: $vgpr38
                                        ; implicit-def: $vgpr39
	s_cbranch_execz .LBB495_401
; %bb.409:
	s_and_saveexec_b32 s18, s8
	s_cbranch_execz .LBB495_411
; %bb.410:
	s_add_i32 s22, s15, 32
	s_mov_b32 s23, 0
	v_dual_mov_b32 v37, 2 :: v_dual_add_nc_u32 v36, v61, v35
	s_lshl_b64 s[22:23], s[22:23], 3
	v_mov_b32_e32 v38, 0
	v_add_nc_u32_e64 v39, 0x8400, 0
	s_add_u32 s22, s10, s22
	s_addc_u32 s23, s11, s23
	global_store_b64 v38, v[36:37], s[22:23]
	ds_store_2addr_b32 v39, v35, v61 offset1:2
.LBB495_411:
	s_or_b32 exec_lo, exec_lo, s18
	v_cmp_eq_u32_e32 vcc_lo, 0, v0
	s_and_b32 exec_lo, exec_lo, vcc_lo
	s_cbranch_execz .LBB495_413
; %bb.412:
	v_mov_b32_e32 v35, 0
	ds_store_b32 v35, v61 offset:60
.LBB495_413:
	s_or_b32 exec_lo, exec_lo, s9
	s_waitcnt lgkmcnt(0)
	v_cndmask_b32_e64 v36, v45, v43, s8
	v_cmp_ne_u32_e32 vcc_lo, 0, v0
	v_mov_b32_e32 v35, 0
	s_waitcnt_vscnt null, 0x0
	s_barrier
	buffer_gl0_inv
	v_cndmask_b32_e32 v36, 0, v36, vcc_lo
	ds_load_b32 v35, v35 offset:60
	s_waitcnt lgkmcnt(0)
	s_barrier
	buffer_gl0_inv
	v_add_nc_u32_e32 v53, v35, v36
	v_add_nc_u32_e64 v35, 0x8400, 0
	s_delay_alu instid0(VALU_DEP_2) | instskip(SKIP_2) | instid1(VALU_DEP_1)
	v_add_nc_u32_e32 v51, v53, v42
	ds_load_2addr_b32 v[35:36], v35 offset1:2
	v_add_nc_u32_e32 v49, v51, v44
	v_add_nc_u32_e32 v47, v49, v46
	s_delay_alu instid0(VALU_DEP_1) | instskip(NEXT) | instid1(VALU_DEP_1)
	v_add_nc_u32_e32 v45, v47, v48
	v_add_nc_u32_e32 v43, v45, v50
	s_waitcnt lgkmcnt(0)
	v_readfirstlane_b32 s8, v36
	s_delay_alu instid0(VALU_DEP_2) | instskip(NEXT) | instid1(VALU_DEP_1)
	v_add_nc_u32_e32 v41, v43, v52
	v_add_nc_u32_e32 v39, v41, v54
	v_lshrrev_b64 v[37:38], 24, v[33:34]
	s_branch .LBB495_424
.LBB495_414:
                                        ; implicit-def: $vgpr39
                                        ; implicit-def: $vgpr41
                                        ; implicit-def: $vgpr43
                                        ; implicit-def: $vgpr45
                                        ; implicit-def: $vgpr47
                                        ; implicit-def: $vgpr49
                                        ; implicit-def: $vgpr51
                                        ; implicit-def: $vgpr53
                                        ; implicit-def: $sgpr8
                                        ; implicit-def: $vgpr35
	v_lshrrev_b64 v[37:38], 24, v[33:34]
	s_and_b32 vcc_lo, exec_lo, s9
	s_cbranch_vccz .LBB495_424
; %bb.415:
	v_mov_b32_dpp v35, v59 row_shr:1 row_mask:0xf bank_mask:0xf
	s_delay_alu instid0(VALU_DEP_1) | instskip(NEXT) | instid1(VALU_DEP_1)
	v_cndmask_b32_e64 v35, v35, 0, s4
	v_add_nc_u32_e32 v35, v35, v59
	s_delay_alu instid0(VALU_DEP_1) | instskip(NEXT) | instid1(VALU_DEP_1)
	v_mov_b32_dpp v36, v35 row_shr:2 row_mask:0xf bank_mask:0xf
	v_cndmask_b32_e64 v36, 0, v36, s2
	s_delay_alu instid0(VALU_DEP_1) | instskip(NEXT) | instid1(VALU_DEP_1)
	v_add_nc_u32_e32 v35, v35, v36
	v_mov_b32_dpp v36, v35 row_shr:4 row_mask:0xf bank_mask:0xf
	s_delay_alu instid0(VALU_DEP_1) | instskip(NEXT) | instid1(VALU_DEP_1)
	v_cndmask_b32_e64 v36, 0, v36, s5
	v_add_nc_u32_e32 v35, v35, v36
	s_delay_alu instid0(VALU_DEP_1) | instskip(NEXT) | instid1(VALU_DEP_1)
	v_mov_b32_dpp v36, v35 row_shr:8 row_mask:0xf bank_mask:0xf
	v_cndmask_b32_e64 v36, 0, v36, s3
	s_delay_alu instid0(VALU_DEP_1) | instskip(SKIP_3) | instid1(VALU_DEP_1)
	v_add_nc_u32_e32 v35, v35, v36
	ds_swizzle_b32 v36, v35 offset:swizzle(BROADCAST,32,15)
	s_waitcnt lgkmcnt(0)
	v_cndmask_b32_e64 v36, v36, 0, s7
	v_add_nc_u32_e32 v35, v35, v36
	s_and_saveexec_b32 s7, s6
	s_cbranch_execz .LBB495_417
; %bb.416:
	v_lshlrev_b32_e32 v36, 2, v58
	ds_store_b32 v36, v35
.LBB495_417:
	s_or_b32 exec_lo, exec_lo, s7
	s_delay_alu instid0(SALU_CYCLE_1)
	s_mov_b32 s6, exec_lo
	s_waitcnt lgkmcnt(0)
	s_barrier
	buffer_gl0_inv
	v_cmpx_gt_u32_e32 16, v0
	s_cbranch_execz .LBB495_419
; %bb.418:
	v_lshlrev_b32_e32 v36, 2, v0
	ds_load_b32 v38, v36
	s_waitcnt lgkmcnt(0)
	v_mov_b32_dpp v39, v38 row_shr:1 row_mask:0xf bank_mask:0xf
	s_delay_alu instid0(VALU_DEP_1) | instskip(NEXT) | instid1(VALU_DEP_1)
	v_cndmask_b32_e64 v39, v39, 0, s4
	v_add_nc_u32_e32 v38, v39, v38
	s_delay_alu instid0(VALU_DEP_1) | instskip(NEXT) | instid1(VALU_DEP_1)
	v_mov_b32_dpp v39, v38 row_shr:2 row_mask:0xf bank_mask:0xf
	v_cndmask_b32_e64 v39, 0, v39, s2
	s_delay_alu instid0(VALU_DEP_1) | instskip(NEXT) | instid1(VALU_DEP_1)
	v_add_nc_u32_e32 v38, v38, v39
	v_mov_b32_dpp v39, v38 row_shr:4 row_mask:0xf bank_mask:0xf
	s_delay_alu instid0(VALU_DEP_1) | instskip(NEXT) | instid1(VALU_DEP_1)
	v_cndmask_b32_e64 v39, 0, v39, s5
	v_add_nc_u32_e32 v38, v38, v39
	s_delay_alu instid0(VALU_DEP_1) | instskip(NEXT) | instid1(VALU_DEP_1)
	v_mov_b32_dpp v39, v38 row_shr:8 row_mask:0xf bank_mask:0xf
	v_cndmask_b32_e64 v39, 0, v39, s3
	s_delay_alu instid0(VALU_DEP_1)
	v_add_nc_u32_e32 v38, v38, v39
	ds_store_b32 v36, v38
.LBB495_419:
	s_or_b32 exec_lo, exec_lo, s6
	v_mov_b32_e32 v36, 0
	v_mov_b32_e32 v38, 0
	s_mov_b32 s2, exec_lo
	s_waitcnt lgkmcnt(0)
	s_barrier
	buffer_gl0_inv
	v_cmpx_lt_u32_e32 31, v0
	s_cbranch_execz .LBB495_421
; %bb.420:
	v_lshl_add_u32 v38, v58, 2, -4
	ds_load_b32 v38, v38
.LBB495_421:
	s_or_b32 exec_lo, exec_lo, s2
	v_add_nc_u32_e32 v39, -1, v57
	s_waitcnt lgkmcnt(0)
	v_add_nc_u32_e32 v35, v38, v35
	s_mov_b32 s8, 0
	s_delay_alu instid0(VALU_DEP_2) | instskip(SKIP_2) | instid1(VALU_DEP_2)
	v_cmp_gt_i32_e32 vcc_lo, 0, v39
	v_cndmask_b32_e32 v39, v39, v57, vcc_lo
	v_cmp_eq_u32_e32 vcc_lo, 0, v0
	v_lshlrev_b32_e32 v39, 2, v39
	ds_bpermute_b32 v39, v39, v35
	ds_load_b32 v35, v36 offset:60
	s_and_saveexec_b32 s2, vcc_lo
	s_cbranch_execz .LBB495_423
; %bb.422:
	v_mov_b32_e32 v40, 0
	v_mov_b32_e32 v36, 2
	s_waitcnt lgkmcnt(0)
	global_store_b64 v40, v[35:36], s[10:11] offset:256
.LBB495_423:
	s_or_b32 exec_lo, exec_lo, s2
	v_cmp_eq_u32_e64 s2, 0, v57
	s_waitcnt lgkmcnt(0)
	s_waitcnt_vscnt null, 0x0
	s_barrier
	buffer_gl0_inv
	v_cndmask_b32_e64 v36, v39, v38, s2
	s_delay_alu instid0(VALU_DEP_1) | instskip(NEXT) | instid1(VALU_DEP_1)
	v_cndmask_b32_e64 v53, v36, 0, vcc_lo
	v_add_nc_u32_e32 v51, v53, v42
	s_delay_alu instid0(VALU_DEP_1) | instskip(NEXT) | instid1(VALU_DEP_1)
	v_add_nc_u32_e32 v49, v51, v44
	v_add_nc_u32_e32 v47, v49, v46
	s_delay_alu instid0(VALU_DEP_1) | instskip(NEXT) | instid1(VALU_DEP_1)
	v_add_nc_u32_e32 v45, v47, v48
	;; [unrolled: 3-line block ×3, first 2 shown]
	v_add_nc_u32_e32 v39, v41, v54
.LBB495_424:
	s_load_b128 s[4:7], s[0:1], 0x28
	v_add_nc_u32_e32 v59, s8, v35
	v_cmp_gt_u32_e64 s0, 0x201, v35
	v_lshrrev_b32_e32 v58, 8, v33
	v_lshrrev_b32_e32 v57, 16, v33
	;; [unrolled: 1-line block ×4, first 2 shown]
	v_cmp_lt_u32_e64 s1, v53, v59
	s_and_b32 vcc_lo, exec_lo, s0
	s_mov_b32 s2, -1
	s_cbranch_vccz .LBB495_450
; %bb.425:
	s_delay_alu instid0(VALU_DEP_1) | instskip(NEXT) | instid1(SALU_CYCLE_1)
	s_or_b32 s2, s20, s1
	s_and_saveexec_b32 s1, s2
	s_cbranch_execz .LBB495_428
; %bb.426:
	v_and_b32_e32 v40, 1, v33
	s_delay_alu instid0(VALU_DEP_1)
	v_cmp_eq_u32_e32 vcc_lo, 1, v40
	s_and_b32 exec_lo, exec_lo, vcc_lo
	s_cbranch_execz .LBB495_428
; %bb.427:
	v_mov_b32_e32 v54, 0
	s_lshl_b64 s[2:3], s[12:13], 3
	s_waitcnt lgkmcnt(0)
	s_add_u32 s2, s4, s2
	s_addc_u32 s3, s5, s3
	v_lshlrev_b64 v[60:61], 3, v[53:54]
	s_delay_alu instid0(VALU_DEP_1) | instskip(NEXT) | instid1(VALU_DEP_2)
	v_add_co_u32 v60, vcc_lo, s2, v60
	v_add_co_ci_u32_e32 v61, vcc_lo, s3, v61, vcc_lo
	global_store_b64 v[60:61], v[29:30], off
.LBB495_428:
	s_or_b32 exec_lo, exec_lo, s1
	v_cmp_lt_u32_e32 vcc_lo, v51, v59
	s_or_b32 s2, s20, vcc_lo
	s_delay_alu instid0(SALU_CYCLE_1)
	s_and_saveexec_b32 s1, s2
	s_cbranch_execz .LBB495_431
; %bb.429:
	v_and_b32_e32 v40, 1, v58
	s_delay_alu instid0(VALU_DEP_1)
	v_cmp_eq_u32_e32 vcc_lo, 1, v40
	s_and_b32 exec_lo, exec_lo, vcc_lo
	s_cbranch_execz .LBB495_431
; %bb.430:
	v_mov_b32_e32 v52, 0
	s_lshl_b64 s[2:3], s[12:13], 3
	s_waitcnt lgkmcnt(0)
	s_add_u32 s2, s4, s2
	s_addc_u32 s3, s5, s3
	v_lshlrev_b64 v[60:61], 3, v[51:52]
	s_delay_alu instid0(VALU_DEP_1) | instskip(NEXT) | instid1(VALU_DEP_2)
	v_add_co_u32 v60, vcc_lo, s2, v60
	v_add_co_ci_u32_e32 v61, vcc_lo, s3, v61, vcc_lo
	global_store_b64 v[60:61], v[31:32], off
.LBB495_431:
	s_or_b32 exec_lo, exec_lo, s1
	v_cmp_lt_u32_e32 vcc_lo, v49, v59
	s_or_b32 s2, s20, vcc_lo
	s_delay_alu instid0(SALU_CYCLE_1)
	;; [unrolled: 24-line block ×7, first 2 shown]
	s_and_saveexec_b32 s1, s2
	s_cbranch_execz .LBB495_449
; %bb.447:
	v_and_b32_e32 v40, 1, v56
	s_delay_alu instid0(VALU_DEP_1)
	v_cmp_eq_u32_e32 vcc_lo, 1, v40
	s_and_b32 exec_lo, exec_lo, vcc_lo
	s_cbranch_execz .LBB495_449
; %bb.448:
	v_mov_b32_e32 v40, 0
	s_lshl_b64 s[2:3], s[12:13], 3
	s_waitcnt lgkmcnt(0)
	s_add_u32 s2, s4, s2
	s_addc_u32 s3, s5, s3
	v_lshlrev_b64 v[60:61], 3, v[39:40]
	s_delay_alu instid0(VALU_DEP_1) | instskip(NEXT) | instid1(VALU_DEP_2)
	v_add_co_u32 v60, vcc_lo, s2, v60
	v_add_co_ci_u32_e32 v61, vcc_lo, s3, v61, vcc_lo
	global_store_b64 v[60:61], v[19:20], off
.LBB495_449:
	s_or_b32 exec_lo, exec_lo, s1
	s_mov_b32 s2, 0
.LBB495_450:
	v_and_b32_e32 v33, 1, v33
	s_and_b32 vcc_lo, exec_lo, s2
	s_delay_alu instid0(VALU_DEP_1)
	v_cmp_eq_u32_e64 s1, 1, v33
	s_cbranch_vccz .LBB495_471
; %bb.451:
	s_delay_alu instid0(VALU_DEP_1)
	s_and_saveexec_b32 s2, s1
	s_cbranch_execz .LBB495_453
; %bb.452:
	v_subrev_nc_u32_e32 v40, s8, v53
	s_delay_alu instid0(VALU_DEP_1)
	v_lshlrev_b32_e32 v40, 3, v40
	ds_store_b64 v40, v[29:30]
.LBB495_453:
	s_or_b32 exec_lo, exec_lo, s2
	v_and_b32_e32 v29, 1, v58
	s_mov_b32 s1, exec_lo
	s_delay_alu instid0(VALU_DEP_1)
	v_cmpx_eq_u32_e32 1, v29
	s_cbranch_execz .LBB495_455
; %bb.454:
	v_subrev_nc_u32_e32 v29, s8, v51
	s_delay_alu instid0(VALU_DEP_1)
	v_lshlrev_b32_e32 v29, 3, v29
	ds_store_b64 v29, v[31:32]
.LBB495_455:
	s_or_b32 exec_lo, exec_lo, s1
	v_and_b32_e32 v29, 1, v57
	s_mov_b32 s1, exec_lo
	s_delay_alu instid0(VALU_DEP_1)
	v_cmpx_eq_u32_e32 1, v29
	;; [unrolled: 12-line block ×7, first 2 shown]
	s_cbranch_execz .LBB495_467
; %bb.466:
	v_subrev_nc_u32_e32 v17, s8, v39
	s_delay_alu instid0(VALU_DEP_1)
	v_lshlrev_b32_e32 v17, 3, v17
	ds_store_b64 v17, v[19:20]
.LBB495_467:
	s_or_b32 exec_lo, exec_lo, s1
	s_delay_alu instid0(SALU_CYCLE_1)
	s_mov_b32 s2, exec_lo
	s_waitcnt lgkmcnt(0)
	s_waitcnt_vscnt null, 0x0
	s_barrier
	buffer_gl0_inv
	v_cmpx_lt_u32_e64 v0, v35
	s_cbranch_execz .LBB495_470
; %bb.468:
	s_mov_b32 s9, 0
	s_lshl_b64 s[10:11], s[12:13], 3
	s_lshl_b64 s[18:19], s[8:9], 3
	v_dual_mov_b32 v19, v55 :: v_dual_mov_b32 v20, v0
	s_add_u32 s1, s10, s18
	s_addc_u32 s3, s11, s19
	s_add_u32 s1, s4, s1
	s_addc_u32 s3, s5, s3
	v_add_co_u32 v17, s1, s1, v55
	s_delay_alu instid0(VALU_DEP_1)
	v_add_co_ci_u32_e64 v18, null, s3, 0, s1
	.p2align	6
.LBB495_469:                            ; =>This Inner Loop Header: Depth=1
	ds_load_b64 v[21:22], v19
	v_add_nc_u32_e32 v20, 0x200, v20
	v_add_nc_u32_e32 v19, 0x1000, v19
	s_delay_alu instid0(VALU_DEP_2) | instskip(SKIP_4) | instid1(VALU_DEP_1)
	v_cmp_ge_u32_e32 vcc_lo, v20, v35
	s_or_b32 s9, vcc_lo, s9
	s_waitcnt lgkmcnt(0)
	global_store_b64 v[17:18], v[21:22], off
	v_add_co_u32 v17, s1, 0x1000, v17
	v_add_co_ci_u32_e64 v18, s1, 0, v18, s1
	s_and_not1_b32 exec_lo, exec_lo, s9
	s_cbranch_execnz .LBB495_469
.LBB495_470:
	s_or_b32 exec_lo, exec_lo, s2
.LBB495_471:
	s_delay_alu instid0(SALU_CYCLE_1)
	s_and_b32 vcc_lo, exec_lo, s0
	s_mov_b32 s0, -1
	s_waitcnt lgkmcnt(0)
	s_waitcnt_vscnt null, 0x0
	s_barrier
	buffer_gl0_inv
	s_cbranch_vccz .LBB495_499
; %bb.472:
	v_cmp_lt_u32_e32 vcc_lo, v53, v59
	s_or_b32 s1, s20, vcc_lo
	s_delay_alu instid0(SALU_CYCLE_1)
	s_and_saveexec_b32 s0, s1
	s_cbranch_execz .LBB495_475
; %bb.473:
	v_cmp_eq_u32_e32 vcc_lo, 1, v33
	s_and_b32 exec_lo, exec_lo, vcc_lo
	s_cbranch_execz .LBB495_475
; %bb.474:
	v_mov_b32_e32 v54, 0
	s_lshl_b64 s[2:3], s[12:13], 3
	s_delay_alu instid0(SALU_CYCLE_1) | instskip(SKIP_1) | instid1(VALU_DEP_1)
	s_add_u32 s1, s6, s2
	s_addc_u32 s2, s7, s3
	v_lshlrev_b64 v[17:18], 3, v[53:54]
	s_delay_alu instid0(VALU_DEP_1) | instskip(NEXT) | instid1(VALU_DEP_2)
	v_add_co_u32 v17, vcc_lo, s1, v17
	v_add_co_ci_u32_e32 v18, vcc_lo, s2, v18, vcc_lo
	global_store_b64 v[17:18], v[13:14], off
.LBB495_475:
	s_or_b32 exec_lo, exec_lo, s0
	v_cmp_lt_u32_e32 vcc_lo, v51, v59
	s_or_b32 s1, s20, vcc_lo
	s_delay_alu instid0(SALU_CYCLE_1)
	s_and_saveexec_b32 s0, s1
	s_cbranch_execz .LBB495_478
; %bb.476:
	v_and_b32_e32 v17, 1, v58
	s_delay_alu instid0(VALU_DEP_1)
	v_cmp_eq_u32_e32 vcc_lo, 1, v17
	s_and_b32 exec_lo, exec_lo, vcc_lo
	s_cbranch_execz .LBB495_478
; %bb.477:
	v_mov_b32_e32 v52, 0
	s_lshl_b64 s[2:3], s[12:13], 3
	s_delay_alu instid0(SALU_CYCLE_1) | instskip(SKIP_1) | instid1(VALU_DEP_1)
	s_add_u32 s1, s6, s2
	s_addc_u32 s2, s7, s3
	v_lshlrev_b64 v[17:18], 3, v[51:52]
	s_delay_alu instid0(VALU_DEP_1) | instskip(NEXT) | instid1(VALU_DEP_2)
	v_add_co_u32 v17, vcc_lo, s1, v17
	v_add_co_ci_u32_e32 v18, vcc_lo, s2, v18, vcc_lo
	global_store_b64 v[17:18], v[15:16], off
.LBB495_478:
	s_or_b32 exec_lo, exec_lo, s0
	v_cmp_lt_u32_e32 vcc_lo, v49, v59
	s_or_b32 s1, s20, vcc_lo
	s_delay_alu instid0(SALU_CYCLE_1)
	s_and_saveexec_b32 s0, s1
	s_cbranch_execz .LBB495_481
; %bb.479:
	v_and_b32_e32 v17, 1, v57
	s_delay_alu instid0(VALU_DEP_1)
	v_cmp_eq_u32_e32 vcc_lo, 1, v17
	s_and_b32 exec_lo, exec_lo, vcc_lo
	s_cbranch_execz .LBB495_481
; %bb.480:
	v_mov_b32_e32 v50, 0
	s_lshl_b64 s[2:3], s[12:13], 3
	s_delay_alu instid0(SALU_CYCLE_1) | instskip(SKIP_1) | instid1(VALU_DEP_1)
	s_add_u32 s1, s6, s2
	s_addc_u32 s2, s7, s3
	v_lshlrev_b64 v[17:18], 3, v[49:50]
	s_delay_alu instid0(VALU_DEP_1) | instskip(NEXT) | instid1(VALU_DEP_2)
	v_add_co_u32 v17, vcc_lo, s1, v17
	v_add_co_ci_u32_e32 v18, vcc_lo, s2, v18, vcc_lo
	global_store_b64 v[17:18], v[9:10], off
.LBB495_481:
	;; [unrolled: 24-line block ×7, first 2 shown]
	s_or_b32 exec_lo, exec_lo, s0
.LBB495_497:
	v_cmp_eq_u32_e32 vcc_lo, 0, v0
	s_and_b32 s0, vcc_lo, s14
	s_delay_alu instid0(SALU_CYCLE_1)
	s_and_saveexec_b32 s1, s0
	s_cbranch_execz .LBB495_520
.LBB495_498:
	v_add_co_u32 v0, s0, s12, v35
	s_delay_alu instid0(VALU_DEP_1) | instskip(SKIP_1) | instid1(VALU_DEP_3)
	v_add_co_ci_u32_e64 v1, null, s13, 0, s0
	v_mov_b32_e32 v2, 0
	v_add_co_u32 v0, vcc_lo, v0, s8
	s_delay_alu instid0(VALU_DEP_3)
	v_add_co_ci_u32_e32 v1, vcc_lo, 0, v1, vcc_lo
	global_store_b64 v2, v[0:1], s[16:17]
	s_nop 0
	s_sendmsg sendmsg(MSG_DEALLOC_VGPRS)
	s_endpgm
.LBB495_499:
	s_and_b32 vcc_lo, exec_lo, s0
	s_cbranch_vccz .LBB495_497
; %bb.500:
	s_mov_b32 s0, exec_lo
	v_cmpx_eq_u32_e32 1, v33
	s_cbranch_execz .LBB495_502
; %bb.501:
	v_subrev_nc_u32_e32 v17, s8, v53
	s_delay_alu instid0(VALU_DEP_1)
	v_lshlrev_b32_e32 v17, 3, v17
	ds_store_b64 v17, v[13:14]
.LBB495_502:
	s_or_b32 exec_lo, exec_lo, s0
	v_and_b32_e32 v13, 1, v58
	s_mov_b32 s0, exec_lo
	s_delay_alu instid0(VALU_DEP_1)
	v_cmpx_eq_u32_e32 1, v13
	s_cbranch_execz .LBB495_504
; %bb.503:
	v_subrev_nc_u32_e32 v13, s8, v51
	s_delay_alu instid0(VALU_DEP_1)
	v_lshlrev_b32_e32 v13, 3, v13
	ds_store_b64 v13, v[15:16]
.LBB495_504:
	s_or_b32 exec_lo, exec_lo, s0
	v_and_b32_e32 v13, 1, v57
	s_mov_b32 s0, exec_lo
	s_delay_alu instid0(VALU_DEP_1)
	;; [unrolled: 12-line block ×7, first 2 shown]
	v_cmpx_eq_u32_e32 1, v1
	s_cbranch_execz .LBB495_516
; %bb.515:
	v_subrev_nc_u32_e32 v1, s8, v39
	s_delay_alu instid0(VALU_DEP_1)
	v_lshlrev_b32_e32 v1, 3, v1
	ds_store_b64 v1, v[3:4]
.LBB495_516:
	s_or_b32 exec_lo, exec_lo, s0
	s_delay_alu instid0(SALU_CYCLE_1)
	s_mov_b32 s1, exec_lo
	s_waitcnt lgkmcnt(0)
	s_waitcnt_vscnt null, 0x0
	s_barrier
	buffer_gl0_inv
	v_cmpx_lt_u32_e64 v0, v35
	s_cbranch_execz .LBB495_519
; %bb.517:
	s_mov_b32 s9, 0
	s_lshl_b64 s[2:3], s[12:13], 3
	s_lshl_b64 s[4:5], s[8:9], 3
	v_mov_b32_e32 v3, v0
	s_add_u32 s0, s2, s4
	s_addc_u32 s2, s3, s5
	s_add_u32 s0, s6, s0
	s_addc_u32 s2, s7, s2
	v_add_co_u32 v1, s0, s0, v55
	s_delay_alu instid0(VALU_DEP_1)
	v_add_co_ci_u32_e64 v2, null, s2, 0, s0
	.p2align	6
.LBB495_518:                            ; =>This Inner Loop Header: Depth=1
	ds_load_b64 v[4:5], v55
	v_add_nc_u32_e32 v3, 0x200, v3
	v_add_nc_u32_e32 v55, 0x1000, v55
	s_delay_alu instid0(VALU_DEP_2) | instskip(SKIP_4) | instid1(VALU_DEP_1)
	v_cmp_ge_u32_e32 vcc_lo, v3, v35
	s_or_b32 s9, vcc_lo, s9
	s_waitcnt lgkmcnt(0)
	global_store_b64 v[1:2], v[4:5], off
	v_add_co_u32 v1, s0, 0x1000, v1
	v_add_co_ci_u32_e64 v2, s0, 0, v2, s0
	s_and_not1_b32 exec_lo, exec_lo, s9
	s_cbranch_execnz .LBB495_518
.LBB495_519:
	s_or_b32 exec_lo, exec_lo, s1
	v_cmp_eq_u32_e32 vcc_lo, 0, v0
	s_and_b32 s0, vcc_lo, s14
	s_delay_alu instid0(SALU_CYCLE_1)
	s_and_saveexec_b32 s1, s0
	s_cbranch_execnz .LBB495_498
.LBB495_520:
	s_nop 0
	s_sendmsg sendmsg(MSG_DEALLOC_VGPRS)
	s_endpgm
	.section	.rodata,"a",@progbits
	.p2align	6, 0x0
	.amdhsa_kernel _ZN7rocprim17ROCPRIM_400000_NS6detail17trampoline_kernelINS0_14default_configENS1_25partition_config_selectorILNS1_17partition_subalgoE9EllbEEZZNS1_14partition_implILS5_9ELb0ES3_jPlS8_PNS0_10empty_typeENS0_5tupleIJS8_S9_EEENSB_IJS8_SA_EEENS0_18inequality_wrapperIZN2at6native12_GLOBAL__N_124unique_dim_cuda_templateIiEESt5tupleIJNSF_6TensorESK_SK_EERKSK_lbbbEUlllE0_EEPmJS9_EEE10hipError_tPvRmT3_T4_T5_T6_T7_T9_mT8_P12ihipStream_tbDpT10_ENKUlT_T0_E_clISt17integral_constantIbLb1EES19_IbLb0EEEEDaS15_S16_EUlS15_E_NS1_11comp_targetILNS1_3genE9ELNS1_11target_archE1100ELNS1_3gpuE3ELNS1_3repE0EEENS1_30default_config_static_selectorELNS0_4arch9wavefront6targetE0EEEvT1_
		.amdhsa_group_segment_fixed_size 33804
		.amdhsa_private_segment_fixed_size 0
		.amdhsa_kernarg_size 120
		.amdhsa_user_sgpr_count 15
		.amdhsa_user_sgpr_dispatch_ptr 0
		.amdhsa_user_sgpr_queue_ptr 0
		.amdhsa_user_sgpr_kernarg_segment_ptr 1
		.amdhsa_user_sgpr_dispatch_id 0
		.amdhsa_user_sgpr_private_segment_size 0
		.amdhsa_wavefront_size32 1
		.amdhsa_uses_dynamic_stack 0
		.amdhsa_enable_private_segment 0
		.amdhsa_system_sgpr_workgroup_id_x 1
		.amdhsa_system_sgpr_workgroup_id_y 0
		.amdhsa_system_sgpr_workgroup_id_z 0
		.amdhsa_system_sgpr_workgroup_info 0
		.amdhsa_system_vgpr_workitem_id 0
		.amdhsa_next_free_vgpr 68
		.amdhsa_next_free_sgpr 36
		.amdhsa_reserve_vcc 1
		.amdhsa_float_round_mode_32 0
		.amdhsa_float_round_mode_16_64 0
		.amdhsa_float_denorm_mode_32 3
		.amdhsa_float_denorm_mode_16_64 3
		.amdhsa_dx10_clamp 1
		.amdhsa_ieee_mode 1
		.amdhsa_fp16_overflow 0
		.amdhsa_workgroup_processor_mode 1
		.amdhsa_memory_ordered 1
		.amdhsa_forward_progress 0
		.amdhsa_shared_vgpr_count 0
		.amdhsa_exception_fp_ieee_invalid_op 0
		.amdhsa_exception_fp_denorm_src 0
		.amdhsa_exception_fp_ieee_div_zero 0
		.amdhsa_exception_fp_ieee_overflow 0
		.amdhsa_exception_fp_ieee_underflow 0
		.amdhsa_exception_fp_ieee_inexact 0
		.amdhsa_exception_int_div_zero 0
	.end_amdhsa_kernel
	.section	.text._ZN7rocprim17ROCPRIM_400000_NS6detail17trampoline_kernelINS0_14default_configENS1_25partition_config_selectorILNS1_17partition_subalgoE9EllbEEZZNS1_14partition_implILS5_9ELb0ES3_jPlS8_PNS0_10empty_typeENS0_5tupleIJS8_S9_EEENSB_IJS8_SA_EEENS0_18inequality_wrapperIZN2at6native12_GLOBAL__N_124unique_dim_cuda_templateIiEESt5tupleIJNSF_6TensorESK_SK_EERKSK_lbbbEUlllE0_EEPmJS9_EEE10hipError_tPvRmT3_T4_T5_T6_T7_T9_mT8_P12ihipStream_tbDpT10_ENKUlT_T0_E_clISt17integral_constantIbLb1EES19_IbLb0EEEEDaS15_S16_EUlS15_E_NS1_11comp_targetILNS1_3genE9ELNS1_11target_archE1100ELNS1_3gpuE3ELNS1_3repE0EEENS1_30default_config_static_selectorELNS0_4arch9wavefront6targetE0EEEvT1_,"axG",@progbits,_ZN7rocprim17ROCPRIM_400000_NS6detail17trampoline_kernelINS0_14default_configENS1_25partition_config_selectorILNS1_17partition_subalgoE9EllbEEZZNS1_14partition_implILS5_9ELb0ES3_jPlS8_PNS0_10empty_typeENS0_5tupleIJS8_S9_EEENSB_IJS8_SA_EEENS0_18inequality_wrapperIZN2at6native12_GLOBAL__N_124unique_dim_cuda_templateIiEESt5tupleIJNSF_6TensorESK_SK_EERKSK_lbbbEUlllE0_EEPmJS9_EEE10hipError_tPvRmT3_T4_T5_T6_T7_T9_mT8_P12ihipStream_tbDpT10_ENKUlT_T0_E_clISt17integral_constantIbLb1EES19_IbLb0EEEEDaS15_S16_EUlS15_E_NS1_11comp_targetILNS1_3genE9ELNS1_11target_archE1100ELNS1_3gpuE3ELNS1_3repE0EEENS1_30default_config_static_selectorELNS0_4arch9wavefront6targetE0EEEvT1_,comdat
.Lfunc_end495:
	.size	_ZN7rocprim17ROCPRIM_400000_NS6detail17trampoline_kernelINS0_14default_configENS1_25partition_config_selectorILNS1_17partition_subalgoE9EllbEEZZNS1_14partition_implILS5_9ELb0ES3_jPlS8_PNS0_10empty_typeENS0_5tupleIJS8_S9_EEENSB_IJS8_SA_EEENS0_18inequality_wrapperIZN2at6native12_GLOBAL__N_124unique_dim_cuda_templateIiEESt5tupleIJNSF_6TensorESK_SK_EERKSK_lbbbEUlllE0_EEPmJS9_EEE10hipError_tPvRmT3_T4_T5_T6_T7_T9_mT8_P12ihipStream_tbDpT10_ENKUlT_T0_E_clISt17integral_constantIbLb1EES19_IbLb0EEEEDaS15_S16_EUlS15_E_NS1_11comp_targetILNS1_3genE9ELNS1_11target_archE1100ELNS1_3gpuE3ELNS1_3repE0EEENS1_30default_config_static_selectorELNS0_4arch9wavefront6targetE0EEEvT1_, .Lfunc_end495-_ZN7rocprim17ROCPRIM_400000_NS6detail17trampoline_kernelINS0_14default_configENS1_25partition_config_selectorILNS1_17partition_subalgoE9EllbEEZZNS1_14partition_implILS5_9ELb0ES3_jPlS8_PNS0_10empty_typeENS0_5tupleIJS8_S9_EEENSB_IJS8_SA_EEENS0_18inequality_wrapperIZN2at6native12_GLOBAL__N_124unique_dim_cuda_templateIiEESt5tupleIJNSF_6TensorESK_SK_EERKSK_lbbbEUlllE0_EEPmJS9_EEE10hipError_tPvRmT3_T4_T5_T6_T7_T9_mT8_P12ihipStream_tbDpT10_ENKUlT_T0_E_clISt17integral_constantIbLb1EES19_IbLb0EEEEDaS15_S16_EUlS15_E_NS1_11comp_targetILNS1_3genE9ELNS1_11target_archE1100ELNS1_3gpuE3ELNS1_3repE0EEENS1_30default_config_static_selectorELNS0_4arch9wavefront6targetE0EEEvT1_
                                        ; -- End function
	.section	.AMDGPU.csdata,"",@progbits
; Kernel info:
; codeLenInByte = 20588
; NumSgprs: 38
; NumVgprs: 68
; ScratchSize: 0
; MemoryBound: 0
; FloatMode: 240
; IeeeMode: 1
; LDSByteSize: 33804 bytes/workgroup (compile time only)
; SGPRBlocks: 4
; VGPRBlocks: 8
; NumSGPRsForWavesPerEU: 38
; NumVGPRsForWavesPerEU: 68
; Occupancy: 12
; WaveLimiterHint : 1
; COMPUTE_PGM_RSRC2:SCRATCH_EN: 0
; COMPUTE_PGM_RSRC2:USER_SGPR: 15
; COMPUTE_PGM_RSRC2:TRAP_HANDLER: 0
; COMPUTE_PGM_RSRC2:TGID_X_EN: 1
; COMPUTE_PGM_RSRC2:TGID_Y_EN: 0
; COMPUTE_PGM_RSRC2:TGID_Z_EN: 0
; COMPUTE_PGM_RSRC2:TIDIG_COMP_CNT: 0
	.section	.text._ZN7rocprim17ROCPRIM_400000_NS6detail17trampoline_kernelINS0_14default_configENS1_25partition_config_selectorILNS1_17partition_subalgoE9EllbEEZZNS1_14partition_implILS5_9ELb0ES3_jPlS8_PNS0_10empty_typeENS0_5tupleIJS8_S9_EEENSB_IJS8_SA_EEENS0_18inequality_wrapperIZN2at6native12_GLOBAL__N_124unique_dim_cuda_templateIiEESt5tupleIJNSF_6TensorESK_SK_EERKSK_lbbbEUlllE0_EEPmJS9_EEE10hipError_tPvRmT3_T4_T5_T6_T7_T9_mT8_P12ihipStream_tbDpT10_ENKUlT_T0_E_clISt17integral_constantIbLb1EES19_IbLb0EEEEDaS15_S16_EUlS15_E_NS1_11comp_targetILNS1_3genE8ELNS1_11target_archE1030ELNS1_3gpuE2ELNS1_3repE0EEENS1_30default_config_static_selectorELNS0_4arch9wavefront6targetE0EEEvT1_,"axG",@progbits,_ZN7rocprim17ROCPRIM_400000_NS6detail17trampoline_kernelINS0_14default_configENS1_25partition_config_selectorILNS1_17partition_subalgoE9EllbEEZZNS1_14partition_implILS5_9ELb0ES3_jPlS8_PNS0_10empty_typeENS0_5tupleIJS8_S9_EEENSB_IJS8_SA_EEENS0_18inequality_wrapperIZN2at6native12_GLOBAL__N_124unique_dim_cuda_templateIiEESt5tupleIJNSF_6TensorESK_SK_EERKSK_lbbbEUlllE0_EEPmJS9_EEE10hipError_tPvRmT3_T4_T5_T6_T7_T9_mT8_P12ihipStream_tbDpT10_ENKUlT_T0_E_clISt17integral_constantIbLb1EES19_IbLb0EEEEDaS15_S16_EUlS15_E_NS1_11comp_targetILNS1_3genE8ELNS1_11target_archE1030ELNS1_3gpuE2ELNS1_3repE0EEENS1_30default_config_static_selectorELNS0_4arch9wavefront6targetE0EEEvT1_,comdat
	.globl	_ZN7rocprim17ROCPRIM_400000_NS6detail17trampoline_kernelINS0_14default_configENS1_25partition_config_selectorILNS1_17partition_subalgoE9EllbEEZZNS1_14partition_implILS5_9ELb0ES3_jPlS8_PNS0_10empty_typeENS0_5tupleIJS8_S9_EEENSB_IJS8_SA_EEENS0_18inequality_wrapperIZN2at6native12_GLOBAL__N_124unique_dim_cuda_templateIiEESt5tupleIJNSF_6TensorESK_SK_EERKSK_lbbbEUlllE0_EEPmJS9_EEE10hipError_tPvRmT3_T4_T5_T6_T7_T9_mT8_P12ihipStream_tbDpT10_ENKUlT_T0_E_clISt17integral_constantIbLb1EES19_IbLb0EEEEDaS15_S16_EUlS15_E_NS1_11comp_targetILNS1_3genE8ELNS1_11target_archE1030ELNS1_3gpuE2ELNS1_3repE0EEENS1_30default_config_static_selectorELNS0_4arch9wavefront6targetE0EEEvT1_ ; -- Begin function _ZN7rocprim17ROCPRIM_400000_NS6detail17trampoline_kernelINS0_14default_configENS1_25partition_config_selectorILNS1_17partition_subalgoE9EllbEEZZNS1_14partition_implILS5_9ELb0ES3_jPlS8_PNS0_10empty_typeENS0_5tupleIJS8_S9_EEENSB_IJS8_SA_EEENS0_18inequality_wrapperIZN2at6native12_GLOBAL__N_124unique_dim_cuda_templateIiEESt5tupleIJNSF_6TensorESK_SK_EERKSK_lbbbEUlllE0_EEPmJS9_EEE10hipError_tPvRmT3_T4_T5_T6_T7_T9_mT8_P12ihipStream_tbDpT10_ENKUlT_T0_E_clISt17integral_constantIbLb1EES19_IbLb0EEEEDaS15_S16_EUlS15_E_NS1_11comp_targetILNS1_3genE8ELNS1_11target_archE1030ELNS1_3gpuE2ELNS1_3repE0EEENS1_30default_config_static_selectorELNS0_4arch9wavefront6targetE0EEEvT1_
	.p2align	8
	.type	_ZN7rocprim17ROCPRIM_400000_NS6detail17trampoline_kernelINS0_14default_configENS1_25partition_config_selectorILNS1_17partition_subalgoE9EllbEEZZNS1_14partition_implILS5_9ELb0ES3_jPlS8_PNS0_10empty_typeENS0_5tupleIJS8_S9_EEENSB_IJS8_SA_EEENS0_18inequality_wrapperIZN2at6native12_GLOBAL__N_124unique_dim_cuda_templateIiEESt5tupleIJNSF_6TensorESK_SK_EERKSK_lbbbEUlllE0_EEPmJS9_EEE10hipError_tPvRmT3_T4_T5_T6_T7_T9_mT8_P12ihipStream_tbDpT10_ENKUlT_T0_E_clISt17integral_constantIbLb1EES19_IbLb0EEEEDaS15_S16_EUlS15_E_NS1_11comp_targetILNS1_3genE8ELNS1_11target_archE1030ELNS1_3gpuE2ELNS1_3repE0EEENS1_30default_config_static_selectorELNS0_4arch9wavefront6targetE0EEEvT1_,@function
_ZN7rocprim17ROCPRIM_400000_NS6detail17trampoline_kernelINS0_14default_configENS1_25partition_config_selectorILNS1_17partition_subalgoE9EllbEEZZNS1_14partition_implILS5_9ELb0ES3_jPlS8_PNS0_10empty_typeENS0_5tupleIJS8_S9_EEENSB_IJS8_SA_EEENS0_18inequality_wrapperIZN2at6native12_GLOBAL__N_124unique_dim_cuda_templateIiEESt5tupleIJNSF_6TensorESK_SK_EERKSK_lbbbEUlllE0_EEPmJS9_EEE10hipError_tPvRmT3_T4_T5_T6_T7_T9_mT8_P12ihipStream_tbDpT10_ENKUlT_T0_E_clISt17integral_constantIbLb1EES19_IbLb0EEEEDaS15_S16_EUlS15_E_NS1_11comp_targetILNS1_3genE8ELNS1_11target_archE1030ELNS1_3gpuE2ELNS1_3repE0EEENS1_30default_config_static_selectorELNS0_4arch9wavefront6targetE0EEEvT1_: ; @_ZN7rocprim17ROCPRIM_400000_NS6detail17trampoline_kernelINS0_14default_configENS1_25partition_config_selectorILNS1_17partition_subalgoE9EllbEEZZNS1_14partition_implILS5_9ELb0ES3_jPlS8_PNS0_10empty_typeENS0_5tupleIJS8_S9_EEENSB_IJS8_SA_EEENS0_18inequality_wrapperIZN2at6native12_GLOBAL__N_124unique_dim_cuda_templateIiEESt5tupleIJNSF_6TensorESK_SK_EERKSK_lbbbEUlllE0_EEPmJS9_EEE10hipError_tPvRmT3_T4_T5_T6_T7_T9_mT8_P12ihipStream_tbDpT10_ENKUlT_T0_E_clISt17integral_constantIbLb1EES19_IbLb0EEEEDaS15_S16_EUlS15_E_NS1_11comp_targetILNS1_3genE8ELNS1_11target_archE1030ELNS1_3gpuE2ELNS1_3repE0EEENS1_30default_config_static_selectorELNS0_4arch9wavefront6targetE0EEEvT1_
; %bb.0:
	.section	.rodata,"a",@progbits
	.p2align	6, 0x0
	.amdhsa_kernel _ZN7rocprim17ROCPRIM_400000_NS6detail17trampoline_kernelINS0_14default_configENS1_25partition_config_selectorILNS1_17partition_subalgoE9EllbEEZZNS1_14partition_implILS5_9ELb0ES3_jPlS8_PNS0_10empty_typeENS0_5tupleIJS8_S9_EEENSB_IJS8_SA_EEENS0_18inequality_wrapperIZN2at6native12_GLOBAL__N_124unique_dim_cuda_templateIiEESt5tupleIJNSF_6TensorESK_SK_EERKSK_lbbbEUlllE0_EEPmJS9_EEE10hipError_tPvRmT3_T4_T5_T6_T7_T9_mT8_P12ihipStream_tbDpT10_ENKUlT_T0_E_clISt17integral_constantIbLb1EES19_IbLb0EEEEDaS15_S16_EUlS15_E_NS1_11comp_targetILNS1_3genE8ELNS1_11target_archE1030ELNS1_3gpuE2ELNS1_3repE0EEENS1_30default_config_static_selectorELNS0_4arch9wavefront6targetE0EEEvT1_
		.amdhsa_group_segment_fixed_size 0
		.amdhsa_private_segment_fixed_size 0
		.amdhsa_kernarg_size 120
		.amdhsa_user_sgpr_count 15
		.amdhsa_user_sgpr_dispatch_ptr 0
		.amdhsa_user_sgpr_queue_ptr 0
		.amdhsa_user_sgpr_kernarg_segment_ptr 1
		.amdhsa_user_sgpr_dispatch_id 0
		.amdhsa_user_sgpr_private_segment_size 0
		.amdhsa_wavefront_size32 1
		.amdhsa_uses_dynamic_stack 0
		.amdhsa_enable_private_segment 0
		.amdhsa_system_sgpr_workgroup_id_x 1
		.amdhsa_system_sgpr_workgroup_id_y 0
		.amdhsa_system_sgpr_workgroup_id_z 0
		.amdhsa_system_sgpr_workgroup_info 0
		.amdhsa_system_vgpr_workitem_id 0
		.amdhsa_next_free_vgpr 1
		.amdhsa_next_free_sgpr 1
		.amdhsa_reserve_vcc 0
		.amdhsa_float_round_mode_32 0
		.amdhsa_float_round_mode_16_64 0
		.amdhsa_float_denorm_mode_32 3
		.amdhsa_float_denorm_mode_16_64 3
		.amdhsa_dx10_clamp 1
		.amdhsa_ieee_mode 1
		.amdhsa_fp16_overflow 0
		.amdhsa_workgroup_processor_mode 1
		.amdhsa_memory_ordered 1
		.amdhsa_forward_progress 0
		.amdhsa_shared_vgpr_count 0
		.amdhsa_exception_fp_ieee_invalid_op 0
		.amdhsa_exception_fp_denorm_src 0
		.amdhsa_exception_fp_ieee_div_zero 0
		.amdhsa_exception_fp_ieee_overflow 0
		.amdhsa_exception_fp_ieee_underflow 0
		.amdhsa_exception_fp_ieee_inexact 0
		.amdhsa_exception_int_div_zero 0
	.end_amdhsa_kernel
	.section	.text._ZN7rocprim17ROCPRIM_400000_NS6detail17trampoline_kernelINS0_14default_configENS1_25partition_config_selectorILNS1_17partition_subalgoE9EllbEEZZNS1_14partition_implILS5_9ELb0ES3_jPlS8_PNS0_10empty_typeENS0_5tupleIJS8_S9_EEENSB_IJS8_SA_EEENS0_18inequality_wrapperIZN2at6native12_GLOBAL__N_124unique_dim_cuda_templateIiEESt5tupleIJNSF_6TensorESK_SK_EERKSK_lbbbEUlllE0_EEPmJS9_EEE10hipError_tPvRmT3_T4_T5_T6_T7_T9_mT8_P12ihipStream_tbDpT10_ENKUlT_T0_E_clISt17integral_constantIbLb1EES19_IbLb0EEEEDaS15_S16_EUlS15_E_NS1_11comp_targetILNS1_3genE8ELNS1_11target_archE1030ELNS1_3gpuE2ELNS1_3repE0EEENS1_30default_config_static_selectorELNS0_4arch9wavefront6targetE0EEEvT1_,"axG",@progbits,_ZN7rocprim17ROCPRIM_400000_NS6detail17trampoline_kernelINS0_14default_configENS1_25partition_config_selectorILNS1_17partition_subalgoE9EllbEEZZNS1_14partition_implILS5_9ELb0ES3_jPlS8_PNS0_10empty_typeENS0_5tupleIJS8_S9_EEENSB_IJS8_SA_EEENS0_18inequality_wrapperIZN2at6native12_GLOBAL__N_124unique_dim_cuda_templateIiEESt5tupleIJNSF_6TensorESK_SK_EERKSK_lbbbEUlllE0_EEPmJS9_EEE10hipError_tPvRmT3_T4_T5_T6_T7_T9_mT8_P12ihipStream_tbDpT10_ENKUlT_T0_E_clISt17integral_constantIbLb1EES19_IbLb0EEEEDaS15_S16_EUlS15_E_NS1_11comp_targetILNS1_3genE8ELNS1_11target_archE1030ELNS1_3gpuE2ELNS1_3repE0EEENS1_30default_config_static_selectorELNS0_4arch9wavefront6targetE0EEEvT1_,comdat
.Lfunc_end496:
	.size	_ZN7rocprim17ROCPRIM_400000_NS6detail17trampoline_kernelINS0_14default_configENS1_25partition_config_selectorILNS1_17partition_subalgoE9EllbEEZZNS1_14partition_implILS5_9ELb0ES3_jPlS8_PNS0_10empty_typeENS0_5tupleIJS8_S9_EEENSB_IJS8_SA_EEENS0_18inequality_wrapperIZN2at6native12_GLOBAL__N_124unique_dim_cuda_templateIiEESt5tupleIJNSF_6TensorESK_SK_EERKSK_lbbbEUlllE0_EEPmJS9_EEE10hipError_tPvRmT3_T4_T5_T6_T7_T9_mT8_P12ihipStream_tbDpT10_ENKUlT_T0_E_clISt17integral_constantIbLb1EES19_IbLb0EEEEDaS15_S16_EUlS15_E_NS1_11comp_targetILNS1_3genE8ELNS1_11target_archE1030ELNS1_3gpuE2ELNS1_3repE0EEENS1_30default_config_static_selectorELNS0_4arch9wavefront6targetE0EEEvT1_, .Lfunc_end496-_ZN7rocprim17ROCPRIM_400000_NS6detail17trampoline_kernelINS0_14default_configENS1_25partition_config_selectorILNS1_17partition_subalgoE9EllbEEZZNS1_14partition_implILS5_9ELb0ES3_jPlS8_PNS0_10empty_typeENS0_5tupleIJS8_S9_EEENSB_IJS8_SA_EEENS0_18inequality_wrapperIZN2at6native12_GLOBAL__N_124unique_dim_cuda_templateIiEESt5tupleIJNSF_6TensorESK_SK_EERKSK_lbbbEUlllE0_EEPmJS9_EEE10hipError_tPvRmT3_T4_T5_T6_T7_T9_mT8_P12ihipStream_tbDpT10_ENKUlT_T0_E_clISt17integral_constantIbLb1EES19_IbLb0EEEEDaS15_S16_EUlS15_E_NS1_11comp_targetILNS1_3genE8ELNS1_11target_archE1030ELNS1_3gpuE2ELNS1_3repE0EEENS1_30default_config_static_selectorELNS0_4arch9wavefront6targetE0EEEvT1_
                                        ; -- End function
	.section	.AMDGPU.csdata,"",@progbits
; Kernel info:
; codeLenInByte = 0
; NumSgprs: 0
; NumVgprs: 0
; ScratchSize: 0
; MemoryBound: 0
; FloatMode: 240
; IeeeMode: 1
; LDSByteSize: 0 bytes/workgroup (compile time only)
; SGPRBlocks: 0
; VGPRBlocks: 0
; NumSGPRsForWavesPerEU: 1
; NumVGPRsForWavesPerEU: 1
; Occupancy: 16
; WaveLimiterHint : 0
; COMPUTE_PGM_RSRC2:SCRATCH_EN: 0
; COMPUTE_PGM_RSRC2:USER_SGPR: 15
; COMPUTE_PGM_RSRC2:TRAP_HANDLER: 0
; COMPUTE_PGM_RSRC2:TGID_X_EN: 1
; COMPUTE_PGM_RSRC2:TGID_Y_EN: 0
; COMPUTE_PGM_RSRC2:TGID_Z_EN: 0
; COMPUTE_PGM_RSRC2:TIDIG_COMP_CNT: 0
	.section	.text._ZN7rocprim17ROCPRIM_400000_NS6detail17trampoline_kernelINS0_14default_configENS1_25partition_config_selectorILNS1_17partition_subalgoE9EllbEEZZNS1_14partition_implILS5_9ELb0ES3_jPlS8_PNS0_10empty_typeENS0_5tupleIJS8_S9_EEENSB_IJS8_SA_EEENS0_18inequality_wrapperIZN2at6native12_GLOBAL__N_124unique_dim_cuda_templateIiEESt5tupleIJNSF_6TensorESK_SK_EERKSK_lbbbEUlllE0_EEPmJS9_EEE10hipError_tPvRmT3_T4_T5_T6_T7_T9_mT8_P12ihipStream_tbDpT10_ENKUlT_T0_E_clISt17integral_constantIbLb0EES19_IbLb1EEEEDaS15_S16_EUlS15_E_NS1_11comp_targetILNS1_3genE0ELNS1_11target_archE4294967295ELNS1_3gpuE0ELNS1_3repE0EEENS1_30default_config_static_selectorELNS0_4arch9wavefront6targetE0EEEvT1_,"axG",@progbits,_ZN7rocprim17ROCPRIM_400000_NS6detail17trampoline_kernelINS0_14default_configENS1_25partition_config_selectorILNS1_17partition_subalgoE9EllbEEZZNS1_14partition_implILS5_9ELb0ES3_jPlS8_PNS0_10empty_typeENS0_5tupleIJS8_S9_EEENSB_IJS8_SA_EEENS0_18inequality_wrapperIZN2at6native12_GLOBAL__N_124unique_dim_cuda_templateIiEESt5tupleIJNSF_6TensorESK_SK_EERKSK_lbbbEUlllE0_EEPmJS9_EEE10hipError_tPvRmT3_T4_T5_T6_T7_T9_mT8_P12ihipStream_tbDpT10_ENKUlT_T0_E_clISt17integral_constantIbLb0EES19_IbLb1EEEEDaS15_S16_EUlS15_E_NS1_11comp_targetILNS1_3genE0ELNS1_11target_archE4294967295ELNS1_3gpuE0ELNS1_3repE0EEENS1_30default_config_static_selectorELNS0_4arch9wavefront6targetE0EEEvT1_,comdat
	.globl	_ZN7rocprim17ROCPRIM_400000_NS6detail17trampoline_kernelINS0_14default_configENS1_25partition_config_selectorILNS1_17partition_subalgoE9EllbEEZZNS1_14partition_implILS5_9ELb0ES3_jPlS8_PNS0_10empty_typeENS0_5tupleIJS8_S9_EEENSB_IJS8_SA_EEENS0_18inequality_wrapperIZN2at6native12_GLOBAL__N_124unique_dim_cuda_templateIiEESt5tupleIJNSF_6TensorESK_SK_EERKSK_lbbbEUlllE0_EEPmJS9_EEE10hipError_tPvRmT3_T4_T5_T6_T7_T9_mT8_P12ihipStream_tbDpT10_ENKUlT_T0_E_clISt17integral_constantIbLb0EES19_IbLb1EEEEDaS15_S16_EUlS15_E_NS1_11comp_targetILNS1_3genE0ELNS1_11target_archE4294967295ELNS1_3gpuE0ELNS1_3repE0EEENS1_30default_config_static_selectorELNS0_4arch9wavefront6targetE0EEEvT1_ ; -- Begin function _ZN7rocprim17ROCPRIM_400000_NS6detail17trampoline_kernelINS0_14default_configENS1_25partition_config_selectorILNS1_17partition_subalgoE9EllbEEZZNS1_14partition_implILS5_9ELb0ES3_jPlS8_PNS0_10empty_typeENS0_5tupleIJS8_S9_EEENSB_IJS8_SA_EEENS0_18inequality_wrapperIZN2at6native12_GLOBAL__N_124unique_dim_cuda_templateIiEESt5tupleIJNSF_6TensorESK_SK_EERKSK_lbbbEUlllE0_EEPmJS9_EEE10hipError_tPvRmT3_T4_T5_T6_T7_T9_mT8_P12ihipStream_tbDpT10_ENKUlT_T0_E_clISt17integral_constantIbLb0EES19_IbLb1EEEEDaS15_S16_EUlS15_E_NS1_11comp_targetILNS1_3genE0ELNS1_11target_archE4294967295ELNS1_3gpuE0ELNS1_3repE0EEENS1_30default_config_static_selectorELNS0_4arch9wavefront6targetE0EEEvT1_
	.p2align	8
	.type	_ZN7rocprim17ROCPRIM_400000_NS6detail17trampoline_kernelINS0_14default_configENS1_25partition_config_selectorILNS1_17partition_subalgoE9EllbEEZZNS1_14partition_implILS5_9ELb0ES3_jPlS8_PNS0_10empty_typeENS0_5tupleIJS8_S9_EEENSB_IJS8_SA_EEENS0_18inequality_wrapperIZN2at6native12_GLOBAL__N_124unique_dim_cuda_templateIiEESt5tupleIJNSF_6TensorESK_SK_EERKSK_lbbbEUlllE0_EEPmJS9_EEE10hipError_tPvRmT3_T4_T5_T6_T7_T9_mT8_P12ihipStream_tbDpT10_ENKUlT_T0_E_clISt17integral_constantIbLb0EES19_IbLb1EEEEDaS15_S16_EUlS15_E_NS1_11comp_targetILNS1_3genE0ELNS1_11target_archE4294967295ELNS1_3gpuE0ELNS1_3repE0EEENS1_30default_config_static_selectorELNS0_4arch9wavefront6targetE0EEEvT1_,@function
_ZN7rocprim17ROCPRIM_400000_NS6detail17trampoline_kernelINS0_14default_configENS1_25partition_config_selectorILNS1_17partition_subalgoE9EllbEEZZNS1_14partition_implILS5_9ELb0ES3_jPlS8_PNS0_10empty_typeENS0_5tupleIJS8_S9_EEENSB_IJS8_SA_EEENS0_18inequality_wrapperIZN2at6native12_GLOBAL__N_124unique_dim_cuda_templateIiEESt5tupleIJNSF_6TensorESK_SK_EERKSK_lbbbEUlllE0_EEPmJS9_EEE10hipError_tPvRmT3_T4_T5_T6_T7_T9_mT8_P12ihipStream_tbDpT10_ENKUlT_T0_E_clISt17integral_constantIbLb0EES19_IbLb1EEEEDaS15_S16_EUlS15_E_NS1_11comp_targetILNS1_3genE0ELNS1_11target_archE4294967295ELNS1_3gpuE0ELNS1_3repE0EEENS1_30default_config_static_selectorELNS0_4arch9wavefront6targetE0EEEvT1_: ; @_ZN7rocprim17ROCPRIM_400000_NS6detail17trampoline_kernelINS0_14default_configENS1_25partition_config_selectorILNS1_17partition_subalgoE9EllbEEZZNS1_14partition_implILS5_9ELb0ES3_jPlS8_PNS0_10empty_typeENS0_5tupleIJS8_S9_EEENSB_IJS8_SA_EEENS0_18inequality_wrapperIZN2at6native12_GLOBAL__N_124unique_dim_cuda_templateIiEESt5tupleIJNSF_6TensorESK_SK_EERKSK_lbbbEUlllE0_EEPmJS9_EEE10hipError_tPvRmT3_T4_T5_T6_T7_T9_mT8_P12ihipStream_tbDpT10_ENKUlT_T0_E_clISt17integral_constantIbLb0EES19_IbLb1EEEEDaS15_S16_EUlS15_E_NS1_11comp_targetILNS1_3genE0ELNS1_11target_archE4294967295ELNS1_3gpuE0ELNS1_3repE0EEENS1_30default_config_static_selectorELNS0_4arch9wavefront6targetE0EEEvT1_
; %bb.0:
	.section	.rodata,"a",@progbits
	.p2align	6, 0x0
	.amdhsa_kernel _ZN7rocprim17ROCPRIM_400000_NS6detail17trampoline_kernelINS0_14default_configENS1_25partition_config_selectorILNS1_17partition_subalgoE9EllbEEZZNS1_14partition_implILS5_9ELb0ES3_jPlS8_PNS0_10empty_typeENS0_5tupleIJS8_S9_EEENSB_IJS8_SA_EEENS0_18inequality_wrapperIZN2at6native12_GLOBAL__N_124unique_dim_cuda_templateIiEESt5tupleIJNSF_6TensorESK_SK_EERKSK_lbbbEUlllE0_EEPmJS9_EEE10hipError_tPvRmT3_T4_T5_T6_T7_T9_mT8_P12ihipStream_tbDpT10_ENKUlT_T0_E_clISt17integral_constantIbLb0EES19_IbLb1EEEEDaS15_S16_EUlS15_E_NS1_11comp_targetILNS1_3genE0ELNS1_11target_archE4294967295ELNS1_3gpuE0ELNS1_3repE0EEENS1_30default_config_static_selectorELNS0_4arch9wavefront6targetE0EEEvT1_
		.amdhsa_group_segment_fixed_size 0
		.amdhsa_private_segment_fixed_size 0
		.amdhsa_kernarg_size 136
		.amdhsa_user_sgpr_count 15
		.amdhsa_user_sgpr_dispatch_ptr 0
		.amdhsa_user_sgpr_queue_ptr 0
		.amdhsa_user_sgpr_kernarg_segment_ptr 1
		.amdhsa_user_sgpr_dispatch_id 0
		.amdhsa_user_sgpr_private_segment_size 0
		.amdhsa_wavefront_size32 1
		.amdhsa_uses_dynamic_stack 0
		.amdhsa_enable_private_segment 0
		.amdhsa_system_sgpr_workgroup_id_x 1
		.amdhsa_system_sgpr_workgroup_id_y 0
		.amdhsa_system_sgpr_workgroup_id_z 0
		.amdhsa_system_sgpr_workgroup_info 0
		.amdhsa_system_vgpr_workitem_id 0
		.amdhsa_next_free_vgpr 1
		.amdhsa_next_free_sgpr 1
		.amdhsa_reserve_vcc 0
		.amdhsa_float_round_mode_32 0
		.amdhsa_float_round_mode_16_64 0
		.amdhsa_float_denorm_mode_32 3
		.amdhsa_float_denorm_mode_16_64 3
		.amdhsa_dx10_clamp 1
		.amdhsa_ieee_mode 1
		.amdhsa_fp16_overflow 0
		.amdhsa_workgroup_processor_mode 1
		.amdhsa_memory_ordered 1
		.amdhsa_forward_progress 0
		.amdhsa_shared_vgpr_count 0
		.amdhsa_exception_fp_ieee_invalid_op 0
		.amdhsa_exception_fp_denorm_src 0
		.amdhsa_exception_fp_ieee_div_zero 0
		.amdhsa_exception_fp_ieee_overflow 0
		.amdhsa_exception_fp_ieee_underflow 0
		.amdhsa_exception_fp_ieee_inexact 0
		.amdhsa_exception_int_div_zero 0
	.end_amdhsa_kernel
	.section	.text._ZN7rocprim17ROCPRIM_400000_NS6detail17trampoline_kernelINS0_14default_configENS1_25partition_config_selectorILNS1_17partition_subalgoE9EllbEEZZNS1_14partition_implILS5_9ELb0ES3_jPlS8_PNS0_10empty_typeENS0_5tupleIJS8_S9_EEENSB_IJS8_SA_EEENS0_18inequality_wrapperIZN2at6native12_GLOBAL__N_124unique_dim_cuda_templateIiEESt5tupleIJNSF_6TensorESK_SK_EERKSK_lbbbEUlllE0_EEPmJS9_EEE10hipError_tPvRmT3_T4_T5_T6_T7_T9_mT8_P12ihipStream_tbDpT10_ENKUlT_T0_E_clISt17integral_constantIbLb0EES19_IbLb1EEEEDaS15_S16_EUlS15_E_NS1_11comp_targetILNS1_3genE0ELNS1_11target_archE4294967295ELNS1_3gpuE0ELNS1_3repE0EEENS1_30default_config_static_selectorELNS0_4arch9wavefront6targetE0EEEvT1_,"axG",@progbits,_ZN7rocprim17ROCPRIM_400000_NS6detail17trampoline_kernelINS0_14default_configENS1_25partition_config_selectorILNS1_17partition_subalgoE9EllbEEZZNS1_14partition_implILS5_9ELb0ES3_jPlS8_PNS0_10empty_typeENS0_5tupleIJS8_S9_EEENSB_IJS8_SA_EEENS0_18inequality_wrapperIZN2at6native12_GLOBAL__N_124unique_dim_cuda_templateIiEESt5tupleIJNSF_6TensorESK_SK_EERKSK_lbbbEUlllE0_EEPmJS9_EEE10hipError_tPvRmT3_T4_T5_T6_T7_T9_mT8_P12ihipStream_tbDpT10_ENKUlT_T0_E_clISt17integral_constantIbLb0EES19_IbLb1EEEEDaS15_S16_EUlS15_E_NS1_11comp_targetILNS1_3genE0ELNS1_11target_archE4294967295ELNS1_3gpuE0ELNS1_3repE0EEENS1_30default_config_static_selectorELNS0_4arch9wavefront6targetE0EEEvT1_,comdat
.Lfunc_end497:
	.size	_ZN7rocprim17ROCPRIM_400000_NS6detail17trampoline_kernelINS0_14default_configENS1_25partition_config_selectorILNS1_17partition_subalgoE9EllbEEZZNS1_14partition_implILS5_9ELb0ES3_jPlS8_PNS0_10empty_typeENS0_5tupleIJS8_S9_EEENSB_IJS8_SA_EEENS0_18inequality_wrapperIZN2at6native12_GLOBAL__N_124unique_dim_cuda_templateIiEESt5tupleIJNSF_6TensorESK_SK_EERKSK_lbbbEUlllE0_EEPmJS9_EEE10hipError_tPvRmT3_T4_T5_T6_T7_T9_mT8_P12ihipStream_tbDpT10_ENKUlT_T0_E_clISt17integral_constantIbLb0EES19_IbLb1EEEEDaS15_S16_EUlS15_E_NS1_11comp_targetILNS1_3genE0ELNS1_11target_archE4294967295ELNS1_3gpuE0ELNS1_3repE0EEENS1_30default_config_static_selectorELNS0_4arch9wavefront6targetE0EEEvT1_, .Lfunc_end497-_ZN7rocprim17ROCPRIM_400000_NS6detail17trampoline_kernelINS0_14default_configENS1_25partition_config_selectorILNS1_17partition_subalgoE9EllbEEZZNS1_14partition_implILS5_9ELb0ES3_jPlS8_PNS0_10empty_typeENS0_5tupleIJS8_S9_EEENSB_IJS8_SA_EEENS0_18inequality_wrapperIZN2at6native12_GLOBAL__N_124unique_dim_cuda_templateIiEESt5tupleIJNSF_6TensorESK_SK_EERKSK_lbbbEUlllE0_EEPmJS9_EEE10hipError_tPvRmT3_T4_T5_T6_T7_T9_mT8_P12ihipStream_tbDpT10_ENKUlT_T0_E_clISt17integral_constantIbLb0EES19_IbLb1EEEEDaS15_S16_EUlS15_E_NS1_11comp_targetILNS1_3genE0ELNS1_11target_archE4294967295ELNS1_3gpuE0ELNS1_3repE0EEENS1_30default_config_static_selectorELNS0_4arch9wavefront6targetE0EEEvT1_
                                        ; -- End function
	.section	.AMDGPU.csdata,"",@progbits
; Kernel info:
; codeLenInByte = 0
; NumSgprs: 0
; NumVgprs: 0
; ScratchSize: 0
; MemoryBound: 0
; FloatMode: 240
; IeeeMode: 1
; LDSByteSize: 0 bytes/workgroup (compile time only)
; SGPRBlocks: 0
; VGPRBlocks: 0
; NumSGPRsForWavesPerEU: 1
; NumVGPRsForWavesPerEU: 1
; Occupancy: 16
; WaveLimiterHint : 0
; COMPUTE_PGM_RSRC2:SCRATCH_EN: 0
; COMPUTE_PGM_RSRC2:USER_SGPR: 15
; COMPUTE_PGM_RSRC2:TRAP_HANDLER: 0
; COMPUTE_PGM_RSRC2:TGID_X_EN: 1
; COMPUTE_PGM_RSRC2:TGID_Y_EN: 0
; COMPUTE_PGM_RSRC2:TGID_Z_EN: 0
; COMPUTE_PGM_RSRC2:TIDIG_COMP_CNT: 0
	.section	.text._ZN7rocprim17ROCPRIM_400000_NS6detail17trampoline_kernelINS0_14default_configENS1_25partition_config_selectorILNS1_17partition_subalgoE9EllbEEZZNS1_14partition_implILS5_9ELb0ES3_jPlS8_PNS0_10empty_typeENS0_5tupleIJS8_S9_EEENSB_IJS8_SA_EEENS0_18inequality_wrapperIZN2at6native12_GLOBAL__N_124unique_dim_cuda_templateIiEESt5tupleIJNSF_6TensorESK_SK_EERKSK_lbbbEUlllE0_EEPmJS9_EEE10hipError_tPvRmT3_T4_T5_T6_T7_T9_mT8_P12ihipStream_tbDpT10_ENKUlT_T0_E_clISt17integral_constantIbLb0EES19_IbLb1EEEEDaS15_S16_EUlS15_E_NS1_11comp_targetILNS1_3genE5ELNS1_11target_archE942ELNS1_3gpuE9ELNS1_3repE0EEENS1_30default_config_static_selectorELNS0_4arch9wavefront6targetE0EEEvT1_,"axG",@progbits,_ZN7rocprim17ROCPRIM_400000_NS6detail17trampoline_kernelINS0_14default_configENS1_25partition_config_selectorILNS1_17partition_subalgoE9EllbEEZZNS1_14partition_implILS5_9ELb0ES3_jPlS8_PNS0_10empty_typeENS0_5tupleIJS8_S9_EEENSB_IJS8_SA_EEENS0_18inequality_wrapperIZN2at6native12_GLOBAL__N_124unique_dim_cuda_templateIiEESt5tupleIJNSF_6TensorESK_SK_EERKSK_lbbbEUlllE0_EEPmJS9_EEE10hipError_tPvRmT3_T4_T5_T6_T7_T9_mT8_P12ihipStream_tbDpT10_ENKUlT_T0_E_clISt17integral_constantIbLb0EES19_IbLb1EEEEDaS15_S16_EUlS15_E_NS1_11comp_targetILNS1_3genE5ELNS1_11target_archE942ELNS1_3gpuE9ELNS1_3repE0EEENS1_30default_config_static_selectorELNS0_4arch9wavefront6targetE0EEEvT1_,comdat
	.globl	_ZN7rocprim17ROCPRIM_400000_NS6detail17trampoline_kernelINS0_14default_configENS1_25partition_config_selectorILNS1_17partition_subalgoE9EllbEEZZNS1_14partition_implILS5_9ELb0ES3_jPlS8_PNS0_10empty_typeENS0_5tupleIJS8_S9_EEENSB_IJS8_SA_EEENS0_18inequality_wrapperIZN2at6native12_GLOBAL__N_124unique_dim_cuda_templateIiEESt5tupleIJNSF_6TensorESK_SK_EERKSK_lbbbEUlllE0_EEPmJS9_EEE10hipError_tPvRmT3_T4_T5_T6_T7_T9_mT8_P12ihipStream_tbDpT10_ENKUlT_T0_E_clISt17integral_constantIbLb0EES19_IbLb1EEEEDaS15_S16_EUlS15_E_NS1_11comp_targetILNS1_3genE5ELNS1_11target_archE942ELNS1_3gpuE9ELNS1_3repE0EEENS1_30default_config_static_selectorELNS0_4arch9wavefront6targetE0EEEvT1_ ; -- Begin function _ZN7rocprim17ROCPRIM_400000_NS6detail17trampoline_kernelINS0_14default_configENS1_25partition_config_selectorILNS1_17partition_subalgoE9EllbEEZZNS1_14partition_implILS5_9ELb0ES3_jPlS8_PNS0_10empty_typeENS0_5tupleIJS8_S9_EEENSB_IJS8_SA_EEENS0_18inequality_wrapperIZN2at6native12_GLOBAL__N_124unique_dim_cuda_templateIiEESt5tupleIJNSF_6TensorESK_SK_EERKSK_lbbbEUlllE0_EEPmJS9_EEE10hipError_tPvRmT3_T4_T5_T6_T7_T9_mT8_P12ihipStream_tbDpT10_ENKUlT_T0_E_clISt17integral_constantIbLb0EES19_IbLb1EEEEDaS15_S16_EUlS15_E_NS1_11comp_targetILNS1_3genE5ELNS1_11target_archE942ELNS1_3gpuE9ELNS1_3repE0EEENS1_30default_config_static_selectorELNS0_4arch9wavefront6targetE0EEEvT1_
	.p2align	8
	.type	_ZN7rocprim17ROCPRIM_400000_NS6detail17trampoline_kernelINS0_14default_configENS1_25partition_config_selectorILNS1_17partition_subalgoE9EllbEEZZNS1_14partition_implILS5_9ELb0ES3_jPlS8_PNS0_10empty_typeENS0_5tupleIJS8_S9_EEENSB_IJS8_SA_EEENS0_18inequality_wrapperIZN2at6native12_GLOBAL__N_124unique_dim_cuda_templateIiEESt5tupleIJNSF_6TensorESK_SK_EERKSK_lbbbEUlllE0_EEPmJS9_EEE10hipError_tPvRmT3_T4_T5_T6_T7_T9_mT8_P12ihipStream_tbDpT10_ENKUlT_T0_E_clISt17integral_constantIbLb0EES19_IbLb1EEEEDaS15_S16_EUlS15_E_NS1_11comp_targetILNS1_3genE5ELNS1_11target_archE942ELNS1_3gpuE9ELNS1_3repE0EEENS1_30default_config_static_selectorELNS0_4arch9wavefront6targetE0EEEvT1_,@function
_ZN7rocprim17ROCPRIM_400000_NS6detail17trampoline_kernelINS0_14default_configENS1_25partition_config_selectorILNS1_17partition_subalgoE9EllbEEZZNS1_14partition_implILS5_9ELb0ES3_jPlS8_PNS0_10empty_typeENS0_5tupleIJS8_S9_EEENSB_IJS8_SA_EEENS0_18inequality_wrapperIZN2at6native12_GLOBAL__N_124unique_dim_cuda_templateIiEESt5tupleIJNSF_6TensorESK_SK_EERKSK_lbbbEUlllE0_EEPmJS9_EEE10hipError_tPvRmT3_T4_T5_T6_T7_T9_mT8_P12ihipStream_tbDpT10_ENKUlT_T0_E_clISt17integral_constantIbLb0EES19_IbLb1EEEEDaS15_S16_EUlS15_E_NS1_11comp_targetILNS1_3genE5ELNS1_11target_archE942ELNS1_3gpuE9ELNS1_3repE0EEENS1_30default_config_static_selectorELNS0_4arch9wavefront6targetE0EEEvT1_: ; @_ZN7rocprim17ROCPRIM_400000_NS6detail17trampoline_kernelINS0_14default_configENS1_25partition_config_selectorILNS1_17partition_subalgoE9EllbEEZZNS1_14partition_implILS5_9ELb0ES3_jPlS8_PNS0_10empty_typeENS0_5tupleIJS8_S9_EEENSB_IJS8_SA_EEENS0_18inequality_wrapperIZN2at6native12_GLOBAL__N_124unique_dim_cuda_templateIiEESt5tupleIJNSF_6TensorESK_SK_EERKSK_lbbbEUlllE0_EEPmJS9_EEE10hipError_tPvRmT3_T4_T5_T6_T7_T9_mT8_P12ihipStream_tbDpT10_ENKUlT_T0_E_clISt17integral_constantIbLb0EES19_IbLb1EEEEDaS15_S16_EUlS15_E_NS1_11comp_targetILNS1_3genE5ELNS1_11target_archE942ELNS1_3gpuE9ELNS1_3repE0EEENS1_30default_config_static_selectorELNS0_4arch9wavefront6targetE0EEEvT1_
; %bb.0:
	.section	.rodata,"a",@progbits
	.p2align	6, 0x0
	.amdhsa_kernel _ZN7rocprim17ROCPRIM_400000_NS6detail17trampoline_kernelINS0_14default_configENS1_25partition_config_selectorILNS1_17partition_subalgoE9EllbEEZZNS1_14partition_implILS5_9ELb0ES3_jPlS8_PNS0_10empty_typeENS0_5tupleIJS8_S9_EEENSB_IJS8_SA_EEENS0_18inequality_wrapperIZN2at6native12_GLOBAL__N_124unique_dim_cuda_templateIiEESt5tupleIJNSF_6TensorESK_SK_EERKSK_lbbbEUlllE0_EEPmJS9_EEE10hipError_tPvRmT3_T4_T5_T6_T7_T9_mT8_P12ihipStream_tbDpT10_ENKUlT_T0_E_clISt17integral_constantIbLb0EES19_IbLb1EEEEDaS15_S16_EUlS15_E_NS1_11comp_targetILNS1_3genE5ELNS1_11target_archE942ELNS1_3gpuE9ELNS1_3repE0EEENS1_30default_config_static_selectorELNS0_4arch9wavefront6targetE0EEEvT1_
		.amdhsa_group_segment_fixed_size 0
		.amdhsa_private_segment_fixed_size 0
		.amdhsa_kernarg_size 136
		.amdhsa_user_sgpr_count 15
		.amdhsa_user_sgpr_dispatch_ptr 0
		.amdhsa_user_sgpr_queue_ptr 0
		.amdhsa_user_sgpr_kernarg_segment_ptr 1
		.amdhsa_user_sgpr_dispatch_id 0
		.amdhsa_user_sgpr_private_segment_size 0
		.amdhsa_wavefront_size32 1
		.amdhsa_uses_dynamic_stack 0
		.amdhsa_enable_private_segment 0
		.amdhsa_system_sgpr_workgroup_id_x 1
		.amdhsa_system_sgpr_workgroup_id_y 0
		.amdhsa_system_sgpr_workgroup_id_z 0
		.amdhsa_system_sgpr_workgroup_info 0
		.amdhsa_system_vgpr_workitem_id 0
		.amdhsa_next_free_vgpr 1
		.amdhsa_next_free_sgpr 1
		.amdhsa_reserve_vcc 0
		.amdhsa_float_round_mode_32 0
		.amdhsa_float_round_mode_16_64 0
		.amdhsa_float_denorm_mode_32 3
		.amdhsa_float_denorm_mode_16_64 3
		.amdhsa_dx10_clamp 1
		.amdhsa_ieee_mode 1
		.amdhsa_fp16_overflow 0
		.amdhsa_workgroup_processor_mode 1
		.amdhsa_memory_ordered 1
		.amdhsa_forward_progress 0
		.amdhsa_shared_vgpr_count 0
		.amdhsa_exception_fp_ieee_invalid_op 0
		.amdhsa_exception_fp_denorm_src 0
		.amdhsa_exception_fp_ieee_div_zero 0
		.amdhsa_exception_fp_ieee_overflow 0
		.amdhsa_exception_fp_ieee_underflow 0
		.amdhsa_exception_fp_ieee_inexact 0
		.amdhsa_exception_int_div_zero 0
	.end_amdhsa_kernel
	.section	.text._ZN7rocprim17ROCPRIM_400000_NS6detail17trampoline_kernelINS0_14default_configENS1_25partition_config_selectorILNS1_17partition_subalgoE9EllbEEZZNS1_14partition_implILS5_9ELb0ES3_jPlS8_PNS0_10empty_typeENS0_5tupleIJS8_S9_EEENSB_IJS8_SA_EEENS0_18inequality_wrapperIZN2at6native12_GLOBAL__N_124unique_dim_cuda_templateIiEESt5tupleIJNSF_6TensorESK_SK_EERKSK_lbbbEUlllE0_EEPmJS9_EEE10hipError_tPvRmT3_T4_T5_T6_T7_T9_mT8_P12ihipStream_tbDpT10_ENKUlT_T0_E_clISt17integral_constantIbLb0EES19_IbLb1EEEEDaS15_S16_EUlS15_E_NS1_11comp_targetILNS1_3genE5ELNS1_11target_archE942ELNS1_3gpuE9ELNS1_3repE0EEENS1_30default_config_static_selectorELNS0_4arch9wavefront6targetE0EEEvT1_,"axG",@progbits,_ZN7rocprim17ROCPRIM_400000_NS6detail17trampoline_kernelINS0_14default_configENS1_25partition_config_selectorILNS1_17partition_subalgoE9EllbEEZZNS1_14partition_implILS5_9ELb0ES3_jPlS8_PNS0_10empty_typeENS0_5tupleIJS8_S9_EEENSB_IJS8_SA_EEENS0_18inequality_wrapperIZN2at6native12_GLOBAL__N_124unique_dim_cuda_templateIiEESt5tupleIJNSF_6TensorESK_SK_EERKSK_lbbbEUlllE0_EEPmJS9_EEE10hipError_tPvRmT3_T4_T5_T6_T7_T9_mT8_P12ihipStream_tbDpT10_ENKUlT_T0_E_clISt17integral_constantIbLb0EES19_IbLb1EEEEDaS15_S16_EUlS15_E_NS1_11comp_targetILNS1_3genE5ELNS1_11target_archE942ELNS1_3gpuE9ELNS1_3repE0EEENS1_30default_config_static_selectorELNS0_4arch9wavefront6targetE0EEEvT1_,comdat
.Lfunc_end498:
	.size	_ZN7rocprim17ROCPRIM_400000_NS6detail17trampoline_kernelINS0_14default_configENS1_25partition_config_selectorILNS1_17partition_subalgoE9EllbEEZZNS1_14partition_implILS5_9ELb0ES3_jPlS8_PNS0_10empty_typeENS0_5tupleIJS8_S9_EEENSB_IJS8_SA_EEENS0_18inequality_wrapperIZN2at6native12_GLOBAL__N_124unique_dim_cuda_templateIiEESt5tupleIJNSF_6TensorESK_SK_EERKSK_lbbbEUlllE0_EEPmJS9_EEE10hipError_tPvRmT3_T4_T5_T6_T7_T9_mT8_P12ihipStream_tbDpT10_ENKUlT_T0_E_clISt17integral_constantIbLb0EES19_IbLb1EEEEDaS15_S16_EUlS15_E_NS1_11comp_targetILNS1_3genE5ELNS1_11target_archE942ELNS1_3gpuE9ELNS1_3repE0EEENS1_30default_config_static_selectorELNS0_4arch9wavefront6targetE0EEEvT1_, .Lfunc_end498-_ZN7rocprim17ROCPRIM_400000_NS6detail17trampoline_kernelINS0_14default_configENS1_25partition_config_selectorILNS1_17partition_subalgoE9EllbEEZZNS1_14partition_implILS5_9ELb0ES3_jPlS8_PNS0_10empty_typeENS0_5tupleIJS8_S9_EEENSB_IJS8_SA_EEENS0_18inequality_wrapperIZN2at6native12_GLOBAL__N_124unique_dim_cuda_templateIiEESt5tupleIJNSF_6TensorESK_SK_EERKSK_lbbbEUlllE0_EEPmJS9_EEE10hipError_tPvRmT3_T4_T5_T6_T7_T9_mT8_P12ihipStream_tbDpT10_ENKUlT_T0_E_clISt17integral_constantIbLb0EES19_IbLb1EEEEDaS15_S16_EUlS15_E_NS1_11comp_targetILNS1_3genE5ELNS1_11target_archE942ELNS1_3gpuE9ELNS1_3repE0EEENS1_30default_config_static_selectorELNS0_4arch9wavefront6targetE0EEEvT1_
                                        ; -- End function
	.section	.AMDGPU.csdata,"",@progbits
; Kernel info:
; codeLenInByte = 0
; NumSgprs: 0
; NumVgprs: 0
; ScratchSize: 0
; MemoryBound: 0
; FloatMode: 240
; IeeeMode: 1
; LDSByteSize: 0 bytes/workgroup (compile time only)
; SGPRBlocks: 0
; VGPRBlocks: 0
; NumSGPRsForWavesPerEU: 1
; NumVGPRsForWavesPerEU: 1
; Occupancy: 16
; WaveLimiterHint : 0
; COMPUTE_PGM_RSRC2:SCRATCH_EN: 0
; COMPUTE_PGM_RSRC2:USER_SGPR: 15
; COMPUTE_PGM_RSRC2:TRAP_HANDLER: 0
; COMPUTE_PGM_RSRC2:TGID_X_EN: 1
; COMPUTE_PGM_RSRC2:TGID_Y_EN: 0
; COMPUTE_PGM_RSRC2:TGID_Z_EN: 0
; COMPUTE_PGM_RSRC2:TIDIG_COMP_CNT: 0
	.section	.text._ZN7rocprim17ROCPRIM_400000_NS6detail17trampoline_kernelINS0_14default_configENS1_25partition_config_selectorILNS1_17partition_subalgoE9EllbEEZZNS1_14partition_implILS5_9ELb0ES3_jPlS8_PNS0_10empty_typeENS0_5tupleIJS8_S9_EEENSB_IJS8_SA_EEENS0_18inequality_wrapperIZN2at6native12_GLOBAL__N_124unique_dim_cuda_templateIiEESt5tupleIJNSF_6TensorESK_SK_EERKSK_lbbbEUlllE0_EEPmJS9_EEE10hipError_tPvRmT3_T4_T5_T6_T7_T9_mT8_P12ihipStream_tbDpT10_ENKUlT_T0_E_clISt17integral_constantIbLb0EES19_IbLb1EEEEDaS15_S16_EUlS15_E_NS1_11comp_targetILNS1_3genE4ELNS1_11target_archE910ELNS1_3gpuE8ELNS1_3repE0EEENS1_30default_config_static_selectorELNS0_4arch9wavefront6targetE0EEEvT1_,"axG",@progbits,_ZN7rocprim17ROCPRIM_400000_NS6detail17trampoline_kernelINS0_14default_configENS1_25partition_config_selectorILNS1_17partition_subalgoE9EllbEEZZNS1_14partition_implILS5_9ELb0ES3_jPlS8_PNS0_10empty_typeENS0_5tupleIJS8_S9_EEENSB_IJS8_SA_EEENS0_18inequality_wrapperIZN2at6native12_GLOBAL__N_124unique_dim_cuda_templateIiEESt5tupleIJNSF_6TensorESK_SK_EERKSK_lbbbEUlllE0_EEPmJS9_EEE10hipError_tPvRmT3_T4_T5_T6_T7_T9_mT8_P12ihipStream_tbDpT10_ENKUlT_T0_E_clISt17integral_constantIbLb0EES19_IbLb1EEEEDaS15_S16_EUlS15_E_NS1_11comp_targetILNS1_3genE4ELNS1_11target_archE910ELNS1_3gpuE8ELNS1_3repE0EEENS1_30default_config_static_selectorELNS0_4arch9wavefront6targetE0EEEvT1_,comdat
	.globl	_ZN7rocprim17ROCPRIM_400000_NS6detail17trampoline_kernelINS0_14default_configENS1_25partition_config_selectorILNS1_17partition_subalgoE9EllbEEZZNS1_14partition_implILS5_9ELb0ES3_jPlS8_PNS0_10empty_typeENS0_5tupleIJS8_S9_EEENSB_IJS8_SA_EEENS0_18inequality_wrapperIZN2at6native12_GLOBAL__N_124unique_dim_cuda_templateIiEESt5tupleIJNSF_6TensorESK_SK_EERKSK_lbbbEUlllE0_EEPmJS9_EEE10hipError_tPvRmT3_T4_T5_T6_T7_T9_mT8_P12ihipStream_tbDpT10_ENKUlT_T0_E_clISt17integral_constantIbLb0EES19_IbLb1EEEEDaS15_S16_EUlS15_E_NS1_11comp_targetILNS1_3genE4ELNS1_11target_archE910ELNS1_3gpuE8ELNS1_3repE0EEENS1_30default_config_static_selectorELNS0_4arch9wavefront6targetE0EEEvT1_ ; -- Begin function _ZN7rocprim17ROCPRIM_400000_NS6detail17trampoline_kernelINS0_14default_configENS1_25partition_config_selectorILNS1_17partition_subalgoE9EllbEEZZNS1_14partition_implILS5_9ELb0ES3_jPlS8_PNS0_10empty_typeENS0_5tupleIJS8_S9_EEENSB_IJS8_SA_EEENS0_18inequality_wrapperIZN2at6native12_GLOBAL__N_124unique_dim_cuda_templateIiEESt5tupleIJNSF_6TensorESK_SK_EERKSK_lbbbEUlllE0_EEPmJS9_EEE10hipError_tPvRmT3_T4_T5_T6_T7_T9_mT8_P12ihipStream_tbDpT10_ENKUlT_T0_E_clISt17integral_constantIbLb0EES19_IbLb1EEEEDaS15_S16_EUlS15_E_NS1_11comp_targetILNS1_3genE4ELNS1_11target_archE910ELNS1_3gpuE8ELNS1_3repE0EEENS1_30default_config_static_selectorELNS0_4arch9wavefront6targetE0EEEvT1_
	.p2align	8
	.type	_ZN7rocprim17ROCPRIM_400000_NS6detail17trampoline_kernelINS0_14default_configENS1_25partition_config_selectorILNS1_17partition_subalgoE9EllbEEZZNS1_14partition_implILS5_9ELb0ES3_jPlS8_PNS0_10empty_typeENS0_5tupleIJS8_S9_EEENSB_IJS8_SA_EEENS0_18inequality_wrapperIZN2at6native12_GLOBAL__N_124unique_dim_cuda_templateIiEESt5tupleIJNSF_6TensorESK_SK_EERKSK_lbbbEUlllE0_EEPmJS9_EEE10hipError_tPvRmT3_T4_T5_T6_T7_T9_mT8_P12ihipStream_tbDpT10_ENKUlT_T0_E_clISt17integral_constantIbLb0EES19_IbLb1EEEEDaS15_S16_EUlS15_E_NS1_11comp_targetILNS1_3genE4ELNS1_11target_archE910ELNS1_3gpuE8ELNS1_3repE0EEENS1_30default_config_static_selectorELNS0_4arch9wavefront6targetE0EEEvT1_,@function
_ZN7rocprim17ROCPRIM_400000_NS6detail17trampoline_kernelINS0_14default_configENS1_25partition_config_selectorILNS1_17partition_subalgoE9EllbEEZZNS1_14partition_implILS5_9ELb0ES3_jPlS8_PNS0_10empty_typeENS0_5tupleIJS8_S9_EEENSB_IJS8_SA_EEENS0_18inequality_wrapperIZN2at6native12_GLOBAL__N_124unique_dim_cuda_templateIiEESt5tupleIJNSF_6TensorESK_SK_EERKSK_lbbbEUlllE0_EEPmJS9_EEE10hipError_tPvRmT3_T4_T5_T6_T7_T9_mT8_P12ihipStream_tbDpT10_ENKUlT_T0_E_clISt17integral_constantIbLb0EES19_IbLb1EEEEDaS15_S16_EUlS15_E_NS1_11comp_targetILNS1_3genE4ELNS1_11target_archE910ELNS1_3gpuE8ELNS1_3repE0EEENS1_30default_config_static_selectorELNS0_4arch9wavefront6targetE0EEEvT1_: ; @_ZN7rocprim17ROCPRIM_400000_NS6detail17trampoline_kernelINS0_14default_configENS1_25partition_config_selectorILNS1_17partition_subalgoE9EllbEEZZNS1_14partition_implILS5_9ELb0ES3_jPlS8_PNS0_10empty_typeENS0_5tupleIJS8_S9_EEENSB_IJS8_SA_EEENS0_18inequality_wrapperIZN2at6native12_GLOBAL__N_124unique_dim_cuda_templateIiEESt5tupleIJNSF_6TensorESK_SK_EERKSK_lbbbEUlllE0_EEPmJS9_EEE10hipError_tPvRmT3_T4_T5_T6_T7_T9_mT8_P12ihipStream_tbDpT10_ENKUlT_T0_E_clISt17integral_constantIbLb0EES19_IbLb1EEEEDaS15_S16_EUlS15_E_NS1_11comp_targetILNS1_3genE4ELNS1_11target_archE910ELNS1_3gpuE8ELNS1_3repE0EEENS1_30default_config_static_selectorELNS0_4arch9wavefront6targetE0EEEvT1_
; %bb.0:
	.section	.rodata,"a",@progbits
	.p2align	6, 0x0
	.amdhsa_kernel _ZN7rocprim17ROCPRIM_400000_NS6detail17trampoline_kernelINS0_14default_configENS1_25partition_config_selectorILNS1_17partition_subalgoE9EllbEEZZNS1_14partition_implILS5_9ELb0ES3_jPlS8_PNS0_10empty_typeENS0_5tupleIJS8_S9_EEENSB_IJS8_SA_EEENS0_18inequality_wrapperIZN2at6native12_GLOBAL__N_124unique_dim_cuda_templateIiEESt5tupleIJNSF_6TensorESK_SK_EERKSK_lbbbEUlllE0_EEPmJS9_EEE10hipError_tPvRmT3_T4_T5_T6_T7_T9_mT8_P12ihipStream_tbDpT10_ENKUlT_T0_E_clISt17integral_constantIbLb0EES19_IbLb1EEEEDaS15_S16_EUlS15_E_NS1_11comp_targetILNS1_3genE4ELNS1_11target_archE910ELNS1_3gpuE8ELNS1_3repE0EEENS1_30default_config_static_selectorELNS0_4arch9wavefront6targetE0EEEvT1_
		.amdhsa_group_segment_fixed_size 0
		.amdhsa_private_segment_fixed_size 0
		.amdhsa_kernarg_size 136
		.amdhsa_user_sgpr_count 15
		.amdhsa_user_sgpr_dispatch_ptr 0
		.amdhsa_user_sgpr_queue_ptr 0
		.amdhsa_user_sgpr_kernarg_segment_ptr 1
		.amdhsa_user_sgpr_dispatch_id 0
		.amdhsa_user_sgpr_private_segment_size 0
		.amdhsa_wavefront_size32 1
		.amdhsa_uses_dynamic_stack 0
		.amdhsa_enable_private_segment 0
		.amdhsa_system_sgpr_workgroup_id_x 1
		.amdhsa_system_sgpr_workgroup_id_y 0
		.amdhsa_system_sgpr_workgroup_id_z 0
		.amdhsa_system_sgpr_workgroup_info 0
		.amdhsa_system_vgpr_workitem_id 0
		.amdhsa_next_free_vgpr 1
		.amdhsa_next_free_sgpr 1
		.amdhsa_reserve_vcc 0
		.amdhsa_float_round_mode_32 0
		.amdhsa_float_round_mode_16_64 0
		.amdhsa_float_denorm_mode_32 3
		.amdhsa_float_denorm_mode_16_64 3
		.amdhsa_dx10_clamp 1
		.amdhsa_ieee_mode 1
		.amdhsa_fp16_overflow 0
		.amdhsa_workgroup_processor_mode 1
		.amdhsa_memory_ordered 1
		.amdhsa_forward_progress 0
		.amdhsa_shared_vgpr_count 0
		.amdhsa_exception_fp_ieee_invalid_op 0
		.amdhsa_exception_fp_denorm_src 0
		.amdhsa_exception_fp_ieee_div_zero 0
		.amdhsa_exception_fp_ieee_overflow 0
		.amdhsa_exception_fp_ieee_underflow 0
		.amdhsa_exception_fp_ieee_inexact 0
		.amdhsa_exception_int_div_zero 0
	.end_amdhsa_kernel
	.section	.text._ZN7rocprim17ROCPRIM_400000_NS6detail17trampoline_kernelINS0_14default_configENS1_25partition_config_selectorILNS1_17partition_subalgoE9EllbEEZZNS1_14partition_implILS5_9ELb0ES3_jPlS8_PNS0_10empty_typeENS0_5tupleIJS8_S9_EEENSB_IJS8_SA_EEENS0_18inequality_wrapperIZN2at6native12_GLOBAL__N_124unique_dim_cuda_templateIiEESt5tupleIJNSF_6TensorESK_SK_EERKSK_lbbbEUlllE0_EEPmJS9_EEE10hipError_tPvRmT3_T4_T5_T6_T7_T9_mT8_P12ihipStream_tbDpT10_ENKUlT_T0_E_clISt17integral_constantIbLb0EES19_IbLb1EEEEDaS15_S16_EUlS15_E_NS1_11comp_targetILNS1_3genE4ELNS1_11target_archE910ELNS1_3gpuE8ELNS1_3repE0EEENS1_30default_config_static_selectorELNS0_4arch9wavefront6targetE0EEEvT1_,"axG",@progbits,_ZN7rocprim17ROCPRIM_400000_NS6detail17trampoline_kernelINS0_14default_configENS1_25partition_config_selectorILNS1_17partition_subalgoE9EllbEEZZNS1_14partition_implILS5_9ELb0ES3_jPlS8_PNS0_10empty_typeENS0_5tupleIJS8_S9_EEENSB_IJS8_SA_EEENS0_18inequality_wrapperIZN2at6native12_GLOBAL__N_124unique_dim_cuda_templateIiEESt5tupleIJNSF_6TensorESK_SK_EERKSK_lbbbEUlllE0_EEPmJS9_EEE10hipError_tPvRmT3_T4_T5_T6_T7_T9_mT8_P12ihipStream_tbDpT10_ENKUlT_T0_E_clISt17integral_constantIbLb0EES19_IbLb1EEEEDaS15_S16_EUlS15_E_NS1_11comp_targetILNS1_3genE4ELNS1_11target_archE910ELNS1_3gpuE8ELNS1_3repE0EEENS1_30default_config_static_selectorELNS0_4arch9wavefront6targetE0EEEvT1_,comdat
.Lfunc_end499:
	.size	_ZN7rocprim17ROCPRIM_400000_NS6detail17trampoline_kernelINS0_14default_configENS1_25partition_config_selectorILNS1_17partition_subalgoE9EllbEEZZNS1_14partition_implILS5_9ELb0ES3_jPlS8_PNS0_10empty_typeENS0_5tupleIJS8_S9_EEENSB_IJS8_SA_EEENS0_18inequality_wrapperIZN2at6native12_GLOBAL__N_124unique_dim_cuda_templateIiEESt5tupleIJNSF_6TensorESK_SK_EERKSK_lbbbEUlllE0_EEPmJS9_EEE10hipError_tPvRmT3_T4_T5_T6_T7_T9_mT8_P12ihipStream_tbDpT10_ENKUlT_T0_E_clISt17integral_constantIbLb0EES19_IbLb1EEEEDaS15_S16_EUlS15_E_NS1_11comp_targetILNS1_3genE4ELNS1_11target_archE910ELNS1_3gpuE8ELNS1_3repE0EEENS1_30default_config_static_selectorELNS0_4arch9wavefront6targetE0EEEvT1_, .Lfunc_end499-_ZN7rocprim17ROCPRIM_400000_NS6detail17trampoline_kernelINS0_14default_configENS1_25partition_config_selectorILNS1_17partition_subalgoE9EllbEEZZNS1_14partition_implILS5_9ELb0ES3_jPlS8_PNS0_10empty_typeENS0_5tupleIJS8_S9_EEENSB_IJS8_SA_EEENS0_18inequality_wrapperIZN2at6native12_GLOBAL__N_124unique_dim_cuda_templateIiEESt5tupleIJNSF_6TensorESK_SK_EERKSK_lbbbEUlllE0_EEPmJS9_EEE10hipError_tPvRmT3_T4_T5_T6_T7_T9_mT8_P12ihipStream_tbDpT10_ENKUlT_T0_E_clISt17integral_constantIbLb0EES19_IbLb1EEEEDaS15_S16_EUlS15_E_NS1_11comp_targetILNS1_3genE4ELNS1_11target_archE910ELNS1_3gpuE8ELNS1_3repE0EEENS1_30default_config_static_selectorELNS0_4arch9wavefront6targetE0EEEvT1_
                                        ; -- End function
	.section	.AMDGPU.csdata,"",@progbits
; Kernel info:
; codeLenInByte = 0
; NumSgprs: 0
; NumVgprs: 0
; ScratchSize: 0
; MemoryBound: 0
; FloatMode: 240
; IeeeMode: 1
; LDSByteSize: 0 bytes/workgroup (compile time only)
; SGPRBlocks: 0
; VGPRBlocks: 0
; NumSGPRsForWavesPerEU: 1
; NumVGPRsForWavesPerEU: 1
; Occupancy: 16
; WaveLimiterHint : 0
; COMPUTE_PGM_RSRC2:SCRATCH_EN: 0
; COMPUTE_PGM_RSRC2:USER_SGPR: 15
; COMPUTE_PGM_RSRC2:TRAP_HANDLER: 0
; COMPUTE_PGM_RSRC2:TGID_X_EN: 1
; COMPUTE_PGM_RSRC2:TGID_Y_EN: 0
; COMPUTE_PGM_RSRC2:TGID_Z_EN: 0
; COMPUTE_PGM_RSRC2:TIDIG_COMP_CNT: 0
	.section	.text._ZN7rocprim17ROCPRIM_400000_NS6detail17trampoline_kernelINS0_14default_configENS1_25partition_config_selectorILNS1_17partition_subalgoE9EllbEEZZNS1_14partition_implILS5_9ELb0ES3_jPlS8_PNS0_10empty_typeENS0_5tupleIJS8_S9_EEENSB_IJS8_SA_EEENS0_18inequality_wrapperIZN2at6native12_GLOBAL__N_124unique_dim_cuda_templateIiEESt5tupleIJNSF_6TensorESK_SK_EERKSK_lbbbEUlllE0_EEPmJS9_EEE10hipError_tPvRmT3_T4_T5_T6_T7_T9_mT8_P12ihipStream_tbDpT10_ENKUlT_T0_E_clISt17integral_constantIbLb0EES19_IbLb1EEEEDaS15_S16_EUlS15_E_NS1_11comp_targetILNS1_3genE3ELNS1_11target_archE908ELNS1_3gpuE7ELNS1_3repE0EEENS1_30default_config_static_selectorELNS0_4arch9wavefront6targetE0EEEvT1_,"axG",@progbits,_ZN7rocprim17ROCPRIM_400000_NS6detail17trampoline_kernelINS0_14default_configENS1_25partition_config_selectorILNS1_17partition_subalgoE9EllbEEZZNS1_14partition_implILS5_9ELb0ES3_jPlS8_PNS0_10empty_typeENS0_5tupleIJS8_S9_EEENSB_IJS8_SA_EEENS0_18inequality_wrapperIZN2at6native12_GLOBAL__N_124unique_dim_cuda_templateIiEESt5tupleIJNSF_6TensorESK_SK_EERKSK_lbbbEUlllE0_EEPmJS9_EEE10hipError_tPvRmT3_T4_T5_T6_T7_T9_mT8_P12ihipStream_tbDpT10_ENKUlT_T0_E_clISt17integral_constantIbLb0EES19_IbLb1EEEEDaS15_S16_EUlS15_E_NS1_11comp_targetILNS1_3genE3ELNS1_11target_archE908ELNS1_3gpuE7ELNS1_3repE0EEENS1_30default_config_static_selectorELNS0_4arch9wavefront6targetE0EEEvT1_,comdat
	.globl	_ZN7rocprim17ROCPRIM_400000_NS6detail17trampoline_kernelINS0_14default_configENS1_25partition_config_selectorILNS1_17partition_subalgoE9EllbEEZZNS1_14partition_implILS5_9ELb0ES3_jPlS8_PNS0_10empty_typeENS0_5tupleIJS8_S9_EEENSB_IJS8_SA_EEENS0_18inequality_wrapperIZN2at6native12_GLOBAL__N_124unique_dim_cuda_templateIiEESt5tupleIJNSF_6TensorESK_SK_EERKSK_lbbbEUlllE0_EEPmJS9_EEE10hipError_tPvRmT3_T4_T5_T6_T7_T9_mT8_P12ihipStream_tbDpT10_ENKUlT_T0_E_clISt17integral_constantIbLb0EES19_IbLb1EEEEDaS15_S16_EUlS15_E_NS1_11comp_targetILNS1_3genE3ELNS1_11target_archE908ELNS1_3gpuE7ELNS1_3repE0EEENS1_30default_config_static_selectorELNS0_4arch9wavefront6targetE0EEEvT1_ ; -- Begin function _ZN7rocprim17ROCPRIM_400000_NS6detail17trampoline_kernelINS0_14default_configENS1_25partition_config_selectorILNS1_17partition_subalgoE9EllbEEZZNS1_14partition_implILS5_9ELb0ES3_jPlS8_PNS0_10empty_typeENS0_5tupleIJS8_S9_EEENSB_IJS8_SA_EEENS0_18inequality_wrapperIZN2at6native12_GLOBAL__N_124unique_dim_cuda_templateIiEESt5tupleIJNSF_6TensorESK_SK_EERKSK_lbbbEUlllE0_EEPmJS9_EEE10hipError_tPvRmT3_T4_T5_T6_T7_T9_mT8_P12ihipStream_tbDpT10_ENKUlT_T0_E_clISt17integral_constantIbLb0EES19_IbLb1EEEEDaS15_S16_EUlS15_E_NS1_11comp_targetILNS1_3genE3ELNS1_11target_archE908ELNS1_3gpuE7ELNS1_3repE0EEENS1_30default_config_static_selectorELNS0_4arch9wavefront6targetE0EEEvT1_
	.p2align	8
	.type	_ZN7rocprim17ROCPRIM_400000_NS6detail17trampoline_kernelINS0_14default_configENS1_25partition_config_selectorILNS1_17partition_subalgoE9EllbEEZZNS1_14partition_implILS5_9ELb0ES3_jPlS8_PNS0_10empty_typeENS0_5tupleIJS8_S9_EEENSB_IJS8_SA_EEENS0_18inequality_wrapperIZN2at6native12_GLOBAL__N_124unique_dim_cuda_templateIiEESt5tupleIJNSF_6TensorESK_SK_EERKSK_lbbbEUlllE0_EEPmJS9_EEE10hipError_tPvRmT3_T4_T5_T6_T7_T9_mT8_P12ihipStream_tbDpT10_ENKUlT_T0_E_clISt17integral_constantIbLb0EES19_IbLb1EEEEDaS15_S16_EUlS15_E_NS1_11comp_targetILNS1_3genE3ELNS1_11target_archE908ELNS1_3gpuE7ELNS1_3repE0EEENS1_30default_config_static_selectorELNS0_4arch9wavefront6targetE0EEEvT1_,@function
_ZN7rocprim17ROCPRIM_400000_NS6detail17trampoline_kernelINS0_14default_configENS1_25partition_config_selectorILNS1_17partition_subalgoE9EllbEEZZNS1_14partition_implILS5_9ELb0ES3_jPlS8_PNS0_10empty_typeENS0_5tupleIJS8_S9_EEENSB_IJS8_SA_EEENS0_18inequality_wrapperIZN2at6native12_GLOBAL__N_124unique_dim_cuda_templateIiEESt5tupleIJNSF_6TensorESK_SK_EERKSK_lbbbEUlllE0_EEPmJS9_EEE10hipError_tPvRmT3_T4_T5_T6_T7_T9_mT8_P12ihipStream_tbDpT10_ENKUlT_T0_E_clISt17integral_constantIbLb0EES19_IbLb1EEEEDaS15_S16_EUlS15_E_NS1_11comp_targetILNS1_3genE3ELNS1_11target_archE908ELNS1_3gpuE7ELNS1_3repE0EEENS1_30default_config_static_selectorELNS0_4arch9wavefront6targetE0EEEvT1_: ; @_ZN7rocprim17ROCPRIM_400000_NS6detail17trampoline_kernelINS0_14default_configENS1_25partition_config_selectorILNS1_17partition_subalgoE9EllbEEZZNS1_14partition_implILS5_9ELb0ES3_jPlS8_PNS0_10empty_typeENS0_5tupleIJS8_S9_EEENSB_IJS8_SA_EEENS0_18inequality_wrapperIZN2at6native12_GLOBAL__N_124unique_dim_cuda_templateIiEESt5tupleIJNSF_6TensorESK_SK_EERKSK_lbbbEUlllE0_EEPmJS9_EEE10hipError_tPvRmT3_T4_T5_T6_T7_T9_mT8_P12ihipStream_tbDpT10_ENKUlT_T0_E_clISt17integral_constantIbLb0EES19_IbLb1EEEEDaS15_S16_EUlS15_E_NS1_11comp_targetILNS1_3genE3ELNS1_11target_archE908ELNS1_3gpuE7ELNS1_3repE0EEENS1_30default_config_static_selectorELNS0_4arch9wavefront6targetE0EEEvT1_
; %bb.0:
	.section	.rodata,"a",@progbits
	.p2align	6, 0x0
	.amdhsa_kernel _ZN7rocprim17ROCPRIM_400000_NS6detail17trampoline_kernelINS0_14default_configENS1_25partition_config_selectorILNS1_17partition_subalgoE9EllbEEZZNS1_14partition_implILS5_9ELb0ES3_jPlS8_PNS0_10empty_typeENS0_5tupleIJS8_S9_EEENSB_IJS8_SA_EEENS0_18inequality_wrapperIZN2at6native12_GLOBAL__N_124unique_dim_cuda_templateIiEESt5tupleIJNSF_6TensorESK_SK_EERKSK_lbbbEUlllE0_EEPmJS9_EEE10hipError_tPvRmT3_T4_T5_T6_T7_T9_mT8_P12ihipStream_tbDpT10_ENKUlT_T0_E_clISt17integral_constantIbLb0EES19_IbLb1EEEEDaS15_S16_EUlS15_E_NS1_11comp_targetILNS1_3genE3ELNS1_11target_archE908ELNS1_3gpuE7ELNS1_3repE0EEENS1_30default_config_static_selectorELNS0_4arch9wavefront6targetE0EEEvT1_
		.amdhsa_group_segment_fixed_size 0
		.amdhsa_private_segment_fixed_size 0
		.amdhsa_kernarg_size 136
		.amdhsa_user_sgpr_count 15
		.amdhsa_user_sgpr_dispatch_ptr 0
		.amdhsa_user_sgpr_queue_ptr 0
		.amdhsa_user_sgpr_kernarg_segment_ptr 1
		.amdhsa_user_sgpr_dispatch_id 0
		.amdhsa_user_sgpr_private_segment_size 0
		.amdhsa_wavefront_size32 1
		.amdhsa_uses_dynamic_stack 0
		.amdhsa_enable_private_segment 0
		.amdhsa_system_sgpr_workgroup_id_x 1
		.amdhsa_system_sgpr_workgroup_id_y 0
		.amdhsa_system_sgpr_workgroup_id_z 0
		.amdhsa_system_sgpr_workgroup_info 0
		.amdhsa_system_vgpr_workitem_id 0
		.amdhsa_next_free_vgpr 1
		.amdhsa_next_free_sgpr 1
		.amdhsa_reserve_vcc 0
		.amdhsa_float_round_mode_32 0
		.amdhsa_float_round_mode_16_64 0
		.amdhsa_float_denorm_mode_32 3
		.amdhsa_float_denorm_mode_16_64 3
		.amdhsa_dx10_clamp 1
		.amdhsa_ieee_mode 1
		.amdhsa_fp16_overflow 0
		.amdhsa_workgroup_processor_mode 1
		.amdhsa_memory_ordered 1
		.amdhsa_forward_progress 0
		.amdhsa_shared_vgpr_count 0
		.amdhsa_exception_fp_ieee_invalid_op 0
		.amdhsa_exception_fp_denorm_src 0
		.amdhsa_exception_fp_ieee_div_zero 0
		.amdhsa_exception_fp_ieee_overflow 0
		.amdhsa_exception_fp_ieee_underflow 0
		.amdhsa_exception_fp_ieee_inexact 0
		.amdhsa_exception_int_div_zero 0
	.end_amdhsa_kernel
	.section	.text._ZN7rocprim17ROCPRIM_400000_NS6detail17trampoline_kernelINS0_14default_configENS1_25partition_config_selectorILNS1_17partition_subalgoE9EllbEEZZNS1_14partition_implILS5_9ELb0ES3_jPlS8_PNS0_10empty_typeENS0_5tupleIJS8_S9_EEENSB_IJS8_SA_EEENS0_18inequality_wrapperIZN2at6native12_GLOBAL__N_124unique_dim_cuda_templateIiEESt5tupleIJNSF_6TensorESK_SK_EERKSK_lbbbEUlllE0_EEPmJS9_EEE10hipError_tPvRmT3_T4_T5_T6_T7_T9_mT8_P12ihipStream_tbDpT10_ENKUlT_T0_E_clISt17integral_constantIbLb0EES19_IbLb1EEEEDaS15_S16_EUlS15_E_NS1_11comp_targetILNS1_3genE3ELNS1_11target_archE908ELNS1_3gpuE7ELNS1_3repE0EEENS1_30default_config_static_selectorELNS0_4arch9wavefront6targetE0EEEvT1_,"axG",@progbits,_ZN7rocprim17ROCPRIM_400000_NS6detail17trampoline_kernelINS0_14default_configENS1_25partition_config_selectorILNS1_17partition_subalgoE9EllbEEZZNS1_14partition_implILS5_9ELb0ES3_jPlS8_PNS0_10empty_typeENS0_5tupleIJS8_S9_EEENSB_IJS8_SA_EEENS0_18inequality_wrapperIZN2at6native12_GLOBAL__N_124unique_dim_cuda_templateIiEESt5tupleIJNSF_6TensorESK_SK_EERKSK_lbbbEUlllE0_EEPmJS9_EEE10hipError_tPvRmT3_T4_T5_T6_T7_T9_mT8_P12ihipStream_tbDpT10_ENKUlT_T0_E_clISt17integral_constantIbLb0EES19_IbLb1EEEEDaS15_S16_EUlS15_E_NS1_11comp_targetILNS1_3genE3ELNS1_11target_archE908ELNS1_3gpuE7ELNS1_3repE0EEENS1_30default_config_static_selectorELNS0_4arch9wavefront6targetE0EEEvT1_,comdat
.Lfunc_end500:
	.size	_ZN7rocprim17ROCPRIM_400000_NS6detail17trampoline_kernelINS0_14default_configENS1_25partition_config_selectorILNS1_17partition_subalgoE9EllbEEZZNS1_14partition_implILS5_9ELb0ES3_jPlS8_PNS0_10empty_typeENS0_5tupleIJS8_S9_EEENSB_IJS8_SA_EEENS0_18inequality_wrapperIZN2at6native12_GLOBAL__N_124unique_dim_cuda_templateIiEESt5tupleIJNSF_6TensorESK_SK_EERKSK_lbbbEUlllE0_EEPmJS9_EEE10hipError_tPvRmT3_T4_T5_T6_T7_T9_mT8_P12ihipStream_tbDpT10_ENKUlT_T0_E_clISt17integral_constantIbLb0EES19_IbLb1EEEEDaS15_S16_EUlS15_E_NS1_11comp_targetILNS1_3genE3ELNS1_11target_archE908ELNS1_3gpuE7ELNS1_3repE0EEENS1_30default_config_static_selectorELNS0_4arch9wavefront6targetE0EEEvT1_, .Lfunc_end500-_ZN7rocprim17ROCPRIM_400000_NS6detail17trampoline_kernelINS0_14default_configENS1_25partition_config_selectorILNS1_17partition_subalgoE9EllbEEZZNS1_14partition_implILS5_9ELb0ES3_jPlS8_PNS0_10empty_typeENS0_5tupleIJS8_S9_EEENSB_IJS8_SA_EEENS0_18inequality_wrapperIZN2at6native12_GLOBAL__N_124unique_dim_cuda_templateIiEESt5tupleIJNSF_6TensorESK_SK_EERKSK_lbbbEUlllE0_EEPmJS9_EEE10hipError_tPvRmT3_T4_T5_T6_T7_T9_mT8_P12ihipStream_tbDpT10_ENKUlT_T0_E_clISt17integral_constantIbLb0EES19_IbLb1EEEEDaS15_S16_EUlS15_E_NS1_11comp_targetILNS1_3genE3ELNS1_11target_archE908ELNS1_3gpuE7ELNS1_3repE0EEENS1_30default_config_static_selectorELNS0_4arch9wavefront6targetE0EEEvT1_
                                        ; -- End function
	.section	.AMDGPU.csdata,"",@progbits
; Kernel info:
; codeLenInByte = 0
; NumSgprs: 0
; NumVgprs: 0
; ScratchSize: 0
; MemoryBound: 0
; FloatMode: 240
; IeeeMode: 1
; LDSByteSize: 0 bytes/workgroup (compile time only)
; SGPRBlocks: 0
; VGPRBlocks: 0
; NumSGPRsForWavesPerEU: 1
; NumVGPRsForWavesPerEU: 1
; Occupancy: 16
; WaveLimiterHint : 0
; COMPUTE_PGM_RSRC2:SCRATCH_EN: 0
; COMPUTE_PGM_RSRC2:USER_SGPR: 15
; COMPUTE_PGM_RSRC2:TRAP_HANDLER: 0
; COMPUTE_PGM_RSRC2:TGID_X_EN: 1
; COMPUTE_PGM_RSRC2:TGID_Y_EN: 0
; COMPUTE_PGM_RSRC2:TGID_Z_EN: 0
; COMPUTE_PGM_RSRC2:TIDIG_COMP_CNT: 0
	.section	.text._ZN7rocprim17ROCPRIM_400000_NS6detail17trampoline_kernelINS0_14default_configENS1_25partition_config_selectorILNS1_17partition_subalgoE9EllbEEZZNS1_14partition_implILS5_9ELb0ES3_jPlS8_PNS0_10empty_typeENS0_5tupleIJS8_S9_EEENSB_IJS8_SA_EEENS0_18inequality_wrapperIZN2at6native12_GLOBAL__N_124unique_dim_cuda_templateIiEESt5tupleIJNSF_6TensorESK_SK_EERKSK_lbbbEUlllE0_EEPmJS9_EEE10hipError_tPvRmT3_T4_T5_T6_T7_T9_mT8_P12ihipStream_tbDpT10_ENKUlT_T0_E_clISt17integral_constantIbLb0EES19_IbLb1EEEEDaS15_S16_EUlS15_E_NS1_11comp_targetILNS1_3genE2ELNS1_11target_archE906ELNS1_3gpuE6ELNS1_3repE0EEENS1_30default_config_static_selectorELNS0_4arch9wavefront6targetE0EEEvT1_,"axG",@progbits,_ZN7rocprim17ROCPRIM_400000_NS6detail17trampoline_kernelINS0_14default_configENS1_25partition_config_selectorILNS1_17partition_subalgoE9EllbEEZZNS1_14partition_implILS5_9ELb0ES3_jPlS8_PNS0_10empty_typeENS0_5tupleIJS8_S9_EEENSB_IJS8_SA_EEENS0_18inequality_wrapperIZN2at6native12_GLOBAL__N_124unique_dim_cuda_templateIiEESt5tupleIJNSF_6TensorESK_SK_EERKSK_lbbbEUlllE0_EEPmJS9_EEE10hipError_tPvRmT3_T4_T5_T6_T7_T9_mT8_P12ihipStream_tbDpT10_ENKUlT_T0_E_clISt17integral_constantIbLb0EES19_IbLb1EEEEDaS15_S16_EUlS15_E_NS1_11comp_targetILNS1_3genE2ELNS1_11target_archE906ELNS1_3gpuE6ELNS1_3repE0EEENS1_30default_config_static_selectorELNS0_4arch9wavefront6targetE0EEEvT1_,comdat
	.globl	_ZN7rocprim17ROCPRIM_400000_NS6detail17trampoline_kernelINS0_14default_configENS1_25partition_config_selectorILNS1_17partition_subalgoE9EllbEEZZNS1_14partition_implILS5_9ELb0ES3_jPlS8_PNS0_10empty_typeENS0_5tupleIJS8_S9_EEENSB_IJS8_SA_EEENS0_18inequality_wrapperIZN2at6native12_GLOBAL__N_124unique_dim_cuda_templateIiEESt5tupleIJNSF_6TensorESK_SK_EERKSK_lbbbEUlllE0_EEPmJS9_EEE10hipError_tPvRmT3_T4_T5_T6_T7_T9_mT8_P12ihipStream_tbDpT10_ENKUlT_T0_E_clISt17integral_constantIbLb0EES19_IbLb1EEEEDaS15_S16_EUlS15_E_NS1_11comp_targetILNS1_3genE2ELNS1_11target_archE906ELNS1_3gpuE6ELNS1_3repE0EEENS1_30default_config_static_selectorELNS0_4arch9wavefront6targetE0EEEvT1_ ; -- Begin function _ZN7rocprim17ROCPRIM_400000_NS6detail17trampoline_kernelINS0_14default_configENS1_25partition_config_selectorILNS1_17partition_subalgoE9EllbEEZZNS1_14partition_implILS5_9ELb0ES3_jPlS8_PNS0_10empty_typeENS0_5tupleIJS8_S9_EEENSB_IJS8_SA_EEENS0_18inequality_wrapperIZN2at6native12_GLOBAL__N_124unique_dim_cuda_templateIiEESt5tupleIJNSF_6TensorESK_SK_EERKSK_lbbbEUlllE0_EEPmJS9_EEE10hipError_tPvRmT3_T4_T5_T6_T7_T9_mT8_P12ihipStream_tbDpT10_ENKUlT_T0_E_clISt17integral_constantIbLb0EES19_IbLb1EEEEDaS15_S16_EUlS15_E_NS1_11comp_targetILNS1_3genE2ELNS1_11target_archE906ELNS1_3gpuE6ELNS1_3repE0EEENS1_30default_config_static_selectorELNS0_4arch9wavefront6targetE0EEEvT1_
	.p2align	8
	.type	_ZN7rocprim17ROCPRIM_400000_NS6detail17trampoline_kernelINS0_14default_configENS1_25partition_config_selectorILNS1_17partition_subalgoE9EllbEEZZNS1_14partition_implILS5_9ELb0ES3_jPlS8_PNS0_10empty_typeENS0_5tupleIJS8_S9_EEENSB_IJS8_SA_EEENS0_18inequality_wrapperIZN2at6native12_GLOBAL__N_124unique_dim_cuda_templateIiEESt5tupleIJNSF_6TensorESK_SK_EERKSK_lbbbEUlllE0_EEPmJS9_EEE10hipError_tPvRmT3_T4_T5_T6_T7_T9_mT8_P12ihipStream_tbDpT10_ENKUlT_T0_E_clISt17integral_constantIbLb0EES19_IbLb1EEEEDaS15_S16_EUlS15_E_NS1_11comp_targetILNS1_3genE2ELNS1_11target_archE906ELNS1_3gpuE6ELNS1_3repE0EEENS1_30default_config_static_selectorELNS0_4arch9wavefront6targetE0EEEvT1_,@function
_ZN7rocprim17ROCPRIM_400000_NS6detail17trampoline_kernelINS0_14default_configENS1_25partition_config_selectorILNS1_17partition_subalgoE9EllbEEZZNS1_14partition_implILS5_9ELb0ES3_jPlS8_PNS0_10empty_typeENS0_5tupleIJS8_S9_EEENSB_IJS8_SA_EEENS0_18inequality_wrapperIZN2at6native12_GLOBAL__N_124unique_dim_cuda_templateIiEESt5tupleIJNSF_6TensorESK_SK_EERKSK_lbbbEUlllE0_EEPmJS9_EEE10hipError_tPvRmT3_T4_T5_T6_T7_T9_mT8_P12ihipStream_tbDpT10_ENKUlT_T0_E_clISt17integral_constantIbLb0EES19_IbLb1EEEEDaS15_S16_EUlS15_E_NS1_11comp_targetILNS1_3genE2ELNS1_11target_archE906ELNS1_3gpuE6ELNS1_3repE0EEENS1_30default_config_static_selectorELNS0_4arch9wavefront6targetE0EEEvT1_: ; @_ZN7rocprim17ROCPRIM_400000_NS6detail17trampoline_kernelINS0_14default_configENS1_25partition_config_selectorILNS1_17partition_subalgoE9EllbEEZZNS1_14partition_implILS5_9ELb0ES3_jPlS8_PNS0_10empty_typeENS0_5tupleIJS8_S9_EEENSB_IJS8_SA_EEENS0_18inequality_wrapperIZN2at6native12_GLOBAL__N_124unique_dim_cuda_templateIiEESt5tupleIJNSF_6TensorESK_SK_EERKSK_lbbbEUlllE0_EEPmJS9_EEE10hipError_tPvRmT3_T4_T5_T6_T7_T9_mT8_P12ihipStream_tbDpT10_ENKUlT_T0_E_clISt17integral_constantIbLb0EES19_IbLb1EEEEDaS15_S16_EUlS15_E_NS1_11comp_targetILNS1_3genE2ELNS1_11target_archE906ELNS1_3gpuE6ELNS1_3repE0EEENS1_30default_config_static_selectorELNS0_4arch9wavefront6targetE0EEEvT1_
; %bb.0:
	.section	.rodata,"a",@progbits
	.p2align	6, 0x0
	.amdhsa_kernel _ZN7rocprim17ROCPRIM_400000_NS6detail17trampoline_kernelINS0_14default_configENS1_25partition_config_selectorILNS1_17partition_subalgoE9EllbEEZZNS1_14partition_implILS5_9ELb0ES3_jPlS8_PNS0_10empty_typeENS0_5tupleIJS8_S9_EEENSB_IJS8_SA_EEENS0_18inequality_wrapperIZN2at6native12_GLOBAL__N_124unique_dim_cuda_templateIiEESt5tupleIJNSF_6TensorESK_SK_EERKSK_lbbbEUlllE0_EEPmJS9_EEE10hipError_tPvRmT3_T4_T5_T6_T7_T9_mT8_P12ihipStream_tbDpT10_ENKUlT_T0_E_clISt17integral_constantIbLb0EES19_IbLb1EEEEDaS15_S16_EUlS15_E_NS1_11comp_targetILNS1_3genE2ELNS1_11target_archE906ELNS1_3gpuE6ELNS1_3repE0EEENS1_30default_config_static_selectorELNS0_4arch9wavefront6targetE0EEEvT1_
		.amdhsa_group_segment_fixed_size 0
		.amdhsa_private_segment_fixed_size 0
		.amdhsa_kernarg_size 136
		.amdhsa_user_sgpr_count 15
		.amdhsa_user_sgpr_dispatch_ptr 0
		.amdhsa_user_sgpr_queue_ptr 0
		.amdhsa_user_sgpr_kernarg_segment_ptr 1
		.amdhsa_user_sgpr_dispatch_id 0
		.amdhsa_user_sgpr_private_segment_size 0
		.amdhsa_wavefront_size32 1
		.amdhsa_uses_dynamic_stack 0
		.amdhsa_enable_private_segment 0
		.amdhsa_system_sgpr_workgroup_id_x 1
		.amdhsa_system_sgpr_workgroup_id_y 0
		.amdhsa_system_sgpr_workgroup_id_z 0
		.amdhsa_system_sgpr_workgroup_info 0
		.amdhsa_system_vgpr_workitem_id 0
		.amdhsa_next_free_vgpr 1
		.amdhsa_next_free_sgpr 1
		.amdhsa_reserve_vcc 0
		.amdhsa_float_round_mode_32 0
		.amdhsa_float_round_mode_16_64 0
		.amdhsa_float_denorm_mode_32 3
		.amdhsa_float_denorm_mode_16_64 3
		.amdhsa_dx10_clamp 1
		.amdhsa_ieee_mode 1
		.amdhsa_fp16_overflow 0
		.amdhsa_workgroup_processor_mode 1
		.amdhsa_memory_ordered 1
		.amdhsa_forward_progress 0
		.amdhsa_shared_vgpr_count 0
		.amdhsa_exception_fp_ieee_invalid_op 0
		.amdhsa_exception_fp_denorm_src 0
		.amdhsa_exception_fp_ieee_div_zero 0
		.amdhsa_exception_fp_ieee_overflow 0
		.amdhsa_exception_fp_ieee_underflow 0
		.amdhsa_exception_fp_ieee_inexact 0
		.amdhsa_exception_int_div_zero 0
	.end_amdhsa_kernel
	.section	.text._ZN7rocprim17ROCPRIM_400000_NS6detail17trampoline_kernelINS0_14default_configENS1_25partition_config_selectorILNS1_17partition_subalgoE9EllbEEZZNS1_14partition_implILS5_9ELb0ES3_jPlS8_PNS0_10empty_typeENS0_5tupleIJS8_S9_EEENSB_IJS8_SA_EEENS0_18inequality_wrapperIZN2at6native12_GLOBAL__N_124unique_dim_cuda_templateIiEESt5tupleIJNSF_6TensorESK_SK_EERKSK_lbbbEUlllE0_EEPmJS9_EEE10hipError_tPvRmT3_T4_T5_T6_T7_T9_mT8_P12ihipStream_tbDpT10_ENKUlT_T0_E_clISt17integral_constantIbLb0EES19_IbLb1EEEEDaS15_S16_EUlS15_E_NS1_11comp_targetILNS1_3genE2ELNS1_11target_archE906ELNS1_3gpuE6ELNS1_3repE0EEENS1_30default_config_static_selectorELNS0_4arch9wavefront6targetE0EEEvT1_,"axG",@progbits,_ZN7rocprim17ROCPRIM_400000_NS6detail17trampoline_kernelINS0_14default_configENS1_25partition_config_selectorILNS1_17partition_subalgoE9EllbEEZZNS1_14partition_implILS5_9ELb0ES3_jPlS8_PNS0_10empty_typeENS0_5tupleIJS8_S9_EEENSB_IJS8_SA_EEENS0_18inequality_wrapperIZN2at6native12_GLOBAL__N_124unique_dim_cuda_templateIiEESt5tupleIJNSF_6TensorESK_SK_EERKSK_lbbbEUlllE0_EEPmJS9_EEE10hipError_tPvRmT3_T4_T5_T6_T7_T9_mT8_P12ihipStream_tbDpT10_ENKUlT_T0_E_clISt17integral_constantIbLb0EES19_IbLb1EEEEDaS15_S16_EUlS15_E_NS1_11comp_targetILNS1_3genE2ELNS1_11target_archE906ELNS1_3gpuE6ELNS1_3repE0EEENS1_30default_config_static_selectorELNS0_4arch9wavefront6targetE0EEEvT1_,comdat
.Lfunc_end501:
	.size	_ZN7rocprim17ROCPRIM_400000_NS6detail17trampoline_kernelINS0_14default_configENS1_25partition_config_selectorILNS1_17partition_subalgoE9EllbEEZZNS1_14partition_implILS5_9ELb0ES3_jPlS8_PNS0_10empty_typeENS0_5tupleIJS8_S9_EEENSB_IJS8_SA_EEENS0_18inequality_wrapperIZN2at6native12_GLOBAL__N_124unique_dim_cuda_templateIiEESt5tupleIJNSF_6TensorESK_SK_EERKSK_lbbbEUlllE0_EEPmJS9_EEE10hipError_tPvRmT3_T4_T5_T6_T7_T9_mT8_P12ihipStream_tbDpT10_ENKUlT_T0_E_clISt17integral_constantIbLb0EES19_IbLb1EEEEDaS15_S16_EUlS15_E_NS1_11comp_targetILNS1_3genE2ELNS1_11target_archE906ELNS1_3gpuE6ELNS1_3repE0EEENS1_30default_config_static_selectorELNS0_4arch9wavefront6targetE0EEEvT1_, .Lfunc_end501-_ZN7rocprim17ROCPRIM_400000_NS6detail17trampoline_kernelINS0_14default_configENS1_25partition_config_selectorILNS1_17partition_subalgoE9EllbEEZZNS1_14partition_implILS5_9ELb0ES3_jPlS8_PNS0_10empty_typeENS0_5tupleIJS8_S9_EEENSB_IJS8_SA_EEENS0_18inequality_wrapperIZN2at6native12_GLOBAL__N_124unique_dim_cuda_templateIiEESt5tupleIJNSF_6TensorESK_SK_EERKSK_lbbbEUlllE0_EEPmJS9_EEE10hipError_tPvRmT3_T4_T5_T6_T7_T9_mT8_P12ihipStream_tbDpT10_ENKUlT_T0_E_clISt17integral_constantIbLb0EES19_IbLb1EEEEDaS15_S16_EUlS15_E_NS1_11comp_targetILNS1_3genE2ELNS1_11target_archE906ELNS1_3gpuE6ELNS1_3repE0EEENS1_30default_config_static_selectorELNS0_4arch9wavefront6targetE0EEEvT1_
                                        ; -- End function
	.section	.AMDGPU.csdata,"",@progbits
; Kernel info:
; codeLenInByte = 0
; NumSgprs: 0
; NumVgprs: 0
; ScratchSize: 0
; MemoryBound: 0
; FloatMode: 240
; IeeeMode: 1
; LDSByteSize: 0 bytes/workgroup (compile time only)
; SGPRBlocks: 0
; VGPRBlocks: 0
; NumSGPRsForWavesPerEU: 1
; NumVGPRsForWavesPerEU: 1
; Occupancy: 15
; WaveLimiterHint : 0
; COMPUTE_PGM_RSRC2:SCRATCH_EN: 0
; COMPUTE_PGM_RSRC2:USER_SGPR: 15
; COMPUTE_PGM_RSRC2:TRAP_HANDLER: 0
; COMPUTE_PGM_RSRC2:TGID_X_EN: 1
; COMPUTE_PGM_RSRC2:TGID_Y_EN: 0
; COMPUTE_PGM_RSRC2:TGID_Z_EN: 0
; COMPUTE_PGM_RSRC2:TIDIG_COMP_CNT: 0
	.section	.text._ZN7rocprim17ROCPRIM_400000_NS6detail17trampoline_kernelINS0_14default_configENS1_25partition_config_selectorILNS1_17partition_subalgoE9EllbEEZZNS1_14partition_implILS5_9ELb0ES3_jPlS8_PNS0_10empty_typeENS0_5tupleIJS8_S9_EEENSB_IJS8_SA_EEENS0_18inequality_wrapperIZN2at6native12_GLOBAL__N_124unique_dim_cuda_templateIiEESt5tupleIJNSF_6TensorESK_SK_EERKSK_lbbbEUlllE0_EEPmJS9_EEE10hipError_tPvRmT3_T4_T5_T6_T7_T9_mT8_P12ihipStream_tbDpT10_ENKUlT_T0_E_clISt17integral_constantIbLb0EES19_IbLb1EEEEDaS15_S16_EUlS15_E_NS1_11comp_targetILNS1_3genE10ELNS1_11target_archE1200ELNS1_3gpuE4ELNS1_3repE0EEENS1_30default_config_static_selectorELNS0_4arch9wavefront6targetE0EEEvT1_,"axG",@progbits,_ZN7rocprim17ROCPRIM_400000_NS6detail17trampoline_kernelINS0_14default_configENS1_25partition_config_selectorILNS1_17partition_subalgoE9EllbEEZZNS1_14partition_implILS5_9ELb0ES3_jPlS8_PNS0_10empty_typeENS0_5tupleIJS8_S9_EEENSB_IJS8_SA_EEENS0_18inequality_wrapperIZN2at6native12_GLOBAL__N_124unique_dim_cuda_templateIiEESt5tupleIJNSF_6TensorESK_SK_EERKSK_lbbbEUlllE0_EEPmJS9_EEE10hipError_tPvRmT3_T4_T5_T6_T7_T9_mT8_P12ihipStream_tbDpT10_ENKUlT_T0_E_clISt17integral_constantIbLb0EES19_IbLb1EEEEDaS15_S16_EUlS15_E_NS1_11comp_targetILNS1_3genE10ELNS1_11target_archE1200ELNS1_3gpuE4ELNS1_3repE0EEENS1_30default_config_static_selectorELNS0_4arch9wavefront6targetE0EEEvT1_,comdat
	.globl	_ZN7rocprim17ROCPRIM_400000_NS6detail17trampoline_kernelINS0_14default_configENS1_25partition_config_selectorILNS1_17partition_subalgoE9EllbEEZZNS1_14partition_implILS5_9ELb0ES3_jPlS8_PNS0_10empty_typeENS0_5tupleIJS8_S9_EEENSB_IJS8_SA_EEENS0_18inequality_wrapperIZN2at6native12_GLOBAL__N_124unique_dim_cuda_templateIiEESt5tupleIJNSF_6TensorESK_SK_EERKSK_lbbbEUlllE0_EEPmJS9_EEE10hipError_tPvRmT3_T4_T5_T6_T7_T9_mT8_P12ihipStream_tbDpT10_ENKUlT_T0_E_clISt17integral_constantIbLb0EES19_IbLb1EEEEDaS15_S16_EUlS15_E_NS1_11comp_targetILNS1_3genE10ELNS1_11target_archE1200ELNS1_3gpuE4ELNS1_3repE0EEENS1_30default_config_static_selectorELNS0_4arch9wavefront6targetE0EEEvT1_ ; -- Begin function _ZN7rocprim17ROCPRIM_400000_NS6detail17trampoline_kernelINS0_14default_configENS1_25partition_config_selectorILNS1_17partition_subalgoE9EllbEEZZNS1_14partition_implILS5_9ELb0ES3_jPlS8_PNS0_10empty_typeENS0_5tupleIJS8_S9_EEENSB_IJS8_SA_EEENS0_18inequality_wrapperIZN2at6native12_GLOBAL__N_124unique_dim_cuda_templateIiEESt5tupleIJNSF_6TensorESK_SK_EERKSK_lbbbEUlllE0_EEPmJS9_EEE10hipError_tPvRmT3_T4_T5_T6_T7_T9_mT8_P12ihipStream_tbDpT10_ENKUlT_T0_E_clISt17integral_constantIbLb0EES19_IbLb1EEEEDaS15_S16_EUlS15_E_NS1_11comp_targetILNS1_3genE10ELNS1_11target_archE1200ELNS1_3gpuE4ELNS1_3repE0EEENS1_30default_config_static_selectorELNS0_4arch9wavefront6targetE0EEEvT1_
	.p2align	8
	.type	_ZN7rocprim17ROCPRIM_400000_NS6detail17trampoline_kernelINS0_14default_configENS1_25partition_config_selectorILNS1_17partition_subalgoE9EllbEEZZNS1_14partition_implILS5_9ELb0ES3_jPlS8_PNS0_10empty_typeENS0_5tupleIJS8_S9_EEENSB_IJS8_SA_EEENS0_18inequality_wrapperIZN2at6native12_GLOBAL__N_124unique_dim_cuda_templateIiEESt5tupleIJNSF_6TensorESK_SK_EERKSK_lbbbEUlllE0_EEPmJS9_EEE10hipError_tPvRmT3_T4_T5_T6_T7_T9_mT8_P12ihipStream_tbDpT10_ENKUlT_T0_E_clISt17integral_constantIbLb0EES19_IbLb1EEEEDaS15_S16_EUlS15_E_NS1_11comp_targetILNS1_3genE10ELNS1_11target_archE1200ELNS1_3gpuE4ELNS1_3repE0EEENS1_30default_config_static_selectorELNS0_4arch9wavefront6targetE0EEEvT1_,@function
_ZN7rocprim17ROCPRIM_400000_NS6detail17trampoline_kernelINS0_14default_configENS1_25partition_config_selectorILNS1_17partition_subalgoE9EllbEEZZNS1_14partition_implILS5_9ELb0ES3_jPlS8_PNS0_10empty_typeENS0_5tupleIJS8_S9_EEENSB_IJS8_SA_EEENS0_18inequality_wrapperIZN2at6native12_GLOBAL__N_124unique_dim_cuda_templateIiEESt5tupleIJNSF_6TensorESK_SK_EERKSK_lbbbEUlllE0_EEPmJS9_EEE10hipError_tPvRmT3_T4_T5_T6_T7_T9_mT8_P12ihipStream_tbDpT10_ENKUlT_T0_E_clISt17integral_constantIbLb0EES19_IbLb1EEEEDaS15_S16_EUlS15_E_NS1_11comp_targetILNS1_3genE10ELNS1_11target_archE1200ELNS1_3gpuE4ELNS1_3repE0EEENS1_30default_config_static_selectorELNS0_4arch9wavefront6targetE0EEEvT1_: ; @_ZN7rocprim17ROCPRIM_400000_NS6detail17trampoline_kernelINS0_14default_configENS1_25partition_config_selectorILNS1_17partition_subalgoE9EllbEEZZNS1_14partition_implILS5_9ELb0ES3_jPlS8_PNS0_10empty_typeENS0_5tupleIJS8_S9_EEENSB_IJS8_SA_EEENS0_18inequality_wrapperIZN2at6native12_GLOBAL__N_124unique_dim_cuda_templateIiEESt5tupleIJNSF_6TensorESK_SK_EERKSK_lbbbEUlllE0_EEPmJS9_EEE10hipError_tPvRmT3_T4_T5_T6_T7_T9_mT8_P12ihipStream_tbDpT10_ENKUlT_T0_E_clISt17integral_constantIbLb0EES19_IbLb1EEEEDaS15_S16_EUlS15_E_NS1_11comp_targetILNS1_3genE10ELNS1_11target_archE1200ELNS1_3gpuE4ELNS1_3repE0EEENS1_30default_config_static_selectorELNS0_4arch9wavefront6targetE0EEEvT1_
; %bb.0:
	.section	.rodata,"a",@progbits
	.p2align	6, 0x0
	.amdhsa_kernel _ZN7rocprim17ROCPRIM_400000_NS6detail17trampoline_kernelINS0_14default_configENS1_25partition_config_selectorILNS1_17partition_subalgoE9EllbEEZZNS1_14partition_implILS5_9ELb0ES3_jPlS8_PNS0_10empty_typeENS0_5tupleIJS8_S9_EEENSB_IJS8_SA_EEENS0_18inequality_wrapperIZN2at6native12_GLOBAL__N_124unique_dim_cuda_templateIiEESt5tupleIJNSF_6TensorESK_SK_EERKSK_lbbbEUlllE0_EEPmJS9_EEE10hipError_tPvRmT3_T4_T5_T6_T7_T9_mT8_P12ihipStream_tbDpT10_ENKUlT_T0_E_clISt17integral_constantIbLb0EES19_IbLb1EEEEDaS15_S16_EUlS15_E_NS1_11comp_targetILNS1_3genE10ELNS1_11target_archE1200ELNS1_3gpuE4ELNS1_3repE0EEENS1_30default_config_static_selectorELNS0_4arch9wavefront6targetE0EEEvT1_
		.amdhsa_group_segment_fixed_size 0
		.amdhsa_private_segment_fixed_size 0
		.amdhsa_kernarg_size 136
		.amdhsa_user_sgpr_count 15
		.amdhsa_user_sgpr_dispatch_ptr 0
		.amdhsa_user_sgpr_queue_ptr 0
		.amdhsa_user_sgpr_kernarg_segment_ptr 1
		.amdhsa_user_sgpr_dispatch_id 0
		.amdhsa_user_sgpr_private_segment_size 0
		.amdhsa_wavefront_size32 1
		.amdhsa_uses_dynamic_stack 0
		.amdhsa_enable_private_segment 0
		.amdhsa_system_sgpr_workgroup_id_x 1
		.amdhsa_system_sgpr_workgroup_id_y 0
		.amdhsa_system_sgpr_workgroup_id_z 0
		.amdhsa_system_sgpr_workgroup_info 0
		.amdhsa_system_vgpr_workitem_id 0
		.amdhsa_next_free_vgpr 1
		.amdhsa_next_free_sgpr 1
		.amdhsa_reserve_vcc 0
		.amdhsa_float_round_mode_32 0
		.amdhsa_float_round_mode_16_64 0
		.amdhsa_float_denorm_mode_32 3
		.amdhsa_float_denorm_mode_16_64 3
		.amdhsa_dx10_clamp 1
		.amdhsa_ieee_mode 1
		.amdhsa_fp16_overflow 0
		.amdhsa_workgroup_processor_mode 1
		.amdhsa_memory_ordered 1
		.amdhsa_forward_progress 0
		.amdhsa_shared_vgpr_count 0
		.amdhsa_exception_fp_ieee_invalid_op 0
		.amdhsa_exception_fp_denorm_src 0
		.amdhsa_exception_fp_ieee_div_zero 0
		.amdhsa_exception_fp_ieee_overflow 0
		.amdhsa_exception_fp_ieee_underflow 0
		.amdhsa_exception_fp_ieee_inexact 0
		.amdhsa_exception_int_div_zero 0
	.end_amdhsa_kernel
	.section	.text._ZN7rocprim17ROCPRIM_400000_NS6detail17trampoline_kernelINS0_14default_configENS1_25partition_config_selectorILNS1_17partition_subalgoE9EllbEEZZNS1_14partition_implILS5_9ELb0ES3_jPlS8_PNS0_10empty_typeENS0_5tupleIJS8_S9_EEENSB_IJS8_SA_EEENS0_18inequality_wrapperIZN2at6native12_GLOBAL__N_124unique_dim_cuda_templateIiEESt5tupleIJNSF_6TensorESK_SK_EERKSK_lbbbEUlllE0_EEPmJS9_EEE10hipError_tPvRmT3_T4_T5_T6_T7_T9_mT8_P12ihipStream_tbDpT10_ENKUlT_T0_E_clISt17integral_constantIbLb0EES19_IbLb1EEEEDaS15_S16_EUlS15_E_NS1_11comp_targetILNS1_3genE10ELNS1_11target_archE1200ELNS1_3gpuE4ELNS1_3repE0EEENS1_30default_config_static_selectorELNS0_4arch9wavefront6targetE0EEEvT1_,"axG",@progbits,_ZN7rocprim17ROCPRIM_400000_NS6detail17trampoline_kernelINS0_14default_configENS1_25partition_config_selectorILNS1_17partition_subalgoE9EllbEEZZNS1_14partition_implILS5_9ELb0ES3_jPlS8_PNS0_10empty_typeENS0_5tupleIJS8_S9_EEENSB_IJS8_SA_EEENS0_18inequality_wrapperIZN2at6native12_GLOBAL__N_124unique_dim_cuda_templateIiEESt5tupleIJNSF_6TensorESK_SK_EERKSK_lbbbEUlllE0_EEPmJS9_EEE10hipError_tPvRmT3_T4_T5_T6_T7_T9_mT8_P12ihipStream_tbDpT10_ENKUlT_T0_E_clISt17integral_constantIbLb0EES19_IbLb1EEEEDaS15_S16_EUlS15_E_NS1_11comp_targetILNS1_3genE10ELNS1_11target_archE1200ELNS1_3gpuE4ELNS1_3repE0EEENS1_30default_config_static_selectorELNS0_4arch9wavefront6targetE0EEEvT1_,comdat
.Lfunc_end502:
	.size	_ZN7rocprim17ROCPRIM_400000_NS6detail17trampoline_kernelINS0_14default_configENS1_25partition_config_selectorILNS1_17partition_subalgoE9EllbEEZZNS1_14partition_implILS5_9ELb0ES3_jPlS8_PNS0_10empty_typeENS0_5tupleIJS8_S9_EEENSB_IJS8_SA_EEENS0_18inequality_wrapperIZN2at6native12_GLOBAL__N_124unique_dim_cuda_templateIiEESt5tupleIJNSF_6TensorESK_SK_EERKSK_lbbbEUlllE0_EEPmJS9_EEE10hipError_tPvRmT3_T4_T5_T6_T7_T9_mT8_P12ihipStream_tbDpT10_ENKUlT_T0_E_clISt17integral_constantIbLb0EES19_IbLb1EEEEDaS15_S16_EUlS15_E_NS1_11comp_targetILNS1_3genE10ELNS1_11target_archE1200ELNS1_3gpuE4ELNS1_3repE0EEENS1_30default_config_static_selectorELNS0_4arch9wavefront6targetE0EEEvT1_, .Lfunc_end502-_ZN7rocprim17ROCPRIM_400000_NS6detail17trampoline_kernelINS0_14default_configENS1_25partition_config_selectorILNS1_17partition_subalgoE9EllbEEZZNS1_14partition_implILS5_9ELb0ES3_jPlS8_PNS0_10empty_typeENS0_5tupleIJS8_S9_EEENSB_IJS8_SA_EEENS0_18inequality_wrapperIZN2at6native12_GLOBAL__N_124unique_dim_cuda_templateIiEESt5tupleIJNSF_6TensorESK_SK_EERKSK_lbbbEUlllE0_EEPmJS9_EEE10hipError_tPvRmT3_T4_T5_T6_T7_T9_mT8_P12ihipStream_tbDpT10_ENKUlT_T0_E_clISt17integral_constantIbLb0EES19_IbLb1EEEEDaS15_S16_EUlS15_E_NS1_11comp_targetILNS1_3genE10ELNS1_11target_archE1200ELNS1_3gpuE4ELNS1_3repE0EEENS1_30default_config_static_selectorELNS0_4arch9wavefront6targetE0EEEvT1_
                                        ; -- End function
	.section	.AMDGPU.csdata,"",@progbits
; Kernel info:
; codeLenInByte = 0
; NumSgprs: 0
; NumVgprs: 0
; ScratchSize: 0
; MemoryBound: 0
; FloatMode: 240
; IeeeMode: 1
; LDSByteSize: 0 bytes/workgroup (compile time only)
; SGPRBlocks: 0
; VGPRBlocks: 0
; NumSGPRsForWavesPerEU: 1
; NumVGPRsForWavesPerEU: 1
; Occupancy: 15
; WaveLimiterHint : 0
; COMPUTE_PGM_RSRC2:SCRATCH_EN: 0
; COMPUTE_PGM_RSRC2:USER_SGPR: 15
; COMPUTE_PGM_RSRC2:TRAP_HANDLER: 0
; COMPUTE_PGM_RSRC2:TGID_X_EN: 1
; COMPUTE_PGM_RSRC2:TGID_Y_EN: 0
; COMPUTE_PGM_RSRC2:TGID_Z_EN: 0
; COMPUTE_PGM_RSRC2:TIDIG_COMP_CNT: 0
	.section	.text._ZN7rocprim17ROCPRIM_400000_NS6detail17trampoline_kernelINS0_14default_configENS1_25partition_config_selectorILNS1_17partition_subalgoE9EllbEEZZNS1_14partition_implILS5_9ELb0ES3_jPlS8_PNS0_10empty_typeENS0_5tupleIJS8_S9_EEENSB_IJS8_SA_EEENS0_18inequality_wrapperIZN2at6native12_GLOBAL__N_124unique_dim_cuda_templateIiEESt5tupleIJNSF_6TensorESK_SK_EERKSK_lbbbEUlllE0_EEPmJS9_EEE10hipError_tPvRmT3_T4_T5_T6_T7_T9_mT8_P12ihipStream_tbDpT10_ENKUlT_T0_E_clISt17integral_constantIbLb0EES19_IbLb1EEEEDaS15_S16_EUlS15_E_NS1_11comp_targetILNS1_3genE9ELNS1_11target_archE1100ELNS1_3gpuE3ELNS1_3repE0EEENS1_30default_config_static_selectorELNS0_4arch9wavefront6targetE0EEEvT1_,"axG",@progbits,_ZN7rocprim17ROCPRIM_400000_NS6detail17trampoline_kernelINS0_14default_configENS1_25partition_config_selectorILNS1_17partition_subalgoE9EllbEEZZNS1_14partition_implILS5_9ELb0ES3_jPlS8_PNS0_10empty_typeENS0_5tupleIJS8_S9_EEENSB_IJS8_SA_EEENS0_18inequality_wrapperIZN2at6native12_GLOBAL__N_124unique_dim_cuda_templateIiEESt5tupleIJNSF_6TensorESK_SK_EERKSK_lbbbEUlllE0_EEPmJS9_EEE10hipError_tPvRmT3_T4_T5_T6_T7_T9_mT8_P12ihipStream_tbDpT10_ENKUlT_T0_E_clISt17integral_constantIbLb0EES19_IbLb1EEEEDaS15_S16_EUlS15_E_NS1_11comp_targetILNS1_3genE9ELNS1_11target_archE1100ELNS1_3gpuE3ELNS1_3repE0EEENS1_30default_config_static_selectorELNS0_4arch9wavefront6targetE0EEEvT1_,comdat
	.globl	_ZN7rocprim17ROCPRIM_400000_NS6detail17trampoline_kernelINS0_14default_configENS1_25partition_config_selectorILNS1_17partition_subalgoE9EllbEEZZNS1_14partition_implILS5_9ELb0ES3_jPlS8_PNS0_10empty_typeENS0_5tupleIJS8_S9_EEENSB_IJS8_SA_EEENS0_18inequality_wrapperIZN2at6native12_GLOBAL__N_124unique_dim_cuda_templateIiEESt5tupleIJNSF_6TensorESK_SK_EERKSK_lbbbEUlllE0_EEPmJS9_EEE10hipError_tPvRmT3_T4_T5_T6_T7_T9_mT8_P12ihipStream_tbDpT10_ENKUlT_T0_E_clISt17integral_constantIbLb0EES19_IbLb1EEEEDaS15_S16_EUlS15_E_NS1_11comp_targetILNS1_3genE9ELNS1_11target_archE1100ELNS1_3gpuE3ELNS1_3repE0EEENS1_30default_config_static_selectorELNS0_4arch9wavefront6targetE0EEEvT1_ ; -- Begin function _ZN7rocprim17ROCPRIM_400000_NS6detail17trampoline_kernelINS0_14default_configENS1_25partition_config_selectorILNS1_17partition_subalgoE9EllbEEZZNS1_14partition_implILS5_9ELb0ES3_jPlS8_PNS0_10empty_typeENS0_5tupleIJS8_S9_EEENSB_IJS8_SA_EEENS0_18inequality_wrapperIZN2at6native12_GLOBAL__N_124unique_dim_cuda_templateIiEESt5tupleIJNSF_6TensorESK_SK_EERKSK_lbbbEUlllE0_EEPmJS9_EEE10hipError_tPvRmT3_T4_T5_T6_T7_T9_mT8_P12ihipStream_tbDpT10_ENKUlT_T0_E_clISt17integral_constantIbLb0EES19_IbLb1EEEEDaS15_S16_EUlS15_E_NS1_11comp_targetILNS1_3genE9ELNS1_11target_archE1100ELNS1_3gpuE3ELNS1_3repE0EEENS1_30default_config_static_selectorELNS0_4arch9wavefront6targetE0EEEvT1_
	.p2align	8
	.type	_ZN7rocprim17ROCPRIM_400000_NS6detail17trampoline_kernelINS0_14default_configENS1_25partition_config_selectorILNS1_17partition_subalgoE9EllbEEZZNS1_14partition_implILS5_9ELb0ES3_jPlS8_PNS0_10empty_typeENS0_5tupleIJS8_S9_EEENSB_IJS8_SA_EEENS0_18inequality_wrapperIZN2at6native12_GLOBAL__N_124unique_dim_cuda_templateIiEESt5tupleIJNSF_6TensorESK_SK_EERKSK_lbbbEUlllE0_EEPmJS9_EEE10hipError_tPvRmT3_T4_T5_T6_T7_T9_mT8_P12ihipStream_tbDpT10_ENKUlT_T0_E_clISt17integral_constantIbLb0EES19_IbLb1EEEEDaS15_S16_EUlS15_E_NS1_11comp_targetILNS1_3genE9ELNS1_11target_archE1100ELNS1_3gpuE3ELNS1_3repE0EEENS1_30default_config_static_selectorELNS0_4arch9wavefront6targetE0EEEvT1_,@function
_ZN7rocprim17ROCPRIM_400000_NS6detail17trampoline_kernelINS0_14default_configENS1_25partition_config_selectorILNS1_17partition_subalgoE9EllbEEZZNS1_14partition_implILS5_9ELb0ES3_jPlS8_PNS0_10empty_typeENS0_5tupleIJS8_S9_EEENSB_IJS8_SA_EEENS0_18inequality_wrapperIZN2at6native12_GLOBAL__N_124unique_dim_cuda_templateIiEESt5tupleIJNSF_6TensorESK_SK_EERKSK_lbbbEUlllE0_EEPmJS9_EEE10hipError_tPvRmT3_T4_T5_T6_T7_T9_mT8_P12ihipStream_tbDpT10_ENKUlT_T0_E_clISt17integral_constantIbLb0EES19_IbLb1EEEEDaS15_S16_EUlS15_E_NS1_11comp_targetILNS1_3genE9ELNS1_11target_archE1100ELNS1_3gpuE3ELNS1_3repE0EEENS1_30default_config_static_selectorELNS0_4arch9wavefront6targetE0EEEvT1_: ; @_ZN7rocprim17ROCPRIM_400000_NS6detail17trampoline_kernelINS0_14default_configENS1_25partition_config_selectorILNS1_17partition_subalgoE9EllbEEZZNS1_14partition_implILS5_9ELb0ES3_jPlS8_PNS0_10empty_typeENS0_5tupleIJS8_S9_EEENSB_IJS8_SA_EEENS0_18inequality_wrapperIZN2at6native12_GLOBAL__N_124unique_dim_cuda_templateIiEESt5tupleIJNSF_6TensorESK_SK_EERKSK_lbbbEUlllE0_EEPmJS9_EEE10hipError_tPvRmT3_T4_T5_T6_T7_T9_mT8_P12ihipStream_tbDpT10_ENKUlT_T0_E_clISt17integral_constantIbLb0EES19_IbLb1EEEEDaS15_S16_EUlS15_E_NS1_11comp_targetILNS1_3genE9ELNS1_11target_archE1100ELNS1_3gpuE3ELNS1_3repE0EEENS1_30default_config_static_selectorELNS0_4arch9wavefront6targetE0EEEvT1_
; %bb.0:
	s_clause 0x3
	s_load_b128 s[4:7], s[0:1], 0x8
	s_load_b64 s[24:25], s[0:1], 0x18
	s_load_b256 s[8:15], s[0:1], 0x40
	s_load_b128 s[20:23], s[0:1], 0x60
	v_cmp_ne_u32_e64 s3, 0, v0
	v_cmp_eq_u32_e64 s2, 0, v0
	s_delay_alu instid0(VALU_DEP_1)
	s_and_saveexec_b32 s16, s2
	s_cbranch_execz .LBB503_4
; %bb.1:
	s_mov_b32 s18, exec_lo
	s_mov_b32 s17, exec_lo
	v_mbcnt_lo_u32_b32 v1, s18, 0
                                        ; implicit-def: $vgpr2
	s_delay_alu instid0(VALU_DEP_1)
	v_cmpx_eq_u32_e32 0, v1
	s_cbranch_execz .LBB503_3
; %bb.2:
	s_load_b64 s[26:27], s[0:1], 0x78
	s_bcnt1_i32_b32 s18, s18
	s_delay_alu instid0(SALU_CYCLE_1)
	v_dual_mov_b32 v2, 0 :: v_dual_mov_b32 v3, s18
	s_waitcnt lgkmcnt(0)
	global_atomic_add_u32 v2, v2, v3, s[26:27] glc
.LBB503_3:
	s_or_b32 exec_lo, exec_lo, s17
	s_waitcnt vmcnt(0)
	v_readfirstlane_b32 s17, v2
	s_delay_alu instid0(VALU_DEP_1)
	v_dual_mov_b32 v2, 0 :: v_dual_add_nc_u32 v1, s17, v1
	ds_store_b32 v2, v1
.LBB503_4:
	s_or_b32 exec_lo, exec_lo, s16
	v_mov_b32_e32 v1, 0
	s_clause 0x1
	s_load_b128 s[16:19], s[0:1], 0x28
	s_load_b32 s0, s[0:1], 0x70
	s_waitcnt lgkmcnt(0)
	s_barrier
	buffer_gl0_inv
	ds_load_b32 v3, v1
	s_waitcnt lgkmcnt(0)
	s_barrier
	buffer_gl0_inv
	global_load_b64 v[1:2], v1, s[10:11]
	s_lshl_b64 s[26:27], s[6:7], 3
	s_mov_b32 s1, 0
	s_add_u32 s10, s4, s26
	s_addc_u32 s11, s5, s27
	v_lshlrev_b32_e32 v55, 3, v0
	v_lshrrev_b32_e32 v34, 2, v0
	v_or_b32_e32 v39, 0x200, v0
	v_or_b32_e32 v38, 0x400, v0
	;; [unrolled: 1-line block ×5, first 2 shown]
	s_add_i32 s28, s0, -1
	s_lshl_b32 s5, s0, 12
	s_lshl_b32 s4, s28, 12
	v_or_b32_e32 v33, 0xc00, v0
	v_readfirstlane_b32 s30, v3
	s_add_i32 s4, s6, s4
	v_or_b32_e32 v36, 0xe00, v0
	s_sub_i32 s31, s12, s4
	s_delay_alu instid0(VALU_DEP_2)
	s_lshl_b32 s0, s30, 12
	s_add_u32 s4, s6, s5
	s_addc_u32 s5, s7, 0
	s_cmp_eq_u32 s30, s28
	v_cmp_ge_u64_e64 s4, s[4:5], s[12:13]
	s_cselect_b32 s28, -1, 0
	s_lshl_b64 s[12:13], s[0:1], 3
	s_mov_b32 s1, -1
	s_delay_alu instid0(VALU_DEP_1) | instskip(NEXT) | instid1(SALU_CYCLE_1)
	s_and_b32 s33, s4, s28
	s_xor_b32 s29, s33, -1
	s_add_u32 s4, s10, s12
	s_addc_u32 s5, s11, s13
	s_and_b32 vcc_lo, exec_lo, s29
	s_waitcnt vmcnt(0)
	v_readfirstlane_b32 s10, v1
	v_readfirstlane_b32 s11, v2
	s_cbranch_vccz .LBB503_6
; %bb.5:
	v_add_co_u32 v9, s0, s4, v55
	s_delay_alu instid0(VALU_DEP_1)
	v_add_co_ci_u32_e64 v10, null, s5, 0, s0
	global_load_b64 v[1:2], v55, s[4:5]
	v_add_co_u32 v3, vcc_lo, v9, 0x2000
	v_add_co_ci_u32_e32 v4, vcc_lo, 0, v10, vcc_lo
	v_add_co_u32 v5, vcc_lo, v9, 0x4000
	v_add_co_ci_u32_e32 v6, vcc_lo, 0, v10, vcc_lo
	;; [unrolled: 2-line block ×4, first 2 shown]
	s_clause 0x6
	global_load_b64 v[11:12], v[3:4], off offset:-4096
	global_load_b64 v[3:4], v[3:4], off
	global_load_b64 v[13:14], v[5:6], off offset:-4096
	global_load_b64 v[5:6], v[5:6], off
	global_load_b64 v[15:16], v[7:8], off offset:-4096
	global_load_b64 v[7:8], v[7:8], off
	global_load_b64 v[9:10], v[9:10], off
	v_lshrrev_b32_e32 v18, 2, v39
	v_lshrrev_b32_e32 v19, 2, v38
	;; [unrolled: 1-line block ×4, first 2 shown]
	v_and_b32_e32 v17, 0x78, v34
	v_lshrrev_b32_e32 v22, 2, v35
	v_lshrrev_b32_e32 v23, 2, v33
	;; [unrolled: 1-line block ×3, first 2 shown]
	v_and_b32_e32 v18, 0xf8, v18
	v_and_b32_e32 v19, 0x178, v19
	v_and_b32_e32 v20, 0x1f8, v20
	v_and_b32_e32 v21, 0x278, v21
	v_add_nc_u32_e32 v17, v17, v55
	v_and_b32_e32 v22, 0x2f8, v22
	v_and_b32_e32 v23, 0x378, v23
	;; [unrolled: 1-line block ×3, first 2 shown]
	v_add_nc_u32_e32 v18, v18, v55
	v_add_nc_u32_e32 v19, v19, v55
	;; [unrolled: 1-line block ×4, first 2 shown]
	s_mov_b32 s1, 0
	v_add_nc_u32_e32 v22, v22, v55
	v_add_nc_u32_e32 v23, v23, v55
	;; [unrolled: 1-line block ×3, first 2 shown]
	s_waitcnt vmcnt(7)
	ds_store_b64 v17, v[1:2]
	s_waitcnt vmcnt(6)
	ds_store_b64 v18, v[11:12] offset:4096
	s_waitcnt vmcnt(5)
	ds_store_b64 v19, v[3:4] offset:8192
	;; [unrolled: 2-line block ×7, first 2 shown]
	s_waitcnt lgkmcnt(0)
	s_barrier
.LBB503_6:
	v_cmp_gt_u32_e64 s0, s31, v0
	s_and_not1_b32 vcc_lo, exec_lo, s1
	s_cbranch_vccnz .LBB503_24
; %bb.7:
                                        ; implicit-def: $vgpr1_vgpr2_vgpr3_vgpr4_vgpr5_vgpr6_vgpr7_vgpr8_vgpr9_vgpr10_vgpr11_vgpr12_vgpr13_vgpr14_vgpr15_vgpr16
	s_delay_alu instid0(VALU_DEP_1)
	s_and_saveexec_b32 s1, s0
	s_cbranch_execz .LBB503_15
; %bb.8:
	global_load_b64 v[1:2], v55, s[4:5]
	s_or_b32 exec_lo, exec_lo, s1
	s_delay_alu instid0(SALU_CYCLE_1)
	s_mov_b32 s0, exec_lo
	v_cmpx_gt_u32_e64 s31, v39
	s_cbranch_execnz .LBB503_16
.LBB503_9:
	s_or_b32 exec_lo, exec_lo, s0
	s_delay_alu instid0(SALU_CYCLE_1)
	s_mov_b32 s0, exec_lo
	v_cmpx_gt_u32_e64 s31, v38
	s_cbranch_execz .LBB503_17
.LBB503_10:
	v_lshlrev_b32_e32 v5, 3, v38
	global_load_b64 v[5:6], v5, s[4:5]
	s_or_b32 exec_lo, exec_lo, s0
	s_delay_alu instid0(SALU_CYCLE_1)
	s_mov_b32 s0, exec_lo
	v_cmpx_gt_u32_e64 s31, v40
	s_cbranch_execnz .LBB503_18
.LBB503_11:
	s_or_b32 exec_lo, exec_lo, s0
	s_delay_alu instid0(SALU_CYCLE_1)
	s_mov_b32 s0, exec_lo
	v_cmpx_gt_u32_e64 s31, v37
	s_cbranch_execz .LBB503_19
.LBB503_12:
	v_lshlrev_b32_e32 v9, 3, v37
	global_load_b64 v[9:10], v9, s[4:5]
	s_or_b32 exec_lo, exec_lo, s0
	s_delay_alu instid0(SALU_CYCLE_1)
	s_mov_b32 s0, exec_lo
	v_cmpx_gt_u32_e64 s31, v35
	s_cbranch_execnz .LBB503_20
.LBB503_13:
	s_or_b32 exec_lo, exec_lo, s0
	s_delay_alu instid0(SALU_CYCLE_1)
	s_mov_b32 s0, exec_lo
	v_cmpx_gt_u32_e64 s31, v33
	s_cbranch_execz .LBB503_21
.LBB503_14:
	v_lshlrev_b32_e32 v13, 3, v33
	global_load_b64 v[13:14], v13, s[4:5]
	s_or_b32 exec_lo, exec_lo, s0
	s_delay_alu instid0(SALU_CYCLE_1)
	s_mov_b32 s0, exec_lo
	v_cmpx_gt_u32_e64 s31, v36
	s_cbranch_execnz .LBB503_22
	s_branch .LBB503_23
.LBB503_15:
	s_or_b32 exec_lo, exec_lo, s1
	s_delay_alu instid0(SALU_CYCLE_1)
	s_mov_b32 s0, exec_lo
	v_cmpx_gt_u32_e64 s31, v39
	s_cbranch_execz .LBB503_9
.LBB503_16:
	v_lshlrev_b32_e32 v3, 3, v39
	global_load_b64 v[3:4], v3, s[4:5]
	s_or_b32 exec_lo, exec_lo, s0
	s_delay_alu instid0(SALU_CYCLE_1)
	s_mov_b32 s0, exec_lo
	v_cmpx_gt_u32_e64 s31, v38
	s_cbranch_execnz .LBB503_10
.LBB503_17:
	s_or_b32 exec_lo, exec_lo, s0
	s_delay_alu instid0(SALU_CYCLE_1)
	s_mov_b32 s0, exec_lo
	v_cmpx_gt_u32_e64 s31, v40
	s_cbranch_execz .LBB503_11
.LBB503_18:
	v_lshlrev_b32_e32 v7, 3, v40
	global_load_b64 v[7:8], v7, s[4:5]
	s_or_b32 exec_lo, exec_lo, s0
	s_delay_alu instid0(SALU_CYCLE_1)
	s_mov_b32 s0, exec_lo
	v_cmpx_gt_u32_e64 s31, v37
	s_cbranch_execnz .LBB503_12
.LBB503_19:
	s_or_b32 exec_lo, exec_lo, s0
	s_delay_alu instid0(SALU_CYCLE_1)
	s_mov_b32 s0, exec_lo
	v_cmpx_gt_u32_e64 s31, v35
	s_cbranch_execz .LBB503_13
.LBB503_20:
	v_lshlrev_b32_e32 v11, 3, v35
	global_load_b64 v[11:12], v11, s[4:5]
	s_or_b32 exec_lo, exec_lo, s0
	s_delay_alu instid0(SALU_CYCLE_1)
	s_mov_b32 s0, exec_lo
	v_cmpx_gt_u32_e64 s31, v33
	s_cbranch_execnz .LBB503_14
.LBB503_21:
	s_or_b32 exec_lo, exec_lo, s0
	s_delay_alu instid0(SALU_CYCLE_1)
	s_mov_b32 s0, exec_lo
	v_cmpx_gt_u32_e64 s31, v36
	s_cbranch_execz .LBB503_23
.LBB503_22:
	v_lshlrev_b32_e32 v15, 3, v36
	global_load_b64 v[15:16], v15, s[4:5]
.LBB503_23:
	s_or_b32 exec_lo, exec_lo, s0
	v_lshrrev_b32_e32 v17, 2, v39
	v_lshrrev_b32_e32 v18, 2, v38
	;; [unrolled: 1-line block ×4, first 2 shown]
	v_and_b32_e32 v19, 0x78, v34
	v_lshrrev_b32_e32 v22, 2, v35
	v_lshrrev_b32_e32 v23, 2, v33
	;; [unrolled: 1-line block ×3, first 2 shown]
	v_and_b32_e32 v17, 0xf8, v17
	v_and_b32_e32 v18, 0x1f8, v18
	v_and_b32_e32 v20, 0x1f8, v20
	v_and_b32_e32 v21, 0x3f8, v21
	v_add_nc_u32_e32 v19, v19, v55
	v_and_b32_e32 v22, 0x3f8, v22
	v_and_b32_e32 v23, 0x3f8, v23
	;; [unrolled: 1-line block ×3, first 2 shown]
	v_add_nc_u32_e32 v17, v17, v55
	v_add_nc_u32_e32 v18, v18, v55
	;; [unrolled: 1-line block ×7, first 2 shown]
	s_waitcnt vmcnt(0)
	ds_store_b64 v19, v[1:2]
	ds_store_b64 v17, v[3:4] offset:4096
	ds_store_b64 v18, v[5:6] offset:8192
	;; [unrolled: 1-line block ×7, first 2 shown]
	s_waitcnt lgkmcnt(0)
	s_barrier
.LBB503_24:
	v_add_lshl_u32 v41, v34, v55, 3
	buffer_gl0_inv
	s_add_u32 s0, s24, s26
	s_addc_u32 s1, s25, s27
	s_add_u32 s0, s0, s12
	ds_load_2addr_b64 v[29:32], v41 offset1:1
	ds_load_2addr_b64 v[25:28], v41 offset0:2 offset1:3
	ds_load_2addr_b64 v[21:24], v41 offset0:4 offset1:5
	;; [unrolled: 1-line block ×3, first 2 shown]
	s_addc_u32 s1, s1, s13
	s_and_b32 vcc_lo, exec_lo, s29
	s_mov_b32 s12, -1
	s_waitcnt lgkmcnt(0)
	s_barrier
	buffer_gl0_inv
	s_cbranch_vccz .LBB503_26
; %bb.25:
	v_add_co_u32 v9, s12, s0, v55
	s_delay_alu instid0(VALU_DEP_1)
	v_add_co_ci_u32_e64 v10, null, s1, 0, s12
	global_load_b64 v[1:2], v55, s[0:1]
	v_add_co_u32 v3, vcc_lo, v9, 0x2000
	v_add_co_ci_u32_e32 v4, vcc_lo, 0, v10, vcc_lo
	v_add_co_u32 v5, vcc_lo, v9, 0x4000
	v_add_co_ci_u32_e32 v6, vcc_lo, 0, v10, vcc_lo
	;; [unrolled: 2-line block ×4, first 2 shown]
	s_clause 0x6
	global_load_b64 v[11:12], v[3:4], off offset:-4096
	global_load_b64 v[3:4], v[3:4], off
	global_load_b64 v[13:14], v[5:6], off offset:-4096
	global_load_b64 v[5:6], v[5:6], off
	;; [unrolled: 2-line block ×3, first 2 shown]
	global_load_b64 v[9:10], v[9:10], off
	v_lshrrev_b32_e32 v43, 2, v39
	v_lshrrev_b32_e32 v44, 2, v38
	;; [unrolled: 1-line block ×4, first 2 shown]
	v_and_b32_e32 v42, 0x78, v34
	v_lshrrev_b32_e32 v47, 2, v35
	v_lshrrev_b32_e32 v48, 2, v33
	;; [unrolled: 1-line block ×3, first 2 shown]
	v_and_b32_e32 v43, 0xf8, v43
	v_and_b32_e32 v44, 0x178, v44
	;; [unrolled: 1-line block ×4, first 2 shown]
	v_add_nc_u32_e32 v42, v42, v55
	v_and_b32_e32 v47, 0x2f8, v47
	v_and_b32_e32 v48, 0x378, v48
	;; [unrolled: 1-line block ×3, first 2 shown]
	v_add_nc_u32_e32 v43, v43, v55
	v_add_nc_u32_e32 v44, v44, v55
	;; [unrolled: 1-line block ×4, first 2 shown]
	s_mov_b32 s12, 0
	v_add_nc_u32_e32 v47, v47, v55
	v_add_nc_u32_e32 v48, v48, v55
	v_add_nc_u32_e32 v49, v49, v55
	s_waitcnt vmcnt(7)
	ds_store_b64 v42, v[1:2]
	s_waitcnt vmcnt(6)
	ds_store_b64 v43, v[11:12] offset:4096
	s_waitcnt vmcnt(5)
	ds_store_b64 v44, v[3:4] offset:8192
	;; [unrolled: 2-line block ×7, first 2 shown]
	s_waitcnt lgkmcnt(0)
	s_barrier
.LBB503_26:
	s_and_not1_b32 vcc_lo, exec_lo, s12
	s_cbranch_vccnz .LBB503_44
; %bb.27:
	s_mov_b32 s12, exec_lo
                                        ; implicit-def: $vgpr1_vgpr2
	v_cmpx_gt_u32_e64 s31, v0
	s_cbranch_execz .LBB503_29
; %bb.28:
	global_load_b64 v[1:2], v55, s[0:1]
.LBB503_29:
	s_or_b32 exec_lo, exec_lo, s12
	s_delay_alu instid0(SALU_CYCLE_1)
	s_mov_b32 s12, exec_lo
                                        ; implicit-def: $vgpr3_vgpr4
	v_cmpx_gt_u32_e64 s31, v39
	s_cbranch_execz .LBB503_31
; %bb.30:
	v_lshlrev_b32_e32 v3, 3, v39
	global_load_b64 v[3:4], v3, s[0:1]
.LBB503_31:
	s_or_b32 exec_lo, exec_lo, s12
	s_delay_alu instid0(SALU_CYCLE_1)
	s_mov_b32 s12, exec_lo
                                        ; implicit-def: $vgpr5_vgpr6
	v_cmpx_gt_u32_e64 s31, v38
	s_cbranch_execz .LBB503_33
; %bb.32:
	v_lshlrev_b32_e32 v5, 3, v38
	global_load_b64 v[5:6], v5, s[0:1]
.LBB503_33:
	s_or_b32 exec_lo, exec_lo, s12
	s_delay_alu instid0(SALU_CYCLE_1)
	s_mov_b32 s12, exec_lo
                                        ; implicit-def: $vgpr7_vgpr8
	v_cmpx_gt_u32_e64 s31, v40
	s_cbranch_execz .LBB503_35
; %bb.34:
	v_lshlrev_b32_e32 v7, 3, v40
	global_load_b64 v[7:8], v7, s[0:1]
.LBB503_35:
	s_or_b32 exec_lo, exec_lo, s12
	s_delay_alu instid0(SALU_CYCLE_1)
	s_mov_b32 s12, exec_lo
                                        ; implicit-def: $vgpr9_vgpr10
	v_cmpx_gt_u32_e64 s31, v37
	s_cbranch_execz .LBB503_37
; %bb.36:
	v_lshlrev_b32_e32 v9, 3, v37
	global_load_b64 v[9:10], v9, s[0:1]
.LBB503_37:
	s_or_b32 exec_lo, exec_lo, s12
	s_delay_alu instid0(SALU_CYCLE_1)
	s_mov_b32 s12, exec_lo
                                        ; implicit-def: $vgpr11_vgpr12
	v_cmpx_gt_u32_e64 s31, v35
	s_cbranch_execz .LBB503_39
; %bb.38:
	v_lshlrev_b32_e32 v11, 3, v35
	global_load_b64 v[11:12], v11, s[0:1]
.LBB503_39:
	s_or_b32 exec_lo, exec_lo, s12
	s_delay_alu instid0(SALU_CYCLE_1)
	s_mov_b32 s12, exec_lo
                                        ; implicit-def: $vgpr13_vgpr14
	v_cmpx_gt_u32_e64 s31, v33
	s_cbranch_execz .LBB503_41
; %bb.40:
	v_lshlrev_b32_e32 v13, 3, v33
	global_load_b64 v[13:14], v13, s[0:1]
.LBB503_41:
	s_or_b32 exec_lo, exec_lo, s12
	s_delay_alu instid0(SALU_CYCLE_1)
	s_mov_b32 s12, exec_lo
                                        ; implicit-def: $vgpr15_vgpr16
	v_cmpx_gt_u32_e64 s31, v36
	s_cbranch_execz .LBB503_43
; %bb.42:
	v_lshlrev_b32_e32 v15, 3, v36
	global_load_b64 v[15:16], v15, s[0:1]
.LBB503_43:
	s_or_b32 exec_lo, exec_lo, s12
	v_lshrrev_b32_e32 v39, 2, v39
	v_lshrrev_b32_e32 v38, 2, v38
	;; [unrolled: 1-line block ×4, first 2 shown]
	v_and_b32_e32 v34, 0x78, v34
	v_lshrrev_b32_e32 v35, 2, v35
	v_lshrrev_b32_e32 v33, 2, v33
	;; [unrolled: 1-line block ×3, first 2 shown]
	v_and_b32_e32 v39, 0xf8, v39
	v_and_b32_e32 v38, 0x1f8, v38
	;; [unrolled: 1-line block ×4, first 2 shown]
	v_add_nc_u32_e32 v34, v34, v55
	v_and_b32_e32 v35, 0x3f8, v35
	v_and_b32_e32 v33, 0x3f8, v33
	v_and_b32_e32 v36, 0x3f8, v36
	v_add_nc_u32_e32 v39, v39, v55
	v_add_nc_u32_e32 v38, v38, v55
	;; [unrolled: 1-line block ×7, first 2 shown]
	s_waitcnt vmcnt(0)
	ds_store_b64 v34, v[1:2]
	ds_store_b64 v39, v[3:4] offset:4096
	ds_store_b64 v38, v[5:6] offset:8192
	;; [unrolled: 1-line block ×7, first 2 shown]
	s_waitcnt lgkmcnt(0)
	s_barrier
.LBB503_44:
	buffer_gl0_inv
	ds_load_2addr_b64 v[13:16], v41 offset1:1
	ds_load_2addr_b64 v[9:12], v41 offset0:2 offset1:3
	ds_load_2addr_b64 v[5:8], v41 offset0:4 offset1:5
	;; [unrolled: 1-line block ×3, first 2 shown]
	s_cmp_lg_u32 s30, 0
	v_cmp_gt_i64_e64 s13, s[14:15], 0
	s_cselect_b32 s12, -1, 0
	s_cmp_lg_u64 s[6:7], 0
	s_mov_b32 s1, 0
	s_cselect_b32 s0, -1, 0
	s_waitcnt lgkmcnt(0)
	s_or_b32 s0, s0, s12
	s_barrier
	s_and_b32 vcc_lo, exec_lo, s0
	buffer_gl0_inv
	s_cbranch_vccz .LBB503_53
; %bb.45:
	v_mov_b32_e32 v33, 0
	v_cndmask_b32_e64 v43, 0, 1, s13
	s_and_b32 vcc_lo, exec_lo, s29
	ds_store_b64 v55, v[19:20]
	global_load_b64 v[33:34], v33, s[4:5] offset:-8
	v_cmp_ne_u32_e64 s0, 1, v43
	s_cbranch_vccz .LBB503_54
; %bb.46:
	v_mul_lo_u32 v37, v18, s14
	v_mul_lo_u32 v38, v17, s15
	v_mad_u64_u32 v[35:36], null, v17, s14, 0
	s_and_b32 vcc_lo, exec_lo, s0
	s_mov_b32 s24, 0
	s_delay_alu instid0(VALU_DEP_1) | instskip(NEXT) | instid1(VALU_DEP_1)
	v_add3_u32 v36, v36, v38, v37
	v_lshlrev_b64 v[35:36], 2, v[35:36]
	s_cbranch_vccnz .LBB503_57
; %bb.47:
	v_mul_lo_u32 v39, v20, s14
	v_mul_lo_u32 v40, v19, s15
	v_mad_u64_u32 v[37:38], null, v19, s14, 0
	s_mov_b32 s24, -1
	s_mov_b32 s25, exec_lo
	s_delay_alu instid0(VALU_DEP_1) | instskip(SKIP_2) | instid1(VALU_DEP_3)
	v_add3_u32 v38, v38, v40, v39
	v_add_co_u32 v39, vcc_lo, s20, v35
	v_add_co_ci_u32_e32 v40, vcc_lo, s21, v36, vcc_lo
	v_lshlrev_b64 v[37:38], 2, v[37:38]
	s_delay_alu instid0(VALU_DEP_1) | instskip(NEXT) | instid1(VALU_DEP_2)
	v_add_co_u32 v37, vcc_lo, s20, v37
	v_add_co_ci_u32_e32 v38, vcc_lo, s21, v38, vcc_lo
	s_clause 0x1
	global_load_b32 v41, v[39:40], off
	global_load_b32 v42, v[37:38], off
	s_waitcnt vmcnt(0)
	v_cmpx_eq_u32_e64 v41, v42
	s_cbranch_execz .LBB503_56
; %bb.48:
	v_add_co_u32 v37, vcc_lo, v37, 4
	v_add_co_ci_u32_e32 v38, vcc_lo, 0, v38, vcc_lo
	v_add_co_u32 v39, vcc_lo, v39, 4
	v_add_co_ci_u32_e32 v40, vcc_lo, 0, v40, vcc_lo
	s_add_u32 s4, s14, -1
	s_addc_u32 s5, s15, -1
	s_mov_b64 s[6:7], 0
	s_mov_b32 s24, 0
                                        ; implicit-def: $sgpr26
	s_set_inst_prefetch_distance 0x1
	s_branch .LBB503_51
	.p2align	6
.LBB503_49:                             ;   in Loop: Header=BB503_51 Depth=1
	global_load_b32 v41, v[39:40], off
	global_load_b32 v42, v[37:38], off
	v_add_co_u32 v37, vcc_lo, v37, 4
	v_add_co_ci_u32_e32 v38, vcc_lo, 0, v38, vcc_lo
	v_add_co_u32 v39, s0, v39, 4
	s_delay_alu instid0(VALU_DEP_1)
	v_add_co_ci_u32_e64 v40, s0, 0, v40, s0
	s_add_u32 s6, s6, 1
	s_addc_u32 s7, s7, 0
	s_and_not1_b32 s0, s26, exec_lo
	s_waitcnt vmcnt(0)
	v_cmp_ne_u32_e32 vcc_lo, v41, v42
	s_and_b32 s26, vcc_lo, exec_lo
	s_delay_alu instid0(SALU_CYCLE_1)
	s_or_b32 s26, s0, s26
.LBB503_50:                             ;   in Loop: Header=BB503_51 Depth=1
	v_dual_mov_b32 v42, s7 :: v_dual_mov_b32 v41, s6
	s_and_b32 s0, exec_lo, s26
	s_delay_alu instid0(SALU_CYCLE_1) | instskip(NEXT) | instid1(SALU_CYCLE_1)
	s_or_b32 s24, s0, s24
	s_and_not1_b32 exec_lo, exec_lo, s24
	s_cbranch_execz .LBB503_55
.LBB503_51:                             ; =>This Inner Loop Header: Depth=1
	s_or_b32 s26, s26, exec_lo
	s_cmp_eq_u64 s[4:5], s[6:7]
	s_cbranch_scc0 .LBB503_49
; %bb.52:                               ;   in Loop: Header=BB503_51 Depth=1
	s_mov_b64 s[6:7], s[14:15]
                                        ; implicit-def: $vgpr37_vgpr38
                                        ; implicit-def: $vgpr39_vgpr40
	s_branch .LBB503_50
.LBB503_53:
                                        ; implicit-def: $sgpr0
                                        ; implicit-def: $vgpr36
	s_branch .LBB503_215
.LBB503_54:
                                        ; implicit-def: $sgpr0
                                        ; implicit-def: $vgpr36
	s_cbranch_execnz .LBB503_123
	s_branch .LBB503_214
.LBB503_55:
	s_set_inst_prefetch_distance 0x2
	s_or_b32 exec_lo, exec_lo, s24
	v_cmp_gt_i64_e32 vcc_lo, s[14:15], v[41:42]
	s_or_not1_b32 s24, vcc_lo, exec_lo
.LBB503_56:
	s_or_b32 exec_lo, exec_lo, s25
.LBB503_57:
	v_mul_lo_u32 v39, v24, s14
	v_mul_lo_u32 v40, v23, s15
	v_mad_u64_u32 v[37:38], null, v23, s14, 0
	s_and_not1_b32 vcc_lo, exec_lo, s13
	s_delay_alu instid0(VALU_DEP_1) | instskip(NEXT) | instid1(VALU_DEP_1)
	v_add3_u32 v38, v38, v40, v39
	v_lshlrev_b64 v[37:38], 2, v[37:38]
	s_cbranch_vccnz .LBB503_66
; %bb.58:
	s_delay_alu instid0(VALU_DEP_1) | instskip(NEXT) | instid1(VALU_DEP_2)
	v_add_co_u32 v39, vcc_lo, s20, v37
	v_add_co_ci_u32_e32 v40, vcc_lo, s21, v38, vcc_lo
	v_add_co_u32 v35, vcc_lo, s20, v35
	v_add_co_ci_u32_e32 v36, vcc_lo, s21, v36, vcc_lo
	s_mov_b32 s1, -1
	s_clause 0x1
	global_load_b32 v41, v[39:40], off
	global_load_b32 v42, v[35:36], off
	s_mov_b32 s25, exec_lo
	s_waitcnt vmcnt(0)
	v_cmpx_eq_u32_e64 v41, v42
	s_cbranch_execz .LBB503_65
; %bb.59:
	v_add_co_u32 v35, vcc_lo, v35, 4
	v_add_co_ci_u32_e32 v36, vcc_lo, 0, v36, vcc_lo
	v_add_co_u32 v39, vcc_lo, v39, 4
	v_add_co_ci_u32_e32 v40, vcc_lo, 0, v40, vcc_lo
	s_add_u32 s4, s14, -1
	s_addc_u32 s5, s15, -1
	s_mov_b64 s[6:7], 0
	s_mov_b32 s1, 0
                                        ; implicit-def: $sgpr26
	s_set_inst_prefetch_distance 0x1
	s_branch .LBB503_62
	.p2align	6
.LBB503_60:                             ;   in Loop: Header=BB503_62 Depth=1
	global_load_b32 v41, v[39:40], off
	global_load_b32 v42, v[35:36], off
	v_add_co_u32 v35, vcc_lo, v35, 4
	v_add_co_ci_u32_e32 v36, vcc_lo, 0, v36, vcc_lo
	v_add_co_u32 v39, s0, v39, 4
	s_delay_alu instid0(VALU_DEP_1)
	v_add_co_ci_u32_e64 v40, s0, 0, v40, s0
	s_add_u32 s6, s6, 1
	s_addc_u32 s7, s7, 0
	s_and_not1_b32 s0, s26, exec_lo
	s_waitcnt vmcnt(0)
	v_cmp_ne_u32_e32 vcc_lo, v41, v42
	s_and_b32 s26, vcc_lo, exec_lo
	s_delay_alu instid0(SALU_CYCLE_1)
	s_or_b32 s26, s0, s26
.LBB503_61:                             ;   in Loop: Header=BB503_62 Depth=1
	v_dual_mov_b32 v42, s7 :: v_dual_mov_b32 v41, s6
	s_and_b32 s0, exec_lo, s26
	s_delay_alu instid0(SALU_CYCLE_1) | instskip(NEXT) | instid1(SALU_CYCLE_1)
	s_or_b32 s1, s0, s1
	s_and_not1_b32 exec_lo, exec_lo, s1
	s_cbranch_execz .LBB503_64
.LBB503_62:                             ; =>This Inner Loop Header: Depth=1
	s_or_b32 s26, s26, exec_lo
	s_cmp_eq_u64 s[4:5], s[6:7]
	s_cbranch_scc0 .LBB503_60
; %bb.63:                               ;   in Loop: Header=BB503_62 Depth=1
	s_mov_b64 s[6:7], s[14:15]
                                        ; implicit-def: $vgpr35_vgpr36
                                        ; implicit-def: $vgpr39_vgpr40
	s_branch .LBB503_61
.LBB503_64:
	s_set_inst_prefetch_distance 0x2
	s_or_b32 exec_lo, exec_lo, s1
	v_cmp_gt_i64_e32 vcc_lo, s[14:15], v[41:42]
	s_or_not1_b32 s1, vcc_lo, exec_lo
.LBB503_65:
	s_or_b32 exec_lo, exec_lo, s25
.LBB503_66:
	v_mul_lo_u32 v39, v22, s14
	v_mul_lo_u32 v40, v21, s15
	v_mad_u64_u32 v[35:36], null, v21, s14, 0
	s_mov_b32 s25, 0
	s_and_not1_b32 vcc_lo, exec_lo, s13
	s_mov_b32 s26, 0
	s_delay_alu instid0(VALU_DEP_1) | instskip(NEXT) | instid1(VALU_DEP_1)
	v_add3_u32 v36, v36, v40, v39
	v_lshlrev_b64 v[39:40], 2, v[35:36]
	s_cbranch_vccnz .LBB503_75
; %bb.67:
	s_delay_alu instid0(VALU_DEP_1) | instskip(NEXT) | instid1(VALU_DEP_2)
	v_add_co_u32 v41, vcc_lo, s20, v39
	v_add_co_ci_u32_e32 v42, vcc_lo, s21, v40, vcc_lo
	v_add_co_u32 v35, vcc_lo, s20, v37
	v_add_co_ci_u32_e32 v36, vcc_lo, s21, v38, vcc_lo
	s_mov_b32 s26, -1
	s_clause 0x1
	global_load_b32 v37, v[41:42], off
	global_load_b32 v38, v[35:36], off
	s_mov_b32 s27, exec_lo
	s_waitcnt vmcnt(0)
	v_cmpx_eq_u32_e64 v37, v38
	s_cbranch_execz .LBB503_74
; %bb.68:
	v_add_co_u32 v35, vcc_lo, v35, 4
	v_add_co_ci_u32_e32 v36, vcc_lo, 0, v36, vcc_lo
	v_add_co_u32 v37, vcc_lo, v41, 4
	v_add_co_ci_u32_e32 v38, vcc_lo, 0, v42, vcc_lo
	s_add_u32 s4, s14, -1
	s_addc_u32 s5, s15, -1
	s_mov_b64 s[6:7], 0
	s_mov_b32 s26, 0
                                        ; implicit-def: $sgpr34
	s_set_inst_prefetch_distance 0x1
	s_branch .LBB503_71
	.p2align	6
.LBB503_69:                             ;   in Loop: Header=BB503_71 Depth=1
	global_load_b32 v41, v[37:38], off
	global_load_b32 v42, v[35:36], off
	v_add_co_u32 v35, vcc_lo, v35, 4
	v_add_co_ci_u32_e32 v36, vcc_lo, 0, v36, vcc_lo
	v_add_co_u32 v37, s0, v37, 4
	s_delay_alu instid0(VALU_DEP_1)
	v_add_co_ci_u32_e64 v38, s0, 0, v38, s0
	s_add_u32 s6, s6, 1
	s_addc_u32 s7, s7, 0
	s_and_not1_b32 s0, s34, exec_lo
	s_waitcnt vmcnt(0)
	v_cmp_ne_u32_e32 vcc_lo, v41, v42
	s_and_b32 s34, vcc_lo, exec_lo
	s_delay_alu instid0(SALU_CYCLE_1)
	s_or_b32 s34, s0, s34
.LBB503_70:                             ;   in Loop: Header=BB503_71 Depth=1
	v_dual_mov_b32 v42, s7 :: v_dual_mov_b32 v41, s6
	s_and_b32 s0, exec_lo, s34
	s_delay_alu instid0(SALU_CYCLE_1) | instskip(NEXT) | instid1(SALU_CYCLE_1)
	s_or_b32 s26, s0, s26
	s_and_not1_b32 exec_lo, exec_lo, s26
	s_cbranch_execz .LBB503_73
.LBB503_71:                             ; =>This Inner Loop Header: Depth=1
	s_or_b32 s34, s34, exec_lo
	s_cmp_eq_u64 s[4:5], s[6:7]
	s_cbranch_scc0 .LBB503_69
; %bb.72:                               ;   in Loop: Header=BB503_71 Depth=1
	s_mov_b64 s[6:7], s[14:15]
                                        ; implicit-def: $vgpr35_vgpr36
                                        ; implicit-def: $vgpr37_vgpr38
	s_branch .LBB503_70
.LBB503_73:
	s_set_inst_prefetch_distance 0x2
	s_or_b32 exec_lo, exec_lo, s26
	v_cmp_gt_i64_e32 vcc_lo, s[14:15], v[41:42]
	s_or_not1_b32 s26, vcc_lo, exec_lo
.LBB503_74:
	s_or_b32 exec_lo, exec_lo, s27
.LBB503_75:
	v_mul_lo_u32 v37, v28, s14
	v_mul_lo_u32 v38, v27, s15
	v_mad_u64_u32 v[35:36], null, v27, s14, 0
	s_and_not1_b32 vcc_lo, exec_lo, s13
	s_delay_alu instid0(VALU_DEP_1) | instskip(NEXT) | instid1(VALU_DEP_1)
	v_add3_u32 v36, v36, v38, v37
	v_lshlrev_b64 v[35:36], 2, v[35:36]
	s_cbranch_vccnz .LBB503_84
; %bb.76:
	s_delay_alu instid0(VALU_DEP_1) | instskip(NEXT) | instid1(VALU_DEP_2)
	v_add_co_u32 v41, vcc_lo, s20, v35
	v_add_co_ci_u32_e32 v42, vcc_lo, s21, v36, vcc_lo
	v_add_co_u32 v37, vcc_lo, s20, v39
	v_add_co_ci_u32_e32 v38, vcc_lo, s21, v40, vcc_lo
	s_mov_b32 s25, -1
	s_clause 0x1
	global_load_b32 v39, v[41:42], off
	global_load_b32 v40, v[37:38], off
	s_mov_b32 s27, exec_lo
	s_waitcnt vmcnt(0)
	v_cmpx_eq_u32_e64 v39, v40
	s_cbranch_execz .LBB503_83
; %bb.77:
	v_add_co_u32 v37, vcc_lo, v37, 4
	v_add_co_ci_u32_e32 v38, vcc_lo, 0, v38, vcc_lo
	v_add_co_u32 v39, vcc_lo, v41, 4
	v_add_co_ci_u32_e32 v40, vcc_lo, 0, v42, vcc_lo
	s_add_u32 s4, s14, -1
	s_addc_u32 s5, s15, -1
	s_mov_b64 s[6:7], 0
	s_mov_b32 s25, 0
                                        ; implicit-def: $sgpr34
	s_set_inst_prefetch_distance 0x1
	s_branch .LBB503_80
	.p2align	6
.LBB503_78:                             ;   in Loop: Header=BB503_80 Depth=1
	global_load_b32 v41, v[39:40], off
	global_load_b32 v42, v[37:38], off
	v_add_co_u32 v37, vcc_lo, v37, 4
	v_add_co_ci_u32_e32 v38, vcc_lo, 0, v38, vcc_lo
	v_add_co_u32 v39, s0, v39, 4
	s_delay_alu instid0(VALU_DEP_1)
	v_add_co_ci_u32_e64 v40, s0, 0, v40, s0
	s_add_u32 s6, s6, 1
	s_addc_u32 s7, s7, 0
	s_and_not1_b32 s0, s34, exec_lo
	s_waitcnt vmcnt(0)
	v_cmp_ne_u32_e32 vcc_lo, v41, v42
	s_and_b32 s34, vcc_lo, exec_lo
	s_delay_alu instid0(SALU_CYCLE_1)
	s_or_b32 s34, s0, s34
.LBB503_79:                             ;   in Loop: Header=BB503_80 Depth=1
	v_dual_mov_b32 v42, s7 :: v_dual_mov_b32 v41, s6
	s_and_b32 s0, exec_lo, s34
	s_delay_alu instid0(SALU_CYCLE_1) | instskip(NEXT) | instid1(SALU_CYCLE_1)
	s_or_b32 s25, s0, s25
	s_and_not1_b32 exec_lo, exec_lo, s25
	s_cbranch_execz .LBB503_82
.LBB503_80:                             ; =>This Inner Loop Header: Depth=1
	s_or_b32 s34, s34, exec_lo
	s_cmp_eq_u64 s[4:5], s[6:7]
	s_cbranch_scc0 .LBB503_78
; %bb.81:                               ;   in Loop: Header=BB503_80 Depth=1
	s_mov_b64 s[6:7], s[14:15]
                                        ; implicit-def: $vgpr37_vgpr38
                                        ; implicit-def: $vgpr39_vgpr40
	s_branch .LBB503_79
.LBB503_82:
	s_set_inst_prefetch_distance 0x2
	s_or_b32 exec_lo, exec_lo, s25
	v_cmp_gt_i64_e32 vcc_lo, s[14:15], v[41:42]
	s_or_not1_b32 s25, vcc_lo, exec_lo
.LBB503_83:
	s_or_b32 exec_lo, exec_lo, s27
.LBB503_84:
	v_mul_lo_u32 v39, v26, s14
	v_mul_lo_u32 v40, v25, s15
	v_mad_u64_u32 v[37:38], null, v25, s14, 0
	s_mov_b32 s27, 0
	s_and_not1_b32 vcc_lo, exec_lo, s13
	s_mov_b32 s34, 0
	s_delay_alu instid0(VALU_DEP_1) | instskip(NEXT) | instid1(VALU_DEP_1)
	v_add3_u32 v38, v38, v40, v39
	v_lshlrev_b64 v[39:40], 2, v[37:38]
	s_cbranch_vccnz .LBB503_93
; %bb.85:
	s_delay_alu instid0(VALU_DEP_1) | instskip(NEXT) | instid1(VALU_DEP_2)
	v_add_co_u32 v37, vcc_lo, s20, v39
	v_add_co_ci_u32_e32 v38, vcc_lo, s21, v40, vcc_lo
	v_add_co_u32 v35, vcc_lo, s20, v35
	v_add_co_ci_u32_e32 v36, vcc_lo, s21, v36, vcc_lo
	s_mov_b32 s34, -1
	s_clause 0x1
	global_load_b32 v41, v[37:38], off
	global_load_b32 v42, v[35:36], off
	s_mov_b32 s35, exec_lo
	s_waitcnt vmcnt(0)
	v_cmpx_eq_u32_e64 v41, v42
	s_cbranch_execz .LBB503_92
; %bb.86:
	v_add_co_u32 v35, vcc_lo, v35, 4
	v_add_co_ci_u32_e32 v36, vcc_lo, 0, v36, vcc_lo
	v_add_co_u32 v37, vcc_lo, v37, 4
	v_add_co_ci_u32_e32 v38, vcc_lo, 0, v38, vcc_lo
	s_add_u32 s4, s14, -1
	s_addc_u32 s5, s15, -1
	s_mov_b64 s[6:7], 0
	s_mov_b32 s34, 0
                                        ; implicit-def: $sgpr36
	s_set_inst_prefetch_distance 0x1
	s_branch .LBB503_89
	.p2align	6
.LBB503_87:                             ;   in Loop: Header=BB503_89 Depth=1
	global_load_b32 v41, v[37:38], off
	global_load_b32 v42, v[35:36], off
	v_add_co_u32 v35, vcc_lo, v35, 4
	v_add_co_ci_u32_e32 v36, vcc_lo, 0, v36, vcc_lo
	v_add_co_u32 v37, s0, v37, 4
	s_delay_alu instid0(VALU_DEP_1)
	v_add_co_ci_u32_e64 v38, s0, 0, v38, s0
	s_add_u32 s6, s6, 1
	s_addc_u32 s7, s7, 0
	s_and_not1_b32 s0, s36, exec_lo
	s_waitcnt vmcnt(0)
	v_cmp_ne_u32_e32 vcc_lo, v41, v42
	s_and_b32 s36, vcc_lo, exec_lo
	s_delay_alu instid0(SALU_CYCLE_1)
	s_or_b32 s36, s0, s36
.LBB503_88:                             ;   in Loop: Header=BB503_89 Depth=1
	v_dual_mov_b32 v42, s7 :: v_dual_mov_b32 v41, s6
	s_and_b32 s0, exec_lo, s36
	s_delay_alu instid0(SALU_CYCLE_1) | instskip(NEXT) | instid1(SALU_CYCLE_1)
	s_or_b32 s34, s0, s34
	s_and_not1_b32 exec_lo, exec_lo, s34
	s_cbranch_execz .LBB503_91
.LBB503_89:                             ; =>This Inner Loop Header: Depth=1
	s_or_b32 s36, s36, exec_lo
	s_cmp_eq_u64 s[4:5], s[6:7]
	s_cbranch_scc0 .LBB503_87
; %bb.90:                               ;   in Loop: Header=BB503_89 Depth=1
	s_mov_b64 s[6:7], s[14:15]
                                        ; implicit-def: $vgpr35_vgpr36
                                        ; implicit-def: $vgpr37_vgpr38
	s_branch .LBB503_88
.LBB503_91:
	s_set_inst_prefetch_distance 0x2
	s_or_b32 exec_lo, exec_lo, s34
	v_cmp_gt_i64_e32 vcc_lo, s[14:15], v[41:42]
	s_or_not1_b32 s34, vcc_lo, exec_lo
.LBB503_92:
	s_or_b32 exec_lo, exec_lo, s35
.LBB503_93:
	v_mul_lo_u32 v37, v32, s14
	v_mul_lo_u32 v38, v31, s15
	v_mad_u64_u32 v[35:36], null, v31, s14, 0
	s_and_not1_b32 vcc_lo, exec_lo, s13
	s_delay_alu instid0(VALU_DEP_1) | instskip(NEXT) | instid1(VALU_DEP_1)
	v_add3_u32 v36, v36, v38, v37
	v_lshlrev_b64 v[37:38], 2, v[35:36]
	s_cbranch_vccnz .LBB503_102
; %bb.94:
	s_delay_alu instid0(VALU_DEP_1) | instskip(NEXT) | instid1(VALU_DEP_2)
	v_add_co_u32 v41, vcc_lo, s20, v37
	v_add_co_ci_u32_e32 v42, vcc_lo, s21, v38, vcc_lo
	v_add_co_u32 v35, vcc_lo, s20, v39
	v_add_co_ci_u32_e32 v36, vcc_lo, s21, v40, vcc_lo
	s_mov_b32 s27, -1
	s_clause 0x1
	global_load_b32 v39, v[41:42], off
	global_load_b32 v40, v[35:36], off
	s_mov_b32 s35, exec_lo
	s_waitcnt vmcnt(0)
	v_cmpx_eq_u32_e64 v39, v40
	s_cbranch_execz .LBB503_101
; %bb.95:
	v_add_co_u32 v35, vcc_lo, v35, 4
	v_add_co_ci_u32_e32 v36, vcc_lo, 0, v36, vcc_lo
	v_add_co_u32 v39, vcc_lo, v41, 4
	v_add_co_ci_u32_e32 v40, vcc_lo, 0, v42, vcc_lo
	s_add_u32 s4, s14, -1
	s_addc_u32 s5, s15, -1
	s_mov_b64 s[6:7], 0
	s_mov_b32 s27, 0
                                        ; implicit-def: $sgpr36
	s_set_inst_prefetch_distance 0x1
	s_branch .LBB503_98
	.p2align	6
.LBB503_96:                             ;   in Loop: Header=BB503_98 Depth=1
	global_load_b32 v41, v[39:40], off
	global_load_b32 v42, v[35:36], off
	v_add_co_u32 v35, vcc_lo, v35, 4
	v_add_co_ci_u32_e32 v36, vcc_lo, 0, v36, vcc_lo
	v_add_co_u32 v39, s0, v39, 4
	s_delay_alu instid0(VALU_DEP_1)
	v_add_co_ci_u32_e64 v40, s0, 0, v40, s0
	s_add_u32 s6, s6, 1
	s_addc_u32 s7, s7, 0
	s_and_not1_b32 s0, s36, exec_lo
	s_waitcnt vmcnt(0)
	v_cmp_ne_u32_e32 vcc_lo, v41, v42
	s_and_b32 s36, vcc_lo, exec_lo
	s_delay_alu instid0(SALU_CYCLE_1)
	s_or_b32 s36, s0, s36
.LBB503_97:                             ;   in Loop: Header=BB503_98 Depth=1
	v_dual_mov_b32 v42, s7 :: v_dual_mov_b32 v41, s6
	s_and_b32 s0, exec_lo, s36
	s_delay_alu instid0(SALU_CYCLE_1) | instskip(NEXT) | instid1(SALU_CYCLE_1)
	s_or_b32 s27, s0, s27
	s_and_not1_b32 exec_lo, exec_lo, s27
	s_cbranch_execz .LBB503_100
.LBB503_98:                             ; =>This Inner Loop Header: Depth=1
	s_or_b32 s36, s36, exec_lo
	s_cmp_eq_u64 s[4:5], s[6:7]
	s_cbranch_scc0 .LBB503_96
; %bb.99:                               ;   in Loop: Header=BB503_98 Depth=1
	s_mov_b64 s[6:7], s[14:15]
                                        ; implicit-def: $vgpr35_vgpr36
                                        ; implicit-def: $vgpr39_vgpr40
	s_branch .LBB503_97
.LBB503_100:
	s_set_inst_prefetch_distance 0x2
	s_or_b32 exec_lo, exec_lo, s27
	v_cmp_gt_i64_e32 vcc_lo, s[14:15], v[41:42]
	s_or_not1_b32 s27, vcc_lo, exec_lo
.LBB503_101:
	s_or_b32 exec_lo, exec_lo, s35
.LBB503_102:
	v_mul_lo_u32 v39, v30, s14
	v_mul_lo_u32 v40, v29, s15
	v_mad_u64_u32 v[35:36], null, v29, s14, 0
	s_and_not1_b32 vcc_lo, exec_lo, s13
	s_mov_b32 s0, 0
	s_delay_alu instid0(VALU_DEP_1) | instskip(NEXT) | instid1(VALU_DEP_1)
	v_add3_u32 v36, v36, v40, v39
	v_lshlrev_b64 v[35:36], 2, v[35:36]
	s_cbranch_vccnz .LBB503_111
; %bb.103:
	s_delay_alu instid0(VALU_DEP_1) | instskip(NEXT) | instid1(VALU_DEP_2)
	v_add_co_u32 v39, vcc_lo, s20, v35
	v_add_co_ci_u32_e32 v40, vcc_lo, s21, v36, vcc_lo
	v_add_co_u32 v37, vcc_lo, s20, v37
	v_add_co_ci_u32_e32 v38, vcc_lo, s21, v38, vcc_lo
	s_mov_b32 s0, -1
	s_clause 0x1
	global_load_b32 v41, v[39:40], off
	global_load_b32 v42, v[37:38], off
	s_mov_b32 s35, exec_lo
	s_waitcnt vmcnt(0)
	v_cmpx_eq_u32_e64 v41, v42
	s_cbranch_execz .LBB503_110
; %bb.104:
	v_add_co_u32 v37, vcc_lo, v37, 4
	v_add_co_ci_u32_e32 v38, vcc_lo, 0, v38, vcc_lo
	v_add_co_u32 v39, vcc_lo, v39, 4
	v_add_co_ci_u32_e32 v40, vcc_lo, 0, v40, vcc_lo
	s_add_u32 s4, s14, -1
	s_addc_u32 s5, s15, -1
	s_mov_b64 s[6:7], 0
	s_mov_b32 s36, 0
                                        ; implicit-def: $sgpr37
	s_set_inst_prefetch_distance 0x1
	s_branch .LBB503_107
	.p2align	6
.LBB503_105:                            ;   in Loop: Header=BB503_107 Depth=1
	global_load_b32 v41, v[39:40], off
	global_load_b32 v42, v[37:38], off
	v_add_co_u32 v37, vcc_lo, v37, 4
	v_add_co_ci_u32_e32 v38, vcc_lo, 0, v38, vcc_lo
	v_add_co_u32 v39, s0, v39, 4
	s_delay_alu instid0(VALU_DEP_1)
	v_add_co_ci_u32_e64 v40, s0, 0, v40, s0
	s_add_u32 s6, s6, 1
	s_addc_u32 s7, s7, 0
	s_and_not1_b32 s0, s37, exec_lo
	s_waitcnt vmcnt(0)
	v_cmp_ne_u32_e32 vcc_lo, v41, v42
	s_and_b32 s37, vcc_lo, exec_lo
	s_delay_alu instid0(SALU_CYCLE_1)
	s_or_b32 s37, s0, s37
.LBB503_106:                            ;   in Loop: Header=BB503_107 Depth=1
	v_dual_mov_b32 v42, s7 :: v_dual_mov_b32 v41, s6
	s_and_b32 s0, exec_lo, s37
	s_delay_alu instid0(SALU_CYCLE_1) | instskip(NEXT) | instid1(SALU_CYCLE_1)
	s_or_b32 s36, s0, s36
	s_and_not1_b32 exec_lo, exec_lo, s36
	s_cbranch_execz .LBB503_109
.LBB503_107:                            ; =>This Inner Loop Header: Depth=1
	s_or_b32 s37, s37, exec_lo
	s_cmp_eq_u64 s[4:5], s[6:7]
	s_cbranch_scc0 .LBB503_105
; %bb.108:                              ;   in Loop: Header=BB503_107 Depth=1
	s_mov_b64 s[6:7], s[14:15]
                                        ; implicit-def: $vgpr37_vgpr38
                                        ; implicit-def: $vgpr39_vgpr40
	s_branch .LBB503_106
.LBB503_109:
	s_set_inst_prefetch_distance 0x2
	s_or_b32 exec_lo, exec_lo, s36
	v_cmp_gt_i64_e32 vcc_lo, s[14:15], v[41:42]
	s_or_not1_b32 s0, vcc_lo, exec_lo
.LBB503_110:
	s_or_b32 exec_lo, exec_lo, s35
.LBB503_111:
	s_waitcnt vmcnt(0)
	v_dual_mov_b32 v38, v34 :: v_dual_mov_b32 v37, v33
	s_waitcnt lgkmcnt(0)
	s_barrier
	buffer_gl0_inv
	s_and_saveexec_b32 s4, s3
	s_cbranch_execz .LBB503_113
; %bb.112:
	v_add_nc_u32_e32 v37, -8, v55
	ds_load_b64 v[37:38], v37
.LBB503_113:
	s_or_b32 exec_lo, exec_lo, s4
	v_cndmask_b32_e64 v40, 0, 1, s34
	v_cndmask_b32_e64 v42, 0, 1, s26
	;; [unrolled: 1-line block ×7, first 2 shown]
	v_lshlrev_b16 v40, 8, v40
	v_lshlrev_b16 v42, 8, v42
	;; [unrolled: 1-line block ×4, first 2 shown]
	s_mov_b32 s1, 0
	v_or_b32_e32 v39, v39, v40
	v_or_b32_e32 v40, v41, v42
	;; [unrolled: 1-line block ×3, first 2 shown]
	v_and_b32_e32 v41, 0xffff, v45
	s_and_not1_b32 vcc_lo, exec_lo, s13
	v_lshlrev_b32_e32 v42, 16, v39
	v_and_b32_e32 v44, 0xffff, v40
	v_lshlrev_b32_e32 v45, 16, v46
	s_mov_b32 s0, 0
	s_cbranch_vccnz .LBB503_122
; %bb.114:
	s_waitcnt lgkmcnt(0)
	v_mul_lo_u32 v40, v38, s14
	v_mul_lo_u32 v46, v37, s15
	v_mad_u64_u32 v[38:39], null, v37, s14, 0
	s_mov_b32 s0, -1
	s_mov_b32 s24, exec_lo
	s_delay_alu instid0(VALU_DEP_1) | instskip(NEXT) | instid1(VALU_DEP_1)
	v_add3_u32 v39, v39, v46, v40
	v_lshlrev_b64 v[37:38], 2, v[38:39]
	s_delay_alu instid0(VALU_DEP_1) | instskip(NEXT) | instid1(VALU_DEP_2)
	v_add_co_u32 v37, vcc_lo, s20, v37
	v_add_co_ci_u32_e32 v38, vcc_lo, s21, v38, vcc_lo
	v_add_co_u32 v35, vcc_lo, s20, v35
	v_add_co_ci_u32_e32 v36, vcc_lo, s21, v36, vcc_lo
	s_clause 0x1
	global_load_b32 v39, v[37:38], off
	global_load_b32 v40, v[35:36], off
	s_waitcnt vmcnt(0)
	v_cmpx_eq_u32_e64 v39, v40
	s_cbranch_execz .LBB503_121
; %bb.115:
	v_add_co_u32 v35, vcc_lo, v35, 4
	v_add_co_ci_u32_e32 v36, vcc_lo, 0, v36, vcc_lo
	v_add_co_u32 v37, vcc_lo, v37, 4
	v_add_co_ci_u32_e32 v38, vcc_lo, 0, v38, vcc_lo
	s_add_u32 s4, s14, -1
	s_addc_u32 s5, s15, -1
	s_mov_b64 s[6:7], 0
	s_mov_b32 s25, 0
                                        ; implicit-def: $sgpr26
	s_set_inst_prefetch_distance 0x1
	s_branch .LBB503_118
	.p2align	6
.LBB503_116:                            ;   in Loop: Header=BB503_118 Depth=1
	global_load_b32 v39, v[37:38], off
	global_load_b32 v40, v[35:36], off
	v_add_co_u32 v35, vcc_lo, v35, 4
	v_add_co_ci_u32_e32 v36, vcc_lo, 0, v36, vcc_lo
	v_add_co_u32 v37, s0, v37, 4
	s_delay_alu instid0(VALU_DEP_1)
	v_add_co_ci_u32_e64 v38, s0, 0, v38, s0
	s_add_u32 s6, s6, 1
	s_addc_u32 s7, s7, 0
	s_and_not1_b32 s0, s26, exec_lo
	s_waitcnt vmcnt(0)
	v_cmp_ne_u32_e32 vcc_lo, v39, v40
	s_and_b32 s26, vcc_lo, exec_lo
	s_delay_alu instid0(SALU_CYCLE_1)
	s_or_b32 s26, s0, s26
.LBB503_117:                            ;   in Loop: Header=BB503_118 Depth=1
	v_dual_mov_b32 v40, s7 :: v_dual_mov_b32 v39, s6
	s_and_b32 s0, exec_lo, s26
	s_delay_alu instid0(SALU_CYCLE_1) | instskip(NEXT) | instid1(SALU_CYCLE_1)
	s_or_b32 s25, s0, s25
	s_and_not1_b32 exec_lo, exec_lo, s25
	s_cbranch_execz .LBB503_120
.LBB503_118:                            ; =>This Inner Loop Header: Depth=1
	s_or_b32 s26, s26, exec_lo
	s_cmp_eq_u64 s[4:5], s[6:7]
	s_cbranch_scc0 .LBB503_116
; %bb.119:                              ;   in Loop: Header=BB503_118 Depth=1
	s_mov_b64 s[6:7], s[14:15]
                                        ; implicit-def: $vgpr35_vgpr36
                                        ; implicit-def: $vgpr37_vgpr38
	s_branch .LBB503_117
.LBB503_120:
	s_set_inst_prefetch_distance 0x2
	s_or_b32 exec_lo, exec_lo, s25
	v_cmp_gt_i64_e32 vcc_lo, s[14:15], v[39:40]
	s_or_not1_b32 s0, vcc_lo, exec_lo
.LBB503_121:
	s_or_b32 exec_lo, exec_lo, s24
.LBB503_122:
	v_or_b32_e32 v35, v41, v42
	s_delay_alu instid0(VALU_DEP_2)
	v_or_b32_e32 v36, v44, v45
	s_and_b32 vcc_lo, exec_lo, s1
	s_cbranch_vccz .LBB503_214
.LBB503_123:
	v_or_b32_e32 v35, 7, v55
	s_mov_b32 s1, 0
	s_mov_b32 s24, 0
	s_mov_b32 s25, exec_lo
	s_delay_alu instid0(VALU_DEP_1)
	v_cmpx_gt_u32_e64 s31, v35
	s_cbranch_execz .LBB503_134
; %bb.124:
	s_and_not1_b32 vcc_lo, exec_lo, s13
	s_mov_b32 s0, 0
	s_cbranch_vccnz .LBB503_133
; %bb.125:
	v_mul_lo_u32 v39, v18, s14
	v_mul_lo_u32 v40, v17, s15
	v_mad_u64_u32 v[35:36], null, v17, s14, 0
	v_mul_lo_u32 v41, v20, s14
	v_mul_lo_u32 v42, v19, s15
	s_waitcnt lgkmcnt(0)
	v_mad_u64_u32 v[37:38], null, v19, s14, 0
	s_mov_b32 s0, -1
	s_mov_b32 s13, exec_lo
	s_delay_alu instid0(VALU_DEP_4) | instskip(NEXT) | instid1(VALU_DEP_2)
	v_add3_u32 v36, v36, v40, v39
	v_add3_u32 v38, v38, v42, v41
	s_delay_alu instid0(VALU_DEP_2) | instskip(NEXT) | instid1(VALU_DEP_2)
	v_lshlrev_b64 v[35:36], 2, v[35:36]
	v_lshlrev_b64 v[39:40], 2, v[37:38]
	s_delay_alu instid0(VALU_DEP_2) | instskip(NEXT) | instid1(VALU_DEP_3)
	v_add_co_u32 v37, vcc_lo, s20, v35
	v_add_co_ci_u32_e32 v38, vcc_lo, s21, v36, vcc_lo
	s_delay_alu instid0(VALU_DEP_3) | instskip(NEXT) | instid1(VALU_DEP_4)
	v_add_co_u32 v35, vcc_lo, s20, v39
	v_add_co_ci_u32_e32 v36, vcc_lo, s21, v40, vcc_lo
	s_clause 0x1
	global_load_b32 v39, v[37:38], off
	global_load_b32 v40, v[35:36], off
	s_waitcnt vmcnt(0)
	v_cmpx_eq_u32_e64 v39, v40
	s_cbranch_execz .LBB503_132
; %bb.126:
	v_add_co_u32 v35, vcc_lo, v35, 4
	v_add_co_ci_u32_e32 v36, vcc_lo, 0, v36, vcc_lo
	v_add_co_u32 v37, vcc_lo, v37, 4
	v_add_co_ci_u32_e32 v38, vcc_lo, 0, v38, vcc_lo
	s_add_u32 s4, s14, -1
	s_addc_u32 s5, s15, -1
	s_mov_b64 s[6:7], 0
                                        ; implicit-def: $sgpr26
	s_set_inst_prefetch_distance 0x1
	s_branch .LBB503_129
	.p2align	6
.LBB503_127:                            ;   in Loop: Header=BB503_129 Depth=1
	global_load_b32 v39, v[37:38], off
	global_load_b32 v40, v[35:36], off
	v_add_co_u32 v35, vcc_lo, v35, 4
	v_add_co_ci_u32_e32 v36, vcc_lo, 0, v36, vcc_lo
	v_add_co_u32 v37, s0, v37, 4
	s_delay_alu instid0(VALU_DEP_1)
	v_add_co_ci_u32_e64 v38, s0, 0, v38, s0
	s_add_u32 s6, s6, 1
	s_addc_u32 s7, s7, 0
	s_and_not1_b32 s0, s26, exec_lo
	s_waitcnt vmcnt(0)
	v_cmp_ne_u32_e32 vcc_lo, v39, v40
	s_and_b32 s26, vcc_lo, exec_lo
	s_delay_alu instid0(SALU_CYCLE_1)
	s_or_b32 s26, s0, s26
.LBB503_128:                            ;   in Loop: Header=BB503_129 Depth=1
	v_dual_mov_b32 v40, s7 :: v_dual_mov_b32 v39, s6
	s_and_b32 s0, exec_lo, s26
	s_delay_alu instid0(SALU_CYCLE_1) | instskip(NEXT) | instid1(SALU_CYCLE_1)
	s_or_b32 s24, s0, s24
	s_and_not1_b32 exec_lo, exec_lo, s24
	s_cbranch_execz .LBB503_131
.LBB503_129:                            ; =>This Inner Loop Header: Depth=1
	s_or_b32 s26, s26, exec_lo
	s_cmp_eq_u64 s[4:5], s[6:7]
	s_cbranch_scc0 .LBB503_127
; %bb.130:                              ;   in Loop: Header=BB503_129 Depth=1
	s_mov_b64 s[6:7], s[14:15]
                                        ; implicit-def: $vgpr35_vgpr36
                                        ; implicit-def: $vgpr37_vgpr38
	s_branch .LBB503_128
.LBB503_131:
	s_set_inst_prefetch_distance 0x2
	s_or_b32 exec_lo, exec_lo, s24
	v_cmp_gt_i64_e32 vcc_lo, s[14:15], v[39:40]
	s_or_not1_b32 s0, vcc_lo, exec_lo
.LBB503_132:
	s_or_b32 exec_lo, exec_lo, s13
.LBB503_133:
	s_delay_alu instid0(SALU_CYCLE_1)
	s_and_b32 s24, s0, exec_lo
.LBB503_134:
	s_or_b32 exec_lo, exec_lo, s25
	v_or_b32_e32 v35, 6, v55
	s_mov_b32 s13, exec_lo
	s_delay_alu instid0(VALU_DEP_1)
	v_cmpx_gt_u32_e64 s31, v35
	s_cbranch_execz .LBB503_145
; %bb.135:
	v_cmp_ne_u32_e32 vcc_lo, 1, v43
	s_mov_b32 s0, 0
	s_cbranch_vccnz .LBB503_144
; %bb.136:
	v_mul_lo_u32 v39, v24, s14
	v_mul_lo_u32 v40, v23, s15
	v_mad_u64_u32 v[35:36], null, v23, s14, 0
	v_mul_lo_u32 v41, v18, s14
	v_mul_lo_u32 v42, v17, s15
	s_waitcnt lgkmcnt(0)
	v_mad_u64_u32 v[37:38], null, v17, s14, 0
	s_mov_b32 s0, -1
	s_mov_b32 s1, exec_lo
	s_delay_alu instid0(VALU_DEP_4) | instskip(NEXT) | instid1(VALU_DEP_2)
	v_add3_u32 v36, v36, v40, v39
	v_add3_u32 v38, v38, v42, v41
	s_delay_alu instid0(VALU_DEP_2) | instskip(NEXT) | instid1(VALU_DEP_2)
	v_lshlrev_b64 v[35:36], 2, v[35:36]
	v_lshlrev_b64 v[39:40], 2, v[37:38]
	s_delay_alu instid0(VALU_DEP_2) | instskip(NEXT) | instid1(VALU_DEP_3)
	v_add_co_u32 v37, vcc_lo, s20, v35
	v_add_co_ci_u32_e32 v38, vcc_lo, s21, v36, vcc_lo
	s_delay_alu instid0(VALU_DEP_3) | instskip(NEXT) | instid1(VALU_DEP_4)
	v_add_co_u32 v35, vcc_lo, s20, v39
	v_add_co_ci_u32_e32 v36, vcc_lo, s21, v40, vcc_lo
	s_clause 0x1
	global_load_b32 v39, v[37:38], off
	global_load_b32 v40, v[35:36], off
	s_waitcnt vmcnt(0)
	v_cmpx_eq_u32_e64 v39, v40
	s_cbranch_execz .LBB503_143
; %bb.137:
	v_add_co_u32 v35, vcc_lo, v35, 4
	v_add_co_ci_u32_e32 v36, vcc_lo, 0, v36, vcc_lo
	v_add_co_u32 v37, vcc_lo, v37, 4
	v_add_co_ci_u32_e32 v38, vcc_lo, 0, v38, vcc_lo
	s_add_u32 s4, s14, -1
	s_addc_u32 s5, s15, -1
	s_mov_b64 s[6:7], 0
	s_mov_b32 s25, 0
                                        ; implicit-def: $sgpr26
	s_set_inst_prefetch_distance 0x1
	s_branch .LBB503_140
	.p2align	6
.LBB503_138:                            ;   in Loop: Header=BB503_140 Depth=1
	global_load_b32 v39, v[37:38], off
	global_load_b32 v40, v[35:36], off
	v_add_co_u32 v35, vcc_lo, v35, 4
	v_add_co_ci_u32_e32 v36, vcc_lo, 0, v36, vcc_lo
	v_add_co_u32 v37, s0, v37, 4
	s_delay_alu instid0(VALU_DEP_1)
	v_add_co_ci_u32_e64 v38, s0, 0, v38, s0
	s_add_u32 s6, s6, 1
	s_addc_u32 s7, s7, 0
	s_and_not1_b32 s0, s26, exec_lo
	s_waitcnt vmcnt(0)
	v_cmp_ne_u32_e32 vcc_lo, v39, v40
	s_and_b32 s26, vcc_lo, exec_lo
	s_delay_alu instid0(SALU_CYCLE_1)
	s_or_b32 s26, s0, s26
.LBB503_139:                            ;   in Loop: Header=BB503_140 Depth=1
	v_dual_mov_b32 v40, s7 :: v_dual_mov_b32 v39, s6
	s_and_b32 s0, exec_lo, s26
	s_delay_alu instid0(SALU_CYCLE_1) | instskip(NEXT) | instid1(SALU_CYCLE_1)
	s_or_b32 s25, s0, s25
	s_and_not1_b32 exec_lo, exec_lo, s25
	s_cbranch_execz .LBB503_142
.LBB503_140:                            ; =>This Inner Loop Header: Depth=1
	s_or_b32 s26, s26, exec_lo
	s_cmp_eq_u64 s[4:5], s[6:7]
	s_cbranch_scc0 .LBB503_138
; %bb.141:                              ;   in Loop: Header=BB503_140 Depth=1
	s_mov_b64 s[6:7], s[14:15]
                                        ; implicit-def: $vgpr35_vgpr36
                                        ; implicit-def: $vgpr37_vgpr38
	s_branch .LBB503_139
.LBB503_142:
	s_set_inst_prefetch_distance 0x2
	s_or_b32 exec_lo, exec_lo, s25
	v_cmp_gt_i64_e32 vcc_lo, s[14:15], v[39:40]
	s_or_not1_b32 s0, vcc_lo, exec_lo
.LBB503_143:
	s_or_b32 exec_lo, exec_lo, s1
.LBB503_144:
	s_delay_alu instid0(SALU_CYCLE_1)
	s_and_b32 s1, s0, exec_lo
.LBB503_145:
	s_or_b32 exec_lo, exec_lo, s13
	v_or_b32_e32 v35, 5, v55
	s_mov_b32 s25, 0
	s_mov_b32 s13, 0
	s_mov_b32 s26, exec_lo
	s_delay_alu instid0(VALU_DEP_1)
	v_cmpx_gt_u32_e64 s31, v35
	s_cbranch_execz .LBB503_156
; %bb.146:
	v_cmp_ne_u32_e32 vcc_lo, 1, v43
	s_mov_b32 s0, 0
	s_cbranch_vccnz .LBB503_155
; %bb.147:
	v_mul_lo_u32 v39, v22, s14
	v_mul_lo_u32 v40, v21, s15
	v_mad_u64_u32 v[35:36], null, v21, s14, 0
	v_mul_lo_u32 v41, v24, s14
	v_mul_lo_u32 v42, v23, s15
	s_waitcnt lgkmcnt(0)
	v_mad_u64_u32 v[37:38], null, v23, s14, 0
	s_mov_b32 s0, -1
	s_mov_b32 s13, exec_lo
	s_delay_alu instid0(VALU_DEP_4) | instskip(NEXT) | instid1(VALU_DEP_2)
	v_add3_u32 v36, v36, v40, v39
	v_add3_u32 v38, v38, v42, v41
	s_delay_alu instid0(VALU_DEP_2) | instskip(NEXT) | instid1(VALU_DEP_2)
	v_lshlrev_b64 v[35:36], 2, v[35:36]
	v_lshlrev_b64 v[39:40], 2, v[37:38]
	s_delay_alu instid0(VALU_DEP_2) | instskip(NEXT) | instid1(VALU_DEP_3)
	v_add_co_u32 v37, vcc_lo, s20, v35
	v_add_co_ci_u32_e32 v38, vcc_lo, s21, v36, vcc_lo
	s_delay_alu instid0(VALU_DEP_3) | instskip(NEXT) | instid1(VALU_DEP_4)
	v_add_co_u32 v35, vcc_lo, s20, v39
	v_add_co_ci_u32_e32 v36, vcc_lo, s21, v40, vcc_lo
	s_clause 0x1
	global_load_b32 v39, v[37:38], off
	global_load_b32 v40, v[35:36], off
	s_waitcnt vmcnt(0)
	v_cmpx_eq_u32_e64 v39, v40
	s_cbranch_execz .LBB503_154
; %bb.148:
	v_add_co_u32 v35, vcc_lo, v35, 4
	v_add_co_ci_u32_e32 v36, vcc_lo, 0, v36, vcc_lo
	v_add_co_u32 v37, vcc_lo, v37, 4
	v_add_co_ci_u32_e32 v38, vcc_lo, 0, v38, vcc_lo
	s_add_u32 s4, s14, -1
	s_addc_u32 s5, s15, -1
	s_mov_b64 s[6:7], 0
	s_mov_b32 s27, 0
                                        ; implicit-def: $sgpr34
	s_set_inst_prefetch_distance 0x1
	s_branch .LBB503_151
	.p2align	6
.LBB503_149:                            ;   in Loop: Header=BB503_151 Depth=1
	global_load_b32 v39, v[37:38], off
	global_load_b32 v40, v[35:36], off
	v_add_co_u32 v35, vcc_lo, v35, 4
	v_add_co_ci_u32_e32 v36, vcc_lo, 0, v36, vcc_lo
	v_add_co_u32 v37, s0, v37, 4
	s_delay_alu instid0(VALU_DEP_1)
	v_add_co_ci_u32_e64 v38, s0, 0, v38, s0
	s_add_u32 s6, s6, 1
	s_addc_u32 s7, s7, 0
	s_and_not1_b32 s0, s34, exec_lo
	s_waitcnt vmcnt(0)
	v_cmp_ne_u32_e32 vcc_lo, v39, v40
	s_and_b32 s34, vcc_lo, exec_lo
	s_delay_alu instid0(SALU_CYCLE_1)
	s_or_b32 s34, s0, s34
.LBB503_150:                            ;   in Loop: Header=BB503_151 Depth=1
	v_dual_mov_b32 v40, s7 :: v_dual_mov_b32 v39, s6
	s_and_b32 s0, exec_lo, s34
	s_delay_alu instid0(SALU_CYCLE_1) | instskip(NEXT) | instid1(SALU_CYCLE_1)
	s_or_b32 s27, s0, s27
	s_and_not1_b32 exec_lo, exec_lo, s27
	s_cbranch_execz .LBB503_153
.LBB503_151:                            ; =>This Inner Loop Header: Depth=1
	s_or_b32 s34, s34, exec_lo
	s_cmp_eq_u64 s[4:5], s[6:7]
	s_cbranch_scc0 .LBB503_149
; %bb.152:                              ;   in Loop: Header=BB503_151 Depth=1
	s_mov_b64 s[6:7], s[14:15]
                                        ; implicit-def: $vgpr35_vgpr36
                                        ; implicit-def: $vgpr37_vgpr38
	s_branch .LBB503_150
.LBB503_153:
	s_set_inst_prefetch_distance 0x2
	s_or_b32 exec_lo, exec_lo, s27
	v_cmp_gt_i64_e32 vcc_lo, s[14:15], v[39:40]
	s_or_not1_b32 s0, vcc_lo, exec_lo
.LBB503_154:
	s_or_b32 exec_lo, exec_lo, s13
.LBB503_155:
	s_delay_alu instid0(SALU_CYCLE_1)
	s_and_b32 s13, s0, exec_lo
.LBB503_156:
	s_or_b32 exec_lo, exec_lo, s26
	v_or_b32_e32 v35, 4, v55
	s_mov_b32 s26, exec_lo
	s_delay_alu instid0(VALU_DEP_1)
	v_cmpx_gt_u32_e64 s31, v35
	s_cbranch_execz .LBB503_167
; %bb.157:
	v_cmp_ne_u32_e32 vcc_lo, 1, v43
	s_mov_b32 s0, 0
	s_cbranch_vccnz .LBB503_166
; %bb.158:
	v_mul_lo_u32 v39, v28, s14
	v_mul_lo_u32 v40, v27, s15
	v_mad_u64_u32 v[35:36], null, v27, s14, 0
	v_mul_lo_u32 v41, v22, s14
	v_mul_lo_u32 v42, v21, s15
	s_waitcnt lgkmcnt(0)
	v_mad_u64_u32 v[37:38], null, v21, s14, 0
	s_mov_b32 s0, -1
	s_mov_b32 s25, exec_lo
	s_delay_alu instid0(VALU_DEP_4) | instskip(NEXT) | instid1(VALU_DEP_2)
	v_add3_u32 v36, v36, v40, v39
	v_add3_u32 v38, v38, v42, v41
	s_delay_alu instid0(VALU_DEP_2) | instskip(NEXT) | instid1(VALU_DEP_2)
	v_lshlrev_b64 v[35:36], 2, v[35:36]
	v_lshlrev_b64 v[39:40], 2, v[37:38]
	s_delay_alu instid0(VALU_DEP_2) | instskip(NEXT) | instid1(VALU_DEP_3)
	v_add_co_u32 v37, vcc_lo, s20, v35
	v_add_co_ci_u32_e32 v38, vcc_lo, s21, v36, vcc_lo
	s_delay_alu instid0(VALU_DEP_3) | instskip(NEXT) | instid1(VALU_DEP_4)
	v_add_co_u32 v35, vcc_lo, s20, v39
	v_add_co_ci_u32_e32 v36, vcc_lo, s21, v40, vcc_lo
	s_clause 0x1
	global_load_b32 v39, v[37:38], off
	global_load_b32 v40, v[35:36], off
	s_waitcnt vmcnt(0)
	v_cmpx_eq_u32_e64 v39, v40
	s_cbranch_execz .LBB503_165
; %bb.159:
	v_add_co_u32 v35, vcc_lo, v35, 4
	v_add_co_ci_u32_e32 v36, vcc_lo, 0, v36, vcc_lo
	v_add_co_u32 v37, vcc_lo, v37, 4
	v_add_co_ci_u32_e32 v38, vcc_lo, 0, v38, vcc_lo
	s_add_u32 s4, s14, -1
	s_addc_u32 s5, s15, -1
	s_mov_b64 s[6:7], 0
	s_mov_b32 s27, 0
                                        ; implicit-def: $sgpr34
	s_set_inst_prefetch_distance 0x1
	s_branch .LBB503_162
	.p2align	6
.LBB503_160:                            ;   in Loop: Header=BB503_162 Depth=1
	global_load_b32 v39, v[37:38], off
	global_load_b32 v40, v[35:36], off
	v_add_co_u32 v35, vcc_lo, v35, 4
	v_add_co_ci_u32_e32 v36, vcc_lo, 0, v36, vcc_lo
	v_add_co_u32 v37, s0, v37, 4
	s_delay_alu instid0(VALU_DEP_1)
	v_add_co_ci_u32_e64 v38, s0, 0, v38, s0
	s_add_u32 s6, s6, 1
	s_addc_u32 s7, s7, 0
	s_and_not1_b32 s0, s34, exec_lo
	s_waitcnt vmcnt(0)
	v_cmp_ne_u32_e32 vcc_lo, v39, v40
	s_and_b32 s34, vcc_lo, exec_lo
	s_delay_alu instid0(SALU_CYCLE_1)
	s_or_b32 s34, s0, s34
.LBB503_161:                            ;   in Loop: Header=BB503_162 Depth=1
	v_dual_mov_b32 v40, s7 :: v_dual_mov_b32 v39, s6
	s_and_b32 s0, exec_lo, s34
	s_delay_alu instid0(SALU_CYCLE_1) | instskip(NEXT) | instid1(SALU_CYCLE_1)
	s_or_b32 s27, s0, s27
	s_and_not1_b32 exec_lo, exec_lo, s27
	s_cbranch_execz .LBB503_164
.LBB503_162:                            ; =>This Inner Loop Header: Depth=1
	s_or_b32 s34, s34, exec_lo
	s_cmp_eq_u64 s[4:5], s[6:7]
	s_cbranch_scc0 .LBB503_160
; %bb.163:                              ;   in Loop: Header=BB503_162 Depth=1
	s_mov_b64 s[6:7], s[14:15]
                                        ; implicit-def: $vgpr35_vgpr36
                                        ; implicit-def: $vgpr37_vgpr38
	s_branch .LBB503_161
.LBB503_164:
	s_set_inst_prefetch_distance 0x2
	s_or_b32 exec_lo, exec_lo, s27
	v_cmp_gt_i64_e32 vcc_lo, s[14:15], v[39:40]
	s_or_not1_b32 s0, vcc_lo, exec_lo
.LBB503_165:
	s_or_b32 exec_lo, exec_lo, s25
.LBB503_166:
	s_delay_alu instid0(SALU_CYCLE_1)
	s_and_b32 s25, s0, exec_lo
.LBB503_167:
	s_or_b32 exec_lo, exec_lo, s26
	v_or_b32_e32 v35, 3, v55
	s_mov_b32 s27, 0
	s_mov_b32 s26, 0
	s_mov_b32 s34, exec_lo
	s_delay_alu instid0(VALU_DEP_1)
	v_cmpx_gt_u32_e64 s31, v35
	s_cbranch_execz .LBB503_178
; %bb.168:
	v_cmp_ne_u32_e32 vcc_lo, 1, v43
	s_mov_b32 s0, 0
	s_cbranch_vccnz .LBB503_177
; %bb.169:
	v_mul_lo_u32 v39, v26, s14
	v_mul_lo_u32 v40, v25, s15
	v_mad_u64_u32 v[35:36], null, v25, s14, 0
	v_mul_lo_u32 v41, v28, s14
	v_mul_lo_u32 v42, v27, s15
	s_waitcnt lgkmcnt(0)
	v_mad_u64_u32 v[37:38], null, v27, s14, 0
	s_mov_b32 s0, -1
	s_mov_b32 s26, exec_lo
	s_delay_alu instid0(VALU_DEP_4) | instskip(NEXT) | instid1(VALU_DEP_2)
	v_add3_u32 v36, v36, v40, v39
	v_add3_u32 v38, v38, v42, v41
	s_delay_alu instid0(VALU_DEP_2) | instskip(NEXT) | instid1(VALU_DEP_2)
	v_lshlrev_b64 v[35:36], 2, v[35:36]
	v_lshlrev_b64 v[39:40], 2, v[37:38]
	s_delay_alu instid0(VALU_DEP_2) | instskip(NEXT) | instid1(VALU_DEP_3)
	v_add_co_u32 v37, vcc_lo, s20, v35
	v_add_co_ci_u32_e32 v38, vcc_lo, s21, v36, vcc_lo
	s_delay_alu instid0(VALU_DEP_3) | instskip(NEXT) | instid1(VALU_DEP_4)
	v_add_co_u32 v35, vcc_lo, s20, v39
	v_add_co_ci_u32_e32 v36, vcc_lo, s21, v40, vcc_lo
	s_clause 0x1
	global_load_b32 v39, v[37:38], off
	global_load_b32 v40, v[35:36], off
	s_waitcnt vmcnt(0)
	v_cmpx_eq_u32_e64 v39, v40
	s_cbranch_execz .LBB503_176
; %bb.170:
	v_add_co_u32 v35, vcc_lo, v35, 4
	v_add_co_ci_u32_e32 v36, vcc_lo, 0, v36, vcc_lo
	v_add_co_u32 v37, vcc_lo, v37, 4
	v_add_co_ci_u32_e32 v38, vcc_lo, 0, v38, vcc_lo
	s_add_u32 s4, s14, -1
	s_addc_u32 s5, s15, -1
	s_mov_b64 s[6:7], 0
	s_mov_b32 s35, 0
                                        ; implicit-def: $sgpr36
	s_set_inst_prefetch_distance 0x1
	s_branch .LBB503_173
	.p2align	6
.LBB503_171:                            ;   in Loop: Header=BB503_173 Depth=1
	global_load_b32 v39, v[37:38], off
	global_load_b32 v40, v[35:36], off
	v_add_co_u32 v35, vcc_lo, v35, 4
	v_add_co_ci_u32_e32 v36, vcc_lo, 0, v36, vcc_lo
	v_add_co_u32 v37, s0, v37, 4
	s_delay_alu instid0(VALU_DEP_1)
	v_add_co_ci_u32_e64 v38, s0, 0, v38, s0
	s_add_u32 s6, s6, 1
	s_addc_u32 s7, s7, 0
	s_and_not1_b32 s0, s36, exec_lo
	s_waitcnt vmcnt(0)
	v_cmp_ne_u32_e32 vcc_lo, v39, v40
	s_and_b32 s36, vcc_lo, exec_lo
	s_delay_alu instid0(SALU_CYCLE_1)
	s_or_b32 s36, s0, s36
.LBB503_172:                            ;   in Loop: Header=BB503_173 Depth=1
	v_dual_mov_b32 v40, s7 :: v_dual_mov_b32 v39, s6
	s_and_b32 s0, exec_lo, s36
	s_delay_alu instid0(SALU_CYCLE_1) | instskip(NEXT) | instid1(SALU_CYCLE_1)
	s_or_b32 s35, s0, s35
	s_and_not1_b32 exec_lo, exec_lo, s35
	s_cbranch_execz .LBB503_175
.LBB503_173:                            ; =>This Inner Loop Header: Depth=1
	s_or_b32 s36, s36, exec_lo
	s_cmp_eq_u64 s[4:5], s[6:7]
	s_cbranch_scc0 .LBB503_171
; %bb.174:                              ;   in Loop: Header=BB503_173 Depth=1
	s_mov_b64 s[6:7], s[14:15]
                                        ; implicit-def: $vgpr35_vgpr36
                                        ; implicit-def: $vgpr37_vgpr38
	s_branch .LBB503_172
.LBB503_175:
	s_set_inst_prefetch_distance 0x2
	s_or_b32 exec_lo, exec_lo, s35
	v_cmp_gt_i64_e32 vcc_lo, s[14:15], v[39:40]
	s_or_not1_b32 s0, vcc_lo, exec_lo
.LBB503_176:
	s_or_b32 exec_lo, exec_lo, s26
.LBB503_177:
	s_delay_alu instid0(SALU_CYCLE_1)
	s_and_b32 s26, s0, exec_lo
.LBB503_178:
	s_or_b32 exec_lo, exec_lo, s34
	v_or_b32_e32 v35, 2, v55
	s_mov_b32 s34, exec_lo
	s_delay_alu instid0(VALU_DEP_1)
	v_cmpx_gt_u32_e64 s31, v35
	s_cbranch_execz .LBB503_189
; %bb.179:
	v_cmp_ne_u32_e32 vcc_lo, 1, v43
	s_mov_b32 s0, 0
	s_cbranch_vccnz .LBB503_188
; %bb.180:
	v_mul_lo_u32 v39, v32, s14
	v_mul_lo_u32 v40, v31, s15
	v_mad_u64_u32 v[35:36], null, v31, s14, 0
	v_mul_lo_u32 v41, v26, s14
	v_mul_lo_u32 v42, v25, s15
	s_waitcnt lgkmcnt(0)
	v_mad_u64_u32 v[37:38], null, v25, s14, 0
	s_mov_b32 s0, -1
	s_mov_b32 s27, exec_lo
	s_delay_alu instid0(VALU_DEP_4) | instskip(NEXT) | instid1(VALU_DEP_2)
	v_add3_u32 v36, v36, v40, v39
	v_add3_u32 v38, v38, v42, v41
	s_delay_alu instid0(VALU_DEP_2) | instskip(NEXT) | instid1(VALU_DEP_2)
	v_lshlrev_b64 v[35:36], 2, v[35:36]
	v_lshlrev_b64 v[39:40], 2, v[37:38]
	s_delay_alu instid0(VALU_DEP_2) | instskip(NEXT) | instid1(VALU_DEP_3)
	v_add_co_u32 v37, vcc_lo, s20, v35
	v_add_co_ci_u32_e32 v38, vcc_lo, s21, v36, vcc_lo
	s_delay_alu instid0(VALU_DEP_3) | instskip(NEXT) | instid1(VALU_DEP_4)
	v_add_co_u32 v35, vcc_lo, s20, v39
	v_add_co_ci_u32_e32 v36, vcc_lo, s21, v40, vcc_lo
	s_clause 0x1
	global_load_b32 v39, v[37:38], off
	global_load_b32 v40, v[35:36], off
	s_waitcnt vmcnt(0)
	v_cmpx_eq_u32_e64 v39, v40
	s_cbranch_execz .LBB503_187
; %bb.181:
	v_add_co_u32 v35, vcc_lo, v35, 4
	v_add_co_ci_u32_e32 v36, vcc_lo, 0, v36, vcc_lo
	v_add_co_u32 v37, vcc_lo, v37, 4
	v_add_co_ci_u32_e32 v38, vcc_lo, 0, v38, vcc_lo
	s_add_u32 s4, s14, -1
	s_addc_u32 s5, s15, -1
	s_mov_b64 s[6:7], 0
	s_mov_b32 s35, 0
                                        ; implicit-def: $sgpr36
	s_set_inst_prefetch_distance 0x1
	s_branch .LBB503_184
	.p2align	6
.LBB503_182:                            ;   in Loop: Header=BB503_184 Depth=1
	global_load_b32 v39, v[37:38], off
	global_load_b32 v40, v[35:36], off
	v_add_co_u32 v35, vcc_lo, v35, 4
	v_add_co_ci_u32_e32 v36, vcc_lo, 0, v36, vcc_lo
	v_add_co_u32 v37, s0, v37, 4
	s_delay_alu instid0(VALU_DEP_1)
	v_add_co_ci_u32_e64 v38, s0, 0, v38, s0
	s_add_u32 s6, s6, 1
	s_addc_u32 s7, s7, 0
	s_and_not1_b32 s0, s36, exec_lo
	s_waitcnt vmcnt(0)
	v_cmp_ne_u32_e32 vcc_lo, v39, v40
	s_and_b32 s36, vcc_lo, exec_lo
	s_delay_alu instid0(SALU_CYCLE_1)
	s_or_b32 s36, s0, s36
.LBB503_183:                            ;   in Loop: Header=BB503_184 Depth=1
	v_dual_mov_b32 v40, s7 :: v_dual_mov_b32 v39, s6
	s_and_b32 s0, exec_lo, s36
	s_delay_alu instid0(SALU_CYCLE_1) | instskip(NEXT) | instid1(SALU_CYCLE_1)
	s_or_b32 s35, s0, s35
	s_and_not1_b32 exec_lo, exec_lo, s35
	s_cbranch_execz .LBB503_186
.LBB503_184:                            ; =>This Inner Loop Header: Depth=1
	s_or_b32 s36, s36, exec_lo
	s_cmp_eq_u64 s[4:5], s[6:7]
	s_cbranch_scc0 .LBB503_182
; %bb.185:                              ;   in Loop: Header=BB503_184 Depth=1
	s_mov_b64 s[6:7], s[14:15]
                                        ; implicit-def: $vgpr35_vgpr36
                                        ; implicit-def: $vgpr37_vgpr38
	s_branch .LBB503_183
.LBB503_186:
	s_set_inst_prefetch_distance 0x2
	s_or_b32 exec_lo, exec_lo, s35
	v_cmp_gt_i64_e32 vcc_lo, s[14:15], v[39:40]
	s_or_not1_b32 s0, vcc_lo, exec_lo
.LBB503_187:
	s_or_b32 exec_lo, exec_lo, s27
.LBB503_188:
	s_delay_alu instid0(SALU_CYCLE_1)
	s_and_b32 s27, s0, exec_lo
.LBB503_189:
	s_or_b32 exec_lo, exec_lo, s34
	v_or_b32_e32 v35, 1, v55
	s_mov_b32 s0, 0
	s_mov_b32 s34, exec_lo
	s_delay_alu instid0(VALU_DEP_1)
	v_cmpx_gt_u32_e64 s31, v35
	s_cbranch_execz .LBB503_200
; %bb.190:
	v_cmp_ne_u32_e32 vcc_lo, 1, v43
	s_cbranch_vccnz .LBB503_199
; %bb.191:
	v_mul_lo_u32 v39, v30, s14
	v_mul_lo_u32 v40, v29, s15
	v_mad_u64_u32 v[35:36], null, v29, s14, 0
	v_mul_lo_u32 v41, v32, s14
	v_mul_lo_u32 v42, v31, s15
	s_waitcnt lgkmcnt(0)
	v_mad_u64_u32 v[37:38], null, v31, s14, 0
	s_mov_b32 s0, -1
	s_mov_b32 s35, exec_lo
	s_delay_alu instid0(VALU_DEP_4) | instskip(NEXT) | instid1(VALU_DEP_2)
	v_add3_u32 v36, v36, v40, v39
	v_add3_u32 v38, v38, v42, v41
	s_delay_alu instid0(VALU_DEP_2) | instskip(NEXT) | instid1(VALU_DEP_2)
	v_lshlrev_b64 v[35:36], 2, v[35:36]
	v_lshlrev_b64 v[39:40], 2, v[37:38]
	s_delay_alu instid0(VALU_DEP_2) | instskip(NEXT) | instid1(VALU_DEP_3)
	v_add_co_u32 v37, vcc_lo, s20, v35
	v_add_co_ci_u32_e32 v38, vcc_lo, s21, v36, vcc_lo
	s_delay_alu instid0(VALU_DEP_3) | instskip(NEXT) | instid1(VALU_DEP_4)
	v_add_co_u32 v35, vcc_lo, s20, v39
	v_add_co_ci_u32_e32 v36, vcc_lo, s21, v40, vcc_lo
	s_clause 0x1
	global_load_b32 v39, v[37:38], off
	global_load_b32 v40, v[35:36], off
	s_waitcnt vmcnt(0)
	v_cmpx_eq_u32_e64 v39, v40
	s_cbranch_execz .LBB503_198
; %bb.192:
	v_add_co_u32 v35, vcc_lo, v35, 4
	v_add_co_ci_u32_e32 v36, vcc_lo, 0, v36, vcc_lo
	v_add_co_u32 v37, vcc_lo, v37, 4
	v_add_co_ci_u32_e32 v38, vcc_lo, 0, v38, vcc_lo
	s_add_u32 s4, s14, -1
	s_addc_u32 s5, s15, -1
	s_mov_b64 s[6:7], 0
	s_mov_b32 s36, 0
                                        ; implicit-def: $sgpr37
	s_set_inst_prefetch_distance 0x1
	s_branch .LBB503_195
	.p2align	6
.LBB503_193:                            ;   in Loop: Header=BB503_195 Depth=1
	global_load_b32 v39, v[37:38], off
	global_load_b32 v40, v[35:36], off
	v_add_co_u32 v35, vcc_lo, v35, 4
	v_add_co_ci_u32_e32 v36, vcc_lo, 0, v36, vcc_lo
	v_add_co_u32 v37, s0, v37, 4
	s_delay_alu instid0(VALU_DEP_1)
	v_add_co_ci_u32_e64 v38, s0, 0, v38, s0
	s_add_u32 s6, s6, 1
	s_addc_u32 s7, s7, 0
	s_and_not1_b32 s0, s37, exec_lo
	s_waitcnt vmcnt(0)
	v_cmp_ne_u32_e32 vcc_lo, v39, v40
	s_and_b32 s37, vcc_lo, exec_lo
	s_delay_alu instid0(SALU_CYCLE_1)
	s_or_b32 s37, s0, s37
.LBB503_194:                            ;   in Loop: Header=BB503_195 Depth=1
	v_dual_mov_b32 v40, s7 :: v_dual_mov_b32 v39, s6
	s_and_b32 s0, exec_lo, s37
	s_delay_alu instid0(SALU_CYCLE_1) | instskip(NEXT) | instid1(SALU_CYCLE_1)
	s_or_b32 s36, s0, s36
	s_and_not1_b32 exec_lo, exec_lo, s36
	s_cbranch_execz .LBB503_197
.LBB503_195:                            ; =>This Inner Loop Header: Depth=1
	s_or_b32 s37, s37, exec_lo
	s_cmp_eq_u64 s[4:5], s[6:7]
	s_cbranch_scc0 .LBB503_193
; %bb.196:                              ;   in Loop: Header=BB503_195 Depth=1
	s_mov_b64 s[6:7], s[14:15]
                                        ; implicit-def: $vgpr35_vgpr36
                                        ; implicit-def: $vgpr37_vgpr38
	s_branch .LBB503_194
.LBB503_197:
	s_set_inst_prefetch_distance 0x2
	s_or_b32 exec_lo, exec_lo, s36
	v_cmp_gt_i64_e32 vcc_lo, s[14:15], v[39:40]
	s_or_not1_b32 s0, vcc_lo, exec_lo
.LBB503_198:
	s_or_b32 exec_lo, exec_lo, s35
.LBB503_199:
	s_delay_alu instid0(SALU_CYCLE_1)
	s_and_b32 s0, s0, exec_lo
.LBB503_200:
	s_or_b32 exec_lo, exec_lo, s34
	s_waitcnt vmcnt(0) lgkmcnt(0)
	s_barrier
	buffer_gl0_inv
	s_and_saveexec_b32 s4, s3
	s_cbranch_execz .LBB503_202
; %bb.201:
	v_add_nc_u32_e32 v33, -8, v55
	ds_load_b64 v[33:34], v33
.LBB503_202:
	s_or_b32 exec_lo, exec_lo, s4
	v_cndmask_b32_e64 v36, 0, 1, s26
	v_cndmask_b32_e64 v38, 0, 1, s13
	;; [unrolled: 1-line block ×7, first 2 shown]
	v_lshlrev_b16 v36, 8, v36
	v_lshlrev_b16 v38, 8, v38
	;; [unrolled: 1-line block ×3, first 2 shown]
	s_mov_b32 s0, 0
	v_lshlrev_b16 v41, 8, v41
	v_or_b32_e32 v35, v35, v36
	v_or_b32_e32 v36, v37, v38
	;; [unrolled: 1-line block ×3, first 2 shown]
	s_mov_b32 s1, exec_lo
	v_and_b32_e32 v39, 0xffff, v41
	v_lshlrev_b32_e32 v40, 16, v35
	v_and_b32_e32 v41, 0xffff, v36
	v_lshlrev_b32_e32 v42, 16, v37
	v_cmpx_gt_u32_e64 s31, v55
	s_cbranch_execz .LBB503_213
; %bb.203:
	v_cmp_ne_u32_e32 vcc_lo, 1, v43
	s_cbranch_vccnz .LBB503_212
; %bb.204:
	s_waitcnt lgkmcnt(0)
	v_mul_lo_u32 v38, v34, s14
	v_mul_lo_u32 v43, v33, s15
	v_mad_u64_u32 v[34:35], null, v33, s14, 0
	v_mul_lo_u32 v33, v30, s14
	v_mul_lo_u32 v44, v29, s15
	v_mad_u64_u32 v[36:37], null, v29, s14, 0
	s_mov_b32 s0, -1
	s_mov_b32 s13, exec_lo
	s_delay_alu instid0(VALU_DEP_4) | instskip(NEXT) | instid1(VALU_DEP_2)
	v_add3_u32 v35, v35, v43, v38
	v_add3_u32 v37, v37, v44, v33
	s_delay_alu instid0(VALU_DEP_2) | instskip(NEXT) | instid1(VALU_DEP_2)
	v_lshlrev_b64 v[33:34], 2, v[34:35]
	v_lshlrev_b64 v[37:38], 2, v[36:37]
	s_delay_alu instid0(VALU_DEP_2) | instskip(NEXT) | instid1(VALU_DEP_3)
	v_add_co_u32 v35, vcc_lo, s20, v33
	v_add_co_ci_u32_e32 v36, vcc_lo, s21, v34, vcc_lo
	s_delay_alu instid0(VALU_DEP_3) | instskip(NEXT) | instid1(VALU_DEP_4)
	v_add_co_u32 v33, vcc_lo, s20, v37
	v_add_co_ci_u32_e32 v34, vcc_lo, s21, v38, vcc_lo
	s_clause 0x1
	global_load_b32 v37, v[35:36], off
	global_load_b32 v38, v[33:34], off
	s_waitcnt vmcnt(0)
	v_cmpx_eq_u32_e64 v37, v38
	s_cbranch_execz .LBB503_211
; %bb.205:
	v_add_co_u32 v33, vcc_lo, v33, 4
	v_add_co_ci_u32_e32 v34, vcc_lo, 0, v34, vcc_lo
	v_add_co_u32 v35, vcc_lo, v35, 4
	v_add_co_ci_u32_e32 v36, vcc_lo, 0, v36, vcc_lo
	s_add_u32 s4, s14, -1
	s_addc_u32 s5, s15, -1
	s_mov_b64 s[6:7], 0
	s_mov_b32 s24, 0
                                        ; implicit-def: $sgpr25
	s_set_inst_prefetch_distance 0x1
	s_branch .LBB503_208
	.p2align	6
.LBB503_206:                            ;   in Loop: Header=BB503_208 Depth=1
	global_load_b32 v37, v[35:36], off
	global_load_b32 v38, v[33:34], off
	v_add_co_u32 v33, vcc_lo, v33, 4
	v_add_co_ci_u32_e32 v34, vcc_lo, 0, v34, vcc_lo
	v_add_co_u32 v35, s0, v35, 4
	s_delay_alu instid0(VALU_DEP_1)
	v_add_co_ci_u32_e64 v36, s0, 0, v36, s0
	s_add_u32 s6, s6, 1
	s_addc_u32 s7, s7, 0
	s_and_not1_b32 s0, s25, exec_lo
	s_waitcnt vmcnt(0)
	v_cmp_ne_u32_e32 vcc_lo, v37, v38
	s_and_b32 s25, vcc_lo, exec_lo
	s_delay_alu instid0(SALU_CYCLE_1)
	s_or_b32 s25, s0, s25
.LBB503_207:                            ;   in Loop: Header=BB503_208 Depth=1
	v_dual_mov_b32 v38, s7 :: v_dual_mov_b32 v37, s6
	s_and_b32 s0, exec_lo, s25
	s_delay_alu instid0(SALU_CYCLE_1) | instskip(NEXT) | instid1(SALU_CYCLE_1)
	s_or_b32 s24, s0, s24
	s_and_not1_b32 exec_lo, exec_lo, s24
	s_cbranch_execz .LBB503_210
.LBB503_208:                            ; =>This Inner Loop Header: Depth=1
	s_or_b32 s25, s25, exec_lo
	s_cmp_eq_u64 s[4:5], s[6:7]
	s_cbranch_scc0 .LBB503_206
; %bb.209:                              ;   in Loop: Header=BB503_208 Depth=1
	s_mov_b64 s[6:7], s[14:15]
                                        ; implicit-def: $vgpr33_vgpr34
                                        ; implicit-def: $vgpr35_vgpr36
	s_branch .LBB503_207
.LBB503_210:
	s_set_inst_prefetch_distance 0x2
	s_or_b32 exec_lo, exec_lo, s24
	v_cmp_gt_i64_e32 vcc_lo, s[14:15], v[37:38]
	s_or_not1_b32 s0, vcc_lo, exec_lo
.LBB503_211:
	s_or_b32 exec_lo, exec_lo, s13
.LBB503_212:
	s_delay_alu instid0(SALU_CYCLE_1)
	s_and_b32 s0, s0, exec_lo
.LBB503_213:
	s_or_b32 exec_lo, exec_lo, s1
	v_or_b32_e32 v35, v39, v40
	v_or_b32_e32 v36, v41, v42
.LBB503_214:
	s_mov_b32 s1, -1
	s_cbranch_execnz .LBB503_383
.LBB503_215:
	v_cmp_gt_i64_e64 s13, s[14:15], 0
	s_and_b32 vcc_lo, exec_lo, s29
	ds_store_b64 v55, v[19:20]
	s_cbranch_vccz .LBB503_223
; %bb.216:
	v_mul_lo_u32 v35, v18, s14
	v_mul_lo_u32 v36, v17, s15
	s_waitcnt vmcnt(0) lgkmcnt(1)
	v_mad_u64_u32 v[33:34], null, v17, s14, 0
	s_mov_b32 s24, 0
	s_and_not1_b32 vcc_lo, exec_lo, s13
	s_mov_b32 s25, 0
	s_delay_alu instid0(VALU_DEP_1) | instskip(NEXT) | instid1(VALU_DEP_1)
	v_add3_u32 v34, v34, v36, v35
	v_lshlrev_b64 v[33:34], 2, v[33:34]
	s_cbranch_vccnz .LBB503_226
; %bb.217:
	v_mul_lo_u32 v37, v20, s14
	v_mul_lo_u32 v38, v19, s15
	v_mad_u64_u32 v[35:36], null, v19, s14, 0
	s_mov_b32 s25, -1
	s_mov_b32 s26, exec_lo
	s_delay_alu instid0(VALU_DEP_1) | instskip(SKIP_2) | instid1(VALU_DEP_3)
	v_add3_u32 v36, v36, v38, v37
	v_add_co_u32 v37, vcc_lo, s20, v33
	v_add_co_ci_u32_e32 v38, vcc_lo, s21, v34, vcc_lo
	v_lshlrev_b64 v[35:36], 2, v[35:36]
	s_delay_alu instid0(VALU_DEP_1) | instskip(NEXT) | instid1(VALU_DEP_2)
	v_add_co_u32 v35, vcc_lo, s20, v35
	v_add_co_ci_u32_e32 v36, vcc_lo, s21, v36, vcc_lo
	s_clause 0x1
	global_load_b32 v39, v[37:38], off
	global_load_b32 v40, v[35:36], off
	s_waitcnt vmcnt(0)
	v_cmpx_eq_u32_e64 v39, v40
	s_cbranch_execz .LBB503_225
; %bb.218:
	v_add_co_u32 v35, vcc_lo, v35, 4
	v_add_co_ci_u32_e32 v36, vcc_lo, 0, v36, vcc_lo
	v_add_co_u32 v37, vcc_lo, v37, 4
	v_add_co_ci_u32_e32 v38, vcc_lo, 0, v38, vcc_lo
	s_add_u32 s4, s14, -1
	s_addc_u32 s5, s15, -1
	s_mov_b64 s[6:7], 0
	s_mov_b32 s25, 0
                                        ; implicit-def: $sgpr27
	s_set_inst_prefetch_distance 0x1
	s_branch .LBB503_221
	.p2align	6
.LBB503_219:                            ;   in Loop: Header=BB503_221 Depth=1
	global_load_b32 v39, v[37:38], off
	global_load_b32 v40, v[35:36], off
	v_add_co_u32 v35, vcc_lo, v35, 4
	v_add_co_ci_u32_e32 v36, vcc_lo, 0, v36, vcc_lo
	v_add_co_u32 v37, s0, v37, 4
	s_delay_alu instid0(VALU_DEP_1)
	v_add_co_ci_u32_e64 v38, s0, 0, v38, s0
	s_add_u32 s6, s6, 1
	s_addc_u32 s7, s7, 0
	s_and_not1_b32 s0, s27, exec_lo
	s_waitcnt vmcnt(0)
	v_cmp_ne_u32_e32 vcc_lo, v39, v40
	s_and_b32 s27, vcc_lo, exec_lo
	s_delay_alu instid0(SALU_CYCLE_1)
	s_or_b32 s27, s0, s27
.LBB503_220:                            ;   in Loop: Header=BB503_221 Depth=1
	v_dual_mov_b32 v40, s7 :: v_dual_mov_b32 v39, s6
	s_and_b32 s0, exec_lo, s27
	s_delay_alu instid0(SALU_CYCLE_1) | instskip(NEXT) | instid1(SALU_CYCLE_1)
	s_or_b32 s25, s0, s25
	s_and_not1_b32 exec_lo, exec_lo, s25
	s_cbranch_execz .LBB503_224
.LBB503_221:                            ; =>This Inner Loop Header: Depth=1
	s_or_b32 s27, s27, exec_lo
	s_cmp_eq_u64 s[4:5], s[6:7]
	s_cbranch_scc0 .LBB503_219
; %bb.222:                              ;   in Loop: Header=BB503_221 Depth=1
	s_mov_b64 s[6:7], s[14:15]
                                        ; implicit-def: $vgpr35_vgpr36
                                        ; implicit-def: $vgpr37_vgpr38
	s_branch .LBB503_220
.LBB503_223:
                                        ; implicit-def: $sgpr0
                                        ; implicit-def: $vgpr36
	s_cbranch_execnz .LBB503_292
	s_branch .LBB503_383
.LBB503_224:
	s_set_inst_prefetch_distance 0x2
	s_or_b32 exec_lo, exec_lo, s25
	v_cmp_gt_i64_e32 vcc_lo, s[14:15], v[39:40]
	s_or_not1_b32 s25, vcc_lo, exec_lo
.LBB503_225:
	s_or_b32 exec_lo, exec_lo, s26
.LBB503_226:
	v_mul_lo_u32 v37, v24, s14
	v_mul_lo_u32 v38, v23, s15
	v_mad_u64_u32 v[35:36], null, v23, s14, 0
	s_and_not1_b32 vcc_lo, exec_lo, s13
	s_delay_alu instid0(VALU_DEP_1) | instskip(NEXT) | instid1(VALU_DEP_1)
	v_add3_u32 v36, v36, v38, v37
	v_lshlrev_b64 v[35:36], 2, v[35:36]
	s_cbranch_vccnz .LBB503_235
; %bb.227:
	s_delay_alu instid0(VALU_DEP_1) | instskip(NEXT) | instid1(VALU_DEP_2)
	v_add_co_u32 v37, vcc_lo, s20, v35
	v_add_co_ci_u32_e32 v38, vcc_lo, s21, v36, vcc_lo
	v_add_co_u32 v33, vcc_lo, s20, v33
	v_add_co_ci_u32_e32 v34, vcc_lo, s21, v34, vcc_lo
	s_mov_b32 s24, -1
	s_clause 0x1
	global_load_b32 v39, v[37:38], off
	global_load_b32 v40, v[33:34], off
	s_mov_b32 s26, exec_lo
	s_waitcnt vmcnt(0)
	v_cmpx_eq_u32_e64 v39, v40
	s_cbranch_execz .LBB503_234
; %bb.228:
	v_add_co_u32 v33, vcc_lo, v33, 4
	v_add_co_ci_u32_e32 v34, vcc_lo, 0, v34, vcc_lo
	v_add_co_u32 v37, vcc_lo, v37, 4
	v_add_co_ci_u32_e32 v38, vcc_lo, 0, v38, vcc_lo
	s_add_u32 s4, s14, -1
	s_addc_u32 s5, s15, -1
	s_mov_b64 s[6:7], 0
	s_mov_b32 s24, 0
                                        ; implicit-def: $sgpr27
	s_set_inst_prefetch_distance 0x1
	s_branch .LBB503_231
	.p2align	6
.LBB503_229:                            ;   in Loop: Header=BB503_231 Depth=1
	global_load_b32 v39, v[37:38], off
	global_load_b32 v40, v[33:34], off
	v_add_co_u32 v33, vcc_lo, v33, 4
	v_add_co_ci_u32_e32 v34, vcc_lo, 0, v34, vcc_lo
	v_add_co_u32 v37, s0, v37, 4
	s_delay_alu instid0(VALU_DEP_1)
	v_add_co_ci_u32_e64 v38, s0, 0, v38, s0
	s_add_u32 s6, s6, 1
	s_addc_u32 s7, s7, 0
	s_and_not1_b32 s0, s27, exec_lo
	s_waitcnt vmcnt(0)
	v_cmp_ne_u32_e32 vcc_lo, v39, v40
	s_and_b32 s27, vcc_lo, exec_lo
	s_delay_alu instid0(SALU_CYCLE_1)
	s_or_b32 s27, s0, s27
.LBB503_230:                            ;   in Loop: Header=BB503_231 Depth=1
	v_dual_mov_b32 v40, s7 :: v_dual_mov_b32 v39, s6
	s_and_b32 s0, exec_lo, s27
	s_delay_alu instid0(SALU_CYCLE_1) | instskip(NEXT) | instid1(SALU_CYCLE_1)
	s_or_b32 s24, s0, s24
	s_and_not1_b32 exec_lo, exec_lo, s24
	s_cbranch_execz .LBB503_233
.LBB503_231:                            ; =>This Inner Loop Header: Depth=1
	s_or_b32 s27, s27, exec_lo
	s_cmp_eq_u64 s[4:5], s[6:7]
	s_cbranch_scc0 .LBB503_229
; %bb.232:                              ;   in Loop: Header=BB503_231 Depth=1
	s_mov_b64 s[6:7], s[14:15]
                                        ; implicit-def: $vgpr33_vgpr34
                                        ; implicit-def: $vgpr37_vgpr38
	s_branch .LBB503_230
.LBB503_233:
	s_set_inst_prefetch_distance 0x2
	s_or_b32 exec_lo, exec_lo, s24
	v_cmp_gt_i64_e32 vcc_lo, s[14:15], v[39:40]
	s_or_not1_b32 s24, vcc_lo, exec_lo
.LBB503_234:
	s_or_b32 exec_lo, exec_lo, s26
.LBB503_235:
	v_mul_lo_u32 v37, v22, s14
	v_mul_lo_u32 v38, v21, s15
	v_mad_u64_u32 v[33:34], null, v21, s14, 0
	s_mov_b32 s26, 0
	s_and_not1_b32 vcc_lo, exec_lo, s13
	s_mov_b32 s27, 0
	s_delay_alu instid0(VALU_DEP_1) | instskip(NEXT) | instid1(VALU_DEP_1)
	v_add3_u32 v34, v34, v38, v37
	v_lshlrev_b64 v[37:38], 2, v[33:34]
	s_cbranch_vccnz .LBB503_244
; %bb.236:
	s_delay_alu instid0(VALU_DEP_1) | instskip(NEXT) | instid1(VALU_DEP_2)
	v_add_co_u32 v39, vcc_lo, s20, v37
	v_add_co_ci_u32_e32 v40, vcc_lo, s21, v38, vcc_lo
	v_add_co_u32 v33, vcc_lo, s20, v35
	v_add_co_ci_u32_e32 v34, vcc_lo, s21, v36, vcc_lo
	s_mov_b32 s27, -1
	s_clause 0x1
	global_load_b32 v35, v[39:40], off
	global_load_b32 v36, v[33:34], off
	s_mov_b32 s34, exec_lo
	s_waitcnt vmcnt(0)
	v_cmpx_eq_u32_e64 v35, v36
	s_cbranch_execz .LBB503_243
; %bb.237:
	v_add_co_u32 v33, vcc_lo, v33, 4
	v_add_co_ci_u32_e32 v34, vcc_lo, 0, v34, vcc_lo
	v_add_co_u32 v35, vcc_lo, v39, 4
	v_add_co_ci_u32_e32 v36, vcc_lo, 0, v40, vcc_lo
	s_add_u32 s4, s14, -1
	s_addc_u32 s5, s15, -1
	s_mov_b64 s[6:7], 0
	s_mov_b32 s27, 0
                                        ; implicit-def: $sgpr35
	s_set_inst_prefetch_distance 0x1
	s_branch .LBB503_240
	.p2align	6
.LBB503_238:                            ;   in Loop: Header=BB503_240 Depth=1
	global_load_b32 v39, v[35:36], off
	global_load_b32 v40, v[33:34], off
	v_add_co_u32 v33, vcc_lo, v33, 4
	v_add_co_ci_u32_e32 v34, vcc_lo, 0, v34, vcc_lo
	v_add_co_u32 v35, s0, v35, 4
	s_delay_alu instid0(VALU_DEP_1)
	v_add_co_ci_u32_e64 v36, s0, 0, v36, s0
	s_add_u32 s6, s6, 1
	s_addc_u32 s7, s7, 0
	s_and_not1_b32 s0, s35, exec_lo
	s_waitcnt vmcnt(0)
	v_cmp_ne_u32_e32 vcc_lo, v39, v40
	s_and_b32 s35, vcc_lo, exec_lo
	s_delay_alu instid0(SALU_CYCLE_1)
	s_or_b32 s35, s0, s35
.LBB503_239:                            ;   in Loop: Header=BB503_240 Depth=1
	v_dual_mov_b32 v40, s7 :: v_dual_mov_b32 v39, s6
	s_and_b32 s0, exec_lo, s35
	s_delay_alu instid0(SALU_CYCLE_1) | instskip(NEXT) | instid1(SALU_CYCLE_1)
	s_or_b32 s27, s0, s27
	s_and_not1_b32 exec_lo, exec_lo, s27
	s_cbranch_execz .LBB503_242
.LBB503_240:                            ; =>This Inner Loop Header: Depth=1
	s_or_b32 s35, s35, exec_lo
	s_cmp_eq_u64 s[4:5], s[6:7]
	s_cbranch_scc0 .LBB503_238
; %bb.241:                              ;   in Loop: Header=BB503_240 Depth=1
	s_mov_b64 s[6:7], s[14:15]
                                        ; implicit-def: $vgpr33_vgpr34
                                        ; implicit-def: $vgpr35_vgpr36
	s_branch .LBB503_239
.LBB503_242:
	s_set_inst_prefetch_distance 0x2
	s_or_b32 exec_lo, exec_lo, s27
	v_cmp_gt_i64_e32 vcc_lo, s[14:15], v[39:40]
	s_or_not1_b32 s27, vcc_lo, exec_lo
.LBB503_243:
	s_or_b32 exec_lo, exec_lo, s34
.LBB503_244:
	v_mul_lo_u32 v35, v28, s14
	v_mul_lo_u32 v36, v27, s15
	v_mad_u64_u32 v[33:34], null, v27, s14, 0
	s_and_not1_b32 vcc_lo, exec_lo, s13
	s_delay_alu instid0(VALU_DEP_1) | instskip(NEXT) | instid1(VALU_DEP_1)
	v_add3_u32 v34, v34, v36, v35
	v_lshlrev_b64 v[33:34], 2, v[33:34]
	s_cbranch_vccnz .LBB503_253
; %bb.245:
	s_delay_alu instid0(VALU_DEP_1) | instskip(NEXT) | instid1(VALU_DEP_2)
	v_add_co_u32 v39, vcc_lo, s20, v33
	v_add_co_ci_u32_e32 v40, vcc_lo, s21, v34, vcc_lo
	v_add_co_u32 v35, vcc_lo, s20, v37
	v_add_co_ci_u32_e32 v36, vcc_lo, s21, v38, vcc_lo
	s_mov_b32 s26, -1
	s_clause 0x1
	global_load_b32 v37, v[39:40], off
	global_load_b32 v38, v[35:36], off
	s_mov_b32 s34, exec_lo
	s_waitcnt vmcnt(0)
	v_cmpx_eq_u32_e64 v37, v38
	s_cbranch_execz .LBB503_252
; %bb.246:
	v_add_co_u32 v35, vcc_lo, v35, 4
	v_add_co_ci_u32_e32 v36, vcc_lo, 0, v36, vcc_lo
	v_add_co_u32 v37, vcc_lo, v39, 4
	v_add_co_ci_u32_e32 v38, vcc_lo, 0, v40, vcc_lo
	s_add_u32 s4, s14, -1
	s_addc_u32 s5, s15, -1
	s_mov_b64 s[6:7], 0
	s_mov_b32 s26, 0
                                        ; implicit-def: $sgpr35
	s_set_inst_prefetch_distance 0x1
	s_branch .LBB503_249
	.p2align	6
.LBB503_247:                            ;   in Loop: Header=BB503_249 Depth=1
	global_load_b32 v39, v[37:38], off
	global_load_b32 v40, v[35:36], off
	v_add_co_u32 v35, vcc_lo, v35, 4
	v_add_co_ci_u32_e32 v36, vcc_lo, 0, v36, vcc_lo
	v_add_co_u32 v37, s0, v37, 4
	s_delay_alu instid0(VALU_DEP_1)
	v_add_co_ci_u32_e64 v38, s0, 0, v38, s0
	s_add_u32 s6, s6, 1
	s_addc_u32 s7, s7, 0
	s_and_not1_b32 s0, s35, exec_lo
	s_waitcnt vmcnt(0)
	v_cmp_ne_u32_e32 vcc_lo, v39, v40
	s_and_b32 s35, vcc_lo, exec_lo
	s_delay_alu instid0(SALU_CYCLE_1)
	s_or_b32 s35, s0, s35
.LBB503_248:                            ;   in Loop: Header=BB503_249 Depth=1
	v_dual_mov_b32 v40, s7 :: v_dual_mov_b32 v39, s6
	s_and_b32 s0, exec_lo, s35
	s_delay_alu instid0(SALU_CYCLE_1) | instskip(NEXT) | instid1(SALU_CYCLE_1)
	s_or_b32 s26, s0, s26
	s_and_not1_b32 exec_lo, exec_lo, s26
	s_cbranch_execz .LBB503_251
.LBB503_249:                            ; =>This Inner Loop Header: Depth=1
	s_or_b32 s35, s35, exec_lo
	s_cmp_eq_u64 s[4:5], s[6:7]
	s_cbranch_scc0 .LBB503_247
; %bb.250:                              ;   in Loop: Header=BB503_249 Depth=1
	s_mov_b64 s[6:7], s[14:15]
                                        ; implicit-def: $vgpr35_vgpr36
                                        ; implicit-def: $vgpr37_vgpr38
	s_branch .LBB503_248
.LBB503_251:
	s_set_inst_prefetch_distance 0x2
	s_or_b32 exec_lo, exec_lo, s26
	v_cmp_gt_i64_e32 vcc_lo, s[14:15], v[39:40]
	s_or_not1_b32 s26, vcc_lo, exec_lo
.LBB503_252:
	s_or_b32 exec_lo, exec_lo, s34
.LBB503_253:
	v_mul_lo_u32 v37, v26, s14
	v_mul_lo_u32 v38, v25, s15
	v_mad_u64_u32 v[35:36], null, v25, s14, 0
	s_mov_b32 s34, 0
	s_and_not1_b32 vcc_lo, exec_lo, s13
	s_mov_b32 s35, 0
	s_delay_alu instid0(VALU_DEP_1) | instskip(NEXT) | instid1(VALU_DEP_1)
	v_add3_u32 v36, v36, v38, v37
	v_lshlrev_b64 v[37:38], 2, v[35:36]
	s_cbranch_vccnz .LBB503_262
; %bb.254:
	s_delay_alu instid0(VALU_DEP_1) | instskip(NEXT) | instid1(VALU_DEP_2)
	v_add_co_u32 v35, vcc_lo, s20, v37
	v_add_co_ci_u32_e32 v36, vcc_lo, s21, v38, vcc_lo
	v_add_co_u32 v33, vcc_lo, s20, v33
	v_add_co_ci_u32_e32 v34, vcc_lo, s21, v34, vcc_lo
	s_mov_b32 s35, -1
	s_clause 0x1
	global_load_b32 v39, v[35:36], off
	global_load_b32 v40, v[33:34], off
	s_mov_b32 s36, exec_lo
	s_waitcnt vmcnt(0)
	v_cmpx_eq_u32_e64 v39, v40
	s_cbranch_execz .LBB503_261
; %bb.255:
	v_add_co_u32 v33, vcc_lo, v33, 4
	v_add_co_ci_u32_e32 v34, vcc_lo, 0, v34, vcc_lo
	v_add_co_u32 v35, vcc_lo, v35, 4
	v_add_co_ci_u32_e32 v36, vcc_lo, 0, v36, vcc_lo
	s_add_u32 s4, s14, -1
	s_addc_u32 s5, s15, -1
	s_mov_b64 s[6:7], 0
	s_mov_b32 s35, 0
                                        ; implicit-def: $sgpr37
	s_set_inst_prefetch_distance 0x1
	s_branch .LBB503_258
	.p2align	6
.LBB503_256:                            ;   in Loop: Header=BB503_258 Depth=1
	global_load_b32 v39, v[35:36], off
	global_load_b32 v40, v[33:34], off
	v_add_co_u32 v33, vcc_lo, v33, 4
	v_add_co_ci_u32_e32 v34, vcc_lo, 0, v34, vcc_lo
	v_add_co_u32 v35, s0, v35, 4
	s_delay_alu instid0(VALU_DEP_1)
	v_add_co_ci_u32_e64 v36, s0, 0, v36, s0
	s_add_u32 s6, s6, 1
	s_addc_u32 s7, s7, 0
	s_and_not1_b32 s0, s37, exec_lo
	s_waitcnt vmcnt(0)
	v_cmp_ne_u32_e32 vcc_lo, v39, v40
	s_and_b32 s37, vcc_lo, exec_lo
	s_delay_alu instid0(SALU_CYCLE_1)
	s_or_b32 s37, s0, s37
.LBB503_257:                            ;   in Loop: Header=BB503_258 Depth=1
	v_dual_mov_b32 v40, s7 :: v_dual_mov_b32 v39, s6
	s_and_b32 s0, exec_lo, s37
	s_delay_alu instid0(SALU_CYCLE_1) | instskip(NEXT) | instid1(SALU_CYCLE_1)
	s_or_b32 s35, s0, s35
	s_and_not1_b32 exec_lo, exec_lo, s35
	s_cbranch_execz .LBB503_260
.LBB503_258:                            ; =>This Inner Loop Header: Depth=1
	s_or_b32 s37, s37, exec_lo
	s_cmp_eq_u64 s[4:5], s[6:7]
	s_cbranch_scc0 .LBB503_256
; %bb.259:                              ;   in Loop: Header=BB503_258 Depth=1
	s_mov_b64 s[6:7], s[14:15]
                                        ; implicit-def: $vgpr33_vgpr34
                                        ; implicit-def: $vgpr35_vgpr36
	s_branch .LBB503_257
.LBB503_260:
	s_set_inst_prefetch_distance 0x2
	s_or_b32 exec_lo, exec_lo, s35
	v_cmp_gt_i64_e32 vcc_lo, s[14:15], v[39:40]
	s_or_not1_b32 s35, vcc_lo, exec_lo
.LBB503_261:
	s_or_b32 exec_lo, exec_lo, s36
.LBB503_262:
	v_mul_lo_u32 v35, v32, s14
	v_mul_lo_u32 v36, v31, s15
	v_mad_u64_u32 v[33:34], null, v31, s14, 0
	s_and_not1_b32 vcc_lo, exec_lo, s13
	s_delay_alu instid0(VALU_DEP_1) | instskip(NEXT) | instid1(VALU_DEP_1)
	v_add3_u32 v34, v34, v36, v35
	v_lshlrev_b64 v[35:36], 2, v[33:34]
	s_cbranch_vccnz .LBB503_271
; %bb.263:
	s_delay_alu instid0(VALU_DEP_1) | instskip(NEXT) | instid1(VALU_DEP_2)
	v_add_co_u32 v39, vcc_lo, s20, v35
	v_add_co_ci_u32_e32 v40, vcc_lo, s21, v36, vcc_lo
	v_add_co_u32 v33, vcc_lo, s20, v37
	v_add_co_ci_u32_e32 v34, vcc_lo, s21, v38, vcc_lo
	s_mov_b32 s34, -1
	s_clause 0x1
	global_load_b32 v37, v[39:40], off
	global_load_b32 v38, v[33:34], off
	s_mov_b32 s36, exec_lo
	s_waitcnt vmcnt(0)
	v_cmpx_eq_u32_e64 v37, v38
	s_cbranch_execz .LBB503_270
; %bb.264:
	v_add_co_u32 v33, vcc_lo, v33, 4
	v_add_co_ci_u32_e32 v34, vcc_lo, 0, v34, vcc_lo
	v_add_co_u32 v37, vcc_lo, v39, 4
	v_add_co_ci_u32_e32 v38, vcc_lo, 0, v40, vcc_lo
	s_add_u32 s4, s14, -1
	s_addc_u32 s5, s15, -1
	s_mov_b64 s[6:7], 0
	s_mov_b32 s34, 0
                                        ; implicit-def: $sgpr37
	s_set_inst_prefetch_distance 0x1
	s_branch .LBB503_267
	.p2align	6
.LBB503_265:                            ;   in Loop: Header=BB503_267 Depth=1
	global_load_b32 v39, v[37:38], off
	global_load_b32 v40, v[33:34], off
	v_add_co_u32 v33, vcc_lo, v33, 4
	v_add_co_ci_u32_e32 v34, vcc_lo, 0, v34, vcc_lo
	v_add_co_u32 v37, s0, v37, 4
	s_delay_alu instid0(VALU_DEP_1)
	v_add_co_ci_u32_e64 v38, s0, 0, v38, s0
	s_add_u32 s6, s6, 1
	s_addc_u32 s7, s7, 0
	s_and_not1_b32 s0, s37, exec_lo
	s_waitcnt vmcnt(0)
	v_cmp_ne_u32_e32 vcc_lo, v39, v40
	s_and_b32 s37, vcc_lo, exec_lo
	s_delay_alu instid0(SALU_CYCLE_1)
	s_or_b32 s37, s0, s37
.LBB503_266:                            ;   in Loop: Header=BB503_267 Depth=1
	v_dual_mov_b32 v40, s7 :: v_dual_mov_b32 v39, s6
	s_and_b32 s0, exec_lo, s37
	s_delay_alu instid0(SALU_CYCLE_1) | instskip(NEXT) | instid1(SALU_CYCLE_1)
	s_or_b32 s34, s0, s34
	s_and_not1_b32 exec_lo, exec_lo, s34
	s_cbranch_execz .LBB503_269
.LBB503_267:                            ; =>This Inner Loop Header: Depth=1
	s_or_b32 s37, s37, exec_lo
	s_cmp_eq_u64 s[4:5], s[6:7]
	s_cbranch_scc0 .LBB503_265
; %bb.268:                              ;   in Loop: Header=BB503_267 Depth=1
	s_mov_b64 s[6:7], s[14:15]
                                        ; implicit-def: $vgpr33_vgpr34
                                        ; implicit-def: $vgpr37_vgpr38
	s_branch .LBB503_266
.LBB503_269:
	s_set_inst_prefetch_distance 0x2
	s_or_b32 exec_lo, exec_lo, s34
	v_cmp_gt_i64_e32 vcc_lo, s[14:15], v[39:40]
	s_or_not1_b32 s34, vcc_lo, exec_lo
.LBB503_270:
	s_or_b32 exec_lo, exec_lo, s36
.LBB503_271:
	v_mul_lo_u32 v37, v30, s14
	v_mul_lo_u32 v38, v29, s15
	v_mad_u64_u32 v[33:34], null, v29, s14, 0
	s_and_not1_b32 vcc_lo, exec_lo, s13
	s_mov_b32 s0, 0
	s_delay_alu instid0(VALU_DEP_1)
	v_add3_u32 v34, v34, v38, v37
	s_cbranch_vccnz .LBB503_280
; %bb.272:
	s_delay_alu instid0(VALU_DEP_1) | instskip(SKIP_2) | instid1(VALU_DEP_1)
	v_lshlrev_b64 v[37:38], 2, v[33:34]
	s_mov_b32 s0, -1
	s_mov_b32 s36, exec_lo
	v_add_co_u32 v37, vcc_lo, s20, v37
	s_delay_alu instid0(VALU_DEP_2)
	v_add_co_ci_u32_e32 v38, vcc_lo, s21, v38, vcc_lo
	v_add_co_u32 v35, vcc_lo, s20, v35
	v_add_co_ci_u32_e32 v36, vcc_lo, s21, v36, vcc_lo
	s_clause 0x1
	global_load_b32 v39, v[37:38], off
	global_load_b32 v40, v[35:36], off
	s_waitcnt vmcnt(0)
	v_cmpx_eq_u32_e64 v39, v40
	s_cbranch_execz .LBB503_279
; %bb.273:
	v_add_co_u32 v35, vcc_lo, v35, 4
	v_add_co_ci_u32_e32 v36, vcc_lo, 0, v36, vcc_lo
	v_add_co_u32 v37, vcc_lo, v37, 4
	v_add_co_ci_u32_e32 v38, vcc_lo, 0, v38, vcc_lo
	s_add_u32 s4, s14, -1
	s_addc_u32 s5, s15, -1
	s_mov_b64 s[6:7], 0
	s_mov_b32 s37, 0
                                        ; implicit-def: $sgpr38
	s_set_inst_prefetch_distance 0x1
	s_branch .LBB503_276
	.p2align	6
.LBB503_274:                            ;   in Loop: Header=BB503_276 Depth=1
	global_load_b32 v39, v[37:38], off
	global_load_b32 v40, v[35:36], off
	v_add_co_u32 v35, vcc_lo, v35, 4
	v_add_co_ci_u32_e32 v36, vcc_lo, 0, v36, vcc_lo
	v_add_co_u32 v37, s0, v37, 4
	s_delay_alu instid0(VALU_DEP_1)
	v_add_co_ci_u32_e64 v38, s0, 0, v38, s0
	s_add_u32 s6, s6, 1
	s_addc_u32 s7, s7, 0
	s_and_not1_b32 s0, s38, exec_lo
	s_waitcnt vmcnt(0)
	v_cmp_ne_u32_e32 vcc_lo, v39, v40
	s_and_b32 s38, vcc_lo, exec_lo
	s_delay_alu instid0(SALU_CYCLE_1)
	s_or_b32 s38, s0, s38
.LBB503_275:                            ;   in Loop: Header=BB503_276 Depth=1
	v_dual_mov_b32 v40, s7 :: v_dual_mov_b32 v39, s6
	s_and_b32 s0, exec_lo, s38
	s_delay_alu instid0(SALU_CYCLE_1) | instskip(NEXT) | instid1(SALU_CYCLE_1)
	s_or_b32 s37, s0, s37
	s_and_not1_b32 exec_lo, exec_lo, s37
	s_cbranch_execz .LBB503_278
.LBB503_276:                            ; =>This Inner Loop Header: Depth=1
	s_or_b32 s38, s38, exec_lo
	s_cmp_eq_u64 s[4:5], s[6:7]
	s_cbranch_scc0 .LBB503_274
; %bb.277:                              ;   in Loop: Header=BB503_276 Depth=1
	s_mov_b64 s[6:7], s[14:15]
                                        ; implicit-def: $vgpr35_vgpr36
                                        ; implicit-def: $vgpr37_vgpr38
	s_branch .LBB503_275
.LBB503_278:
	s_set_inst_prefetch_distance 0x2
	s_or_b32 exec_lo, exec_lo, s37
	v_cmp_gt_i64_e32 vcc_lo, s[14:15], v[39:40]
	s_or_not1_b32 s0, vcc_lo, exec_lo
.LBB503_279:
	s_or_b32 exec_lo, exec_lo, s36
.LBB503_280:
	v_cndmask_b32_e64 v36, 0, 1, s35
	v_cndmask_b32_e64 v37, 0, 1, s27
	;; [unrolled: 1-line block ×7, first 2 shown]
	v_lshlrev_b16 v37, 8, v37
	v_lshlrev_b16 v38, 8, v38
	;; [unrolled: 1-line block ×4, first 2 shown]
	s_waitcnt lgkmcnt(0)
	v_or_b32_e32 v37, v40, v37
	v_or_b32_e32 v38, v41, v38
	;; [unrolled: 1-line block ×4, first 2 shown]
	s_barrier
	v_and_b32_e32 v36, 0xffff, v37
	v_lshlrev_b32_e32 v37, 16, v38
	v_and_b32_e32 v38, 0xffff, v39
	v_lshlrev_b32_e32 v35, 16, v35
	buffer_gl0_inv
                                        ; implicit-def: $sgpr0
	v_or_b32_e32 v36, v36, v37
	v_or_b32_e32 v35, v38, v35
	s_and_saveexec_b32 s4, s3
	s_delay_alu instid0(SALU_CYCLE_1)
	s_xor_b32 s24, exec_lo, s4
	s_cbranch_execz .LBB503_291
; %bb.281:
	s_and_not1_b32 vcc_lo, exec_lo, s13
	s_mov_b32 s0, 0
	s_cbranch_vccnz .LBB503_290
; %bb.282:
	v_add_nc_u32_e32 v37, -8, v55
	v_lshlrev_b64 v[33:34], 2, v[33:34]
	s_mov_b32 s0, -1
	s_mov_b32 s25, exec_lo
	ds_load_b64 v[37:38], v37
	s_waitcnt lgkmcnt(0)
	v_mul_lo_u32 v40, v38, s14
	v_mul_lo_u32 v41, v37, s15
	v_mad_u64_u32 v[38:39], null, v37, s14, 0
	s_delay_alu instid0(VALU_DEP_1) | instskip(NEXT) | instid1(VALU_DEP_1)
	v_add3_u32 v39, v39, v41, v40
	v_lshlrev_b64 v[37:38], 2, v[38:39]
	s_delay_alu instid0(VALU_DEP_1) | instskip(NEXT) | instid1(VALU_DEP_2)
	v_add_co_u32 v37, vcc_lo, s20, v37
	v_add_co_ci_u32_e32 v38, vcc_lo, s21, v38, vcc_lo
	v_add_co_u32 v33, vcc_lo, s20, v33
	v_add_co_ci_u32_e32 v34, vcc_lo, s21, v34, vcc_lo
	s_clause 0x1
	global_load_b32 v39, v[37:38], off
	global_load_b32 v40, v[33:34], off
	s_waitcnt vmcnt(0)
	v_cmpx_eq_u32_e64 v39, v40
	s_cbranch_execz .LBB503_289
; %bb.283:
	v_add_co_u32 v33, vcc_lo, v33, 4
	v_add_co_ci_u32_e32 v34, vcc_lo, 0, v34, vcc_lo
	v_add_co_u32 v37, vcc_lo, v37, 4
	v_add_co_ci_u32_e32 v38, vcc_lo, 0, v38, vcc_lo
	s_add_u32 s4, s14, -1
	s_addc_u32 s5, s15, -1
	s_mov_b64 s[6:7], 0
	s_mov_b32 s26, 0
                                        ; implicit-def: $sgpr27
	s_set_inst_prefetch_distance 0x1
	s_branch .LBB503_286
	.p2align	6
.LBB503_284:                            ;   in Loop: Header=BB503_286 Depth=1
	global_load_b32 v39, v[37:38], off
	global_load_b32 v40, v[33:34], off
	v_add_co_u32 v33, vcc_lo, v33, 4
	v_add_co_ci_u32_e32 v34, vcc_lo, 0, v34, vcc_lo
	v_add_co_u32 v37, s0, v37, 4
	s_delay_alu instid0(VALU_DEP_1)
	v_add_co_ci_u32_e64 v38, s0, 0, v38, s0
	s_add_u32 s6, s6, 1
	s_addc_u32 s7, s7, 0
	s_and_not1_b32 s0, s27, exec_lo
	s_waitcnt vmcnt(0)
	v_cmp_ne_u32_e32 vcc_lo, v39, v40
	s_and_b32 s27, vcc_lo, exec_lo
	s_delay_alu instid0(SALU_CYCLE_1)
	s_or_b32 s27, s0, s27
.LBB503_285:                            ;   in Loop: Header=BB503_286 Depth=1
	v_dual_mov_b32 v40, s7 :: v_dual_mov_b32 v39, s6
	s_and_b32 s0, exec_lo, s27
	s_delay_alu instid0(SALU_CYCLE_1) | instskip(NEXT) | instid1(SALU_CYCLE_1)
	s_or_b32 s26, s0, s26
	s_and_not1_b32 exec_lo, exec_lo, s26
	s_cbranch_execz .LBB503_288
.LBB503_286:                            ; =>This Inner Loop Header: Depth=1
	s_or_b32 s27, s27, exec_lo
	s_cmp_eq_u64 s[4:5], s[6:7]
	s_cbranch_scc0 .LBB503_284
; %bb.287:                              ;   in Loop: Header=BB503_286 Depth=1
	s_mov_b64 s[6:7], s[14:15]
                                        ; implicit-def: $vgpr33_vgpr34
                                        ; implicit-def: $vgpr37_vgpr38
	s_branch .LBB503_285
.LBB503_288:
	s_set_inst_prefetch_distance 0x2
	s_or_b32 exec_lo, exec_lo, s26
	v_cmp_gt_i64_e32 vcc_lo, s[14:15], v[39:40]
	s_or_not1_b32 s0, vcc_lo, exec_lo
.LBB503_289:
	s_or_b32 exec_lo, exec_lo, s25
.LBB503_290:
	s_delay_alu instid0(SALU_CYCLE_1)
	s_and_b32 s0, s0, exec_lo
	s_or_b32 s1, s1, exec_lo
.LBB503_291:
	s_or_b32 exec_lo, exec_lo, s24
	s_branch .LBB503_383
.LBB503_292:
	s_waitcnt vmcnt(0) lgkmcnt(1)
	v_or_b32_e32 v33, 7, v55
	s_mov_b32 s24, 0
	s_mov_b32 s25, 0
	s_mov_b32 s26, exec_lo
	s_delay_alu instid0(VALU_DEP_1)
	v_cmpx_gt_u32_e64 s31, v33
	s_cbranch_execz .LBB503_303
; %bb.293:
	s_and_not1_b32 vcc_lo, exec_lo, s13
	s_mov_b32 s0, 0
	s_cbranch_vccnz .LBB503_302
; %bb.294:
	v_mul_lo_u32 v37, v18, s14
	v_mul_lo_u32 v38, v17, s15
	v_mad_u64_u32 v[33:34], null, v17, s14, 0
	v_mul_lo_u32 v39, v20, s14
	v_mul_lo_u32 v40, v19, s15
	v_mad_u64_u32 v[35:36], null, v19, s14, 0
	s_mov_b32 s0, -1
	s_mov_b32 s25, exec_lo
	s_delay_alu instid0(VALU_DEP_4) | instskip(NEXT) | instid1(VALU_DEP_2)
	v_add3_u32 v34, v34, v38, v37
	v_add3_u32 v36, v36, v40, v39
	s_delay_alu instid0(VALU_DEP_2) | instskip(NEXT) | instid1(VALU_DEP_2)
	v_lshlrev_b64 v[33:34], 2, v[33:34]
	v_lshlrev_b64 v[37:38], 2, v[35:36]
	s_delay_alu instid0(VALU_DEP_2) | instskip(NEXT) | instid1(VALU_DEP_3)
	v_add_co_u32 v35, vcc_lo, s20, v33
	v_add_co_ci_u32_e32 v36, vcc_lo, s21, v34, vcc_lo
	s_delay_alu instid0(VALU_DEP_3) | instskip(NEXT) | instid1(VALU_DEP_4)
	v_add_co_u32 v33, vcc_lo, s20, v37
	v_add_co_ci_u32_e32 v34, vcc_lo, s21, v38, vcc_lo
	s_clause 0x1
	global_load_b32 v37, v[35:36], off
	global_load_b32 v38, v[33:34], off
	s_waitcnt vmcnt(0)
	v_cmpx_eq_u32_e64 v37, v38
	s_cbranch_execz .LBB503_301
; %bb.295:
	v_add_co_u32 v33, vcc_lo, v33, 4
	v_add_co_ci_u32_e32 v34, vcc_lo, 0, v34, vcc_lo
	v_add_co_u32 v35, vcc_lo, v35, 4
	v_add_co_ci_u32_e32 v36, vcc_lo, 0, v36, vcc_lo
	s_add_u32 s4, s14, -1
	s_addc_u32 s5, s15, -1
	s_mov_b64 s[6:7], 0
	s_mov_b32 s27, 0
                                        ; implicit-def: $sgpr34
	s_set_inst_prefetch_distance 0x1
	s_branch .LBB503_298
	.p2align	6
.LBB503_296:                            ;   in Loop: Header=BB503_298 Depth=1
	global_load_b32 v37, v[35:36], off
	global_load_b32 v38, v[33:34], off
	v_add_co_u32 v33, vcc_lo, v33, 4
	v_add_co_ci_u32_e32 v34, vcc_lo, 0, v34, vcc_lo
	v_add_co_u32 v35, s0, v35, 4
	s_delay_alu instid0(VALU_DEP_1)
	v_add_co_ci_u32_e64 v36, s0, 0, v36, s0
	s_add_u32 s6, s6, 1
	s_addc_u32 s7, s7, 0
	s_and_not1_b32 s0, s34, exec_lo
	s_waitcnt vmcnt(0)
	v_cmp_ne_u32_e32 vcc_lo, v37, v38
	s_and_b32 s34, vcc_lo, exec_lo
	s_delay_alu instid0(SALU_CYCLE_1)
	s_or_b32 s34, s0, s34
.LBB503_297:                            ;   in Loop: Header=BB503_298 Depth=1
	v_dual_mov_b32 v38, s7 :: v_dual_mov_b32 v37, s6
	s_and_b32 s0, exec_lo, s34
	s_delay_alu instid0(SALU_CYCLE_1) | instskip(NEXT) | instid1(SALU_CYCLE_1)
	s_or_b32 s27, s0, s27
	s_and_not1_b32 exec_lo, exec_lo, s27
	s_cbranch_execz .LBB503_300
.LBB503_298:                            ; =>This Inner Loop Header: Depth=1
	s_or_b32 s34, s34, exec_lo
	s_cmp_eq_u64 s[4:5], s[6:7]
	s_cbranch_scc0 .LBB503_296
; %bb.299:                              ;   in Loop: Header=BB503_298 Depth=1
	s_mov_b64 s[6:7], s[14:15]
                                        ; implicit-def: $vgpr33_vgpr34
                                        ; implicit-def: $vgpr35_vgpr36
	s_branch .LBB503_297
.LBB503_300:
	s_set_inst_prefetch_distance 0x2
	s_or_b32 exec_lo, exec_lo, s27
	v_cmp_gt_i64_e32 vcc_lo, s[14:15], v[37:38]
	s_or_not1_b32 s0, vcc_lo, exec_lo
.LBB503_301:
	s_or_b32 exec_lo, exec_lo, s25
.LBB503_302:
	s_delay_alu instid0(SALU_CYCLE_1)
	s_and_b32 s25, s0, exec_lo
.LBB503_303:
	s_or_b32 exec_lo, exec_lo, s26
	v_or_b32_e32 v33, 6, v55
	s_mov_b32 s26, exec_lo
	s_delay_alu instid0(VALU_DEP_1)
	v_cmpx_gt_u32_e64 s31, v33
	s_cbranch_execz .LBB503_314
; %bb.304:
	s_and_not1_b32 vcc_lo, exec_lo, s13
	s_mov_b32 s0, 0
	s_cbranch_vccnz .LBB503_313
; %bb.305:
	v_mul_lo_u32 v37, v24, s14
	v_mul_lo_u32 v38, v23, s15
	v_mad_u64_u32 v[33:34], null, v23, s14, 0
	v_mul_lo_u32 v39, v18, s14
	v_mul_lo_u32 v40, v17, s15
	v_mad_u64_u32 v[35:36], null, v17, s14, 0
	s_mov_b32 s0, -1
	s_mov_b32 s24, exec_lo
	s_delay_alu instid0(VALU_DEP_4) | instskip(NEXT) | instid1(VALU_DEP_2)
	v_add3_u32 v34, v34, v38, v37
	v_add3_u32 v36, v36, v40, v39
	s_delay_alu instid0(VALU_DEP_2) | instskip(NEXT) | instid1(VALU_DEP_2)
	v_lshlrev_b64 v[33:34], 2, v[33:34]
	v_lshlrev_b64 v[37:38], 2, v[35:36]
	s_delay_alu instid0(VALU_DEP_2) | instskip(NEXT) | instid1(VALU_DEP_3)
	v_add_co_u32 v35, vcc_lo, s20, v33
	v_add_co_ci_u32_e32 v36, vcc_lo, s21, v34, vcc_lo
	s_delay_alu instid0(VALU_DEP_3) | instskip(NEXT) | instid1(VALU_DEP_4)
	v_add_co_u32 v33, vcc_lo, s20, v37
	v_add_co_ci_u32_e32 v34, vcc_lo, s21, v38, vcc_lo
	s_clause 0x1
	global_load_b32 v37, v[35:36], off
	global_load_b32 v38, v[33:34], off
	s_waitcnt vmcnt(0)
	v_cmpx_eq_u32_e64 v37, v38
	s_cbranch_execz .LBB503_312
; %bb.306:
	v_add_co_u32 v33, vcc_lo, v33, 4
	v_add_co_ci_u32_e32 v34, vcc_lo, 0, v34, vcc_lo
	v_add_co_u32 v35, vcc_lo, v35, 4
	v_add_co_ci_u32_e32 v36, vcc_lo, 0, v36, vcc_lo
	s_add_u32 s4, s14, -1
	s_addc_u32 s5, s15, -1
	s_mov_b64 s[6:7], 0
	s_mov_b32 s27, 0
                                        ; implicit-def: $sgpr34
	s_set_inst_prefetch_distance 0x1
	s_branch .LBB503_309
	.p2align	6
.LBB503_307:                            ;   in Loop: Header=BB503_309 Depth=1
	global_load_b32 v37, v[35:36], off
	global_load_b32 v38, v[33:34], off
	v_add_co_u32 v33, vcc_lo, v33, 4
	v_add_co_ci_u32_e32 v34, vcc_lo, 0, v34, vcc_lo
	v_add_co_u32 v35, s0, v35, 4
	s_delay_alu instid0(VALU_DEP_1)
	v_add_co_ci_u32_e64 v36, s0, 0, v36, s0
	s_add_u32 s6, s6, 1
	s_addc_u32 s7, s7, 0
	s_and_not1_b32 s0, s34, exec_lo
	s_waitcnt vmcnt(0)
	v_cmp_ne_u32_e32 vcc_lo, v37, v38
	s_and_b32 s34, vcc_lo, exec_lo
	s_delay_alu instid0(SALU_CYCLE_1)
	s_or_b32 s34, s0, s34
.LBB503_308:                            ;   in Loop: Header=BB503_309 Depth=1
	v_dual_mov_b32 v38, s7 :: v_dual_mov_b32 v37, s6
	s_and_b32 s0, exec_lo, s34
	s_delay_alu instid0(SALU_CYCLE_1) | instskip(NEXT) | instid1(SALU_CYCLE_1)
	s_or_b32 s27, s0, s27
	s_and_not1_b32 exec_lo, exec_lo, s27
	s_cbranch_execz .LBB503_311
.LBB503_309:                            ; =>This Inner Loop Header: Depth=1
	s_or_b32 s34, s34, exec_lo
	s_cmp_eq_u64 s[4:5], s[6:7]
	s_cbranch_scc0 .LBB503_307
; %bb.310:                              ;   in Loop: Header=BB503_309 Depth=1
	s_mov_b64 s[6:7], s[14:15]
                                        ; implicit-def: $vgpr33_vgpr34
                                        ; implicit-def: $vgpr35_vgpr36
	s_branch .LBB503_308
.LBB503_311:
	s_set_inst_prefetch_distance 0x2
	s_or_b32 exec_lo, exec_lo, s27
	v_cmp_gt_i64_e32 vcc_lo, s[14:15], v[37:38]
	s_or_not1_b32 s0, vcc_lo, exec_lo
.LBB503_312:
	s_or_b32 exec_lo, exec_lo, s24
.LBB503_313:
	s_delay_alu instid0(SALU_CYCLE_1)
	s_and_b32 s24, s0, exec_lo
.LBB503_314:
	s_or_b32 exec_lo, exec_lo, s26
	v_or_b32_e32 v33, 5, v55
	s_mov_b32 s26, 0
	s_mov_b32 s27, 0
	s_mov_b32 s34, exec_lo
	s_delay_alu instid0(VALU_DEP_1)
	v_cmpx_gt_u32_e64 s31, v33
	s_cbranch_execz .LBB503_325
; %bb.315:
	s_and_not1_b32 vcc_lo, exec_lo, s13
	s_mov_b32 s0, 0
	s_cbranch_vccnz .LBB503_324
; %bb.316:
	v_mul_lo_u32 v37, v22, s14
	v_mul_lo_u32 v38, v21, s15
	v_mad_u64_u32 v[33:34], null, v21, s14, 0
	v_mul_lo_u32 v39, v24, s14
	v_mul_lo_u32 v40, v23, s15
	v_mad_u64_u32 v[35:36], null, v23, s14, 0
	s_mov_b32 s0, -1
	s_mov_b32 s27, exec_lo
	s_delay_alu instid0(VALU_DEP_4) | instskip(NEXT) | instid1(VALU_DEP_2)
	v_add3_u32 v34, v34, v38, v37
	v_add3_u32 v36, v36, v40, v39
	s_delay_alu instid0(VALU_DEP_2) | instskip(NEXT) | instid1(VALU_DEP_2)
	v_lshlrev_b64 v[33:34], 2, v[33:34]
	v_lshlrev_b64 v[37:38], 2, v[35:36]
	s_delay_alu instid0(VALU_DEP_2) | instskip(NEXT) | instid1(VALU_DEP_3)
	v_add_co_u32 v35, vcc_lo, s20, v33
	v_add_co_ci_u32_e32 v36, vcc_lo, s21, v34, vcc_lo
	s_delay_alu instid0(VALU_DEP_3) | instskip(NEXT) | instid1(VALU_DEP_4)
	v_add_co_u32 v33, vcc_lo, s20, v37
	v_add_co_ci_u32_e32 v34, vcc_lo, s21, v38, vcc_lo
	s_clause 0x1
	global_load_b32 v37, v[35:36], off
	global_load_b32 v38, v[33:34], off
	s_waitcnt vmcnt(0)
	v_cmpx_eq_u32_e64 v37, v38
	s_cbranch_execz .LBB503_323
; %bb.317:
	v_add_co_u32 v33, vcc_lo, v33, 4
	v_add_co_ci_u32_e32 v34, vcc_lo, 0, v34, vcc_lo
	v_add_co_u32 v35, vcc_lo, v35, 4
	v_add_co_ci_u32_e32 v36, vcc_lo, 0, v36, vcc_lo
	s_add_u32 s4, s14, -1
	s_addc_u32 s5, s15, -1
	s_mov_b64 s[6:7], 0
	s_mov_b32 s35, 0
                                        ; implicit-def: $sgpr36
	s_set_inst_prefetch_distance 0x1
	s_branch .LBB503_320
	.p2align	6
.LBB503_318:                            ;   in Loop: Header=BB503_320 Depth=1
	global_load_b32 v37, v[35:36], off
	global_load_b32 v38, v[33:34], off
	v_add_co_u32 v33, vcc_lo, v33, 4
	v_add_co_ci_u32_e32 v34, vcc_lo, 0, v34, vcc_lo
	v_add_co_u32 v35, s0, v35, 4
	s_delay_alu instid0(VALU_DEP_1)
	v_add_co_ci_u32_e64 v36, s0, 0, v36, s0
	s_add_u32 s6, s6, 1
	s_addc_u32 s7, s7, 0
	s_and_not1_b32 s0, s36, exec_lo
	s_waitcnt vmcnt(0)
	v_cmp_ne_u32_e32 vcc_lo, v37, v38
	s_and_b32 s36, vcc_lo, exec_lo
	s_delay_alu instid0(SALU_CYCLE_1)
	s_or_b32 s36, s0, s36
.LBB503_319:                            ;   in Loop: Header=BB503_320 Depth=1
	v_dual_mov_b32 v38, s7 :: v_dual_mov_b32 v37, s6
	s_and_b32 s0, exec_lo, s36
	s_delay_alu instid0(SALU_CYCLE_1) | instskip(NEXT) | instid1(SALU_CYCLE_1)
	s_or_b32 s35, s0, s35
	s_and_not1_b32 exec_lo, exec_lo, s35
	s_cbranch_execz .LBB503_322
.LBB503_320:                            ; =>This Inner Loop Header: Depth=1
	s_or_b32 s36, s36, exec_lo
	s_cmp_eq_u64 s[4:5], s[6:7]
	s_cbranch_scc0 .LBB503_318
; %bb.321:                              ;   in Loop: Header=BB503_320 Depth=1
	s_mov_b64 s[6:7], s[14:15]
                                        ; implicit-def: $vgpr33_vgpr34
                                        ; implicit-def: $vgpr35_vgpr36
	s_branch .LBB503_319
.LBB503_322:
	s_set_inst_prefetch_distance 0x2
	s_or_b32 exec_lo, exec_lo, s35
	v_cmp_gt_i64_e32 vcc_lo, s[14:15], v[37:38]
	s_or_not1_b32 s0, vcc_lo, exec_lo
.LBB503_323:
	s_or_b32 exec_lo, exec_lo, s27
.LBB503_324:
	s_delay_alu instid0(SALU_CYCLE_1)
	s_and_b32 s27, s0, exec_lo
.LBB503_325:
	s_or_b32 exec_lo, exec_lo, s34
	v_or_b32_e32 v33, 4, v55
	s_mov_b32 s34, exec_lo
	s_delay_alu instid0(VALU_DEP_1)
	v_cmpx_gt_u32_e64 s31, v33
	s_cbranch_execz .LBB503_336
; %bb.326:
	s_and_not1_b32 vcc_lo, exec_lo, s13
	s_mov_b32 s0, 0
	s_cbranch_vccnz .LBB503_335
; %bb.327:
	v_mul_lo_u32 v37, v28, s14
	v_mul_lo_u32 v38, v27, s15
	v_mad_u64_u32 v[33:34], null, v27, s14, 0
	v_mul_lo_u32 v39, v22, s14
	v_mul_lo_u32 v40, v21, s15
	v_mad_u64_u32 v[35:36], null, v21, s14, 0
	s_mov_b32 s0, -1
	s_mov_b32 s26, exec_lo
	s_delay_alu instid0(VALU_DEP_4) | instskip(NEXT) | instid1(VALU_DEP_2)
	v_add3_u32 v34, v34, v38, v37
	v_add3_u32 v36, v36, v40, v39
	s_delay_alu instid0(VALU_DEP_2) | instskip(NEXT) | instid1(VALU_DEP_2)
	v_lshlrev_b64 v[33:34], 2, v[33:34]
	v_lshlrev_b64 v[37:38], 2, v[35:36]
	s_delay_alu instid0(VALU_DEP_2) | instskip(NEXT) | instid1(VALU_DEP_3)
	v_add_co_u32 v35, vcc_lo, s20, v33
	v_add_co_ci_u32_e32 v36, vcc_lo, s21, v34, vcc_lo
	s_delay_alu instid0(VALU_DEP_3) | instskip(NEXT) | instid1(VALU_DEP_4)
	v_add_co_u32 v33, vcc_lo, s20, v37
	v_add_co_ci_u32_e32 v34, vcc_lo, s21, v38, vcc_lo
	s_clause 0x1
	global_load_b32 v37, v[35:36], off
	global_load_b32 v38, v[33:34], off
	s_waitcnt vmcnt(0)
	v_cmpx_eq_u32_e64 v37, v38
	s_cbranch_execz .LBB503_334
; %bb.328:
	v_add_co_u32 v33, vcc_lo, v33, 4
	v_add_co_ci_u32_e32 v34, vcc_lo, 0, v34, vcc_lo
	v_add_co_u32 v35, vcc_lo, v35, 4
	v_add_co_ci_u32_e32 v36, vcc_lo, 0, v36, vcc_lo
	s_add_u32 s4, s14, -1
	s_addc_u32 s5, s15, -1
	s_mov_b64 s[6:7], 0
	s_mov_b32 s35, 0
                                        ; implicit-def: $sgpr36
	s_set_inst_prefetch_distance 0x1
	s_branch .LBB503_331
	.p2align	6
.LBB503_329:                            ;   in Loop: Header=BB503_331 Depth=1
	global_load_b32 v37, v[35:36], off
	global_load_b32 v38, v[33:34], off
	v_add_co_u32 v33, vcc_lo, v33, 4
	v_add_co_ci_u32_e32 v34, vcc_lo, 0, v34, vcc_lo
	v_add_co_u32 v35, s0, v35, 4
	s_delay_alu instid0(VALU_DEP_1)
	v_add_co_ci_u32_e64 v36, s0, 0, v36, s0
	s_add_u32 s6, s6, 1
	s_addc_u32 s7, s7, 0
	s_and_not1_b32 s0, s36, exec_lo
	s_waitcnt vmcnt(0)
	v_cmp_ne_u32_e32 vcc_lo, v37, v38
	s_and_b32 s36, vcc_lo, exec_lo
	s_delay_alu instid0(SALU_CYCLE_1)
	s_or_b32 s36, s0, s36
.LBB503_330:                            ;   in Loop: Header=BB503_331 Depth=1
	v_dual_mov_b32 v38, s7 :: v_dual_mov_b32 v37, s6
	s_and_b32 s0, exec_lo, s36
	s_delay_alu instid0(SALU_CYCLE_1) | instskip(NEXT) | instid1(SALU_CYCLE_1)
	s_or_b32 s35, s0, s35
	s_and_not1_b32 exec_lo, exec_lo, s35
	s_cbranch_execz .LBB503_333
.LBB503_331:                            ; =>This Inner Loop Header: Depth=1
	s_or_b32 s36, s36, exec_lo
	s_cmp_eq_u64 s[4:5], s[6:7]
	s_cbranch_scc0 .LBB503_329
; %bb.332:                              ;   in Loop: Header=BB503_331 Depth=1
	s_mov_b64 s[6:7], s[14:15]
                                        ; implicit-def: $vgpr33_vgpr34
                                        ; implicit-def: $vgpr35_vgpr36
	s_branch .LBB503_330
.LBB503_333:
	s_set_inst_prefetch_distance 0x2
	s_or_b32 exec_lo, exec_lo, s35
	v_cmp_gt_i64_e32 vcc_lo, s[14:15], v[37:38]
	s_or_not1_b32 s0, vcc_lo, exec_lo
.LBB503_334:
	s_or_b32 exec_lo, exec_lo, s26
.LBB503_335:
	s_delay_alu instid0(SALU_CYCLE_1)
	s_and_b32 s26, s0, exec_lo
.LBB503_336:
	s_or_b32 exec_lo, exec_lo, s34
	v_or_b32_e32 v33, 3, v55
	s_mov_b32 s35, 0
	s_mov_b32 s34, 0
	s_mov_b32 s36, exec_lo
	s_delay_alu instid0(VALU_DEP_1)
	v_cmpx_gt_u32_e64 s31, v33
	s_cbranch_execz .LBB503_347
; %bb.337:
	s_and_not1_b32 vcc_lo, exec_lo, s13
	s_mov_b32 s0, 0
	s_cbranch_vccnz .LBB503_346
; %bb.338:
	v_mul_lo_u32 v37, v26, s14
	v_mul_lo_u32 v38, v25, s15
	v_mad_u64_u32 v[33:34], null, v25, s14, 0
	v_mul_lo_u32 v39, v28, s14
	v_mul_lo_u32 v40, v27, s15
	v_mad_u64_u32 v[35:36], null, v27, s14, 0
	s_mov_b32 s0, -1
	s_mov_b32 s34, exec_lo
	s_delay_alu instid0(VALU_DEP_4) | instskip(NEXT) | instid1(VALU_DEP_2)
	v_add3_u32 v34, v34, v38, v37
	v_add3_u32 v36, v36, v40, v39
	s_delay_alu instid0(VALU_DEP_2) | instskip(NEXT) | instid1(VALU_DEP_2)
	v_lshlrev_b64 v[33:34], 2, v[33:34]
	v_lshlrev_b64 v[37:38], 2, v[35:36]
	s_delay_alu instid0(VALU_DEP_2) | instskip(NEXT) | instid1(VALU_DEP_3)
	v_add_co_u32 v35, vcc_lo, s20, v33
	v_add_co_ci_u32_e32 v36, vcc_lo, s21, v34, vcc_lo
	s_delay_alu instid0(VALU_DEP_3) | instskip(NEXT) | instid1(VALU_DEP_4)
	v_add_co_u32 v33, vcc_lo, s20, v37
	v_add_co_ci_u32_e32 v34, vcc_lo, s21, v38, vcc_lo
	s_clause 0x1
	global_load_b32 v37, v[35:36], off
	global_load_b32 v38, v[33:34], off
	s_waitcnt vmcnt(0)
	v_cmpx_eq_u32_e64 v37, v38
	s_cbranch_execz .LBB503_345
; %bb.339:
	v_add_co_u32 v33, vcc_lo, v33, 4
	v_add_co_ci_u32_e32 v34, vcc_lo, 0, v34, vcc_lo
	v_add_co_u32 v35, vcc_lo, v35, 4
	v_add_co_ci_u32_e32 v36, vcc_lo, 0, v36, vcc_lo
	s_add_u32 s4, s14, -1
	s_addc_u32 s5, s15, -1
	s_mov_b64 s[6:7], 0
	s_mov_b32 s37, 0
                                        ; implicit-def: $sgpr38
	s_set_inst_prefetch_distance 0x1
	s_branch .LBB503_342
	.p2align	6
.LBB503_340:                            ;   in Loop: Header=BB503_342 Depth=1
	global_load_b32 v37, v[35:36], off
	global_load_b32 v38, v[33:34], off
	v_add_co_u32 v33, vcc_lo, v33, 4
	v_add_co_ci_u32_e32 v34, vcc_lo, 0, v34, vcc_lo
	v_add_co_u32 v35, s0, v35, 4
	s_delay_alu instid0(VALU_DEP_1)
	v_add_co_ci_u32_e64 v36, s0, 0, v36, s0
	s_add_u32 s6, s6, 1
	s_addc_u32 s7, s7, 0
	s_and_not1_b32 s0, s38, exec_lo
	s_waitcnt vmcnt(0)
	v_cmp_ne_u32_e32 vcc_lo, v37, v38
	s_and_b32 s38, vcc_lo, exec_lo
	s_delay_alu instid0(SALU_CYCLE_1)
	s_or_b32 s38, s0, s38
.LBB503_341:                            ;   in Loop: Header=BB503_342 Depth=1
	v_dual_mov_b32 v38, s7 :: v_dual_mov_b32 v37, s6
	s_and_b32 s0, exec_lo, s38
	s_delay_alu instid0(SALU_CYCLE_1) | instskip(NEXT) | instid1(SALU_CYCLE_1)
	s_or_b32 s37, s0, s37
	s_and_not1_b32 exec_lo, exec_lo, s37
	s_cbranch_execz .LBB503_344
.LBB503_342:                            ; =>This Inner Loop Header: Depth=1
	s_or_b32 s38, s38, exec_lo
	s_cmp_eq_u64 s[4:5], s[6:7]
	s_cbranch_scc0 .LBB503_340
; %bb.343:                              ;   in Loop: Header=BB503_342 Depth=1
	s_mov_b64 s[6:7], s[14:15]
                                        ; implicit-def: $vgpr33_vgpr34
                                        ; implicit-def: $vgpr35_vgpr36
	s_branch .LBB503_341
.LBB503_344:
	s_set_inst_prefetch_distance 0x2
	s_or_b32 exec_lo, exec_lo, s37
	v_cmp_gt_i64_e32 vcc_lo, s[14:15], v[37:38]
	s_or_not1_b32 s0, vcc_lo, exec_lo
.LBB503_345:
	s_or_b32 exec_lo, exec_lo, s34
.LBB503_346:
	s_delay_alu instid0(SALU_CYCLE_1)
	s_and_b32 s34, s0, exec_lo
.LBB503_347:
	s_or_b32 exec_lo, exec_lo, s36
	v_or_b32_e32 v33, 2, v55
	s_mov_b32 s36, exec_lo
	s_delay_alu instid0(VALU_DEP_1)
	v_cmpx_gt_u32_e64 s31, v33
	s_cbranch_execz .LBB503_358
; %bb.348:
	s_and_not1_b32 vcc_lo, exec_lo, s13
	s_mov_b32 s0, 0
	s_cbranch_vccnz .LBB503_357
; %bb.349:
	v_mul_lo_u32 v37, v32, s14
	v_mul_lo_u32 v38, v31, s15
	v_mad_u64_u32 v[33:34], null, v31, s14, 0
	v_mul_lo_u32 v39, v26, s14
	v_mul_lo_u32 v40, v25, s15
	v_mad_u64_u32 v[35:36], null, v25, s14, 0
	s_mov_b32 s0, -1
	s_mov_b32 s35, exec_lo
	s_delay_alu instid0(VALU_DEP_4) | instskip(NEXT) | instid1(VALU_DEP_2)
	v_add3_u32 v34, v34, v38, v37
	v_add3_u32 v36, v36, v40, v39
	s_delay_alu instid0(VALU_DEP_2) | instskip(NEXT) | instid1(VALU_DEP_2)
	v_lshlrev_b64 v[33:34], 2, v[33:34]
	v_lshlrev_b64 v[37:38], 2, v[35:36]
	s_delay_alu instid0(VALU_DEP_2) | instskip(NEXT) | instid1(VALU_DEP_3)
	v_add_co_u32 v35, vcc_lo, s20, v33
	v_add_co_ci_u32_e32 v36, vcc_lo, s21, v34, vcc_lo
	s_delay_alu instid0(VALU_DEP_3) | instskip(NEXT) | instid1(VALU_DEP_4)
	v_add_co_u32 v33, vcc_lo, s20, v37
	v_add_co_ci_u32_e32 v34, vcc_lo, s21, v38, vcc_lo
	s_clause 0x1
	global_load_b32 v37, v[35:36], off
	global_load_b32 v38, v[33:34], off
	s_waitcnt vmcnt(0)
	v_cmpx_eq_u32_e64 v37, v38
	s_cbranch_execz .LBB503_356
; %bb.350:
	v_add_co_u32 v33, vcc_lo, v33, 4
	v_add_co_ci_u32_e32 v34, vcc_lo, 0, v34, vcc_lo
	v_add_co_u32 v35, vcc_lo, v35, 4
	v_add_co_ci_u32_e32 v36, vcc_lo, 0, v36, vcc_lo
	s_add_u32 s4, s14, -1
	s_addc_u32 s5, s15, -1
	s_mov_b64 s[6:7], 0
	s_mov_b32 s37, 0
                                        ; implicit-def: $sgpr38
	s_set_inst_prefetch_distance 0x1
	s_branch .LBB503_353
	.p2align	6
.LBB503_351:                            ;   in Loop: Header=BB503_353 Depth=1
	global_load_b32 v37, v[35:36], off
	global_load_b32 v38, v[33:34], off
	v_add_co_u32 v33, vcc_lo, v33, 4
	v_add_co_ci_u32_e32 v34, vcc_lo, 0, v34, vcc_lo
	v_add_co_u32 v35, s0, v35, 4
	s_delay_alu instid0(VALU_DEP_1)
	v_add_co_ci_u32_e64 v36, s0, 0, v36, s0
	s_add_u32 s6, s6, 1
	s_addc_u32 s7, s7, 0
	s_and_not1_b32 s0, s38, exec_lo
	s_waitcnt vmcnt(0)
	v_cmp_ne_u32_e32 vcc_lo, v37, v38
	s_and_b32 s38, vcc_lo, exec_lo
	s_delay_alu instid0(SALU_CYCLE_1)
	s_or_b32 s38, s0, s38
.LBB503_352:                            ;   in Loop: Header=BB503_353 Depth=1
	v_dual_mov_b32 v38, s7 :: v_dual_mov_b32 v37, s6
	s_and_b32 s0, exec_lo, s38
	s_delay_alu instid0(SALU_CYCLE_1) | instskip(NEXT) | instid1(SALU_CYCLE_1)
	s_or_b32 s37, s0, s37
	s_and_not1_b32 exec_lo, exec_lo, s37
	s_cbranch_execz .LBB503_355
.LBB503_353:                            ; =>This Inner Loop Header: Depth=1
	s_or_b32 s38, s38, exec_lo
	s_cmp_eq_u64 s[4:5], s[6:7]
	s_cbranch_scc0 .LBB503_351
; %bb.354:                              ;   in Loop: Header=BB503_353 Depth=1
	s_mov_b64 s[6:7], s[14:15]
                                        ; implicit-def: $vgpr33_vgpr34
                                        ; implicit-def: $vgpr35_vgpr36
	s_branch .LBB503_352
.LBB503_355:
	s_set_inst_prefetch_distance 0x2
	s_or_b32 exec_lo, exec_lo, s37
	v_cmp_gt_i64_e32 vcc_lo, s[14:15], v[37:38]
	s_or_not1_b32 s0, vcc_lo, exec_lo
.LBB503_356:
	s_or_b32 exec_lo, exec_lo, s35
.LBB503_357:
	s_delay_alu instid0(SALU_CYCLE_1)
	s_and_b32 s35, s0, exec_lo
.LBB503_358:
	s_or_b32 exec_lo, exec_lo, s36
	v_or_b32_e32 v33, 1, v55
	s_mov_b32 s0, 0
	s_mov_b32 s36, exec_lo
	s_delay_alu instid0(VALU_DEP_1)
	v_cmpx_gt_u32_e64 s31, v33
	s_cbranch_execz .LBB503_369
; %bb.359:
	s_and_not1_b32 vcc_lo, exec_lo, s13
	s_cbranch_vccnz .LBB503_368
; %bb.360:
	v_mul_lo_u32 v37, v30, s14
	v_mul_lo_u32 v38, v29, s15
	v_mad_u64_u32 v[33:34], null, v29, s14, 0
	v_mul_lo_u32 v39, v32, s14
	v_mul_lo_u32 v40, v31, s15
	v_mad_u64_u32 v[35:36], null, v31, s14, 0
	s_mov_b32 s0, -1
	s_mov_b32 s37, exec_lo
	s_delay_alu instid0(VALU_DEP_4) | instskip(NEXT) | instid1(VALU_DEP_2)
	v_add3_u32 v34, v34, v38, v37
	v_add3_u32 v36, v36, v40, v39
	s_delay_alu instid0(VALU_DEP_2) | instskip(NEXT) | instid1(VALU_DEP_2)
	v_lshlrev_b64 v[33:34], 2, v[33:34]
	v_lshlrev_b64 v[37:38], 2, v[35:36]
	s_delay_alu instid0(VALU_DEP_2) | instskip(NEXT) | instid1(VALU_DEP_3)
	v_add_co_u32 v35, vcc_lo, s20, v33
	v_add_co_ci_u32_e32 v36, vcc_lo, s21, v34, vcc_lo
	s_delay_alu instid0(VALU_DEP_3) | instskip(NEXT) | instid1(VALU_DEP_4)
	v_add_co_u32 v33, vcc_lo, s20, v37
	v_add_co_ci_u32_e32 v34, vcc_lo, s21, v38, vcc_lo
	s_clause 0x1
	global_load_b32 v37, v[35:36], off
	global_load_b32 v38, v[33:34], off
	s_waitcnt vmcnt(0)
	v_cmpx_eq_u32_e64 v37, v38
	s_cbranch_execz .LBB503_367
; %bb.361:
	v_add_co_u32 v33, vcc_lo, v33, 4
	v_add_co_ci_u32_e32 v34, vcc_lo, 0, v34, vcc_lo
	v_add_co_u32 v35, vcc_lo, v35, 4
	v_add_co_ci_u32_e32 v36, vcc_lo, 0, v36, vcc_lo
	s_add_u32 s4, s14, -1
	s_addc_u32 s5, s15, -1
	s_mov_b64 s[6:7], 0
	s_mov_b32 s38, 0
                                        ; implicit-def: $sgpr39
	s_set_inst_prefetch_distance 0x1
	s_branch .LBB503_364
	.p2align	6
.LBB503_362:                            ;   in Loop: Header=BB503_364 Depth=1
	global_load_b32 v37, v[35:36], off
	global_load_b32 v38, v[33:34], off
	v_add_co_u32 v33, vcc_lo, v33, 4
	v_add_co_ci_u32_e32 v34, vcc_lo, 0, v34, vcc_lo
	v_add_co_u32 v35, s0, v35, 4
	s_delay_alu instid0(VALU_DEP_1)
	v_add_co_ci_u32_e64 v36, s0, 0, v36, s0
	s_add_u32 s6, s6, 1
	s_addc_u32 s7, s7, 0
	s_and_not1_b32 s0, s39, exec_lo
	s_waitcnt vmcnt(0)
	v_cmp_ne_u32_e32 vcc_lo, v37, v38
	s_and_b32 s39, vcc_lo, exec_lo
	s_delay_alu instid0(SALU_CYCLE_1)
	s_or_b32 s39, s0, s39
.LBB503_363:                            ;   in Loop: Header=BB503_364 Depth=1
	v_dual_mov_b32 v38, s7 :: v_dual_mov_b32 v37, s6
	s_and_b32 s0, exec_lo, s39
	s_delay_alu instid0(SALU_CYCLE_1) | instskip(NEXT) | instid1(SALU_CYCLE_1)
	s_or_b32 s38, s0, s38
	s_and_not1_b32 exec_lo, exec_lo, s38
	s_cbranch_execz .LBB503_366
.LBB503_364:                            ; =>This Inner Loop Header: Depth=1
	s_or_b32 s39, s39, exec_lo
	s_cmp_eq_u64 s[4:5], s[6:7]
	s_cbranch_scc0 .LBB503_362
; %bb.365:                              ;   in Loop: Header=BB503_364 Depth=1
	s_mov_b64 s[6:7], s[14:15]
                                        ; implicit-def: $vgpr33_vgpr34
                                        ; implicit-def: $vgpr35_vgpr36
	s_branch .LBB503_363
.LBB503_366:
	s_set_inst_prefetch_distance 0x2
	s_or_b32 exec_lo, exec_lo, s38
	v_cmp_gt_i64_e32 vcc_lo, s[14:15], v[37:38]
	s_or_not1_b32 s0, vcc_lo, exec_lo
.LBB503_367:
	s_or_b32 exec_lo, exec_lo, s37
.LBB503_368:
	s_delay_alu instid0(SALU_CYCLE_1)
	s_and_b32 s0, s0, exec_lo
.LBB503_369:
	s_or_b32 exec_lo, exec_lo, s36
	v_cndmask_b32_e64 v34, 0, 1, s34
	v_cndmask_b32_e64 v35, 0, 1, s27
	;; [unrolled: 1-line block ×7, first 2 shown]
	v_lshlrev_b16 v35, 8, v35
	v_lshlrev_b16 v36, 8, v36
	;; [unrolled: 1-line block ×4, first 2 shown]
	s_waitcnt lgkmcnt(0)
	v_or_b32_e32 v35, v38, v35
	v_or_b32_e32 v36, v39, v36
	;; [unrolled: 1-line block ×4, first 2 shown]
	s_barrier
	v_and_b32_e32 v34, 0xffff, v35
	v_lshlrev_b32_e32 v35, 16, v36
	v_and_b32_e32 v37, 0xffff, v37
	v_lshlrev_b32_e32 v33, 16, v33
	buffer_gl0_inv
                                        ; implicit-def: $sgpr0
	v_or_b32_e32 v36, v34, v35
	v_or_b32_e32 v35, v37, v33
	s_and_saveexec_b32 s24, s3
	s_cbranch_execz .LBB503_382
; %bb.370:
	s_mov_b32 s0, 0
	s_mov_b32 s3, exec_lo
	v_cmpx_gt_u32_e64 s31, v55
	s_cbranch_execz .LBB503_381
; %bb.371:
	s_and_not1_b32 vcc_lo, exec_lo, s13
	s_cbranch_vccnz .LBB503_380
; %bb.372:
	v_add_nc_u32_e32 v33, -8, v55
	v_mul_lo_u32 v41, v30, s14
	v_mul_lo_u32 v42, v29, s15
	s_mov_b32 s0, -1
	s_mov_b32 s13, exec_lo
	ds_load_b64 v[33:34], v33
	s_waitcnt lgkmcnt(0)
	v_mul_lo_u32 v39, v34, s14
	v_mul_lo_u32 v40, v33, s15
	v_mad_u64_u32 v[37:38], null, v33, s14, 0
	v_mad_u64_u32 v[33:34], null, v29, s14, 0
	s_delay_alu instid0(VALU_DEP_2) | instskip(NEXT) | instid1(VALU_DEP_2)
	v_add3_u32 v38, v38, v40, v39
	v_add3_u32 v34, v34, v42, v41
	s_delay_alu instid0(VALU_DEP_2) | instskip(NEXT) | instid1(VALU_DEP_2)
	v_lshlrev_b64 v[37:38], 2, v[37:38]
	v_lshlrev_b64 v[33:34], 2, v[33:34]
	s_delay_alu instid0(VALU_DEP_2) | instskip(NEXT) | instid1(VALU_DEP_3)
	v_add_co_u32 v37, vcc_lo, s20, v37
	v_add_co_ci_u32_e32 v38, vcc_lo, s21, v38, vcc_lo
	s_delay_alu instid0(VALU_DEP_3) | instskip(NEXT) | instid1(VALU_DEP_4)
	v_add_co_u32 v33, vcc_lo, s20, v33
	v_add_co_ci_u32_e32 v34, vcc_lo, s21, v34, vcc_lo
	s_clause 0x1
	global_load_b32 v39, v[37:38], off
	global_load_b32 v40, v[33:34], off
	s_waitcnt vmcnt(0)
	v_cmpx_eq_u32_e64 v39, v40
	s_cbranch_execz .LBB503_379
; %bb.373:
	v_add_co_u32 v33, vcc_lo, v33, 4
	v_add_co_ci_u32_e32 v34, vcc_lo, 0, v34, vcc_lo
	v_add_co_u32 v37, vcc_lo, v37, 4
	v_add_co_ci_u32_e32 v38, vcc_lo, 0, v38, vcc_lo
	s_add_u32 s4, s14, -1
	s_addc_u32 s5, s15, -1
	s_mov_b64 s[6:7], 0
	s_mov_b32 s20, 0
                                        ; implicit-def: $sgpr21
	s_set_inst_prefetch_distance 0x1
	s_branch .LBB503_376
	.p2align	6
.LBB503_374:                            ;   in Loop: Header=BB503_376 Depth=1
	global_load_b32 v39, v[37:38], off
	global_load_b32 v40, v[33:34], off
	v_add_co_u32 v33, vcc_lo, v33, 4
	v_add_co_ci_u32_e32 v34, vcc_lo, 0, v34, vcc_lo
	v_add_co_u32 v37, s0, v37, 4
	s_delay_alu instid0(VALU_DEP_1)
	v_add_co_ci_u32_e64 v38, s0, 0, v38, s0
	s_add_u32 s6, s6, 1
	s_addc_u32 s7, s7, 0
	s_and_not1_b32 s0, s21, exec_lo
	s_waitcnt vmcnt(0)
	v_cmp_ne_u32_e32 vcc_lo, v39, v40
	s_and_b32 s21, vcc_lo, exec_lo
	s_delay_alu instid0(SALU_CYCLE_1)
	s_or_b32 s21, s0, s21
.LBB503_375:                            ;   in Loop: Header=BB503_376 Depth=1
	v_dual_mov_b32 v40, s7 :: v_dual_mov_b32 v39, s6
	s_and_b32 s0, exec_lo, s21
	s_delay_alu instid0(SALU_CYCLE_1) | instskip(NEXT) | instid1(SALU_CYCLE_1)
	s_or_b32 s20, s0, s20
	s_and_not1_b32 exec_lo, exec_lo, s20
	s_cbranch_execz .LBB503_378
.LBB503_376:                            ; =>This Inner Loop Header: Depth=1
	s_or_b32 s21, s21, exec_lo
	s_cmp_eq_u64 s[4:5], s[6:7]
	s_cbranch_scc0 .LBB503_374
; %bb.377:                              ;   in Loop: Header=BB503_376 Depth=1
	s_mov_b64 s[6:7], s[14:15]
                                        ; implicit-def: $vgpr33_vgpr34
                                        ; implicit-def: $vgpr37_vgpr38
	s_branch .LBB503_375
.LBB503_378:
	s_set_inst_prefetch_distance 0x2
	s_or_b32 exec_lo, exec_lo, s20
	v_cmp_gt_i64_e32 vcc_lo, s[14:15], v[39:40]
	s_or_not1_b32 s0, vcc_lo, exec_lo
.LBB503_379:
	s_or_b32 exec_lo, exec_lo, s13
.LBB503_380:
	s_delay_alu instid0(SALU_CYCLE_1)
	s_and_b32 s0, s0, exec_lo
.LBB503_381:
	s_or_b32 exec_lo, exec_lo, s3
	s_delay_alu instid0(SALU_CYCLE_1)
	s_and_b32 s0, s0, exec_lo
	s_or_b32 s1, s1, exec_lo
.LBB503_382:
	s_or_b32 exec_lo, exec_lo, s24
.LBB503_383:
	s_and_saveexec_b32 s3, s1
	s_cbranch_execz .LBB503_385
; %bb.384:
	s_waitcnt vmcnt(0) lgkmcnt(0)
	v_and_b32_e32 v33, 0xffffff00, v35
	v_cndmask_b32_e64 v34, 0, 1, s0
	s_delay_alu instid0(VALU_DEP_1) | instskip(NEXT) | instid1(VALU_DEP_1)
	v_or_b32_e32 v33, v34, v33
	v_and_b32_e32 v33, 0xffff, v33
	s_delay_alu instid0(VALU_DEP_1)
	v_and_or_b32 v35, 0xffff0000, v35, v33
.LBB503_385:
	s_or_b32 exec_lo, exec_lo, s3
	s_delay_alu instid0(SALU_CYCLE_1)
	s_and_not1_b32 vcc_lo, exec_lo, s33
	s_cbranch_vccnz .LBB503_387
; %bb.386:
	v_cmp_gt_u32_e32 vcc_lo, s31, v55
	s_waitcnt vmcnt(0) lgkmcnt(0)
	v_or_b32_e32 v34, 1, v55
	v_and_b32_e32 v37, 0xffffff00, v36
	v_or_b32_e32 v38, 2, v55
	v_cndmask_b32_e32 v33, 0, v35, vcc_lo
	s_delay_alu instid0(VALU_DEP_4) | instskip(SKIP_1) | instid1(VALU_DEP_4)
	v_cmp_gt_u32_e32 vcc_lo, s31, v34
	v_or_b32_e32 v34, 4, v55
	v_cmp_gt_u32_e64 s0, s31, v38
	v_or_b32_e32 v38, 3, v55
	v_and_b32_e32 v33, 0xff, v33
	s_delay_alu instid0(VALU_DEP_2) | instskip(NEXT) | instid1(VALU_DEP_2)
	v_cmp_gt_u32_e64 s1, s31, v38
	v_cndmask_b32_e32 v33, v33, v35, vcc_lo
	v_cmp_gt_u32_e32 vcc_lo, s31, v34
	v_cndmask_b32_e32 v34, v37, v36, vcc_lo
	v_or_b32_e32 v37, 5, v55
	s_delay_alu instid0(VALU_DEP_2) | instskip(SKIP_1) | instid1(VALU_DEP_1)
	v_and_b32_e32 v34, 0xffff00ff, v34
	v_and_b32_e32 v33, 0xffff, v33
	v_cndmask_b32_e64 v33, v33, v35, s0
	s_delay_alu instid0(VALU_DEP_4) | instskip(SKIP_1) | instid1(VALU_DEP_3)
	v_cmp_gt_u32_e64 s0, s31, v37
	v_or_b32_e32 v37, 6, v55
	v_and_b32_e32 v33, 0xffffff, v33
	s_delay_alu instid0(VALU_DEP_3) | instskip(NEXT) | instid1(VALU_DEP_2)
	v_cndmask_b32_e64 v34, v34, v36, s0
	v_cndmask_b32_e64 v33, v33, v35, s1
	s_delay_alu instid0(VALU_DEP_1) | instskip(SKIP_2) | instid1(VALU_DEP_3)
	v_dual_cndmask_b32 v33, v33, v35 :: v_dual_and_b32 v34, 0xff00ffff, v34
	v_cmp_gt_u32_e32 vcc_lo, s31, v37
	v_or_b32_e32 v37, 7, v55
	v_cndmask_b32_e64 v33, v33, v35, s0
	s_delay_alu instid0(VALU_DEP_1) | instskip(NEXT) | instid1(VALU_DEP_1)
	v_dual_cndmask_b32 v34, v34, v36 :: v_dual_cndmask_b32 v33, v33, v35
	v_and_b32_e32 v34, 0xffffff, v34
	s_delay_alu instid0(VALU_DEP_4) | instskip(NEXT) | instid1(VALU_DEP_2)
	v_cmp_gt_u32_e32 vcc_lo, s31, v37
	v_dual_cndmask_b32 v36, v34, v36 :: v_dual_cndmask_b32 v35, v33, v35
.LBB503_387:
	s_delay_alu instid0(VALU_DEP_1) | instskip(SKIP_1) | instid1(VALU_DEP_2)
	v_and_b32_e32 v44, 0xff, v35
	s_waitcnt vmcnt(0) lgkmcnt(0)
	v_alignbit_b32 v33, v36, v35, 24
	v_bfe_u32 v46, v35, 8, 8
	v_bfe_u32 v48, v35, 16, 8
	v_and_b32_e32 v52, 0xff, v36
	v_bfe_u32 v54, v36, 8, 8
	v_and_b32_e32 v50, 0xff, v33
	v_add_nc_u32_e32 v33, v46, v44
	v_mbcnt_lo_u32_b32 v58, -1, 0
	v_bfe_u32 v57, v36, 16, 8
	v_lshrrev_b32_e32 v56, 24, v36
	v_lshrrev_b32_e32 v59, 5, v0
	v_add3_u32 v33, v33, v48, v50
	v_and_b32_e32 v34, 15, v58
	v_and_b32_e32 v37, 16, v58
	s_and_b32 vcc_lo, exec_lo, s12
	s_mov_b32 s7, -1
	v_add3_u32 v33, v33, v52, v54
	v_cmp_eq_u32_e64 s3, 0, v34
	v_cmp_lt_u32_e64 s0, 1, v34
	v_cmp_lt_u32_e64 s4, 3, v34
	;; [unrolled: 1-line block ×3, first 2 shown]
	v_add3_u32 v60, v33, v57, v56
	v_or_b32_e32 v33, 31, v0
	v_cmp_eq_u32_e64 s6, 0, v37
	s_barrier
	buffer_gl0_inv
	v_cmp_eq_u32_e64 s5, v33, v0
	s_cbranch_vccz .LBB503_413
; %bb.388:
	v_mov_b32_dpp v33, v60 row_shr:1 row_mask:0xf bank_mask:0xf
	s_delay_alu instid0(VALU_DEP_1) | instskip(NEXT) | instid1(VALU_DEP_1)
	v_cndmask_b32_e64 v33, v33, 0, s3
	v_add_nc_u32_e32 v33, v33, v60
	s_delay_alu instid0(VALU_DEP_1) | instskip(NEXT) | instid1(VALU_DEP_1)
	v_mov_b32_dpp v34, v33 row_shr:2 row_mask:0xf bank_mask:0xf
	v_cndmask_b32_e64 v34, 0, v34, s0
	s_delay_alu instid0(VALU_DEP_1) | instskip(NEXT) | instid1(VALU_DEP_1)
	v_add_nc_u32_e32 v33, v33, v34
	v_mov_b32_dpp v34, v33 row_shr:4 row_mask:0xf bank_mask:0xf
	s_delay_alu instid0(VALU_DEP_1) | instskip(NEXT) | instid1(VALU_DEP_1)
	v_cndmask_b32_e64 v34, 0, v34, s4
	v_add_nc_u32_e32 v33, v33, v34
	s_delay_alu instid0(VALU_DEP_1) | instskip(NEXT) | instid1(VALU_DEP_1)
	v_mov_b32_dpp v34, v33 row_shr:8 row_mask:0xf bank_mask:0xf
	v_cndmask_b32_e64 v34, 0, v34, s1
	s_delay_alu instid0(VALU_DEP_1) | instskip(SKIP_3) | instid1(VALU_DEP_1)
	v_add_nc_u32_e32 v33, v33, v34
	ds_swizzle_b32 v34, v33 offset:swizzle(BROADCAST,32,15)
	s_waitcnt lgkmcnt(0)
	v_cndmask_b32_e64 v34, v34, 0, s6
	v_add_nc_u32_e32 v33, v33, v34
	s_and_saveexec_b32 s7, s5
	s_cbranch_execz .LBB503_390
; %bb.389:
	v_lshlrev_b32_e32 v34, 2, v59
	ds_store_b32 v34, v33
.LBB503_390:
	s_or_b32 exec_lo, exec_lo, s7
	s_delay_alu instid0(SALU_CYCLE_1)
	s_mov_b32 s7, exec_lo
	s_waitcnt lgkmcnt(0)
	s_barrier
	buffer_gl0_inv
	v_cmpx_gt_u32_e32 16, v0
	s_cbranch_execz .LBB503_392
; %bb.391:
	v_lshlrev_b32_e32 v34, 2, v0
	ds_load_b32 v37, v34
	s_waitcnt lgkmcnt(0)
	v_mov_b32_dpp v38, v37 row_shr:1 row_mask:0xf bank_mask:0xf
	s_delay_alu instid0(VALU_DEP_1) | instskip(NEXT) | instid1(VALU_DEP_1)
	v_cndmask_b32_e64 v38, v38, 0, s3
	v_add_nc_u32_e32 v37, v38, v37
	s_delay_alu instid0(VALU_DEP_1) | instskip(NEXT) | instid1(VALU_DEP_1)
	v_mov_b32_dpp v38, v37 row_shr:2 row_mask:0xf bank_mask:0xf
	v_cndmask_b32_e64 v38, 0, v38, s0
	s_delay_alu instid0(VALU_DEP_1) | instskip(NEXT) | instid1(VALU_DEP_1)
	v_add_nc_u32_e32 v37, v37, v38
	v_mov_b32_dpp v38, v37 row_shr:4 row_mask:0xf bank_mask:0xf
	s_delay_alu instid0(VALU_DEP_1) | instskip(NEXT) | instid1(VALU_DEP_1)
	v_cndmask_b32_e64 v38, 0, v38, s4
	v_add_nc_u32_e32 v37, v37, v38
	s_delay_alu instid0(VALU_DEP_1) | instskip(NEXT) | instid1(VALU_DEP_1)
	v_mov_b32_dpp v38, v37 row_shr:8 row_mask:0xf bank_mask:0xf
	v_cndmask_b32_e64 v38, 0, v38, s1
	s_delay_alu instid0(VALU_DEP_1)
	v_add_nc_u32_e32 v37, v37, v38
	ds_store_b32 v34, v37
.LBB503_392:
	s_or_b32 exec_lo, exec_lo, s7
	v_cmp_gt_u32_e32 vcc_lo, 32, v0
	s_mov_b32 s12, exec_lo
	s_waitcnt lgkmcnt(0)
	s_barrier
	buffer_gl0_inv
                                        ; implicit-def: $vgpr43
	v_cmpx_lt_u32_e32 31, v0
	s_cbranch_execz .LBB503_394
; %bb.393:
	v_lshl_add_u32 v34, v59, 2, -4
	ds_load_b32 v43, v34
	s_waitcnt lgkmcnt(0)
	v_add_nc_u32_e32 v33, v43, v33
.LBB503_394:
	s_or_b32 exec_lo, exec_lo, s12
	v_add_nc_u32_e32 v34, -1, v58
	s_delay_alu instid0(VALU_DEP_1) | instskip(NEXT) | instid1(VALU_DEP_1)
	v_cmp_gt_i32_e64 s7, 0, v34
	v_cndmask_b32_e64 v34, v34, v58, s7
	v_cmp_eq_u32_e64 s7, 0, v58
	s_delay_alu instid0(VALU_DEP_2)
	v_lshlrev_b32_e32 v34, 2, v34
	ds_bpermute_b32 v45, v34, v33
	s_and_saveexec_b32 s12, vcc_lo
	s_cbranch_execz .LBB503_412
; %bb.395:
	v_mov_b32_e32 v39, 0
	ds_load_b32 v33, v39 offset:60
	s_and_saveexec_b32 s13, s7
	s_cbranch_execz .LBB503_397
; %bb.396:
	s_add_i32 s14, s30, 32
	s_mov_b32 s15, 0
	v_mov_b32_e32 v34, 1
	s_lshl_b64 s[14:15], s[14:15], 3
	s_delay_alu instid0(SALU_CYCLE_1)
	s_add_u32 s14, s22, s14
	s_addc_u32 s15, s23, s15
	s_waitcnt lgkmcnt(0)
	global_store_b64 v39, v[33:34], s[14:15]
.LBB503_397:
	s_or_b32 exec_lo, exec_lo, s13
	v_xad_u32 v37, v58, -1, s30
	s_mov_b32 s14, 0
	s_mov_b32 s13, exec_lo
	s_delay_alu instid0(VALU_DEP_1) | instskip(NEXT) | instid1(VALU_DEP_1)
	v_add_nc_u32_e32 v38, 32, v37
	v_lshlrev_b64 v[38:39], 3, v[38:39]
	s_delay_alu instid0(VALU_DEP_1) | instskip(NEXT) | instid1(VALU_DEP_2)
	v_add_co_u32 v41, vcc_lo, s22, v38
	v_add_co_ci_u32_e32 v42, vcc_lo, s23, v39, vcc_lo
	global_load_b64 v[39:40], v[41:42], off glc
	s_waitcnt vmcnt(0)
	v_and_b32_e32 v34, 0xff, v40
	s_delay_alu instid0(VALU_DEP_1)
	v_cmpx_eq_u16_e32 0, v34
	s_cbranch_execz .LBB503_400
.LBB503_398:                            ; =>This Inner Loop Header: Depth=1
	global_load_b64 v[39:40], v[41:42], off glc
	s_waitcnt vmcnt(0)
	v_and_b32_e32 v34, 0xff, v40
	s_delay_alu instid0(VALU_DEP_1) | instskip(SKIP_1) | instid1(SALU_CYCLE_1)
	v_cmp_ne_u16_e32 vcc_lo, 0, v34
	s_or_b32 s14, vcc_lo, s14
	s_and_not1_b32 exec_lo, exec_lo, s14
	s_cbranch_execnz .LBB503_398
; %bb.399:
	s_or_b32 exec_lo, exec_lo, s14
.LBB503_400:
	s_delay_alu instid0(SALU_CYCLE_1)
	s_or_b32 exec_lo, exec_lo, s13
	v_cmp_ne_u32_e32 vcc_lo, 31, v58
	v_and_b32_e32 v38, 0xff, v40
	v_lshlrev_b32_e64 v47, v58, -1
	v_add_nc_u32_e32 v51, 2, v58
	v_add_nc_u32_e32 v61, 4, v58
	v_add_co_ci_u32_e32 v34, vcc_lo, 0, v58, vcc_lo
	v_cmp_eq_u16_e32 vcc_lo, 2, v38
	v_add_nc_u32_e32 v64, 8, v58
	v_add_nc_u32_e32 v66, 16, v58
	v_and_or_b32 v38, vcc_lo, v47, 0x80000000
	v_cmp_gt_u32_e32 vcc_lo, 30, v58
	s_delay_alu instid0(VALU_DEP_2) | instskip(SKIP_1) | instid1(VALU_DEP_2)
	v_ctz_i32_b32_e32 v38, v38
	v_cndmask_b32_e64 v42, 0, 1, vcc_lo
	v_cmp_lt_u32_e32 vcc_lo, v58, v38
	v_lshlrev_b32_e32 v34, 2, v34
	s_delay_alu instid0(VALU_DEP_3)
	v_lshlrev_b32_e32 v42, 1, v42
	ds_bpermute_b32 v41, v34, v39
	v_add_lshl_u32 v49, v42, v58, 2
	s_waitcnt lgkmcnt(0)
	v_cndmask_b32_e32 v41, 0, v41, vcc_lo
	v_cmp_gt_u32_e32 vcc_lo, 28, v58
	s_delay_alu instid0(VALU_DEP_2) | instskip(SKIP_4) | instid1(VALU_DEP_1)
	v_add_nc_u32_e32 v39, v41, v39
	v_cndmask_b32_e64 v42, 0, 1, vcc_lo
	v_cmp_le_u32_e32 vcc_lo, v51, v38
	ds_bpermute_b32 v41, v49, v39
	v_lshlrev_b32_e32 v42, 2, v42
	v_add_lshl_u32 v53, v42, v58, 2
	s_waitcnt lgkmcnt(0)
	v_cndmask_b32_e32 v41, 0, v41, vcc_lo
	v_cmp_gt_u32_e32 vcc_lo, 24, v58
	s_delay_alu instid0(VALU_DEP_2) | instskip(SKIP_4) | instid1(VALU_DEP_1)
	v_add_nc_u32_e32 v39, v39, v41
	v_cndmask_b32_e64 v42, 0, 1, vcc_lo
	v_cmp_le_u32_e32 vcc_lo, v61, v38
	ds_bpermute_b32 v41, v53, v39
	v_lshlrev_b32_e32 v42, 3, v42
	;; [unrolled: 10-line block ×3, first 2 shown]
	v_add_lshl_u32 v65, v42, v58, 2
	s_waitcnt lgkmcnt(0)
	v_cndmask_b32_e32 v41, 0, v41, vcc_lo
	v_cmp_le_u32_e32 vcc_lo, v66, v38
	s_delay_alu instid0(VALU_DEP_2) | instskip(SKIP_3) | instid1(VALU_DEP_1)
	v_add_nc_u32_e32 v39, v39, v41
	ds_bpermute_b32 v41, v65, v39
	s_waitcnt lgkmcnt(0)
	v_cndmask_b32_e32 v38, 0, v41, vcc_lo
	v_dual_mov_b32 v38, 0 :: v_dual_add_nc_u32 v39, v39, v38
	s_branch .LBB503_402
.LBB503_401:                            ;   in Loop: Header=BB503_402 Depth=1
	s_or_b32 exec_lo, exec_lo, s13
	ds_bpermute_b32 v42, v34, v39
	v_and_b32_e32 v41, 0xff, v40
	v_subrev_nc_u32_e32 v37, 32, v37
	s_delay_alu instid0(VALU_DEP_2) | instskip(SKIP_1) | instid1(VALU_DEP_1)
	v_cmp_eq_u16_e32 vcc_lo, 2, v41
	v_and_or_b32 v41, vcc_lo, v47, 0x80000000
	v_ctz_i32_b32_e32 v41, v41
	s_delay_alu instid0(VALU_DEP_1) | instskip(SKIP_3) | instid1(VALU_DEP_2)
	v_cmp_lt_u32_e32 vcc_lo, v58, v41
	s_waitcnt lgkmcnt(0)
	v_cndmask_b32_e32 v42, 0, v42, vcc_lo
	v_cmp_le_u32_e32 vcc_lo, v51, v41
	v_add_nc_u32_e32 v39, v42, v39
	ds_bpermute_b32 v42, v49, v39
	s_waitcnt lgkmcnt(0)
	v_cndmask_b32_e32 v42, 0, v42, vcc_lo
	v_cmp_le_u32_e32 vcc_lo, v61, v41
	s_delay_alu instid0(VALU_DEP_2) | instskip(SKIP_4) | instid1(VALU_DEP_2)
	v_add_nc_u32_e32 v39, v39, v42
	ds_bpermute_b32 v42, v53, v39
	s_waitcnt lgkmcnt(0)
	v_cndmask_b32_e32 v42, 0, v42, vcc_lo
	v_cmp_le_u32_e32 vcc_lo, v64, v41
	v_add_nc_u32_e32 v39, v39, v42
	ds_bpermute_b32 v42, v63, v39
	s_waitcnt lgkmcnt(0)
	v_cndmask_b32_e32 v42, 0, v42, vcc_lo
	v_cmp_le_u32_e32 vcc_lo, v66, v41
	s_delay_alu instid0(VALU_DEP_2) | instskip(SKIP_3) | instid1(VALU_DEP_1)
	v_add_nc_u32_e32 v39, v39, v42
	ds_bpermute_b32 v42, v65, v39
	s_waitcnt lgkmcnt(0)
	v_cndmask_b32_e32 v41, 0, v42, vcc_lo
	v_add3_u32 v39, v41, v62, v39
.LBB503_402:                            ; =>This Loop Header: Depth=1
                                        ;     Child Loop BB503_405 Depth 2
	v_and_b32_e32 v40, 0xff, v40
	s_delay_alu instid0(VALU_DEP_2) | instskip(NEXT) | instid1(VALU_DEP_2)
	v_mov_b32_e32 v62, v39
	v_cmp_ne_u16_e32 vcc_lo, 2, v40
	v_cndmask_b32_e64 v40, 0, 1, vcc_lo
	;;#ASMSTART
	;;#ASMEND
	s_delay_alu instid0(VALU_DEP_1)
	v_cmp_ne_u32_e32 vcc_lo, 0, v40
	s_cmp_lg_u32 vcc_lo, exec_lo
	s_cbranch_scc1 .LBB503_407
; %bb.403:                              ;   in Loop: Header=BB503_402 Depth=1
	v_lshlrev_b64 v[39:40], 3, v[37:38]
	s_mov_b32 s13, exec_lo
	s_delay_alu instid0(VALU_DEP_1) | instskip(NEXT) | instid1(VALU_DEP_2)
	v_add_co_u32 v41, vcc_lo, s22, v39
	v_add_co_ci_u32_e32 v42, vcc_lo, s23, v40, vcc_lo
	global_load_b64 v[39:40], v[41:42], off glc
	s_waitcnt vmcnt(0)
	v_and_b32_e32 v67, 0xff, v40
	s_delay_alu instid0(VALU_DEP_1)
	v_cmpx_eq_u16_e32 0, v67
	s_cbranch_execz .LBB503_401
; %bb.404:                              ;   in Loop: Header=BB503_402 Depth=1
	s_mov_b32 s14, 0
.LBB503_405:                            ;   Parent Loop BB503_402 Depth=1
                                        ; =>  This Inner Loop Header: Depth=2
	global_load_b64 v[39:40], v[41:42], off glc
	s_waitcnt vmcnt(0)
	v_and_b32_e32 v67, 0xff, v40
	s_delay_alu instid0(VALU_DEP_1) | instskip(SKIP_1) | instid1(SALU_CYCLE_1)
	v_cmp_ne_u16_e32 vcc_lo, 0, v67
	s_or_b32 s14, vcc_lo, s14
	s_and_not1_b32 exec_lo, exec_lo, s14
	s_cbranch_execnz .LBB503_405
; %bb.406:                              ;   in Loop: Header=BB503_402 Depth=1
	s_or_b32 exec_lo, exec_lo, s14
	s_branch .LBB503_401
.LBB503_407:                            ;   in Loop: Header=BB503_402 Depth=1
                                        ; implicit-def: $vgpr39
                                        ; implicit-def: $vgpr40
	s_cbranch_execz .LBB503_402
; %bb.408:
	s_and_saveexec_b32 s13, s7
	s_cbranch_execz .LBB503_410
; %bb.409:
	s_add_i32 s14, s30, 32
	s_mov_b32 s15, 0
	v_dual_mov_b32 v38, 2 :: v_dual_add_nc_u32 v37, v62, v33
	s_lshl_b64 s[14:15], s[14:15], 3
	v_mov_b32_e32 v34, 0
	v_add_nc_u32_e64 v39, 0x8400, 0
	s_add_u32 s14, s22, s14
	s_addc_u32 s15, s23, s15
	global_store_b64 v34, v[37:38], s[14:15]
	ds_store_2addr_b32 v39, v33, v62 offset1:2
.LBB503_410:
	s_or_b32 exec_lo, exec_lo, s13
	s_delay_alu instid0(SALU_CYCLE_1)
	s_and_b32 exec_lo, exec_lo, s2
	s_cbranch_execz .LBB503_412
; %bb.411:
	v_mov_b32_e32 v33, 0
	ds_store_b32 v33, v62 offset:60
.LBB503_412:
	s_or_b32 exec_lo, exec_lo, s12
	v_mov_b32_e32 v33, 0
	s_waitcnt lgkmcnt(0)
	s_waitcnt_vscnt null, 0x0
	s_barrier
	buffer_gl0_inv
	v_cndmask_b32_e64 v34, v45, v43, s7
	ds_load_b32 v33, v33 offset:60
	s_waitcnt lgkmcnt(0)
	s_barrier
	buffer_gl0_inv
	v_cndmask_b32_e64 v34, v34, 0, s2
	s_delay_alu instid0(VALU_DEP_1) | instskip(SKIP_1) | instid1(VALU_DEP_2)
	v_add_nc_u32_e32 v53, v33, v34
	v_add_nc_u32_e64 v33, 0x8400, 0
	v_add_nc_u32_e32 v51, v53, v44
	ds_load_2addr_b32 v[33:34], v33 offset1:2
	v_add_nc_u32_e32 v49, v51, v46
	s_delay_alu instid0(VALU_DEP_1) | instskip(NEXT) | instid1(VALU_DEP_1)
	v_add_nc_u32_e32 v47, v49, v48
	v_add_nc_u32_e32 v45, v47, v50
	s_delay_alu instid0(VALU_DEP_1) | instskip(SKIP_2) | instid1(VALU_DEP_2)
	v_add_nc_u32_e32 v43, v45, v52
	s_waitcnt lgkmcnt(0)
	v_readfirstlane_b32 s12, v34
	v_add_nc_u32_e32 v41, v43, v54
	s_delay_alu instid0(VALU_DEP_1)
	v_add_nc_u32_e32 v39, v41, v57
	v_lshrrev_b64 v[37:38], 24, v[35:36]
	s_branch .LBB503_423
.LBB503_413:
                                        ; implicit-def: $vgpr39
                                        ; implicit-def: $vgpr41
                                        ; implicit-def: $vgpr43
                                        ; implicit-def: $vgpr45
                                        ; implicit-def: $vgpr47
                                        ; implicit-def: $vgpr49
                                        ; implicit-def: $vgpr51
                                        ; implicit-def: $vgpr53
                                        ; implicit-def: $sgpr12
                                        ; implicit-def: $vgpr33
	v_lshrrev_b64 v[37:38], 24, v[35:36]
	s_and_b32 vcc_lo, exec_lo, s7
	s_cbranch_vccz .LBB503_423
; %bb.414:
	v_mov_b32_dpp v33, v60 row_shr:1 row_mask:0xf bank_mask:0xf
	s_delay_alu instid0(VALU_DEP_1) | instskip(NEXT) | instid1(VALU_DEP_1)
	v_cndmask_b32_e64 v33, v33, 0, s3
	v_add_nc_u32_e32 v33, v33, v60
	s_delay_alu instid0(VALU_DEP_1) | instskip(NEXT) | instid1(VALU_DEP_1)
	v_mov_b32_dpp v34, v33 row_shr:2 row_mask:0xf bank_mask:0xf
	v_cndmask_b32_e64 v34, 0, v34, s0
	s_delay_alu instid0(VALU_DEP_1) | instskip(NEXT) | instid1(VALU_DEP_1)
	v_add_nc_u32_e32 v33, v33, v34
	v_mov_b32_dpp v34, v33 row_shr:4 row_mask:0xf bank_mask:0xf
	s_delay_alu instid0(VALU_DEP_1) | instskip(NEXT) | instid1(VALU_DEP_1)
	v_cndmask_b32_e64 v34, 0, v34, s4
	v_add_nc_u32_e32 v33, v33, v34
	s_delay_alu instid0(VALU_DEP_1) | instskip(NEXT) | instid1(VALU_DEP_1)
	v_mov_b32_dpp v34, v33 row_shr:8 row_mask:0xf bank_mask:0xf
	v_cndmask_b32_e64 v34, 0, v34, s1
	s_delay_alu instid0(VALU_DEP_1) | instskip(SKIP_3) | instid1(VALU_DEP_1)
	v_add_nc_u32_e32 v33, v33, v34
	ds_swizzle_b32 v34, v33 offset:swizzle(BROADCAST,32,15)
	s_waitcnt lgkmcnt(0)
	v_cndmask_b32_e64 v34, v34, 0, s6
	v_add_nc_u32_e32 v33, v33, v34
	s_and_saveexec_b32 s6, s5
	s_cbranch_execz .LBB503_416
; %bb.415:
	v_lshlrev_b32_e32 v34, 2, v59
	ds_store_b32 v34, v33
.LBB503_416:
	s_or_b32 exec_lo, exec_lo, s6
	s_delay_alu instid0(SALU_CYCLE_1)
	s_mov_b32 s5, exec_lo
	s_waitcnt lgkmcnt(0)
	s_barrier
	buffer_gl0_inv
	v_cmpx_gt_u32_e32 16, v0
	s_cbranch_execz .LBB503_418
; %bb.417:
	v_lshlrev_b32_e32 v34, 2, v0
	ds_load_b32 v38, v34
	s_waitcnt lgkmcnt(0)
	v_mov_b32_dpp v39, v38 row_shr:1 row_mask:0xf bank_mask:0xf
	s_delay_alu instid0(VALU_DEP_1) | instskip(NEXT) | instid1(VALU_DEP_1)
	v_cndmask_b32_e64 v39, v39, 0, s3
	v_add_nc_u32_e32 v38, v39, v38
	s_delay_alu instid0(VALU_DEP_1) | instskip(NEXT) | instid1(VALU_DEP_1)
	v_mov_b32_dpp v39, v38 row_shr:2 row_mask:0xf bank_mask:0xf
	v_cndmask_b32_e64 v39, 0, v39, s0
	s_delay_alu instid0(VALU_DEP_1) | instskip(NEXT) | instid1(VALU_DEP_1)
	v_add_nc_u32_e32 v38, v38, v39
	v_mov_b32_dpp v39, v38 row_shr:4 row_mask:0xf bank_mask:0xf
	s_delay_alu instid0(VALU_DEP_1) | instskip(NEXT) | instid1(VALU_DEP_1)
	v_cndmask_b32_e64 v39, 0, v39, s4
	v_add_nc_u32_e32 v38, v38, v39
	s_delay_alu instid0(VALU_DEP_1) | instskip(NEXT) | instid1(VALU_DEP_1)
	v_mov_b32_dpp v39, v38 row_shr:8 row_mask:0xf bank_mask:0xf
	v_cndmask_b32_e64 v39, 0, v39, s1
	s_delay_alu instid0(VALU_DEP_1)
	v_add_nc_u32_e32 v38, v38, v39
	ds_store_b32 v34, v38
.LBB503_418:
	s_or_b32 exec_lo, exec_lo, s5
	v_mov_b32_e32 v34, 0
	v_mov_b32_e32 v38, 0
	s_mov_b32 s0, exec_lo
	s_waitcnt lgkmcnt(0)
	s_barrier
	buffer_gl0_inv
	v_cmpx_lt_u32_e32 31, v0
	s_cbranch_execz .LBB503_420
; %bb.419:
	v_lshl_add_u32 v38, v59, 2, -4
	ds_load_b32 v38, v38
.LBB503_420:
	s_or_b32 exec_lo, exec_lo, s0
	v_add_nc_u32_e32 v39, -1, v58
	s_waitcnt lgkmcnt(0)
	v_add_nc_u32_e32 v33, v38, v33
	s_mov_b32 s12, 0
	s_delay_alu instid0(VALU_DEP_2) | instskip(SKIP_1) | instid1(VALU_DEP_1)
	v_cmp_gt_i32_e32 vcc_lo, 0, v39
	v_cndmask_b32_e32 v39, v39, v58, vcc_lo
	v_lshlrev_b32_e32 v39, 2, v39
	ds_bpermute_b32 v39, v39, v33
	ds_load_b32 v33, v34 offset:60
	s_and_saveexec_b32 s0, s2
	s_cbranch_execz .LBB503_422
; %bb.421:
	v_mov_b32_e32 v40, 0
	v_mov_b32_e32 v34, 2
	s_waitcnt lgkmcnt(0)
	global_store_b64 v40, v[33:34], s[22:23] offset:256
.LBB503_422:
	s_or_b32 exec_lo, exec_lo, s0
	v_cmp_eq_u32_e32 vcc_lo, 0, v58
	s_waitcnt lgkmcnt(0)
	s_waitcnt_vscnt null, 0x0
	s_barrier
	buffer_gl0_inv
	v_cndmask_b32_e32 v34, v39, v38, vcc_lo
	s_delay_alu instid0(VALU_DEP_1) | instskip(NEXT) | instid1(VALU_DEP_1)
	v_cndmask_b32_e64 v53, v34, 0, s2
	v_add_nc_u32_e32 v51, v53, v44
	s_delay_alu instid0(VALU_DEP_1) | instskip(NEXT) | instid1(VALU_DEP_1)
	v_add_nc_u32_e32 v49, v51, v46
	v_add_nc_u32_e32 v47, v49, v48
	s_delay_alu instid0(VALU_DEP_1) | instskip(NEXT) | instid1(VALU_DEP_1)
	v_add_nc_u32_e32 v45, v47, v50
	;; [unrolled: 3-line block ×3, first 2 shown]
	v_add_nc_u32_e32 v39, v41, v57
.LBB503_423:
	v_add_nc_u32_e32 v59, s12, v33
	v_cmp_gt_u32_e64 s0, 0x201, v33
	v_lshrrev_b32_e32 v58, 8, v35
	v_lshrrev_b32_e32 v57, 16, v35
	;; [unrolled: 1-line block ×4, first 2 shown]
	v_cmp_lt_u32_e64 s1, v53, v59
	s_and_b32 vcc_lo, exec_lo, s0
	s_mov_b32 s3, -1
	s_cbranch_vccz .LBB503_449
; %bb.424:
	s_delay_alu instid0(VALU_DEP_1) | instskip(NEXT) | instid1(SALU_CYCLE_1)
	s_or_b32 s3, s29, s1
	s_and_saveexec_b32 s1, s3
	s_cbranch_execz .LBB503_427
; %bb.425:
	v_and_b32_e32 v40, 1, v35
	s_delay_alu instid0(VALU_DEP_1)
	v_cmp_eq_u32_e32 vcc_lo, 1, v40
	s_and_b32 exec_lo, exec_lo, vcc_lo
	s_cbranch_execz .LBB503_427
; %bb.426:
	v_mov_b32_e32 v54, 0
	s_lshl_b64 s[4:5], s[10:11], 3
	s_delay_alu instid0(SALU_CYCLE_1) | instskip(SKIP_1) | instid1(VALU_DEP_1)
	s_add_u32 s3, s16, s4
	s_addc_u32 s4, s17, s5
	v_lshlrev_b64 v[60:61], 3, v[53:54]
	s_delay_alu instid0(VALU_DEP_1) | instskip(NEXT) | instid1(VALU_DEP_2)
	v_add_co_u32 v60, vcc_lo, s3, v60
	v_add_co_ci_u32_e32 v61, vcc_lo, s4, v61, vcc_lo
	global_store_b64 v[60:61], v[29:30], off
.LBB503_427:
	s_or_b32 exec_lo, exec_lo, s1
	v_cmp_lt_u32_e32 vcc_lo, v51, v59
	s_or_b32 s3, s29, vcc_lo
	s_delay_alu instid0(SALU_CYCLE_1)
	s_and_saveexec_b32 s1, s3
	s_cbranch_execz .LBB503_430
; %bb.428:
	v_and_b32_e32 v40, 1, v58
	s_delay_alu instid0(VALU_DEP_1)
	v_cmp_eq_u32_e32 vcc_lo, 1, v40
	s_and_b32 exec_lo, exec_lo, vcc_lo
	s_cbranch_execz .LBB503_430
; %bb.429:
	v_mov_b32_e32 v52, 0
	s_lshl_b64 s[4:5], s[10:11], 3
	s_delay_alu instid0(SALU_CYCLE_1) | instskip(SKIP_1) | instid1(VALU_DEP_1)
	s_add_u32 s3, s16, s4
	s_addc_u32 s4, s17, s5
	v_lshlrev_b64 v[60:61], 3, v[51:52]
	s_delay_alu instid0(VALU_DEP_1) | instskip(NEXT) | instid1(VALU_DEP_2)
	v_add_co_u32 v60, vcc_lo, s3, v60
	v_add_co_ci_u32_e32 v61, vcc_lo, s4, v61, vcc_lo
	global_store_b64 v[60:61], v[31:32], off
.LBB503_430:
	s_or_b32 exec_lo, exec_lo, s1
	v_cmp_lt_u32_e32 vcc_lo, v49, v59
	s_or_b32 s3, s29, vcc_lo
	s_delay_alu instid0(SALU_CYCLE_1)
	;; [unrolled: 24-line block ×7, first 2 shown]
	s_and_saveexec_b32 s1, s3
	s_cbranch_execz .LBB503_448
; %bb.446:
	v_and_b32_e32 v40, 1, v56
	s_delay_alu instid0(VALU_DEP_1)
	v_cmp_eq_u32_e32 vcc_lo, 1, v40
	s_and_b32 exec_lo, exec_lo, vcc_lo
	s_cbranch_execz .LBB503_448
; %bb.447:
	v_mov_b32_e32 v40, 0
	s_lshl_b64 s[4:5], s[10:11], 3
	s_delay_alu instid0(SALU_CYCLE_1) | instskip(SKIP_1) | instid1(VALU_DEP_1)
	s_add_u32 s3, s16, s4
	s_addc_u32 s4, s17, s5
	v_lshlrev_b64 v[60:61], 3, v[39:40]
	s_delay_alu instid0(VALU_DEP_1) | instskip(NEXT) | instid1(VALU_DEP_2)
	v_add_co_u32 v60, vcc_lo, s3, v60
	v_add_co_ci_u32_e32 v61, vcc_lo, s4, v61, vcc_lo
	global_store_b64 v[60:61], v[19:20], off
.LBB503_448:
	s_or_b32 exec_lo, exec_lo, s1
	s_mov_b32 s3, 0
.LBB503_449:
	v_and_b32_e32 v35, 1, v35
	s_and_b32 vcc_lo, exec_lo, s3
	s_delay_alu instid0(VALU_DEP_1)
	v_cmp_eq_u32_e64 s1, 1, v35
	s_cbranch_vccz .LBB503_470
; %bb.450:
	s_delay_alu instid0(VALU_DEP_1)
	s_and_saveexec_b32 s3, s1
	s_cbranch_execz .LBB503_452
; %bb.451:
	v_subrev_nc_u32_e32 v40, s12, v53
	s_delay_alu instid0(VALU_DEP_1)
	v_lshlrev_b32_e32 v40, 3, v40
	ds_store_b64 v40, v[29:30]
.LBB503_452:
	s_or_b32 exec_lo, exec_lo, s3
	v_and_b32_e32 v29, 1, v58
	s_mov_b32 s1, exec_lo
	s_delay_alu instid0(VALU_DEP_1)
	v_cmpx_eq_u32_e32 1, v29
	s_cbranch_execz .LBB503_454
; %bb.453:
	v_subrev_nc_u32_e32 v29, s12, v51
	s_delay_alu instid0(VALU_DEP_1)
	v_lshlrev_b32_e32 v29, 3, v29
	ds_store_b64 v29, v[31:32]
.LBB503_454:
	s_or_b32 exec_lo, exec_lo, s1
	v_and_b32_e32 v29, 1, v57
	s_mov_b32 s1, exec_lo
	s_delay_alu instid0(VALU_DEP_1)
	v_cmpx_eq_u32_e32 1, v29
	;; [unrolled: 12-line block ×7, first 2 shown]
	s_cbranch_execz .LBB503_466
; %bb.465:
	v_subrev_nc_u32_e32 v17, s12, v39
	s_delay_alu instid0(VALU_DEP_1)
	v_lshlrev_b32_e32 v17, 3, v17
	ds_store_b64 v17, v[19:20]
.LBB503_466:
	s_or_b32 exec_lo, exec_lo, s1
	s_delay_alu instid0(SALU_CYCLE_1)
	s_mov_b32 s3, exec_lo
	s_waitcnt lgkmcnt(0)
	s_waitcnt_vscnt null, 0x0
	s_barrier
	buffer_gl0_inv
	v_cmpx_lt_u32_e64 v0, v33
	s_cbranch_execz .LBB503_469
; %bb.467:
	s_mov_b32 s13, 0
	s_lshl_b64 s[4:5], s[10:11], 3
	s_lshl_b64 s[6:7], s[12:13], 3
	v_dual_mov_b32 v19, v55 :: v_dual_mov_b32 v20, v0
	s_add_u32 s1, s4, s6
	s_addc_u32 s4, s5, s7
	s_add_u32 s1, s16, s1
	s_addc_u32 s4, s17, s4
	v_add_co_u32 v17, s1, s1, v55
	s_delay_alu instid0(VALU_DEP_1)
	v_add_co_ci_u32_e64 v18, null, s4, 0, s1
	.p2align	6
.LBB503_468:                            ; =>This Inner Loop Header: Depth=1
	ds_load_b64 v[21:22], v19
	v_add_nc_u32_e32 v20, 0x200, v20
	v_add_nc_u32_e32 v19, 0x1000, v19
	s_delay_alu instid0(VALU_DEP_2) | instskip(SKIP_4) | instid1(VALU_DEP_1)
	v_cmp_ge_u32_e32 vcc_lo, v20, v33
	s_or_b32 s13, vcc_lo, s13
	s_waitcnt lgkmcnt(0)
	global_store_b64 v[17:18], v[21:22], off
	v_add_co_u32 v17, s1, 0x1000, v17
	v_add_co_ci_u32_e64 v18, s1, 0, v18, s1
	s_and_not1_b32 exec_lo, exec_lo, s13
	s_cbranch_execnz .LBB503_468
.LBB503_469:
	s_or_b32 exec_lo, exec_lo, s3
.LBB503_470:
	s_delay_alu instid0(SALU_CYCLE_1)
	s_and_b32 vcc_lo, exec_lo, s0
	s_mov_b32 s0, -1
	s_waitcnt_vscnt null, 0x0
	s_barrier
	buffer_gl0_inv
	s_cbranch_vccz .LBB503_498
; %bb.471:
	v_cmp_lt_u32_e32 vcc_lo, v53, v59
	s_or_b32 s1, s29, vcc_lo
	s_delay_alu instid0(SALU_CYCLE_1)
	s_and_saveexec_b32 s0, s1
	s_cbranch_execz .LBB503_474
; %bb.472:
	v_cmp_eq_u32_e32 vcc_lo, 1, v35
	s_and_b32 exec_lo, exec_lo, vcc_lo
	s_cbranch_execz .LBB503_474
; %bb.473:
	v_mov_b32_e32 v54, 0
	s_lshl_b64 s[4:5], s[10:11], 3
	s_delay_alu instid0(SALU_CYCLE_1) | instskip(SKIP_1) | instid1(VALU_DEP_1)
	s_add_u32 s1, s18, s4
	s_addc_u32 s3, s19, s5
	v_lshlrev_b64 v[17:18], 3, v[53:54]
	s_delay_alu instid0(VALU_DEP_1) | instskip(NEXT) | instid1(VALU_DEP_2)
	v_add_co_u32 v17, vcc_lo, s1, v17
	v_add_co_ci_u32_e32 v18, vcc_lo, s3, v18, vcc_lo
	global_store_b64 v[17:18], v[13:14], off
.LBB503_474:
	s_or_b32 exec_lo, exec_lo, s0
	v_cmp_lt_u32_e32 vcc_lo, v51, v59
	s_or_b32 s1, s29, vcc_lo
	s_delay_alu instid0(SALU_CYCLE_1)
	s_and_saveexec_b32 s0, s1
	s_cbranch_execz .LBB503_477
; %bb.475:
	v_and_b32_e32 v17, 1, v58
	s_delay_alu instid0(VALU_DEP_1)
	v_cmp_eq_u32_e32 vcc_lo, 1, v17
	s_and_b32 exec_lo, exec_lo, vcc_lo
	s_cbranch_execz .LBB503_477
; %bb.476:
	v_mov_b32_e32 v52, 0
	s_lshl_b64 s[4:5], s[10:11], 3
	s_delay_alu instid0(SALU_CYCLE_1) | instskip(SKIP_1) | instid1(VALU_DEP_1)
	s_add_u32 s1, s18, s4
	s_addc_u32 s3, s19, s5
	v_lshlrev_b64 v[17:18], 3, v[51:52]
	s_delay_alu instid0(VALU_DEP_1) | instskip(NEXT) | instid1(VALU_DEP_2)
	v_add_co_u32 v17, vcc_lo, s1, v17
	v_add_co_ci_u32_e32 v18, vcc_lo, s3, v18, vcc_lo
	global_store_b64 v[17:18], v[15:16], off
.LBB503_477:
	s_or_b32 exec_lo, exec_lo, s0
	v_cmp_lt_u32_e32 vcc_lo, v49, v59
	s_or_b32 s1, s29, vcc_lo
	s_delay_alu instid0(SALU_CYCLE_1)
	s_and_saveexec_b32 s0, s1
	s_cbranch_execz .LBB503_480
; %bb.478:
	v_and_b32_e32 v17, 1, v57
	s_delay_alu instid0(VALU_DEP_1)
	v_cmp_eq_u32_e32 vcc_lo, 1, v17
	s_and_b32 exec_lo, exec_lo, vcc_lo
	s_cbranch_execz .LBB503_480
; %bb.479:
	v_mov_b32_e32 v50, 0
	s_lshl_b64 s[4:5], s[10:11], 3
	s_delay_alu instid0(SALU_CYCLE_1) | instskip(SKIP_1) | instid1(VALU_DEP_1)
	s_add_u32 s1, s18, s4
	s_addc_u32 s3, s19, s5
	v_lshlrev_b64 v[17:18], 3, v[49:50]
	s_delay_alu instid0(VALU_DEP_1) | instskip(NEXT) | instid1(VALU_DEP_2)
	v_add_co_u32 v17, vcc_lo, s1, v17
	v_add_co_ci_u32_e32 v18, vcc_lo, s3, v18, vcc_lo
	global_store_b64 v[17:18], v[9:10], off
.LBB503_480:
	;; [unrolled: 24-line block ×7, first 2 shown]
	s_or_b32 exec_lo, exec_lo, s0
.LBB503_496:
	s_and_b32 s0, s2, s28
	s_delay_alu instid0(SALU_CYCLE_1)
	s_and_saveexec_b32 s1, s0
	s_cbranch_execz .LBB503_519
.LBB503_497:
	v_add_co_u32 v0, s0, s10, v33
	s_delay_alu instid0(VALU_DEP_1) | instskip(SKIP_1) | instid1(VALU_DEP_3)
	v_add_co_ci_u32_e64 v1, null, s11, 0, s0
	v_mov_b32_e32 v2, 0
	v_add_co_u32 v0, vcc_lo, v0, s12
	s_delay_alu instid0(VALU_DEP_3)
	v_add_co_ci_u32_e32 v1, vcc_lo, 0, v1, vcc_lo
	global_store_b64 v2, v[0:1], s[8:9]
	s_nop 0
	s_sendmsg sendmsg(MSG_DEALLOC_VGPRS)
	s_endpgm
.LBB503_498:
	s_and_b32 vcc_lo, exec_lo, s0
	s_cbranch_vccz .LBB503_496
; %bb.499:
	s_mov_b32 s0, exec_lo
	v_cmpx_eq_u32_e32 1, v35
	s_cbranch_execz .LBB503_501
; %bb.500:
	v_subrev_nc_u32_e32 v17, s12, v53
	s_delay_alu instid0(VALU_DEP_1)
	v_lshlrev_b32_e32 v17, 3, v17
	ds_store_b64 v17, v[13:14]
.LBB503_501:
	s_or_b32 exec_lo, exec_lo, s0
	v_and_b32_e32 v13, 1, v58
	s_mov_b32 s0, exec_lo
	s_delay_alu instid0(VALU_DEP_1)
	v_cmpx_eq_u32_e32 1, v13
	s_cbranch_execz .LBB503_503
; %bb.502:
	v_subrev_nc_u32_e32 v13, s12, v51
	s_delay_alu instid0(VALU_DEP_1)
	v_lshlrev_b32_e32 v13, 3, v13
	ds_store_b64 v13, v[15:16]
.LBB503_503:
	s_or_b32 exec_lo, exec_lo, s0
	v_and_b32_e32 v13, 1, v57
	s_mov_b32 s0, exec_lo
	s_delay_alu instid0(VALU_DEP_1)
	;; [unrolled: 12-line block ×7, first 2 shown]
	v_cmpx_eq_u32_e32 1, v1
	s_cbranch_execz .LBB503_515
; %bb.514:
	v_subrev_nc_u32_e32 v1, s12, v39
	s_delay_alu instid0(VALU_DEP_1)
	v_lshlrev_b32_e32 v1, 3, v1
	ds_store_b64 v1, v[3:4]
.LBB503_515:
	s_or_b32 exec_lo, exec_lo, s0
	s_delay_alu instid0(SALU_CYCLE_1)
	s_mov_b32 s1, exec_lo
	s_waitcnt lgkmcnt(0)
	s_waitcnt_vscnt null, 0x0
	s_barrier
	buffer_gl0_inv
	v_cmpx_lt_u32_e64 v0, v33
	s_cbranch_execz .LBB503_518
; %bb.516:
	s_mov_b32 s13, 0
	s_lshl_b64 s[4:5], s[10:11], 3
	s_lshl_b64 s[6:7], s[12:13], 3
	s_delay_alu instid0(SALU_CYCLE_1) | instskip(SKIP_4) | instid1(VALU_DEP_1)
	s_add_u32 s0, s4, s6
	s_addc_u32 s3, s5, s7
	s_add_u32 s0, s18, s0
	s_addc_u32 s3, s19, s3
	v_add_co_u32 v1, s0, s0, v55
	v_add_co_ci_u32_e64 v2, null, s3, 0, s0
	.p2align	6
.LBB503_517:                            ; =>This Inner Loop Header: Depth=1
	ds_load_b64 v[3:4], v55
	v_add_nc_u32_e32 v0, 0x200, v0
	v_add_nc_u32_e32 v55, 0x1000, v55
	s_delay_alu instid0(VALU_DEP_2) | instskip(SKIP_4) | instid1(VALU_DEP_1)
	v_cmp_ge_u32_e32 vcc_lo, v0, v33
	s_or_b32 s13, vcc_lo, s13
	s_waitcnt lgkmcnt(0)
	global_store_b64 v[1:2], v[3:4], off
	v_add_co_u32 v1, s0, 0x1000, v1
	v_add_co_ci_u32_e64 v2, s0, 0, v2, s0
	s_and_not1_b32 exec_lo, exec_lo, s13
	s_cbranch_execnz .LBB503_517
.LBB503_518:
	s_or_b32 exec_lo, exec_lo, s1
	s_and_b32 s0, s2, s28
	s_delay_alu instid0(SALU_CYCLE_1)
	s_and_saveexec_b32 s1, s0
	s_cbranch_execnz .LBB503_497
.LBB503_519:
	s_nop 0
	s_sendmsg sendmsg(MSG_DEALLOC_VGPRS)
	s_endpgm
	.section	.rodata,"a",@progbits
	.p2align	6, 0x0
	.amdhsa_kernel _ZN7rocprim17ROCPRIM_400000_NS6detail17trampoline_kernelINS0_14default_configENS1_25partition_config_selectorILNS1_17partition_subalgoE9EllbEEZZNS1_14partition_implILS5_9ELb0ES3_jPlS8_PNS0_10empty_typeENS0_5tupleIJS8_S9_EEENSB_IJS8_SA_EEENS0_18inequality_wrapperIZN2at6native12_GLOBAL__N_124unique_dim_cuda_templateIiEESt5tupleIJNSF_6TensorESK_SK_EERKSK_lbbbEUlllE0_EEPmJS9_EEE10hipError_tPvRmT3_T4_T5_T6_T7_T9_mT8_P12ihipStream_tbDpT10_ENKUlT_T0_E_clISt17integral_constantIbLb0EES19_IbLb1EEEEDaS15_S16_EUlS15_E_NS1_11comp_targetILNS1_3genE9ELNS1_11target_archE1100ELNS1_3gpuE3ELNS1_3repE0EEENS1_30default_config_static_selectorELNS0_4arch9wavefront6targetE0EEEvT1_
		.amdhsa_group_segment_fixed_size 33804
		.amdhsa_private_segment_fixed_size 0
		.amdhsa_kernarg_size 136
		.amdhsa_user_sgpr_count 15
		.amdhsa_user_sgpr_dispatch_ptr 0
		.amdhsa_user_sgpr_queue_ptr 0
		.amdhsa_user_sgpr_kernarg_segment_ptr 1
		.amdhsa_user_sgpr_dispatch_id 0
		.amdhsa_user_sgpr_private_segment_size 0
		.amdhsa_wavefront_size32 1
		.amdhsa_uses_dynamic_stack 0
		.amdhsa_enable_private_segment 0
		.amdhsa_system_sgpr_workgroup_id_x 1
		.amdhsa_system_sgpr_workgroup_id_y 0
		.amdhsa_system_sgpr_workgroup_id_z 0
		.amdhsa_system_sgpr_workgroup_info 0
		.amdhsa_system_vgpr_workitem_id 0
		.amdhsa_next_free_vgpr 68
		.amdhsa_next_free_sgpr 40
		.amdhsa_reserve_vcc 1
		.amdhsa_float_round_mode_32 0
		.amdhsa_float_round_mode_16_64 0
		.amdhsa_float_denorm_mode_32 3
		.amdhsa_float_denorm_mode_16_64 3
		.amdhsa_dx10_clamp 1
		.amdhsa_ieee_mode 1
		.amdhsa_fp16_overflow 0
		.amdhsa_workgroup_processor_mode 1
		.amdhsa_memory_ordered 1
		.amdhsa_forward_progress 0
		.amdhsa_shared_vgpr_count 0
		.amdhsa_exception_fp_ieee_invalid_op 0
		.amdhsa_exception_fp_denorm_src 0
		.amdhsa_exception_fp_ieee_div_zero 0
		.amdhsa_exception_fp_ieee_overflow 0
		.amdhsa_exception_fp_ieee_underflow 0
		.amdhsa_exception_fp_ieee_inexact 0
		.amdhsa_exception_int_div_zero 0
	.end_amdhsa_kernel
	.section	.text._ZN7rocprim17ROCPRIM_400000_NS6detail17trampoline_kernelINS0_14default_configENS1_25partition_config_selectorILNS1_17partition_subalgoE9EllbEEZZNS1_14partition_implILS5_9ELb0ES3_jPlS8_PNS0_10empty_typeENS0_5tupleIJS8_S9_EEENSB_IJS8_SA_EEENS0_18inequality_wrapperIZN2at6native12_GLOBAL__N_124unique_dim_cuda_templateIiEESt5tupleIJNSF_6TensorESK_SK_EERKSK_lbbbEUlllE0_EEPmJS9_EEE10hipError_tPvRmT3_T4_T5_T6_T7_T9_mT8_P12ihipStream_tbDpT10_ENKUlT_T0_E_clISt17integral_constantIbLb0EES19_IbLb1EEEEDaS15_S16_EUlS15_E_NS1_11comp_targetILNS1_3genE9ELNS1_11target_archE1100ELNS1_3gpuE3ELNS1_3repE0EEENS1_30default_config_static_selectorELNS0_4arch9wavefront6targetE0EEEvT1_,"axG",@progbits,_ZN7rocprim17ROCPRIM_400000_NS6detail17trampoline_kernelINS0_14default_configENS1_25partition_config_selectorILNS1_17partition_subalgoE9EllbEEZZNS1_14partition_implILS5_9ELb0ES3_jPlS8_PNS0_10empty_typeENS0_5tupleIJS8_S9_EEENSB_IJS8_SA_EEENS0_18inequality_wrapperIZN2at6native12_GLOBAL__N_124unique_dim_cuda_templateIiEESt5tupleIJNSF_6TensorESK_SK_EERKSK_lbbbEUlllE0_EEPmJS9_EEE10hipError_tPvRmT3_T4_T5_T6_T7_T9_mT8_P12ihipStream_tbDpT10_ENKUlT_T0_E_clISt17integral_constantIbLb0EES19_IbLb1EEEEDaS15_S16_EUlS15_E_NS1_11comp_targetILNS1_3genE9ELNS1_11target_archE1100ELNS1_3gpuE3ELNS1_3repE0EEENS1_30default_config_static_selectorELNS0_4arch9wavefront6targetE0EEEvT1_,comdat
.Lfunc_end503:
	.size	_ZN7rocprim17ROCPRIM_400000_NS6detail17trampoline_kernelINS0_14default_configENS1_25partition_config_selectorILNS1_17partition_subalgoE9EllbEEZZNS1_14partition_implILS5_9ELb0ES3_jPlS8_PNS0_10empty_typeENS0_5tupleIJS8_S9_EEENSB_IJS8_SA_EEENS0_18inequality_wrapperIZN2at6native12_GLOBAL__N_124unique_dim_cuda_templateIiEESt5tupleIJNSF_6TensorESK_SK_EERKSK_lbbbEUlllE0_EEPmJS9_EEE10hipError_tPvRmT3_T4_T5_T6_T7_T9_mT8_P12ihipStream_tbDpT10_ENKUlT_T0_E_clISt17integral_constantIbLb0EES19_IbLb1EEEEDaS15_S16_EUlS15_E_NS1_11comp_targetILNS1_3genE9ELNS1_11target_archE1100ELNS1_3gpuE3ELNS1_3repE0EEENS1_30default_config_static_selectorELNS0_4arch9wavefront6targetE0EEEvT1_, .Lfunc_end503-_ZN7rocprim17ROCPRIM_400000_NS6detail17trampoline_kernelINS0_14default_configENS1_25partition_config_selectorILNS1_17partition_subalgoE9EllbEEZZNS1_14partition_implILS5_9ELb0ES3_jPlS8_PNS0_10empty_typeENS0_5tupleIJS8_S9_EEENSB_IJS8_SA_EEENS0_18inequality_wrapperIZN2at6native12_GLOBAL__N_124unique_dim_cuda_templateIiEESt5tupleIJNSF_6TensorESK_SK_EERKSK_lbbbEUlllE0_EEPmJS9_EEE10hipError_tPvRmT3_T4_T5_T6_T7_T9_mT8_P12ihipStream_tbDpT10_ENKUlT_T0_E_clISt17integral_constantIbLb0EES19_IbLb1EEEEDaS15_S16_EUlS15_E_NS1_11comp_targetILNS1_3genE9ELNS1_11target_archE1100ELNS1_3gpuE3ELNS1_3repE0EEENS1_30default_config_static_selectorELNS0_4arch9wavefront6targetE0EEEvT1_
                                        ; -- End function
	.section	.AMDGPU.csdata,"",@progbits
; Kernel info:
; codeLenInByte = 20632
; NumSgprs: 42
; NumVgprs: 68
; ScratchSize: 0
; MemoryBound: 0
; FloatMode: 240
; IeeeMode: 1
; LDSByteSize: 33804 bytes/workgroup (compile time only)
; SGPRBlocks: 5
; VGPRBlocks: 8
; NumSGPRsForWavesPerEU: 42
; NumVGPRsForWavesPerEU: 68
; Occupancy: 12
; WaveLimiterHint : 1
; COMPUTE_PGM_RSRC2:SCRATCH_EN: 0
; COMPUTE_PGM_RSRC2:USER_SGPR: 15
; COMPUTE_PGM_RSRC2:TRAP_HANDLER: 0
; COMPUTE_PGM_RSRC2:TGID_X_EN: 1
; COMPUTE_PGM_RSRC2:TGID_Y_EN: 0
; COMPUTE_PGM_RSRC2:TGID_Z_EN: 0
; COMPUTE_PGM_RSRC2:TIDIG_COMP_CNT: 0
	.section	.text._ZN7rocprim17ROCPRIM_400000_NS6detail17trampoline_kernelINS0_14default_configENS1_25partition_config_selectorILNS1_17partition_subalgoE9EllbEEZZNS1_14partition_implILS5_9ELb0ES3_jPlS8_PNS0_10empty_typeENS0_5tupleIJS8_S9_EEENSB_IJS8_SA_EEENS0_18inequality_wrapperIZN2at6native12_GLOBAL__N_124unique_dim_cuda_templateIiEESt5tupleIJNSF_6TensorESK_SK_EERKSK_lbbbEUlllE0_EEPmJS9_EEE10hipError_tPvRmT3_T4_T5_T6_T7_T9_mT8_P12ihipStream_tbDpT10_ENKUlT_T0_E_clISt17integral_constantIbLb0EES19_IbLb1EEEEDaS15_S16_EUlS15_E_NS1_11comp_targetILNS1_3genE8ELNS1_11target_archE1030ELNS1_3gpuE2ELNS1_3repE0EEENS1_30default_config_static_selectorELNS0_4arch9wavefront6targetE0EEEvT1_,"axG",@progbits,_ZN7rocprim17ROCPRIM_400000_NS6detail17trampoline_kernelINS0_14default_configENS1_25partition_config_selectorILNS1_17partition_subalgoE9EllbEEZZNS1_14partition_implILS5_9ELb0ES3_jPlS8_PNS0_10empty_typeENS0_5tupleIJS8_S9_EEENSB_IJS8_SA_EEENS0_18inequality_wrapperIZN2at6native12_GLOBAL__N_124unique_dim_cuda_templateIiEESt5tupleIJNSF_6TensorESK_SK_EERKSK_lbbbEUlllE0_EEPmJS9_EEE10hipError_tPvRmT3_T4_T5_T6_T7_T9_mT8_P12ihipStream_tbDpT10_ENKUlT_T0_E_clISt17integral_constantIbLb0EES19_IbLb1EEEEDaS15_S16_EUlS15_E_NS1_11comp_targetILNS1_3genE8ELNS1_11target_archE1030ELNS1_3gpuE2ELNS1_3repE0EEENS1_30default_config_static_selectorELNS0_4arch9wavefront6targetE0EEEvT1_,comdat
	.globl	_ZN7rocprim17ROCPRIM_400000_NS6detail17trampoline_kernelINS0_14default_configENS1_25partition_config_selectorILNS1_17partition_subalgoE9EllbEEZZNS1_14partition_implILS5_9ELb0ES3_jPlS8_PNS0_10empty_typeENS0_5tupleIJS8_S9_EEENSB_IJS8_SA_EEENS0_18inequality_wrapperIZN2at6native12_GLOBAL__N_124unique_dim_cuda_templateIiEESt5tupleIJNSF_6TensorESK_SK_EERKSK_lbbbEUlllE0_EEPmJS9_EEE10hipError_tPvRmT3_T4_T5_T6_T7_T9_mT8_P12ihipStream_tbDpT10_ENKUlT_T0_E_clISt17integral_constantIbLb0EES19_IbLb1EEEEDaS15_S16_EUlS15_E_NS1_11comp_targetILNS1_3genE8ELNS1_11target_archE1030ELNS1_3gpuE2ELNS1_3repE0EEENS1_30default_config_static_selectorELNS0_4arch9wavefront6targetE0EEEvT1_ ; -- Begin function _ZN7rocprim17ROCPRIM_400000_NS6detail17trampoline_kernelINS0_14default_configENS1_25partition_config_selectorILNS1_17partition_subalgoE9EllbEEZZNS1_14partition_implILS5_9ELb0ES3_jPlS8_PNS0_10empty_typeENS0_5tupleIJS8_S9_EEENSB_IJS8_SA_EEENS0_18inequality_wrapperIZN2at6native12_GLOBAL__N_124unique_dim_cuda_templateIiEESt5tupleIJNSF_6TensorESK_SK_EERKSK_lbbbEUlllE0_EEPmJS9_EEE10hipError_tPvRmT3_T4_T5_T6_T7_T9_mT8_P12ihipStream_tbDpT10_ENKUlT_T0_E_clISt17integral_constantIbLb0EES19_IbLb1EEEEDaS15_S16_EUlS15_E_NS1_11comp_targetILNS1_3genE8ELNS1_11target_archE1030ELNS1_3gpuE2ELNS1_3repE0EEENS1_30default_config_static_selectorELNS0_4arch9wavefront6targetE0EEEvT1_
	.p2align	8
	.type	_ZN7rocprim17ROCPRIM_400000_NS6detail17trampoline_kernelINS0_14default_configENS1_25partition_config_selectorILNS1_17partition_subalgoE9EllbEEZZNS1_14partition_implILS5_9ELb0ES3_jPlS8_PNS0_10empty_typeENS0_5tupleIJS8_S9_EEENSB_IJS8_SA_EEENS0_18inequality_wrapperIZN2at6native12_GLOBAL__N_124unique_dim_cuda_templateIiEESt5tupleIJNSF_6TensorESK_SK_EERKSK_lbbbEUlllE0_EEPmJS9_EEE10hipError_tPvRmT3_T4_T5_T6_T7_T9_mT8_P12ihipStream_tbDpT10_ENKUlT_T0_E_clISt17integral_constantIbLb0EES19_IbLb1EEEEDaS15_S16_EUlS15_E_NS1_11comp_targetILNS1_3genE8ELNS1_11target_archE1030ELNS1_3gpuE2ELNS1_3repE0EEENS1_30default_config_static_selectorELNS0_4arch9wavefront6targetE0EEEvT1_,@function
_ZN7rocprim17ROCPRIM_400000_NS6detail17trampoline_kernelINS0_14default_configENS1_25partition_config_selectorILNS1_17partition_subalgoE9EllbEEZZNS1_14partition_implILS5_9ELb0ES3_jPlS8_PNS0_10empty_typeENS0_5tupleIJS8_S9_EEENSB_IJS8_SA_EEENS0_18inequality_wrapperIZN2at6native12_GLOBAL__N_124unique_dim_cuda_templateIiEESt5tupleIJNSF_6TensorESK_SK_EERKSK_lbbbEUlllE0_EEPmJS9_EEE10hipError_tPvRmT3_T4_T5_T6_T7_T9_mT8_P12ihipStream_tbDpT10_ENKUlT_T0_E_clISt17integral_constantIbLb0EES19_IbLb1EEEEDaS15_S16_EUlS15_E_NS1_11comp_targetILNS1_3genE8ELNS1_11target_archE1030ELNS1_3gpuE2ELNS1_3repE0EEENS1_30default_config_static_selectorELNS0_4arch9wavefront6targetE0EEEvT1_: ; @_ZN7rocprim17ROCPRIM_400000_NS6detail17trampoline_kernelINS0_14default_configENS1_25partition_config_selectorILNS1_17partition_subalgoE9EllbEEZZNS1_14partition_implILS5_9ELb0ES3_jPlS8_PNS0_10empty_typeENS0_5tupleIJS8_S9_EEENSB_IJS8_SA_EEENS0_18inequality_wrapperIZN2at6native12_GLOBAL__N_124unique_dim_cuda_templateIiEESt5tupleIJNSF_6TensorESK_SK_EERKSK_lbbbEUlllE0_EEPmJS9_EEE10hipError_tPvRmT3_T4_T5_T6_T7_T9_mT8_P12ihipStream_tbDpT10_ENKUlT_T0_E_clISt17integral_constantIbLb0EES19_IbLb1EEEEDaS15_S16_EUlS15_E_NS1_11comp_targetILNS1_3genE8ELNS1_11target_archE1030ELNS1_3gpuE2ELNS1_3repE0EEENS1_30default_config_static_selectorELNS0_4arch9wavefront6targetE0EEEvT1_
; %bb.0:
	.section	.rodata,"a",@progbits
	.p2align	6, 0x0
	.amdhsa_kernel _ZN7rocprim17ROCPRIM_400000_NS6detail17trampoline_kernelINS0_14default_configENS1_25partition_config_selectorILNS1_17partition_subalgoE9EllbEEZZNS1_14partition_implILS5_9ELb0ES3_jPlS8_PNS0_10empty_typeENS0_5tupleIJS8_S9_EEENSB_IJS8_SA_EEENS0_18inequality_wrapperIZN2at6native12_GLOBAL__N_124unique_dim_cuda_templateIiEESt5tupleIJNSF_6TensorESK_SK_EERKSK_lbbbEUlllE0_EEPmJS9_EEE10hipError_tPvRmT3_T4_T5_T6_T7_T9_mT8_P12ihipStream_tbDpT10_ENKUlT_T0_E_clISt17integral_constantIbLb0EES19_IbLb1EEEEDaS15_S16_EUlS15_E_NS1_11comp_targetILNS1_3genE8ELNS1_11target_archE1030ELNS1_3gpuE2ELNS1_3repE0EEENS1_30default_config_static_selectorELNS0_4arch9wavefront6targetE0EEEvT1_
		.amdhsa_group_segment_fixed_size 0
		.amdhsa_private_segment_fixed_size 0
		.amdhsa_kernarg_size 136
		.amdhsa_user_sgpr_count 15
		.amdhsa_user_sgpr_dispatch_ptr 0
		.amdhsa_user_sgpr_queue_ptr 0
		.amdhsa_user_sgpr_kernarg_segment_ptr 1
		.amdhsa_user_sgpr_dispatch_id 0
		.amdhsa_user_sgpr_private_segment_size 0
		.amdhsa_wavefront_size32 1
		.amdhsa_uses_dynamic_stack 0
		.amdhsa_enable_private_segment 0
		.amdhsa_system_sgpr_workgroup_id_x 1
		.amdhsa_system_sgpr_workgroup_id_y 0
		.amdhsa_system_sgpr_workgroup_id_z 0
		.amdhsa_system_sgpr_workgroup_info 0
		.amdhsa_system_vgpr_workitem_id 0
		.amdhsa_next_free_vgpr 1
		.amdhsa_next_free_sgpr 1
		.amdhsa_reserve_vcc 0
		.amdhsa_float_round_mode_32 0
		.amdhsa_float_round_mode_16_64 0
		.amdhsa_float_denorm_mode_32 3
		.amdhsa_float_denorm_mode_16_64 3
		.amdhsa_dx10_clamp 1
		.amdhsa_ieee_mode 1
		.amdhsa_fp16_overflow 0
		.amdhsa_workgroup_processor_mode 1
		.amdhsa_memory_ordered 1
		.amdhsa_forward_progress 0
		.amdhsa_shared_vgpr_count 0
		.amdhsa_exception_fp_ieee_invalid_op 0
		.amdhsa_exception_fp_denorm_src 0
		.amdhsa_exception_fp_ieee_div_zero 0
		.amdhsa_exception_fp_ieee_overflow 0
		.amdhsa_exception_fp_ieee_underflow 0
		.amdhsa_exception_fp_ieee_inexact 0
		.amdhsa_exception_int_div_zero 0
	.end_amdhsa_kernel
	.section	.text._ZN7rocprim17ROCPRIM_400000_NS6detail17trampoline_kernelINS0_14default_configENS1_25partition_config_selectorILNS1_17partition_subalgoE9EllbEEZZNS1_14partition_implILS5_9ELb0ES3_jPlS8_PNS0_10empty_typeENS0_5tupleIJS8_S9_EEENSB_IJS8_SA_EEENS0_18inequality_wrapperIZN2at6native12_GLOBAL__N_124unique_dim_cuda_templateIiEESt5tupleIJNSF_6TensorESK_SK_EERKSK_lbbbEUlllE0_EEPmJS9_EEE10hipError_tPvRmT3_T4_T5_T6_T7_T9_mT8_P12ihipStream_tbDpT10_ENKUlT_T0_E_clISt17integral_constantIbLb0EES19_IbLb1EEEEDaS15_S16_EUlS15_E_NS1_11comp_targetILNS1_3genE8ELNS1_11target_archE1030ELNS1_3gpuE2ELNS1_3repE0EEENS1_30default_config_static_selectorELNS0_4arch9wavefront6targetE0EEEvT1_,"axG",@progbits,_ZN7rocprim17ROCPRIM_400000_NS6detail17trampoline_kernelINS0_14default_configENS1_25partition_config_selectorILNS1_17partition_subalgoE9EllbEEZZNS1_14partition_implILS5_9ELb0ES3_jPlS8_PNS0_10empty_typeENS0_5tupleIJS8_S9_EEENSB_IJS8_SA_EEENS0_18inequality_wrapperIZN2at6native12_GLOBAL__N_124unique_dim_cuda_templateIiEESt5tupleIJNSF_6TensorESK_SK_EERKSK_lbbbEUlllE0_EEPmJS9_EEE10hipError_tPvRmT3_T4_T5_T6_T7_T9_mT8_P12ihipStream_tbDpT10_ENKUlT_T0_E_clISt17integral_constantIbLb0EES19_IbLb1EEEEDaS15_S16_EUlS15_E_NS1_11comp_targetILNS1_3genE8ELNS1_11target_archE1030ELNS1_3gpuE2ELNS1_3repE0EEENS1_30default_config_static_selectorELNS0_4arch9wavefront6targetE0EEEvT1_,comdat
.Lfunc_end504:
	.size	_ZN7rocprim17ROCPRIM_400000_NS6detail17trampoline_kernelINS0_14default_configENS1_25partition_config_selectorILNS1_17partition_subalgoE9EllbEEZZNS1_14partition_implILS5_9ELb0ES3_jPlS8_PNS0_10empty_typeENS0_5tupleIJS8_S9_EEENSB_IJS8_SA_EEENS0_18inequality_wrapperIZN2at6native12_GLOBAL__N_124unique_dim_cuda_templateIiEESt5tupleIJNSF_6TensorESK_SK_EERKSK_lbbbEUlllE0_EEPmJS9_EEE10hipError_tPvRmT3_T4_T5_T6_T7_T9_mT8_P12ihipStream_tbDpT10_ENKUlT_T0_E_clISt17integral_constantIbLb0EES19_IbLb1EEEEDaS15_S16_EUlS15_E_NS1_11comp_targetILNS1_3genE8ELNS1_11target_archE1030ELNS1_3gpuE2ELNS1_3repE0EEENS1_30default_config_static_selectorELNS0_4arch9wavefront6targetE0EEEvT1_, .Lfunc_end504-_ZN7rocprim17ROCPRIM_400000_NS6detail17trampoline_kernelINS0_14default_configENS1_25partition_config_selectorILNS1_17partition_subalgoE9EllbEEZZNS1_14partition_implILS5_9ELb0ES3_jPlS8_PNS0_10empty_typeENS0_5tupleIJS8_S9_EEENSB_IJS8_SA_EEENS0_18inequality_wrapperIZN2at6native12_GLOBAL__N_124unique_dim_cuda_templateIiEESt5tupleIJNSF_6TensorESK_SK_EERKSK_lbbbEUlllE0_EEPmJS9_EEE10hipError_tPvRmT3_T4_T5_T6_T7_T9_mT8_P12ihipStream_tbDpT10_ENKUlT_T0_E_clISt17integral_constantIbLb0EES19_IbLb1EEEEDaS15_S16_EUlS15_E_NS1_11comp_targetILNS1_3genE8ELNS1_11target_archE1030ELNS1_3gpuE2ELNS1_3repE0EEENS1_30default_config_static_selectorELNS0_4arch9wavefront6targetE0EEEvT1_
                                        ; -- End function
	.section	.AMDGPU.csdata,"",@progbits
; Kernel info:
; codeLenInByte = 0
; NumSgprs: 0
; NumVgprs: 0
; ScratchSize: 0
; MemoryBound: 0
; FloatMode: 240
; IeeeMode: 1
; LDSByteSize: 0 bytes/workgroup (compile time only)
; SGPRBlocks: 0
; VGPRBlocks: 0
; NumSGPRsForWavesPerEU: 1
; NumVGPRsForWavesPerEU: 1
; Occupancy: 16
; WaveLimiterHint : 0
; COMPUTE_PGM_RSRC2:SCRATCH_EN: 0
; COMPUTE_PGM_RSRC2:USER_SGPR: 15
; COMPUTE_PGM_RSRC2:TRAP_HANDLER: 0
; COMPUTE_PGM_RSRC2:TGID_X_EN: 1
; COMPUTE_PGM_RSRC2:TGID_Y_EN: 0
; COMPUTE_PGM_RSRC2:TGID_Z_EN: 0
; COMPUTE_PGM_RSRC2:TIDIG_COMP_CNT: 0
	.section	.text._ZN7rocprim17ROCPRIM_400000_NS6detail17trampoline_kernelINS0_14default_configENS1_37merge_sort_block_sort_config_selectorIlNS0_10empty_typeEEEZNS1_21merge_sort_block_sortIS3_PlS8_PS5_S9_ZN2at6native12_GLOBAL__N_124unique_dim_cuda_templateIlEESt5tupleIJNSA_6TensorESF_SF_EERKSF_lbbbEUlllE_EE10hipError_tT0_T1_T2_T3_mRjT4_P12ihipStream_tbNS1_7vsmem_tEEUlT_E_NS1_11comp_targetILNS1_3genE0ELNS1_11target_archE4294967295ELNS1_3gpuE0ELNS1_3repE0EEENS1_30default_config_static_selectorELNS0_4arch9wavefront6targetE0EEEvSM_,"axG",@progbits,_ZN7rocprim17ROCPRIM_400000_NS6detail17trampoline_kernelINS0_14default_configENS1_37merge_sort_block_sort_config_selectorIlNS0_10empty_typeEEEZNS1_21merge_sort_block_sortIS3_PlS8_PS5_S9_ZN2at6native12_GLOBAL__N_124unique_dim_cuda_templateIlEESt5tupleIJNSA_6TensorESF_SF_EERKSF_lbbbEUlllE_EE10hipError_tT0_T1_T2_T3_mRjT4_P12ihipStream_tbNS1_7vsmem_tEEUlT_E_NS1_11comp_targetILNS1_3genE0ELNS1_11target_archE4294967295ELNS1_3gpuE0ELNS1_3repE0EEENS1_30default_config_static_selectorELNS0_4arch9wavefront6targetE0EEEvSM_,comdat
	.globl	_ZN7rocprim17ROCPRIM_400000_NS6detail17trampoline_kernelINS0_14default_configENS1_37merge_sort_block_sort_config_selectorIlNS0_10empty_typeEEEZNS1_21merge_sort_block_sortIS3_PlS8_PS5_S9_ZN2at6native12_GLOBAL__N_124unique_dim_cuda_templateIlEESt5tupleIJNSA_6TensorESF_SF_EERKSF_lbbbEUlllE_EE10hipError_tT0_T1_T2_T3_mRjT4_P12ihipStream_tbNS1_7vsmem_tEEUlT_E_NS1_11comp_targetILNS1_3genE0ELNS1_11target_archE4294967295ELNS1_3gpuE0ELNS1_3repE0EEENS1_30default_config_static_selectorELNS0_4arch9wavefront6targetE0EEEvSM_ ; -- Begin function _ZN7rocprim17ROCPRIM_400000_NS6detail17trampoline_kernelINS0_14default_configENS1_37merge_sort_block_sort_config_selectorIlNS0_10empty_typeEEEZNS1_21merge_sort_block_sortIS3_PlS8_PS5_S9_ZN2at6native12_GLOBAL__N_124unique_dim_cuda_templateIlEESt5tupleIJNSA_6TensorESF_SF_EERKSF_lbbbEUlllE_EE10hipError_tT0_T1_T2_T3_mRjT4_P12ihipStream_tbNS1_7vsmem_tEEUlT_E_NS1_11comp_targetILNS1_3genE0ELNS1_11target_archE4294967295ELNS1_3gpuE0ELNS1_3repE0EEENS1_30default_config_static_selectorELNS0_4arch9wavefront6targetE0EEEvSM_
	.p2align	8
	.type	_ZN7rocprim17ROCPRIM_400000_NS6detail17trampoline_kernelINS0_14default_configENS1_37merge_sort_block_sort_config_selectorIlNS0_10empty_typeEEEZNS1_21merge_sort_block_sortIS3_PlS8_PS5_S9_ZN2at6native12_GLOBAL__N_124unique_dim_cuda_templateIlEESt5tupleIJNSA_6TensorESF_SF_EERKSF_lbbbEUlllE_EE10hipError_tT0_T1_T2_T3_mRjT4_P12ihipStream_tbNS1_7vsmem_tEEUlT_E_NS1_11comp_targetILNS1_3genE0ELNS1_11target_archE4294967295ELNS1_3gpuE0ELNS1_3repE0EEENS1_30default_config_static_selectorELNS0_4arch9wavefront6targetE0EEEvSM_,@function
_ZN7rocprim17ROCPRIM_400000_NS6detail17trampoline_kernelINS0_14default_configENS1_37merge_sort_block_sort_config_selectorIlNS0_10empty_typeEEEZNS1_21merge_sort_block_sortIS3_PlS8_PS5_S9_ZN2at6native12_GLOBAL__N_124unique_dim_cuda_templateIlEESt5tupleIJNSA_6TensorESF_SF_EERKSF_lbbbEUlllE_EE10hipError_tT0_T1_T2_T3_mRjT4_P12ihipStream_tbNS1_7vsmem_tEEUlT_E_NS1_11comp_targetILNS1_3genE0ELNS1_11target_archE4294967295ELNS1_3gpuE0ELNS1_3repE0EEENS1_30default_config_static_selectorELNS0_4arch9wavefront6targetE0EEEvSM_: ; @_ZN7rocprim17ROCPRIM_400000_NS6detail17trampoline_kernelINS0_14default_configENS1_37merge_sort_block_sort_config_selectorIlNS0_10empty_typeEEEZNS1_21merge_sort_block_sortIS3_PlS8_PS5_S9_ZN2at6native12_GLOBAL__N_124unique_dim_cuda_templateIlEESt5tupleIJNSA_6TensorESF_SF_EERKSF_lbbbEUlllE_EE10hipError_tT0_T1_T2_T3_mRjT4_P12ihipStream_tbNS1_7vsmem_tEEUlT_E_NS1_11comp_targetILNS1_3genE0ELNS1_11target_archE4294967295ELNS1_3gpuE0ELNS1_3repE0EEENS1_30default_config_static_selectorELNS0_4arch9wavefront6targetE0EEEvSM_
; %bb.0:
	.section	.rodata,"a",@progbits
	.p2align	6, 0x0
	.amdhsa_kernel _ZN7rocprim17ROCPRIM_400000_NS6detail17trampoline_kernelINS0_14default_configENS1_37merge_sort_block_sort_config_selectorIlNS0_10empty_typeEEEZNS1_21merge_sort_block_sortIS3_PlS8_PS5_S9_ZN2at6native12_GLOBAL__N_124unique_dim_cuda_templateIlEESt5tupleIJNSA_6TensorESF_SF_EERKSF_lbbbEUlllE_EE10hipError_tT0_T1_T2_T3_mRjT4_P12ihipStream_tbNS1_7vsmem_tEEUlT_E_NS1_11comp_targetILNS1_3genE0ELNS1_11target_archE4294967295ELNS1_3gpuE0ELNS1_3repE0EEENS1_30default_config_static_selectorELNS0_4arch9wavefront6targetE0EEEvSM_
		.amdhsa_group_segment_fixed_size 0
		.amdhsa_private_segment_fixed_size 0
		.amdhsa_kernarg_size 72
		.amdhsa_user_sgpr_count 15
		.amdhsa_user_sgpr_dispatch_ptr 0
		.amdhsa_user_sgpr_queue_ptr 0
		.amdhsa_user_sgpr_kernarg_segment_ptr 1
		.amdhsa_user_sgpr_dispatch_id 0
		.amdhsa_user_sgpr_private_segment_size 0
		.amdhsa_wavefront_size32 1
		.amdhsa_uses_dynamic_stack 0
		.amdhsa_enable_private_segment 0
		.amdhsa_system_sgpr_workgroup_id_x 1
		.amdhsa_system_sgpr_workgroup_id_y 0
		.amdhsa_system_sgpr_workgroup_id_z 0
		.amdhsa_system_sgpr_workgroup_info 0
		.amdhsa_system_vgpr_workitem_id 0
		.amdhsa_next_free_vgpr 1
		.amdhsa_next_free_sgpr 1
		.amdhsa_reserve_vcc 0
		.amdhsa_float_round_mode_32 0
		.amdhsa_float_round_mode_16_64 0
		.amdhsa_float_denorm_mode_32 3
		.amdhsa_float_denorm_mode_16_64 3
		.amdhsa_dx10_clamp 1
		.amdhsa_ieee_mode 1
		.amdhsa_fp16_overflow 0
		.amdhsa_workgroup_processor_mode 1
		.amdhsa_memory_ordered 1
		.amdhsa_forward_progress 0
		.amdhsa_shared_vgpr_count 0
		.amdhsa_exception_fp_ieee_invalid_op 0
		.amdhsa_exception_fp_denorm_src 0
		.amdhsa_exception_fp_ieee_div_zero 0
		.amdhsa_exception_fp_ieee_overflow 0
		.amdhsa_exception_fp_ieee_underflow 0
		.amdhsa_exception_fp_ieee_inexact 0
		.amdhsa_exception_int_div_zero 0
	.end_amdhsa_kernel
	.section	.text._ZN7rocprim17ROCPRIM_400000_NS6detail17trampoline_kernelINS0_14default_configENS1_37merge_sort_block_sort_config_selectorIlNS0_10empty_typeEEEZNS1_21merge_sort_block_sortIS3_PlS8_PS5_S9_ZN2at6native12_GLOBAL__N_124unique_dim_cuda_templateIlEESt5tupleIJNSA_6TensorESF_SF_EERKSF_lbbbEUlllE_EE10hipError_tT0_T1_T2_T3_mRjT4_P12ihipStream_tbNS1_7vsmem_tEEUlT_E_NS1_11comp_targetILNS1_3genE0ELNS1_11target_archE4294967295ELNS1_3gpuE0ELNS1_3repE0EEENS1_30default_config_static_selectorELNS0_4arch9wavefront6targetE0EEEvSM_,"axG",@progbits,_ZN7rocprim17ROCPRIM_400000_NS6detail17trampoline_kernelINS0_14default_configENS1_37merge_sort_block_sort_config_selectorIlNS0_10empty_typeEEEZNS1_21merge_sort_block_sortIS3_PlS8_PS5_S9_ZN2at6native12_GLOBAL__N_124unique_dim_cuda_templateIlEESt5tupleIJNSA_6TensorESF_SF_EERKSF_lbbbEUlllE_EE10hipError_tT0_T1_T2_T3_mRjT4_P12ihipStream_tbNS1_7vsmem_tEEUlT_E_NS1_11comp_targetILNS1_3genE0ELNS1_11target_archE4294967295ELNS1_3gpuE0ELNS1_3repE0EEENS1_30default_config_static_selectorELNS0_4arch9wavefront6targetE0EEEvSM_,comdat
.Lfunc_end505:
	.size	_ZN7rocprim17ROCPRIM_400000_NS6detail17trampoline_kernelINS0_14default_configENS1_37merge_sort_block_sort_config_selectorIlNS0_10empty_typeEEEZNS1_21merge_sort_block_sortIS3_PlS8_PS5_S9_ZN2at6native12_GLOBAL__N_124unique_dim_cuda_templateIlEESt5tupleIJNSA_6TensorESF_SF_EERKSF_lbbbEUlllE_EE10hipError_tT0_T1_T2_T3_mRjT4_P12ihipStream_tbNS1_7vsmem_tEEUlT_E_NS1_11comp_targetILNS1_3genE0ELNS1_11target_archE4294967295ELNS1_3gpuE0ELNS1_3repE0EEENS1_30default_config_static_selectorELNS0_4arch9wavefront6targetE0EEEvSM_, .Lfunc_end505-_ZN7rocprim17ROCPRIM_400000_NS6detail17trampoline_kernelINS0_14default_configENS1_37merge_sort_block_sort_config_selectorIlNS0_10empty_typeEEEZNS1_21merge_sort_block_sortIS3_PlS8_PS5_S9_ZN2at6native12_GLOBAL__N_124unique_dim_cuda_templateIlEESt5tupleIJNSA_6TensorESF_SF_EERKSF_lbbbEUlllE_EE10hipError_tT0_T1_T2_T3_mRjT4_P12ihipStream_tbNS1_7vsmem_tEEUlT_E_NS1_11comp_targetILNS1_3genE0ELNS1_11target_archE4294967295ELNS1_3gpuE0ELNS1_3repE0EEENS1_30default_config_static_selectorELNS0_4arch9wavefront6targetE0EEEvSM_
                                        ; -- End function
	.section	.AMDGPU.csdata,"",@progbits
; Kernel info:
; codeLenInByte = 0
; NumSgprs: 0
; NumVgprs: 0
; ScratchSize: 0
; MemoryBound: 0
; FloatMode: 240
; IeeeMode: 1
; LDSByteSize: 0 bytes/workgroup (compile time only)
; SGPRBlocks: 0
; VGPRBlocks: 0
; NumSGPRsForWavesPerEU: 1
; NumVGPRsForWavesPerEU: 1
; Occupancy: 16
; WaveLimiterHint : 0
; COMPUTE_PGM_RSRC2:SCRATCH_EN: 0
; COMPUTE_PGM_RSRC2:USER_SGPR: 15
; COMPUTE_PGM_RSRC2:TRAP_HANDLER: 0
; COMPUTE_PGM_RSRC2:TGID_X_EN: 1
; COMPUTE_PGM_RSRC2:TGID_Y_EN: 0
; COMPUTE_PGM_RSRC2:TGID_Z_EN: 0
; COMPUTE_PGM_RSRC2:TIDIG_COMP_CNT: 0
	.section	.text._ZN7rocprim17ROCPRIM_400000_NS6detail17trampoline_kernelINS0_14default_configENS1_37merge_sort_block_sort_config_selectorIlNS0_10empty_typeEEEZNS1_21merge_sort_block_sortIS3_PlS8_PS5_S9_ZN2at6native12_GLOBAL__N_124unique_dim_cuda_templateIlEESt5tupleIJNSA_6TensorESF_SF_EERKSF_lbbbEUlllE_EE10hipError_tT0_T1_T2_T3_mRjT4_P12ihipStream_tbNS1_7vsmem_tEEUlT_E_NS1_11comp_targetILNS1_3genE5ELNS1_11target_archE942ELNS1_3gpuE9ELNS1_3repE0EEENS1_30default_config_static_selectorELNS0_4arch9wavefront6targetE0EEEvSM_,"axG",@progbits,_ZN7rocprim17ROCPRIM_400000_NS6detail17trampoline_kernelINS0_14default_configENS1_37merge_sort_block_sort_config_selectorIlNS0_10empty_typeEEEZNS1_21merge_sort_block_sortIS3_PlS8_PS5_S9_ZN2at6native12_GLOBAL__N_124unique_dim_cuda_templateIlEESt5tupleIJNSA_6TensorESF_SF_EERKSF_lbbbEUlllE_EE10hipError_tT0_T1_T2_T3_mRjT4_P12ihipStream_tbNS1_7vsmem_tEEUlT_E_NS1_11comp_targetILNS1_3genE5ELNS1_11target_archE942ELNS1_3gpuE9ELNS1_3repE0EEENS1_30default_config_static_selectorELNS0_4arch9wavefront6targetE0EEEvSM_,comdat
	.globl	_ZN7rocprim17ROCPRIM_400000_NS6detail17trampoline_kernelINS0_14default_configENS1_37merge_sort_block_sort_config_selectorIlNS0_10empty_typeEEEZNS1_21merge_sort_block_sortIS3_PlS8_PS5_S9_ZN2at6native12_GLOBAL__N_124unique_dim_cuda_templateIlEESt5tupleIJNSA_6TensorESF_SF_EERKSF_lbbbEUlllE_EE10hipError_tT0_T1_T2_T3_mRjT4_P12ihipStream_tbNS1_7vsmem_tEEUlT_E_NS1_11comp_targetILNS1_3genE5ELNS1_11target_archE942ELNS1_3gpuE9ELNS1_3repE0EEENS1_30default_config_static_selectorELNS0_4arch9wavefront6targetE0EEEvSM_ ; -- Begin function _ZN7rocprim17ROCPRIM_400000_NS6detail17trampoline_kernelINS0_14default_configENS1_37merge_sort_block_sort_config_selectorIlNS0_10empty_typeEEEZNS1_21merge_sort_block_sortIS3_PlS8_PS5_S9_ZN2at6native12_GLOBAL__N_124unique_dim_cuda_templateIlEESt5tupleIJNSA_6TensorESF_SF_EERKSF_lbbbEUlllE_EE10hipError_tT0_T1_T2_T3_mRjT4_P12ihipStream_tbNS1_7vsmem_tEEUlT_E_NS1_11comp_targetILNS1_3genE5ELNS1_11target_archE942ELNS1_3gpuE9ELNS1_3repE0EEENS1_30default_config_static_selectorELNS0_4arch9wavefront6targetE0EEEvSM_
	.p2align	8
	.type	_ZN7rocprim17ROCPRIM_400000_NS6detail17trampoline_kernelINS0_14default_configENS1_37merge_sort_block_sort_config_selectorIlNS0_10empty_typeEEEZNS1_21merge_sort_block_sortIS3_PlS8_PS5_S9_ZN2at6native12_GLOBAL__N_124unique_dim_cuda_templateIlEESt5tupleIJNSA_6TensorESF_SF_EERKSF_lbbbEUlllE_EE10hipError_tT0_T1_T2_T3_mRjT4_P12ihipStream_tbNS1_7vsmem_tEEUlT_E_NS1_11comp_targetILNS1_3genE5ELNS1_11target_archE942ELNS1_3gpuE9ELNS1_3repE0EEENS1_30default_config_static_selectorELNS0_4arch9wavefront6targetE0EEEvSM_,@function
_ZN7rocprim17ROCPRIM_400000_NS6detail17trampoline_kernelINS0_14default_configENS1_37merge_sort_block_sort_config_selectorIlNS0_10empty_typeEEEZNS1_21merge_sort_block_sortIS3_PlS8_PS5_S9_ZN2at6native12_GLOBAL__N_124unique_dim_cuda_templateIlEESt5tupleIJNSA_6TensorESF_SF_EERKSF_lbbbEUlllE_EE10hipError_tT0_T1_T2_T3_mRjT4_P12ihipStream_tbNS1_7vsmem_tEEUlT_E_NS1_11comp_targetILNS1_3genE5ELNS1_11target_archE942ELNS1_3gpuE9ELNS1_3repE0EEENS1_30default_config_static_selectorELNS0_4arch9wavefront6targetE0EEEvSM_: ; @_ZN7rocprim17ROCPRIM_400000_NS6detail17trampoline_kernelINS0_14default_configENS1_37merge_sort_block_sort_config_selectorIlNS0_10empty_typeEEEZNS1_21merge_sort_block_sortIS3_PlS8_PS5_S9_ZN2at6native12_GLOBAL__N_124unique_dim_cuda_templateIlEESt5tupleIJNSA_6TensorESF_SF_EERKSF_lbbbEUlllE_EE10hipError_tT0_T1_T2_T3_mRjT4_P12ihipStream_tbNS1_7vsmem_tEEUlT_E_NS1_11comp_targetILNS1_3genE5ELNS1_11target_archE942ELNS1_3gpuE9ELNS1_3repE0EEENS1_30default_config_static_selectorELNS0_4arch9wavefront6targetE0EEEvSM_
; %bb.0:
	.section	.rodata,"a",@progbits
	.p2align	6, 0x0
	.amdhsa_kernel _ZN7rocprim17ROCPRIM_400000_NS6detail17trampoline_kernelINS0_14default_configENS1_37merge_sort_block_sort_config_selectorIlNS0_10empty_typeEEEZNS1_21merge_sort_block_sortIS3_PlS8_PS5_S9_ZN2at6native12_GLOBAL__N_124unique_dim_cuda_templateIlEESt5tupleIJNSA_6TensorESF_SF_EERKSF_lbbbEUlllE_EE10hipError_tT0_T1_T2_T3_mRjT4_P12ihipStream_tbNS1_7vsmem_tEEUlT_E_NS1_11comp_targetILNS1_3genE5ELNS1_11target_archE942ELNS1_3gpuE9ELNS1_3repE0EEENS1_30default_config_static_selectorELNS0_4arch9wavefront6targetE0EEEvSM_
		.amdhsa_group_segment_fixed_size 0
		.amdhsa_private_segment_fixed_size 0
		.amdhsa_kernarg_size 72
		.amdhsa_user_sgpr_count 15
		.amdhsa_user_sgpr_dispatch_ptr 0
		.amdhsa_user_sgpr_queue_ptr 0
		.amdhsa_user_sgpr_kernarg_segment_ptr 1
		.amdhsa_user_sgpr_dispatch_id 0
		.amdhsa_user_sgpr_private_segment_size 0
		.amdhsa_wavefront_size32 1
		.amdhsa_uses_dynamic_stack 0
		.amdhsa_enable_private_segment 0
		.amdhsa_system_sgpr_workgroup_id_x 1
		.amdhsa_system_sgpr_workgroup_id_y 0
		.amdhsa_system_sgpr_workgroup_id_z 0
		.amdhsa_system_sgpr_workgroup_info 0
		.amdhsa_system_vgpr_workitem_id 0
		.amdhsa_next_free_vgpr 1
		.amdhsa_next_free_sgpr 1
		.amdhsa_reserve_vcc 0
		.amdhsa_float_round_mode_32 0
		.amdhsa_float_round_mode_16_64 0
		.amdhsa_float_denorm_mode_32 3
		.amdhsa_float_denorm_mode_16_64 3
		.amdhsa_dx10_clamp 1
		.amdhsa_ieee_mode 1
		.amdhsa_fp16_overflow 0
		.amdhsa_workgroup_processor_mode 1
		.amdhsa_memory_ordered 1
		.amdhsa_forward_progress 0
		.amdhsa_shared_vgpr_count 0
		.amdhsa_exception_fp_ieee_invalid_op 0
		.amdhsa_exception_fp_denorm_src 0
		.amdhsa_exception_fp_ieee_div_zero 0
		.amdhsa_exception_fp_ieee_overflow 0
		.amdhsa_exception_fp_ieee_underflow 0
		.amdhsa_exception_fp_ieee_inexact 0
		.amdhsa_exception_int_div_zero 0
	.end_amdhsa_kernel
	.section	.text._ZN7rocprim17ROCPRIM_400000_NS6detail17trampoline_kernelINS0_14default_configENS1_37merge_sort_block_sort_config_selectorIlNS0_10empty_typeEEEZNS1_21merge_sort_block_sortIS3_PlS8_PS5_S9_ZN2at6native12_GLOBAL__N_124unique_dim_cuda_templateIlEESt5tupleIJNSA_6TensorESF_SF_EERKSF_lbbbEUlllE_EE10hipError_tT0_T1_T2_T3_mRjT4_P12ihipStream_tbNS1_7vsmem_tEEUlT_E_NS1_11comp_targetILNS1_3genE5ELNS1_11target_archE942ELNS1_3gpuE9ELNS1_3repE0EEENS1_30default_config_static_selectorELNS0_4arch9wavefront6targetE0EEEvSM_,"axG",@progbits,_ZN7rocprim17ROCPRIM_400000_NS6detail17trampoline_kernelINS0_14default_configENS1_37merge_sort_block_sort_config_selectorIlNS0_10empty_typeEEEZNS1_21merge_sort_block_sortIS3_PlS8_PS5_S9_ZN2at6native12_GLOBAL__N_124unique_dim_cuda_templateIlEESt5tupleIJNSA_6TensorESF_SF_EERKSF_lbbbEUlllE_EE10hipError_tT0_T1_T2_T3_mRjT4_P12ihipStream_tbNS1_7vsmem_tEEUlT_E_NS1_11comp_targetILNS1_3genE5ELNS1_11target_archE942ELNS1_3gpuE9ELNS1_3repE0EEENS1_30default_config_static_selectorELNS0_4arch9wavefront6targetE0EEEvSM_,comdat
.Lfunc_end506:
	.size	_ZN7rocprim17ROCPRIM_400000_NS6detail17trampoline_kernelINS0_14default_configENS1_37merge_sort_block_sort_config_selectorIlNS0_10empty_typeEEEZNS1_21merge_sort_block_sortIS3_PlS8_PS5_S9_ZN2at6native12_GLOBAL__N_124unique_dim_cuda_templateIlEESt5tupleIJNSA_6TensorESF_SF_EERKSF_lbbbEUlllE_EE10hipError_tT0_T1_T2_T3_mRjT4_P12ihipStream_tbNS1_7vsmem_tEEUlT_E_NS1_11comp_targetILNS1_3genE5ELNS1_11target_archE942ELNS1_3gpuE9ELNS1_3repE0EEENS1_30default_config_static_selectorELNS0_4arch9wavefront6targetE0EEEvSM_, .Lfunc_end506-_ZN7rocprim17ROCPRIM_400000_NS6detail17trampoline_kernelINS0_14default_configENS1_37merge_sort_block_sort_config_selectorIlNS0_10empty_typeEEEZNS1_21merge_sort_block_sortIS3_PlS8_PS5_S9_ZN2at6native12_GLOBAL__N_124unique_dim_cuda_templateIlEESt5tupleIJNSA_6TensorESF_SF_EERKSF_lbbbEUlllE_EE10hipError_tT0_T1_T2_T3_mRjT4_P12ihipStream_tbNS1_7vsmem_tEEUlT_E_NS1_11comp_targetILNS1_3genE5ELNS1_11target_archE942ELNS1_3gpuE9ELNS1_3repE0EEENS1_30default_config_static_selectorELNS0_4arch9wavefront6targetE0EEEvSM_
                                        ; -- End function
	.section	.AMDGPU.csdata,"",@progbits
; Kernel info:
; codeLenInByte = 0
; NumSgprs: 0
; NumVgprs: 0
; ScratchSize: 0
; MemoryBound: 0
; FloatMode: 240
; IeeeMode: 1
; LDSByteSize: 0 bytes/workgroup (compile time only)
; SGPRBlocks: 0
; VGPRBlocks: 0
; NumSGPRsForWavesPerEU: 1
; NumVGPRsForWavesPerEU: 1
; Occupancy: 16
; WaveLimiterHint : 0
; COMPUTE_PGM_RSRC2:SCRATCH_EN: 0
; COMPUTE_PGM_RSRC2:USER_SGPR: 15
; COMPUTE_PGM_RSRC2:TRAP_HANDLER: 0
; COMPUTE_PGM_RSRC2:TGID_X_EN: 1
; COMPUTE_PGM_RSRC2:TGID_Y_EN: 0
; COMPUTE_PGM_RSRC2:TGID_Z_EN: 0
; COMPUTE_PGM_RSRC2:TIDIG_COMP_CNT: 0
	.section	.text._ZN7rocprim17ROCPRIM_400000_NS6detail17trampoline_kernelINS0_14default_configENS1_37merge_sort_block_sort_config_selectorIlNS0_10empty_typeEEEZNS1_21merge_sort_block_sortIS3_PlS8_PS5_S9_ZN2at6native12_GLOBAL__N_124unique_dim_cuda_templateIlEESt5tupleIJNSA_6TensorESF_SF_EERKSF_lbbbEUlllE_EE10hipError_tT0_T1_T2_T3_mRjT4_P12ihipStream_tbNS1_7vsmem_tEEUlT_E_NS1_11comp_targetILNS1_3genE4ELNS1_11target_archE910ELNS1_3gpuE8ELNS1_3repE0EEENS1_30default_config_static_selectorELNS0_4arch9wavefront6targetE0EEEvSM_,"axG",@progbits,_ZN7rocprim17ROCPRIM_400000_NS6detail17trampoline_kernelINS0_14default_configENS1_37merge_sort_block_sort_config_selectorIlNS0_10empty_typeEEEZNS1_21merge_sort_block_sortIS3_PlS8_PS5_S9_ZN2at6native12_GLOBAL__N_124unique_dim_cuda_templateIlEESt5tupleIJNSA_6TensorESF_SF_EERKSF_lbbbEUlllE_EE10hipError_tT0_T1_T2_T3_mRjT4_P12ihipStream_tbNS1_7vsmem_tEEUlT_E_NS1_11comp_targetILNS1_3genE4ELNS1_11target_archE910ELNS1_3gpuE8ELNS1_3repE0EEENS1_30default_config_static_selectorELNS0_4arch9wavefront6targetE0EEEvSM_,comdat
	.globl	_ZN7rocprim17ROCPRIM_400000_NS6detail17trampoline_kernelINS0_14default_configENS1_37merge_sort_block_sort_config_selectorIlNS0_10empty_typeEEEZNS1_21merge_sort_block_sortIS3_PlS8_PS5_S9_ZN2at6native12_GLOBAL__N_124unique_dim_cuda_templateIlEESt5tupleIJNSA_6TensorESF_SF_EERKSF_lbbbEUlllE_EE10hipError_tT0_T1_T2_T3_mRjT4_P12ihipStream_tbNS1_7vsmem_tEEUlT_E_NS1_11comp_targetILNS1_3genE4ELNS1_11target_archE910ELNS1_3gpuE8ELNS1_3repE0EEENS1_30default_config_static_selectorELNS0_4arch9wavefront6targetE0EEEvSM_ ; -- Begin function _ZN7rocprim17ROCPRIM_400000_NS6detail17trampoline_kernelINS0_14default_configENS1_37merge_sort_block_sort_config_selectorIlNS0_10empty_typeEEEZNS1_21merge_sort_block_sortIS3_PlS8_PS5_S9_ZN2at6native12_GLOBAL__N_124unique_dim_cuda_templateIlEESt5tupleIJNSA_6TensorESF_SF_EERKSF_lbbbEUlllE_EE10hipError_tT0_T1_T2_T3_mRjT4_P12ihipStream_tbNS1_7vsmem_tEEUlT_E_NS1_11comp_targetILNS1_3genE4ELNS1_11target_archE910ELNS1_3gpuE8ELNS1_3repE0EEENS1_30default_config_static_selectorELNS0_4arch9wavefront6targetE0EEEvSM_
	.p2align	8
	.type	_ZN7rocprim17ROCPRIM_400000_NS6detail17trampoline_kernelINS0_14default_configENS1_37merge_sort_block_sort_config_selectorIlNS0_10empty_typeEEEZNS1_21merge_sort_block_sortIS3_PlS8_PS5_S9_ZN2at6native12_GLOBAL__N_124unique_dim_cuda_templateIlEESt5tupleIJNSA_6TensorESF_SF_EERKSF_lbbbEUlllE_EE10hipError_tT0_T1_T2_T3_mRjT4_P12ihipStream_tbNS1_7vsmem_tEEUlT_E_NS1_11comp_targetILNS1_3genE4ELNS1_11target_archE910ELNS1_3gpuE8ELNS1_3repE0EEENS1_30default_config_static_selectorELNS0_4arch9wavefront6targetE0EEEvSM_,@function
_ZN7rocprim17ROCPRIM_400000_NS6detail17trampoline_kernelINS0_14default_configENS1_37merge_sort_block_sort_config_selectorIlNS0_10empty_typeEEEZNS1_21merge_sort_block_sortIS3_PlS8_PS5_S9_ZN2at6native12_GLOBAL__N_124unique_dim_cuda_templateIlEESt5tupleIJNSA_6TensorESF_SF_EERKSF_lbbbEUlllE_EE10hipError_tT0_T1_T2_T3_mRjT4_P12ihipStream_tbNS1_7vsmem_tEEUlT_E_NS1_11comp_targetILNS1_3genE4ELNS1_11target_archE910ELNS1_3gpuE8ELNS1_3repE0EEENS1_30default_config_static_selectorELNS0_4arch9wavefront6targetE0EEEvSM_: ; @_ZN7rocprim17ROCPRIM_400000_NS6detail17trampoline_kernelINS0_14default_configENS1_37merge_sort_block_sort_config_selectorIlNS0_10empty_typeEEEZNS1_21merge_sort_block_sortIS3_PlS8_PS5_S9_ZN2at6native12_GLOBAL__N_124unique_dim_cuda_templateIlEESt5tupleIJNSA_6TensorESF_SF_EERKSF_lbbbEUlllE_EE10hipError_tT0_T1_T2_T3_mRjT4_P12ihipStream_tbNS1_7vsmem_tEEUlT_E_NS1_11comp_targetILNS1_3genE4ELNS1_11target_archE910ELNS1_3gpuE8ELNS1_3repE0EEENS1_30default_config_static_selectorELNS0_4arch9wavefront6targetE0EEEvSM_
; %bb.0:
	.section	.rodata,"a",@progbits
	.p2align	6, 0x0
	.amdhsa_kernel _ZN7rocprim17ROCPRIM_400000_NS6detail17trampoline_kernelINS0_14default_configENS1_37merge_sort_block_sort_config_selectorIlNS0_10empty_typeEEEZNS1_21merge_sort_block_sortIS3_PlS8_PS5_S9_ZN2at6native12_GLOBAL__N_124unique_dim_cuda_templateIlEESt5tupleIJNSA_6TensorESF_SF_EERKSF_lbbbEUlllE_EE10hipError_tT0_T1_T2_T3_mRjT4_P12ihipStream_tbNS1_7vsmem_tEEUlT_E_NS1_11comp_targetILNS1_3genE4ELNS1_11target_archE910ELNS1_3gpuE8ELNS1_3repE0EEENS1_30default_config_static_selectorELNS0_4arch9wavefront6targetE0EEEvSM_
		.amdhsa_group_segment_fixed_size 0
		.amdhsa_private_segment_fixed_size 0
		.amdhsa_kernarg_size 72
		.amdhsa_user_sgpr_count 15
		.amdhsa_user_sgpr_dispatch_ptr 0
		.amdhsa_user_sgpr_queue_ptr 0
		.amdhsa_user_sgpr_kernarg_segment_ptr 1
		.amdhsa_user_sgpr_dispatch_id 0
		.amdhsa_user_sgpr_private_segment_size 0
		.amdhsa_wavefront_size32 1
		.amdhsa_uses_dynamic_stack 0
		.amdhsa_enable_private_segment 0
		.amdhsa_system_sgpr_workgroup_id_x 1
		.amdhsa_system_sgpr_workgroup_id_y 0
		.amdhsa_system_sgpr_workgroup_id_z 0
		.amdhsa_system_sgpr_workgroup_info 0
		.amdhsa_system_vgpr_workitem_id 0
		.amdhsa_next_free_vgpr 1
		.amdhsa_next_free_sgpr 1
		.amdhsa_reserve_vcc 0
		.amdhsa_float_round_mode_32 0
		.amdhsa_float_round_mode_16_64 0
		.amdhsa_float_denorm_mode_32 3
		.amdhsa_float_denorm_mode_16_64 3
		.amdhsa_dx10_clamp 1
		.amdhsa_ieee_mode 1
		.amdhsa_fp16_overflow 0
		.amdhsa_workgroup_processor_mode 1
		.amdhsa_memory_ordered 1
		.amdhsa_forward_progress 0
		.amdhsa_shared_vgpr_count 0
		.amdhsa_exception_fp_ieee_invalid_op 0
		.amdhsa_exception_fp_denorm_src 0
		.amdhsa_exception_fp_ieee_div_zero 0
		.amdhsa_exception_fp_ieee_overflow 0
		.amdhsa_exception_fp_ieee_underflow 0
		.amdhsa_exception_fp_ieee_inexact 0
		.amdhsa_exception_int_div_zero 0
	.end_amdhsa_kernel
	.section	.text._ZN7rocprim17ROCPRIM_400000_NS6detail17trampoline_kernelINS0_14default_configENS1_37merge_sort_block_sort_config_selectorIlNS0_10empty_typeEEEZNS1_21merge_sort_block_sortIS3_PlS8_PS5_S9_ZN2at6native12_GLOBAL__N_124unique_dim_cuda_templateIlEESt5tupleIJNSA_6TensorESF_SF_EERKSF_lbbbEUlllE_EE10hipError_tT0_T1_T2_T3_mRjT4_P12ihipStream_tbNS1_7vsmem_tEEUlT_E_NS1_11comp_targetILNS1_3genE4ELNS1_11target_archE910ELNS1_3gpuE8ELNS1_3repE0EEENS1_30default_config_static_selectorELNS0_4arch9wavefront6targetE0EEEvSM_,"axG",@progbits,_ZN7rocprim17ROCPRIM_400000_NS6detail17trampoline_kernelINS0_14default_configENS1_37merge_sort_block_sort_config_selectorIlNS0_10empty_typeEEEZNS1_21merge_sort_block_sortIS3_PlS8_PS5_S9_ZN2at6native12_GLOBAL__N_124unique_dim_cuda_templateIlEESt5tupleIJNSA_6TensorESF_SF_EERKSF_lbbbEUlllE_EE10hipError_tT0_T1_T2_T3_mRjT4_P12ihipStream_tbNS1_7vsmem_tEEUlT_E_NS1_11comp_targetILNS1_3genE4ELNS1_11target_archE910ELNS1_3gpuE8ELNS1_3repE0EEENS1_30default_config_static_selectorELNS0_4arch9wavefront6targetE0EEEvSM_,comdat
.Lfunc_end507:
	.size	_ZN7rocprim17ROCPRIM_400000_NS6detail17trampoline_kernelINS0_14default_configENS1_37merge_sort_block_sort_config_selectorIlNS0_10empty_typeEEEZNS1_21merge_sort_block_sortIS3_PlS8_PS5_S9_ZN2at6native12_GLOBAL__N_124unique_dim_cuda_templateIlEESt5tupleIJNSA_6TensorESF_SF_EERKSF_lbbbEUlllE_EE10hipError_tT0_T1_T2_T3_mRjT4_P12ihipStream_tbNS1_7vsmem_tEEUlT_E_NS1_11comp_targetILNS1_3genE4ELNS1_11target_archE910ELNS1_3gpuE8ELNS1_3repE0EEENS1_30default_config_static_selectorELNS0_4arch9wavefront6targetE0EEEvSM_, .Lfunc_end507-_ZN7rocprim17ROCPRIM_400000_NS6detail17trampoline_kernelINS0_14default_configENS1_37merge_sort_block_sort_config_selectorIlNS0_10empty_typeEEEZNS1_21merge_sort_block_sortIS3_PlS8_PS5_S9_ZN2at6native12_GLOBAL__N_124unique_dim_cuda_templateIlEESt5tupleIJNSA_6TensorESF_SF_EERKSF_lbbbEUlllE_EE10hipError_tT0_T1_T2_T3_mRjT4_P12ihipStream_tbNS1_7vsmem_tEEUlT_E_NS1_11comp_targetILNS1_3genE4ELNS1_11target_archE910ELNS1_3gpuE8ELNS1_3repE0EEENS1_30default_config_static_selectorELNS0_4arch9wavefront6targetE0EEEvSM_
                                        ; -- End function
	.section	.AMDGPU.csdata,"",@progbits
; Kernel info:
; codeLenInByte = 0
; NumSgprs: 0
; NumVgprs: 0
; ScratchSize: 0
; MemoryBound: 0
; FloatMode: 240
; IeeeMode: 1
; LDSByteSize: 0 bytes/workgroup (compile time only)
; SGPRBlocks: 0
; VGPRBlocks: 0
; NumSGPRsForWavesPerEU: 1
; NumVGPRsForWavesPerEU: 1
; Occupancy: 16
; WaveLimiterHint : 0
; COMPUTE_PGM_RSRC2:SCRATCH_EN: 0
; COMPUTE_PGM_RSRC2:USER_SGPR: 15
; COMPUTE_PGM_RSRC2:TRAP_HANDLER: 0
; COMPUTE_PGM_RSRC2:TGID_X_EN: 1
; COMPUTE_PGM_RSRC2:TGID_Y_EN: 0
; COMPUTE_PGM_RSRC2:TGID_Z_EN: 0
; COMPUTE_PGM_RSRC2:TIDIG_COMP_CNT: 0
	.section	.text._ZN7rocprim17ROCPRIM_400000_NS6detail17trampoline_kernelINS0_14default_configENS1_37merge_sort_block_sort_config_selectorIlNS0_10empty_typeEEEZNS1_21merge_sort_block_sortIS3_PlS8_PS5_S9_ZN2at6native12_GLOBAL__N_124unique_dim_cuda_templateIlEESt5tupleIJNSA_6TensorESF_SF_EERKSF_lbbbEUlllE_EE10hipError_tT0_T1_T2_T3_mRjT4_P12ihipStream_tbNS1_7vsmem_tEEUlT_E_NS1_11comp_targetILNS1_3genE3ELNS1_11target_archE908ELNS1_3gpuE7ELNS1_3repE0EEENS1_30default_config_static_selectorELNS0_4arch9wavefront6targetE0EEEvSM_,"axG",@progbits,_ZN7rocprim17ROCPRIM_400000_NS6detail17trampoline_kernelINS0_14default_configENS1_37merge_sort_block_sort_config_selectorIlNS0_10empty_typeEEEZNS1_21merge_sort_block_sortIS3_PlS8_PS5_S9_ZN2at6native12_GLOBAL__N_124unique_dim_cuda_templateIlEESt5tupleIJNSA_6TensorESF_SF_EERKSF_lbbbEUlllE_EE10hipError_tT0_T1_T2_T3_mRjT4_P12ihipStream_tbNS1_7vsmem_tEEUlT_E_NS1_11comp_targetILNS1_3genE3ELNS1_11target_archE908ELNS1_3gpuE7ELNS1_3repE0EEENS1_30default_config_static_selectorELNS0_4arch9wavefront6targetE0EEEvSM_,comdat
	.globl	_ZN7rocprim17ROCPRIM_400000_NS6detail17trampoline_kernelINS0_14default_configENS1_37merge_sort_block_sort_config_selectorIlNS0_10empty_typeEEEZNS1_21merge_sort_block_sortIS3_PlS8_PS5_S9_ZN2at6native12_GLOBAL__N_124unique_dim_cuda_templateIlEESt5tupleIJNSA_6TensorESF_SF_EERKSF_lbbbEUlllE_EE10hipError_tT0_T1_T2_T3_mRjT4_P12ihipStream_tbNS1_7vsmem_tEEUlT_E_NS1_11comp_targetILNS1_3genE3ELNS1_11target_archE908ELNS1_3gpuE7ELNS1_3repE0EEENS1_30default_config_static_selectorELNS0_4arch9wavefront6targetE0EEEvSM_ ; -- Begin function _ZN7rocprim17ROCPRIM_400000_NS6detail17trampoline_kernelINS0_14default_configENS1_37merge_sort_block_sort_config_selectorIlNS0_10empty_typeEEEZNS1_21merge_sort_block_sortIS3_PlS8_PS5_S9_ZN2at6native12_GLOBAL__N_124unique_dim_cuda_templateIlEESt5tupleIJNSA_6TensorESF_SF_EERKSF_lbbbEUlllE_EE10hipError_tT0_T1_T2_T3_mRjT4_P12ihipStream_tbNS1_7vsmem_tEEUlT_E_NS1_11comp_targetILNS1_3genE3ELNS1_11target_archE908ELNS1_3gpuE7ELNS1_3repE0EEENS1_30default_config_static_selectorELNS0_4arch9wavefront6targetE0EEEvSM_
	.p2align	8
	.type	_ZN7rocprim17ROCPRIM_400000_NS6detail17trampoline_kernelINS0_14default_configENS1_37merge_sort_block_sort_config_selectorIlNS0_10empty_typeEEEZNS1_21merge_sort_block_sortIS3_PlS8_PS5_S9_ZN2at6native12_GLOBAL__N_124unique_dim_cuda_templateIlEESt5tupleIJNSA_6TensorESF_SF_EERKSF_lbbbEUlllE_EE10hipError_tT0_T1_T2_T3_mRjT4_P12ihipStream_tbNS1_7vsmem_tEEUlT_E_NS1_11comp_targetILNS1_3genE3ELNS1_11target_archE908ELNS1_3gpuE7ELNS1_3repE0EEENS1_30default_config_static_selectorELNS0_4arch9wavefront6targetE0EEEvSM_,@function
_ZN7rocprim17ROCPRIM_400000_NS6detail17trampoline_kernelINS0_14default_configENS1_37merge_sort_block_sort_config_selectorIlNS0_10empty_typeEEEZNS1_21merge_sort_block_sortIS3_PlS8_PS5_S9_ZN2at6native12_GLOBAL__N_124unique_dim_cuda_templateIlEESt5tupleIJNSA_6TensorESF_SF_EERKSF_lbbbEUlllE_EE10hipError_tT0_T1_T2_T3_mRjT4_P12ihipStream_tbNS1_7vsmem_tEEUlT_E_NS1_11comp_targetILNS1_3genE3ELNS1_11target_archE908ELNS1_3gpuE7ELNS1_3repE0EEENS1_30default_config_static_selectorELNS0_4arch9wavefront6targetE0EEEvSM_: ; @_ZN7rocprim17ROCPRIM_400000_NS6detail17trampoline_kernelINS0_14default_configENS1_37merge_sort_block_sort_config_selectorIlNS0_10empty_typeEEEZNS1_21merge_sort_block_sortIS3_PlS8_PS5_S9_ZN2at6native12_GLOBAL__N_124unique_dim_cuda_templateIlEESt5tupleIJNSA_6TensorESF_SF_EERKSF_lbbbEUlllE_EE10hipError_tT0_T1_T2_T3_mRjT4_P12ihipStream_tbNS1_7vsmem_tEEUlT_E_NS1_11comp_targetILNS1_3genE3ELNS1_11target_archE908ELNS1_3gpuE7ELNS1_3repE0EEENS1_30default_config_static_selectorELNS0_4arch9wavefront6targetE0EEEvSM_
; %bb.0:
	.section	.rodata,"a",@progbits
	.p2align	6, 0x0
	.amdhsa_kernel _ZN7rocprim17ROCPRIM_400000_NS6detail17trampoline_kernelINS0_14default_configENS1_37merge_sort_block_sort_config_selectorIlNS0_10empty_typeEEEZNS1_21merge_sort_block_sortIS3_PlS8_PS5_S9_ZN2at6native12_GLOBAL__N_124unique_dim_cuda_templateIlEESt5tupleIJNSA_6TensorESF_SF_EERKSF_lbbbEUlllE_EE10hipError_tT0_T1_T2_T3_mRjT4_P12ihipStream_tbNS1_7vsmem_tEEUlT_E_NS1_11comp_targetILNS1_3genE3ELNS1_11target_archE908ELNS1_3gpuE7ELNS1_3repE0EEENS1_30default_config_static_selectorELNS0_4arch9wavefront6targetE0EEEvSM_
		.amdhsa_group_segment_fixed_size 0
		.amdhsa_private_segment_fixed_size 0
		.amdhsa_kernarg_size 72
		.amdhsa_user_sgpr_count 15
		.amdhsa_user_sgpr_dispatch_ptr 0
		.amdhsa_user_sgpr_queue_ptr 0
		.amdhsa_user_sgpr_kernarg_segment_ptr 1
		.amdhsa_user_sgpr_dispatch_id 0
		.amdhsa_user_sgpr_private_segment_size 0
		.amdhsa_wavefront_size32 1
		.amdhsa_uses_dynamic_stack 0
		.amdhsa_enable_private_segment 0
		.amdhsa_system_sgpr_workgroup_id_x 1
		.amdhsa_system_sgpr_workgroup_id_y 0
		.amdhsa_system_sgpr_workgroup_id_z 0
		.amdhsa_system_sgpr_workgroup_info 0
		.amdhsa_system_vgpr_workitem_id 0
		.amdhsa_next_free_vgpr 1
		.amdhsa_next_free_sgpr 1
		.amdhsa_reserve_vcc 0
		.amdhsa_float_round_mode_32 0
		.amdhsa_float_round_mode_16_64 0
		.amdhsa_float_denorm_mode_32 3
		.amdhsa_float_denorm_mode_16_64 3
		.amdhsa_dx10_clamp 1
		.amdhsa_ieee_mode 1
		.amdhsa_fp16_overflow 0
		.amdhsa_workgroup_processor_mode 1
		.amdhsa_memory_ordered 1
		.amdhsa_forward_progress 0
		.amdhsa_shared_vgpr_count 0
		.amdhsa_exception_fp_ieee_invalid_op 0
		.amdhsa_exception_fp_denorm_src 0
		.amdhsa_exception_fp_ieee_div_zero 0
		.amdhsa_exception_fp_ieee_overflow 0
		.amdhsa_exception_fp_ieee_underflow 0
		.amdhsa_exception_fp_ieee_inexact 0
		.amdhsa_exception_int_div_zero 0
	.end_amdhsa_kernel
	.section	.text._ZN7rocprim17ROCPRIM_400000_NS6detail17trampoline_kernelINS0_14default_configENS1_37merge_sort_block_sort_config_selectorIlNS0_10empty_typeEEEZNS1_21merge_sort_block_sortIS3_PlS8_PS5_S9_ZN2at6native12_GLOBAL__N_124unique_dim_cuda_templateIlEESt5tupleIJNSA_6TensorESF_SF_EERKSF_lbbbEUlllE_EE10hipError_tT0_T1_T2_T3_mRjT4_P12ihipStream_tbNS1_7vsmem_tEEUlT_E_NS1_11comp_targetILNS1_3genE3ELNS1_11target_archE908ELNS1_3gpuE7ELNS1_3repE0EEENS1_30default_config_static_selectorELNS0_4arch9wavefront6targetE0EEEvSM_,"axG",@progbits,_ZN7rocprim17ROCPRIM_400000_NS6detail17trampoline_kernelINS0_14default_configENS1_37merge_sort_block_sort_config_selectorIlNS0_10empty_typeEEEZNS1_21merge_sort_block_sortIS3_PlS8_PS5_S9_ZN2at6native12_GLOBAL__N_124unique_dim_cuda_templateIlEESt5tupleIJNSA_6TensorESF_SF_EERKSF_lbbbEUlllE_EE10hipError_tT0_T1_T2_T3_mRjT4_P12ihipStream_tbNS1_7vsmem_tEEUlT_E_NS1_11comp_targetILNS1_3genE3ELNS1_11target_archE908ELNS1_3gpuE7ELNS1_3repE0EEENS1_30default_config_static_selectorELNS0_4arch9wavefront6targetE0EEEvSM_,comdat
.Lfunc_end508:
	.size	_ZN7rocprim17ROCPRIM_400000_NS6detail17trampoline_kernelINS0_14default_configENS1_37merge_sort_block_sort_config_selectorIlNS0_10empty_typeEEEZNS1_21merge_sort_block_sortIS3_PlS8_PS5_S9_ZN2at6native12_GLOBAL__N_124unique_dim_cuda_templateIlEESt5tupleIJNSA_6TensorESF_SF_EERKSF_lbbbEUlllE_EE10hipError_tT0_T1_T2_T3_mRjT4_P12ihipStream_tbNS1_7vsmem_tEEUlT_E_NS1_11comp_targetILNS1_3genE3ELNS1_11target_archE908ELNS1_3gpuE7ELNS1_3repE0EEENS1_30default_config_static_selectorELNS0_4arch9wavefront6targetE0EEEvSM_, .Lfunc_end508-_ZN7rocprim17ROCPRIM_400000_NS6detail17trampoline_kernelINS0_14default_configENS1_37merge_sort_block_sort_config_selectorIlNS0_10empty_typeEEEZNS1_21merge_sort_block_sortIS3_PlS8_PS5_S9_ZN2at6native12_GLOBAL__N_124unique_dim_cuda_templateIlEESt5tupleIJNSA_6TensorESF_SF_EERKSF_lbbbEUlllE_EE10hipError_tT0_T1_T2_T3_mRjT4_P12ihipStream_tbNS1_7vsmem_tEEUlT_E_NS1_11comp_targetILNS1_3genE3ELNS1_11target_archE908ELNS1_3gpuE7ELNS1_3repE0EEENS1_30default_config_static_selectorELNS0_4arch9wavefront6targetE0EEEvSM_
                                        ; -- End function
	.section	.AMDGPU.csdata,"",@progbits
; Kernel info:
; codeLenInByte = 0
; NumSgprs: 0
; NumVgprs: 0
; ScratchSize: 0
; MemoryBound: 0
; FloatMode: 240
; IeeeMode: 1
; LDSByteSize: 0 bytes/workgroup (compile time only)
; SGPRBlocks: 0
; VGPRBlocks: 0
; NumSGPRsForWavesPerEU: 1
; NumVGPRsForWavesPerEU: 1
; Occupancy: 16
; WaveLimiterHint : 0
; COMPUTE_PGM_RSRC2:SCRATCH_EN: 0
; COMPUTE_PGM_RSRC2:USER_SGPR: 15
; COMPUTE_PGM_RSRC2:TRAP_HANDLER: 0
; COMPUTE_PGM_RSRC2:TGID_X_EN: 1
; COMPUTE_PGM_RSRC2:TGID_Y_EN: 0
; COMPUTE_PGM_RSRC2:TGID_Z_EN: 0
; COMPUTE_PGM_RSRC2:TIDIG_COMP_CNT: 0
	.section	.text._ZN7rocprim17ROCPRIM_400000_NS6detail17trampoline_kernelINS0_14default_configENS1_37merge_sort_block_sort_config_selectorIlNS0_10empty_typeEEEZNS1_21merge_sort_block_sortIS3_PlS8_PS5_S9_ZN2at6native12_GLOBAL__N_124unique_dim_cuda_templateIlEESt5tupleIJNSA_6TensorESF_SF_EERKSF_lbbbEUlllE_EE10hipError_tT0_T1_T2_T3_mRjT4_P12ihipStream_tbNS1_7vsmem_tEEUlT_E_NS1_11comp_targetILNS1_3genE2ELNS1_11target_archE906ELNS1_3gpuE6ELNS1_3repE0EEENS1_30default_config_static_selectorELNS0_4arch9wavefront6targetE0EEEvSM_,"axG",@progbits,_ZN7rocprim17ROCPRIM_400000_NS6detail17trampoline_kernelINS0_14default_configENS1_37merge_sort_block_sort_config_selectorIlNS0_10empty_typeEEEZNS1_21merge_sort_block_sortIS3_PlS8_PS5_S9_ZN2at6native12_GLOBAL__N_124unique_dim_cuda_templateIlEESt5tupleIJNSA_6TensorESF_SF_EERKSF_lbbbEUlllE_EE10hipError_tT0_T1_T2_T3_mRjT4_P12ihipStream_tbNS1_7vsmem_tEEUlT_E_NS1_11comp_targetILNS1_3genE2ELNS1_11target_archE906ELNS1_3gpuE6ELNS1_3repE0EEENS1_30default_config_static_selectorELNS0_4arch9wavefront6targetE0EEEvSM_,comdat
	.globl	_ZN7rocprim17ROCPRIM_400000_NS6detail17trampoline_kernelINS0_14default_configENS1_37merge_sort_block_sort_config_selectorIlNS0_10empty_typeEEEZNS1_21merge_sort_block_sortIS3_PlS8_PS5_S9_ZN2at6native12_GLOBAL__N_124unique_dim_cuda_templateIlEESt5tupleIJNSA_6TensorESF_SF_EERKSF_lbbbEUlllE_EE10hipError_tT0_T1_T2_T3_mRjT4_P12ihipStream_tbNS1_7vsmem_tEEUlT_E_NS1_11comp_targetILNS1_3genE2ELNS1_11target_archE906ELNS1_3gpuE6ELNS1_3repE0EEENS1_30default_config_static_selectorELNS0_4arch9wavefront6targetE0EEEvSM_ ; -- Begin function _ZN7rocprim17ROCPRIM_400000_NS6detail17trampoline_kernelINS0_14default_configENS1_37merge_sort_block_sort_config_selectorIlNS0_10empty_typeEEEZNS1_21merge_sort_block_sortIS3_PlS8_PS5_S9_ZN2at6native12_GLOBAL__N_124unique_dim_cuda_templateIlEESt5tupleIJNSA_6TensorESF_SF_EERKSF_lbbbEUlllE_EE10hipError_tT0_T1_T2_T3_mRjT4_P12ihipStream_tbNS1_7vsmem_tEEUlT_E_NS1_11comp_targetILNS1_3genE2ELNS1_11target_archE906ELNS1_3gpuE6ELNS1_3repE0EEENS1_30default_config_static_selectorELNS0_4arch9wavefront6targetE0EEEvSM_
	.p2align	8
	.type	_ZN7rocprim17ROCPRIM_400000_NS6detail17trampoline_kernelINS0_14default_configENS1_37merge_sort_block_sort_config_selectorIlNS0_10empty_typeEEEZNS1_21merge_sort_block_sortIS3_PlS8_PS5_S9_ZN2at6native12_GLOBAL__N_124unique_dim_cuda_templateIlEESt5tupleIJNSA_6TensorESF_SF_EERKSF_lbbbEUlllE_EE10hipError_tT0_T1_T2_T3_mRjT4_P12ihipStream_tbNS1_7vsmem_tEEUlT_E_NS1_11comp_targetILNS1_3genE2ELNS1_11target_archE906ELNS1_3gpuE6ELNS1_3repE0EEENS1_30default_config_static_selectorELNS0_4arch9wavefront6targetE0EEEvSM_,@function
_ZN7rocprim17ROCPRIM_400000_NS6detail17trampoline_kernelINS0_14default_configENS1_37merge_sort_block_sort_config_selectorIlNS0_10empty_typeEEEZNS1_21merge_sort_block_sortIS3_PlS8_PS5_S9_ZN2at6native12_GLOBAL__N_124unique_dim_cuda_templateIlEESt5tupleIJNSA_6TensorESF_SF_EERKSF_lbbbEUlllE_EE10hipError_tT0_T1_T2_T3_mRjT4_P12ihipStream_tbNS1_7vsmem_tEEUlT_E_NS1_11comp_targetILNS1_3genE2ELNS1_11target_archE906ELNS1_3gpuE6ELNS1_3repE0EEENS1_30default_config_static_selectorELNS0_4arch9wavefront6targetE0EEEvSM_: ; @_ZN7rocprim17ROCPRIM_400000_NS6detail17trampoline_kernelINS0_14default_configENS1_37merge_sort_block_sort_config_selectorIlNS0_10empty_typeEEEZNS1_21merge_sort_block_sortIS3_PlS8_PS5_S9_ZN2at6native12_GLOBAL__N_124unique_dim_cuda_templateIlEESt5tupleIJNSA_6TensorESF_SF_EERKSF_lbbbEUlllE_EE10hipError_tT0_T1_T2_T3_mRjT4_P12ihipStream_tbNS1_7vsmem_tEEUlT_E_NS1_11comp_targetILNS1_3genE2ELNS1_11target_archE906ELNS1_3gpuE6ELNS1_3repE0EEENS1_30default_config_static_selectorELNS0_4arch9wavefront6targetE0EEEvSM_
; %bb.0:
	.section	.rodata,"a",@progbits
	.p2align	6, 0x0
	.amdhsa_kernel _ZN7rocprim17ROCPRIM_400000_NS6detail17trampoline_kernelINS0_14default_configENS1_37merge_sort_block_sort_config_selectorIlNS0_10empty_typeEEEZNS1_21merge_sort_block_sortIS3_PlS8_PS5_S9_ZN2at6native12_GLOBAL__N_124unique_dim_cuda_templateIlEESt5tupleIJNSA_6TensorESF_SF_EERKSF_lbbbEUlllE_EE10hipError_tT0_T1_T2_T3_mRjT4_P12ihipStream_tbNS1_7vsmem_tEEUlT_E_NS1_11comp_targetILNS1_3genE2ELNS1_11target_archE906ELNS1_3gpuE6ELNS1_3repE0EEENS1_30default_config_static_selectorELNS0_4arch9wavefront6targetE0EEEvSM_
		.amdhsa_group_segment_fixed_size 0
		.amdhsa_private_segment_fixed_size 0
		.amdhsa_kernarg_size 72
		.amdhsa_user_sgpr_count 15
		.amdhsa_user_sgpr_dispatch_ptr 0
		.amdhsa_user_sgpr_queue_ptr 0
		.amdhsa_user_sgpr_kernarg_segment_ptr 1
		.amdhsa_user_sgpr_dispatch_id 0
		.amdhsa_user_sgpr_private_segment_size 0
		.amdhsa_wavefront_size32 1
		.amdhsa_uses_dynamic_stack 0
		.amdhsa_enable_private_segment 0
		.amdhsa_system_sgpr_workgroup_id_x 1
		.amdhsa_system_sgpr_workgroup_id_y 0
		.amdhsa_system_sgpr_workgroup_id_z 0
		.amdhsa_system_sgpr_workgroup_info 0
		.amdhsa_system_vgpr_workitem_id 0
		.amdhsa_next_free_vgpr 1
		.amdhsa_next_free_sgpr 1
		.amdhsa_reserve_vcc 0
		.amdhsa_float_round_mode_32 0
		.amdhsa_float_round_mode_16_64 0
		.amdhsa_float_denorm_mode_32 3
		.amdhsa_float_denorm_mode_16_64 3
		.amdhsa_dx10_clamp 1
		.amdhsa_ieee_mode 1
		.amdhsa_fp16_overflow 0
		.amdhsa_workgroup_processor_mode 1
		.amdhsa_memory_ordered 1
		.amdhsa_forward_progress 0
		.amdhsa_shared_vgpr_count 0
		.amdhsa_exception_fp_ieee_invalid_op 0
		.amdhsa_exception_fp_denorm_src 0
		.amdhsa_exception_fp_ieee_div_zero 0
		.amdhsa_exception_fp_ieee_overflow 0
		.amdhsa_exception_fp_ieee_underflow 0
		.amdhsa_exception_fp_ieee_inexact 0
		.amdhsa_exception_int_div_zero 0
	.end_amdhsa_kernel
	.section	.text._ZN7rocprim17ROCPRIM_400000_NS6detail17trampoline_kernelINS0_14default_configENS1_37merge_sort_block_sort_config_selectorIlNS0_10empty_typeEEEZNS1_21merge_sort_block_sortIS3_PlS8_PS5_S9_ZN2at6native12_GLOBAL__N_124unique_dim_cuda_templateIlEESt5tupleIJNSA_6TensorESF_SF_EERKSF_lbbbEUlllE_EE10hipError_tT0_T1_T2_T3_mRjT4_P12ihipStream_tbNS1_7vsmem_tEEUlT_E_NS1_11comp_targetILNS1_3genE2ELNS1_11target_archE906ELNS1_3gpuE6ELNS1_3repE0EEENS1_30default_config_static_selectorELNS0_4arch9wavefront6targetE0EEEvSM_,"axG",@progbits,_ZN7rocprim17ROCPRIM_400000_NS6detail17trampoline_kernelINS0_14default_configENS1_37merge_sort_block_sort_config_selectorIlNS0_10empty_typeEEEZNS1_21merge_sort_block_sortIS3_PlS8_PS5_S9_ZN2at6native12_GLOBAL__N_124unique_dim_cuda_templateIlEESt5tupleIJNSA_6TensorESF_SF_EERKSF_lbbbEUlllE_EE10hipError_tT0_T1_T2_T3_mRjT4_P12ihipStream_tbNS1_7vsmem_tEEUlT_E_NS1_11comp_targetILNS1_3genE2ELNS1_11target_archE906ELNS1_3gpuE6ELNS1_3repE0EEENS1_30default_config_static_selectorELNS0_4arch9wavefront6targetE0EEEvSM_,comdat
.Lfunc_end509:
	.size	_ZN7rocprim17ROCPRIM_400000_NS6detail17trampoline_kernelINS0_14default_configENS1_37merge_sort_block_sort_config_selectorIlNS0_10empty_typeEEEZNS1_21merge_sort_block_sortIS3_PlS8_PS5_S9_ZN2at6native12_GLOBAL__N_124unique_dim_cuda_templateIlEESt5tupleIJNSA_6TensorESF_SF_EERKSF_lbbbEUlllE_EE10hipError_tT0_T1_T2_T3_mRjT4_P12ihipStream_tbNS1_7vsmem_tEEUlT_E_NS1_11comp_targetILNS1_3genE2ELNS1_11target_archE906ELNS1_3gpuE6ELNS1_3repE0EEENS1_30default_config_static_selectorELNS0_4arch9wavefront6targetE0EEEvSM_, .Lfunc_end509-_ZN7rocprim17ROCPRIM_400000_NS6detail17trampoline_kernelINS0_14default_configENS1_37merge_sort_block_sort_config_selectorIlNS0_10empty_typeEEEZNS1_21merge_sort_block_sortIS3_PlS8_PS5_S9_ZN2at6native12_GLOBAL__N_124unique_dim_cuda_templateIlEESt5tupleIJNSA_6TensorESF_SF_EERKSF_lbbbEUlllE_EE10hipError_tT0_T1_T2_T3_mRjT4_P12ihipStream_tbNS1_7vsmem_tEEUlT_E_NS1_11comp_targetILNS1_3genE2ELNS1_11target_archE906ELNS1_3gpuE6ELNS1_3repE0EEENS1_30default_config_static_selectorELNS0_4arch9wavefront6targetE0EEEvSM_
                                        ; -- End function
	.section	.AMDGPU.csdata,"",@progbits
; Kernel info:
; codeLenInByte = 0
; NumSgprs: 0
; NumVgprs: 0
; ScratchSize: 0
; MemoryBound: 0
; FloatMode: 240
; IeeeMode: 1
; LDSByteSize: 0 bytes/workgroup (compile time only)
; SGPRBlocks: 0
; VGPRBlocks: 0
; NumSGPRsForWavesPerEU: 1
; NumVGPRsForWavesPerEU: 1
; Occupancy: 16
; WaveLimiterHint : 0
; COMPUTE_PGM_RSRC2:SCRATCH_EN: 0
; COMPUTE_PGM_RSRC2:USER_SGPR: 15
; COMPUTE_PGM_RSRC2:TRAP_HANDLER: 0
; COMPUTE_PGM_RSRC2:TGID_X_EN: 1
; COMPUTE_PGM_RSRC2:TGID_Y_EN: 0
; COMPUTE_PGM_RSRC2:TGID_Z_EN: 0
; COMPUTE_PGM_RSRC2:TIDIG_COMP_CNT: 0
	.section	.text._ZN7rocprim17ROCPRIM_400000_NS6detail17trampoline_kernelINS0_14default_configENS1_37merge_sort_block_sort_config_selectorIlNS0_10empty_typeEEEZNS1_21merge_sort_block_sortIS3_PlS8_PS5_S9_ZN2at6native12_GLOBAL__N_124unique_dim_cuda_templateIlEESt5tupleIJNSA_6TensorESF_SF_EERKSF_lbbbEUlllE_EE10hipError_tT0_T1_T2_T3_mRjT4_P12ihipStream_tbNS1_7vsmem_tEEUlT_E_NS1_11comp_targetILNS1_3genE10ELNS1_11target_archE1201ELNS1_3gpuE5ELNS1_3repE0EEENS1_30default_config_static_selectorELNS0_4arch9wavefront6targetE0EEEvSM_,"axG",@progbits,_ZN7rocprim17ROCPRIM_400000_NS6detail17trampoline_kernelINS0_14default_configENS1_37merge_sort_block_sort_config_selectorIlNS0_10empty_typeEEEZNS1_21merge_sort_block_sortIS3_PlS8_PS5_S9_ZN2at6native12_GLOBAL__N_124unique_dim_cuda_templateIlEESt5tupleIJNSA_6TensorESF_SF_EERKSF_lbbbEUlllE_EE10hipError_tT0_T1_T2_T3_mRjT4_P12ihipStream_tbNS1_7vsmem_tEEUlT_E_NS1_11comp_targetILNS1_3genE10ELNS1_11target_archE1201ELNS1_3gpuE5ELNS1_3repE0EEENS1_30default_config_static_selectorELNS0_4arch9wavefront6targetE0EEEvSM_,comdat
	.globl	_ZN7rocprim17ROCPRIM_400000_NS6detail17trampoline_kernelINS0_14default_configENS1_37merge_sort_block_sort_config_selectorIlNS0_10empty_typeEEEZNS1_21merge_sort_block_sortIS3_PlS8_PS5_S9_ZN2at6native12_GLOBAL__N_124unique_dim_cuda_templateIlEESt5tupleIJNSA_6TensorESF_SF_EERKSF_lbbbEUlllE_EE10hipError_tT0_T1_T2_T3_mRjT4_P12ihipStream_tbNS1_7vsmem_tEEUlT_E_NS1_11comp_targetILNS1_3genE10ELNS1_11target_archE1201ELNS1_3gpuE5ELNS1_3repE0EEENS1_30default_config_static_selectorELNS0_4arch9wavefront6targetE0EEEvSM_ ; -- Begin function _ZN7rocprim17ROCPRIM_400000_NS6detail17trampoline_kernelINS0_14default_configENS1_37merge_sort_block_sort_config_selectorIlNS0_10empty_typeEEEZNS1_21merge_sort_block_sortIS3_PlS8_PS5_S9_ZN2at6native12_GLOBAL__N_124unique_dim_cuda_templateIlEESt5tupleIJNSA_6TensorESF_SF_EERKSF_lbbbEUlllE_EE10hipError_tT0_T1_T2_T3_mRjT4_P12ihipStream_tbNS1_7vsmem_tEEUlT_E_NS1_11comp_targetILNS1_3genE10ELNS1_11target_archE1201ELNS1_3gpuE5ELNS1_3repE0EEENS1_30default_config_static_selectorELNS0_4arch9wavefront6targetE0EEEvSM_
	.p2align	8
	.type	_ZN7rocprim17ROCPRIM_400000_NS6detail17trampoline_kernelINS0_14default_configENS1_37merge_sort_block_sort_config_selectorIlNS0_10empty_typeEEEZNS1_21merge_sort_block_sortIS3_PlS8_PS5_S9_ZN2at6native12_GLOBAL__N_124unique_dim_cuda_templateIlEESt5tupleIJNSA_6TensorESF_SF_EERKSF_lbbbEUlllE_EE10hipError_tT0_T1_T2_T3_mRjT4_P12ihipStream_tbNS1_7vsmem_tEEUlT_E_NS1_11comp_targetILNS1_3genE10ELNS1_11target_archE1201ELNS1_3gpuE5ELNS1_3repE0EEENS1_30default_config_static_selectorELNS0_4arch9wavefront6targetE0EEEvSM_,@function
_ZN7rocprim17ROCPRIM_400000_NS6detail17trampoline_kernelINS0_14default_configENS1_37merge_sort_block_sort_config_selectorIlNS0_10empty_typeEEEZNS1_21merge_sort_block_sortIS3_PlS8_PS5_S9_ZN2at6native12_GLOBAL__N_124unique_dim_cuda_templateIlEESt5tupleIJNSA_6TensorESF_SF_EERKSF_lbbbEUlllE_EE10hipError_tT0_T1_T2_T3_mRjT4_P12ihipStream_tbNS1_7vsmem_tEEUlT_E_NS1_11comp_targetILNS1_3genE10ELNS1_11target_archE1201ELNS1_3gpuE5ELNS1_3repE0EEENS1_30default_config_static_selectorELNS0_4arch9wavefront6targetE0EEEvSM_: ; @_ZN7rocprim17ROCPRIM_400000_NS6detail17trampoline_kernelINS0_14default_configENS1_37merge_sort_block_sort_config_selectorIlNS0_10empty_typeEEEZNS1_21merge_sort_block_sortIS3_PlS8_PS5_S9_ZN2at6native12_GLOBAL__N_124unique_dim_cuda_templateIlEESt5tupleIJNSA_6TensorESF_SF_EERKSF_lbbbEUlllE_EE10hipError_tT0_T1_T2_T3_mRjT4_P12ihipStream_tbNS1_7vsmem_tEEUlT_E_NS1_11comp_targetILNS1_3genE10ELNS1_11target_archE1201ELNS1_3gpuE5ELNS1_3repE0EEENS1_30default_config_static_selectorELNS0_4arch9wavefront6targetE0EEEvSM_
; %bb.0:
	.section	.rodata,"a",@progbits
	.p2align	6, 0x0
	.amdhsa_kernel _ZN7rocprim17ROCPRIM_400000_NS6detail17trampoline_kernelINS0_14default_configENS1_37merge_sort_block_sort_config_selectorIlNS0_10empty_typeEEEZNS1_21merge_sort_block_sortIS3_PlS8_PS5_S9_ZN2at6native12_GLOBAL__N_124unique_dim_cuda_templateIlEESt5tupleIJNSA_6TensorESF_SF_EERKSF_lbbbEUlllE_EE10hipError_tT0_T1_T2_T3_mRjT4_P12ihipStream_tbNS1_7vsmem_tEEUlT_E_NS1_11comp_targetILNS1_3genE10ELNS1_11target_archE1201ELNS1_3gpuE5ELNS1_3repE0EEENS1_30default_config_static_selectorELNS0_4arch9wavefront6targetE0EEEvSM_
		.amdhsa_group_segment_fixed_size 0
		.amdhsa_private_segment_fixed_size 0
		.amdhsa_kernarg_size 72
		.amdhsa_user_sgpr_count 15
		.amdhsa_user_sgpr_dispatch_ptr 0
		.amdhsa_user_sgpr_queue_ptr 0
		.amdhsa_user_sgpr_kernarg_segment_ptr 1
		.amdhsa_user_sgpr_dispatch_id 0
		.amdhsa_user_sgpr_private_segment_size 0
		.amdhsa_wavefront_size32 1
		.amdhsa_uses_dynamic_stack 0
		.amdhsa_enable_private_segment 0
		.amdhsa_system_sgpr_workgroup_id_x 1
		.amdhsa_system_sgpr_workgroup_id_y 0
		.amdhsa_system_sgpr_workgroup_id_z 0
		.amdhsa_system_sgpr_workgroup_info 0
		.amdhsa_system_vgpr_workitem_id 0
		.amdhsa_next_free_vgpr 1
		.amdhsa_next_free_sgpr 1
		.amdhsa_reserve_vcc 0
		.amdhsa_float_round_mode_32 0
		.amdhsa_float_round_mode_16_64 0
		.amdhsa_float_denorm_mode_32 3
		.amdhsa_float_denorm_mode_16_64 3
		.amdhsa_dx10_clamp 1
		.amdhsa_ieee_mode 1
		.amdhsa_fp16_overflow 0
		.amdhsa_workgroup_processor_mode 1
		.amdhsa_memory_ordered 1
		.amdhsa_forward_progress 0
		.amdhsa_shared_vgpr_count 0
		.amdhsa_exception_fp_ieee_invalid_op 0
		.amdhsa_exception_fp_denorm_src 0
		.amdhsa_exception_fp_ieee_div_zero 0
		.amdhsa_exception_fp_ieee_overflow 0
		.amdhsa_exception_fp_ieee_underflow 0
		.amdhsa_exception_fp_ieee_inexact 0
		.amdhsa_exception_int_div_zero 0
	.end_amdhsa_kernel
	.section	.text._ZN7rocprim17ROCPRIM_400000_NS6detail17trampoline_kernelINS0_14default_configENS1_37merge_sort_block_sort_config_selectorIlNS0_10empty_typeEEEZNS1_21merge_sort_block_sortIS3_PlS8_PS5_S9_ZN2at6native12_GLOBAL__N_124unique_dim_cuda_templateIlEESt5tupleIJNSA_6TensorESF_SF_EERKSF_lbbbEUlllE_EE10hipError_tT0_T1_T2_T3_mRjT4_P12ihipStream_tbNS1_7vsmem_tEEUlT_E_NS1_11comp_targetILNS1_3genE10ELNS1_11target_archE1201ELNS1_3gpuE5ELNS1_3repE0EEENS1_30default_config_static_selectorELNS0_4arch9wavefront6targetE0EEEvSM_,"axG",@progbits,_ZN7rocprim17ROCPRIM_400000_NS6detail17trampoline_kernelINS0_14default_configENS1_37merge_sort_block_sort_config_selectorIlNS0_10empty_typeEEEZNS1_21merge_sort_block_sortIS3_PlS8_PS5_S9_ZN2at6native12_GLOBAL__N_124unique_dim_cuda_templateIlEESt5tupleIJNSA_6TensorESF_SF_EERKSF_lbbbEUlllE_EE10hipError_tT0_T1_T2_T3_mRjT4_P12ihipStream_tbNS1_7vsmem_tEEUlT_E_NS1_11comp_targetILNS1_3genE10ELNS1_11target_archE1201ELNS1_3gpuE5ELNS1_3repE0EEENS1_30default_config_static_selectorELNS0_4arch9wavefront6targetE0EEEvSM_,comdat
.Lfunc_end510:
	.size	_ZN7rocprim17ROCPRIM_400000_NS6detail17trampoline_kernelINS0_14default_configENS1_37merge_sort_block_sort_config_selectorIlNS0_10empty_typeEEEZNS1_21merge_sort_block_sortIS3_PlS8_PS5_S9_ZN2at6native12_GLOBAL__N_124unique_dim_cuda_templateIlEESt5tupleIJNSA_6TensorESF_SF_EERKSF_lbbbEUlllE_EE10hipError_tT0_T1_T2_T3_mRjT4_P12ihipStream_tbNS1_7vsmem_tEEUlT_E_NS1_11comp_targetILNS1_3genE10ELNS1_11target_archE1201ELNS1_3gpuE5ELNS1_3repE0EEENS1_30default_config_static_selectorELNS0_4arch9wavefront6targetE0EEEvSM_, .Lfunc_end510-_ZN7rocprim17ROCPRIM_400000_NS6detail17trampoline_kernelINS0_14default_configENS1_37merge_sort_block_sort_config_selectorIlNS0_10empty_typeEEEZNS1_21merge_sort_block_sortIS3_PlS8_PS5_S9_ZN2at6native12_GLOBAL__N_124unique_dim_cuda_templateIlEESt5tupleIJNSA_6TensorESF_SF_EERKSF_lbbbEUlllE_EE10hipError_tT0_T1_T2_T3_mRjT4_P12ihipStream_tbNS1_7vsmem_tEEUlT_E_NS1_11comp_targetILNS1_3genE10ELNS1_11target_archE1201ELNS1_3gpuE5ELNS1_3repE0EEENS1_30default_config_static_selectorELNS0_4arch9wavefront6targetE0EEEvSM_
                                        ; -- End function
	.section	.AMDGPU.csdata,"",@progbits
; Kernel info:
; codeLenInByte = 0
; NumSgprs: 0
; NumVgprs: 0
; ScratchSize: 0
; MemoryBound: 0
; FloatMode: 240
; IeeeMode: 1
; LDSByteSize: 0 bytes/workgroup (compile time only)
; SGPRBlocks: 0
; VGPRBlocks: 0
; NumSGPRsForWavesPerEU: 1
; NumVGPRsForWavesPerEU: 1
; Occupancy: 16
; WaveLimiterHint : 0
; COMPUTE_PGM_RSRC2:SCRATCH_EN: 0
; COMPUTE_PGM_RSRC2:USER_SGPR: 15
; COMPUTE_PGM_RSRC2:TRAP_HANDLER: 0
; COMPUTE_PGM_RSRC2:TGID_X_EN: 1
; COMPUTE_PGM_RSRC2:TGID_Y_EN: 0
; COMPUTE_PGM_RSRC2:TGID_Z_EN: 0
; COMPUTE_PGM_RSRC2:TIDIG_COMP_CNT: 0
	.section	.text._ZN7rocprim17ROCPRIM_400000_NS6detail17trampoline_kernelINS0_14default_configENS1_37merge_sort_block_sort_config_selectorIlNS0_10empty_typeEEEZNS1_21merge_sort_block_sortIS3_PlS8_PS5_S9_ZN2at6native12_GLOBAL__N_124unique_dim_cuda_templateIlEESt5tupleIJNSA_6TensorESF_SF_EERKSF_lbbbEUlllE_EE10hipError_tT0_T1_T2_T3_mRjT4_P12ihipStream_tbNS1_7vsmem_tEEUlT_E_NS1_11comp_targetILNS1_3genE10ELNS1_11target_archE1200ELNS1_3gpuE4ELNS1_3repE0EEENS1_30default_config_static_selectorELNS0_4arch9wavefront6targetE0EEEvSM_,"axG",@progbits,_ZN7rocprim17ROCPRIM_400000_NS6detail17trampoline_kernelINS0_14default_configENS1_37merge_sort_block_sort_config_selectorIlNS0_10empty_typeEEEZNS1_21merge_sort_block_sortIS3_PlS8_PS5_S9_ZN2at6native12_GLOBAL__N_124unique_dim_cuda_templateIlEESt5tupleIJNSA_6TensorESF_SF_EERKSF_lbbbEUlllE_EE10hipError_tT0_T1_T2_T3_mRjT4_P12ihipStream_tbNS1_7vsmem_tEEUlT_E_NS1_11comp_targetILNS1_3genE10ELNS1_11target_archE1200ELNS1_3gpuE4ELNS1_3repE0EEENS1_30default_config_static_selectorELNS0_4arch9wavefront6targetE0EEEvSM_,comdat
	.globl	_ZN7rocprim17ROCPRIM_400000_NS6detail17trampoline_kernelINS0_14default_configENS1_37merge_sort_block_sort_config_selectorIlNS0_10empty_typeEEEZNS1_21merge_sort_block_sortIS3_PlS8_PS5_S9_ZN2at6native12_GLOBAL__N_124unique_dim_cuda_templateIlEESt5tupleIJNSA_6TensorESF_SF_EERKSF_lbbbEUlllE_EE10hipError_tT0_T1_T2_T3_mRjT4_P12ihipStream_tbNS1_7vsmem_tEEUlT_E_NS1_11comp_targetILNS1_3genE10ELNS1_11target_archE1200ELNS1_3gpuE4ELNS1_3repE0EEENS1_30default_config_static_selectorELNS0_4arch9wavefront6targetE0EEEvSM_ ; -- Begin function _ZN7rocprim17ROCPRIM_400000_NS6detail17trampoline_kernelINS0_14default_configENS1_37merge_sort_block_sort_config_selectorIlNS0_10empty_typeEEEZNS1_21merge_sort_block_sortIS3_PlS8_PS5_S9_ZN2at6native12_GLOBAL__N_124unique_dim_cuda_templateIlEESt5tupleIJNSA_6TensorESF_SF_EERKSF_lbbbEUlllE_EE10hipError_tT0_T1_T2_T3_mRjT4_P12ihipStream_tbNS1_7vsmem_tEEUlT_E_NS1_11comp_targetILNS1_3genE10ELNS1_11target_archE1200ELNS1_3gpuE4ELNS1_3repE0EEENS1_30default_config_static_selectorELNS0_4arch9wavefront6targetE0EEEvSM_
	.p2align	8
	.type	_ZN7rocprim17ROCPRIM_400000_NS6detail17trampoline_kernelINS0_14default_configENS1_37merge_sort_block_sort_config_selectorIlNS0_10empty_typeEEEZNS1_21merge_sort_block_sortIS3_PlS8_PS5_S9_ZN2at6native12_GLOBAL__N_124unique_dim_cuda_templateIlEESt5tupleIJNSA_6TensorESF_SF_EERKSF_lbbbEUlllE_EE10hipError_tT0_T1_T2_T3_mRjT4_P12ihipStream_tbNS1_7vsmem_tEEUlT_E_NS1_11comp_targetILNS1_3genE10ELNS1_11target_archE1200ELNS1_3gpuE4ELNS1_3repE0EEENS1_30default_config_static_selectorELNS0_4arch9wavefront6targetE0EEEvSM_,@function
_ZN7rocprim17ROCPRIM_400000_NS6detail17trampoline_kernelINS0_14default_configENS1_37merge_sort_block_sort_config_selectorIlNS0_10empty_typeEEEZNS1_21merge_sort_block_sortIS3_PlS8_PS5_S9_ZN2at6native12_GLOBAL__N_124unique_dim_cuda_templateIlEESt5tupleIJNSA_6TensorESF_SF_EERKSF_lbbbEUlllE_EE10hipError_tT0_T1_T2_T3_mRjT4_P12ihipStream_tbNS1_7vsmem_tEEUlT_E_NS1_11comp_targetILNS1_3genE10ELNS1_11target_archE1200ELNS1_3gpuE4ELNS1_3repE0EEENS1_30default_config_static_selectorELNS0_4arch9wavefront6targetE0EEEvSM_: ; @_ZN7rocprim17ROCPRIM_400000_NS6detail17trampoline_kernelINS0_14default_configENS1_37merge_sort_block_sort_config_selectorIlNS0_10empty_typeEEEZNS1_21merge_sort_block_sortIS3_PlS8_PS5_S9_ZN2at6native12_GLOBAL__N_124unique_dim_cuda_templateIlEESt5tupleIJNSA_6TensorESF_SF_EERKSF_lbbbEUlllE_EE10hipError_tT0_T1_T2_T3_mRjT4_P12ihipStream_tbNS1_7vsmem_tEEUlT_E_NS1_11comp_targetILNS1_3genE10ELNS1_11target_archE1200ELNS1_3gpuE4ELNS1_3repE0EEENS1_30default_config_static_selectorELNS0_4arch9wavefront6targetE0EEEvSM_
; %bb.0:
	.section	.rodata,"a",@progbits
	.p2align	6, 0x0
	.amdhsa_kernel _ZN7rocprim17ROCPRIM_400000_NS6detail17trampoline_kernelINS0_14default_configENS1_37merge_sort_block_sort_config_selectorIlNS0_10empty_typeEEEZNS1_21merge_sort_block_sortIS3_PlS8_PS5_S9_ZN2at6native12_GLOBAL__N_124unique_dim_cuda_templateIlEESt5tupleIJNSA_6TensorESF_SF_EERKSF_lbbbEUlllE_EE10hipError_tT0_T1_T2_T3_mRjT4_P12ihipStream_tbNS1_7vsmem_tEEUlT_E_NS1_11comp_targetILNS1_3genE10ELNS1_11target_archE1200ELNS1_3gpuE4ELNS1_3repE0EEENS1_30default_config_static_selectorELNS0_4arch9wavefront6targetE0EEEvSM_
		.amdhsa_group_segment_fixed_size 0
		.amdhsa_private_segment_fixed_size 0
		.amdhsa_kernarg_size 72
		.amdhsa_user_sgpr_count 15
		.amdhsa_user_sgpr_dispatch_ptr 0
		.amdhsa_user_sgpr_queue_ptr 0
		.amdhsa_user_sgpr_kernarg_segment_ptr 1
		.amdhsa_user_sgpr_dispatch_id 0
		.amdhsa_user_sgpr_private_segment_size 0
		.amdhsa_wavefront_size32 1
		.amdhsa_uses_dynamic_stack 0
		.amdhsa_enable_private_segment 0
		.amdhsa_system_sgpr_workgroup_id_x 1
		.amdhsa_system_sgpr_workgroup_id_y 0
		.amdhsa_system_sgpr_workgroup_id_z 0
		.amdhsa_system_sgpr_workgroup_info 0
		.amdhsa_system_vgpr_workitem_id 0
		.amdhsa_next_free_vgpr 1
		.amdhsa_next_free_sgpr 1
		.amdhsa_reserve_vcc 0
		.amdhsa_float_round_mode_32 0
		.amdhsa_float_round_mode_16_64 0
		.amdhsa_float_denorm_mode_32 3
		.amdhsa_float_denorm_mode_16_64 3
		.amdhsa_dx10_clamp 1
		.amdhsa_ieee_mode 1
		.amdhsa_fp16_overflow 0
		.amdhsa_workgroup_processor_mode 1
		.amdhsa_memory_ordered 1
		.amdhsa_forward_progress 0
		.amdhsa_shared_vgpr_count 0
		.amdhsa_exception_fp_ieee_invalid_op 0
		.amdhsa_exception_fp_denorm_src 0
		.amdhsa_exception_fp_ieee_div_zero 0
		.amdhsa_exception_fp_ieee_overflow 0
		.amdhsa_exception_fp_ieee_underflow 0
		.amdhsa_exception_fp_ieee_inexact 0
		.amdhsa_exception_int_div_zero 0
	.end_amdhsa_kernel
	.section	.text._ZN7rocprim17ROCPRIM_400000_NS6detail17trampoline_kernelINS0_14default_configENS1_37merge_sort_block_sort_config_selectorIlNS0_10empty_typeEEEZNS1_21merge_sort_block_sortIS3_PlS8_PS5_S9_ZN2at6native12_GLOBAL__N_124unique_dim_cuda_templateIlEESt5tupleIJNSA_6TensorESF_SF_EERKSF_lbbbEUlllE_EE10hipError_tT0_T1_T2_T3_mRjT4_P12ihipStream_tbNS1_7vsmem_tEEUlT_E_NS1_11comp_targetILNS1_3genE10ELNS1_11target_archE1200ELNS1_3gpuE4ELNS1_3repE0EEENS1_30default_config_static_selectorELNS0_4arch9wavefront6targetE0EEEvSM_,"axG",@progbits,_ZN7rocprim17ROCPRIM_400000_NS6detail17trampoline_kernelINS0_14default_configENS1_37merge_sort_block_sort_config_selectorIlNS0_10empty_typeEEEZNS1_21merge_sort_block_sortIS3_PlS8_PS5_S9_ZN2at6native12_GLOBAL__N_124unique_dim_cuda_templateIlEESt5tupleIJNSA_6TensorESF_SF_EERKSF_lbbbEUlllE_EE10hipError_tT0_T1_T2_T3_mRjT4_P12ihipStream_tbNS1_7vsmem_tEEUlT_E_NS1_11comp_targetILNS1_3genE10ELNS1_11target_archE1200ELNS1_3gpuE4ELNS1_3repE0EEENS1_30default_config_static_selectorELNS0_4arch9wavefront6targetE0EEEvSM_,comdat
.Lfunc_end511:
	.size	_ZN7rocprim17ROCPRIM_400000_NS6detail17trampoline_kernelINS0_14default_configENS1_37merge_sort_block_sort_config_selectorIlNS0_10empty_typeEEEZNS1_21merge_sort_block_sortIS3_PlS8_PS5_S9_ZN2at6native12_GLOBAL__N_124unique_dim_cuda_templateIlEESt5tupleIJNSA_6TensorESF_SF_EERKSF_lbbbEUlllE_EE10hipError_tT0_T1_T2_T3_mRjT4_P12ihipStream_tbNS1_7vsmem_tEEUlT_E_NS1_11comp_targetILNS1_3genE10ELNS1_11target_archE1200ELNS1_3gpuE4ELNS1_3repE0EEENS1_30default_config_static_selectorELNS0_4arch9wavefront6targetE0EEEvSM_, .Lfunc_end511-_ZN7rocprim17ROCPRIM_400000_NS6detail17trampoline_kernelINS0_14default_configENS1_37merge_sort_block_sort_config_selectorIlNS0_10empty_typeEEEZNS1_21merge_sort_block_sortIS3_PlS8_PS5_S9_ZN2at6native12_GLOBAL__N_124unique_dim_cuda_templateIlEESt5tupleIJNSA_6TensorESF_SF_EERKSF_lbbbEUlllE_EE10hipError_tT0_T1_T2_T3_mRjT4_P12ihipStream_tbNS1_7vsmem_tEEUlT_E_NS1_11comp_targetILNS1_3genE10ELNS1_11target_archE1200ELNS1_3gpuE4ELNS1_3repE0EEENS1_30default_config_static_selectorELNS0_4arch9wavefront6targetE0EEEvSM_
                                        ; -- End function
	.section	.AMDGPU.csdata,"",@progbits
; Kernel info:
; codeLenInByte = 0
; NumSgprs: 0
; NumVgprs: 0
; ScratchSize: 0
; MemoryBound: 0
; FloatMode: 240
; IeeeMode: 1
; LDSByteSize: 0 bytes/workgroup (compile time only)
; SGPRBlocks: 0
; VGPRBlocks: 0
; NumSGPRsForWavesPerEU: 1
; NumVGPRsForWavesPerEU: 1
; Occupancy: 16
; WaveLimiterHint : 0
; COMPUTE_PGM_RSRC2:SCRATCH_EN: 0
; COMPUTE_PGM_RSRC2:USER_SGPR: 15
; COMPUTE_PGM_RSRC2:TRAP_HANDLER: 0
; COMPUTE_PGM_RSRC2:TGID_X_EN: 1
; COMPUTE_PGM_RSRC2:TGID_Y_EN: 0
; COMPUTE_PGM_RSRC2:TGID_Z_EN: 0
; COMPUTE_PGM_RSRC2:TIDIG_COMP_CNT: 0
	.section	.text._ZN7rocprim17ROCPRIM_400000_NS6detail17trampoline_kernelINS0_14default_configENS1_37merge_sort_block_sort_config_selectorIlNS0_10empty_typeEEEZNS1_21merge_sort_block_sortIS3_PlS8_PS5_S9_ZN2at6native12_GLOBAL__N_124unique_dim_cuda_templateIlEESt5tupleIJNSA_6TensorESF_SF_EERKSF_lbbbEUlllE_EE10hipError_tT0_T1_T2_T3_mRjT4_P12ihipStream_tbNS1_7vsmem_tEEUlT_E_NS1_11comp_targetILNS1_3genE9ELNS1_11target_archE1100ELNS1_3gpuE3ELNS1_3repE0EEENS1_30default_config_static_selectorELNS0_4arch9wavefront6targetE0EEEvSM_,"axG",@progbits,_ZN7rocprim17ROCPRIM_400000_NS6detail17trampoline_kernelINS0_14default_configENS1_37merge_sort_block_sort_config_selectorIlNS0_10empty_typeEEEZNS1_21merge_sort_block_sortIS3_PlS8_PS5_S9_ZN2at6native12_GLOBAL__N_124unique_dim_cuda_templateIlEESt5tupleIJNSA_6TensorESF_SF_EERKSF_lbbbEUlllE_EE10hipError_tT0_T1_T2_T3_mRjT4_P12ihipStream_tbNS1_7vsmem_tEEUlT_E_NS1_11comp_targetILNS1_3genE9ELNS1_11target_archE1100ELNS1_3gpuE3ELNS1_3repE0EEENS1_30default_config_static_selectorELNS0_4arch9wavefront6targetE0EEEvSM_,comdat
	.globl	_ZN7rocprim17ROCPRIM_400000_NS6detail17trampoline_kernelINS0_14default_configENS1_37merge_sort_block_sort_config_selectorIlNS0_10empty_typeEEEZNS1_21merge_sort_block_sortIS3_PlS8_PS5_S9_ZN2at6native12_GLOBAL__N_124unique_dim_cuda_templateIlEESt5tupleIJNSA_6TensorESF_SF_EERKSF_lbbbEUlllE_EE10hipError_tT0_T1_T2_T3_mRjT4_P12ihipStream_tbNS1_7vsmem_tEEUlT_E_NS1_11comp_targetILNS1_3genE9ELNS1_11target_archE1100ELNS1_3gpuE3ELNS1_3repE0EEENS1_30default_config_static_selectorELNS0_4arch9wavefront6targetE0EEEvSM_ ; -- Begin function _ZN7rocprim17ROCPRIM_400000_NS6detail17trampoline_kernelINS0_14default_configENS1_37merge_sort_block_sort_config_selectorIlNS0_10empty_typeEEEZNS1_21merge_sort_block_sortIS3_PlS8_PS5_S9_ZN2at6native12_GLOBAL__N_124unique_dim_cuda_templateIlEESt5tupleIJNSA_6TensorESF_SF_EERKSF_lbbbEUlllE_EE10hipError_tT0_T1_T2_T3_mRjT4_P12ihipStream_tbNS1_7vsmem_tEEUlT_E_NS1_11comp_targetILNS1_3genE9ELNS1_11target_archE1100ELNS1_3gpuE3ELNS1_3repE0EEENS1_30default_config_static_selectorELNS0_4arch9wavefront6targetE0EEEvSM_
	.p2align	8
	.type	_ZN7rocprim17ROCPRIM_400000_NS6detail17trampoline_kernelINS0_14default_configENS1_37merge_sort_block_sort_config_selectorIlNS0_10empty_typeEEEZNS1_21merge_sort_block_sortIS3_PlS8_PS5_S9_ZN2at6native12_GLOBAL__N_124unique_dim_cuda_templateIlEESt5tupleIJNSA_6TensorESF_SF_EERKSF_lbbbEUlllE_EE10hipError_tT0_T1_T2_T3_mRjT4_P12ihipStream_tbNS1_7vsmem_tEEUlT_E_NS1_11comp_targetILNS1_3genE9ELNS1_11target_archE1100ELNS1_3gpuE3ELNS1_3repE0EEENS1_30default_config_static_selectorELNS0_4arch9wavefront6targetE0EEEvSM_,@function
_ZN7rocprim17ROCPRIM_400000_NS6detail17trampoline_kernelINS0_14default_configENS1_37merge_sort_block_sort_config_selectorIlNS0_10empty_typeEEEZNS1_21merge_sort_block_sortIS3_PlS8_PS5_S9_ZN2at6native12_GLOBAL__N_124unique_dim_cuda_templateIlEESt5tupleIJNSA_6TensorESF_SF_EERKSF_lbbbEUlllE_EE10hipError_tT0_T1_T2_T3_mRjT4_P12ihipStream_tbNS1_7vsmem_tEEUlT_E_NS1_11comp_targetILNS1_3genE9ELNS1_11target_archE1100ELNS1_3gpuE3ELNS1_3repE0EEENS1_30default_config_static_selectorELNS0_4arch9wavefront6targetE0EEEvSM_: ; @_ZN7rocprim17ROCPRIM_400000_NS6detail17trampoline_kernelINS0_14default_configENS1_37merge_sort_block_sort_config_selectorIlNS0_10empty_typeEEEZNS1_21merge_sort_block_sortIS3_PlS8_PS5_S9_ZN2at6native12_GLOBAL__N_124unique_dim_cuda_templateIlEESt5tupleIJNSA_6TensorESF_SF_EERKSF_lbbbEUlllE_EE10hipError_tT0_T1_T2_T3_mRjT4_P12ihipStream_tbNS1_7vsmem_tEEUlT_E_NS1_11comp_targetILNS1_3genE9ELNS1_11target_archE1100ELNS1_3gpuE3ELNS1_3repE0EEENS1_30default_config_static_selectorELNS0_4arch9wavefront6targetE0EEEvSM_
; %bb.0:
	s_clause 0x1
	s_load_b64 s[6:7], s[0:1], 0x48
	s_load_b32 s3, s[0:1], 0x0
	s_add_u32 s4, s0, 0x48
	s_addc_u32 s5, s1, 0
	s_waitcnt lgkmcnt(0)
	s_mul_i32 s2, s7, s15
	s_delay_alu instid0(SALU_CYCLE_1) | instskip(NEXT) | instid1(SALU_CYCLE_1)
	s_add_i32 s2, s2, s14
	s_mul_i32 s2, s2, s6
	s_delay_alu instid0(SALU_CYCLE_1) | instskip(NEXT) | instid1(SALU_CYCLE_1)
	s_add_i32 s2, s2, s13
	s_cmp_ge_u32 s2, s3
	s_cbranch_scc1 .LBB512_878
; %bb.1:
	s_clause 0x2
	s_load_b64 s[18:19], s[0:1], 0x8
	s_load_b128 s[8:11], s[0:1], 0x38
	s_load_b128 s[20:23], s[0:1], 0x18
	v_and_b32_e32 v12, 0x3ff, v0
	s_mov_b32 s3, 0
	v_bfe_u32 v28, v0, 10, 10
	s_lshl_b64 s[0:1], s[2:3], 13
	v_bfe_u32 v29, v0, 20, 10
	v_lshlrev_b32_e32 v26, 3, v12
	v_lshrrev_b32_e32 v31, 2, v12
	v_add_nc_u32_e32 v34, 0x100, v12
	v_add_nc_u32_e32 v33, 0x200, v12
	;; [unrolled: 1-line block ×3, first 2 shown]
	v_lshlrev_b32_e32 v27, 2, v12
	v_lshrrev_b32_e32 v30, 3, v12
	s_waitcnt lgkmcnt(0)
	s_lshr_b64 s[24:25], s[18:19], 10
	v_cmp_gt_i64_e64 s7, s[8:9], 0
	s_add_u32 s16, s20, s0
	s_addc_u32 s17, s21, s1
	s_add_u32 s14, s22, s0
	s_addc_u32 s15, s23, s1
	s_cmp_lg_u64 s[24:25], s[2:3]
	s_cbranch_scc0 .LBB512_8
; %bb.2:
	v_add_co_u32 v0, s0, s16, v26
	s_delay_alu instid0(VALU_DEP_1) | instskip(SKIP_1) | instid1(VALU_DEP_3)
	v_add_co_ci_u32_e64 v1, null, s17, 0, s0
	v_lshrrev_b32_e32 v8, 2, v34
	v_add_co_u32 v0, vcc_lo, 0x1000, v0
	s_delay_alu instid0(VALU_DEP_3)
	v_add_co_ci_u32_e32 v1, vcc_lo, 0, v1, vcc_lo
	v_lshrrev_b32_e32 v9, 2, v33
	s_clause 0x3
	global_load_b64 v[2:3], v26, s[16:17]
	global_load_b64 v[4:5], v26, s[16:17] offset:2048
	global_load_b64 v[6:7], v[0:1], off
	global_load_b64 v[0:1], v[0:1], off offset:2048
	v_lshrrev_b32_e32 v10, 2, v32
	v_and_b32_e32 v11, 0xf8, v31
	v_dual_mov_b32 v13, 0 :: v_dual_and_b32 v8, 0x1f8, v8
	v_and_b32_e32 v9, 0x1f8, v9
	s_delay_alu instid0(VALU_DEP_4) | instskip(NEXT) | instid1(VALU_DEP_4)
	v_and_b32_e32 v10, 0x1f8, v10
	v_add_nc_u32_e32 v35, v11, v26
	v_add_lshl_u32 v39, v30, v27, 3
	v_add_nc_u32_e32 v38, v8, v26
	v_add_nc_u32_e32 v36, v9, v26
	;; [unrolled: 1-line block ×3, first 2 shown]
	s_waitcnt vmcnt(3)
	ds_store_b64 v35, v[2:3]
	s_waitcnt vmcnt(2)
	ds_store_b64 v38, v[4:5] offset:2048
	s_waitcnt vmcnt(1)
	ds_store_b64 v36, v[6:7] offset:4096
	;; [unrolled: 2-line block ×3, first 2 shown]
	s_waitcnt lgkmcnt(0)
	s_barrier
	buffer_gl0_inv
	ds_load_2addr_b64 v[8:11], v39 offset1:1
	ds_load_2addr_b64 v[4:7], v39 offset0:2 offset1:3
	s_waitcnt lgkmcnt(0)
	s_barrier
	buffer_gl0_inv
	s_load_b32 s0, s[4:5], 0xc
	v_dual_mov_b32 v3, v11 :: v_dual_mov_b32 v2, v10
	s_waitcnt lgkmcnt(0)
	s_lshr_b32 s12, s0, 16
	s_cmp_lt_u32 s13, s6
	v_mad_u32_u24 v1, v29, s12, v28
	s_cselect_b32 s0, 12, 18
	s_mov_b32 s12, exec_lo
	s_add_u32 s0, s4, s0
	s_addc_u32 s1, s5, 0
	global_load_u16 v0, v13, s[0:1]
	s_waitcnt vmcnt(0)
	v_mul_lo_u32 v0, v1, v0
	v_mov_b32_e32 v1, v9
	s_delay_alu instid0(VALU_DEP_2) | instskip(SKIP_1) | instid1(VALU_DEP_2)
	v_add_lshl_u32 v40, v0, v12, 2
	v_mov_b32_e32 v0, v8
	v_cmpx_gt_u32_e32 0x400, v40
	s_cbranch_execz .LBB512_62
; %bb.3:
	s_and_not1_b32 vcc_lo, exec_lo, s7
	s_cbranch_vccnz .LBB512_14
; %bb.4:
	v_mul_lo_u32 v18, v11, s8
	v_mul_lo_u32 v19, v10, s9
	v_mad_u64_u32 v[14:15], null, v10, s8, 0
	v_mul_lo_u32 v20, v9, s8
	v_mul_lo_u32 v21, v8, s9
	v_mad_u64_u32 v[16:17], null, v8, s8, 0
	s_mov_b32 s22, 0
	s_mov_b64 s[20:21], s[8:9]
	s_delay_alu instid0(VALU_DEP_4) | instskip(NEXT) | instid1(VALU_DEP_2)
	v_add3_u32 v15, v15, v19, v18
                                        ; implicit-def: $sgpr19
                                        ; implicit-def: $sgpr23
                                        ; implicit-def: $sgpr25
                                        ; implicit-def: $sgpr24
                                        ; implicit-def: $sgpr26
                                        ; implicit-def: $sgpr27
	v_add3_u32 v17, v17, v21, v20
	s_delay_alu instid0(VALU_DEP_2) | instskip(NEXT) | instid1(VALU_DEP_2)
	v_lshlrev_b64 v[14:15], 3, v[14:15]
	v_lshlrev_b64 v[16:17], 3, v[16:17]
	s_delay_alu instid0(VALU_DEP_2) | instskip(NEXT) | instid1(VALU_DEP_3)
	v_add_co_u32 v14, vcc_lo, s10, v14
	v_add_co_ci_u32_e32 v15, vcc_lo, s11, v15, vcc_lo
	s_delay_alu instid0(VALU_DEP_3) | instskip(NEXT) | instid1(VALU_DEP_4)
	v_add_co_u32 v16, vcc_lo, s10, v16
	v_add_co_ci_u32_e32 v17, vcc_lo, s11, v17, vcc_lo
	s_set_inst_prefetch_distance 0x1
	s_branch .LBB512_6
	.p2align	6
.LBB512_5:                              ;   in Loop: Header=BB512_6 Depth=1
	s_or_b32 exec_lo, exec_lo, s28
	s_delay_alu instid0(SALU_CYCLE_1) | instskip(NEXT) | instid1(SALU_CYCLE_1)
	s_and_b32 s1, exec_lo, s25
	s_or_b32 s22, s1, s22
	s_and_not1_b32 s1, s27, exec_lo
	s_and_b32 s27, s26, exec_lo
	s_and_not1_b32 s23, s23, exec_lo
	s_or_b32 s27, s1, s27
	s_and_b32 s1, s24, exec_lo
	s_and_not1_b32 s19, s19, exec_lo
	s_and_b32 s0, s0, exec_lo
	s_or_b32 s23, s23, s1
	s_or_b32 s19, s19, s0
	s_and_not1_b32 exec_lo, exec_lo, s22
	s_cbranch_execz .LBB512_9
.LBB512_6:                              ; =>This Inner Loop Header: Depth=1
	global_load_b64 v[18:19], v[14:15], off
	global_load_b64 v[20:21], v[16:17], off
	s_and_not1_b32 s26, s26, exec_lo
	s_or_b32 s24, s24, exec_lo
	s_or_b32 s25, s25, exec_lo
	s_waitcnt vmcnt(0)
	v_cmp_le_i64_e32 vcc_lo, v[18:19], v[20:21]
	v_cmp_lt_i64_e64 s0, v[18:19], v[20:21]
	s_and_b32 s28, vcc_lo, s27
	s_delay_alu instid0(VALU_DEP_1) | instid1(SALU_CYCLE_1)
	s_or_b32 s0, s0, s28
	s_mov_b32 s28, exec_lo
	v_cmpx_eq_u64_e64 v[18:19], v[20:21]
	s_cbranch_execz .LBB512_5
; %bb.7:                                ;   in Loop: Header=BB512_6 Depth=1
	s_add_u32 s20, s20, -1
	s_addc_u32 s21, s21, -1
	v_add_co_u32 v14, vcc_lo, v14, 8
	s_cmp_eq_u64 s[20:21], 0
	v_add_co_ci_u32_e32 v15, vcc_lo, 0, v15, vcc_lo
	v_add_co_u32 v16, vcc_lo, v16, 8
	s_cselect_b32 s1, -1, 0
	v_add_co_ci_u32_e32 v17, vcc_lo, 0, v17, vcc_lo
	s_and_not1_b32 s26, s26, exec_lo
	s_and_b32 s27, s0, exec_lo
	s_and_not1_b32 s25, s25, exec_lo
	s_and_b32 s1, s1, exec_lo
	s_or_b32 s26, s26, s27
	s_and_not1_b32 s24, s24, exec_lo
	s_or_b32 s25, s25, s1
                                        ; implicit-def: $sgpr27
	s_branch .LBB512_5
.LBB512_8:
	s_mov_b32 s19, s3
                                        ; implicit-def: $vgpr0_vgpr1
	s_cbranch_execnz .LBB512_520
	s_branch .LBB512_876
.LBB512_9:
	s_set_inst_prefetch_distance 0x2
	s_or_b32 exec_lo, exec_lo, s22
	s_and_saveexec_b32 s0, s23
	s_delay_alu instid0(SALU_CYCLE_1)
	s_xor_b32 s0, exec_lo, s0
	s_cbranch_execz .LBB512_13
; %bb.10:
	v_dual_mov_b32 v15, v11 :: v_dual_mov_b32 v14, v10
	s_and_saveexec_b32 s1, s19
; %bb.11:
	v_dual_mov_b32 v0, v10 :: v_dual_mov_b32 v1, v11
	v_dual_mov_b32 v2, v8 :: v_dual_mov_b32 v3, v9
	v_dual_mov_b32 v15, v9 :: v_dual_mov_b32 v14, v8
	v_dual_mov_b32 v8, v10 :: v_dual_mov_b32 v9, v11
; %bb.12:
	s_or_b32 exec_lo, exec_lo, s1
	s_delay_alu instid0(VALU_DEP_2)
	v_dual_mov_b32 v10, v14 :: v_dual_mov_b32 v11, v15
.LBB512_13:
	s_or_b32 exec_lo, exec_lo, s0
.LBB512_14:
	v_mul_lo_u32 v20, v5, s8
	v_mul_lo_u32 v21, v4, s9
	v_mad_u64_u32 v[18:19], null, v4, s8, 0
	v_dual_mov_b32 v16, v6 :: v_dual_mov_b32 v17, v7
	v_dual_mov_b32 v14, v4 :: v_dual_mov_b32 v15, v5
	s_and_not1_b32 vcc_lo, exec_lo, s7
	s_delay_alu instid0(VALU_DEP_3)
	v_add3_u32 v19, v19, v21, v20
	s_cbranch_vccnz .LBB512_24
; %bb.15:
	v_mul_lo_u32 v22, v7, s8
	v_mul_lo_u32 v23, v6, s9
	v_mad_u64_u32 v[20:21], null, v6, s8, 0
	v_lshlrev_b64 v[24:25], 3, v[18:19]
	s_mov_b32 s22, 0
	s_mov_b64 s[20:21], s[8:9]
                                        ; implicit-def: $sgpr19
                                        ; implicit-def: $sgpr23
                                        ; implicit-def: $sgpr25
                                        ; implicit-def: $sgpr24
                                        ; implicit-def: $sgpr26
                                        ; implicit-def: $sgpr27
	s_delay_alu instid0(VALU_DEP_2) | instskip(NEXT) | instid1(VALU_DEP_1)
	v_add3_u32 v21, v21, v23, v22
	v_lshlrev_b64 v[22:23], 3, v[20:21]
	s_delay_alu instid0(VALU_DEP_1) | instskip(NEXT) | instid1(VALU_DEP_2)
	v_add_co_u32 v22, vcc_lo, s10, v22
	v_add_co_ci_u32_e32 v23, vcc_lo, s11, v23, vcc_lo
	v_add_co_u32 v24, vcc_lo, s10, v24
	v_add_co_ci_u32_e32 v25, vcc_lo, s11, v25, vcc_lo
	s_set_inst_prefetch_distance 0x1
	s_branch .LBB512_17
	.p2align	6
.LBB512_16:                             ;   in Loop: Header=BB512_17 Depth=1
	s_or_b32 exec_lo, exec_lo, s28
	s_delay_alu instid0(SALU_CYCLE_1) | instskip(NEXT) | instid1(SALU_CYCLE_1)
	s_and_b32 s1, exec_lo, s25
	s_or_b32 s22, s1, s22
	s_and_not1_b32 s1, s27, exec_lo
	s_and_b32 s27, s26, exec_lo
	s_and_not1_b32 s23, s23, exec_lo
	s_or_b32 s27, s1, s27
	s_and_b32 s1, s24, exec_lo
	s_and_not1_b32 s19, s19, exec_lo
	s_and_b32 s0, s0, exec_lo
	s_or_b32 s23, s23, s1
	s_or_b32 s19, s19, s0
	s_and_not1_b32 exec_lo, exec_lo, s22
	s_cbranch_execz .LBB512_19
.LBB512_17:                             ; =>This Inner Loop Header: Depth=1
	global_load_b64 v[41:42], v[22:23], off
	global_load_b64 v[43:44], v[24:25], off
	s_and_not1_b32 s26, s26, exec_lo
	s_or_b32 s24, s24, exec_lo
	s_or_b32 s25, s25, exec_lo
	s_waitcnt vmcnt(0)
	v_cmp_le_i64_e32 vcc_lo, v[41:42], v[43:44]
	v_cmp_lt_i64_e64 s0, v[41:42], v[43:44]
	s_and_b32 s28, vcc_lo, s27
	s_delay_alu instid0(VALU_DEP_1) | instid1(SALU_CYCLE_1)
	s_or_b32 s0, s0, s28
	s_mov_b32 s28, exec_lo
	v_cmpx_eq_u64_e64 v[41:42], v[43:44]
	s_cbranch_execz .LBB512_16
; %bb.18:                               ;   in Loop: Header=BB512_17 Depth=1
	s_add_u32 s20, s20, -1
	s_addc_u32 s21, s21, -1
	v_add_co_u32 v22, vcc_lo, v22, 8
	s_cmp_eq_u64 s[20:21], 0
	v_add_co_ci_u32_e32 v23, vcc_lo, 0, v23, vcc_lo
	v_add_co_u32 v24, vcc_lo, v24, 8
	s_cselect_b32 s1, -1, 0
	v_add_co_ci_u32_e32 v25, vcc_lo, 0, v25, vcc_lo
	s_and_not1_b32 s26, s26, exec_lo
	s_and_b32 s27, s0, exec_lo
	s_and_not1_b32 s25, s25, exec_lo
	s_and_b32 s1, s1, exec_lo
	s_or_b32 s26, s26, s27
	s_and_not1_b32 s24, s24, exec_lo
	s_or_b32 s25, s25, s1
                                        ; implicit-def: $sgpr27
	s_branch .LBB512_16
.LBB512_19:
	s_set_inst_prefetch_distance 0x2
	s_or_b32 exec_lo, exec_lo, s22
	s_and_saveexec_b32 s0, s23
	s_delay_alu instid0(SALU_CYCLE_1)
	s_xor_b32 s0, exec_lo, s0
	s_cbranch_execz .LBB512_23
; %bb.20:
	s_and_saveexec_b32 s1, s19
	s_cbranch_execz .LBB512_22
; %bb.21:
	v_dual_mov_b32 v41, v0 :: v_dual_mov_b32 v42, v1
	v_dual_mov_b32 v43, v2 :: v_dual_mov_b32 v44, v3
	;; [unrolled: 1-line block ×12, first 2 shown]
.LBB512_22:
	s_or_b32 exec_lo, exec_lo, s1
.LBB512_23:
	s_delay_alu instid0(SALU_CYCLE_1)
	s_or_b32 exec_lo, exec_lo, s0
.LBB512_24:
	v_mul_lo_u32 v22, v11, s8
	v_mul_lo_u32 v23, v10, s9
	v_mad_u64_u32 v[20:21], null, v10, s8, 0
	s_and_not1_b32 vcc_lo, exec_lo, s7
	s_delay_alu instid0(VALU_DEP_1)
	v_add3_u32 v21, v21, v23, v22
	s_cbranch_vccnz .LBB512_34
; %bb.25:
	v_lshlrev_b64 v[22:23], 3, v[18:19]
	s_delay_alu instid0(VALU_DEP_2) | instskip(SKIP_2) | instid1(VALU_DEP_2)
	v_lshlrev_b64 v[24:25], 3, v[20:21]
	s_mov_b32 s22, 0
	s_mov_b64 s[20:21], s[8:9]
                                        ; implicit-def: $sgpr19
                                        ; implicit-def: $sgpr23
                                        ; implicit-def: $sgpr25
                                        ; implicit-def: $sgpr24
                                        ; implicit-def: $sgpr26
                                        ; implicit-def: $sgpr27
	v_add_co_u32 v22, vcc_lo, s10, v22
	s_delay_alu instid0(VALU_DEP_3) | instskip(NEXT) | instid1(VALU_DEP_3)
	v_add_co_ci_u32_e32 v23, vcc_lo, s11, v23, vcc_lo
	v_add_co_u32 v24, vcc_lo, s10, v24
	v_add_co_ci_u32_e32 v25, vcc_lo, s11, v25, vcc_lo
	s_set_inst_prefetch_distance 0x1
	s_branch .LBB512_27
	.p2align	6
.LBB512_26:                             ;   in Loop: Header=BB512_27 Depth=1
	s_or_b32 exec_lo, exec_lo, s28
	s_delay_alu instid0(SALU_CYCLE_1) | instskip(NEXT) | instid1(SALU_CYCLE_1)
	s_and_b32 s1, exec_lo, s25
	s_or_b32 s22, s1, s22
	s_and_not1_b32 s1, s27, exec_lo
	s_and_b32 s27, s26, exec_lo
	s_and_not1_b32 s23, s23, exec_lo
	s_or_b32 s27, s1, s27
	s_and_b32 s1, s24, exec_lo
	s_and_not1_b32 s19, s19, exec_lo
	s_and_b32 s0, s0, exec_lo
	s_or_b32 s23, s23, s1
	s_or_b32 s19, s19, s0
	s_and_not1_b32 exec_lo, exec_lo, s22
	s_cbranch_execz .LBB512_29
.LBB512_27:                             ; =>This Inner Loop Header: Depth=1
	global_load_b64 v[41:42], v[22:23], off
	global_load_b64 v[43:44], v[24:25], off
	s_and_not1_b32 s26, s26, exec_lo
	s_or_b32 s24, s24, exec_lo
	s_or_b32 s25, s25, exec_lo
	s_waitcnt vmcnt(0)
	v_cmp_le_i64_e32 vcc_lo, v[41:42], v[43:44]
	v_cmp_lt_i64_e64 s0, v[41:42], v[43:44]
	s_and_b32 s28, vcc_lo, s27
	s_delay_alu instid0(VALU_DEP_1) | instid1(SALU_CYCLE_1)
	s_or_b32 s0, s0, s28
	s_mov_b32 s28, exec_lo
	v_cmpx_eq_u64_e64 v[41:42], v[43:44]
	s_cbranch_execz .LBB512_26
; %bb.28:                               ;   in Loop: Header=BB512_27 Depth=1
	s_add_u32 s20, s20, -1
	s_addc_u32 s21, s21, -1
	v_add_co_u32 v22, vcc_lo, v22, 8
	s_cmp_eq_u64 s[20:21], 0
	v_add_co_ci_u32_e32 v23, vcc_lo, 0, v23, vcc_lo
	v_add_co_u32 v24, vcc_lo, v24, 8
	s_cselect_b32 s1, -1, 0
	v_add_co_ci_u32_e32 v25, vcc_lo, 0, v25, vcc_lo
	s_and_not1_b32 s26, s26, exec_lo
	s_and_b32 s27, s0, exec_lo
	s_and_not1_b32 s25, s25, exec_lo
	s_and_b32 s1, s1, exec_lo
	s_or_b32 s26, s26, s27
	s_and_not1_b32 s24, s24, exec_lo
	s_or_b32 s25, s25, s1
                                        ; implicit-def: $sgpr27
	s_branch .LBB512_26
.LBB512_29:
	s_set_inst_prefetch_distance 0x2
	s_or_b32 exec_lo, exec_lo, s22
	s_and_saveexec_b32 s0, s23
	s_delay_alu instid0(SALU_CYCLE_1)
	s_xor_b32 s0, exec_lo, s0
	s_cbranch_execz .LBB512_33
; %bb.30:
	v_dual_mov_b32 v23, v11 :: v_dual_mov_b32 v22, v10
	s_and_saveexec_b32 s1, s19
; %bb.31:
	v_dual_mov_b32 v2, v14 :: v_dual_mov_b32 v3, v15
	v_dual_mov_b32 v4, v10 :: v_dual_mov_b32 v5, v11
	;; [unrolled: 1-line block ×5, first 2 shown]
; %bb.32:
	s_or_b32 exec_lo, exec_lo, s1
	s_delay_alu instid0(VALU_DEP_3)
	v_dual_mov_b32 v10, v22 :: v_dual_mov_b32 v11, v23
.LBB512_33:
	s_or_b32 exec_lo, exec_lo, s0
.LBB512_34:
	s_delay_alu instid0(SALU_CYCLE_1)
	s_and_not1_b32 vcc_lo, exec_lo, s7
	s_cbranch_vccnz .LBB512_44
; %bb.35:
	v_mul_lo_u32 v22, v9, s8
	v_mul_lo_u32 v23, v8, s9
	v_mad_u64_u32 v[18:19], null, v8, s8, 0
	v_lshlrev_b64 v[20:21], 3, v[20:21]
	s_mov_b32 s22, 0
	s_mov_b64 s[20:21], s[8:9]
                                        ; implicit-def: $sgpr19
                                        ; implicit-def: $sgpr23
                                        ; implicit-def: $sgpr25
                                        ; implicit-def: $sgpr24
                                        ; implicit-def: $sgpr26
                                        ; implicit-def: $sgpr27
	s_delay_alu instid0(VALU_DEP_2) | instskip(NEXT) | instid1(VALU_DEP_1)
	v_add3_u32 v19, v19, v23, v22
	v_lshlrev_b64 v[22:23], 3, v[18:19]
	s_delay_alu instid0(VALU_DEP_3) | instskip(SKIP_1) | instid1(VALU_DEP_3)
	v_add_co_u32 v18, vcc_lo, s10, v20
	v_add_co_ci_u32_e32 v19, vcc_lo, s11, v21, vcc_lo
	v_add_co_u32 v20, vcc_lo, s10, v22
	s_delay_alu instid0(VALU_DEP_4)
	v_add_co_ci_u32_e32 v21, vcc_lo, s11, v23, vcc_lo
	s_set_inst_prefetch_distance 0x1
	s_branch .LBB512_37
	.p2align	6
.LBB512_36:                             ;   in Loop: Header=BB512_37 Depth=1
	s_or_b32 exec_lo, exec_lo, s28
	s_delay_alu instid0(SALU_CYCLE_1) | instskip(NEXT) | instid1(SALU_CYCLE_1)
	s_and_b32 s1, exec_lo, s25
	s_or_b32 s22, s1, s22
	s_and_not1_b32 s1, s27, exec_lo
	s_and_b32 s27, s26, exec_lo
	s_and_not1_b32 s23, s23, exec_lo
	s_or_b32 s27, s1, s27
	s_and_b32 s1, s24, exec_lo
	s_and_not1_b32 s19, s19, exec_lo
	s_and_b32 s0, s0, exec_lo
	s_or_b32 s23, s23, s1
	s_or_b32 s19, s19, s0
	s_and_not1_b32 exec_lo, exec_lo, s22
	s_cbranch_execz .LBB512_39
.LBB512_37:                             ; =>This Inner Loop Header: Depth=1
	global_load_b64 v[22:23], v[18:19], off
	global_load_b64 v[24:25], v[20:21], off
	s_and_not1_b32 s26, s26, exec_lo
	s_or_b32 s24, s24, exec_lo
	s_or_b32 s25, s25, exec_lo
	s_waitcnt vmcnt(0)
	v_cmp_le_i64_e32 vcc_lo, v[22:23], v[24:25]
	v_cmp_lt_i64_e64 s0, v[22:23], v[24:25]
	s_and_b32 s28, vcc_lo, s27
	s_delay_alu instid0(VALU_DEP_1) | instid1(SALU_CYCLE_1)
	s_or_b32 s0, s0, s28
	s_mov_b32 s28, exec_lo
	v_cmpx_eq_u64_e64 v[22:23], v[24:25]
	s_cbranch_execz .LBB512_36
; %bb.38:                               ;   in Loop: Header=BB512_37 Depth=1
	s_add_u32 s20, s20, -1
	s_addc_u32 s21, s21, -1
	v_add_co_u32 v18, vcc_lo, v18, 8
	s_cmp_eq_u64 s[20:21], 0
	v_add_co_ci_u32_e32 v19, vcc_lo, 0, v19, vcc_lo
	v_add_co_u32 v20, vcc_lo, v20, 8
	s_cselect_b32 s1, -1, 0
	v_add_co_ci_u32_e32 v21, vcc_lo, 0, v21, vcc_lo
	s_and_not1_b32 s26, s26, exec_lo
	s_and_b32 s27, s0, exec_lo
	s_and_not1_b32 s25, s25, exec_lo
	s_and_b32 s1, s1, exec_lo
	s_or_b32 s26, s26, s27
	s_and_not1_b32 s24, s24, exec_lo
	s_or_b32 s25, s25, s1
                                        ; implicit-def: $sgpr27
	s_branch .LBB512_36
.LBB512_39:
	s_set_inst_prefetch_distance 0x2
	s_or_b32 exec_lo, exec_lo, s22
	s_and_saveexec_b32 s0, s23
	s_delay_alu instid0(SALU_CYCLE_1)
	s_xor_b32 s0, exec_lo, s0
	s_cbranch_execz .LBB512_43
; %bb.40:
	v_dual_mov_b32 v19, v11 :: v_dual_mov_b32 v18, v10
	s_and_saveexec_b32 s1, s19
; %bb.41:
	v_dual_mov_b32 v0, v10 :: v_dual_mov_b32 v1, v11
	v_dual_mov_b32 v2, v8 :: v_dual_mov_b32 v3, v9
	;; [unrolled: 1-line block ×4, first 2 shown]
; %bb.42:
	s_or_b32 exec_lo, exec_lo, s1
	s_delay_alu instid0(VALU_DEP_2)
	v_dual_mov_b32 v10, v18 :: v_dual_mov_b32 v11, v19
.LBB512_43:
	s_or_b32 exec_lo, exec_lo, s0
.LBB512_44:
	v_mul_lo_u32 v20, v15, s8
	v_mul_lo_u32 v21, v14, s9
	v_mad_u64_u32 v[18:19], null, v14, s8, 0
	s_and_not1_b32 vcc_lo, exec_lo, s7
	s_delay_alu instid0(VALU_DEP_1)
	v_add3_u32 v19, v19, v21, v20
	s_cbranch_vccnz .LBB512_54
; %bb.45:
	v_mul_lo_u32 v22, v17, s8
	v_mul_lo_u32 v23, v16, s9
	v_mad_u64_u32 v[20:21], null, v16, s8, 0
	v_lshlrev_b64 v[24:25], 3, v[18:19]
	s_mov_b32 s22, 0
	s_mov_b64 s[20:21], s[8:9]
                                        ; implicit-def: $sgpr19
                                        ; implicit-def: $sgpr23
                                        ; implicit-def: $sgpr25
                                        ; implicit-def: $sgpr24
                                        ; implicit-def: $sgpr26
                                        ; implicit-def: $sgpr27
	s_delay_alu instid0(VALU_DEP_2) | instskip(NEXT) | instid1(VALU_DEP_1)
	v_add3_u32 v21, v21, v23, v22
	v_lshlrev_b64 v[22:23], 3, v[20:21]
	s_delay_alu instid0(VALU_DEP_1) | instskip(NEXT) | instid1(VALU_DEP_2)
	v_add_co_u32 v22, vcc_lo, s10, v22
	v_add_co_ci_u32_e32 v23, vcc_lo, s11, v23, vcc_lo
	v_add_co_u32 v24, vcc_lo, s10, v24
	v_add_co_ci_u32_e32 v25, vcc_lo, s11, v25, vcc_lo
	s_set_inst_prefetch_distance 0x1
	s_branch .LBB512_47
	.p2align	6
.LBB512_46:                             ;   in Loop: Header=BB512_47 Depth=1
	s_or_b32 exec_lo, exec_lo, s28
	s_delay_alu instid0(SALU_CYCLE_1) | instskip(NEXT) | instid1(SALU_CYCLE_1)
	s_and_b32 s1, exec_lo, s25
	s_or_b32 s22, s1, s22
	s_and_not1_b32 s1, s27, exec_lo
	s_and_b32 s27, s26, exec_lo
	s_and_not1_b32 s23, s23, exec_lo
	s_or_b32 s27, s1, s27
	s_and_b32 s1, s24, exec_lo
	s_and_not1_b32 s19, s19, exec_lo
	s_and_b32 s0, s0, exec_lo
	s_or_b32 s23, s23, s1
	s_or_b32 s19, s19, s0
	s_and_not1_b32 exec_lo, exec_lo, s22
	s_cbranch_execz .LBB512_49
.LBB512_47:                             ; =>This Inner Loop Header: Depth=1
	global_load_b64 v[41:42], v[22:23], off
	global_load_b64 v[43:44], v[24:25], off
	s_and_not1_b32 s26, s26, exec_lo
	s_or_b32 s24, s24, exec_lo
	s_or_b32 s25, s25, exec_lo
	s_waitcnt vmcnt(0)
	v_cmp_le_i64_e32 vcc_lo, v[41:42], v[43:44]
	v_cmp_lt_i64_e64 s0, v[41:42], v[43:44]
	s_and_b32 s28, vcc_lo, s27
	s_delay_alu instid0(VALU_DEP_1) | instid1(SALU_CYCLE_1)
	s_or_b32 s0, s0, s28
	s_mov_b32 s28, exec_lo
	v_cmpx_eq_u64_e64 v[41:42], v[43:44]
	s_cbranch_execz .LBB512_46
; %bb.48:                               ;   in Loop: Header=BB512_47 Depth=1
	s_add_u32 s20, s20, -1
	s_addc_u32 s21, s21, -1
	v_add_co_u32 v22, vcc_lo, v22, 8
	s_cmp_eq_u64 s[20:21], 0
	v_add_co_ci_u32_e32 v23, vcc_lo, 0, v23, vcc_lo
	v_add_co_u32 v24, vcc_lo, v24, 8
	s_cselect_b32 s1, -1, 0
	v_add_co_ci_u32_e32 v25, vcc_lo, 0, v25, vcc_lo
	s_and_not1_b32 s26, s26, exec_lo
	s_and_b32 s27, s0, exec_lo
	s_and_not1_b32 s25, s25, exec_lo
	s_and_b32 s1, s1, exec_lo
	s_or_b32 s26, s26, s27
	s_and_not1_b32 s24, s24, exec_lo
	s_or_b32 s25, s25, s1
                                        ; implicit-def: $sgpr27
	s_branch .LBB512_46
.LBB512_49:
	s_set_inst_prefetch_distance 0x2
	s_or_b32 exec_lo, exec_lo, s22
	s_and_saveexec_b32 s0, s23
	s_delay_alu instid0(SALU_CYCLE_1)
	s_xor_b32 s0, exec_lo, s0
	s_cbranch_execz .LBB512_53
; %bb.50:
	s_and_saveexec_b32 s1, s19
; %bb.51:
	v_dual_mov_b32 v4, v16 :: v_dual_mov_b32 v5, v17
	v_dual_mov_b32 v6, v14 :: v_dual_mov_b32 v7, v15
	;; [unrolled: 1-line block ×4, first 2 shown]
; %bb.52:
	s_or_b32 exec_lo, exec_lo, s1
.LBB512_53:
	s_delay_alu instid0(SALU_CYCLE_1)
	s_or_b32 exec_lo, exec_lo, s0
.LBB512_54:
	s_delay_alu instid0(SALU_CYCLE_1)
	s_and_not1_b32 vcc_lo, exec_lo, s7
	s_cbranch_vccnz .LBB512_62
; %bb.55:
	v_mul_lo_u32 v20, v11, s8
	v_mul_lo_u32 v21, v10, s9
	v_mad_u64_u32 v[16:17], null, v10, s8, 0
	v_lshlrev_b64 v[18:19], 3, v[18:19]
	s_mov_b32 s22, 0
	s_mov_b64 s[20:21], s[8:9]
                                        ; implicit-def: $sgpr19
                                        ; implicit-def: $sgpr23
                                        ; implicit-def: $sgpr25
                                        ; implicit-def: $sgpr24
                                        ; implicit-def: $sgpr26
                                        ; implicit-def: $sgpr27
	s_delay_alu instid0(VALU_DEP_2) | instskip(NEXT) | instid1(VALU_DEP_1)
	v_add3_u32 v17, v17, v21, v20
	v_lshlrev_b64 v[20:21], 3, v[16:17]
	s_delay_alu instid0(VALU_DEP_3) | instskip(SKIP_1) | instid1(VALU_DEP_3)
	v_add_co_u32 v16, vcc_lo, s10, v18
	v_add_co_ci_u32_e32 v17, vcc_lo, s11, v19, vcc_lo
	v_add_co_u32 v18, vcc_lo, s10, v20
	s_delay_alu instid0(VALU_DEP_4)
	v_add_co_ci_u32_e32 v19, vcc_lo, s11, v21, vcc_lo
	s_set_inst_prefetch_distance 0x1
	s_branch .LBB512_57
	.p2align	6
.LBB512_56:                             ;   in Loop: Header=BB512_57 Depth=1
	s_or_b32 exec_lo, exec_lo, s28
	s_delay_alu instid0(SALU_CYCLE_1) | instskip(NEXT) | instid1(SALU_CYCLE_1)
	s_and_b32 s1, exec_lo, s25
	s_or_b32 s22, s1, s22
	s_and_not1_b32 s1, s27, exec_lo
	s_and_b32 s27, s26, exec_lo
	s_and_not1_b32 s23, s23, exec_lo
	s_or_b32 s27, s1, s27
	s_and_b32 s1, s24, exec_lo
	s_and_not1_b32 s19, s19, exec_lo
	s_and_b32 s0, s0, exec_lo
	s_or_b32 s23, s23, s1
	s_or_b32 s19, s19, s0
	s_and_not1_b32 exec_lo, exec_lo, s22
	s_cbranch_execz .LBB512_59
.LBB512_57:                             ; =>This Inner Loop Header: Depth=1
	global_load_b64 v[20:21], v[16:17], off
	global_load_b64 v[22:23], v[18:19], off
	s_and_not1_b32 s26, s26, exec_lo
	s_or_b32 s24, s24, exec_lo
	s_or_b32 s25, s25, exec_lo
	s_waitcnt vmcnt(0)
	v_cmp_le_i64_e32 vcc_lo, v[20:21], v[22:23]
	v_cmp_lt_i64_e64 s0, v[20:21], v[22:23]
	s_and_b32 s28, vcc_lo, s27
	s_delay_alu instid0(VALU_DEP_1) | instid1(SALU_CYCLE_1)
	s_or_b32 s0, s0, s28
	s_mov_b32 s28, exec_lo
	v_cmpx_eq_u64_e64 v[20:21], v[22:23]
	s_cbranch_execz .LBB512_56
; %bb.58:                               ;   in Loop: Header=BB512_57 Depth=1
	s_add_u32 s20, s20, -1
	s_addc_u32 s21, s21, -1
	v_add_co_u32 v16, vcc_lo, v16, 8
	s_cmp_eq_u64 s[20:21], 0
	v_add_co_ci_u32_e32 v17, vcc_lo, 0, v17, vcc_lo
	v_add_co_u32 v18, vcc_lo, v18, 8
	s_cselect_b32 s1, -1, 0
	v_add_co_ci_u32_e32 v19, vcc_lo, 0, v19, vcc_lo
	s_and_not1_b32 s26, s26, exec_lo
	s_and_b32 s27, s0, exec_lo
	s_and_not1_b32 s25, s25, exec_lo
	s_and_b32 s1, s1, exec_lo
	s_or_b32 s26, s26, s27
	s_and_not1_b32 s24, s24, exec_lo
	s_or_b32 s25, s25, s1
                                        ; implicit-def: $sgpr27
	s_branch .LBB512_56
.LBB512_59:
	s_set_inst_prefetch_distance 0x2
	s_or_b32 exec_lo, exec_lo, s22
	s_and_saveexec_b32 s0, s23
	s_delay_alu instid0(SALU_CYCLE_1)
	s_xor_b32 s0, exec_lo, s0
; %bb.60:
	v_cndmask_b32_e64 v5, v5, v11, s19
	v_cndmask_b32_e64 v4, v4, v10, s19
	;; [unrolled: 1-line block ×4, first 2 shown]
; %bb.61:
	s_or_b32 exec_lo, exec_lo, s0
.LBB512_62:
	s_delay_alu instid0(SALU_CYCLE_1) | instskip(SKIP_4) | instid1(VALU_DEP_2)
	s_or_b32 exec_lo, exec_lo, s12
	v_mbcnt_lo_u32_b32 v11, -1, 0
	v_and_b32_e32 v10, 0xffffff80, v40
	s_mov_b32 s1, 0
	s_mov_b32 s12, exec_lo
	v_lshlrev_b32_e32 v18, 2, v11
	s_delay_alu instid0(VALU_DEP_2) | instskip(SKIP_2) | instid1(VALU_DEP_4)
	v_sub_nc_u32_e64 v17, 0x400, v10 clamp
	v_lshlrev_b32_e32 v16, 3, v10
	v_mov_b32_e32 v10, v2
	v_or_b32_e32 v14, 4, v18
	v_and_b32_e32 v19, 4, v18
	v_and_b32_e32 v22, 0x78, v18
	s_delay_alu instid0(VALU_DEP_3) | instskip(NEXT) | instid1(VALU_DEP_3)
	v_min_u32_e32 v14, v17, v14
	v_min_u32_e32 v23, v17, v19
	v_lshl_or_b32 v19, v11, 5, v16
	v_mov_b32_e32 v11, v3
	ds_store_b128 v19, v[8:11]
	ds_store_b128 v19, v[4:7] offset:16
	v_add_nc_u32_e32 v15, 4, v14
	v_sub_nc_u32_e32 v21, v14, v22
	; wave barrier
	s_delay_alu instid0(VALU_DEP_2) | instskip(NEXT) | instid1(VALU_DEP_2)
	v_min_u32_e32 v15, v17, v15
	v_min_u32_e32 v24, v23, v21
	v_lshl_or_b32 v21, v22, 3, v16
	s_delay_alu instid0(VALU_DEP_3) | instskip(NEXT) | instid1(VALU_DEP_1)
	v_sub_nc_u32_e32 v20, v15, v14
	v_sub_nc_u32_e64 v20, v23, v20 clamp
	s_delay_alu instid0(VALU_DEP_1)
	v_cmpx_lt_u32_e64 v20, v24
	s_cbranch_execz .LBB512_73
; %bb.63:
	v_lshlrev_b32_e32 v8, 3, v14
	v_lshlrev_b32_e32 v9, 3, v23
	s_lshl_b64 s[20:21], s[8:9], 3
	s_delay_alu instid0(VALU_DEP_1)
	v_add3_u32 v25, v16, v8, v9
	s_branch .LBB512_66
.LBB512_64:                             ;   in Loop: Header=BB512_66 Depth=1
	s_set_inst_prefetch_distance 0x2
	s_or_b32 exec_lo, exec_lo, s19
.LBB512_65:                             ;   in Loop: Header=BB512_66 Depth=1
	s_delay_alu instid0(VALU_DEP_1) | instskip(SKIP_1) | instid1(VALU_DEP_2)
	v_add_nc_u32_e32 v8, 1, v40
	v_cndmask_b32_e64 v24, v24, v40, s24
	v_cndmask_b32_e64 v20, v8, v20, s24
	s_delay_alu instid0(VALU_DEP_1) | instskip(SKIP_1) | instid1(SALU_CYCLE_1)
	v_cmp_ge_u32_e32 vcc_lo, v20, v24
	s_or_b32 s1, vcc_lo, s1
	s_and_not1_b32 exec_lo, exec_lo, s1
	s_cbranch_execz .LBB512_72
.LBB512_66:                             ; =>This Loop Header: Depth=1
                                        ;     Child Loop BB512_69 Depth 2
	v_add_nc_u32_e32 v8, v24, v20
	s_and_not1_b32 vcc_lo, exec_lo, s7
	s_delay_alu instid0(VALU_DEP_1)
	v_lshrrev_b32_e32 v40, 1, v8
	s_cbranch_vccnz .LBB512_71
; %bb.67:                               ;   in Loop: Header=BB512_66 Depth=1
	s_delay_alu instid0(VALU_DEP_1) | instskip(SKIP_3) | instid1(VALU_DEP_2)
	v_not_b32_e32 v8, v40
	v_lshl_add_u32 v9, v40, 3, v21
	s_mov_b32 s19, 0
	s_mov_b64 s[22:23], s[8:9]
                                        ; implicit-def: $sgpr24
                                        ; implicit-def: $sgpr25
                                        ; implicit-def: $sgpr26
                                        ; implicit-def: $sgpr27
                                        ; implicit-def: $sgpr28
	v_lshl_add_u32 v8, v8, 3, v25
	ds_load_b64 v[10:11], v8
	ds_load_b64 v[41:42], v9
	s_waitcnt lgkmcnt(1)
	v_mul_lo_u32 v43, s20, v11
	v_mul_lo_u32 v44, s21, v10
	v_mad_u64_u32 v[8:9], null, s20, v10, s[10:11]
	s_waitcnt lgkmcnt(0)
	v_mul_lo_u32 v42, s20, v42
	v_mul_lo_u32 v45, s21, v41
	v_mad_u64_u32 v[10:11], null, s20, v41, s[10:11]
	s_delay_alu instid0(VALU_DEP_4) | instskip(NEXT) | instid1(VALU_DEP_2)
	v_add3_u32 v9, v44, v9, v43
	v_add3_u32 v11, v45, v11, v42
	s_set_inst_prefetch_distance 0x1
	s_branch .LBB512_69
	.p2align	6
.LBB512_68:                             ;   in Loop: Header=BB512_69 Depth=2
	s_or_b32 exec_lo, exec_lo, s0
	s_delay_alu instid0(SALU_CYCLE_1) | instskip(NEXT) | instid1(SALU_CYCLE_1)
	s_and_b32 s0, exec_lo, s25
	s_or_b32 s19, s0, s19
	s_and_not1_b32 s0, s28, exec_lo
	s_and_b32 s28, s26, exec_lo
	s_and_not1_b32 s24, s24, exec_lo
	s_and_b32 s29, s27, exec_lo
	s_or_b32 s28, s0, s28
	s_or_b32 s24, s24, s29
	s_and_not1_b32 exec_lo, exec_lo, s19
	s_cbranch_execz .LBB512_64
.LBB512_69:                             ;   Parent Loop BB512_66 Depth=1
                                        ; =>  This Inner Loop Header: Depth=2
	global_load_b64 v[41:42], v[8:9], off
	global_load_b64 v[43:44], v[10:11], off
	s_and_not1_b32 s27, s27, exec_lo
	s_and_not1_b32 s26, s26, exec_lo
	s_or_b32 s25, s25, exec_lo
	s_waitcnt vmcnt(0)
	v_cmp_le_i64_e32 vcc_lo, v[41:42], v[43:44]
	v_cmp_lt_i64_e64 s0, v[41:42], v[43:44]
	s_and_b32 s29, vcc_lo, s28
	s_delay_alu instid0(VALU_DEP_1) | instid1(SALU_CYCLE_1)
	s_or_b32 s29, s0, s29
	s_delay_alu instid0(SALU_CYCLE_1) | instskip(NEXT) | instid1(SALU_CYCLE_1)
	s_and_b32 s0, s29, exec_lo
	s_or_b32 s27, s27, s0
	s_mov_b32 s0, exec_lo
	v_cmpx_eq_u64_e64 v[41:42], v[43:44]
	s_cbranch_execz .LBB512_68
; %bb.70:                               ;   in Loop: Header=BB512_69 Depth=2
	s_add_u32 s22, s22, -1
	s_addc_u32 s23, s23, -1
	v_add_co_u32 v8, vcc_lo, v8, 8
	s_cmp_eq_u64 s[22:23], 0
	v_add_co_ci_u32_e32 v9, vcc_lo, 0, v9, vcc_lo
	s_cselect_b32 s28, -1, 0
	v_add_co_u32 v10, vcc_lo, v10, 8
	s_and_not1_b32 s26, s26, exec_lo
	s_and_b32 s29, s29, exec_lo
	s_and_not1_b32 s25, s25, exec_lo
	s_and_b32 s28, s28, exec_lo
	v_add_co_ci_u32_e32 v11, vcc_lo, 0, v11, vcc_lo
	s_and_not1_b32 s27, s27, exec_lo
	s_or_b32 s26, s26, s29
	s_or_b32 s25, s25, s28
                                        ; implicit-def: $sgpr28
	s_branch .LBB512_68
.LBB512_71:                             ;   in Loop: Header=BB512_66 Depth=1
	s_mov_b32 s24, 0
	s_branch .LBB512_65
.LBB512_72:
	s_or_b32 exec_lo, exec_lo, s1
.LBB512_73:
	s_delay_alu instid0(SALU_CYCLE_1) | instskip(SKIP_2) | instid1(VALU_DEP_2)
	s_or_b32 exec_lo, exec_lo, s12
	v_add_nc_u32_e32 v9, v14, v23
	v_add_nc_u32_e32 v8, v20, v22
	v_sub_nc_u32_e32 v9, v9, v20
	s_delay_alu instid0(VALU_DEP_2) | instskip(NEXT) | instid1(VALU_DEP_2)
	v_cmp_le_u32_e32 vcc_lo, v8, v14
	v_cmp_le_u32_e64 s0, v9, v15
	s_delay_alu instid0(VALU_DEP_1) | instskip(NEXT) | instid1(SALU_CYCLE_1)
	s_or_b32 s0, vcc_lo, s0
	s_and_saveexec_b32 s1, s0
	s_cbranch_execz .LBB512_120
; %bb.74:
	v_cmp_ge_u32_e32 vcc_lo, v8, v14
	s_mov_b32 s12, exec_lo
                                        ; implicit-def: $vgpr0_vgpr1
	v_cmpx_lt_u32_e64 v8, v14
	s_cbranch_execz .LBB512_76
; %bb.75:
	v_lshl_add_u32 v0, v20, 3, v21
	ds_load_b64 v[0:1], v0
.LBB512_76:
	s_or_b32 exec_lo, exec_lo, s12
	v_cmp_ge_u32_e64 s12, v9, v15
	s_mov_b32 s19, exec_lo
                                        ; implicit-def: $vgpr2_vgpr3
	v_cmpx_lt_u32_e64 v9, v15
	s_cbranch_execz .LBB512_78
; %bb.77:
	v_lshl_add_u32 v2, v9, 3, v16
	ds_load_b64 v[2:3], v2
.LBB512_78:
	s_or_b32 exec_lo, exec_lo, s19
	s_or_b32 s0, vcc_lo, s12
	s_mov_b32 s19, -1
	s_xor_b32 s0, s0, -1
	s_delay_alu instid0(SALU_CYCLE_1)
	s_and_saveexec_b32 s22, s0
	s_cbranch_execz .LBB512_87
; %bb.79:
	s_and_not1_b32 vcc_lo, exec_lo, s7
	s_cbranch_vccnz .LBB512_85
; %bb.80:
	s_waitcnt lgkmcnt(0)
	v_mul_lo_u32 v10, v3, s8
	v_mul_lo_u32 v11, v2, s9
	v_mad_u64_u32 v[4:5], null, v2, s8, 0
	v_mul_lo_u32 v20, v1, s8
	v_mul_lo_u32 v21, v0, s9
	v_mad_u64_u32 v[6:7], null, v0, s8, 0
	s_mov_b32 s23, 0
	s_mov_b64 s[20:21], s[8:9]
	s_delay_alu instid0(VALU_DEP_4) | instskip(NEXT) | instid1(VALU_DEP_2)
	v_add3_u32 v5, v5, v11, v10
                                        ; implicit-def: $sgpr24
                                        ; implicit-def: $sgpr25
                                        ; implicit-def: $sgpr26
                                        ; implicit-def: $sgpr27
                                        ; implicit-def: $sgpr28
	v_add3_u32 v7, v7, v21, v20
	s_delay_alu instid0(VALU_DEP_2) | instskip(NEXT) | instid1(VALU_DEP_2)
	v_lshlrev_b64 v[4:5], 3, v[4:5]
	v_lshlrev_b64 v[6:7], 3, v[6:7]
	s_delay_alu instid0(VALU_DEP_2) | instskip(NEXT) | instid1(VALU_DEP_3)
	v_add_co_u32 v4, vcc_lo, s10, v4
	v_add_co_ci_u32_e32 v5, vcc_lo, s11, v5, vcc_lo
	s_delay_alu instid0(VALU_DEP_3) | instskip(NEXT) | instid1(VALU_DEP_4)
	v_add_co_u32 v6, vcc_lo, s10, v6
	v_add_co_ci_u32_e32 v7, vcc_lo, s11, v7, vcc_lo
	s_set_inst_prefetch_distance 0x1
	s_branch .LBB512_82
	.p2align	6
.LBB512_81:                             ;   in Loop: Header=BB512_82 Depth=1
	s_or_b32 exec_lo, exec_lo, s0
	s_delay_alu instid0(SALU_CYCLE_1) | instskip(NEXT) | instid1(SALU_CYCLE_1)
	s_and_b32 s0, exec_lo, s25
	s_or_b32 s23, s0, s23
	s_and_not1_b32 s0, s28, exec_lo
	s_and_b32 s28, s27, exec_lo
	s_and_not1_b32 s24, s24, exec_lo
	s_and_b32 s29, s26, exec_lo
	s_or_b32 s28, s0, s28
	s_or_b32 s24, s24, s29
	s_and_not1_b32 exec_lo, exec_lo, s23
	s_cbranch_execz .LBB512_84
.LBB512_82:                             ; =>This Inner Loop Header: Depth=1
	global_load_b64 v[10:11], v[4:5], off
	global_load_b64 v[20:21], v[6:7], off
	s_and_not1_b32 s26, s26, exec_lo
	s_and_not1_b32 s27, s27, exec_lo
	s_or_b32 s25, s25, exec_lo
	s_waitcnt vmcnt(0)
	v_cmp_le_i64_e32 vcc_lo, v[10:11], v[20:21]
	v_cmp_lt_i64_e64 s0, v[10:11], v[20:21]
	s_and_b32 s29, vcc_lo, s28
	s_delay_alu instid0(VALU_DEP_1) | instid1(SALU_CYCLE_1)
	s_or_b32 s29, s0, s29
	s_delay_alu instid0(SALU_CYCLE_1) | instskip(NEXT) | instid1(SALU_CYCLE_1)
	s_and_b32 s0, s29, exec_lo
	s_or_b32 s26, s26, s0
	s_mov_b32 s0, exec_lo
	v_cmpx_eq_u64_e64 v[10:11], v[20:21]
	s_cbranch_execz .LBB512_81
; %bb.83:                               ;   in Loop: Header=BB512_82 Depth=1
	s_add_u32 s20, s20, -1
	s_addc_u32 s21, s21, -1
	v_add_co_u32 v4, vcc_lo, v4, 8
	s_cmp_eq_u64 s[20:21], 0
	v_add_co_ci_u32_e32 v5, vcc_lo, 0, v5, vcc_lo
	s_cselect_b32 s28, -1, 0
	s_and_not1_b32 s27, s27, exec_lo
	s_and_b32 s29, s29, exec_lo
	v_add_co_u32 v6, vcc_lo, v6, 8
	s_and_not1_b32 s25, s25, exec_lo
	s_and_b32 s28, s28, exec_lo
	v_add_co_ci_u32_e32 v7, vcc_lo, 0, v7, vcc_lo
	s_or_b32 s27, s27, s29
	s_and_not1_b32 s26, s26, exec_lo
	s_or_b32 s25, s25, s28
                                        ; implicit-def: $sgpr28
	s_branch .LBB512_81
.LBB512_84:
	s_set_inst_prefetch_distance 0x2
	s_or_b32 exec_lo, exec_lo, s23
	s_xor_b32 s0, s24, -1
	s_branch .LBB512_86
.LBB512_85:
	s_mov_b32 s0, -1
.LBB512_86:
	s_and_not1_b32 s12, s12, exec_lo
	s_and_b32 s0, s0, exec_lo
	s_delay_alu instid0(SALU_CYCLE_1)
	s_or_b32 s12, s12, s0
.LBB512_87:
	s_or_b32 exec_lo, exec_lo, s22
	v_cndmask_b32_e64 v4, v9, v8, s12
	v_cndmask_b32_e64 v5, v15, v14, s12
	s_mov_b32 s22, exec_lo
	s_delay_alu instid0(VALU_DEP_2) | instskip(NEXT) | instid1(VALU_DEP_2)
	v_add_nc_u32_e32 v6, 1, v4
	v_add_nc_u32_e32 v4, -1, v5
	s_delay_alu instid0(VALU_DEP_2) | instskip(NEXT) | instid1(VALU_DEP_2)
	v_cndmask_b32_e64 v9, v6, v9, s12
	v_min_u32_e32 v4, v6, v4
	v_cndmask_b32_e64 v8, v8, v6, s12
	s_delay_alu instid0(VALU_DEP_2)
	v_lshl_add_u32 v4, v4, 3, v16
	ds_load_b64 v[4:5], v4
	s_waitcnt lgkmcnt(0)
	v_cndmask_b32_e64 v20, v5, v3, s12
	v_cndmask_b32_e64 v21, v4, v2, s12
	v_cndmask_b32_e64 v22, v1, v5, s12
	v_cndmask_b32_e64 v23, v0, v4, s12
	v_cmpx_lt_u32_e64 v9, v15
	s_cbranch_execz .LBB512_98
; %bb.88:
	s_mov_b32 s0, 0
	s_mov_b32 s19, exec_lo
	v_cmpx_lt_u32_e64 v8, v14
	s_cbranch_execz .LBB512_97
; %bb.89:
	s_and_not1_b32 vcc_lo, exec_lo, s7
	s_cbranch_vccnz .LBB512_95
; %bb.90:
	v_mul_lo_u32 v10, v20, s8
	v_mul_lo_u32 v11, v21, s9
	v_mad_u64_u32 v[4:5], null, v21, s8, 0
	v_mul_lo_u32 v24, v22, s8
	v_mul_lo_u32 v25, v23, s9
	v_mad_u64_u32 v[6:7], null, v23, s8, 0
	s_mov_b32 s23, 0
	s_mov_b64 s[20:21], s[8:9]
	s_delay_alu instid0(VALU_DEP_4) | instskip(NEXT) | instid1(VALU_DEP_2)
	v_add3_u32 v5, v5, v11, v10
                                        ; implicit-def: $sgpr24
                                        ; implicit-def: $sgpr25
                                        ; implicit-def: $sgpr26
                                        ; implicit-def: $sgpr27
                                        ; implicit-def: $sgpr28
	v_add3_u32 v7, v7, v25, v24
	s_delay_alu instid0(VALU_DEP_2) | instskip(NEXT) | instid1(VALU_DEP_2)
	v_lshlrev_b64 v[4:5], 3, v[4:5]
	v_lshlrev_b64 v[6:7], 3, v[6:7]
	s_delay_alu instid0(VALU_DEP_2) | instskip(NEXT) | instid1(VALU_DEP_3)
	v_add_co_u32 v4, vcc_lo, s10, v4
	v_add_co_ci_u32_e32 v5, vcc_lo, s11, v5, vcc_lo
	s_delay_alu instid0(VALU_DEP_3) | instskip(NEXT) | instid1(VALU_DEP_4)
	v_add_co_u32 v6, vcc_lo, s10, v6
	v_add_co_ci_u32_e32 v7, vcc_lo, s11, v7, vcc_lo
	s_set_inst_prefetch_distance 0x1
	s_branch .LBB512_92
	.p2align	6
.LBB512_91:                             ;   in Loop: Header=BB512_92 Depth=1
	s_or_b32 exec_lo, exec_lo, s0
	s_delay_alu instid0(SALU_CYCLE_1) | instskip(NEXT) | instid1(SALU_CYCLE_1)
	s_and_b32 s0, exec_lo, s25
	s_or_b32 s23, s0, s23
	s_and_not1_b32 s0, s28, exec_lo
	s_and_b32 s28, s27, exec_lo
	s_and_not1_b32 s24, s24, exec_lo
	s_and_b32 s29, s26, exec_lo
	s_or_b32 s28, s0, s28
	s_or_b32 s24, s24, s29
	s_and_not1_b32 exec_lo, exec_lo, s23
	s_cbranch_execz .LBB512_94
.LBB512_92:                             ; =>This Inner Loop Header: Depth=1
	global_load_b64 v[10:11], v[4:5], off
	global_load_b64 v[24:25], v[6:7], off
	s_and_not1_b32 s26, s26, exec_lo
	s_and_not1_b32 s27, s27, exec_lo
	s_or_b32 s25, s25, exec_lo
	s_waitcnt vmcnt(0)
	v_cmp_le_i64_e32 vcc_lo, v[10:11], v[24:25]
	v_cmp_lt_i64_e64 s0, v[10:11], v[24:25]
	s_and_b32 s29, vcc_lo, s28
	s_delay_alu instid0(VALU_DEP_1) | instid1(SALU_CYCLE_1)
	s_or_b32 s29, s0, s29
	s_delay_alu instid0(SALU_CYCLE_1) | instskip(NEXT) | instid1(SALU_CYCLE_1)
	s_and_b32 s0, s29, exec_lo
	s_or_b32 s26, s26, s0
	s_mov_b32 s0, exec_lo
	v_cmpx_eq_u64_e64 v[10:11], v[24:25]
	s_cbranch_execz .LBB512_91
; %bb.93:                               ;   in Loop: Header=BB512_92 Depth=1
	s_add_u32 s20, s20, -1
	s_addc_u32 s21, s21, -1
	v_add_co_u32 v4, vcc_lo, v4, 8
	s_cmp_eq_u64 s[20:21], 0
	v_add_co_ci_u32_e32 v5, vcc_lo, 0, v5, vcc_lo
	v_add_co_u32 v6, vcc_lo, v6, 8
	s_cselect_b32 s28, -1, 0
	v_add_co_ci_u32_e32 v7, vcc_lo, 0, v7, vcc_lo
	s_and_not1_b32 s27, s27, exec_lo
	s_and_b32 s29, s29, exec_lo
	s_and_not1_b32 s25, s25, exec_lo
	s_and_b32 s28, s28, exec_lo
	s_or_b32 s27, s27, s29
	s_and_not1_b32 s26, s26, exec_lo
	s_or_b32 s25, s25, s28
                                        ; implicit-def: $sgpr28
	s_branch .LBB512_91
.LBB512_94:
	s_set_inst_prefetch_distance 0x2
	s_or_b32 exec_lo, exec_lo, s23
	s_xor_b32 s0, s24, -1
	s_branch .LBB512_96
.LBB512_95:
	s_mov_b32 s0, -1
.LBB512_96:
	s_delay_alu instid0(SALU_CYCLE_1)
	s_and_b32 s0, s0, exec_lo
.LBB512_97:
	s_or_b32 exec_lo, exec_lo, s19
	s_delay_alu instid0(SALU_CYCLE_1)
	s_or_not1_b32 s19, s0, exec_lo
.LBB512_98:
	s_or_b32 exec_lo, exec_lo, s22
	v_cndmask_b32_e64 v4, v9, v8, s19
	v_cndmask_b32_e64 v5, v15, v14, s19
	s_mov_b32 s22, -1
	s_mov_b32 s23, exec_lo
	s_delay_alu instid0(VALU_DEP_2) | instskip(NEXT) | instid1(VALU_DEP_2)
	v_add_nc_u32_e32 v6, 1, v4
	v_add_nc_u32_e32 v4, -1, v5
	s_delay_alu instid0(VALU_DEP_2) | instskip(NEXT) | instid1(VALU_DEP_2)
	v_cndmask_b32_e64 v9, v6, v9, s19
	v_min_u32_e32 v4, v6, v4
	v_cndmask_b32_e64 v8, v8, v6, s19
	s_delay_alu instid0(VALU_DEP_2)
	v_lshl_add_u32 v4, v4, 3, v16
	ds_load_b64 v[4:5], v4
	s_waitcnt lgkmcnt(0)
	v_cndmask_b32_e64 v24, v5, v20, s19
	v_cndmask_b32_e64 v25, v4, v21, s19
	;; [unrolled: 1-line block ×4, first 2 shown]
	v_cmpx_lt_u32_e64 v9, v15
	s_cbranch_execz .LBB512_109
; %bb.99:
	s_mov_b32 s0, 0
	s_mov_b32 s22, exec_lo
	v_cmpx_lt_u32_e64 v8, v14
	s_cbranch_execz .LBB512_108
; %bb.100:
	s_and_not1_b32 vcc_lo, exec_lo, s7
	s_cbranch_vccnz .LBB512_106
; %bb.101:
	v_mul_lo_u32 v10, v24, s8
	v_mul_lo_u32 v11, v25, s9
	v_mad_u64_u32 v[4:5], null, v25, s8, 0
	v_mul_lo_u32 v42, v40, s8
	v_mul_lo_u32 v43, v41, s9
	v_mad_u64_u32 v[6:7], null, v41, s8, 0
	s_mov_b32 s24, 0
	s_mov_b64 s[20:21], s[8:9]
	s_delay_alu instid0(VALU_DEP_4) | instskip(NEXT) | instid1(VALU_DEP_2)
	v_add3_u32 v5, v5, v11, v10
                                        ; implicit-def: $sgpr25
                                        ; implicit-def: $sgpr26
                                        ; implicit-def: $sgpr27
                                        ; implicit-def: $sgpr28
                                        ; implicit-def: $sgpr29
	v_add3_u32 v7, v7, v43, v42
	s_delay_alu instid0(VALU_DEP_2) | instskip(NEXT) | instid1(VALU_DEP_2)
	v_lshlrev_b64 v[4:5], 3, v[4:5]
	v_lshlrev_b64 v[6:7], 3, v[6:7]
	s_delay_alu instid0(VALU_DEP_2) | instskip(NEXT) | instid1(VALU_DEP_3)
	v_add_co_u32 v4, vcc_lo, s10, v4
	v_add_co_ci_u32_e32 v5, vcc_lo, s11, v5, vcc_lo
	s_delay_alu instid0(VALU_DEP_3) | instskip(NEXT) | instid1(VALU_DEP_4)
	v_add_co_u32 v6, vcc_lo, s10, v6
	v_add_co_ci_u32_e32 v7, vcc_lo, s11, v7, vcc_lo
	s_set_inst_prefetch_distance 0x1
	s_branch .LBB512_103
	.p2align	6
.LBB512_102:                            ;   in Loop: Header=BB512_103 Depth=1
	s_or_b32 exec_lo, exec_lo, s0
	s_delay_alu instid0(SALU_CYCLE_1) | instskip(NEXT) | instid1(SALU_CYCLE_1)
	s_and_b32 s0, exec_lo, s26
	s_or_b32 s24, s0, s24
	s_and_not1_b32 s0, s29, exec_lo
	s_and_b32 s29, s28, exec_lo
	s_and_not1_b32 s25, s25, exec_lo
	s_and_b32 s30, s27, exec_lo
	s_or_b32 s29, s0, s29
	s_or_b32 s25, s25, s30
	s_and_not1_b32 exec_lo, exec_lo, s24
	s_cbranch_execz .LBB512_105
.LBB512_103:                            ; =>This Inner Loop Header: Depth=1
	global_load_b64 v[10:11], v[4:5], off
	global_load_b64 v[42:43], v[6:7], off
	s_and_not1_b32 s27, s27, exec_lo
	s_and_not1_b32 s28, s28, exec_lo
	s_or_b32 s26, s26, exec_lo
	s_waitcnt vmcnt(0)
	v_cmp_le_i64_e32 vcc_lo, v[10:11], v[42:43]
	v_cmp_lt_i64_e64 s0, v[10:11], v[42:43]
	s_and_b32 s30, vcc_lo, s29
	s_delay_alu instid0(VALU_DEP_1) | instid1(SALU_CYCLE_1)
	s_or_b32 s30, s0, s30
	s_delay_alu instid0(SALU_CYCLE_1) | instskip(NEXT) | instid1(SALU_CYCLE_1)
	s_and_b32 s0, s30, exec_lo
	s_or_b32 s27, s27, s0
	s_mov_b32 s0, exec_lo
	v_cmpx_eq_u64_e64 v[10:11], v[42:43]
	s_cbranch_execz .LBB512_102
; %bb.104:                              ;   in Loop: Header=BB512_103 Depth=1
	s_add_u32 s20, s20, -1
	s_addc_u32 s21, s21, -1
	v_add_co_u32 v4, vcc_lo, v4, 8
	s_cmp_eq_u64 s[20:21], 0
	v_add_co_ci_u32_e32 v5, vcc_lo, 0, v5, vcc_lo
	v_add_co_u32 v6, vcc_lo, v6, 8
	s_cselect_b32 s29, -1, 0
	v_add_co_ci_u32_e32 v7, vcc_lo, 0, v7, vcc_lo
	s_and_not1_b32 s28, s28, exec_lo
	s_and_b32 s30, s30, exec_lo
	s_and_not1_b32 s26, s26, exec_lo
	s_and_b32 s29, s29, exec_lo
	s_or_b32 s28, s28, s30
	s_and_not1_b32 s27, s27, exec_lo
	s_or_b32 s26, s26, s29
                                        ; implicit-def: $sgpr29
	s_branch .LBB512_102
.LBB512_105:
	s_set_inst_prefetch_distance 0x2
	s_or_b32 exec_lo, exec_lo, s24
	s_xor_b32 s0, s25, -1
	s_branch .LBB512_107
.LBB512_106:
	s_mov_b32 s0, -1
.LBB512_107:
	s_delay_alu instid0(SALU_CYCLE_1)
	s_and_b32 s0, s0, exec_lo
.LBB512_108:
	s_or_b32 exec_lo, exec_lo, s22
	s_delay_alu instid0(SALU_CYCLE_1)
	s_or_not1_b32 s22, s0, exec_lo
.LBB512_109:
	s_or_b32 exec_lo, exec_lo, s23
	v_cndmask_b32_e64 v4, v9, v8, s22
	v_cndmask_b32_e64 v5, v15, v14, s22
	s_mov_b32 s23, exec_lo
	s_delay_alu instid0(VALU_DEP_2) | instskip(NEXT) | instid1(VALU_DEP_2)
	v_add_nc_u32_e32 v10, 1, v4
	v_add_nc_u32_e32 v4, -1, v5
	s_delay_alu instid0(VALU_DEP_2) | instskip(NEXT) | instid1(VALU_DEP_2)
	v_cndmask_b32_e64 v9, v10, v9, s22
	v_min_u32_e32 v4, v10, v4
	s_delay_alu instid0(VALU_DEP_1)
	v_lshl_add_u32 v4, v4, 3, v16
	ds_load_b64 v[4:5], v4
	s_waitcnt lgkmcnt(0)
	v_cndmask_b32_e64 v7, v40, v5, s22
	v_cndmask_b32_e64 v6, v41, v4, s22
	v_cmpx_lt_u32_e64 v9, v15
	s_cbranch_execz .LBB512_119
; %bb.110:
	v_cndmask_b32_e64 v8, v8, v10, s22
	v_cndmask_b32_e64 v5, v5, v24, s22
	;; [unrolled: 1-line block ×3, first 2 shown]
	s_mov_b32 s24, exec_lo
	s_delay_alu instid0(VALU_DEP_3)
	v_cmpx_lt_u32_e64 v8, v14
	s_cbranch_execz .LBB512_118
; %bb.111:
	s_and_not1_b32 vcc_lo, exec_lo, s7
	s_cbranch_vccnz .LBB512_117
; %bb.112:
	v_mul_lo_u32 v14, v5, s8
	v_mul_lo_u32 v15, v4, s9
	v_mad_u64_u32 v[8:9], null, v4, s8, 0
	v_mul_lo_u32 v42, v7, s8
	v_mul_lo_u32 v43, v6, s9
	v_mad_u64_u32 v[10:11], null, v6, s8, 0
	s_mov_b32 s25, 0
	s_mov_b64 s[20:21], s[8:9]
	s_delay_alu instid0(VALU_DEP_4) | instskip(NEXT) | instid1(VALU_DEP_2)
	v_add3_u32 v9, v9, v15, v14
                                        ; implicit-def: $sgpr26
                                        ; implicit-def: $sgpr27
                                        ; implicit-def: $sgpr28
                                        ; implicit-def: $sgpr29
                                        ; implicit-def: $sgpr30
	v_add3_u32 v11, v11, v43, v42
	s_delay_alu instid0(VALU_DEP_2) | instskip(NEXT) | instid1(VALU_DEP_2)
	v_lshlrev_b64 v[8:9], 3, v[8:9]
	v_lshlrev_b64 v[10:11], 3, v[10:11]
	s_delay_alu instid0(VALU_DEP_2) | instskip(NEXT) | instid1(VALU_DEP_3)
	v_add_co_u32 v8, vcc_lo, s10, v8
	v_add_co_ci_u32_e32 v9, vcc_lo, s11, v9, vcc_lo
	s_delay_alu instid0(VALU_DEP_3) | instskip(NEXT) | instid1(VALU_DEP_4)
	v_add_co_u32 v10, vcc_lo, s10, v10
	v_add_co_ci_u32_e32 v11, vcc_lo, s11, v11, vcc_lo
	s_set_inst_prefetch_distance 0x1
	s_branch .LBB512_114
	.p2align	6
.LBB512_113:                            ;   in Loop: Header=BB512_114 Depth=1
	s_or_b32 exec_lo, exec_lo, s0
	s_delay_alu instid0(SALU_CYCLE_1) | instskip(NEXT) | instid1(SALU_CYCLE_1)
	s_and_b32 s0, exec_lo, s27
	s_or_b32 s25, s0, s25
	s_and_not1_b32 s0, s30, exec_lo
	s_and_b32 s30, s29, exec_lo
	s_and_not1_b32 s26, s26, exec_lo
	s_and_b32 s31, s28, exec_lo
	s_or_b32 s30, s0, s30
	s_or_b32 s26, s26, s31
	s_and_not1_b32 exec_lo, exec_lo, s25
	s_cbranch_execz .LBB512_116
.LBB512_114:                            ; =>This Inner Loop Header: Depth=1
	global_load_b64 v[14:15], v[8:9], off
	global_load_b64 v[42:43], v[10:11], off
	s_and_not1_b32 s28, s28, exec_lo
	s_and_not1_b32 s29, s29, exec_lo
	s_or_b32 s27, s27, exec_lo
	s_waitcnt vmcnt(0)
	v_cmp_le_i64_e32 vcc_lo, v[14:15], v[42:43]
	v_cmp_lt_i64_e64 s0, v[14:15], v[42:43]
	s_and_b32 s31, vcc_lo, s30
	s_delay_alu instid0(VALU_DEP_1) | instid1(SALU_CYCLE_1)
	s_or_b32 s31, s0, s31
	s_delay_alu instid0(SALU_CYCLE_1) | instskip(NEXT) | instid1(SALU_CYCLE_1)
	s_and_b32 s0, s31, exec_lo
	s_or_b32 s28, s28, s0
	s_mov_b32 s0, exec_lo
	v_cmpx_eq_u64_e64 v[14:15], v[42:43]
	s_cbranch_execz .LBB512_113
; %bb.115:                              ;   in Loop: Header=BB512_114 Depth=1
	s_add_u32 s20, s20, -1
	s_addc_u32 s21, s21, -1
	v_add_co_u32 v8, vcc_lo, v8, 8
	s_cmp_eq_u64 s[20:21], 0
	v_add_co_ci_u32_e32 v9, vcc_lo, 0, v9, vcc_lo
	v_add_co_u32 v10, vcc_lo, v10, 8
	s_cselect_b32 s30, -1, 0
	v_add_co_ci_u32_e32 v11, vcc_lo, 0, v11, vcc_lo
	s_and_not1_b32 s29, s29, exec_lo
	s_and_b32 s31, s31, exec_lo
	s_and_not1_b32 s27, s27, exec_lo
	s_and_b32 s30, s30, exec_lo
	s_or_b32 s29, s29, s31
	s_and_not1_b32 s28, s28, exec_lo
	s_or_b32 s27, s27, s30
                                        ; implicit-def: $sgpr30
	s_branch .LBB512_113
.LBB512_116:
	s_set_inst_prefetch_distance 0x2
	s_or_b32 exec_lo, exec_lo, s25
	v_cndmask_b32_e64 v7, v7, v5, s26
	v_cndmask_b32_e64 v6, v6, v4, s26
.LBB512_117:
	s_delay_alu instid0(VALU_DEP_1)
	v_dual_mov_b32 v4, v6 :: v_dual_mov_b32 v5, v7
.LBB512_118:
	s_or_b32 exec_lo, exec_lo, s24
	s_delay_alu instid0(VALU_DEP_1)
	v_dual_mov_b32 v7, v5 :: v_dual_mov_b32 v6, v4
.LBB512_119:
	s_or_b32 exec_lo, exec_lo, s23
	v_cndmask_b32_e64 v1, v3, v1, s12
	v_cndmask_b32_e64 v0, v2, v0, s12
	;; [unrolled: 1-line block ×6, first 2 shown]
.LBB512_120:
	s_or_b32 exec_lo, exec_lo, s1
	v_and_b32_e32 v22, 0x70, v18
	v_and_b32_e32 v9, 12, v18
	s_mov_b32 s1, exec_lo
	; wave barrier
	s_delay_alu instid0(VALU_DEP_2) | instskip(NEXT) | instid1(VALU_DEP_2)
	v_or_b32_e32 v8, 8, v22
	v_min_u32_e32 v23, v17, v9
	v_lshl_add_u32 v21, v22, 3, v16
	ds_store_b128 v19, v[0:3]
	ds_store_b128 v19, v[4:7] offset:16
	v_min_u32_e32 v14, v17, v8
	; wave barrier
	s_delay_alu instid0(VALU_DEP_1) | instskip(SKIP_1) | instid1(VALU_DEP_2)
	v_add_nc_u32_e32 v8, 8, v14
	v_sub_nc_u32_e32 v9, v14, v22
	v_min_u32_e32 v15, v17, v8
	s_delay_alu instid0(VALU_DEP_2) | instskip(NEXT) | instid1(VALU_DEP_2)
	v_min_u32_e32 v24, v23, v9
	v_sub_nc_u32_e32 v8, v15, v14
	s_delay_alu instid0(VALU_DEP_1) | instskip(NEXT) | instid1(VALU_DEP_1)
	v_sub_nc_u32_e64 v20, v23, v8 clamp
	v_cmpx_lt_u32_e64 v20, v24
	s_cbranch_execz .LBB512_130
; %bb.121:
	v_lshlrev_b32_e32 v8, 3, v14
	v_lshlrev_b32_e32 v9, 3, v23
	s_lshl_b64 s[20:21], s[8:9], 3
	s_mov_b32 s12, 0
	s_delay_alu instid0(VALU_DEP_1)
	v_add3_u32 v25, v16, v8, v9
	s_branch .LBB512_124
.LBB512_122:                            ;   in Loop: Header=BB512_124 Depth=1
	s_set_inst_prefetch_distance 0x2
	s_or_b32 exec_lo, exec_lo, s19
.LBB512_123:                            ;   in Loop: Header=BB512_124 Depth=1
	s_delay_alu instid0(VALU_DEP_1) | instskip(SKIP_1) | instid1(VALU_DEP_2)
	v_add_nc_u32_e32 v8, 1, v40
	v_cndmask_b32_e64 v24, v24, v40, s24
	v_cndmask_b32_e64 v20, v8, v20, s24
	s_delay_alu instid0(VALU_DEP_1) | instskip(SKIP_1) | instid1(SALU_CYCLE_1)
	v_cmp_ge_u32_e32 vcc_lo, v20, v24
	s_or_b32 s12, vcc_lo, s12
	s_and_not1_b32 exec_lo, exec_lo, s12
	s_cbranch_execz .LBB512_129
.LBB512_124:                            ; =>This Loop Header: Depth=1
                                        ;     Child Loop BB512_127 Depth 2
	v_add_nc_u32_e32 v8, v24, v20
	s_and_not1_b32 vcc_lo, exec_lo, s7
	s_mov_b32 s24, 0
	s_delay_alu instid0(VALU_DEP_1)
	v_lshrrev_b32_e32 v40, 1, v8
	s_cbranch_vccnz .LBB512_123
; %bb.125:                              ;   in Loop: Header=BB512_124 Depth=1
	s_delay_alu instid0(VALU_DEP_1) | instskip(SKIP_3) | instid1(VALU_DEP_2)
	v_not_b32_e32 v8, v40
	v_lshl_add_u32 v9, v40, 3, v21
	s_mov_b32 s19, 0
	s_mov_b64 s[22:23], s[8:9]
                                        ; implicit-def: $sgpr24
                                        ; implicit-def: $sgpr25
                                        ; implicit-def: $sgpr26
                                        ; implicit-def: $sgpr27
                                        ; implicit-def: $sgpr28
	v_lshl_add_u32 v8, v8, 3, v25
	ds_load_b64 v[10:11], v8
	ds_load_b64 v[41:42], v9
	s_waitcnt lgkmcnt(1)
	v_mul_lo_u32 v43, s20, v11
	v_mul_lo_u32 v44, s21, v10
	v_mad_u64_u32 v[8:9], null, s20, v10, s[10:11]
	s_waitcnt lgkmcnt(0)
	v_mul_lo_u32 v42, s20, v42
	v_mul_lo_u32 v45, s21, v41
	v_mad_u64_u32 v[10:11], null, s20, v41, s[10:11]
	s_delay_alu instid0(VALU_DEP_4) | instskip(NEXT) | instid1(VALU_DEP_2)
	v_add3_u32 v9, v44, v9, v43
	v_add3_u32 v11, v45, v11, v42
	s_set_inst_prefetch_distance 0x1
	s_branch .LBB512_127
	.p2align	6
.LBB512_126:                            ;   in Loop: Header=BB512_127 Depth=2
	s_or_b32 exec_lo, exec_lo, s29
	s_delay_alu instid0(SALU_CYCLE_1) | instskip(NEXT) | instid1(SALU_CYCLE_1)
	s_and_b32 s0, exec_lo, s25
	s_or_b32 s19, s0, s19
	s_and_not1_b32 s0, s28, exec_lo
	s_and_b32 s28, s26, exec_lo
	s_and_not1_b32 s24, s24, exec_lo
	s_and_b32 s29, s27, exec_lo
	s_or_b32 s28, s0, s28
	s_or_b32 s24, s24, s29
	s_and_not1_b32 exec_lo, exec_lo, s19
	s_cbranch_execz .LBB512_122
.LBB512_127:                            ;   Parent Loop BB512_124 Depth=1
                                        ; =>  This Inner Loop Header: Depth=2
	global_load_b64 v[41:42], v[8:9], off
	global_load_b64 v[43:44], v[10:11], off
	s_and_not1_b32 s27, s27, exec_lo
	s_and_not1_b32 s26, s26, exec_lo
	s_or_b32 s25, s25, exec_lo
	s_waitcnt vmcnt(0)
	v_cmp_le_i64_e32 vcc_lo, v[41:42], v[43:44]
	v_cmp_lt_i64_e64 s0, v[41:42], v[43:44]
	s_and_b32 s29, vcc_lo, s28
	s_delay_alu instid0(VALU_DEP_1) | instid1(SALU_CYCLE_1)
	s_or_b32 s0, s0, s29
	s_delay_alu instid0(SALU_CYCLE_1) | instskip(NEXT) | instid1(SALU_CYCLE_1)
	s_and_b32 s29, s0, exec_lo
	s_or_b32 s27, s27, s29
	s_mov_b32 s29, exec_lo
	v_cmpx_eq_u64_e64 v[41:42], v[43:44]
	s_cbranch_execz .LBB512_126
; %bb.128:                              ;   in Loop: Header=BB512_127 Depth=2
	s_add_u32 s22, s22, -1
	s_addc_u32 s23, s23, -1
	v_add_co_u32 v8, vcc_lo, v8, 8
	v_add_co_ci_u32_e32 v9, vcc_lo, 0, v9, vcc_lo
	s_cmp_eq_u64 s[22:23], 0
	v_add_co_u32 v10, vcc_lo, v10, 8
	s_cselect_b32 s28, -1, 0
	v_add_co_ci_u32_e32 v11, vcc_lo, 0, v11, vcc_lo
	s_and_not1_b32 s26, s26, exec_lo
	s_and_b32 s0, s0, exec_lo
	s_and_not1_b32 s25, s25, exec_lo
	s_and_b32 s28, s28, exec_lo
	s_and_not1_b32 s27, s27, exec_lo
	s_or_b32 s26, s26, s0
	s_or_b32 s25, s25, s28
                                        ; implicit-def: $sgpr28
	s_branch .LBB512_126
.LBB512_129:
	s_or_b32 exec_lo, exec_lo, s12
.LBB512_130:
	s_delay_alu instid0(SALU_CYCLE_1) | instskip(SKIP_2) | instid1(VALU_DEP_2)
	s_or_b32 exec_lo, exec_lo, s1
	v_add_nc_u32_e32 v9, v14, v23
	v_add_nc_u32_e32 v8, v20, v22
	v_sub_nc_u32_e32 v9, v9, v20
	s_delay_alu instid0(VALU_DEP_2) | instskip(NEXT) | instid1(VALU_DEP_2)
	v_cmp_le_u32_e32 vcc_lo, v8, v14
	v_cmp_le_u32_e64 s0, v9, v15
	s_delay_alu instid0(VALU_DEP_1) | instskip(NEXT) | instid1(SALU_CYCLE_1)
	s_or_b32 s0, vcc_lo, s0
	s_and_saveexec_b32 s1, s0
	s_cbranch_execz .LBB512_177
; %bb.131:
	v_cmp_ge_u32_e32 vcc_lo, v8, v14
	s_mov_b32 s12, exec_lo
                                        ; implicit-def: $vgpr0_vgpr1
	v_cmpx_lt_u32_e64 v8, v14
	s_cbranch_execz .LBB512_133
; %bb.132:
	v_lshl_add_u32 v0, v20, 3, v21
	ds_load_b64 v[0:1], v0
.LBB512_133:
	s_or_b32 exec_lo, exec_lo, s12
	v_cmp_ge_u32_e64 s12, v9, v15
	s_mov_b32 s19, exec_lo
                                        ; implicit-def: $vgpr4_vgpr5
	v_cmpx_lt_u32_e64 v9, v15
	s_cbranch_execz .LBB512_135
; %bb.134:
	v_lshl_add_u32 v2, v9, 3, v16
	ds_load_b64 v[4:5], v2
.LBB512_135:
	s_or_b32 exec_lo, exec_lo, s19
	s_or_b32 s0, vcc_lo, s12
	s_mov_b32 s19, -1
	s_xor_b32 s0, s0, -1
	s_delay_alu instid0(SALU_CYCLE_1)
	s_and_saveexec_b32 s22, s0
	s_cbranch_execz .LBB512_144
; %bb.136:
	s_and_not1_b32 vcc_lo, exec_lo, s7
	s_cbranch_vccnz .LBB512_142
; %bb.137:
	s_waitcnt lgkmcnt(0)
	v_mul_lo_u32 v10, v5, s8
	v_mul_lo_u32 v11, v4, s9
	v_mad_u64_u32 v[2:3], null, v4, s8, 0
	v_mul_lo_u32 v20, v1, s8
	v_mul_lo_u32 v21, v0, s9
	v_mad_u64_u32 v[6:7], null, v0, s8, 0
	s_mov_b32 s23, 0
	s_mov_b64 s[20:21], s[8:9]
	s_delay_alu instid0(VALU_DEP_4) | instskip(NEXT) | instid1(VALU_DEP_2)
	v_add3_u32 v3, v3, v11, v10
                                        ; implicit-def: $sgpr24
                                        ; implicit-def: $sgpr25
                                        ; implicit-def: $sgpr26
                                        ; implicit-def: $sgpr27
                                        ; implicit-def: $sgpr28
	v_add3_u32 v7, v7, v21, v20
	s_delay_alu instid0(VALU_DEP_2) | instskip(NEXT) | instid1(VALU_DEP_2)
	v_lshlrev_b64 v[2:3], 3, v[2:3]
	v_lshlrev_b64 v[6:7], 3, v[6:7]
	s_delay_alu instid0(VALU_DEP_2) | instskip(NEXT) | instid1(VALU_DEP_3)
	v_add_co_u32 v2, vcc_lo, s10, v2
	v_add_co_ci_u32_e32 v3, vcc_lo, s11, v3, vcc_lo
	s_delay_alu instid0(VALU_DEP_3) | instskip(NEXT) | instid1(VALU_DEP_4)
	v_add_co_u32 v6, vcc_lo, s10, v6
	v_add_co_ci_u32_e32 v7, vcc_lo, s11, v7, vcc_lo
	s_set_inst_prefetch_distance 0x1
	s_branch .LBB512_139
	.p2align	6
.LBB512_138:                            ;   in Loop: Header=BB512_139 Depth=1
	s_or_b32 exec_lo, exec_lo, s0
	s_delay_alu instid0(SALU_CYCLE_1) | instskip(NEXT) | instid1(SALU_CYCLE_1)
	s_and_b32 s0, exec_lo, s25
	s_or_b32 s23, s0, s23
	s_and_not1_b32 s0, s28, exec_lo
	s_and_b32 s28, s27, exec_lo
	s_and_not1_b32 s24, s24, exec_lo
	s_and_b32 s29, s26, exec_lo
	s_or_b32 s28, s0, s28
	s_or_b32 s24, s24, s29
	s_and_not1_b32 exec_lo, exec_lo, s23
	s_cbranch_execz .LBB512_141
.LBB512_139:                            ; =>This Inner Loop Header: Depth=1
	global_load_b64 v[10:11], v[2:3], off
	global_load_b64 v[20:21], v[6:7], off
	s_and_not1_b32 s26, s26, exec_lo
	s_and_not1_b32 s27, s27, exec_lo
	s_or_b32 s25, s25, exec_lo
	s_waitcnt vmcnt(0)
	v_cmp_le_i64_e32 vcc_lo, v[10:11], v[20:21]
	v_cmp_lt_i64_e64 s0, v[10:11], v[20:21]
	s_and_b32 s29, vcc_lo, s28
	s_delay_alu instid0(VALU_DEP_1) | instid1(SALU_CYCLE_1)
	s_or_b32 s29, s0, s29
	s_delay_alu instid0(SALU_CYCLE_1) | instskip(NEXT) | instid1(SALU_CYCLE_1)
	s_and_b32 s0, s29, exec_lo
	s_or_b32 s26, s26, s0
	s_mov_b32 s0, exec_lo
	v_cmpx_eq_u64_e64 v[10:11], v[20:21]
	s_cbranch_execz .LBB512_138
; %bb.140:                              ;   in Loop: Header=BB512_139 Depth=1
	s_add_u32 s20, s20, -1
	s_addc_u32 s21, s21, -1
	v_add_co_u32 v2, vcc_lo, v2, 8
	s_cmp_eq_u64 s[20:21], 0
	v_add_co_ci_u32_e32 v3, vcc_lo, 0, v3, vcc_lo
	v_add_co_u32 v6, vcc_lo, v6, 8
	s_cselect_b32 s28, -1, 0
	v_add_co_ci_u32_e32 v7, vcc_lo, 0, v7, vcc_lo
	s_and_not1_b32 s27, s27, exec_lo
	s_and_b32 s29, s29, exec_lo
	s_and_not1_b32 s25, s25, exec_lo
	s_and_b32 s28, s28, exec_lo
	s_or_b32 s27, s27, s29
	s_and_not1_b32 s26, s26, exec_lo
	s_or_b32 s25, s25, s28
                                        ; implicit-def: $sgpr28
	s_branch .LBB512_138
.LBB512_141:
	s_set_inst_prefetch_distance 0x2
	s_or_b32 exec_lo, exec_lo, s23
	s_xor_b32 s0, s24, -1
	s_branch .LBB512_143
.LBB512_142:
	s_mov_b32 s0, -1
.LBB512_143:
	s_and_not1_b32 s12, s12, exec_lo
	s_and_b32 s0, s0, exec_lo
	s_delay_alu instid0(SALU_CYCLE_1)
	s_or_b32 s12, s12, s0
.LBB512_144:
	s_or_b32 exec_lo, exec_lo, s22
	v_cndmask_b32_e64 v2, v9, v8, s12
	v_cndmask_b32_e64 v3, v15, v14, s12
	s_mov_b32 s22, exec_lo
	s_delay_alu instid0(VALU_DEP_2) | instskip(NEXT) | instid1(VALU_DEP_2)
	v_add_nc_u32_e32 v6, 1, v2
	v_add_nc_u32_e32 v2, -1, v3
	s_delay_alu instid0(VALU_DEP_2) | instskip(NEXT) | instid1(VALU_DEP_2)
	v_cndmask_b32_e64 v9, v6, v9, s12
	v_min_u32_e32 v2, v6, v2
	v_cndmask_b32_e64 v8, v8, v6, s12
	s_delay_alu instid0(VALU_DEP_2)
	v_lshl_add_u32 v2, v2, 3, v16
	ds_load_b64 v[2:3], v2
	s_waitcnt lgkmcnt(0)
	v_cndmask_b32_e64 v10, v3, v5, s12
	v_cndmask_b32_e64 v11, v2, v4, s12
	;; [unrolled: 1-line block ×4, first 2 shown]
	v_cmpx_lt_u32_e64 v9, v15
	s_cbranch_execz .LBB512_155
; %bb.145:
	s_mov_b32 s0, 0
	s_mov_b32 s19, exec_lo
	v_cmpx_lt_u32_e64 v8, v14
	s_cbranch_execz .LBB512_154
; %bb.146:
	s_and_not1_b32 vcc_lo, exec_lo, s7
	s_cbranch_vccnz .LBB512_152
; %bb.147:
	v_mul_lo_u32 v22, v10, s8
	v_mul_lo_u32 v23, v11, s9
	v_mad_u64_u32 v[2:3], null, v11, s8, 0
	v_mul_lo_u32 v24, v20, s8
	v_mul_lo_u32 v25, v21, s9
	v_mad_u64_u32 v[6:7], null, v21, s8, 0
	s_mov_b32 s23, 0
	s_mov_b64 s[20:21], s[8:9]
	s_delay_alu instid0(VALU_DEP_4) | instskip(NEXT) | instid1(VALU_DEP_2)
	v_add3_u32 v3, v3, v23, v22
                                        ; implicit-def: $sgpr24
                                        ; implicit-def: $sgpr25
                                        ; implicit-def: $sgpr26
                                        ; implicit-def: $sgpr27
                                        ; implicit-def: $sgpr28
	v_add3_u32 v7, v7, v25, v24
	s_delay_alu instid0(VALU_DEP_2) | instskip(NEXT) | instid1(VALU_DEP_2)
	v_lshlrev_b64 v[2:3], 3, v[2:3]
	v_lshlrev_b64 v[6:7], 3, v[6:7]
	s_delay_alu instid0(VALU_DEP_2) | instskip(NEXT) | instid1(VALU_DEP_3)
	v_add_co_u32 v2, vcc_lo, s10, v2
	v_add_co_ci_u32_e32 v3, vcc_lo, s11, v3, vcc_lo
	s_delay_alu instid0(VALU_DEP_3) | instskip(NEXT) | instid1(VALU_DEP_4)
	v_add_co_u32 v6, vcc_lo, s10, v6
	v_add_co_ci_u32_e32 v7, vcc_lo, s11, v7, vcc_lo
	s_set_inst_prefetch_distance 0x1
	s_branch .LBB512_149
	.p2align	6
.LBB512_148:                            ;   in Loop: Header=BB512_149 Depth=1
	s_or_b32 exec_lo, exec_lo, s0
	s_delay_alu instid0(SALU_CYCLE_1) | instskip(NEXT) | instid1(SALU_CYCLE_1)
	s_and_b32 s0, exec_lo, s25
	s_or_b32 s23, s0, s23
	s_and_not1_b32 s0, s28, exec_lo
	s_and_b32 s28, s27, exec_lo
	s_and_not1_b32 s24, s24, exec_lo
	s_and_b32 s29, s26, exec_lo
	s_or_b32 s28, s0, s28
	s_or_b32 s24, s24, s29
	s_and_not1_b32 exec_lo, exec_lo, s23
	s_cbranch_execz .LBB512_151
.LBB512_149:                            ; =>This Inner Loop Header: Depth=1
	global_load_b64 v[22:23], v[2:3], off
	global_load_b64 v[24:25], v[6:7], off
	s_and_not1_b32 s26, s26, exec_lo
	s_and_not1_b32 s27, s27, exec_lo
	s_or_b32 s25, s25, exec_lo
	s_waitcnt vmcnt(0)
	v_cmp_le_i64_e32 vcc_lo, v[22:23], v[24:25]
	v_cmp_lt_i64_e64 s0, v[22:23], v[24:25]
	s_and_b32 s29, vcc_lo, s28
	s_delay_alu instid0(VALU_DEP_1) | instid1(SALU_CYCLE_1)
	s_or_b32 s29, s0, s29
	s_delay_alu instid0(SALU_CYCLE_1) | instskip(NEXT) | instid1(SALU_CYCLE_1)
	s_and_b32 s0, s29, exec_lo
	s_or_b32 s26, s26, s0
	s_mov_b32 s0, exec_lo
	v_cmpx_eq_u64_e64 v[22:23], v[24:25]
	s_cbranch_execz .LBB512_148
; %bb.150:                              ;   in Loop: Header=BB512_149 Depth=1
	s_add_u32 s20, s20, -1
	s_addc_u32 s21, s21, -1
	v_add_co_u32 v2, vcc_lo, v2, 8
	s_cmp_eq_u64 s[20:21], 0
	v_add_co_ci_u32_e32 v3, vcc_lo, 0, v3, vcc_lo
	v_add_co_u32 v6, vcc_lo, v6, 8
	s_cselect_b32 s28, -1, 0
	v_add_co_ci_u32_e32 v7, vcc_lo, 0, v7, vcc_lo
	s_and_not1_b32 s27, s27, exec_lo
	s_and_b32 s29, s29, exec_lo
	s_and_not1_b32 s25, s25, exec_lo
	s_and_b32 s28, s28, exec_lo
	s_or_b32 s27, s27, s29
	s_and_not1_b32 s26, s26, exec_lo
	s_or_b32 s25, s25, s28
                                        ; implicit-def: $sgpr28
	s_branch .LBB512_148
.LBB512_151:
	s_set_inst_prefetch_distance 0x2
	s_or_b32 exec_lo, exec_lo, s23
	s_xor_b32 s0, s24, -1
	s_branch .LBB512_153
.LBB512_152:
	s_mov_b32 s0, -1
.LBB512_153:
	s_delay_alu instid0(SALU_CYCLE_1)
	s_and_b32 s0, s0, exec_lo
.LBB512_154:
	s_or_b32 exec_lo, exec_lo, s19
	s_delay_alu instid0(SALU_CYCLE_1)
	s_or_not1_b32 s19, s0, exec_lo
.LBB512_155:
	s_or_b32 exec_lo, exec_lo, s22
	v_cndmask_b32_e64 v2, v9, v8, s19
	v_cndmask_b32_e64 v3, v15, v14, s19
	s_mov_b32 s0, -1
	s_mov_b32 s22, exec_lo
	s_delay_alu instid0(VALU_DEP_2) | instskip(NEXT) | instid1(VALU_DEP_2)
	v_add_nc_u32_e32 v6, 1, v2
	v_add_nc_u32_e32 v2, -1, v3
	s_delay_alu instid0(VALU_DEP_2) | instskip(NEXT) | instid1(VALU_DEP_2)
	v_cndmask_b32_e64 v25, v6, v9, s19
	v_min_u32_e32 v2, v6, v2
	v_cndmask_b32_e64 v22, v8, v6, s19
	s_delay_alu instid0(VALU_DEP_2)
	v_lshl_add_u32 v2, v2, 3, v16
	ds_load_b64 v[2:3], v2
	s_waitcnt lgkmcnt(0)
	v_cndmask_b32_e64 v23, v3, v10, s19
	v_cndmask_b32_e64 v24, v2, v11, s19
	;; [unrolled: 1-line block ×4, first 2 shown]
	v_cmpx_lt_u32_e64 v25, v15
	s_cbranch_execz .LBB512_166
; %bb.156:
	s_mov_b32 s0, 0
	s_mov_b32 s23, exec_lo
	v_cmpx_lt_u32_e64 v22, v14
	s_cbranch_execz .LBB512_165
; %bb.157:
	s_and_not1_b32 vcc_lo, exec_lo, s7
	s_cbranch_vccnz .LBB512_163
; %bb.158:
	v_mul_lo_u32 v8, v23, s8
	v_mul_lo_u32 v9, v24, s9
	v_mad_u64_u32 v[2:3], null, v24, s8, 0
	v_mul_lo_u32 v42, v40, s8
	v_mul_lo_u32 v43, v41, s9
	v_mad_u64_u32 v[6:7], null, v41, s8, 0
	s_mov_b32 s24, 0
	s_mov_b64 s[20:21], s[8:9]
	s_delay_alu instid0(VALU_DEP_4) | instskip(NEXT) | instid1(VALU_DEP_2)
	v_add3_u32 v3, v3, v9, v8
                                        ; implicit-def: $sgpr25
                                        ; implicit-def: $sgpr26
                                        ; implicit-def: $sgpr27
                                        ; implicit-def: $sgpr28
                                        ; implicit-def: $sgpr29
	v_add3_u32 v7, v7, v43, v42
	s_delay_alu instid0(VALU_DEP_2) | instskip(NEXT) | instid1(VALU_DEP_2)
	v_lshlrev_b64 v[2:3], 3, v[2:3]
	v_lshlrev_b64 v[6:7], 3, v[6:7]
	s_delay_alu instid0(VALU_DEP_2) | instskip(NEXT) | instid1(VALU_DEP_3)
	v_add_co_u32 v2, vcc_lo, s10, v2
	v_add_co_ci_u32_e32 v3, vcc_lo, s11, v3, vcc_lo
	s_delay_alu instid0(VALU_DEP_3) | instskip(NEXT) | instid1(VALU_DEP_4)
	v_add_co_u32 v6, vcc_lo, s10, v6
	v_add_co_ci_u32_e32 v7, vcc_lo, s11, v7, vcc_lo
	s_set_inst_prefetch_distance 0x1
	s_branch .LBB512_160
	.p2align	6
.LBB512_159:                            ;   in Loop: Header=BB512_160 Depth=1
	s_or_b32 exec_lo, exec_lo, s0
	s_delay_alu instid0(SALU_CYCLE_1) | instskip(NEXT) | instid1(SALU_CYCLE_1)
	s_and_b32 s0, exec_lo, s26
	s_or_b32 s24, s0, s24
	s_and_not1_b32 s0, s29, exec_lo
	s_and_b32 s29, s28, exec_lo
	s_and_not1_b32 s25, s25, exec_lo
	s_and_b32 s30, s27, exec_lo
	s_or_b32 s29, s0, s29
	s_or_b32 s25, s25, s30
	s_and_not1_b32 exec_lo, exec_lo, s24
	s_cbranch_execz .LBB512_162
.LBB512_160:                            ; =>This Inner Loop Header: Depth=1
	global_load_b64 v[8:9], v[2:3], off
	global_load_b64 v[42:43], v[6:7], off
	s_and_not1_b32 s27, s27, exec_lo
	s_and_not1_b32 s28, s28, exec_lo
	s_or_b32 s26, s26, exec_lo
	s_waitcnt vmcnt(0)
	v_cmp_le_i64_e32 vcc_lo, v[8:9], v[42:43]
	v_cmp_lt_i64_e64 s0, v[8:9], v[42:43]
	s_and_b32 s30, vcc_lo, s29
	s_delay_alu instid0(VALU_DEP_1) | instid1(SALU_CYCLE_1)
	s_or_b32 s30, s0, s30
	s_delay_alu instid0(SALU_CYCLE_1) | instskip(NEXT) | instid1(SALU_CYCLE_1)
	s_and_b32 s0, s30, exec_lo
	s_or_b32 s27, s27, s0
	s_mov_b32 s0, exec_lo
	v_cmpx_eq_u64_e64 v[8:9], v[42:43]
	s_cbranch_execz .LBB512_159
; %bb.161:                              ;   in Loop: Header=BB512_160 Depth=1
	s_add_u32 s20, s20, -1
	s_addc_u32 s21, s21, -1
	v_add_co_u32 v2, vcc_lo, v2, 8
	s_cmp_eq_u64 s[20:21], 0
	v_add_co_ci_u32_e32 v3, vcc_lo, 0, v3, vcc_lo
	v_add_co_u32 v6, vcc_lo, v6, 8
	s_cselect_b32 s29, -1, 0
	v_add_co_ci_u32_e32 v7, vcc_lo, 0, v7, vcc_lo
	s_and_not1_b32 s28, s28, exec_lo
	s_and_b32 s30, s30, exec_lo
	s_and_not1_b32 s26, s26, exec_lo
	s_and_b32 s29, s29, exec_lo
	s_or_b32 s28, s28, s30
	s_and_not1_b32 s27, s27, exec_lo
	s_or_b32 s26, s26, s29
                                        ; implicit-def: $sgpr29
	s_branch .LBB512_159
.LBB512_162:
	s_set_inst_prefetch_distance 0x2
	s_or_b32 exec_lo, exec_lo, s24
	s_xor_b32 s0, s25, -1
	s_branch .LBB512_164
.LBB512_163:
	s_mov_b32 s0, -1
.LBB512_164:
	s_delay_alu instid0(SALU_CYCLE_1)
	s_and_b32 s0, s0, exec_lo
.LBB512_165:
	s_or_b32 exec_lo, exec_lo, s23
	s_delay_alu instid0(SALU_CYCLE_1)
	s_or_not1_b32 s0, s0, exec_lo
.LBB512_166:
	s_or_b32 exec_lo, exec_lo, s22
	v_cndmask_b32_e64 v2, v25, v22, s0
	v_cndmask_b32_e64 v3, v15, v14, s0
	;; [unrolled: 1-line block ×5, first 2 shown]
	v_add_nc_u32_e32 v42, 1, v2
	v_add_nc_u32_e32 v2, -1, v3
	v_cndmask_b32_e64 v3, v10, v20, s19
	v_cndmask_b32_e64 v4, v24, v41, s0
	s_mov_b32 s12, exec_lo
	v_cndmask_b32_e64 v10, v42, v25, s0
	v_min_u32_e32 v2, v42, v2
	s_delay_alu instid0(VALU_DEP_1)
	v_lshl_add_u32 v2, v2, 3, v16
	ds_load_b64 v[8:9], v2
	v_cndmask_b32_e64 v2, v11, v21, s19
	s_waitcnt lgkmcnt(0)
	v_cndmask_b32_e64 v7, v40, v9, s0
	v_cndmask_b32_e64 v6, v41, v8, s0
	v_cmpx_lt_u32_e64 v10, v15
	s_cbranch_execz .LBB512_176
; %bb.167:
	v_cndmask_b32_e64 v10, v22, v42, s0
	v_cndmask_b32_e64 v9, v9, v23, s0
	;; [unrolled: 1-line block ×3, first 2 shown]
	s_mov_b32 s19, exec_lo
	s_delay_alu instid0(VALU_DEP_3)
	v_cmpx_lt_u32_e64 v10, v14
	s_cbranch_execz .LBB512_175
; %bb.168:
	s_and_not1_b32 vcc_lo, exec_lo, s7
	s_cbranch_vccnz .LBB512_174
; %bb.169:
	v_mul_lo_u32 v20, v9, s8
	v_mul_lo_u32 v21, v8, s9
	v_mad_u64_u32 v[10:11], null, v8, s8, 0
	v_mul_lo_u32 v22, v7, s8
	v_mul_lo_u32 v23, v6, s9
	v_mad_u64_u32 v[14:15], null, v6, s8, 0
	s_mov_b32 s22, 0
	s_mov_b64 s[20:21], s[8:9]
	s_delay_alu instid0(VALU_DEP_4) | instskip(NEXT) | instid1(VALU_DEP_2)
	v_add3_u32 v11, v11, v21, v20
                                        ; implicit-def: $sgpr23
                                        ; implicit-def: $sgpr24
                                        ; implicit-def: $sgpr25
                                        ; implicit-def: $sgpr26
                                        ; implicit-def: $sgpr27
	v_add3_u32 v15, v15, v23, v22
	s_delay_alu instid0(VALU_DEP_2) | instskip(NEXT) | instid1(VALU_DEP_2)
	v_lshlrev_b64 v[10:11], 3, v[10:11]
	v_lshlrev_b64 v[14:15], 3, v[14:15]
	s_delay_alu instid0(VALU_DEP_2) | instskip(NEXT) | instid1(VALU_DEP_3)
	v_add_co_u32 v10, vcc_lo, s10, v10
	v_add_co_ci_u32_e32 v11, vcc_lo, s11, v11, vcc_lo
	s_delay_alu instid0(VALU_DEP_3) | instskip(NEXT) | instid1(VALU_DEP_4)
	v_add_co_u32 v14, vcc_lo, s10, v14
	v_add_co_ci_u32_e32 v15, vcc_lo, s11, v15, vcc_lo
	s_set_inst_prefetch_distance 0x1
	s_branch .LBB512_171
	.p2align	6
.LBB512_170:                            ;   in Loop: Header=BB512_171 Depth=1
	s_or_b32 exec_lo, exec_lo, s0
	s_delay_alu instid0(SALU_CYCLE_1) | instskip(NEXT) | instid1(SALU_CYCLE_1)
	s_and_b32 s0, exec_lo, s24
	s_or_b32 s22, s0, s22
	s_and_not1_b32 s0, s27, exec_lo
	s_and_b32 s27, s26, exec_lo
	s_and_not1_b32 s23, s23, exec_lo
	s_and_b32 s28, s25, exec_lo
	s_or_b32 s27, s0, s27
	s_or_b32 s23, s23, s28
	s_and_not1_b32 exec_lo, exec_lo, s22
	s_cbranch_execz .LBB512_173
.LBB512_171:                            ; =>This Inner Loop Header: Depth=1
	global_load_b64 v[20:21], v[10:11], off
	global_load_b64 v[22:23], v[14:15], off
	s_and_not1_b32 s25, s25, exec_lo
	s_and_not1_b32 s26, s26, exec_lo
	s_or_b32 s24, s24, exec_lo
	s_waitcnt vmcnt(0)
	v_cmp_le_i64_e32 vcc_lo, v[20:21], v[22:23]
	v_cmp_lt_i64_e64 s0, v[20:21], v[22:23]
	s_and_b32 s28, vcc_lo, s27
	s_delay_alu instid0(VALU_DEP_1) | instid1(SALU_CYCLE_1)
	s_or_b32 s28, s0, s28
	s_delay_alu instid0(SALU_CYCLE_1) | instskip(NEXT) | instid1(SALU_CYCLE_1)
	s_and_b32 s0, s28, exec_lo
	s_or_b32 s25, s25, s0
	s_mov_b32 s0, exec_lo
	v_cmpx_eq_u64_e64 v[20:21], v[22:23]
	s_cbranch_execz .LBB512_170
; %bb.172:                              ;   in Loop: Header=BB512_171 Depth=1
	s_add_u32 s20, s20, -1
	s_addc_u32 s21, s21, -1
	v_add_co_u32 v10, vcc_lo, v10, 8
	s_cmp_eq_u64 s[20:21], 0
	v_add_co_ci_u32_e32 v11, vcc_lo, 0, v11, vcc_lo
	v_add_co_u32 v14, vcc_lo, v14, 8
	s_cselect_b32 s27, -1, 0
	v_add_co_ci_u32_e32 v15, vcc_lo, 0, v15, vcc_lo
	s_and_not1_b32 s26, s26, exec_lo
	s_and_b32 s28, s28, exec_lo
	s_and_not1_b32 s24, s24, exec_lo
	s_and_b32 s27, s27, exec_lo
	s_or_b32 s26, s26, s28
	s_and_not1_b32 s25, s25, exec_lo
	s_or_b32 s24, s24, s27
                                        ; implicit-def: $sgpr27
	s_branch .LBB512_170
.LBB512_173:
	s_set_inst_prefetch_distance 0x2
	s_or_b32 exec_lo, exec_lo, s22
	v_cndmask_b32_e64 v7, v7, v9, s23
	v_cndmask_b32_e64 v6, v6, v8, s23
.LBB512_174:
	s_delay_alu instid0(VALU_DEP_1)
	v_dual_mov_b32 v9, v7 :: v_dual_mov_b32 v8, v6
.LBB512_175:
	s_or_b32 exec_lo, exec_lo, s19
	s_delay_alu instid0(VALU_DEP_1)
	v_dual_mov_b32 v6, v8 :: v_dual_mov_b32 v7, v9
.LBB512_176:
	s_or_b32 exec_lo, exec_lo, s12
.LBB512_177:
	s_delay_alu instid0(SALU_CYCLE_1) | instskip(SKIP_3) | instid1(VALU_DEP_2)
	s_or_b32 exec_lo, exec_lo, s1
	v_and_b32_e32 v22, 0x60, v18
	v_and_b32_e32 v9, 28, v18
	s_mov_b32 s1, exec_lo
	; wave barrier
	v_or_b32_e32 v8, 16, v22
	s_delay_alu instid0(VALU_DEP_2) | instskip(SKIP_4) | instid1(VALU_DEP_1)
	v_min_u32_e32 v23, v17, v9
	v_lshl_add_u32 v21, v22, 3, v16
	ds_store_b128 v19, v[0:3]
	ds_store_b128 v19, v[4:7] offset:16
	v_min_u32_e32 v14, v17, v8
	; wave barrier
	v_add_nc_u32_e32 v8, 16, v14
	v_sub_nc_u32_e32 v9, v14, v22
	s_delay_alu instid0(VALU_DEP_2) | instskip(NEXT) | instid1(VALU_DEP_2)
	v_min_u32_e32 v15, v17, v8
	v_min_u32_e32 v24, v23, v9
	s_delay_alu instid0(VALU_DEP_2) | instskip(NEXT) | instid1(VALU_DEP_1)
	v_sub_nc_u32_e32 v8, v15, v14
	v_sub_nc_u32_e64 v20, v23, v8 clamp
	s_delay_alu instid0(VALU_DEP_1)
	v_cmpx_lt_u32_e64 v20, v24
	s_cbranch_execz .LBB512_187
; %bb.178:
	v_lshlrev_b32_e32 v8, 3, v14
	v_lshlrev_b32_e32 v9, 3, v23
	s_lshl_b64 s[20:21], s[8:9], 3
	s_mov_b32 s12, 0
	s_delay_alu instid0(VALU_DEP_1)
	v_add3_u32 v25, v16, v8, v9
	s_branch .LBB512_181
.LBB512_179:                            ;   in Loop: Header=BB512_181 Depth=1
	s_set_inst_prefetch_distance 0x2
	s_or_b32 exec_lo, exec_lo, s19
.LBB512_180:                            ;   in Loop: Header=BB512_181 Depth=1
	s_delay_alu instid0(VALU_DEP_1) | instskip(SKIP_1) | instid1(VALU_DEP_2)
	v_add_nc_u32_e32 v8, 1, v40
	v_cndmask_b32_e64 v24, v24, v40, s24
	v_cndmask_b32_e64 v20, v8, v20, s24
	s_delay_alu instid0(VALU_DEP_1) | instskip(SKIP_1) | instid1(SALU_CYCLE_1)
	v_cmp_ge_u32_e32 vcc_lo, v20, v24
	s_or_b32 s12, vcc_lo, s12
	s_and_not1_b32 exec_lo, exec_lo, s12
	s_cbranch_execz .LBB512_186
.LBB512_181:                            ; =>This Loop Header: Depth=1
                                        ;     Child Loop BB512_184 Depth 2
	v_add_nc_u32_e32 v8, v24, v20
	s_and_not1_b32 vcc_lo, exec_lo, s7
	s_mov_b32 s24, 0
	s_delay_alu instid0(VALU_DEP_1)
	v_lshrrev_b32_e32 v40, 1, v8
	s_cbranch_vccnz .LBB512_180
; %bb.182:                              ;   in Loop: Header=BB512_181 Depth=1
	s_delay_alu instid0(VALU_DEP_1) | instskip(SKIP_3) | instid1(VALU_DEP_2)
	v_not_b32_e32 v8, v40
	v_lshl_add_u32 v9, v40, 3, v21
	s_mov_b32 s19, 0
	s_mov_b64 s[22:23], s[8:9]
                                        ; implicit-def: $sgpr24
                                        ; implicit-def: $sgpr25
                                        ; implicit-def: $sgpr26
                                        ; implicit-def: $sgpr27
                                        ; implicit-def: $sgpr28
	v_lshl_add_u32 v8, v8, 3, v25
	ds_load_b64 v[10:11], v8
	ds_load_b64 v[41:42], v9
	s_waitcnt lgkmcnt(1)
	v_mul_lo_u32 v43, s20, v11
	v_mul_lo_u32 v44, s21, v10
	v_mad_u64_u32 v[8:9], null, s20, v10, s[10:11]
	s_waitcnt lgkmcnt(0)
	v_mul_lo_u32 v42, s20, v42
	v_mul_lo_u32 v45, s21, v41
	v_mad_u64_u32 v[10:11], null, s20, v41, s[10:11]
	s_delay_alu instid0(VALU_DEP_4) | instskip(NEXT) | instid1(VALU_DEP_2)
	v_add3_u32 v9, v44, v9, v43
	v_add3_u32 v11, v45, v11, v42
	s_set_inst_prefetch_distance 0x1
	s_branch .LBB512_184
	.p2align	6
.LBB512_183:                            ;   in Loop: Header=BB512_184 Depth=2
	s_or_b32 exec_lo, exec_lo, s29
	s_delay_alu instid0(SALU_CYCLE_1) | instskip(NEXT) | instid1(SALU_CYCLE_1)
	s_and_b32 s0, exec_lo, s25
	s_or_b32 s19, s0, s19
	s_and_not1_b32 s0, s28, exec_lo
	s_and_b32 s28, s26, exec_lo
	s_and_not1_b32 s24, s24, exec_lo
	s_and_b32 s29, s27, exec_lo
	s_or_b32 s28, s0, s28
	s_or_b32 s24, s24, s29
	s_and_not1_b32 exec_lo, exec_lo, s19
	s_cbranch_execz .LBB512_179
.LBB512_184:                            ;   Parent Loop BB512_181 Depth=1
                                        ; =>  This Inner Loop Header: Depth=2
	global_load_b64 v[41:42], v[8:9], off
	global_load_b64 v[43:44], v[10:11], off
	s_and_not1_b32 s27, s27, exec_lo
	s_and_not1_b32 s26, s26, exec_lo
	s_or_b32 s25, s25, exec_lo
	s_waitcnt vmcnt(0)
	v_cmp_le_i64_e32 vcc_lo, v[41:42], v[43:44]
	v_cmp_lt_i64_e64 s0, v[41:42], v[43:44]
	s_and_b32 s29, vcc_lo, s28
	s_delay_alu instid0(VALU_DEP_1) | instid1(SALU_CYCLE_1)
	s_or_b32 s0, s0, s29
	s_delay_alu instid0(SALU_CYCLE_1) | instskip(NEXT) | instid1(SALU_CYCLE_1)
	s_and_b32 s29, s0, exec_lo
	s_or_b32 s27, s27, s29
	s_mov_b32 s29, exec_lo
	v_cmpx_eq_u64_e64 v[41:42], v[43:44]
	s_cbranch_execz .LBB512_183
; %bb.185:                              ;   in Loop: Header=BB512_184 Depth=2
	s_add_u32 s22, s22, -1
	s_addc_u32 s23, s23, -1
	v_add_co_u32 v8, vcc_lo, v8, 8
	v_add_co_ci_u32_e32 v9, vcc_lo, 0, v9, vcc_lo
	s_cmp_eq_u64 s[22:23], 0
	v_add_co_u32 v10, vcc_lo, v10, 8
	s_cselect_b32 s28, -1, 0
	v_add_co_ci_u32_e32 v11, vcc_lo, 0, v11, vcc_lo
	s_and_not1_b32 s26, s26, exec_lo
	s_and_b32 s0, s0, exec_lo
	s_and_not1_b32 s25, s25, exec_lo
	s_and_b32 s28, s28, exec_lo
	s_and_not1_b32 s27, s27, exec_lo
	s_or_b32 s26, s26, s0
	s_or_b32 s25, s25, s28
                                        ; implicit-def: $sgpr28
	s_branch .LBB512_183
.LBB512_186:
	s_or_b32 exec_lo, exec_lo, s12
.LBB512_187:
	s_delay_alu instid0(SALU_CYCLE_1) | instskip(SKIP_2) | instid1(VALU_DEP_2)
	s_or_b32 exec_lo, exec_lo, s1
	v_add_nc_u32_e32 v9, v14, v23
	v_add_nc_u32_e32 v8, v20, v22
	v_sub_nc_u32_e32 v9, v9, v20
	s_delay_alu instid0(VALU_DEP_2) | instskip(NEXT) | instid1(VALU_DEP_2)
	v_cmp_le_u32_e32 vcc_lo, v8, v14
	v_cmp_le_u32_e64 s0, v9, v15
	s_delay_alu instid0(VALU_DEP_1) | instskip(NEXT) | instid1(SALU_CYCLE_1)
	s_or_b32 s0, vcc_lo, s0
	s_and_saveexec_b32 s1, s0
	s_cbranch_execz .LBB512_234
; %bb.188:
	v_cmp_ge_u32_e32 vcc_lo, v8, v14
	s_mov_b32 s12, exec_lo
                                        ; implicit-def: $vgpr0_vgpr1
	v_cmpx_lt_u32_e64 v8, v14
	s_cbranch_execz .LBB512_190
; %bb.189:
	v_lshl_add_u32 v0, v20, 3, v21
	ds_load_b64 v[0:1], v0
.LBB512_190:
	s_or_b32 exec_lo, exec_lo, s12
	v_cmp_ge_u32_e64 s12, v9, v15
	s_mov_b32 s19, exec_lo
                                        ; implicit-def: $vgpr4_vgpr5
	v_cmpx_lt_u32_e64 v9, v15
	s_cbranch_execz .LBB512_192
; %bb.191:
	v_lshl_add_u32 v2, v9, 3, v16
	ds_load_b64 v[4:5], v2
.LBB512_192:
	s_or_b32 exec_lo, exec_lo, s19
	s_or_b32 s0, vcc_lo, s12
	s_mov_b32 s19, -1
	s_xor_b32 s0, s0, -1
	s_delay_alu instid0(SALU_CYCLE_1)
	s_and_saveexec_b32 s22, s0
	s_cbranch_execz .LBB512_201
; %bb.193:
	s_and_not1_b32 vcc_lo, exec_lo, s7
	s_cbranch_vccnz .LBB512_199
; %bb.194:
	s_waitcnt lgkmcnt(0)
	v_mul_lo_u32 v10, v5, s8
	v_mul_lo_u32 v11, v4, s9
	v_mad_u64_u32 v[2:3], null, v4, s8, 0
	v_mul_lo_u32 v20, v1, s8
	v_mul_lo_u32 v21, v0, s9
	v_mad_u64_u32 v[6:7], null, v0, s8, 0
	s_mov_b32 s23, 0
	s_mov_b64 s[20:21], s[8:9]
	s_delay_alu instid0(VALU_DEP_4) | instskip(NEXT) | instid1(VALU_DEP_2)
	v_add3_u32 v3, v3, v11, v10
                                        ; implicit-def: $sgpr24
                                        ; implicit-def: $sgpr25
                                        ; implicit-def: $sgpr26
                                        ; implicit-def: $sgpr27
                                        ; implicit-def: $sgpr28
	v_add3_u32 v7, v7, v21, v20
	s_delay_alu instid0(VALU_DEP_2) | instskip(NEXT) | instid1(VALU_DEP_2)
	v_lshlrev_b64 v[2:3], 3, v[2:3]
	v_lshlrev_b64 v[6:7], 3, v[6:7]
	s_delay_alu instid0(VALU_DEP_2) | instskip(NEXT) | instid1(VALU_DEP_3)
	v_add_co_u32 v2, vcc_lo, s10, v2
	v_add_co_ci_u32_e32 v3, vcc_lo, s11, v3, vcc_lo
	s_delay_alu instid0(VALU_DEP_3) | instskip(NEXT) | instid1(VALU_DEP_4)
	v_add_co_u32 v6, vcc_lo, s10, v6
	v_add_co_ci_u32_e32 v7, vcc_lo, s11, v7, vcc_lo
	s_set_inst_prefetch_distance 0x1
	s_branch .LBB512_196
	.p2align	6
.LBB512_195:                            ;   in Loop: Header=BB512_196 Depth=1
	s_or_b32 exec_lo, exec_lo, s0
	s_delay_alu instid0(SALU_CYCLE_1) | instskip(NEXT) | instid1(SALU_CYCLE_1)
	s_and_b32 s0, exec_lo, s25
	s_or_b32 s23, s0, s23
	s_and_not1_b32 s0, s28, exec_lo
	s_and_b32 s28, s27, exec_lo
	s_and_not1_b32 s24, s24, exec_lo
	s_and_b32 s29, s26, exec_lo
	s_or_b32 s28, s0, s28
	s_or_b32 s24, s24, s29
	s_and_not1_b32 exec_lo, exec_lo, s23
	s_cbranch_execz .LBB512_198
.LBB512_196:                            ; =>This Inner Loop Header: Depth=1
	global_load_b64 v[10:11], v[2:3], off
	global_load_b64 v[20:21], v[6:7], off
	s_and_not1_b32 s26, s26, exec_lo
	s_and_not1_b32 s27, s27, exec_lo
	s_or_b32 s25, s25, exec_lo
	s_waitcnt vmcnt(0)
	v_cmp_le_i64_e32 vcc_lo, v[10:11], v[20:21]
	v_cmp_lt_i64_e64 s0, v[10:11], v[20:21]
	s_and_b32 s29, vcc_lo, s28
	s_delay_alu instid0(VALU_DEP_1) | instid1(SALU_CYCLE_1)
	s_or_b32 s29, s0, s29
	s_delay_alu instid0(SALU_CYCLE_1) | instskip(NEXT) | instid1(SALU_CYCLE_1)
	s_and_b32 s0, s29, exec_lo
	s_or_b32 s26, s26, s0
	s_mov_b32 s0, exec_lo
	v_cmpx_eq_u64_e64 v[10:11], v[20:21]
	s_cbranch_execz .LBB512_195
; %bb.197:                              ;   in Loop: Header=BB512_196 Depth=1
	s_add_u32 s20, s20, -1
	s_addc_u32 s21, s21, -1
	v_add_co_u32 v2, vcc_lo, v2, 8
	s_cmp_eq_u64 s[20:21], 0
	v_add_co_ci_u32_e32 v3, vcc_lo, 0, v3, vcc_lo
	v_add_co_u32 v6, vcc_lo, v6, 8
	s_cselect_b32 s28, -1, 0
	v_add_co_ci_u32_e32 v7, vcc_lo, 0, v7, vcc_lo
	s_and_not1_b32 s27, s27, exec_lo
	s_and_b32 s29, s29, exec_lo
	s_and_not1_b32 s25, s25, exec_lo
	s_and_b32 s28, s28, exec_lo
	s_or_b32 s27, s27, s29
	s_and_not1_b32 s26, s26, exec_lo
	s_or_b32 s25, s25, s28
                                        ; implicit-def: $sgpr28
	s_branch .LBB512_195
.LBB512_198:
	s_set_inst_prefetch_distance 0x2
	s_or_b32 exec_lo, exec_lo, s23
	s_xor_b32 s0, s24, -1
	s_branch .LBB512_200
.LBB512_199:
	s_mov_b32 s0, -1
.LBB512_200:
	s_and_not1_b32 s12, s12, exec_lo
	s_and_b32 s0, s0, exec_lo
	s_delay_alu instid0(SALU_CYCLE_1)
	s_or_b32 s12, s12, s0
.LBB512_201:
	s_or_b32 exec_lo, exec_lo, s22
	v_cndmask_b32_e64 v2, v9, v8, s12
	v_cndmask_b32_e64 v3, v15, v14, s12
	s_mov_b32 s22, exec_lo
	s_delay_alu instid0(VALU_DEP_2) | instskip(NEXT) | instid1(VALU_DEP_2)
	v_add_nc_u32_e32 v6, 1, v2
	v_add_nc_u32_e32 v2, -1, v3
	s_delay_alu instid0(VALU_DEP_2) | instskip(NEXT) | instid1(VALU_DEP_2)
	v_cndmask_b32_e64 v9, v6, v9, s12
	v_min_u32_e32 v2, v6, v2
	v_cndmask_b32_e64 v8, v8, v6, s12
	s_delay_alu instid0(VALU_DEP_2)
	v_lshl_add_u32 v2, v2, 3, v16
	ds_load_b64 v[2:3], v2
	s_waitcnt lgkmcnt(0)
	v_cndmask_b32_e64 v10, v3, v5, s12
	v_cndmask_b32_e64 v11, v2, v4, s12
	;; [unrolled: 1-line block ×4, first 2 shown]
	v_cmpx_lt_u32_e64 v9, v15
	s_cbranch_execz .LBB512_212
; %bb.202:
	s_mov_b32 s0, 0
	s_mov_b32 s19, exec_lo
	v_cmpx_lt_u32_e64 v8, v14
	s_cbranch_execz .LBB512_211
; %bb.203:
	s_and_not1_b32 vcc_lo, exec_lo, s7
	s_cbranch_vccnz .LBB512_209
; %bb.204:
	v_mul_lo_u32 v22, v10, s8
	v_mul_lo_u32 v23, v11, s9
	v_mad_u64_u32 v[2:3], null, v11, s8, 0
	v_mul_lo_u32 v24, v20, s8
	v_mul_lo_u32 v25, v21, s9
	v_mad_u64_u32 v[6:7], null, v21, s8, 0
	s_mov_b32 s23, 0
	s_mov_b64 s[20:21], s[8:9]
	s_delay_alu instid0(VALU_DEP_4) | instskip(NEXT) | instid1(VALU_DEP_2)
	v_add3_u32 v3, v3, v23, v22
                                        ; implicit-def: $sgpr24
                                        ; implicit-def: $sgpr25
                                        ; implicit-def: $sgpr26
                                        ; implicit-def: $sgpr27
                                        ; implicit-def: $sgpr28
	v_add3_u32 v7, v7, v25, v24
	s_delay_alu instid0(VALU_DEP_2) | instskip(NEXT) | instid1(VALU_DEP_2)
	v_lshlrev_b64 v[2:3], 3, v[2:3]
	v_lshlrev_b64 v[6:7], 3, v[6:7]
	s_delay_alu instid0(VALU_DEP_2) | instskip(NEXT) | instid1(VALU_DEP_3)
	v_add_co_u32 v2, vcc_lo, s10, v2
	v_add_co_ci_u32_e32 v3, vcc_lo, s11, v3, vcc_lo
	s_delay_alu instid0(VALU_DEP_3) | instskip(NEXT) | instid1(VALU_DEP_4)
	v_add_co_u32 v6, vcc_lo, s10, v6
	v_add_co_ci_u32_e32 v7, vcc_lo, s11, v7, vcc_lo
	s_set_inst_prefetch_distance 0x1
	s_branch .LBB512_206
	.p2align	6
.LBB512_205:                            ;   in Loop: Header=BB512_206 Depth=1
	s_or_b32 exec_lo, exec_lo, s0
	s_delay_alu instid0(SALU_CYCLE_1) | instskip(NEXT) | instid1(SALU_CYCLE_1)
	s_and_b32 s0, exec_lo, s25
	s_or_b32 s23, s0, s23
	s_and_not1_b32 s0, s28, exec_lo
	s_and_b32 s28, s27, exec_lo
	s_and_not1_b32 s24, s24, exec_lo
	s_and_b32 s29, s26, exec_lo
	s_or_b32 s28, s0, s28
	s_or_b32 s24, s24, s29
	s_and_not1_b32 exec_lo, exec_lo, s23
	s_cbranch_execz .LBB512_208
.LBB512_206:                            ; =>This Inner Loop Header: Depth=1
	global_load_b64 v[22:23], v[2:3], off
	global_load_b64 v[24:25], v[6:7], off
	s_and_not1_b32 s26, s26, exec_lo
	s_and_not1_b32 s27, s27, exec_lo
	s_or_b32 s25, s25, exec_lo
	s_waitcnt vmcnt(0)
	v_cmp_le_i64_e32 vcc_lo, v[22:23], v[24:25]
	v_cmp_lt_i64_e64 s0, v[22:23], v[24:25]
	s_and_b32 s29, vcc_lo, s28
	s_delay_alu instid0(VALU_DEP_1) | instid1(SALU_CYCLE_1)
	s_or_b32 s29, s0, s29
	s_delay_alu instid0(SALU_CYCLE_1) | instskip(NEXT) | instid1(SALU_CYCLE_1)
	s_and_b32 s0, s29, exec_lo
	s_or_b32 s26, s26, s0
	s_mov_b32 s0, exec_lo
	v_cmpx_eq_u64_e64 v[22:23], v[24:25]
	s_cbranch_execz .LBB512_205
; %bb.207:                              ;   in Loop: Header=BB512_206 Depth=1
	s_add_u32 s20, s20, -1
	s_addc_u32 s21, s21, -1
	v_add_co_u32 v2, vcc_lo, v2, 8
	s_cmp_eq_u64 s[20:21], 0
	v_add_co_ci_u32_e32 v3, vcc_lo, 0, v3, vcc_lo
	v_add_co_u32 v6, vcc_lo, v6, 8
	s_cselect_b32 s28, -1, 0
	v_add_co_ci_u32_e32 v7, vcc_lo, 0, v7, vcc_lo
	s_and_not1_b32 s27, s27, exec_lo
	s_and_b32 s29, s29, exec_lo
	s_and_not1_b32 s25, s25, exec_lo
	s_and_b32 s28, s28, exec_lo
	s_or_b32 s27, s27, s29
	s_and_not1_b32 s26, s26, exec_lo
	s_or_b32 s25, s25, s28
                                        ; implicit-def: $sgpr28
	s_branch .LBB512_205
.LBB512_208:
	s_set_inst_prefetch_distance 0x2
	s_or_b32 exec_lo, exec_lo, s23
	s_xor_b32 s0, s24, -1
	s_branch .LBB512_210
.LBB512_209:
	s_mov_b32 s0, -1
.LBB512_210:
	s_delay_alu instid0(SALU_CYCLE_1)
	s_and_b32 s0, s0, exec_lo
.LBB512_211:
	s_or_b32 exec_lo, exec_lo, s19
	s_delay_alu instid0(SALU_CYCLE_1)
	s_or_not1_b32 s19, s0, exec_lo
.LBB512_212:
	s_or_b32 exec_lo, exec_lo, s22
	v_cndmask_b32_e64 v2, v9, v8, s19
	v_cndmask_b32_e64 v3, v15, v14, s19
	s_mov_b32 s0, -1
	s_mov_b32 s22, exec_lo
	s_delay_alu instid0(VALU_DEP_2) | instskip(NEXT) | instid1(VALU_DEP_2)
	v_add_nc_u32_e32 v6, 1, v2
	v_add_nc_u32_e32 v2, -1, v3
	s_delay_alu instid0(VALU_DEP_2) | instskip(NEXT) | instid1(VALU_DEP_2)
	v_cndmask_b32_e64 v25, v6, v9, s19
	v_min_u32_e32 v2, v6, v2
	v_cndmask_b32_e64 v22, v8, v6, s19
	s_delay_alu instid0(VALU_DEP_2)
	v_lshl_add_u32 v2, v2, 3, v16
	ds_load_b64 v[2:3], v2
	s_waitcnt lgkmcnt(0)
	v_cndmask_b32_e64 v23, v3, v10, s19
	v_cndmask_b32_e64 v24, v2, v11, s19
	;; [unrolled: 1-line block ×4, first 2 shown]
	v_cmpx_lt_u32_e64 v25, v15
	s_cbranch_execz .LBB512_223
; %bb.213:
	s_mov_b32 s0, 0
	s_mov_b32 s23, exec_lo
	v_cmpx_lt_u32_e64 v22, v14
	s_cbranch_execz .LBB512_222
; %bb.214:
	s_and_not1_b32 vcc_lo, exec_lo, s7
	s_cbranch_vccnz .LBB512_220
; %bb.215:
	v_mul_lo_u32 v8, v23, s8
	v_mul_lo_u32 v9, v24, s9
	v_mad_u64_u32 v[2:3], null, v24, s8, 0
	v_mul_lo_u32 v42, v40, s8
	v_mul_lo_u32 v43, v41, s9
	v_mad_u64_u32 v[6:7], null, v41, s8, 0
	s_mov_b32 s24, 0
	s_mov_b64 s[20:21], s[8:9]
	s_delay_alu instid0(VALU_DEP_4) | instskip(NEXT) | instid1(VALU_DEP_2)
	v_add3_u32 v3, v3, v9, v8
                                        ; implicit-def: $sgpr25
                                        ; implicit-def: $sgpr26
                                        ; implicit-def: $sgpr27
                                        ; implicit-def: $sgpr28
                                        ; implicit-def: $sgpr29
	v_add3_u32 v7, v7, v43, v42
	s_delay_alu instid0(VALU_DEP_2) | instskip(NEXT) | instid1(VALU_DEP_2)
	v_lshlrev_b64 v[2:3], 3, v[2:3]
	v_lshlrev_b64 v[6:7], 3, v[6:7]
	s_delay_alu instid0(VALU_DEP_2) | instskip(NEXT) | instid1(VALU_DEP_3)
	v_add_co_u32 v2, vcc_lo, s10, v2
	v_add_co_ci_u32_e32 v3, vcc_lo, s11, v3, vcc_lo
	s_delay_alu instid0(VALU_DEP_3) | instskip(NEXT) | instid1(VALU_DEP_4)
	v_add_co_u32 v6, vcc_lo, s10, v6
	v_add_co_ci_u32_e32 v7, vcc_lo, s11, v7, vcc_lo
	s_set_inst_prefetch_distance 0x1
	s_branch .LBB512_217
	.p2align	6
.LBB512_216:                            ;   in Loop: Header=BB512_217 Depth=1
	s_or_b32 exec_lo, exec_lo, s0
	s_delay_alu instid0(SALU_CYCLE_1) | instskip(NEXT) | instid1(SALU_CYCLE_1)
	s_and_b32 s0, exec_lo, s26
	s_or_b32 s24, s0, s24
	s_and_not1_b32 s0, s29, exec_lo
	s_and_b32 s29, s28, exec_lo
	s_and_not1_b32 s25, s25, exec_lo
	s_and_b32 s30, s27, exec_lo
	s_or_b32 s29, s0, s29
	s_or_b32 s25, s25, s30
	s_and_not1_b32 exec_lo, exec_lo, s24
	s_cbranch_execz .LBB512_219
.LBB512_217:                            ; =>This Inner Loop Header: Depth=1
	global_load_b64 v[8:9], v[2:3], off
	global_load_b64 v[42:43], v[6:7], off
	s_and_not1_b32 s27, s27, exec_lo
	s_and_not1_b32 s28, s28, exec_lo
	s_or_b32 s26, s26, exec_lo
	s_waitcnt vmcnt(0)
	v_cmp_le_i64_e32 vcc_lo, v[8:9], v[42:43]
	v_cmp_lt_i64_e64 s0, v[8:9], v[42:43]
	s_and_b32 s30, vcc_lo, s29
	s_delay_alu instid0(VALU_DEP_1) | instid1(SALU_CYCLE_1)
	s_or_b32 s30, s0, s30
	s_delay_alu instid0(SALU_CYCLE_1) | instskip(NEXT) | instid1(SALU_CYCLE_1)
	s_and_b32 s0, s30, exec_lo
	s_or_b32 s27, s27, s0
	s_mov_b32 s0, exec_lo
	v_cmpx_eq_u64_e64 v[8:9], v[42:43]
	s_cbranch_execz .LBB512_216
; %bb.218:                              ;   in Loop: Header=BB512_217 Depth=1
	s_add_u32 s20, s20, -1
	s_addc_u32 s21, s21, -1
	v_add_co_u32 v2, vcc_lo, v2, 8
	s_cmp_eq_u64 s[20:21], 0
	v_add_co_ci_u32_e32 v3, vcc_lo, 0, v3, vcc_lo
	v_add_co_u32 v6, vcc_lo, v6, 8
	s_cselect_b32 s29, -1, 0
	v_add_co_ci_u32_e32 v7, vcc_lo, 0, v7, vcc_lo
	s_and_not1_b32 s28, s28, exec_lo
	s_and_b32 s30, s30, exec_lo
	s_and_not1_b32 s26, s26, exec_lo
	s_and_b32 s29, s29, exec_lo
	s_or_b32 s28, s28, s30
	s_and_not1_b32 s27, s27, exec_lo
	s_or_b32 s26, s26, s29
                                        ; implicit-def: $sgpr29
	s_branch .LBB512_216
.LBB512_219:
	s_set_inst_prefetch_distance 0x2
	s_or_b32 exec_lo, exec_lo, s24
	s_xor_b32 s0, s25, -1
	s_branch .LBB512_221
.LBB512_220:
	s_mov_b32 s0, -1
.LBB512_221:
	s_delay_alu instid0(SALU_CYCLE_1)
	s_and_b32 s0, s0, exec_lo
.LBB512_222:
	s_or_b32 exec_lo, exec_lo, s23
	s_delay_alu instid0(SALU_CYCLE_1)
	s_or_not1_b32 s0, s0, exec_lo
.LBB512_223:
	s_or_b32 exec_lo, exec_lo, s22
	v_cndmask_b32_e64 v2, v25, v22, s0
	v_cndmask_b32_e64 v3, v15, v14, s0
	;; [unrolled: 1-line block ×5, first 2 shown]
	v_add_nc_u32_e32 v42, 1, v2
	v_add_nc_u32_e32 v2, -1, v3
	v_cndmask_b32_e64 v3, v10, v20, s19
	v_cndmask_b32_e64 v4, v24, v41, s0
	s_mov_b32 s12, exec_lo
	v_cndmask_b32_e64 v10, v42, v25, s0
	v_min_u32_e32 v2, v42, v2
	s_delay_alu instid0(VALU_DEP_1)
	v_lshl_add_u32 v2, v2, 3, v16
	ds_load_b64 v[8:9], v2
	v_cndmask_b32_e64 v2, v11, v21, s19
	s_waitcnt lgkmcnt(0)
	v_cndmask_b32_e64 v7, v40, v9, s0
	v_cndmask_b32_e64 v6, v41, v8, s0
	v_cmpx_lt_u32_e64 v10, v15
	s_cbranch_execz .LBB512_233
; %bb.224:
	v_cndmask_b32_e64 v10, v22, v42, s0
	v_cndmask_b32_e64 v9, v9, v23, s0
	;; [unrolled: 1-line block ×3, first 2 shown]
	s_mov_b32 s19, exec_lo
	s_delay_alu instid0(VALU_DEP_3)
	v_cmpx_lt_u32_e64 v10, v14
	s_cbranch_execz .LBB512_232
; %bb.225:
	s_and_not1_b32 vcc_lo, exec_lo, s7
	s_cbranch_vccnz .LBB512_231
; %bb.226:
	v_mul_lo_u32 v20, v9, s8
	v_mul_lo_u32 v21, v8, s9
	v_mad_u64_u32 v[10:11], null, v8, s8, 0
	v_mul_lo_u32 v22, v7, s8
	v_mul_lo_u32 v23, v6, s9
	v_mad_u64_u32 v[14:15], null, v6, s8, 0
	s_mov_b32 s22, 0
	s_mov_b64 s[20:21], s[8:9]
	s_delay_alu instid0(VALU_DEP_4) | instskip(NEXT) | instid1(VALU_DEP_2)
	v_add3_u32 v11, v11, v21, v20
                                        ; implicit-def: $sgpr23
                                        ; implicit-def: $sgpr24
                                        ; implicit-def: $sgpr25
                                        ; implicit-def: $sgpr26
                                        ; implicit-def: $sgpr27
	v_add3_u32 v15, v15, v23, v22
	s_delay_alu instid0(VALU_DEP_2) | instskip(NEXT) | instid1(VALU_DEP_2)
	v_lshlrev_b64 v[10:11], 3, v[10:11]
	v_lshlrev_b64 v[14:15], 3, v[14:15]
	s_delay_alu instid0(VALU_DEP_2) | instskip(NEXT) | instid1(VALU_DEP_3)
	v_add_co_u32 v10, vcc_lo, s10, v10
	v_add_co_ci_u32_e32 v11, vcc_lo, s11, v11, vcc_lo
	s_delay_alu instid0(VALU_DEP_3) | instskip(NEXT) | instid1(VALU_DEP_4)
	v_add_co_u32 v14, vcc_lo, s10, v14
	v_add_co_ci_u32_e32 v15, vcc_lo, s11, v15, vcc_lo
	s_set_inst_prefetch_distance 0x1
	s_branch .LBB512_228
	.p2align	6
.LBB512_227:                            ;   in Loop: Header=BB512_228 Depth=1
	s_or_b32 exec_lo, exec_lo, s0
	s_delay_alu instid0(SALU_CYCLE_1) | instskip(NEXT) | instid1(SALU_CYCLE_1)
	s_and_b32 s0, exec_lo, s24
	s_or_b32 s22, s0, s22
	s_and_not1_b32 s0, s27, exec_lo
	s_and_b32 s27, s26, exec_lo
	s_and_not1_b32 s23, s23, exec_lo
	s_and_b32 s28, s25, exec_lo
	s_or_b32 s27, s0, s27
	s_or_b32 s23, s23, s28
	s_and_not1_b32 exec_lo, exec_lo, s22
	s_cbranch_execz .LBB512_230
.LBB512_228:                            ; =>This Inner Loop Header: Depth=1
	global_load_b64 v[20:21], v[10:11], off
	global_load_b64 v[22:23], v[14:15], off
	s_and_not1_b32 s25, s25, exec_lo
	s_and_not1_b32 s26, s26, exec_lo
	s_or_b32 s24, s24, exec_lo
	s_waitcnt vmcnt(0)
	v_cmp_le_i64_e32 vcc_lo, v[20:21], v[22:23]
	v_cmp_lt_i64_e64 s0, v[20:21], v[22:23]
	s_and_b32 s28, vcc_lo, s27
	s_delay_alu instid0(VALU_DEP_1) | instid1(SALU_CYCLE_1)
	s_or_b32 s28, s0, s28
	s_delay_alu instid0(SALU_CYCLE_1) | instskip(NEXT) | instid1(SALU_CYCLE_1)
	s_and_b32 s0, s28, exec_lo
	s_or_b32 s25, s25, s0
	s_mov_b32 s0, exec_lo
	v_cmpx_eq_u64_e64 v[20:21], v[22:23]
	s_cbranch_execz .LBB512_227
; %bb.229:                              ;   in Loop: Header=BB512_228 Depth=1
	s_add_u32 s20, s20, -1
	s_addc_u32 s21, s21, -1
	v_add_co_u32 v10, vcc_lo, v10, 8
	s_cmp_eq_u64 s[20:21], 0
	v_add_co_ci_u32_e32 v11, vcc_lo, 0, v11, vcc_lo
	v_add_co_u32 v14, vcc_lo, v14, 8
	s_cselect_b32 s27, -1, 0
	v_add_co_ci_u32_e32 v15, vcc_lo, 0, v15, vcc_lo
	s_and_not1_b32 s26, s26, exec_lo
	s_and_b32 s28, s28, exec_lo
	s_and_not1_b32 s24, s24, exec_lo
	s_and_b32 s27, s27, exec_lo
	s_or_b32 s26, s26, s28
	s_and_not1_b32 s25, s25, exec_lo
	s_or_b32 s24, s24, s27
                                        ; implicit-def: $sgpr27
	s_branch .LBB512_227
.LBB512_230:
	s_set_inst_prefetch_distance 0x2
	s_or_b32 exec_lo, exec_lo, s22
	v_cndmask_b32_e64 v7, v7, v9, s23
	v_cndmask_b32_e64 v6, v6, v8, s23
.LBB512_231:
	s_delay_alu instid0(VALU_DEP_1)
	v_dual_mov_b32 v9, v7 :: v_dual_mov_b32 v8, v6
.LBB512_232:
	s_or_b32 exec_lo, exec_lo, s19
	s_delay_alu instid0(VALU_DEP_1)
	v_dual_mov_b32 v6, v8 :: v_dual_mov_b32 v7, v9
.LBB512_233:
	s_or_b32 exec_lo, exec_lo, s12
.LBB512_234:
	s_delay_alu instid0(SALU_CYCLE_1) | instskip(SKIP_3) | instid1(VALU_DEP_2)
	s_or_b32 exec_lo, exec_lo, s1
	v_and_b32_e32 v20, 64, v18
	v_and_b32_e32 v9, 60, v18
	s_mov_b32 s1, exec_lo
	; wave barrier
	v_or_b32_e32 v8, 32, v20
	s_delay_alu instid0(VALU_DEP_2) | instskip(SKIP_4) | instid1(VALU_DEP_1)
	v_min_u32_e32 v21, v17, v9
	v_lshl_add_u32 v18, v20, 3, v16
	ds_store_b128 v19, v[0:3]
	ds_store_b128 v19, v[4:7] offset:16
	v_min_u32_e32 v14, v17, v8
	; wave barrier
	v_add_nc_u32_e32 v8, 32, v14
	v_sub_nc_u32_e32 v9, v14, v20
	s_delay_alu instid0(VALU_DEP_2) | instskip(NEXT) | instid1(VALU_DEP_2)
	v_min_u32_e32 v15, v17, v8
	v_min_u32_e32 v22, v21, v9
	s_delay_alu instid0(VALU_DEP_2) | instskip(NEXT) | instid1(VALU_DEP_1)
	v_sub_nc_u32_e32 v8, v15, v14
	v_sub_nc_u32_e64 v17, v21, v8 clamp
	s_delay_alu instid0(VALU_DEP_1)
	v_cmpx_lt_u32_e64 v17, v22
	s_cbranch_execz .LBB512_244
; %bb.235:
	v_lshlrev_b32_e32 v8, 3, v14
	v_lshlrev_b32_e32 v9, 3, v21
	s_lshl_b64 s[20:21], s[8:9], 3
	s_mov_b32 s12, 0
	s_delay_alu instid0(VALU_DEP_1)
	v_add3_u32 v19, v16, v8, v9
	s_branch .LBB512_238
.LBB512_236:                            ;   in Loop: Header=BB512_238 Depth=1
	s_set_inst_prefetch_distance 0x2
	s_or_b32 exec_lo, exec_lo, s19
.LBB512_237:                            ;   in Loop: Header=BB512_238 Depth=1
	s_delay_alu instid0(VALU_DEP_1) | instskip(SKIP_1) | instid1(VALU_DEP_2)
	v_add_nc_u32_e32 v8, 1, v23
	v_cndmask_b32_e64 v22, v22, v23, s24
	v_cndmask_b32_e64 v17, v8, v17, s24
	s_delay_alu instid0(VALU_DEP_1) | instskip(SKIP_1) | instid1(SALU_CYCLE_1)
	v_cmp_ge_u32_e32 vcc_lo, v17, v22
	s_or_b32 s12, vcc_lo, s12
	s_and_not1_b32 exec_lo, exec_lo, s12
	s_cbranch_execz .LBB512_243
.LBB512_238:                            ; =>This Loop Header: Depth=1
                                        ;     Child Loop BB512_241 Depth 2
	v_add_nc_u32_e32 v8, v22, v17
	s_and_not1_b32 vcc_lo, exec_lo, s7
	s_mov_b32 s24, 0
	s_delay_alu instid0(VALU_DEP_1)
	v_lshrrev_b32_e32 v23, 1, v8
	s_cbranch_vccnz .LBB512_237
; %bb.239:                              ;   in Loop: Header=BB512_238 Depth=1
	s_delay_alu instid0(VALU_DEP_1) | instskip(SKIP_3) | instid1(VALU_DEP_2)
	v_not_b32_e32 v8, v23
	v_lshl_add_u32 v9, v23, 3, v18
	s_mov_b32 s19, 0
	s_mov_b64 s[22:23], s[8:9]
                                        ; implicit-def: $sgpr24
                                        ; implicit-def: $sgpr25
                                        ; implicit-def: $sgpr26
                                        ; implicit-def: $sgpr27
                                        ; implicit-def: $sgpr28
	v_lshl_add_u32 v8, v8, 3, v19
	ds_load_b64 v[10:11], v8
	ds_load_b64 v[24:25], v9
	s_waitcnt lgkmcnt(1)
	v_mul_lo_u32 v40, s20, v11
	v_mul_lo_u32 v41, s21, v10
	v_mad_u64_u32 v[8:9], null, s20, v10, s[10:11]
	s_waitcnt lgkmcnt(0)
	v_mul_lo_u32 v25, s20, v25
	v_mul_lo_u32 v42, s21, v24
	v_mad_u64_u32 v[10:11], null, s20, v24, s[10:11]
	s_delay_alu instid0(VALU_DEP_4) | instskip(NEXT) | instid1(VALU_DEP_2)
	v_add3_u32 v9, v41, v9, v40
	v_add3_u32 v11, v42, v11, v25
	s_set_inst_prefetch_distance 0x1
	s_branch .LBB512_241
	.p2align	6
.LBB512_240:                            ;   in Loop: Header=BB512_241 Depth=2
	s_or_b32 exec_lo, exec_lo, s29
	s_delay_alu instid0(SALU_CYCLE_1) | instskip(NEXT) | instid1(SALU_CYCLE_1)
	s_and_b32 s0, exec_lo, s25
	s_or_b32 s19, s0, s19
	s_and_not1_b32 s0, s28, exec_lo
	s_and_b32 s28, s26, exec_lo
	s_and_not1_b32 s24, s24, exec_lo
	s_and_b32 s29, s27, exec_lo
	s_or_b32 s28, s0, s28
	s_or_b32 s24, s24, s29
	s_and_not1_b32 exec_lo, exec_lo, s19
	s_cbranch_execz .LBB512_236
.LBB512_241:                            ;   Parent Loop BB512_238 Depth=1
                                        ; =>  This Inner Loop Header: Depth=2
	global_load_b64 v[24:25], v[8:9], off
	global_load_b64 v[40:41], v[10:11], off
	s_and_not1_b32 s27, s27, exec_lo
	s_and_not1_b32 s26, s26, exec_lo
	s_or_b32 s25, s25, exec_lo
	s_waitcnt vmcnt(0)
	v_cmp_le_i64_e32 vcc_lo, v[24:25], v[40:41]
	v_cmp_lt_i64_e64 s0, v[24:25], v[40:41]
	s_and_b32 s29, vcc_lo, s28
	s_delay_alu instid0(VALU_DEP_1) | instid1(SALU_CYCLE_1)
	s_or_b32 s0, s0, s29
	s_delay_alu instid0(SALU_CYCLE_1) | instskip(NEXT) | instid1(SALU_CYCLE_1)
	s_and_b32 s29, s0, exec_lo
	s_or_b32 s27, s27, s29
	s_mov_b32 s29, exec_lo
	v_cmpx_eq_u64_e64 v[24:25], v[40:41]
	s_cbranch_execz .LBB512_240
; %bb.242:                              ;   in Loop: Header=BB512_241 Depth=2
	s_add_u32 s22, s22, -1
	s_addc_u32 s23, s23, -1
	v_add_co_u32 v8, vcc_lo, v8, 8
	v_add_co_ci_u32_e32 v9, vcc_lo, 0, v9, vcc_lo
	s_cmp_eq_u64 s[22:23], 0
	v_add_co_u32 v10, vcc_lo, v10, 8
	s_cselect_b32 s28, -1, 0
	v_add_co_ci_u32_e32 v11, vcc_lo, 0, v11, vcc_lo
	s_and_not1_b32 s26, s26, exec_lo
	s_and_b32 s0, s0, exec_lo
	s_and_not1_b32 s25, s25, exec_lo
	s_and_b32 s28, s28, exec_lo
	s_and_not1_b32 s27, s27, exec_lo
	s_or_b32 s26, s26, s0
	s_or_b32 s25, s25, s28
                                        ; implicit-def: $sgpr28
	s_branch .LBB512_240
.LBB512_243:
	s_or_b32 exec_lo, exec_lo, s12
.LBB512_244:
	s_delay_alu instid0(SALU_CYCLE_1) | instskip(SKIP_2) | instid1(VALU_DEP_2)
	s_or_b32 exec_lo, exec_lo, s1
	v_add_nc_u32_e32 v9, v14, v21
	v_add_nc_u32_e32 v8, v17, v20
	v_sub_nc_u32_e32 v9, v9, v17
	s_delay_alu instid0(VALU_DEP_2) | instskip(NEXT) | instid1(VALU_DEP_2)
	v_cmp_le_u32_e32 vcc_lo, v8, v14
	v_cmp_le_u32_e64 s0, v9, v15
	s_delay_alu instid0(VALU_DEP_1) | instskip(NEXT) | instid1(SALU_CYCLE_1)
	s_or_b32 s0, vcc_lo, s0
	s_and_saveexec_b32 s1, s0
	s_cbranch_execz .LBB512_291
; %bb.245:
	v_cmp_ge_u32_e32 vcc_lo, v8, v14
	s_mov_b32 s12, exec_lo
                                        ; implicit-def: $vgpr0_vgpr1
	v_cmpx_lt_u32_e64 v8, v14
	s_cbranch_execz .LBB512_247
; %bb.246:
	v_lshl_add_u32 v0, v17, 3, v18
	ds_load_b64 v[0:1], v0
.LBB512_247:
	s_or_b32 exec_lo, exec_lo, s12
	v_cmp_ge_u32_e64 s12, v9, v15
	s_mov_b32 s19, exec_lo
                                        ; implicit-def: $vgpr4_vgpr5
	v_cmpx_lt_u32_e64 v9, v15
	s_cbranch_execz .LBB512_249
; %bb.248:
	v_lshl_add_u32 v2, v9, 3, v16
	ds_load_b64 v[4:5], v2
.LBB512_249:
	s_or_b32 exec_lo, exec_lo, s19
	s_or_b32 s0, vcc_lo, s12
	s_mov_b32 s19, -1
	s_xor_b32 s0, s0, -1
	s_delay_alu instid0(SALU_CYCLE_1)
	s_and_saveexec_b32 s22, s0
	s_cbranch_execz .LBB512_258
; %bb.250:
	s_and_not1_b32 vcc_lo, exec_lo, s7
	s_cbranch_vccnz .LBB512_256
; %bb.251:
	s_waitcnt lgkmcnt(0)
	v_mul_lo_u32 v10, v5, s8
	v_mul_lo_u32 v11, v4, s9
	v_mad_u64_u32 v[2:3], null, v4, s8, 0
	v_mul_lo_u32 v17, v1, s8
	v_mul_lo_u32 v18, v0, s9
	v_mad_u64_u32 v[6:7], null, v0, s8, 0
	s_mov_b32 s23, 0
	s_mov_b64 s[20:21], s[8:9]
	s_delay_alu instid0(VALU_DEP_4) | instskip(NEXT) | instid1(VALU_DEP_2)
	v_add3_u32 v3, v3, v11, v10
                                        ; implicit-def: $sgpr24
                                        ; implicit-def: $sgpr25
                                        ; implicit-def: $sgpr26
                                        ; implicit-def: $sgpr27
                                        ; implicit-def: $sgpr28
	v_add3_u32 v7, v7, v18, v17
	s_delay_alu instid0(VALU_DEP_2) | instskip(NEXT) | instid1(VALU_DEP_2)
	v_lshlrev_b64 v[2:3], 3, v[2:3]
	v_lshlrev_b64 v[6:7], 3, v[6:7]
	s_delay_alu instid0(VALU_DEP_2) | instskip(NEXT) | instid1(VALU_DEP_3)
	v_add_co_u32 v2, vcc_lo, s10, v2
	v_add_co_ci_u32_e32 v3, vcc_lo, s11, v3, vcc_lo
	s_delay_alu instid0(VALU_DEP_3) | instskip(NEXT) | instid1(VALU_DEP_4)
	v_add_co_u32 v6, vcc_lo, s10, v6
	v_add_co_ci_u32_e32 v7, vcc_lo, s11, v7, vcc_lo
	s_set_inst_prefetch_distance 0x1
	s_branch .LBB512_253
	.p2align	6
.LBB512_252:                            ;   in Loop: Header=BB512_253 Depth=1
	s_or_b32 exec_lo, exec_lo, s0
	s_delay_alu instid0(SALU_CYCLE_1) | instskip(NEXT) | instid1(SALU_CYCLE_1)
	s_and_b32 s0, exec_lo, s25
	s_or_b32 s23, s0, s23
	s_and_not1_b32 s0, s28, exec_lo
	s_and_b32 s28, s27, exec_lo
	s_and_not1_b32 s24, s24, exec_lo
	s_and_b32 s29, s26, exec_lo
	s_or_b32 s28, s0, s28
	s_or_b32 s24, s24, s29
	s_and_not1_b32 exec_lo, exec_lo, s23
	s_cbranch_execz .LBB512_255
.LBB512_253:                            ; =>This Inner Loop Header: Depth=1
	global_load_b64 v[10:11], v[2:3], off
	global_load_b64 v[17:18], v[6:7], off
	s_and_not1_b32 s26, s26, exec_lo
	s_and_not1_b32 s27, s27, exec_lo
	s_or_b32 s25, s25, exec_lo
	s_waitcnt vmcnt(0)
	v_cmp_le_i64_e32 vcc_lo, v[10:11], v[17:18]
	v_cmp_lt_i64_e64 s0, v[10:11], v[17:18]
	s_and_b32 s29, vcc_lo, s28
	s_delay_alu instid0(VALU_DEP_1) | instid1(SALU_CYCLE_1)
	s_or_b32 s29, s0, s29
	s_delay_alu instid0(SALU_CYCLE_1) | instskip(NEXT) | instid1(SALU_CYCLE_1)
	s_and_b32 s0, s29, exec_lo
	s_or_b32 s26, s26, s0
	s_mov_b32 s0, exec_lo
	v_cmpx_eq_u64_e64 v[10:11], v[17:18]
	s_cbranch_execz .LBB512_252
; %bb.254:                              ;   in Loop: Header=BB512_253 Depth=1
	s_add_u32 s20, s20, -1
	s_addc_u32 s21, s21, -1
	v_add_co_u32 v2, vcc_lo, v2, 8
	s_cmp_eq_u64 s[20:21], 0
	v_add_co_ci_u32_e32 v3, vcc_lo, 0, v3, vcc_lo
	v_add_co_u32 v6, vcc_lo, v6, 8
	s_cselect_b32 s28, -1, 0
	v_add_co_ci_u32_e32 v7, vcc_lo, 0, v7, vcc_lo
	s_and_not1_b32 s27, s27, exec_lo
	s_and_b32 s29, s29, exec_lo
	s_and_not1_b32 s25, s25, exec_lo
	s_and_b32 s28, s28, exec_lo
	s_or_b32 s27, s27, s29
	s_and_not1_b32 s26, s26, exec_lo
	s_or_b32 s25, s25, s28
                                        ; implicit-def: $sgpr28
	s_branch .LBB512_252
.LBB512_255:
	s_set_inst_prefetch_distance 0x2
	s_or_b32 exec_lo, exec_lo, s23
	s_xor_b32 s0, s24, -1
	s_branch .LBB512_257
.LBB512_256:
	s_mov_b32 s0, -1
.LBB512_257:
	s_and_not1_b32 s12, s12, exec_lo
	s_and_b32 s0, s0, exec_lo
	s_delay_alu instid0(SALU_CYCLE_1)
	s_or_b32 s12, s12, s0
.LBB512_258:
	s_or_b32 exec_lo, exec_lo, s22
	v_cndmask_b32_e64 v2, v9, v8, s12
	v_cndmask_b32_e64 v3, v15, v14, s12
	s_mov_b32 s22, exec_lo
	s_delay_alu instid0(VALU_DEP_2) | instskip(NEXT) | instid1(VALU_DEP_2)
	v_add_nc_u32_e32 v6, 1, v2
	v_add_nc_u32_e32 v2, -1, v3
	s_delay_alu instid0(VALU_DEP_2) | instskip(NEXT) | instid1(VALU_DEP_2)
	v_cndmask_b32_e64 v9, v6, v9, s12
	v_min_u32_e32 v2, v6, v2
	v_cndmask_b32_e64 v8, v8, v6, s12
	s_delay_alu instid0(VALU_DEP_2)
	v_lshl_add_u32 v2, v2, 3, v16
	ds_load_b64 v[2:3], v2
	s_waitcnt lgkmcnt(0)
	v_cndmask_b32_e64 v10, v3, v5, s12
	v_cndmask_b32_e64 v11, v2, v4, s12
	;; [unrolled: 1-line block ×4, first 2 shown]
	v_cmpx_lt_u32_e64 v9, v15
	s_cbranch_execz .LBB512_269
; %bb.259:
	s_mov_b32 s0, 0
	s_mov_b32 s19, exec_lo
	v_cmpx_lt_u32_e64 v8, v14
	s_cbranch_execz .LBB512_268
; %bb.260:
	s_and_not1_b32 vcc_lo, exec_lo, s7
	s_cbranch_vccnz .LBB512_266
; %bb.261:
	v_mul_lo_u32 v19, v10, s8
	v_mul_lo_u32 v20, v11, s9
	v_mad_u64_u32 v[2:3], null, v11, s8, 0
	v_mul_lo_u32 v21, v17, s8
	v_mul_lo_u32 v22, v18, s9
	v_mad_u64_u32 v[6:7], null, v18, s8, 0
	s_mov_b32 s23, 0
	s_mov_b64 s[20:21], s[8:9]
	s_delay_alu instid0(VALU_DEP_4) | instskip(NEXT) | instid1(VALU_DEP_2)
	v_add3_u32 v3, v3, v20, v19
                                        ; implicit-def: $sgpr24
                                        ; implicit-def: $sgpr25
                                        ; implicit-def: $sgpr26
                                        ; implicit-def: $sgpr27
                                        ; implicit-def: $sgpr28
	v_add3_u32 v7, v7, v22, v21
	s_delay_alu instid0(VALU_DEP_2) | instskip(NEXT) | instid1(VALU_DEP_2)
	v_lshlrev_b64 v[2:3], 3, v[2:3]
	v_lshlrev_b64 v[6:7], 3, v[6:7]
	s_delay_alu instid0(VALU_DEP_2) | instskip(NEXT) | instid1(VALU_DEP_3)
	v_add_co_u32 v2, vcc_lo, s10, v2
	v_add_co_ci_u32_e32 v3, vcc_lo, s11, v3, vcc_lo
	s_delay_alu instid0(VALU_DEP_3) | instskip(NEXT) | instid1(VALU_DEP_4)
	v_add_co_u32 v6, vcc_lo, s10, v6
	v_add_co_ci_u32_e32 v7, vcc_lo, s11, v7, vcc_lo
	s_set_inst_prefetch_distance 0x1
	s_branch .LBB512_263
	.p2align	6
.LBB512_262:                            ;   in Loop: Header=BB512_263 Depth=1
	s_or_b32 exec_lo, exec_lo, s0
	s_delay_alu instid0(SALU_CYCLE_1) | instskip(NEXT) | instid1(SALU_CYCLE_1)
	s_and_b32 s0, exec_lo, s25
	s_or_b32 s23, s0, s23
	s_and_not1_b32 s0, s28, exec_lo
	s_and_b32 s28, s27, exec_lo
	s_and_not1_b32 s24, s24, exec_lo
	s_and_b32 s29, s26, exec_lo
	s_or_b32 s28, s0, s28
	s_or_b32 s24, s24, s29
	s_and_not1_b32 exec_lo, exec_lo, s23
	s_cbranch_execz .LBB512_265
.LBB512_263:                            ; =>This Inner Loop Header: Depth=1
	global_load_b64 v[19:20], v[2:3], off
	global_load_b64 v[21:22], v[6:7], off
	s_and_not1_b32 s26, s26, exec_lo
	s_and_not1_b32 s27, s27, exec_lo
	s_or_b32 s25, s25, exec_lo
	s_waitcnt vmcnt(0)
	v_cmp_le_i64_e32 vcc_lo, v[19:20], v[21:22]
	v_cmp_lt_i64_e64 s0, v[19:20], v[21:22]
	s_and_b32 s29, vcc_lo, s28
	s_delay_alu instid0(VALU_DEP_1) | instid1(SALU_CYCLE_1)
	s_or_b32 s29, s0, s29
	s_delay_alu instid0(SALU_CYCLE_1) | instskip(NEXT) | instid1(SALU_CYCLE_1)
	s_and_b32 s0, s29, exec_lo
	s_or_b32 s26, s26, s0
	s_mov_b32 s0, exec_lo
	v_cmpx_eq_u64_e64 v[19:20], v[21:22]
	s_cbranch_execz .LBB512_262
; %bb.264:                              ;   in Loop: Header=BB512_263 Depth=1
	s_add_u32 s20, s20, -1
	s_addc_u32 s21, s21, -1
	v_add_co_u32 v2, vcc_lo, v2, 8
	s_cmp_eq_u64 s[20:21], 0
	v_add_co_ci_u32_e32 v3, vcc_lo, 0, v3, vcc_lo
	v_add_co_u32 v6, vcc_lo, v6, 8
	s_cselect_b32 s28, -1, 0
	v_add_co_ci_u32_e32 v7, vcc_lo, 0, v7, vcc_lo
	s_and_not1_b32 s27, s27, exec_lo
	s_and_b32 s29, s29, exec_lo
	s_and_not1_b32 s25, s25, exec_lo
	s_and_b32 s28, s28, exec_lo
	s_or_b32 s27, s27, s29
	s_and_not1_b32 s26, s26, exec_lo
	s_or_b32 s25, s25, s28
                                        ; implicit-def: $sgpr28
	s_branch .LBB512_262
.LBB512_265:
	s_set_inst_prefetch_distance 0x2
	s_or_b32 exec_lo, exec_lo, s23
	s_xor_b32 s0, s24, -1
	s_branch .LBB512_267
.LBB512_266:
	s_mov_b32 s0, -1
.LBB512_267:
	s_delay_alu instid0(SALU_CYCLE_1)
	s_and_b32 s0, s0, exec_lo
.LBB512_268:
	s_or_b32 exec_lo, exec_lo, s19
	s_delay_alu instid0(SALU_CYCLE_1)
	s_or_not1_b32 s19, s0, exec_lo
.LBB512_269:
	s_or_b32 exec_lo, exec_lo, s22
	v_cndmask_b32_e64 v2, v9, v8, s19
	v_cndmask_b32_e64 v3, v15, v14, s19
	s_mov_b32 s0, -1
	s_mov_b32 s22, exec_lo
	s_delay_alu instid0(VALU_DEP_2) | instskip(NEXT) | instid1(VALU_DEP_2)
	v_add_nc_u32_e32 v6, 1, v2
	v_add_nc_u32_e32 v2, -1, v3
	s_delay_alu instid0(VALU_DEP_2) | instskip(NEXT) | instid1(VALU_DEP_2)
	v_cndmask_b32_e64 v22, v6, v9, s19
	v_min_u32_e32 v2, v6, v2
	v_cndmask_b32_e64 v19, v8, v6, s19
	s_delay_alu instid0(VALU_DEP_2)
	v_lshl_add_u32 v2, v2, 3, v16
	ds_load_b64 v[2:3], v2
	s_waitcnt lgkmcnt(0)
	v_cndmask_b32_e64 v20, v3, v10, s19
	v_cndmask_b32_e64 v21, v2, v11, s19
	;; [unrolled: 1-line block ×4, first 2 shown]
	v_cmpx_lt_u32_e64 v22, v15
	s_cbranch_execz .LBB512_280
; %bb.270:
	s_mov_b32 s0, 0
	s_mov_b32 s23, exec_lo
	v_cmpx_lt_u32_e64 v19, v14
	s_cbranch_execz .LBB512_279
; %bb.271:
	s_and_not1_b32 vcc_lo, exec_lo, s7
	s_cbranch_vccnz .LBB512_277
; %bb.272:
	v_mul_lo_u32 v8, v20, s8
	v_mul_lo_u32 v9, v21, s9
	v_mad_u64_u32 v[2:3], null, v21, s8, 0
	v_mul_lo_u32 v25, v23, s8
	v_mul_lo_u32 v40, v24, s9
	v_mad_u64_u32 v[6:7], null, v24, s8, 0
	s_mov_b32 s24, 0
	s_mov_b64 s[20:21], s[8:9]
	s_delay_alu instid0(VALU_DEP_4) | instskip(NEXT) | instid1(VALU_DEP_2)
	v_add3_u32 v3, v3, v9, v8
                                        ; implicit-def: $sgpr25
                                        ; implicit-def: $sgpr26
                                        ; implicit-def: $sgpr27
                                        ; implicit-def: $sgpr28
                                        ; implicit-def: $sgpr29
	v_add3_u32 v7, v7, v40, v25
	s_delay_alu instid0(VALU_DEP_2) | instskip(NEXT) | instid1(VALU_DEP_2)
	v_lshlrev_b64 v[2:3], 3, v[2:3]
	v_lshlrev_b64 v[6:7], 3, v[6:7]
	s_delay_alu instid0(VALU_DEP_2) | instskip(NEXT) | instid1(VALU_DEP_3)
	v_add_co_u32 v2, vcc_lo, s10, v2
	v_add_co_ci_u32_e32 v3, vcc_lo, s11, v3, vcc_lo
	s_delay_alu instid0(VALU_DEP_3) | instskip(NEXT) | instid1(VALU_DEP_4)
	v_add_co_u32 v6, vcc_lo, s10, v6
	v_add_co_ci_u32_e32 v7, vcc_lo, s11, v7, vcc_lo
	s_set_inst_prefetch_distance 0x1
	s_branch .LBB512_274
	.p2align	6
.LBB512_273:                            ;   in Loop: Header=BB512_274 Depth=1
	s_or_b32 exec_lo, exec_lo, s0
	s_delay_alu instid0(SALU_CYCLE_1) | instskip(NEXT) | instid1(SALU_CYCLE_1)
	s_and_b32 s0, exec_lo, s26
	s_or_b32 s24, s0, s24
	s_and_not1_b32 s0, s29, exec_lo
	s_and_b32 s29, s28, exec_lo
	s_and_not1_b32 s25, s25, exec_lo
	s_and_b32 s30, s27, exec_lo
	s_or_b32 s29, s0, s29
	s_or_b32 s25, s25, s30
	s_and_not1_b32 exec_lo, exec_lo, s24
	s_cbranch_execz .LBB512_276
.LBB512_274:                            ; =>This Inner Loop Header: Depth=1
	global_load_b64 v[8:9], v[2:3], off
	global_load_b64 v[40:41], v[6:7], off
	s_and_not1_b32 s27, s27, exec_lo
	s_and_not1_b32 s28, s28, exec_lo
	s_or_b32 s26, s26, exec_lo
	s_waitcnt vmcnt(0)
	v_cmp_le_i64_e32 vcc_lo, v[8:9], v[40:41]
	v_cmp_lt_i64_e64 s0, v[8:9], v[40:41]
	s_and_b32 s30, vcc_lo, s29
	s_delay_alu instid0(VALU_DEP_1) | instid1(SALU_CYCLE_1)
	s_or_b32 s30, s0, s30
	s_delay_alu instid0(SALU_CYCLE_1) | instskip(NEXT) | instid1(SALU_CYCLE_1)
	s_and_b32 s0, s30, exec_lo
	s_or_b32 s27, s27, s0
	s_mov_b32 s0, exec_lo
	v_cmpx_eq_u64_e64 v[8:9], v[40:41]
	s_cbranch_execz .LBB512_273
; %bb.275:                              ;   in Loop: Header=BB512_274 Depth=1
	s_add_u32 s20, s20, -1
	s_addc_u32 s21, s21, -1
	v_add_co_u32 v2, vcc_lo, v2, 8
	s_cmp_eq_u64 s[20:21], 0
	v_add_co_ci_u32_e32 v3, vcc_lo, 0, v3, vcc_lo
	v_add_co_u32 v6, vcc_lo, v6, 8
	s_cselect_b32 s29, -1, 0
	v_add_co_ci_u32_e32 v7, vcc_lo, 0, v7, vcc_lo
	s_and_not1_b32 s28, s28, exec_lo
	s_and_b32 s30, s30, exec_lo
	s_and_not1_b32 s26, s26, exec_lo
	s_and_b32 s29, s29, exec_lo
	s_or_b32 s28, s28, s30
	s_and_not1_b32 s27, s27, exec_lo
	s_or_b32 s26, s26, s29
                                        ; implicit-def: $sgpr29
	s_branch .LBB512_273
.LBB512_276:
	s_set_inst_prefetch_distance 0x2
	s_or_b32 exec_lo, exec_lo, s24
	s_xor_b32 s0, s25, -1
	s_branch .LBB512_278
.LBB512_277:
	s_mov_b32 s0, -1
.LBB512_278:
	s_delay_alu instid0(SALU_CYCLE_1)
	s_and_b32 s0, s0, exec_lo
.LBB512_279:
	s_or_b32 exec_lo, exec_lo, s23
	s_delay_alu instid0(SALU_CYCLE_1)
	s_or_not1_b32 s0, s0, exec_lo
.LBB512_280:
	s_or_b32 exec_lo, exec_lo, s22
	v_cndmask_b32_e64 v2, v22, v19, s0
	v_cndmask_b32_e64 v3, v15, v14, s0
	;; [unrolled: 1-line block ×5, first 2 shown]
	v_add_nc_u32_e32 v25, 1, v2
	v_add_nc_u32_e32 v2, -1, v3
	v_cndmask_b32_e64 v3, v10, v17, s19
	v_cndmask_b32_e64 v4, v21, v24, s0
	s_mov_b32 s12, exec_lo
	v_cndmask_b32_e64 v10, v25, v22, s0
	v_min_u32_e32 v2, v25, v2
	s_delay_alu instid0(VALU_DEP_1)
	v_lshl_add_u32 v2, v2, 3, v16
	ds_load_b64 v[8:9], v2
	v_cndmask_b32_e64 v2, v11, v18, s19
	s_waitcnt lgkmcnt(0)
	v_cndmask_b32_e64 v7, v23, v9, s0
	v_cndmask_b32_e64 v6, v24, v8, s0
	v_cmpx_lt_u32_e64 v10, v15
	s_cbranch_execz .LBB512_290
; %bb.281:
	v_cndmask_b32_e64 v10, v19, v25, s0
	v_cndmask_b32_e64 v9, v9, v20, s0
	;; [unrolled: 1-line block ×3, first 2 shown]
	s_mov_b32 s19, exec_lo
	s_delay_alu instid0(VALU_DEP_3)
	v_cmpx_lt_u32_e64 v10, v14
	s_cbranch_execz .LBB512_289
; %bb.282:
	s_and_not1_b32 vcc_lo, exec_lo, s7
	s_cbranch_vccnz .LBB512_288
; %bb.283:
	v_mul_lo_u32 v16, v9, s8
	v_mul_lo_u32 v17, v8, s9
	v_mad_u64_u32 v[10:11], null, v8, s8, 0
	v_mul_lo_u32 v18, v7, s8
	v_mul_lo_u32 v19, v6, s9
	v_mad_u64_u32 v[14:15], null, v6, s8, 0
	s_mov_b32 s22, 0
	s_mov_b64 s[20:21], s[8:9]
	s_delay_alu instid0(VALU_DEP_4) | instskip(NEXT) | instid1(VALU_DEP_2)
	v_add3_u32 v11, v11, v17, v16
                                        ; implicit-def: $sgpr23
                                        ; implicit-def: $sgpr24
                                        ; implicit-def: $sgpr25
                                        ; implicit-def: $sgpr26
                                        ; implicit-def: $sgpr27
	v_add3_u32 v15, v15, v19, v18
	s_delay_alu instid0(VALU_DEP_2) | instskip(NEXT) | instid1(VALU_DEP_2)
	v_lshlrev_b64 v[10:11], 3, v[10:11]
	v_lshlrev_b64 v[14:15], 3, v[14:15]
	s_delay_alu instid0(VALU_DEP_2) | instskip(NEXT) | instid1(VALU_DEP_3)
	v_add_co_u32 v10, vcc_lo, s10, v10
	v_add_co_ci_u32_e32 v11, vcc_lo, s11, v11, vcc_lo
	s_delay_alu instid0(VALU_DEP_3) | instskip(NEXT) | instid1(VALU_DEP_4)
	v_add_co_u32 v14, vcc_lo, s10, v14
	v_add_co_ci_u32_e32 v15, vcc_lo, s11, v15, vcc_lo
	s_set_inst_prefetch_distance 0x1
	s_branch .LBB512_285
	.p2align	6
.LBB512_284:                            ;   in Loop: Header=BB512_285 Depth=1
	s_or_b32 exec_lo, exec_lo, s0
	s_delay_alu instid0(SALU_CYCLE_1) | instskip(NEXT) | instid1(SALU_CYCLE_1)
	s_and_b32 s0, exec_lo, s24
	s_or_b32 s22, s0, s22
	s_and_not1_b32 s0, s27, exec_lo
	s_and_b32 s27, s26, exec_lo
	s_and_not1_b32 s23, s23, exec_lo
	s_and_b32 s28, s25, exec_lo
	s_or_b32 s27, s0, s27
	s_or_b32 s23, s23, s28
	s_and_not1_b32 exec_lo, exec_lo, s22
	s_cbranch_execz .LBB512_287
.LBB512_285:                            ; =>This Inner Loop Header: Depth=1
	global_load_b64 v[16:17], v[10:11], off
	global_load_b64 v[18:19], v[14:15], off
	s_and_not1_b32 s25, s25, exec_lo
	s_and_not1_b32 s26, s26, exec_lo
	s_or_b32 s24, s24, exec_lo
	s_waitcnt vmcnt(0)
	v_cmp_le_i64_e32 vcc_lo, v[16:17], v[18:19]
	v_cmp_lt_i64_e64 s0, v[16:17], v[18:19]
	s_and_b32 s28, vcc_lo, s27
	s_delay_alu instid0(VALU_DEP_1) | instid1(SALU_CYCLE_1)
	s_or_b32 s28, s0, s28
	s_delay_alu instid0(SALU_CYCLE_1) | instskip(NEXT) | instid1(SALU_CYCLE_1)
	s_and_b32 s0, s28, exec_lo
	s_or_b32 s25, s25, s0
	s_mov_b32 s0, exec_lo
	v_cmpx_eq_u64_e64 v[16:17], v[18:19]
	s_cbranch_execz .LBB512_284
; %bb.286:                              ;   in Loop: Header=BB512_285 Depth=1
	s_add_u32 s20, s20, -1
	s_addc_u32 s21, s21, -1
	v_add_co_u32 v10, vcc_lo, v10, 8
	s_cmp_eq_u64 s[20:21], 0
	v_add_co_ci_u32_e32 v11, vcc_lo, 0, v11, vcc_lo
	v_add_co_u32 v14, vcc_lo, v14, 8
	s_cselect_b32 s27, -1, 0
	v_add_co_ci_u32_e32 v15, vcc_lo, 0, v15, vcc_lo
	s_and_not1_b32 s26, s26, exec_lo
	s_and_b32 s28, s28, exec_lo
	s_and_not1_b32 s24, s24, exec_lo
	s_and_b32 s27, s27, exec_lo
	s_or_b32 s26, s26, s28
	s_and_not1_b32 s25, s25, exec_lo
	s_or_b32 s24, s24, s27
                                        ; implicit-def: $sgpr27
	s_branch .LBB512_284
.LBB512_287:
	s_set_inst_prefetch_distance 0x2
	s_or_b32 exec_lo, exec_lo, s22
	v_cndmask_b32_e64 v7, v7, v9, s23
	v_cndmask_b32_e64 v6, v6, v8, s23
.LBB512_288:
	s_delay_alu instid0(VALU_DEP_1)
	v_dual_mov_b32 v9, v7 :: v_dual_mov_b32 v8, v6
.LBB512_289:
	s_or_b32 exec_lo, exec_lo, s19
	s_delay_alu instid0(VALU_DEP_1)
	v_dual_mov_b32 v6, v8 :: v_dual_mov_b32 v7, v9
.LBB512_290:
	s_or_b32 exec_lo, exec_lo, s12
.LBB512_291:
	s_delay_alu instid0(SALU_CYCLE_1) | instskip(SKIP_4) | instid1(VALU_DEP_3)
	s_or_b32 exec_lo, exec_lo, s1
	v_and_b32_e32 v19, 0xf80, v27
	v_and_b32_e32 v20, 0x7c, v27
	v_lshlrev_b32_e32 v16, 3, v27
	s_mov_b32 s1, exec_lo
	v_or_b32_e32 v8, 64, v19
	v_lshlrev_b32_e32 v18, 3, v19
	; wave barrier
	s_waitcnt lgkmcnt(0)
	s_barrier
	s_delay_alu instid0(VALU_DEP_2)
	v_min_u32_e32 v9, 0x3c0, v8
	v_min_u32_e32 v14, 0x400, v8
	buffer_gl0_inv
	ds_store_b128 v16, v[0:3]
	ds_store_b128 v16, v[4:7] offset:16
	s_waitcnt lgkmcnt(0)
	v_add_nc_u32_e32 v15, 64, v9
	v_sub_nc_u32_e32 v8, v14, v19
	s_barrier
	buffer_gl0_inv
	v_sub_nc_u32_e32 v9, v15, v14
	v_min_u32_e32 v21, v20, v8
	s_delay_alu instid0(VALU_DEP_2) | instskip(NEXT) | instid1(VALU_DEP_1)
	v_sub_nc_u32_e64 v17, v20, v9 clamp
	v_cmpx_lt_u32_e64 v17, v21
	s_cbranch_execz .LBB512_301
; %bb.292:
	v_lshlrev_b32_e32 v8, 3, v20
	s_lshl_b64 s[20:21], s[8:9], 3
	s_mov_b32 s12, 0
	s_delay_alu instid0(VALU_DEP_1)
	v_lshl_add_u32 v22, v14, 3, v8
	s_branch .LBB512_295
.LBB512_293:                            ;   in Loop: Header=BB512_295 Depth=1
	s_set_inst_prefetch_distance 0x2
	s_or_b32 exec_lo, exec_lo, s19
.LBB512_294:                            ;   in Loop: Header=BB512_295 Depth=1
	s_delay_alu instid0(VALU_DEP_1) | instskip(SKIP_1) | instid1(VALU_DEP_2)
	v_add_nc_u32_e32 v8, 1, v23
	v_cndmask_b32_e64 v21, v21, v23, s24
	v_cndmask_b32_e64 v17, v8, v17, s24
	s_delay_alu instid0(VALU_DEP_1) | instskip(SKIP_1) | instid1(SALU_CYCLE_1)
	v_cmp_ge_u32_e32 vcc_lo, v17, v21
	s_or_b32 s12, vcc_lo, s12
	s_and_not1_b32 exec_lo, exec_lo, s12
	s_cbranch_execz .LBB512_300
.LBB512_295:                            ; =>This Loop Header: Depth=1
                                        ;     Child Loop BB512_298 Depth 2
	v_add_nc_u32_e32 v8, v21, v17
	s_and_not1_b32 vcc_lo, exec_lo, s7
	s_mov_b32 s24, 0
	s_delay_alu instid0(VALU_DEP_1)
	v_lshrrev_b32_e32 v23, 1, v8
	s_cbranch_vccnz .LBB512_294
; %bb.296:                              ;   in Loop: Header=BB512_295 Depth=1
	s_delay_alu instid0(VALU_DEP_1) | instskip(SKIP_3) | instid1(VALU_DEP_2)
	v_not_b32_e32 v8, v23
	v_lshl_add_u32 v9, v23, 3, v18
	s_mov_b32 s19, 0
	s_mov_b64 s[22:23], s[8:9]
                                        ; implicit-def: $sgpr24
                                        ; implicit-def: $sgpr25
                                        ; implicit-def: $sgpr26
                                        ; implicit-def: $sgpr27
                                        ; implicit-def: $sgpr28
	v_lshl_add_u32 v8, v8, 3, v22
	ds_load_b64 v[10:11], v8
	ds_load_b64 v[24:25], v9
	s_waitcnt lgkmcnt(1)
	v_mul_lo_u32 v40, s20, v11
	v_mul_lo_u32 v41, s21, v10
	v_mad_u64_u32 v[8:9], null, s20, v10, s[10:11]
	s_waitcnt lgkmcnt(0)
	v_mul_lo_u32 v25, s20, v25
	v_mul_lo_u32 v42, s21, v24
	v_mad_u64_u32 v[10:11], null, s20, v24, s[10:11]
	s_delay_alu instid0(VALU_DEP_4) | instskip(NEXT) | instid1(VALU_DEP_2)
	v_add3_u32 v9, v41, v9, v40
	v_add3_u32 v11, v42, v11, v25
	s_set_inst_prefetch_distance 0x1
	s_branch .LBB512_298
	.p2align	6
.LBB512_297:                            ;   in Loop: Header=BB512_298 Depth=2
	s_or_b32 exec_lo, exec_lo, s0
	s_delay_alu instid0(SALU_CYCLE_1) | instskip(NEXT) | instid1(SALU_CYCLE_1)
	s_and_b32 s0, exec_lo, s25
	s_or_b32 s19, s0, s19
	s_and_not1_b32 s0, s28, exec_lo
	s_and_b32 s28, s26, exec_lo
	s_and_not1_b32 s24, s24, exec_lo
	s_and_b32 s29, s27, exec_lo
	s_or_b32 s28, s0, s28
	s_or_b32 s24, s24, s29
	s_and_not1_b32 exec_lo, exec_lo, s19
	s_cbranch_execz .LBB512_293
.LBB512_298:                            ;   Parent Loop BB512_295 Depth=1
                                        ; =>  This Inner Loop Header: Depth=2
	global_load_b64 v[24:25], v[8:9], off
	global_load_b64 v[40:41], v[10:11], off
	s_and_not1_b32 s27, s27, exec_lo
	s_and_not1_b32 s26, s26, exec_lo
	s_or_b32 s25, s25, exec_lo
	s_waitcnt vmcnt(0)
	v_cmp_le_i64_e32 vcc_lo, v[24:25], v[40:41]
	v_cmp_lt_i64_e64 s0, v[24:25], v[40:41]
	s_and_b32 s29, vcc_lo, s28
	s_delay_alu instid0(VALU_DEP_1) | instid1(SALU_CYCLE_1)
	s_or_b32 s29, s0, s29
	s_delay_alu instid0(SALU_CYCLE_1) | instskip(NEXT) | instid1(SALU_CYCLE_1)
	s_and_b32 s0, s29, exec_lo
	s_or_b32 s27, s27, s0
	s_mov_b32 s0, exec_lo
	v_cmpx_eq_u64_e64 v[24:25], v[40:41]
	s_cbranch_execz .LBB512_297
; %bb.299:                              ;   in Loop: Header=BB512_298 Depth=2
	s_add_u32 s22, s22, -1
	s_addc_u32 s23, s23, -1
	v_add_co_u32 v8, vcc_lo, v8, 8
	v_add_co_ci_u32_e32 v9, vcc_lo, 0, v9, vcc_lo
	s_cmp_eq_u64 s[22:23], 0
	v_add_co_u32 v10, vcc_lo, v10, 8
	s_cselect_b32 s28, -1, 0
	v_add_co_ci_u32_e32 v11, vcc_lo, 0, v11, vcc_lo
	s_and_not1_b32 s26, s26, exec_lo
	s_and_b32 s29, s29, exec_lo
	s_and_not1_b32 s25, s25, exec_lo
	s_and_b32 s28, s28, exec_lo
	s_and_not1_b32 s27, s27, exec_lo
	s_or_b32 s26, s26, s29
	s_or_b32 s25, s25, s28
                                        ; implicit-def: $sgpr28
	s_branch .LBB512_297
.LBB512_300:
	s_or_b32 exec_lo, exec_lo, s12
.LBB512_301:
	s_delay_alu instid0(SALU_CYCLE_1) | instskip(SKIP_2) | instid1(VALU_DEP_2)
	s_or_b32 exec_lo, exec_lo, s1
	v_sub_nc_u32_e32 v9, v20, v17
	v_add_nc_u32_e32 v8, v17, v19
	v_add_nc_u32_e32 v9, v9, v14
	s_delay_alu instid0(VALU_DEP_2) | instskip(NEXT) | instid1(VALU_DEP_2)
	v_cmp_le_u32_e32 vcc_lo, v8, v14
	v_cmp_le_u32_e64 s0, v9, v15
	s_delay_alu instid0(VALU_DEP_1) | instskip(NEXT) | instid1(SALU_CYCLE_1)
	s_or_b32 s0, vcc_lo, s0
	s_and_saveexec_b32 s1, s0
	s_cbranch_execz .LBB512_348
; %bb.302:
	v_cmp_ge_u32_e32 vcc_lo, v8, v14
	s_mov_b32 s12, exec_lo
                                        ; implicit-def: $vgpr0_vgpr1
	v_cmpx_lt_u32_e64 v8, v14
	s_cbranch_execz .LBB512_304
; %bb.303:
	v_lshl_add_u32 v0, v17, 3, v18
	ds_load_b64 v[0:1], v0
.LBB512_304:
	s_or_b32 exec_lo, exec_lo, s12
	v_cmp_ge_u32_e64 s12, v9, v15
	s_mov_b32 s19, exec_lo
                                        ; implicit-def: $vgpr4_vgpr5
	v_cmpx_lt_u32_e64 v9, v15
	s_cbranch_execz .LBB512_306
; %bb.305:
	v_lshlrev_b32_e32 v2, 3, v9
	ds_load_b64 v[4:5], v2
.LBB512_306:
	s_or_b32 exec_lo, exec_lo, s19
	s_or_b32 s0, vcc_lo, s12
	s_mov_b32 s19, -1
	s_xor_b32 s0, s0, -1
	s_delay_alu instid0(SALU_CYCLE_1)
	s_and_saveexec_b32 s22, s0
	s_cbranch_execz .LBB512_315
; %bb.307:
	s_and_not1_b32 vcc_lo, exec_lo, s7
	s_cbranch_vccnz .LBB512_313
; %bb.308:
	s_waitcnt lgkmcnt(0)
	v_mul_lo_u32 v10, v5, s8
	v_mul_lo_u32 v11, v4, s9
	v_mad_u64_u32 v[2:3], null, v4, s8, 0
	v_mul_lo_u32 v17, v1, s8
	v_mul_lo_u32 v18, v0, s9
	v_mad_u64_u32 v[6:7], null, v0, s8, 0
	s_mov_b32 s23, 0
	s_mov_b64 s[20:21], s[8:9]
	s_delay_alu instid0(VALU_DEP_4) | instskip(NEXT) | instid1(VALU_DEP_2)
	v_add3_u32 v3, v3, v11, v10
                                        ; implicit-def: $sgpr24
                                        ; implicit-def: $sgpr25
                                        ; implicit-def: $sgpr26
                                        ; implicit-def: $sgpr27
                                        ; implicit-def: $sgpr28
	v_add3_u32 v7, v7, v18, v17
	s_delay_alu instid0(VALU_DEP_2) | instskip(NEXT) | instid1(VALU_DEP_2)
	v_lshlrev_b64 v[2:3], 3, v[2:3]
	v_lshlrev_b64 v[6:7], 3, v[6:7]
	s_delay_alu instid0(VALU_DEP_2) | instskip(NEXT) | instid1(VALU_DEP_3)
	v_add_co_u32 v2, vcc_lo, s10, v2
	v_add_co_ci_u32_e32 v3, vcc_lo, s11, v3, vcc_lo
	s_delay_alu instid0(VALU_DEP_3) | instskip(NEXT) | instid1(VALU_DEP_4)
	v_add_co_u32 v6, vcc_lo, s10, v6
	v_add_co_ci_u32_e32 v7, vcc_lo, s11, v7, vcc_lo
	s_set_inst_prefetch_distance 0x1
	s_branch .LBB512_310
	.p2align	6
.LBB512_309:                            ;   in Loop: Header=BB512_310 Depth=1
	s_or_b32 exec_lo, exec_lo, s0
	s_delay_alu instid0(SALU_CYCLE_1) | instskip(NEXT) | instid1(SALU_CYCLE_1)
	s_and_b32 s0, exec_lo, s25
	s_or_b32 s23, s0, s23
	s_and_not1_b32 s0, s28, exec_lo
	s_and_b32 s28, s27, exec_lo
	s_and_not1_b32 s24, s24, exec_lo
	s_and_b32 s29, s26, exec_lo
	s_or_b32 s28, s0, s28
	s_or_b32 s24, s24, s29
	s_and_not1_b32 exec_lo, exec_lo, s23
	s_cbranch_execz .LBB512_312
.LBB512_310:                            ; =>This Inner Loop Header: Depth=1
	global_load_b64 v[10:11], v[2:3], off
	global_load_b64 v[17:18], v[6:7], off
	s_and_not1_b32 s26, s26, exec_lo
	s_and_not1_b32 s27, s27, exec_lo
	s_or_b32 s25, s25, exec_lo
	s_waitcnt vmcnt(0)
	v_cmp_le_i64_e32 vcc_lo, v[10:11], v[17:18]
	v_cmp_lt_i64_e64 s0, v[10:11], v[17:18]
	s_and_b32 s29, vcc_lo, s28
	s_delay_alu instid0(VALU_DEP_1) | instid1(SALU_CYCLE_1)
	s_or_b32 s29, s0, s29
	s_delay_alu instid0(SALU_CYCLE_1) | instskip(NEXT) | instid1(SALU_CYCLE_1)
	s_and_b32 s0, s29, exec_lo
	s_or_b32 s26, s26, s0
	s_mov_b32 s0, exec_lo
	v_cmpx_eq_u64_e64 v[10:11], v[17:18]
	s_cbranch_execz .LBB512_309
; %bb.311:                              ;   in Loop: Header=BB512_310 Depth=1
	s_add_u32 s20, s20, -1
	s_addc_u32 s21, s21, -1
	v_add_co_u32 v2, vcc_lo, v2, 8
	s_cmp_eq_u64 s[20:21], 0
	v_add_co_ci_u32_e32 v3, vcc_lo, 0, v3, vcc_lo
	s_cselect_b32 s28, -1, 0
	s_and_not1_b32 s27, s27, exec_lo
	s_and_b32 s29, s29, exec_lo
	v_add_co_u32 v6, vcc_lo, v6, 8
	s_and_not1_b32 s25, s25, exec_lo
	s_and_b32 s28, s28, exec_lo
	v_add_co_ci_u32_e32 v7, vcc_lo, 0, v7, vcc_lo
	s_or_b32 s27, s27, s29
	s_and_not1_b32 s26, s26, exec_lo
	s_or_b32 s25, s25, s28
                                        ; implicit-def: $sgpr28
	s_branch .LBB512_309
.LBB512_312:
	s_set_inst_prefetch_distance 0x2
	s_or_b32 exec_lo, exec_lo, s23
	s_xor_b32 s0, s24, -1
	s_branch .LBB512_314
.LBB512_313:
	s_mov_b32 s0, -1
.LBB512_314:
	s_and_not1_b32 s12, s12, exec_lo
	s_and_b32 s0, s0, exec_lo
	s_delay_alu instid0(SALU_CYCLE_1)
	s_or_b32 s12, s12, s0
.LBB512_315:
	s_or_b32 exec_lo, exec_lo, s22
	v_cndmask_b32_e64 v2, v9, v8, s12
	v_cndmask_b32_e64 v3, v15, v14, s12
	s_mov_b32 s22, exec_lo
	s_delay_alu instid0(VALU_DEP_2) | instskip(NEXT) | instid1(VALU_DEP_2)
	v_add_nc_u32_e32 v6, 1, v2
	v_add_nc_u32_e32 v2, -1, v3
	s_delay_alu instid0(VALU_DEP_2) | instskip(NEXT) | instid1(VALU_DEP_2)
	v_cndmask_b32_e64 v9, v6, v9, s12
	v_min_u32_e32 v2, v6, v2
	v_cndmask_b32_e64 v8, v8, v6, s12
	s_delay_alu instid0(VALU_DEP_2)
	v_lshlrev_b32_e32 v2, 3, v2
	ds_load_b64 v[2:3], v2
	s_waitcnt lgkmcnt(0)
	v_cndmask_b32_e64 v10, v3, v5, s12
	v_cndmask_b32_e64 v11, v2, v4, s12
	;; [unrolled: 1-line block ×4, first 2 shown]
	v_cmpx_lt_u32_e64 v9, v15
	s_cbranch_execz .LBB512_326
; %bb.316:
	s_mov_b32 s0, 0
	s_mov_b32 s19, exec_lo
	v_cmpx_lt_u32_e64 v8, v14
	s_cbranch_execz .LBB512_325
; %bb.317:
	s_and_not1_b32 vcc_lo, exec_lo, s7
	s_cbranch_vccnz .LBB512_323
; %bb.318:
	v_mul_lo_u32 v19, v10, s8
	v_mul_lo_u32 v20, v11, s9
	v_mad_u64_u32 v[2:3], null, v11, s8, 0
	v_mul_lo_u32 v21, v17, s8
	v_mul_lo_u32 v22, v18, s9
	v_mad_u64_u32 v[6:7], null, v18, s8, 0
	s_mov_b32 s23, 0
	s_mov_b64 s[20:21], s[8:9]
	s_delay_alu instid0(VALU_DEP_4) | instskip(NEXT) | instid1(VALU_DEP_2)
	v_add3_u32 v3, v3, v20, v19
                                        ; implicit-def: $sgpr24
                                        ; implicit-def: $sgpr25
                                        ; implicit-def: $sgpr26
                                        ; implicit-def: $sgpr27
                                        ; implicit-def: $sgpr28
	v_add3_u32 v7, v7, v22, v21
	s_delay_alu instid0(VALU_DEP_2) | instskip(NEXT) | instid1(VALU_DEP_2)
	v_lshlrev_b64 v[2:3], 3, v[2:3]
	v_lshlrev_b64 v[6:7], 3, v[6:7]
	s_delay_alu instid0(VALU_DEP_2) | instskip(NEXT) | instid1(VALU_DEP_3)
	v_add_co_u32 v2, vcc_lo, s10, v2
	v_add_co_ci_u32_e32 v3, vcc_lo, s11, v3, vcc_lo
	s_delay_alu instid0(VALU_DEP_3) | instskip(NEXT) | instid1(VALU_DEP_4)
	v_add_co_u32 v6, vcc_lo, s10, v6
	v_add_co_ci_u32_e32 v7, vcc_lo, s11, v7, vcc_lo
	s_set_inst_prefetch_distance 0x1
	s_branch .LBB512_320
	.p2align	6
.LBB512_319:                            ;   in Loop: Header=BB512_320 Depth=1
	s_or_b32 exec_lo, exec_lo, s0
	s_delay_alu instid0(SALU_CYCLE_1) | instskip(NEXT) | instid1(SALU_CYCLE_1)
	s_and_b32 s0, exec_lo, s25
	s_or_b32 s23, s0, s23
	s_and_not1_b32 s0, s28, exec_lo
	s_and_b32 s28, s27, exec_lo
	s_and_not1_b32 s24, s24, exec_lo
	s_and_b32 s29, s26, exec_lo
	s_or_b32 s28, s0, s28
	s_or_b32 s24, s24, s29
	s_and_not1_b32 exec_lo, exec_lo, s23
	s_cbranch_execz .LBB512_322
.LBB512_320:                            ; =>This Inner Loop Header: Depth=1
	global_load_b64 v[19:20], v[2:3], off
	global_load_b64 v[21:22], v[6:7], off
	s_and_not1_b32 s26, s26, exec_lo
	s_and_not1_b32 s27, s27, exec_lo
	s_or_b32 s25, s25, exec_lo
	s_waitcnt vmcnt(0)
	v_cmp_le_i64_e32 vcc_lo, v[19:20], v[21:22]
	v_cmp_lt_i64_e64 s0, v[19:20], v[21:22]
	s_and_b32 s29, vcc_lo, s28
	s_delay_alu instid0(VALU_DEP_1) | instid1(SALU_CYCLE_1)
	s_or_b32 s29, s0, s29
	s_delay_alu instid0(SALU_CYCLE_1) | instskip(NEXT) | instid1(SALU_CYCLE_1)
	s_and_b32 s0, s29, exec_lo
	s_or_b32 s26, s26, s0
	s_mov_b32 s0, exec_lo
	v_cmpx_eq_u64_e64 v[19:20], v[21:22]
	s_cbranch_execz .LBB512_319
; %bb.321:                              ;   in Loop: Header=BB512_320 Depth=1
	s_add_u32 s20, s20, -1
	s_addc_u32 s21, s21, -1
	v_add_co_u32 v2, vcc_lo, v2, 8
	s_cmp_eq_u64 s[20:21], 0
	v_add_co_ci_u32_e32 v3, vcc_lo, 0, v3, vcc_lo
	v_add_co_u32 v6, vcc_lo, v6, 8
	s_cselect_b32 s28, -1, 0
	v_add_co_ci_u32_e32 v7, vcc_lo, 0, v7, vcc_lo
	s_and_not1_b32 s27, s27, exec_lo
	s_and_b32 s29, s29, exec_lo
	s_and_not1_b32 s25, s25, exec_lo
	s_and_b32 s28, s28, exec_lo
	s_or_b32 s27, s27, s29
	s_and_not1_b32 s26, s26, exec_lo
	s_or_b32 s25, s25, s28
                                        ; implicit-def: $sgpr28
	s_branch .LBB512_319
.LBB512_322:
	s_set_inst_prefetch_distance 0x2
	s_or_b32 exec_lo, exec_lo, s23
	s_xor_b32 s0, s24, -1
	s_branch .LBB512_324
.LBB512_323:
	s_mov_b32 s0, -1
.LBB512_324:
	s_delay_alu instid0(SALU_CYCLE_1)
	s_and_b32 s0, s0, exec_lo
.LBB512_325:
	s_or_b32 exec_lo, exec_lo, s19
	s_delay_alu instid0(SALU_CYCLE_1)
	s_or_not1_b32 s19, s0, exec_lo
.LBB512_326:
	s_or_b32 exec_lo, exec_lo, s22
	v_cndmask_b32_e64 v2, v9, v8, s19
	v_cndmask_b32_e64 v3, v15, v14, s19
	s_mov_b32 s0, -1
	s_mov_b32 s22, exec_lo
	s_delay_alu instid0(VALU_DEP_2) | instskip(NEXT) | instid1(VALU_DEP_2)
	v_add_nc_u32_e32 v6, 1, v2
	v_add_nc_u32_e32 v2, -1, v3
	s_delay_alu instid0(VALU_DEP_2) | instskip(NEXT) | instid1(VALU_DEP_2)
	v_cndmask_b32_e64 v22, v6, v9, s19
	v_min_u32_e32 v2, v6, v2
	v_cndmask_b32_e64 v19, v8, v6, s19
	s_delay_alu instid0(VALU_DEP_2)
	v_lshlrev_b32_e32 v2, 3, v2
	ds_load_b64 v[2:3], v2
	s_waitcnt lgkmcnt(0)
	v_cndmask_b32_e64 v20, v3, v10, s19
	v_cndmask_b32_e64 v21, v2, v11, s19
	;; [unrolled: 1-line block ×4, first 2 shown]
	v_cmpx_lt_u32_e64 v22, v15
	s_cbranch_execz .LBB512_337
; %bb.327:
	s_mov_b32 s0, 0
	s_mov_b32 s23, exec_lo
	v_cmpx_lt_u32_e64 v19, v14
	s_cbranch_execz .LBB512_336
; %bb.328:
	s_and_not1_b32 vcc_lo, exec_lo, s7
	s_cbranch_vccnz .LBB512_334
; %bb.329:
	v_mul_lo_u32 v8, v20, s8
	v_mul_lo_u32 v9, v21, s9
	v_mad_u64_u32 v[2:3], null, v21, s8, 0
	v_mul_lo_u32 v25, v23, s8
	v_mul_lo_u32 v40, v24, s9
	v_mad_u64_u32 v[6:7], null, v24, s8, 0
	s_mov_b32 s24, 0
	s_mov_b64 s[20:21], s[8:9]
	s_delay_alu instid0(VALU_DEP_4) | instskip(NEXT) | instid1(VALU_DEP_2)
	v_add3_u32 v3, v3, v9, v8
                                        ; implicit-def: $sgpr25
                                        ; implicit-def: $sgpr26
                                        ; implicit-def: $sgpr27
                                        ; implicit-def: $sgpr28
                                        ; implicit-def: $sgpr29
	v_add3_u32 v7, v7, v40, v25
	s_delay_alu instid0(VALU_DEP_2) | instskip(NEXT) | instid1(VALU_DEP_2)
	v_lshlrev_b64 v[2:3], 3, v[2:3]
	v_lshlrev_b64 v[6:7], 3, v[6:7]
	s_delay_alu instid0(VALU_DEP_2) | instskip(NEXT) | instid1(VALU_DEP_3)
	v_add_co_u32 v2, vcc_lo, s10, v2
	v_add_co_ci_u32_e32 v3, vcc_lo, s11, v3, vcc_lo
	s_delay_alu instid0(VALU_DEP_3) | instskip(NEXT) | instid1(VALU_DEP_4)
	v_add_co_u32 v6, vcc_lo, s10, v6
	v_add_co_ci_u32_e32 v7, vcc_lo, s11, v7, vcc_lo
	s_set_inst_prefetch_distance 0x1
	s_branch .LBB512_331
	.p2align	6
.LBB512_330:                            ;   in Loop: Header=BB512_331 Depth=1
	s_or_b32 exec_lo, exec_lo, s0
	s_delay_alu instid0(SALU_CYCLE_1) | instskip(NEXT) | instid1(SALU_CYCLE_1)
	s_and_b32 s0, exec_lo, s26
	s_or_b32 s24, s0, s24
	s_and_not1_b32 s0, s29, exec_lo
	s_and_b32 s29, s28, exec_lo
	s_and_not1_b32 s25, s25, exec_lo
	s_and_b32 s30, s27, exec_lo
	s_or_b32 s29, s0, s29
	s_or_b32 s25, s25, s30
	s_and_not1_b32 exec_lo, exec_lo, s24
	s_cbranch_execz .LBB512_333
.LBB512_331:                            ; =>This Inner Loop Header: Depth=1
	global_load_b64 v[8:9], v[2:3], off
	global_load_b64 v[40:41], v[6:7], off
	s_and_not1_b32 s27, s27, exec_lo
	s_and_not1_b32 s28, s28, exec_lo
	s_or_b32 s26, s26, exec_lo
	s_waitcnt vmcnt(0)
	v_cmp_le_i64_e32 vcc_lo, v[8:9], v[40:41]
	v_cmp_lt_i64_e64 s0, v[8:9], v[40:41]
	s_and_b32 s30, vcc_lo, s29
	s_delay_alu instid0(VALU_DEP_1) | instid1(SALU_CYCLE_1)
	s_or_b32 s30, s0, s30
	s_delay_alu instid0(SALU_CYCLE_1) | instskip(NEXT) | instid1(SALU_CYCLE_1)
	s_and_b32 s0, s30, exec_lo
	s_or_b32 s27, s27, s0
	s_mov_b32 s0, exec_lo
	v_cmpx_eq_u64_e64 v[8:9], v[40:41]
	s_cbranch_execz .LBB512_330
; %bb.332:                              ;   in Loop: Header=BB512_331 Depth=1
	s_add_u32 s20, s20, -1
	s_addc_u32 s21, s21, -1
	v_add_co_u32 v2, vcc_lo, v2, 8
	s_cmp_eq_u64 s[20:21], 0
	v_add_co_ci_u32_e32 v3, vcc_lo, 0, v3, vcc_lo
	v_add_co_u32 v6, vcc_lo, v6, 8
	s_cselect_b32 s29, -1, 0
	v_add_co_ci_u32_e32 v7, vcc_lo, 0, v7, vcc_lo
	s_and_not1_b32 s28, s28, exec_lo
	s_and_b32 s30, s30, exec_lo
	s_and_not1_b32 s26, s26, exec_lo
	s_and_b32 s29, s29, exec_lo
	s_or_b32 s28, s28, s30
	s_and_not1_b32 s27, s27, exec_lo
	s_or_b32 s26, s26, s29
                                        ; implicit-def: $sgpr29
	s_branch .LBB512_330
.LBB512_333:
	s_set_inst_prefetch_distance 0x2
	s_or_b32 exec_lo, exec_lo, s24
	s_xor_b32 s0, s25, -1
	s_branch .LBB512_335
.LBB512_334:
	s_mov_b32 s0, -1
.LBB512_335:
	s_delay_alu instid0(SALU_CYCLE_1)
	s_and_b32 s0, s0, exec_lo
.LBB512_336:
	s_or_b32 exec_lo, exec_lo, s23
	s_delay_alu instid0(SALU_CYCLE_1)
	s_or_not1_b32 s0, s0, exec_lo
.LBB512_337:
	s_or_b32 exec_lo, exec_lo, s22
	v_cndmask_b32_e64 v2, v22, v19, s0
	v_cndmask_b32_e64 v3, v15, v14, s0
	;; [unrolled: 1-line block ×5, first 2 shown]
	v_add_nc_u32_e32 v25, 1, v2
	v_add_nc_u32_e32 v2, -1, v3
	v_cndmask_b32_e64 v3, v10, v17, s19
	v_cndmask_b32_e64 v4, v21, v24, s0
	s_mov_b32 s12, exec_lo
	v_cndmask_b32_e64 v10, v25, v22, s0
	v_min_u32_e32 v2, v25, v2
	s_delay_alu instid0(VALU_DEP_1)
	v_lshlrev_b32_e32 v2, 3, v2
	ds_load_b64 v[8:9], v2
	v_cndmask_b32_e64 v2, v11, v18, s19
	s_waitcnt lgkmcnt(0)
	v_cndmask_b32_e64 v7, v23, v9, s0
	v_cndmask_b32_e64 v6, v24, v8, s0
	v_cmpx_lt_u32_e64 v10, v15
	s_cbranch_execz .LBB512_347
; %bb.338:
	v_cndmask_b32_e64 v10, v19, v25, s0
	v_cndmask_b32_e64 v9, v9, v20, s0
	;; [unrolled: 1-line block ×3, first 2 shown]
	s_mov_b32 s19, exec_lo
	s_delay_alu instid0(VALU_DEP_3)
	v_cmpx_lt_u32_e64 v10, v14
	s_cbranch_execz .LBB512_346
; %bb.339:
	s_and_not1_b32 vcc_lo, exec_lo, s7
	s_cbranch_vccnz .LBB512_345
; %bb.340:
	v_mul_lo_u32 v17, v9, s8
	v_mul_lo_u32 v18, v8, s9
	v_mad_u64_u32 v[10:11], null, v8, s8, 0
	v_mul_lo_u32 v19, v7, s8
	v_mul_lo_u32 v20, v6, s9
	v_mad_u64_u32 v[14:15], null, v6, s8, 0
	s_mov_b32 s22, 0
	s_mov_b64 s[20:21], s[8:9]
	s_delay_alu instid0(VALU_DEP_4) | instskip(NEXT) | instid1(VALU_DEP_2)
	v_add3_u32 v11, v11, v18, v17
                                        ; implicit-def: $sgpr23
                                        ; implicit-def: $sgpr24
                                        ; implicit-def: $sgpr25
                                        ; implicit-def: $sgpr26
                                        ; implicit-def: $sgpr27
	v_add3_u32 v15, v15, v20, v19
	s_delay_alu instid0(VALU_DEP_2) | instskip(NEXT) | instid1(VALU_DEP_2)
	v_lshlrev_b64 v[10:11], 3, v[10:11]
	v_lshlrev_b64 v[14:15], 3, v[14:15]
	s_delay_alu instid0(VALU_DEP_2) | instskip(NEXT) | instid1(VALU_DEP_3)
	v_add_co_u32 v10, vcc_lo, s10, v10
	v_add_co_ci_u32_e32 v11, vcc_lo, s11, v11, vcc_lo
	s_delay_alu instid0(VALU_DEP_3) | instskip(NEXT) | instid1(VALU_DEP_4)
	v_add_co_u32 v14, vcc_lo, s10, v14
	v_add_co_ci_u32_e32 v15, vcc_lo, s11, v15, vcc_lo
	s_set_inst_prefetch_distance 0x1
	s_branch .LBB512_342
	.p2align	6
.LBB512_341:                            ;   in Loop: Header=BB512_342 Depth=1
	s_or_b32 exec_lo, exec_lo, s0
	s_delay_alu instid0(SALU_CYCLE_1) | instskip(NEXT) | instid1(SALU_CYCLE_1)
	s_and_b32 s0, exec_lo, s24
	s_or_b32 s22, s0, s22
	s_and_not1_b32 s0, s27, exec_lo
	s_and_b32 s27, s26, exec_lo
	s_and_not1_b32 s23, s23, exec_lo
	s_and_b32 s28, s25, exec_lo
	s_or_b32 s27, s0, s27
	s_or_b32 s23, s23, s28
	s_and_not1_b32 exec_lo, exec_lo, s22
	s_cbranch_execz .LBB512_344
.LBB512_342:                            ; =>This Inner Loop Header: Depth=1
	global_load_b64 v[17:18], v[10:11], off
	global_load_b64 v[19:20], v[14:15], off
	s_and_not1_b32 s25, s25, exec_lo
	s_and_not1_b32 s26, s26, exec_lo
	s_or_b32 s24, s24, exec_lo
	s_waitcnt vmcnt(0)
	v_cmp_le_i64_e32 vcc_lo, v[17:18], v[19:20]
	v_cmp_lt_i64_e64 s0, v[17:18], v[19:20]
	s_and_b32 s28, vcc_lo, s27
	s_delay_alu instid0(VALU_DEP_1) | instid1(SALU_CYCLE_1)
	s_or_b32 s28, s0, s28
	s_delay_alu instid0(SALU_CYCLE_1) | instskip(NEXT) | instid1(SALU_CYCLE_1)
	s_and_b32 s0, s28, exec_lo
	s_or_b32 s25, s25, s0
	s_mov_b32 s0, exec_lo
	v_cmpx_eq_u64_e64 v[17:18], v[19:20]
	s_cbranch_execz .LBB512_341
; %bb.343:                              ;   in Loop: Header=BB512_342 Depth=1
	s_add_u32 s20, s20, -1
	s_addc_u32 s21, s21, -1
	v_add_co_u32 v10, vcc_lo, v10, 8
	s_cmp_eq_u64 s[20:21], 0
	v_add_co_ci_u32_e32 v11, vcc_lo, 0, v11, vcc_lo
	v_add_co_u32 v14, vcc_lo, v14, 8
	s_cselect_b32 s27, -1, 0
	v_add_co_ci_u32_e32 v15, vcc_lo, 0, v15, vcc_lo
	s_and_not1_b32 s26, s26, exec_lo
	s_and_b32 s28, s28, exec_lo
	s_and_not1_b32 s24, s24, exec_lo
	s_and_b32 s27, s27, exec_lo
	s_or_b32 s26, s26, s28
	s_and_not1_b32 s25, s25, exec_lo
	s_or_b32 s24, s24, s27
                                        ; implicit-def: $sgpr27
	s_branch .LBB512_341
.LBB512_344:
	s_set_inst_prefetch_distance 0x2
	s_or_b32 exec_lo, exec_lo, s22
	v_cndmask_b32_e64 v7, v7, v9, s23
	v_cndmask_b32_e64 v6, v6, v8, s23
.LBB512_345:
	s_delay_alu instid0(VALU_DEP_1)
	v_dual_mov_b32 v9, v7 :: v_dual_mov_b32 v8, v6
.LBB512_346:
	s_or_b32 exec_lo, exec_lo, s19
	s_delay_alu instid0(VALU_DEP_1)
	v_dual_mov_b32 v6, v8 :: v_dual_mov_b32 v7, v9
.LBB512_347:
	s_or_b32 exec_lo, exec_lo, s12
.LBB512_348:
	s_delay_alu instid0(SALU_CYCLE_1) | instskip(SKIP_4) | instid1(VALU_DEP_2)
	s_or_b32 exec_lo, exec_lo, s1
	v_and_b32_e32 v19, 0xf00, v27
	v_and_b32_e32 v20, 0xfc, v27
	s_mov_b32 s1, exec_lo
	s_barrier
	v_or_b32_e32 v8, 0x80, v19
	v_lshlrev_b32_e32 v18, 3, v19
	buffer_gl0_inv
	ds_store_b128 v16, v[0:3]
	ds_store_b128 v16, v[4:7] offset:16
	s_waitcnt lgkmcnt(0)
	v_min_u32_e32 v9, 0x380, v8
	v_min_u32_e32 v14, 0x400, v8
	s_barrier
	buffer_gl0_inv
	v_add_nc_u32_e32 v15, 0x80, v9
	v_sub_nc_u32_e32 v8, v14, v19
	s_delay_alu instid0(VALU_DEP_2) | instskip(NEXT) | instid1(VALU_DEP_2)
	v_sub_nc_u32_e32 v9, v15, v14
	v_min_u32_e32 v21, v20, v8
	s_delay_alu instid0(VALU_DEP_2) | instskip(NEXT) | instid1(VALU_DEP_1)
	v_sub_nc_u32_e64 v17, v20, v9 clamp
	v_cmpx_lt_u32_e64 v17, v21
	s_cbranch_execz .LBB512_358
; %bb.349:
	v_lshlrev_b32_e32 v8, 3, v20
	s_lshl_b64 s[20:21], s[8:9], 3
	s_mov_b32 s12, 0
	s_delay_alu instid0(VALU_DEP_1)
	v_lshl_add_u32 v22, v14, 3, v8
	s_branch .LBB512_352
.LBB512_350:                            ;   in Loop: Header=BB512_352 Depth=1
	s_set_inst_prefetch_distance 0x2
	s_or_b32 exec_lo, exec_lo, s19
.LBB512_351:                            ;   in Loop: Header=BB512_352 Depth=1
	s_delay_alu instid0(VALU_DEP_1) | instskip(SKIP_1) | instid1(VALU_DEP_2)
	v_add_nc_u32_e32 v8, 1, v23
	v_cndmask_b32_e64 v21, v21, v23, s24
	v_cndmask_b32_e64 v17, v8, v17, s24
	s_delay_alu instid0(VALU_DEP_1) | instskip(SKIP_1) | instid1(SALU_CYCLE_1)
	v_cmp_ge_u32_e32 vcc_lo, v17, v21
	s_or_b32 s12, vcc_lo, s12
	s_and_not1_b32 exec_lo, exec_lo, s12
	s_cbranch_execz .LBB512_357
.LBB512_352:                            ; =>This Loop Header: Depth=1
                                        ;     Child Loop BB512_355 Depth 2
	v_add_nc_u32_e32 v8, v21, v17
	s_and_not1_b32 vcc_lo, exec_lo, s7
	s_mov_b32 s24, 0
	s_delay_alu instid0(VALU_DEP_1)
	v_lshrrev_b32_e32 v23, 1, v8
	s_cbranch_vccnz .LBB512_351
; %bb.353:                              ;   in Loop: Header=BB512_352 Depth=1
	s_delay_alu instid0(VALU_DEP_1) | instskip(SKIP_3) | instid1(VALU_DEP_2)
	v_not_b32_e32 v8, v23
	v_lshl_add_u32 v9, v23, 3, v18
	s_mov_b32 s19, 0
	s_mov_b64 s[22:23], s[8:9]
                                        ; implicit-def: $sgpr24
                                        ; implicit-def: $sgpr25
                                        ; implicit-def: $sgpr26
                                        ; implicit-def: $sgpr27
                                        ; implicit-def: $sgpr28
	v_lshl_add_u32 v8, v8, 3, v22
	ds_load_b64 v[10:11], v8
	ds_load_b64 v[24:25], v9
	s_waitcnt lgkmcnt(1)
	v_mul_lo_u32 v40, s20, v11
	v_mul_lo_u32 v41, s21, v10
	v_mad_u64_u32 v[8:9], null, s20, v10, s[10:11]
	s_waitcnt lgkmcnt(0)
	v_mul_lo_u32 v25, s20, v25
	v_mul_lo_u32 v42, s21, v24
	v_mad_u64_u32 v[10:11], null, s20, v24, s[10:11]
	s_delay_alu instid0(VALU_DEP_4) | instskip(NEXT) | instid1(VALU_DEP_2)
	v_add3_u32 v9, v41, v9, v40
	v_add3_u32 v11, v42, v11, v25
	s_set_inst_prefetch_distance 0x1
	s_branch .LBB512_355
	.p2align	6
.LBB512_354:                            ;   in Loop: Header=BB512_355 Depth=2
	s_or_b32 exec_lo, exec_lo, s29
	s_delay_alu instid0(SALU_CYCLE_1) | instskip(NEXT) | instid1(SALU_CYCLE_1)
	s_and_b32 s0, exec_lo, s25
	s_or_b32 s19, s0, s19
	s_and_not1_b32 s0, s28, exec_lo
	s_and_b32 s28, s26, exec_lo
	s_and_not1_b32 s24, s24, exec_lo
	s_and_b32 s29, s27, exec_lo
	s_or_b32 s28, s0, s28
	s_or_b32 s24, s24, s29
	s_and_not1_b32 exec_lo, exec_lo, s19
	s_cbranch_execz .LBB512_350
.LBB512_355:                            ;   Parent Loop BB512_352 Depth=1
                                        ; =>  This Inner Loop Header: Depth=2
	global_load_b64 v[24:25], v[8:9], off
	global_load_b64 v[40:41], v[10:11], off
	s_and_not1_b32 s27, s27, exec_lo
	s_and_not1_b32 s26, s26, exec_lo
	s_or_b32 s25, s25, exec_lo
	s_waitcnt vmcnt(0)
	v_cmp_le_i64_e32 vcc_lo, v[24:25], v[40:41]
	v_cmp_lt_i64_e64 s0, v[24:25], v[40:41]
	s_and_b32 s29, vcc_lo, s28
	s_delay_alu instid0(VALU_DEP_1) | instid1(SALU_CYCLE_1)
	s_or_b32 s0, s0, s29
	s_delay_alu instid0(SALU_CYCLE_1) | instskip(NEXT) | instid1(SALU_CYCLE_1)
	s_and_b32 s29, s0, exec_lo
	s_or_b32 s27, s27, s29
	s_mov_b32 s29, exec_lo
	v_cmpx_eq_u64_e64 v[24:25], v[40:41]
	s_cbranch_execz .LBB512_354
; %bb.356:                              ;   in Loop: Header=BB512_355 Depth=2
	s_add_u32 s22, s22, -1
	s_addc_u32 s23, s23, -1
	v_add_co_u32 v8, vcc_lo, v8, 8
	v_add_co_ci_u32_e32 v9, vcc_lo, 0, v9, vcc_lo
	s_cmp_eq_u64 s[22:23], 0
	v_add_co_u32 v10, vcc_lo, v10, 8
	s_cselect_b32 s28, -1, 0
	v_add_co_ci_u32_e32 v11, vcc_lo, 0, v11, vcc_lo
	s_and_not1_b32 s26, s26, exec_lo
	s_and_b32 s0, s0, exec_lo
	s_and_not1_b32 s25, s25, exec_lo
	s_and_b32 s28, s28, exec_lo
	s_and_not1_b32 s27, s27, exec_lo
	s_or_b32 s26, s26, s0
	s_or_b32 s25, s25, s28
                                        ; implicit-def: $sgpr28
	s_branch .LBB512_354
.LBB512_357:
	s_or_b32 exec_lo, exec_lo, s12
.LBB512_358:
	s_delay_alu instid0(SALU_CYCLE_1) | instskip(SKIP_2) | instid1(VALU_DEP_2)
	s_or_b32 exec_lo, exec_lo, s1
	v_sub_nc_u32_e32 v9, v20, v17
	v_add_nc_u32_e32 v8, v17, v19
	v_add_nc_u32_e32 v9, v9, v14
	s_delay_alu instid0(VALU_DEP_2) | instskip(NEXT) | instid1(VALU_DEP_2)
	v_cmp_le_u32_e32 vcc_lo, v8, v14
	v_cmp_le_u32_e64 s0, v9, v15
	s_delay_alu instid0(VALU_DEP_1) | instskip(NEXT) | instid1(SALU_CYCLE_1)
	s_or_b32 s0, vcc_lo, s0
	s_and_saveexec_b32 s1, s0
	s_cbranch_execz .LBB512_405
; %bb.359:
	v_cmp_ge_u32_e32 vcc_lo, v8, v14
	s_mov_b32 s12, exec_lo
                                        ; implicit-def: $vgpr0_vgpr1
	v_cmpx_lt_u32_e64 v8, v14
	s_cbranch_execz .LBB512_361
; %bb.360:
	v_lshl_add_u32 v0, v17, 3, v18
	ds_load_b64 v[0:1], v0
.LBB512_361:
	s_or_b32 exec_lo, exec_lo, s12
	v_cmp_ge_u32_e64 s12, v9, v15
	s_mov_b32 s19, exec_lo
                                        ; implicit-def: $vgpr4_vgpr5
	v_cmpx_lt_u32_e64 v9, v15
	s_cbranch_execz .LBB512_363
; %bb.362:
	v_lshlrev_b32_e32 v2, 3, v9
	ds_load_b64 v[4:5], v2
.LBB512_363:
	s_or_b32 exec_lo, exec_lo, s19
	s_or_b32 s0, vcc_lo, s12
	s_mov_b32 s19, -1
	s_xor_b32 s0, s0, -1
	s_delay_alu instid0(SALU_CYCLE_1)
	s_and_saveexec_b32 s22, s0
	s_cbranch_execz .LBB512_372
; %bb.364:
	s_and_not1_b32 vcc_lo, exec_lo, s7
	s_cbranch_vccnz .LBB512_370
; %bb.365:
	s_waitcnt lgkmcnt(0)
	v_mul_lo_u32 v10, v5, s8
	v_mul_lo_u32 v11, v4, s9
	v_mad_u64_u32 v[2:3], null, v4, s8, 0
	v_mul_lo_u32 v17, v1, s8
	v_mul_lo_u32 v18, v0, s9
	v_mad_u64_u32 v[6:7], null, v0, s8, 0
	s_mov_b32 s23, 0
	s_mov_b64 s[20:21], s[8:9]
	s_delay_alu instid0(VALU_DEP_4) | instskip(NEXT) | instid1(VALU_DEP_2)
	v_add3_u32 v3, v3, v11, v10
                                        ; implicit-def: $sgpr24
                                        ; implicit-def: $sgpr25
                                        ; implicit-def: $sgpr26
                                        ; implicit-def: $sgpr27
                                        ; implicit-def: $sgpr28
	v_add3_u32 v7, v7, v18, v17
	s_delay_alu instid0(VALU_DEP_2) | instskip(NEXT) | instid1(VALU_DEP_2)
	v_lshlrev_b64 v[2:3], 3, v[2:3]
	v_lshlrev_b64 v[6:7], 3, v[6:7]
	s_delay_alu instid0(VALU_DEP_2) | instskip(NEXT) | instid1(VALU_DEP_3)
	v_add_co_u32 v2, vcc_lo, s10, v2
	v_add_co_ci_u32_e32 v3, vcc_lo, s11, v3, vcc_lo
	s_delay_alu instid0(VALU_DEP_3) | instskip(NEXT) | instid1(VALU_DEP_4)
	v_add_co_u32 v6, vcc_lo, s10, v6
	v_add_co_ci_u32_e32 v7, vcc_lo, s11, v7, vcc_lo
	s_set_inst_prefetch_distance 0x1
	s_branch .LBB512_367
	.p2align	6
.LBB512_366:                            ;   in Loop: Header=BB512_367 Depth=1
	s_or_b32 exec_lo, exec_lo, s0
	s_delay_alu instid0(SALU_CYCLE_1) | instskip(NEXT) | instid1(SALU_CYCLE_1)
	s_and_b32 s0, exec_lo, s25
	s_or_b32 s23, s0, s23
	s_and_not1_b32 s0, s28, exec_lo
	s_and_b32 s28, s27, exec_lo
	s_and_not1_b32 s24, s24, exec_lo
	s_and_b32 s29, s26, exec_lo
	s_or_b32 s28, s0, s28
	s_or_b32 s24, s24, s29
	s_and_not1_b32 exec_lo, exec_lo, s23
	s_cbranch_execz .LBB512_369
.LBB512_367:                            ; =>This Inner Loop Header: Depth=1
	global_load_b64 v[10:11], v[2:3], off
	global_load_b64 v[17:18], v[6:7], off
	s_and_not1_b32 s26, s26, exec_lo
	s_and_not1_b32 s27, s27, exec_lo
	s_or_b32 s25, s25, exec_lo
	s_waitcnt vmcnt(0)
	v_cmp_le_i64_e32 vcc_lo, v[10:11], v[17:18]
	v_cmp_lt_i64_e64 s0, v[10:11], v[17:18]
	s_and_b32 s29, vcc_lo, s28
	s_delay_alu instid0(VALU_DEP_1) | instid1(SALU_CYCLE_1)
	s_or_b32 s29, s0, s29
	s_delay_alu instid0(SALU_CYCLE_1) | instskip(NEXT) | instid1(SALU_CYCLE_1)
	s_and_b32 s0, s29, exec_lo
	s_or_b32 s26, s26, s0
	s_mov_b32 s0, exec_lo
	v_cmpx_eq_u64_e64 v[10:11], v[17:18]
	s_cbranch_execz .LBB512_366
; %bb.368:                              ;   in Loop: Header=BB512_367 Depth=1
	s_add_u32 s20, s20, -1
	s_addc_u32 s21, s21, -1
	v_add_co_u32 v2, vcc_lo, v2, 8
	s_cmp_eq_u64 s[20:21], 0
	v_add_co_ci_u32_e32 v3, vcc_lo, 0, v3, vcc_lo
	v_add_co_u32 v6, vcc_lo, v6, 8
	s_cselect_b32 s28, -1, 0
	v_add_co_ci_u32_e32 v7, vcc_lo, 0, v7, vcc_lo
	s_and_not1_b32 s27, s27, exec_lo
	s_and_b32 s29, s29, exec_lo
	s_and_not1_b32 s25, s25, exec_lo
	s_and_b32 s28, s28, exec_lo
	s_or_b32 s27, s27, s29
	s_and_not1_b32 s26, s26, exec_lo
	s_or_b32 s25, s25, s28
                                        ; implicit-def: $sgpr28
	s_branch .LBB512_366
.LBB512_369:
	s_set_inst_prefetch_distance 0x2
	s_or_b32 exec_lo, exec_lo, s23
	s_xor_b32 s0, s24, -1
	s_branch .LBB512_371
.LBB512_370:
	s_mov_b32 s0, -1
.LBB512_371:
	s_and_not1_b32 s12, s12, exec_lo
	s_and_b32 s0, s0, exec_lo
	s_delay_alu instid0(SALU_CYCLE_1)
	s_or_b32 s12, s12, s0
.LBB512_372:
	s_or_b32 exec_lo, exec_lo, s22
	v_cndmask_b32_e64 v2, v9, v8, s12
	v_cndmask_b32_e64 v3, v15, v14, s12
	s_mov_b32 s22, exec_lo
	s_delay_alu instid0(VALU_DEP_2) | instskip(NEXT) | instid1(VALU_DEP_2)
	v_add_nc_u32_e32 v6, 1, v2
	v_add_nc_u32_e32 v2, -1, v3
	s_delay_alu instid0(VALU_DEP_2) | instskip(NEXT) | instid1(VALU_DEP_2)
	v_cndmask_b32_e64 v9, v6, v9, s12
	v_min_u32_e32 v2, v6, v2
	v_cndmask_b32_e64 v8, v8, v6, s12
	s_delay_alu instid0(VALU_DEP_2)
	v_lshlrev_b32_e32 v2, 3, v2
	ds_load_b64 v[2:3], v2
	s_waitcnt lgkmcnt(0)
	v_cndmask_b32_e64 v10, v3, v5, s12
	v_cndmask_b32_e64 v11, v2, v4, s12
	;; [unrolled: 1-line block ×4, first 2 shown]
	v_cmpx_lt_u32_e64 v9, v15
	s_cbranch_execz .LBB512_383
; %bb.373:
	s_mov_b32 s0, 0
	s_mov_b32 s19, exec_lo
	v_cmpx_lt_u32_e64 v8, v14
	s_cbranch_execz .LBB512_382
; %bb.374:
	s_and_not1_b32 vcc_lo, exec_lo, s7
	s_cbranch_vccnz .LBB512_380
; %bb.375:
	v_mul_lo_u32 v19, v10, s8
	v_mul_lo_u32 v20, v11, s9
	v_mad_u64_u32 v[2:3], null, v11, s8, 0
	v_mul_lo_u32 v21, v17, s8
	v_mul_lo_u32 v22, v18, s9
	v_mad_u64_u32 v[6:7], null, v18, s8, 0
	s_mov_b32 s23, 0
	s_mov_b64 s[20:21], s[8:9]
	s_delay_alu instid0(VALU_DEP_4) | instskip(NEXT) | instid1(VALU_DEP_2)
	v_add3_u32 v3, v3, v20, v19
                                        ; implicit-def: $sgpr24
                                        ; implicit-def: $sgpr25
                                        ; implicit-def: $sgpr26
                                        ; implicit-def: $sgpr27
                                        ; implicit-def: $sgpr28
	v_add3_u32 v7, v7, v22, v21
	s_delay_alu instid0(VALU_DEP_2) | instskip(NEXT) | instid1(VALU_DEP_2)
	v_lshlrev_b64 v[2:3], 3, v[2:3]
	v_lshlrev_b64 v[6:7], 3, v[6:7]
	s_delay_alu instid0(VALU_DEP_2) | instskip(NEXT) | instid1(VALU_DEP_3)
	v_add_co_u32 v2, vcc_lo, s10, v2
	v_add_co_ci_u32_e32 v3, vcc_lo, s11, v3, vcc_lo
	s_delay_alu instid0(VALU_DEP_3) | instskip(NEXT) | instid1(VALU_DEP_4)
	v_add_co_u32 v6, vcc_lo, s10, v6
	v_add_co_ci_u32_e32 v7, vcc_lo, s11, v7, vcc_lo
	s_set_inst_prefetch_distance 0x1
	s_branch .LBB512_377
	.p2align	6
.LBB512_376:                            ;   in Loop: Header=BB512_377 Depth=1
	s_or_b32 exec_lo, exec_lo, s0
	s_delay_alu instid0(SALU_CYCLE_1) | instskip(NEXT) | instid1(SALU_CYCLE_1)
	s_and_b32 s0, exec_lo, s25
	s_or_b32 s23, s0, s23
	s_and_not1_b32 s0, s28, exec_lo
	s_and_b32 s28, s27, exec_lo
	s_and_not1_b32 s24, s24, exec_lo
	s_and_b32 s29, s26, exec_lo
	s_or_b32 s28, s0, s28
	s_or_b32 s24, s24, s29
	s_and_not1_b32 exec_lo, exec_lo, s23
	s_cbranch_execz .LBB512_379
.LBB512_377:                            ; =>This Inner Loop Header: Depth=1
	global_load_b64 v[19:20], v[2:3], off
	global_load_b64 v[21:22], v[6:7], off
	s_and_not1_b32 s26, s26, exec_lo
	s_and_not1_b32 s27, s27, exec_lo
	s_or_b32 s25, s25, exec_lo
	s_waitcnt vmcnt(0)
	v_cmp_le_i64_e32 vcc_lo, v[19:20], v[21:22]
	v_cmp_lt_i64_e64 s0, v[19:20], v[21:22]
	s_and_b32 s29, vcc_lo, s28
	s_delay_alu instid0(VALU_DEP_1) | instid1(SALU_CYCLE_1)
	s_or_b32 s29, s0, s29
	s_delay_alu instid0(SALU_CYCLE_1) | instskip(NEXT) | instid1(SALU_CYCLE_1)
	s_and_b32 s0, s29, exec_lo
	s_or_b32 s26, s26, s0
	s_mov_b32 s0, exec_lo
	v_cmpx_eq_u64_e64 v[19:20], v[21:22]
	s_cbranch_execz .LBB512_376
; %bb.378:                              ;   in Loop: Header=BB512_377 Depth=1
	s_add_u32 s20, s20, -1
	s_addc_u32 s21, s21, -1
	v_add_co_u32 v2, vcc_lo, v2, 8
	s_cmp_eq_u64 s[20:21], 0
	v_add_co_ci_u32_e32 v3, vcc_lo, 0, v3, vcc_lo
	v_add_co_u32 v6, vcc_lo, v6, 8
	s_cselect_b32 s28, -1, 0
	v_add_co_ci_u32_e32 v7, vcc_lo, 0, v7, vcc_lo
	s_and_not1_b32 s27, s27, exec_lo
	s_and_b32 s29, s29, exec_lo
	s_and_not1_b32 s25, s25, exec_lo
	s_and_b32 s28, s28, exec_lo
	s_or_b32 s27, s27, s29
	s_and_not1_b32 s26, s26, exec_lo
	s_or_b32 s25, s25, s28
                                        ; implicit-def: $sgpr28
	s_branch .LBB512_376
.LBB512_379:
	s_set_inst_prefetch_distance 0x2
	s_or_b32 exec_lo, exec_lo, s23
	s_xor_b32 s0, s24, -1
	s_branch .LBB512_381
.LBB512_380:
	s_mov_b32 s0, -1
.LBB512_381:
	s_delay_alu instid0(SALU_CYCLE_1)
	s_and_b32 s0, s0, exec_lo
.LBB512_382:
	s_or_b32 exec_lo, exec_lo, s19
	s_delay_alu instid0(SALU_CYCLE_1)
	s_or_not1_b32 s19, s0, exec_lo
.LBB512_383:
	s_or_b32 exec_lo, exec_lo, s22
	v_cndmask_b32_e64 v2, v9, v8, s19
	v_cndmask_b32_e64 v3, v15, v14, s19
	s_mov_b32 s0, -1
	s_mov_b32 s22, exec_lo
	s_delay_alu instid0(VALU_DEP_2) | instskip(NEXT) | instid1(VALU_DEP_2)
	v_add_nc_u32_e32 v6, 1, v2
	v_add_nc_u32_e32 v2, -1, v3
	s_delay_alu instid0(VALU_DEP_2) | instskip(NEXT) | instid1(VALU_DEP_2)
	v_cndmask_b32_e64 v22, v6, v9, s19
	v_min_u32_e32 v2, v6, v2
	v_cndmask_b32_e64 v19, v8, v6, s19
	s_delay_alu instid0(VALU_DEP_2)
	v_lshlrev_b32_e32 v2, 3, v2
	ds_load_b64 v[2:3], v2
	s_waitcnt lgkmcnt(0)
	v_cndmask_b32_e64 v20, v3, v10, s19
	v_cndmask_b32_e64 v21, v2, v11, s19
	;; [unrolled: 1-line block ×4, first 2 shown]
	v_cmpx_lt_u32_e64 v22, v15
	s_cbranch_execz .LBB512_394
; %bb.384:
	s_mov_b32 s0, 0
	s_mov_b32 s23, exec_lo
	v_cmpx_lt_u32_e64 v19, v14
	s_cbranch_execz .LBB512_393
; %bb.385:
	s_and_not1_b32 vcc_lo, exec_lo, s7
	s_cbranch_vccnz .LBB512_391
; %bb.386:
	v_mul_lo_u32 v8, v20, s8
	v_mul_lo_u32 v9, v21, s9
	v_mad_u64_u32 v[2:3], null, v21, s8, 0
	v_mul_lo_u32 v25, v23, s8
	v_mul_lo_u32 v40, v24, s9
	v_mad_u64_u32 v[6:7], null, v24, s8, 0
	s_mov_b32 s24, 0
	s_mov_b64 s[20:21], s[8:9]
	s_delay_alu instid0(VALU_DEP_4) | instskip(NEXT) | instid1(VALU_DEP_2)
	v_add3_u32 v3, v3, v9, v8
                                        ; implicit-def: $sgpr25
                                        ; implicit-def: $sgpr26
                                        ; implicit-def: $sgpr27
                                        ; implicit-def: $sgpr28
                                        ; implicit-def: $sgpr29
	v_add3_u32 v7, v7, v40, v25
	s_delay_alu instid0(VALU_DEP_2) | instskip(NEXT) | instid1(VALU_DEP_2)
	v_lshlrev_b64 v[2:3], 3, v[2:3]
	v_lshlrev_b64 v[6:7], 3, v[6:7]
	s_delay_alu instid0(VALU_DEP_2) | instskip(NEXT) | instid1(VALU_DEP_3)
	v_add_co_u32 v2, vcc_lo, s10, v2
	v_add_co_ci_u32_e32 v3, vcc_lo, s11, v3, vcc_lo
	s_delay_alu instid0(VALU_DEP_3) | instskip(NEXT) | instid1(VALU_DEP_4)
	v_add_co_u32 v6, vcc_lo, s10, v6
	v_add_co_ci_u32_e32 v7, vcc_lo, s11, v7, vcc_lo
	s_set_inst_prefetch_distance 0x1
	s_branch .LBB512_388
	.p2align	6
.LBB512_387:                            ;   in Loop: Header=BB512_388 Depth=1
	s_or_b32 exec_lo, exec_lo, s0
	s_delay_alu instid0(SALU_CYCLE_1) | instskip(NEXT) | instid1(SALU_CYCLE_1)
	s_and_b32 s0, exec_lo, s26
	s_or_b32 s24, s0, s24
	s_and_not1_b32 s0, s29, exec_lo
	s_and_b32 s29, s28, exec_lo
	s_and_not1_b32 s25, s25, exec_lo
	s_and_b32 s30, s27, exec_lo
	s_or_b32 s29, s0, s29
	s_or_b32 s25, s25, s30
	s_and_not1_b32 exec_lo, exec_lo, s24
	s_cbranch_execz .LBB512_390
.LBB512_388:                            ; =>This Inner Loop Header: Depth=1
	global_load_b64 v[8:9], v[2:3], off
	global_load_b64 v[40:41], v[6:7], off
	s_and_not1_b32 s27, s27, exec_lo
	s_and_not1_b32 s28, s28, exec_lo
	s_or_b32 s26, s26, exec_lo
	s_waitcnt vmcnt(0)
	v_cmp_le_i64_e32 vcc_lo, v[8:9], v[40:41]
	v_cmp_lt_i64_e64 s0, v[8:9], v[40:41]
	s_and_b32 s30, vcc_lo, s29
	s_delay_alu instid0(VALU_DEP_1) | instid1(SALU_CYCLE_1)
	s_or_b32 s30, s0, s30
	s_delay_alu instid0(SALU_CYCLE_1) | instskip(NEXT) | instid1(SALU_CYCLE_1)
	s_and_b32 s0, s30, exec_lo
	s_or_b32 s27, s27, s0
	s_mov_b32 s0, exec_lo
	v_cmpx_eq_u64_e64 v[8:9], v[40:41]
	s_cbranch_execz .LBB512_387
; %bb.389:                              ;   in Loop: Header=BB512_388 Depth=1
	s_add_u32 s20, s20, -1
	s_addc_u32 s21, s21, -1
	v_add_co_u32 v2, vcc_lo, v2, 8
	s_cmp_eq_u64 s[20:21], 0
	v_add_co_ci_u32_e32 v3, vcc_lo, 0, v3, vcc_lo
	v_add_co_u32 v6, vcc_lo, v6, 8
	s_cselect_b32 s29, -1, 0
	v_add_co_ci_u32_e32 v7, vcc_lo, 0, v7, vcc_lo
	s_and_not1_b32 s28, s28, exec_lo
	s_and_b32 s30, s30, exec_lo
	s_and_not1_b32 s26, s26, exec_lo
	s_and_b32 s29, s29, exec_lo
	s_or_b32 s28, s28, s30
	s_and_not1_b32 s27, s27, exec_lo
	s_or_b32 s26, s26, s29
                                        ; implicit-def: $sgpr29
	s_branch .LBB512_387
.LBB512_390:
	s_set_inst_prefetch_distance 0x2
	s_or_b32 exec_lo, exec_lo, s24
	s_xor_b32 s0, s25, -1
	s_branch .LBB512_392
.LBB512_391:
	s_mov_b32 s0, -1
.LBB512_392:
	s_delay_alu instid0(SALU_CYCLE_1)
	s_and_b32 s0, s0, exec_lo
.LBB512_393:
	s_or_b32 exec_lo, exec_lo, s23
	s_delay_alu instid0(SALU_CYCLE_1)
	s_or_not1_b32 s0, s0, exec_lo
.LBB512_394:
	s_or_b32 exec_lo, exec_lo, s22
	v_cndmask_b32_e64 v2, v22, v19, s0
	v_cndmask_b32_e64 v3, v15, v14, s0
	;; [unrolled: 1-line block ×5, first 2 shown]
	v_add_nc_u32_e32 v25, 1, v2
	v_add_nc_u32_e32 v2, -1, v3
	v_cndmask_b32_e64 v3, v10, v17, s19
	v_cndmask_b32_e64 v4, v21, v24, s0
	s_mov_b32 s12, exec_lo
	v_cndmask_b32_e64 v10, v25, v22, s0
	v_min_u32_e32 v2, v25, v2
	s_delay_alu instid0(VALU_DEP_1)
	v_lshlrev_b32_e32 v2, 3, v2
	ds_load_b64 v[8:9], v2
	v_cndmask_b32_e64 v2, v11, v18, s19
	s_waitcnt lgkmcnt(0)
	v_cndmask_b32_e64 v7, v23, v9, s0
	v_cndmask_b32_e64 v6, v24, v8, s0
	v_cmpx_lt_u32_e64 v10, v15
	s_cbranch_execz .LBB512_404
; %bb.395:
	v_cndmask_b32_e64 v10, v19, v25, s0
	v_cndmask_b32_e64 v9, v9, v20, s0
	;; [unrolled: 1-line block ×3, first 2 shown]
	s_mov_b32 s19, exec_lo
	s_delay_alu instid0(VALU_DEP_3)
	v_cmpx_lt_u32_e64 v10, v14
	s_cbranch_execz .LBB512_403
; %bb.396:
	s_and_not1_b32 vcc_lo, exec_lo, s7
	s_cbranch_vccnz .LBB512_402
; %bb.397:
	v_mul_lo_u32 v17, v9, s8
	v_mul_lo_u32 v18, v8, s9
	v_mad_u64_u32 v[10:11], null, v8, s8, 0
	v_mul_lo_u32 v19, v7, s8
	v_mul_lo_u32 v20, v6, s9
	v_mad_u64_u32 v[14:15], null, v6, s8, 0
	s_mov_b32 s22, 0
	s_mov_b64 s[20:21], s[8:9]
	s_delay_alu instid0(VALU_DEP_4) | instskip(NEXT) | instid1(VALU_DEP_2)
	v_add3_u32 v11, v11, v18, v17
                                        ; implicit-def: $sgpr23
                                        ; implicit-def: $sgpr24
                                        ; implicit-def: $sgpr25
                                        ; implicit-def: $sgpr26
                                        ; implicit-def: $sgpr27
	v_add3_u32 v15, v15, v20, v19
	s_delay_alu instid0(VALU_DEP_2) | instskip(NEXT) | instid1(VALU_DEP_2)
	v_lshlrev_b64 v[10:11], 3, v[10:11]
	v_lshlrev_b64 v[14:15], 3, v[14:15]
	s_delay_alu instid0(VALU_DEP_2) | instskip(NEXT) | instid1(VALU_DEP_3)
	v_add_co_u32 v10, vcc_lo, s10, v10
	v_add_co_ci_u32_e32 v11, vcc_lo, s11, v11, vcc_lo
	s_delay_alu instid0(VALU_DEP_3) | instskip(NEXT) | instid1(VALU_DEP_4)
	v_add_co_u32 v14, vcc_lo, s10, v14
	v_add_co_ci_u32_e32 v15, vcc_lo, s11, v15, vcc_lo
	s_set_inst_prefetch_distance 0x1
	s_branch .LBB512_399
	.p2align	6
.LBB512_398:                            ;   in Loop: Header=BB512_399 Depth=1
	s_or_b32 exec_lo, exec_lo, s0
	s_delay_alu instid0(SALU_CYCLE_1) | instskip(NEXT) | instid1(SALU_CYCLE_1)
	s_and_b32 s0, exec_lo, s24
	s_or_b32 s22, s0, s22
	s_and_not1_b32 s0, s27, exec_lo
	s_and_b32 s27, s26, exec_lo
	s_and_not1_b32 s23, s23, exec_lo
	s_and_b32 s28, s25, exec_lo
	s_or_b32 s27, s0, s27
	s_or_b32 s23, s23, s28
	s_and_not1_b32 exec_lo, exec_lo, s22
	s_cbranch_execz .LBB512_401
.LBB512_399:                            ; =>This Inner Loop Header: Depth=1
	global_load_b64 v[17:18], v[10:11], off
	global_load_b64 v[19:20], v[14:15], off
	s_and_not1_b32 s25, s25, exec_lo
	s_and_not1_b32 s26, s26, exec_lo
	s_or_b32 s24, s24, exec_lo
	s_waitcnt vmcnt(0)
	v_cmp_le_i64_e32 vcc_lo, v[17:18], v[19:20]
	v_cmp_lt_i64_e64 s0, v[17:18], v[19:20]
	s_and_b32 s28, vcc_lo, s27
	s_delay_alu instid0(VALU_DEP_1) | instid1(SALU_CYCLE_1)
	s_or_b32 s28, s0, s28
	s_delay_alu instid0(SALU_CYCLE_1) | instskip(NEXT) | instid1(SALU_CYCLE_1)
	s_and_b32 s0, s28, exec_lo
	s_or_b32 s25, s25, s0
	s_mov_b32 s0, exec_lo
	v_cmpx_eq_u64_e64 v[17:18], v[19:20]
	s_cbranch_execz .LBB512_398
; %bb.400:                              ;   in Loop: Header=BB512_399 Depth=1
	s_add_u32 s20, s20, -1
	s_addc_u32 s21, s21, -1
	v_add_co_u32 v10, vcc_lo, v10, 8
	s_cmp_eq_u64 s[20:21], 0
	v_add_co_ci_u32_e32 v11, vcc_lo, 0, v11, vcc_lo
	v_add_co_u32 v14, vcc_lo, v14, 8
	s_cselect_b32 s27, -1, 0
	v_add_co_ci_u32_e32 v15, vcc_lo, 0, v15, vcc_lo
	s_and_not1_b32 s26, s26, exec_lo
	s_and_b32 s28, s28, exec_lo
	s_and_not1_b32 s24, s24, exec_lo
	s_and_b32 s27, s27, exec_lo
	s_or_b32 s26, s26, s28
	s_and_not1_b32 s25, s25, exec_lo
	s_or_b32 s24, s24, s27
                                        ; implicit-def: $sgpr27
	s_branch .LBB512_398
.LBB512_401:
	s_set_inst_prefetch_distance 0x2
	s_or_b32 exec_lo, exec_lo, s22
	v_cndmask_b32_e64 v7, v7, v9, s23
	v_cndmask_b32_e64 v6, v6, v8, s23
.LBB512_402:
	s_delay_alu instid0(VALU_DEP_1)
	v_dual_mov_b32 v9, v7 :: v_dual_mov_b32 v8, v6
.LBB512_403:
	s_or_b32 exec_lo, exec_lo, s19
	s_delay_alu instid0(VALU_DEP_1)
	v_dual_mov_b32 v6, v8 :: v_dual_mov_b32 v7, v9
.LBB512_404:
	s_or_b32 exec_lo, exec_lo, s12
.LBB512_405:
	s_delay_alu instid0(SALU_CYCLE_1) | instskip(SKIP_4) | instid1(VALU_DEP_2)
	s_or_b32 exec_lo, exec_lo, s1
	v_and_b32_e32 v19, 0xe00, v27
	v_and_b32_e32 v20, 0x1fc, v27
	s_mov_b32 s1, exec_lo
	s_barrier
	v_or_b32_e32 v8, 0x100, v19
	v_lshlrev_b32_e32 v18, 3, v19
	buffer_gl0_inv
	ds_store_b128 v16, v[0:3]
	ds_store_b128 v16, v[4:7] offset:16
	s_waitcnt lgkmcnt(0)
	v_min_u32_e32 v9, 0x300, v8
	v_min_u32_e32 v14, 0x400, v8
	s_barrier
	buffer_gl0_inv
	v_add_nc_u32_e32 v15, 0x100, v9
	v_sub_nc_u32_e32 v8, v14, v19
	s_delay_alu instid0(VALU_DEP_2) | instskip(NEXT) | instid1(VALU_DEP_2)
	v_sub_nc_u32_e32 v9, v15, v14
	v_min_u32_e32 v21, v20, v8
	s_delay_alu instid0(VALU_DEP_2) | instskip(NEXT) | instid1(VALU_DEP_1)
	v_sub_nc_u32_e64 v17, v20, v9 clamp
	v_cmpx_lt_u32_e64 v17, v21
	s_cbranch_execz .LBB512_415
; %bb.406:
	v_lshlrev_b32_e32 v8, 3, v20
	s_lshl_b64 s[20:21], s[8:9], 3
	s_mov_b32 s12, 0
	s_delay_alu instid0(VALU_DEP_1)
	v_lshl_add_u32 v22, v14, 3, v8
	s_branch .LBB512_409
.LBB512_407:                            ;   in Loop: Header=BB512_409 Depth=1
	s_set_inst_prefetch_distance 0x2
	s_or_b32 exec_lo, exec_lo, s19
.LBB512_408:                            ;   in Loop: Header=BB512_409 Depth=1
	s_delay_alu instid0(VALU_DEP_1) | instskip(SKIP_1) | instid1(VALU_DEP_2)
	v_add_nc_u32_e32 v8, 1, v23
	v_cndmask_b32_e64 v21, v21, v23, s24
	v_cndmask_b32_e64 v17, v8, v17, s24
	s_delay_alu instid0(VALU_DEP_1) | instskip(SKIP_1) | instid1(SALU_CYCLE_1)
	v_cmp_ge_u32_e32 vcc_lo, v17, v21
	s_or_b32 s12, vcc_lo, s12
	s_and_not1_b32 exec_lo, exec_lo, s12
	s_cbranch_execz .LBB512_414
.LBB512_409:                            ; =>This Loop Header: Depth=1
                                        ;     Child Loop BB512_412 Depth 2
	v_add_nc_u32_e32 v8, v21, v17
	s_and_not1_b32 vcc_lo, exec_lo, s7
	s_mov_b32 s24, 0
	s_delay_alu instid0(VALU_DEP_1)
	v_lshrrev_b32_e32 v23, 1, v8
	s_cbranch_vccnz .LBB512_408
; %bb.410:                              ;   in Loop: Header=BB512_409 Depth=1
	s_delay_alu instid0(VALU_DEP_1) | instskip(SKIP_3) | instid1(VALU_DEP_2)
	v_not_b32_e32 v8, v23
	v_lshl_add_u32 v9, v23, 3, v18
	s_mov_b32 s19, 0
	s_mov_b64 s[22:23], s[8:9]
                                        ; implicit-def: $sgpr24
                                        ; implicit-def: $sgpr25
                                        ; implicit-def: $sgpr26
                                        ; implicit-def: $sgpr27
                                        ; implicit-def: $sgpr28
	v_lshl_add_u32 v8, v8, 3, v22
	ds_load_b64 v[10:11], v8
	ds_load_b64 v[24:25], v9
	s_waitcnt lgkmcnt(1)
	v_mul_lo_u32 v40, s20, v11
	v_mul_lo_u32 v41, s21, v10
	v_mad_u64_u32 v[8:9], null, s20, v10, s[10:11]
	s_waitcnt lgkmcnt(0)
	v_mul_lo_u32 v25, s20, v25
	v_mul_lo_u32 v42, s21, v24
	v_mad_u64_u32 v[10:11], null, s20, v24, s[10:11]
	s_delay_alu instid0(VALU_DEP_4) | instskip(NEXT) | instid1(VALU_DEP_2)
	v_add3_u32 v9, v41, v9, v40
	v_add3_u32 v11, v42, v11, v25
	s_set_inst_prefetch_distance 0x1
	s_branch .LBB512_412
	.p2align	6
.LBB512_411:                            ;   in Loop: Header=BB512_412 Depth=2
	s_or_b32 exec_lo, exec_lo, s29
	s_delay_alu instid0(SALU_CYCLE_1) | instskip(NEXT) | instid1(SALU_CYCLE_1)
	s_and_b32 s0, exec_lo, s25
	s_or_b32 s19, s0, s19
	s_and_not1_b32 s0, s28, exec_lo
	s_and_b32 s28, s26, exec_lo
	s_and_not1_b32 s24, s24, exec_lo
	s_and_b32 s29, s27, exec_lo
	s_or_b32 s28, s0, s28
	s_or_b32 s24, s24, s29
	s_and_not1_b32 exec_lo, exec_lo, s19
	s_cbranch_execz .LBB512_407
.LBB512_412:                            ;   Parent Loop BB512_409 Depth=1
                                        ; =>  This Inner Loop Header: Depth=2
	global_load_b64 v[24:25], v[8:9], off
	global_load_b64 v[40:41], v[10:11], off
	s_and_not1_b32 s27, s27, exec_lo
	s_and_not1_b32 s26, s26, exec_lo
	s_or_b32 s25, s25, exec_lo
	s_waitcnt vmcnt(0)
	v_cmp_le_i64_e32 vcc_lo, v[24:25], v[40:41]
	v_cmp_lt_i64_e64 s0, v[24:25], v[40:41]
	s_and_b32 s29, vcc_lo, s28
	s_delay_alu instid0(VALU_DEP_1) | instid1(SALU_CYCLE_1)
	s_or_b32 s0, s0, s29
	s_delay_alu instid0(SALU_CYCLE_1) | instskip(NEXT) | instid1(SALU_CYCLE_1)
	s_and_b32 s29, s0, exec_lo
	s_or_b32 s27, s27, s29
	s_mov_b32 s29, exec_lo
	v_cmpx_eq_u64_e64 v[24:25], v[40:41]
	s_cbranch_execz .LBB512_411
; %bb.413:                              ;   in Loop: Header=BB512_412 Depth=2
	s_add_u32 s22, s22, -1
	s_addc_u32 s23, s23, -1
	v_add_co_u32 v8, vcc_lo, v8, 8
	v_add_co_ci_u32_e32 v9, vcc_lo, 0, v9, vcc_lo
	s_cmp_eq_u64 s[22:23], 0
	v_add_co_u32 v10, vcc_lo, v10, 8
	s_cselect_b32 s28, -1, 0
	v_add_co_ci_u32_e32 v11, vcc_lo, 0, v11, vcc_lo
	s_and_not1_b32 s26, s26, exec_lo
	s_and_b32 s0, s0, exec_lo
	s_and_not1_b32 s25, s25, exec_lo
	s_and_b32 s28, s28, exec_lo
	s_and_not1_b32 s27, s27, exec_lo
	s_or_b32 s26, s26, s0
	s_or_b32 s25, s25, s28
                                        ; implicit-def: $sgpr28
	s_branch .LBB512_411
.LBB512_414:
	s_or_b32 exec_lo, exec_lo, s12
.LBB512_415:
	s_delay_alu instid0(SALU_CYCLE_1) | instskip(SKIP_2) | instid1(VALU_DEP_2)
	s_or_b32 exec_lo, exec_lo, s1
	v_sub_nc_u32_e32 v9, v20, v17
	v_add_nc_u32_e32 v8, v17, v19
	v_add_nc_u32_e32 v9, v9, v14
	s_delay_alu instid0(VALU_DEP_2) | instskip(NEXT) | instid1(VALU_DEP_2)
	v_cmp_le_u32_e32 vcc_lo, v8, v14
	v_cmp_le_u32_e64 s0, v9, v15
	s_delay_alu instid0(VALU_DEP_1) | instskip(NEXT) | instid1(SALU_CYCLE_1)
	s_or_b32 s0, vcc_lo, s0
	s_and_saveexec_b32 s1, s0
	s_cbranch_execz .LBB512_462
; %bb.416:
	v_cmp_ge_u32_e32 vcc_lo, v8, v14
	s_mov_b32 s12, exec_lo
                                        ; implicit-def: $vgpr0_vgpr1
	v_cmpx_lt_u32_e64 v8, v14
	s_cbranch_execz .LBB512_418
; %bb.417:
	v_lshl_add_u32 v0, v17, 3, v18
	ds_load_b64 v[0:1], v0
.LBB512_418:
	s_or_b32 exec_lo, exec_lo, s12
	v_cmp_ge_u32_e64 s12, v9, v15
	s_mov_b32 s19, exec_lo
                                        ; implicit-def: $vgpr4_vgpr5
	v_cmpx_lt_u32_e64 v9, v15
	s_cbranch_execz .LBB512_420
; %bb.419:
	v_lshlrev_b32_e32 v2, 3, v9
	ds_load_b64 v[4:5], v2
.LBB512_420:
	s_or_b32 exec_lo, exec_lo, s19
	s_or_b32 s0, vcc_lo, s12
	s_mov_b32 s19, -1
	s_xor_b32 s0, s0, -1
	s_delay_alu instid0(SALU_CYCLE_1)
	s_and_saveexec_b32 s22, s0
	s_cbranch_execz .LBB512_429
; %bb.421:
	s_and_not1_b32 vcc_lo, exec_lo, s7
	s_cbranch_vccnz .LBB512_427
; %bb.422:
	s_waitcnt lgkmcnt(0)
	v_mul_lo_u32 v10, v5, s8
	v_mul_lo_u32 v11, v4, s9
	v_mad_u64_u32 v[2:3], null, v4, s8, 0
	v_mul_lo_u32 v17, v1, s8
	v_mul_lo_u32 v18, v0, s9
	v_mad_u64_u32 v[6:7], null, v0, s8, 0
	s_mov_b32 s23, 0
	s_mov_b64 s[20:21], s[8:9]
	s_delay_alu instid0(VALU_DEP_4) | instskip(NEXT) | instid1(VALU_DEP_2)
	v_add3_u32 v3, v3, v11, v10
                                        ; implicit-def: $sgpr24
                                        ; implicit-def: $sgpr25
                                        ; implicit-def: $sgpr26
                                        ; implicit-def: $sgpr27
                                        ; implicit-def: $sgpr28
	v_add3_u32 v7, v7, v18, v17
	s_delay_alu instid0(VALU_DEP_2) | instskip(NEXT) | instid1(VALU_DEP_2)
	v_lshlrev_b64 v[2:3], 3, v[2:3]
	v_lshlrev_b64 v[6:7], 3, v[6:7]
	s_delay_alu instid0(VALU_DEP_2) | instskip(NEXT) | instid1(VALU_DEP_3)
	v_add_co_u32 v2, vcc_lo, s10, v2
	v_add_co_ci_u32_e32 v3, vcc_lo, s11, v3, vcc_lo
	s_delay_alu instid0(VALU_DEP_3) | instskip(NEXT) | instid1(VALU_DEP_4)
	v_add_co_u32 v6, vcc_lo, s10, v6
	v_add_co_ci_u32_e32 v7, vcc_lo, s11, v7, vcc_lo
	s_set_inst_prefetch_distance 0x1
	s_branch .LBB512_424
	.p2align	6
.LBB512_423:                            ;   in Loop: Header=BB512_424 Depth=1
	s_or_b32 exec_lo, exec_lo, s0
	s_delay_alu instid0(SALU_CYCLE_1) | instskip(NEXT) | instid1(SALU_CYCLE_1)
	s_and_b32 s0, exec_lo, s25
	s_or_b32 s23, s0, s23
	s_and_not1_b32 s0, s28, exec_lo
	s_and_b32 s28, s27, exec_lo
	s_and_not1_b32 s24, s24, exec_lo
	s_and_b32 s29, s26, exec_lo
	s_or_b32 s28, s0, s28
	s_or_b32 s24, s24, s29
	s_and_not1_b32 exec_lo, exec_lo, s23
	s_cbranch_execz .LBB512_426
.LBB512_424:                            ; =>This Inner Loop Header: Depth=1
	global_load_b64 v[10:11], v[2:3], off
	global_load_b64 v[17:18], v[6:7], off
	s_and_not1_b32 s26, s26, exec_lo
	s_and_not1_b32 s27, s27, exec_lo
	s_or_b32 s25, s25, exec_lo
	s_waitcnt vmcnt(0)
	v_cmp_le_i64_e32 vcc_lo, v[10:11], v[17:18]
	v_cmp_lt_i64_e64 s0, v[10:11], v[17:18]
	s_and_b32 s29, vcc_lo, s28
	s_delay_alu instid0(VALU_DEP_1) | instid1(SALU_CYCLE_1)
	s_or_b32 s29, s0, s29
	s_delay_alu instid0(SALU_CYCLE_1) | instskip(NEXT) | instid1(SALU_CYCLE_1)
	s_and_b32 s0, s29, exec_lo
	s_or_b32 s26, s26, s0
	s_mov_b32 s0, exec_lo
	v_cmpx_eq_u64_e64 v[10:11], v[17:18]
	s_cbranch_execz .LBB512_423
; %bb.425:                              ;   in Loop: Header=BB512_424 Depth=1
	s_add_u32 s20, s20, -1
	s_addc_u32 s21, s21, -1
	v_add_co_u32 v2, vcc_lo, v2, 8
	s_cmp_eq_u64 s[20:21], 0
	v_add_co_ci_u32_e32 v3, vcc_lo, 0, v3, vcc_lo
	v_add_co_u32 v6, vcc_lo, v6, 8
	s_cselect_b32 s28, -1, 0
	v_add_co_ci_u32_e32 v7, vcc_lo, 0, v7, vcc_lo
	s_and_not1_b32 s27, s27, exec_lo
	s_and_b32 s29, s29, exec_lo
	s_and_not1_b32 s25, s25, exec_lo
	s_and_b32 s28, s28, exec_lo
	s_or_b32 s27, s27, s29
	s_and_not1_b32 s26, s26, exec_lo
	s_or_b32 s25, s25, s28
                                        ; implicit-def: $sgpr28
	s_branch .LBB512_423
.LBB512_426:
	s_set_inst_prefetch_distance 0x2
	s_or_b32 exec_lo, exec_lo, s23
	s_xor_b32 s0, s24, -1
	s_branch .LBB512_428
.LBB512_427:
	s_mov_b32 s0, -1
.LBB512_428:
	s_and_not1_b32 s12, s12, exec_lo
	s_and_b32 s0, s0, exec_lo
	s_delay_alu instid0(SALU_CYCLE_1)
	s_or_b32 s12, s12, s0
.LBB512_429:
	s_or_b32 exec_lo, exec_lo, s22
	v_cndmask_b32_e64 v2, v9, v8, s12
	v_cndmask_b32_e64 v3, v15, v14, s12
	s_mov_b32 s22, exec_lo
	s_delay_alu instid0(VALU_DEP_2) | instskip(NEXT) | instid1(VALU_DEP_2)
	v_add_nc_u32_e32 v6, 1, v2
	v_add_nc_u32_e32 v2, -1, v3
	s_delay_alu instid0(VALU_DEP_2) | instskip(NEXT) | instid1(VALU_DEP_2)
	v_cndmask_b32_e64 v9, v6, v9, s12
	v_min_u32_e32 v2, v6, v2
	v_cndmask_b32_e64 v8, v8, v6, s12
	s_delay_alu instid0(VALU_DEP_2)
	v_lshlrev_b32_e32 v2, 3, v2
	ds_load_b64 v[2:3], v2
	s_waitcnt lgkmcnt(0)
	v_cndmask_b32_e64 v10, v3, v5, s12
	v_cndmask_b32_e64 v11, v2, v4, s12
	;; [unrolled: 1-line block ×4, first 2 shown]
	v_cmpx_lt_u32_e64 v9, v15
	s_cbranch_execz .LBB512_440
; %bb.430:
	s_mov_b32 s0, 0
	s_mov_b32 s19, exec_lo
	v_cmpx_lt_u32_e64 v8, v14
	s_cbranch_execz .LBB512_439
; %bb.431:
	s_and_not1_b32 vcc_lo, exec_lo, s7
	s_cbranch_vccnz .LBB512_437
; %bb.432:
	v_mul_lo_u32 v19, v10, s8
	v_mul_lo_u32 v20, v11, s9
	v_mad_u64_u32 v[2:3], null, v11, s8, 0
	v_mul_lo_u32 v21, v17, s8
	v_mul_lo_u32 v22, v18, s9
	v_mad_u64_u32 v[6:7], null, v18, s8, 0
	s_mov_b32 s23, 0
	s_mov_b64 s[20:21], s[8:9]
	s_delay_alu instid0(VALU_DEP_4) | instskip(NEXT) | instid1(VALU_DEP_2)
	v_add3_u32 v3, v3, v20, v19
                                        ; implicit-def: $sgpr24
                                        ; implicit-def: $sgpr25
                                        ; implicit-def: $sgpr26
                                        ; implicit-def: $sgpr27
                                        ; implicit-def: $sgpr28
	v_add3_u32 v7, v7, v22, v21
	s_delay_alu instid0(VALU_DEP_2) | instskip(NEXT) | instid1(VALU_DEP_2)
	v_lshlrev_b64 v[2:3], 3, v[2:3]
	v_lshlrev_b64 v[6:7], 3, v[6:7]
	s_delay_alu instid0(VALU_DEP_2) | instskip(NEXT) | instid1(VALU_DEP_3)
	v_add_co_u32 v2, vcc_lo, s10, v2
	v_add_co_ci_u32_e32 v3, vcc_lo, s11, v3, vcc_lo
	s_delay_alu instid0(VALU_DEP_3) | instskip(NEXT) | instid1(VALU_DEP_4)
	v_add_co_u32 v6, vcc_lo, s10, v6
	v_add_co_ci_u32_e32 v7, vcc_lo, s11, v7, vcc_lo
	s_set_inst_prefetch_distance 0x1
	s_branch .LBB512_434
	.p2align	6
.LBB512_433:                            ;   in Loop: Header=BB512_434 Depth=1
	s_or_b32 exec_lo, exec_lo, s0
	s_delay_alu instid0(SALU_CYCLE_1) | instskip(NEXT) | instid1(SALU_CYCLE_1)
	s_and_b32 s0, exec_lo, s25
	s_or_b32 s23, s0, s23
	s_and_not1_b32 s0, s28, exec_lo
	s_and_b32 s28, s27, exec_lo
	s_and_not1_b32 s24, s24, exec_lo
	s_and_b32 s29, s26, exec_lo
	s_or_b32 s28, s0, s28
	s_or_b32 s24, s24, s29
	s_and_not1_b32 exec_lo, exec_lo, s23
	s_cbranch_execz .LBB512_436
.LBB512_434:                            ; =>This Inner Loop Header: Depth=1
	global_load_b64 v[19:20], v[2:3], off
	global_load_b64 v[21:22], v[6:7], off
	s_and_not1_b32 s26, s26, exec_lo
	s_and_not1_b32 s27, s27, exec_lo
	s_or_b32 s25, s25, exec_lo
	s_waitcnt vmcnt(0)
	v_cmp_le_i64_e32 vcc_lo, v[19:20], v[21:22]
	v_cmp_lt_i64_e64 s0, v[19:20], v[21:22]
	s_and_b32 s29, vcc_lo, s28
	s_delay_alu instid0(VALU_DEP_1) | instid1(SALU_CYCLE_1)
	s_or_b32 s29, s0, s29
	s_delay_alu instid0(SALU_CYCLE_1) | instskip(NEXT) | instid1(SALU_CYCLE_1)
	s_and_b32 s0, s29, exec_lo
	s_or_b32 s26, s26, s0
	s_mov_b32 s0, exec_lo
	v_cmpx_eq_u64_e64 v[19:20], v[21:22]
	s_cbranch_execz .LBB512_433
; %bb.435:                              ;   in Loop: Header=BB512_434 Depth=1
	s_add_u32 s20, s20, -1
	s_addc_u32 s21, s21, -1
	v_add_co_u32 v2, vcc_lo, v2, 8
	s_cmp_eq_u64 s[20:21], 0
	v_add_co_ci_u32_e32 v3, vcc_lo, 0, v3, vcc_lo
	v_add_co_u32 v6, vcc_lo, v6, 8
	s_cselect_b32 s28, -1, 0
	v_add_co_ci_u32_e32 v7, vcc_lo, 0, v7, vcc_lo
	s_and_not1_b32 s27, s27, exec_lo
	s_and_b32 s29, s29, exec_lo
	s_and_not1_b32 s25, s25, exec_lo
	s_and_b32 s28, s28, exec_lo
	s_or_b32 s27, s27, s29
	s_and_not1_b32 s26, s26, exec_lo
	s_or_b32 s25, s25, s28
                                        ; implicit-def: $sgpr28
	s_branch .LBB512_433
.LBB512_436:
	s_set_inst_prefetch_distance 0x2
	s_or_b32 exec_lo, exec_lo, s23
	s_xor_b32 s0, s24, -1
	s_branch .LBB512_438
.LBB512_437:
	s_mov_b32 s0, -1
.LBB512_438:
	s_delay_alu instid0(SALU_CYCLE_1)
	s_and_b32 s0, s0, exec_lo
.LBB512_439:
	s_or_b32 exec_lo, exec_lo, s19
	s_delay_alu instid0(SALU_CYCLE_1)
	s_or_not1_b32 s19, s0, exec_lo
.LBB512_440:
	s_or_b32 exec_lo, exec_lo, s22
	v_cndmask_b32_e64 v2, v9, v8, s19
	v_cndmask_b32_e64 v3, v15, v14, s19
	s_mov_b32 s0, -1
	s_mov_b32 s22, exec_lo
	s_delay_alu instid0(VALU_DEP_2) | instskip(NEXT) | instid1(VALU_DEP_2)
	v_add_nc_u32_e32 v6, 1, v2
	v_add_nc_u32_e32 v2, -1, v3
	s_delay_alu instid0(VALU_DEP_2) | instskip(NEXT) | instid1(VALU_DEP_2)
	v_cndmask_b32_e64 v22, v6, v9, s19
	v_min_u32_e32 v2, v6, v2
	v_cndmask_b32_e64 v19, v8, v6, s19
	s_delay_alu instid0(VALU_DEP_2)
	v_lshlrev_b32_e32 v2, 3, v2
	ds_load_b64 v[2:3], v2
	s_waitcnt lgkmcnt(0)
	v_cndmask_b32_e64 v20, v3, v10, s19
	v_cndmask_b32_e64 v21, v2, v11, s19
	;; [unrolled: 1-line block ×4, first 2 shown]
	v_cmpx_lt_u32_e64 v22, v15
	s_cbranch_execz .LBB512_451
; %bb.441:
	s_mov_b32 s0, 0
	s_mov_b32 s23, exec_lo
	v_cmpx_lt_u32_e64 v19, v14
	s_cbranch_execz .LBB512_450
; %bb.442:
	s_and_not1_b32 vcc_lo, exec_lo, s7
	s_cbranch_vccnz .LBB512_448
; %bb.443:
	v_mul_lo_u32 v8, v20, s8
	v_mul_lo_u32 v9, v21, s9
	v_mad_u64_u32 v[2:3], null, v21, s8, 0
	v_mul_lo_u32 v25, v23, s8
	v_mul_lo_u32 v40, v24, s9
	v_mad_u64_u32 v[6:7], null, v24, s8, 0
	s_mov_b32 s24, 0
	s_mov_b64 s[20:21], s[8:9]
	s_delay_alu instid0(VALU_DEP_4) | instskip(NEXT) | instid1(VALU_DEP_2)
	v_add3_u32 v3, v3, v9, v8
                                        ; implicit-def: $sgpr25
                                        ; implicit-def: $sgpr26
                                        ; implicit-def: $sgpr27
                                        ; implicit-def: $sgpr28
                                        ; implicit-def: $sgpr29
	v_add3_u32 v7, v7, v40, v25
	s_delay_alu instid0(VALU_DEP_2) | instskip(NEXT) | instid1(VALU_DEP_2)
	v_lshlrev_b64 v[2:3], 3, v[2:3]
	v_lshlrev_b64 v[6:7], 3, v[6:7]
	s_delay_alu instid0(VALU_DEP_2) | instskip(NEXT) | instid1(VALU_DEP_3)
	v_add_co_u32 v2, vcc_lo, s10, v2
	v_add_co_ci_u32_e32 v3, vcc_lo, s11, v3, vcc_lo
	s_delay_alu instid0(VALU_DEP_3) | instskip(NEXT) | instid1(VALU_DEP_4)
	v_add_co_u32 v6, vcc_lo, s10, v6
	v_add_co_ci_u32_e32 v7, vcc_lo, s11, v7, vcc_lo
	s_set_inst_prefetch_distance 0x1
	s_branch .LBB512_445
	.p2align	6
.LBB512_444:                            ;   in Loop: Header=BB512_445 Depth=1
	s_or_b32 exec_lo, exec_lo, s0
	s_delay_alu instid0(SALU_CYCLE_1) | instskip(NEXT) | instid1(SALU_CYCLE_1)
	s_and_b32 s0, exec_lo, s26
	s_or_b32 s24, s0, s24
	s_and_not1_b32 s0, s29, exec_lo
	s_and_b32 s29, s28, exec_lo
	s_and_not1_b32 s25, s25, exec_lo
	s_and_b32 s30, s27, exec_lo
	s_or_b32 s29, s0, s29
	s_or_b32 s25, s25, s30
	s_and_not1_b32 exec_lo, exec_lo, s24
	s_cbranch_execz .LBB512_447
.LBB512_445:                            ; =>This Inner Loop Header: Depth=1
	global_load_b64 v[8:9], v[2:3], off
	global_load_b64 v[40:41], v[6:7], off
	s_and_not1_b32 s27, s27, exec_lo
	s_and_not1_b32 s28, s28, exec_lo
	s_or_b32 s26, s26, exec_lo
	s_waitcnt vmcnt(0)
	v_cmp_le_i64_e32 vcc_lo, v[8:9], v[40:41]
	v_cmp_lt_i64_e64 s0, v[8:9], v[40:41]
	s_and_b32 s30, vcc_lo, s29
	s_delay_alu instid0(VALU_DEP_1) | instid1(SALU_CYCLE_1)
	s_or_b32 s30, s0, s30
	s_delay_alu instid0(SALU_CYCLE_1) | instskip(NEXT) | instid1(SALU_CYCLE_1)
	s_and_b32 s0, s30, exec_lo
	s_or_b32 s27, s27, s0
	s_mov_b32 s0, exec_lo
	v_cmpx_eq_u64_e64 v[8:9], v[40:41]
	s_cbranch_execz .LBB512_444
; %bb.446:                              ;   in Loop: Header=BB512_445 Depth=1
	s_add_u32 s20, s20, -1
	s_addc_u32 s21, s21, -1
	v_add_co_u32 v2, vcc_lo, v2, 8
	s_cmp_eq_u64 s[20:21], 0
	v_add_co_ci_u32_e32 v3, vcc_lo, 0, v3, vcc_lo
	v_add_co_u32 v6, vcc_lo, v6, 8
	s_cselect_b32 s29, -1, 0
	v_add_co_ci_u32_e32 v7, vcc_lo, 0, v7, vcc_lo
	s_and_not1_b32 s28, s28, exec_lo
	s_and_b32 s30, s30, exec_lo
	s_and_not1_b32 s26, s26, exec_lo
	s_and_b32 s29, s29, exec_lo
	s_or_b32 s28, s28, s30
	s_and_not1_b32 s27, s27, exec_lo
	s_or_b32 s26, s26, s29
                                        ; implicit-def: $sgpr29
	s_branch .LBB512_444
.LBB512_447:
	s_set_inst_prefetch_distance 0x2
	s_or_b32 exec_lo, exec_lo, s24
	s_xor_b32 s0, s25, -1
	s_branch .LBB512_449
.LBB512_448:
	s_mov_b32 s0, -1
.LBB512_449:
	s_delay_alu instid0(SALU_CYCLE_1)
	s_and_b32 s0, s0, exec_lo
.LBB512_450:
	s_or_b32 exec_lo, exec_lo, s23
	s_delay_alu instid0(SALU_CYCLE_1)
	s_or_not1_b32 s0, s0, exec_lo
.LBB512_451:
	s_or_b32 exec_lo, exec_lo, s22
	v_cndmask_b32_e64 v2, v22, v19, s0
	v_cndmask_b32_e64 v3, v15, v14, s0
	;; [unrolled: 1-line block ×5, first 2 shown]
	v_add_nc_u32_e32 v25, 1, v2
	v_add_nc_u32_e32 v2, -1, v3
	v_cndmask_b32_e64 v3, v10, v17, s19
	v_cndmask_b32_e64 v4, v21, v24, s0
	s_mov_b32 s12, exec_lo
	v_cndmask_b32_e64 v10, v25, v22, s0
	v_min_u32_e32 v2, v25, v2
	s_delay_alu instid0(VALU_DEP_1)
	v_lshlrev_b32_e32 v2, 3, v2
	ds_load_b64 v[8:9], v2
	v_cndmask_b32_e64 v2, v11, v18, s19
	s_waitcnt lgkmcnt(0)
	v_cndmask_b32_e64 v7, v23, v9, s0
	v_cndmask_b32_e64 v6, v24, v8, s0
	v_cmpx_lt_u32_e64 v10, v15
	s_cbranch_execz .LBB512_461
; %bb.452:
	v_cndmask_b32_e64 v10, v19, v25, s0
	v_cndmask_b32_e64 v9, v9, v20, s0
	;; [unrolled: 1-line block ×3, first 2 shown]
	s_mov_b32 s19, exec_lo
	s_delay_alu instid0(VALU_DEP_3)
	v_cmpx_lt_u32_e64 v10, v14
	s_cbranch_execz .LBB512_460
; %bb.453:
	s_and_not1_b32 vcc_lo, exec_lo, s7
	s_cbranch_vccnz .LBB512_459
; %bb.454:
	v_mul_lo_u32 v17, v9, s8
	v_mul_lo_u32 v18, v8, s9
	v_mad_u64_u32 v[10:11], null, v8, s8, 0
	v_mul_lo_u32 v19, v7, s8
	v_mul_lo_u32 v20, v6, s9
	v_mad_u64_u32 v[14:15], null, v6, s8, 0
	s_mov_b32 s22, 0
	s_mov_b64 s[20:21], s[8:9]
	s_delay_alu instid0(VALU_DEP_4) | instskip(NEXT) | instid1(VALU_DEP_2)
	v_add3_u32 v11, v11, v18, v17
                                        ; implicit-def: $sgpr23
                                        ; implicit-def: $sgpr24
                                        ; implicit-def: $sgpr25
                                        ; implicit-def: $sgpr26
                                        ; implicit-def: $sgpr27
	v_add3_u32 v15, v15, v20, v19
	s_delay_alu instid0(VALU_DEP_2) | instskip(NEXT) | instid1(VALU_DEP_2)
	v_lshlrev_b64 v[10:11], 3, v[10:11]
	v_lshlrev_b64 v[14:15], 3, v[14:15]
	s_delay_alu instid0(VALU_DEP_2) | instskip(NEXT) | instid1(VALU_DEP_3)
	v_add_co_u32 v10, vcc_lo, s10, v10
	v_add_co_ci_u32_e32 v11, vcc_lo, s11, v11, vcc_lo
	s_delay_alu instid0(VALU_DEP_3) | instskip(NEXT) | instid1(VALU_DEP_4)
	v_add_co_u32 v14, vcc_lo, s10, v14
	v_add_co_ci_u32_e32 v15, vcc_lo, s11, v15, vcc_lo
	s_set_inst_prefetch_distance 0x1
	s_branch .LBB512_456
	.p2align	6
.LBB512_455:                            ;   in Loop: Header=BB512_456 Depth=1
	s_or_b32 exec_lo, exec_lo, s0
	s_delay_alu instid0(SALU_CYCLE_1) | instskip(NEXT) | instid1(SALU_CYCLE_1)
	s_and_b32 s0, exec_lo, s24
	s_or_b32 s22, s0, s22
	s_and_not1_b32 s0, s27, exec_lo
	s_and_b32 s27, s26, exec_lo
	s_and_not1_b32 s23, s23, exec_lo
	s_and_b32 s28, s25, exec_lo
	s_or_b32 s27, s0, s27
	s_or_b32 s23, s23, s28
	s_and_not1_b32 exec_lo, exec_lo, s22
	s_cbranch_execz .LBB512_458
.LBB512_456:                            ; =>This Inner Loop Header: Depth=1
	global_load_b64 v[17:18], v[10:11], off
	global_load_b64 v[19:20], v[14:15], off
	s_and_not1_b32 s25, s25, exec_lo
	s_and_not1_b32 s26, s26, exec_lo
	s_or_b32 s24, s24, exec_lo
	s_waitcnt vmcnt(0)
	v_cmp_le_i64_e32 vcc_lo, v[17:18], v[19:20]
	v_cmp_lt_i64_e64 s0, v[17:18], v[19:20]
	s_and_b32 s28, vcc_lo, s27
	s_delay_alu instid0(VALU_DEP_1) | instid1(SALU_CYCLE_1)
	s_or_b32 s28, s0, s28
	s_delay_alu instid0(SALU_CYCLE_1) | instskip(NEXT) | instid1(SALU_CYCLE_1)
	s_and_b32 s0, s28, exec_lo
	s_or_b32 s25, s25, s0
	s_mov_b32 s0, exec_lo
	v_cmpx_eq_u64_e64 v[17:18], v[19:20]
	s_cbranch_execz .LBB512_455
; %bb.457:                              ;   in Loop: Header=BB512_456 Depth=1
	s_add_u32 s20, s20, -1
	s_addc_u32 s21, s21, -1
	v_add_co_u32 v10, vcc_lo, v10, 8
	s_cmp_eq_u64 s[20:21], 0
	v_add_co_ci_u32_e32 v11, vcc_lo, 0, v11, vcc_lo
	v_add_co_u32 v14, vcc_lo, v14, 8
	s_cselect_b32 s27, -1, 0
	v_add_co_ci_u32_e32 v15, vcc_lo, 0, v15, vcc_lo
	s_and_not1_b32 s26, s26, exec_lo
	s_and_b32 s28, s28, exec_lo
	s_and_not1_b32 s24, s24, exec_lo
	s_and_b32 s27, s27, exec_lo
	s_or_b32 s26, s26, s28
	s_and_not1_b32 s25, s25, exec_lo
	s_or_b32 s24, s24, s27
                                        ; implicit-def: $sgpr27
	s_branch .LBB512_455
.LBB512_458:
	s_set_inst_prefetch_distance 0x2
	s_or_b32 exec_lo, exec_lo, s22
	v_cndmask_b32_e64 v7, v7, v9, s23
	v_cndmask_b32_e64 v6, v6, v8, s23
.LBB512_459:
	s_delay_alu instid0(VALU_DEP_1)
	v_dual_mov_b32 v9, v7 :: v_dual_mov_b32 v8, v6
.LBB512_460:
	s_or_b32 exec_lo, exec_lo, s19
	s_delay_alu instid0(VALU_DEP_1)
	v_dual_mov_b32 v6, v8 :: v_dual_mov_b32 v7, v9
.LBB512_461:
	s_or_b32 exec_lo, exec_lo, s12
.LBB512_462:
	s_delay_alu instid0(SALU_CYCLE_1) | instskip(SKIP_4) | instid1(VALU_DEP_2)
	s_or_b32 exec_lo, exec_lo, s1
	v_and_b32_e32 v18, 0xc00, v27
	v_and_b32_e32 v19, 0x3fc, v27
	s_mov_b32 s1, exec_lo
	s_barrier
	v_or_b32_e32 v8, 0x200, v18
	v_lshlrev_b32_e32 v17, 3, v18
	buffer_gl0_inv
	ds_store_b128 v16, v[0:3]
	ds_store_b128 v16, v[4:7] offset:16
	s_waitcnt lgkmcnt(0)
	v_min_u32_e32 v14, 0x400, v8
	s_barrier
	buffer_gl0_inv
	v_sub_nc_u32_e32 v8, 0x400, v14
	v_sub_nc_u32_e32 v9, v14, v18
	s_delay_alu instid0(VALU_DEP_2) | instskip(NEXT) | instid1(VALU_DEP_2)
	v_sub_nc_u32_e64 v15, v19, v8 clamp
	v_min_u32_e32 v20, v19, v9
	s_delay_alu instid0(VALU_DEP_1)
	v_cmpx_lt_u32_e64 v15, v20
	s_cbranch_execz .LBB512_472
; %bb.463:
	v_lshlrev_b32_e32 v8, 3, v19
	s_lshl_b64 s[20:21], s[8:9], 3
	s_mov_b32 s12, 0
	s_delay_alu instid0(VALU_DEP_1)
	v_lshl_add_u32 v16, v14, 3, v8
	s_branch .LBB512_466
.LBB512_464:                            ;   in Loop: Header=BB512_466 Depth=1
	s_set_inst_prefetch_distance 0x2
	s_or_b32 exec_lo, exec_lo, s19
.LBB512_465:                            ;   in Loop: Header=BB512_466 Depth=1
	s_delay_alu instid0(VALU_DEP_1) | instskip(SKIP_1) | instid1(VALU_DEP_2)
	v_add_nc_u32_e32 v8, 1, v21
	v_cndmask_b32_e64 v20, v20, v21, s24
	v_cndmask_b32_e64 v15, v8, v15, s24
	s_delay_alu instid0(VALU_DEP_1) | instskip(SKIP_1) | instid1(SALU_CYCLE_1)
	v_cmp_ge_u32_e32 vcc_lo, v15, v20
	s_or_b32 s12, vcc_lo, s12
	s_and_not1_b32 exec_lo, exec_lo, s12
	s_cbranch_execz .LBB512_471
.LBB512_466:                            ; =>This Loop Header: Depth=1
                                        ;     Child Loop BB512_469 Depth 2
	v_add_nc_u32_e32 v8, v20, v15
	s_and_not1_b32 vcc_lo, exec_lo, s7
	s_mov_b32 s24, 0
	s_delay_alu instid0(VALU_DEP_1)
	v_lshrrev_b32_e32 v21, 1, v8
	s_cbranch_vccnz .LBB512_465
; %bb.467:                              ;   in Loop: Header=BB512_466 Depth=1
	s_delay_alu instid0(VALU_DEP_1) | instskip(SKIP_3) | instid1(VALU_DEP_2)
	v_not_b32_e32 v8, v21
	v_lshl_add_u32 v9, v21, 3, v17
	s_mov_b32 s19, 0
	s_mov_b64 s[22:23], s[8:9]
                                        ; implicit-def: $sgpr24
                                        ; implicit-def: $sgpr25
                                        ; implicit-def: $sgpr26
                                        ; implicit-def: $sgpr27
                                        ; implicit-def: $sgpr28
	v_lshl_add_u32 v8, v8, 3, v16
	ds_load_b64 v[10:11], v8
	ds_load_b64 v[22:23], v9
	s_waitcnt lgkmcnt(1)
	v_mul_lo_u32 v24, s20, v11
	v_mul_lo_u32 v25, s21, v10
	v_mad_u64_u32 v[8:9], null, s20, v10, s[10:11]
	s_waitcnt lgkmcnt(0)
	v_mul_lo_u32 v23, s20, v23
	v_mul_lo_u32 v40, s21, v22
	v_mad_u64_u32 v[10:11], null, s20, v22, s[10:11]
	s_delay_alu instid0(VALU_DEP_4) | instskip(NEXT) | instid1(VALU_DEP_2)
	v_add3_u32 v9, v25, v9, v24
	v_add3_u32 v11, v40, v11, v23
	s_set_inst_prefetch_distance 0x1
	s_branch .LBB512_469
	.p2align	6
.LBB512_468:                            ;   in Loop: Header=BB512_469 Depth=2
	s_or_b32 exec_lo, exec_lo, s29
	s_delay_alu instid0(SALU_CYCLE_1) | instskip(NEXT) | instid1(SALU_CYCLE_1)
	s_and_b32 s0, exec_lo, s25
	s_or_b32 s19, s0, s19
	s_and_not1_b32 s0, s28, exec_lo
	s_and_b32 s28, s26, exec_lo
	s_and_not1_b32 s24, s24, exec_lo
	s_and_b32 s29, s27, exec_lo
	s_or_b32 s28, s0, s28
	s_or_b32 s24, s24, s29
	s_and_not1_b32 exec_lo, exec_lo, s19
	s_cbranch_execz .LBB512_464
.LBB512_469:                            ;   Parent Loop BB512_466 Depth=1
                                        ; =>  This Inner Loop Header: Depth=2
	global_load_b64 v[22:23], v[8:9], off
	global_load_b64 v[24:25], v[10:11], off
	s_and_not1_b32 s27, s27, exec_lo
	s_and_not1_b32 s26, s26, exec_lo
	s_or_b32 s25, s25, exec_lo
	s_waitcnt vmcnt(0)
	v_cmp_le_i64_e32 vcc_lo, v[22:23], v[24:25]
	v_cmp_lt_i64_e64 s0, v[22:23], v[24:25]
	s_and_b32 s29, vcc_lo, s28
	s_delay_alu instid0(VALU_DEP_1) | instid1(SALU_CYCLE_1)
	s_or_b32 s0, s0, s29
	s_delay_alu instid0(SALU_CYCLE_1) | instskip(NEXT) | instid1(SALU_CYCLE_1)
	s_and_b32 s29, s0, exec_lo
	s_or_b32 s27, s27, s29
	s_mov_b32 s29, exec_lo
	v_cmpx_eq_u64_e64 v[22:23], v[24:25]
	s_cbranch_execz .LBB512_468
; %bb.470:                              ;   in Loop: Header=BB512_469 Depth=2
	s_add_u32 s22, s22, -1
	s_addc_u32 s23, s23, -1
	v_add_co_u32 v8, vcc_lo, v8, 8
	v_add_co_ci_u32_e32 v9, vcc_lo, 0, v9, vcc_lo
	s_cmp_eq_u64 s[22:23], 0
	v_add_co_u32 v10, vcc_lo, v10, 8
	s_cselect_b32 s28, -1, 0
	v_add_co_ci_u32_e32 v11, vcc_lo, 0, v11, vcc_lo
	s_and_not1_b32 s26, s26, exec_lo
	s_and_b32 s0, s0, exec_lo
	s_and_not1_b32 s25, s25, exec_lo
	s_and_b32 s28, s28, exec_lo
	s_and_not1_b32 s27, s27, exec_lo
	s_or_b32 s26, s26, s0
	s_or_b32 s25, s25, s28
                                        ; implicit-def: $sgpr28
	s_branch .LBB512_468
.LBB512_471:
	s_or_b32 exec_lo, exec_lo, s12
.LBB512_472:
	s_delay_alu instid0(SALU_CYCLE_1) | instskip(SKIP_2) | instid1(VALU_DEP_2)
	s_or_b32 exec_lo, exec_lo, s1
	v_sub_nc_u32_e32 v8, v19, v15
	v_add_nc_u32_e32 v9, v15, v18
	v_add_nc_u32_e32 v10, v8, v14
	s_delay_alu instid0(VALU_DEP_2) | instskip(NEXT) | instid1(VALU_DEP_2)
	v_cmp_le_u32_e32 vcc_lo, v9, v14
	v_cmp_gt_u32_e64 s0, 0x401, v10
	s_delay_alu instid0(VALU_DEP_1) | instskip(NEXT) | instid1(SALU_CYCLE_1)
	s_or_b32 s0, vcc_lo, s0
	s_and_saveexec_b32 s1, s0
	s_cbranch_execz .LBB512_519
; %bb.473:
	v_cmp_ge_u32_e32 vcc_lo, v9, v14
	s_mov_b32 s12, exec_lo
                                        ; implicit-def: $vgpr0_vgpr1
	v_cmpx_lt_u32_e64 v9, v14
	s_cbranch_execz .LBB512_475
; %bb.474:
	v_lshl_add_u32 v0, v15, 3, v17
	ds_load_b64 v[0:1], v0
.LBB512_475:
	s_or_b32 exec_lo, exec_lo, s12
	v_cmp_lt_u32_e64 s12, 0x3ff, v10
	s_mov_b32 s19, exec_lo
                                        ; implicit-def: $vgpr4_vgpr5
	v_cmpx_gt_u32_e32 0x400, v10
	s_cbranch_execz .LBB512_477
; %bb.476:
	v_lshlrev_b32_e32 v2, 3, v10
	ds_load_b64 v[4:5], v2
.LBB512_477:
	s_or_b32 exec_lo, exec_lo, s19
	s_or_b32 s0, vcc_lo, s12
	s_mov_b32 s19, -1
	s_xor_b32 s0, s0, -1
	s_delay_alu instid0(SALU_CYCLE_1)
	s_and_saveexec_b32 s22, s0
	s_cbranch_execz .LBB512_486
; %bb.478:
	s_and_not1_b32 vcc_lo, exec_lo, s7
	s_cbranch_vccnz .LBB512_484
; %bb.479:
	s_waitcnt lgkmcnt(0)
	v_mul_lo_u32 v8, v5, s8
	v_mul_lo_u32 v11, v4, s9
	v_mad_u64_u32 v[2:3], null, v4, s8, 0
	v_mul_lo_u32 v15, v1, s8
	v_mul_lo_u32 v16, v0, s9
	v_mad_u64_u32 v[6:7], null, v0, s8, 0
	s_mov_b32 s23, 0
	s_mov_b64 s[20:21], s[8:9]
	s_delay_alu instid0(VALU_DEP_4) | instskip(NEXT) | instid1(VALU_DEP_2)
	v_add3_u32 v3, v3, v11, v8
                                        ; implicit-def: $sgpr24
                                        ; implicit-def: $sgpr25
                                        ; implicit-def: $sgpr26
                                        ; implicit-def: $sgpr27
                                        ; implicit-def: $sgpr28
	v_add3_u32 v7, v7, v16, v15
	s_delay_alu instid0(VALU_DEP_2) | instskip(NEXT) | instid1(VALU_DEP_2)
	v_lshlrev_b64 v[2:3], 3, v[2:3]
	v_lshlrev_b64 v[6:7], 3, v[6:7]
	s_delay_alu instid0(VALU_DEP_2) | instskip(NEXT) | instid1(VALU_DEP_3)
	v_add_co_u32 v2, vcc_lo, s10, v2
	v_add_co_ci_u32_e32 v3, vcc_lo, s11, v3, vcc_lo
	s_delay_alu instid0(VALU_DEP_3) | instskip(NEXT) | instid1(VALU_DEP_4)
	v_add_co_u32 v6, vcc_lo, s10, v6
	v_add_co_ci_u32_e32 v7, vcc_lo, s11, v7, vcc_lo
	s_set_inst_prefetch_distance 0x1
	s_branch .LBB512_481
	.p2align	6
.LBB512_480:                            ;   in Loop: Header=BB512_481 Depth=1
	s_or_b32 exec_lo, exec_lo, s0
	s_delay_alu instid0(SALU_CYCLE_1) | instskip(NEXT) | instid1(SALU_CYCLE_1)
	s_and_b32 s0, exec_lo, s25
	s_or_b32 s23, s0, s23
	s_and_not1_b32 s0, s28, exec_lo
	s_and_b32 s28, s27, exec_lo
	s_and_not1_b32 s24, s24, exec_lo
	s_and_b32 s29, s26, exec_lo
	s_or_b32 s28, s0, s28
	s_or_b32 s24, s24, s29
	s_and_not1_b32 exec_lo, exec_lo, s23
	s_cbranch_execz .LBB512_483
.LBB512_481:                            ; =>This Inner Loop Header: Depth=1
	global_load_b64 v[15:16], v[2:3], off
	global_load_b64 v[17:18], v[6:7], off
	s_and_not1_b32 s26, s26, exec_lo
	s_and_not1_b32 s27, s27, exec_lo
	s_or_b32 s25, s25, exec_lo
	s_waitcnt vmcnt(0)
	v_cmp_le_i64_e32 vcc_lo, v[15:16], v[17:18]
	v_cmp_lt_i64_e64 s0, v[15:16], v[17:18]
	s_and_b32 s29, vcc_lo, s28
	s_delay_alu instid0(VALU_DEP_1) | instid1(SALU_CYCLE_1)
	s_or_b32 s29, s0, s29
	s_delay_alu instid0(SALU_CYCLE_1) | instskip(NEXT) | instid1(SALU_CYCLE_1)
	s_and_b32 s0, s29, exec_lo
	s_or_b32 s26, s26, s0
	s_mov_b32 s0, exec_lo
	v_cmpx_eq_u64_e64 v[15:16], v[17:18]
	s_cbranch_execz .LBB512_480
; %bb.482:                              ;   in Loop: Header=BB512_481 Depth=1
	s_add_u32 s20, s20, -1
	s_addc_u32 s21, s21, -1
	v_add_co_u32 v2, vcc_lo, v2, 8
	s_cmp_eq_u64 s[20:21], 0
	v_add_co_ci_u32_e32 v3, vcc_lo, 0, v3, vcc_lo
	v_add_co_u32 v6, vcc_lo, v6, 8
	s_cselect_b32 s28, -1, 0
	v_add_co_ci_u32_e32 v7, vcc_lo, 0, v7, vcc_lo
	s_and_not1_b32 s27, s27, exec_lo
	s_and_b32 s29, s29, exec_lo
	s_and_not1_b32 s25, s25, exec_lo
	s_and_b32 s28, s28, exec_lo
	s_or_b32 s27, s27, s29
	s_and_not1_b32 s26, s26, exec_lo
	s_or_b32 s25, s25, s28
                                        ; implicit-def: $sgpr28
	s_branch .LBB512_480
.LBB512_483:
	s_set_inst_prefetch_distance 0x2
	s_or_b32 exec_lo, exec_lo, s23
	s_xor_b32 s0, s24, -1
	s_branch .LBB512_485
.LBB512_484:
	s_mov_b32 s0, -1
.LBB512_485:
	s_and_not1_b32 s12, s12, exec_lo
	s_and_b32 s0, s0, exec_lo
	s_delay_alu instid0(SALU_CYCLE_1)
	s_or_b32 s12, s12, s0
.LBB512_486:
	s_or_b32 exec_lo, exec_lo, s22
	v_cndmask_b32_e64 v2, v10, v9, s12
	v_add_nc_u32_e32 v8, -1, v14
	s_mov_b32 s22, exec_lo
	s_delay_alu instid0(VALU_DEP_2) | instskip(NEXT) | instid1(VALU_DEP_2)
	v_add_nc_u32_e32 v6, 1, v2
	v_cndmask_b32_e64 v2, 0x3ff, v8, s12
	s_delay_alu instid0(VALU_DEP_2) | instskip(NEXT) | instid1(VALU_DEP_2)
	v_cndmask_b32_e64 v17, v6, v10, s12
	v_min_u32_e32 v2, v6, v2
	v_cndmask_b32_e64 v9, v9, v6, s12
	s_delay_alu instid0(VALU_DEP_2)
	v_lshlrev_b32_e32 v2, 3, v2
	ds_load_b64 v[2:3], v2
	s_waitcnt lgkmcnt(0)
	v_cndmask_b32_e64 v10, v3, v5, s12
	v_cndmask_b32_e64 v11, v2, v4, s12
	;; [unrolled: 1-line block ×4, first 2 shown]
	v_cmpx_gt_u32_e32 0x400, v17
	s_cbranch_execz .LBB512_497
; %bb.487:
	s_mov_b32 s0, 0
	s_mov_b32 s19, exec_lo
	v_cmpx_lt_u32_e64 v9, v14
	s_cbranch_execz .LBB512_496
; %bb.488:
	s_and_not1_b32 vcc_lo, exec_lo, s7
	s_cbranch_vccnz .LBB512_494
; %bb.489:
	v_mul_lo_u32 v18, v10, s8
	v_mul_lo_u32 v19, v11, s9
	v_mad_u64_u32 v[2:3], null, v11, s8, 0
	v_mul_lo_u32 v20, v15, s8
	v_mul_lo_u32 v21, v16, s9
	v_mad_u64_u32 v[6:7], null, v16, s8, 0
	s_mov_b32 s23, 0
	s_mov_b64 s[20:21], s[8:9]
	s_delay_alu instid0(VALU_DEP_4) | instskip(NEXT) | instid1(VALU_DEP_2)
	v_add3_u32 v3, v3, v19, v18
                                        ; implicit-def: $sgpr24
                                        ; implicit-def: $sgpr25
                                        ; implicit-def: $sgpr26
                                        ; implicit-def: $sgpr27
                                        ; implicit-def: $sgpr28
	v_add3_u32 v7, v7, v21, v20
	s_delay_alu instid0(VALU_DEP_2) | instskip(NEXT) | instid1(VALU_DEP_2)
	v_lshlrev_b64 v[2:3], 3, v[2:3]
	v_lshlrev_b64 v[6:7], 3, v[6:7]
	s_delay_alu instid0(VALU_DEP_2) | instskip(NEXT) | instid1(VALU_DEP_3)
	v_add_co_u32 v2, vcc_lo, s10, v2
	v_add_co_ci_u32_e32 v3, vcc_lo, s11, v3, vcc_lo
	s_delay_alu instid0(VALU_DEP_3) | instskip(NEXT) | instid1(VALU_DEP_4)
	v_add_co_u32 v6, vcc_lo, s10, v6
	v_add_co_ci_u32_e32 v7, vcc_lo, s11, v7, vcc_lo
	s_set_inst_prefetch_distance 0x1
	s_branch .LBB512_491
	.p2align	6
.LBB512_490:                            ;   in Loop: Header=BB512_491 Depth=1
	s_or_b32 exec_lo, exec_lo, s0
	s_delay_alu instid0(SALU_CYCLE_1) | instskip(NEXT) | instid1(SALU_CYCLE_1)
	s_and_b32 s0, exec_lo, s25
	s_or_b32 s23, s0, s23
	s_and_not1_b32 s0, s28, exec_lo
	s_and_b32 s28, s27, exec_lo
	s_and_not1_b32 s24, s24, exec_lo
	s_and_b32 s29, s26, exec_lo
	s_or_b32 s28, s0, s28
	s_or_b32 s24, s24, s29
	s_and_not1_b32 exec_lo, exec_lo, s23
	s_cbranch_execz .LBB512_493
.LBB512_491:                            ; =>This Inner Loop Header: Depth=1
	global_load_b64 v[18:19], v[2:3], off
	global_load_b64 v[20:21], v[6:7], off
	s_and_not1_b32 s26, s26, exec_lo
	s_and_not1_b32 s27, s27, exec_lo
	s_or_b32 s25, s25, exec_lo
	s_waitcnt vmcnt(0)
	v_cmp_le_i64_e32 vcc_lo, v[18:19], v[20:21]
	v_cmp_lt_i64_e64 s0, v[18:19], v[20:21]
	s_and_b32 s29, vcc_lo, s28
	s_delay_alu instid0(VALU_DEP_1) | instid1(SALU_CYCLE_1)
	s_or_b32 s29, s0, s29
	s_delay_alu instid0(SALU_CYCLE_1) | instskip(NEXT) | instid1(SALU_CYCLE_1)
	s_and_b32 s0, s29, exec_lo
	s_or_b32 s26, s26, s0
	s_mov_b32 s0, exec_lo
	v_cmpx_eq_u64_e64 v[18:19], v[20:21]
	s_cbranch_execz .LBB512_490
; %bb.492:                              ;   in Loop: Header=BB512_491 Depth=1
	s_add_u32 s20, s20, -1
	s_addc_u32 s21, s21, -1
	v_add_co_u32 v2, vcc_lo, v2, 8
	s_cmp_eq_u64 s[20:21], 0
	v_add_co_ci_u32_e32 v3, vcc_lo, 0, v3, vcc_lo
	v_add_co_u32 v6, vcc_lo, v6, 8
	s_cselect_b32 s28, -1, 0
	v_add_co_ci_u32_e32 v7, vcc_lo, 0, v7, vcc_lo
	s_and_not1_b32 s27, s27, exec_lo
	s_and_b32 s29, s29, exec_lo
	s_and_not1_b32 s25, s25, exec_lo
	s_and_b32 s28, s28, exec_lo
	s_or_b32 s27, s27, s29
	s_and_not1_b32 s26, s26, exec_lo
	s_or_b32 s25, s25, s28
                                        ; implicit-def: $sgpr28
	s_branch .LBB512_490
.LBB512_493:
	s_set_inst_prefetch_distance 0x2
	s_or_b32 exec_lo, exec_lo, s23
	s_xor_b32 s0, s24, -1
	s_branch .LBB512_495
.LBB512_494:
	s_mov_b32 s0, -1
.LBB512_495:
	s_delay_alu instid0(SALU_CYCLE_1)
	s_and_b32 s0, s0, exec_lo
.LBB512_496:
	s_or_b32 exec_lo, exec_lo, s19
	s_delay_alu instid0(SALU_CYCLE_1)
	s_or_not1_b32 s19, s0, exec_lo
.LBB512_497:
	s_or_b32 exec_lo, exec_lo, s22
	v_cndmask_b32_e64 v2, v17, v9, s19
	v_cndmask_b32_e64 v3, 0x3ff, v8, s19
	s_mov_b32 s0, -1
	s_mov_b32 s22, exec_lo
	s_delay_alu instid0(VALU_DEP_2) | instskip(NEXT) | instid1(VALU_DEP_1)
	v_add_nc_u32_e32 v6, 1, v2
	v_min_u32_e32 v2, v6, v3
	v_cndmask_b32_e64 v20, v6, v17, s19
	v_cndmask_b32_e64 v17, v9, v6, s19
	s_delay_alu instid0(VALU_DEP_3)
	v_lshlrev_b32_e32 v2, 3, v2
	ds_load_b64 v[2:3], v2
	s_waitcnt lgkmcnt(0)
	v_cndmask_b32_e64 v18, v3, v10, s19
	v_cndmask_b32_e64 v19, v2, v11, s19
	;; [unrolled: 1-line block ×4, first 2 shown]
	v_cmpx_gt_u32_e32 0x400, v20
	s_cbranch_execz .LBB512_508
; %bb.498:
	s_mov_b32 s0, 0
	s_mov_b32 s23, exec_lo
	v_cmpx_lt_u32_e64 v17, v14
	s_cbranch_execz .LBB512_507
; %bb.499:
	s_and_not1_b32 vcc_lo, exec_lo, s7
	s_cbranch_vccnz .LBB512_505
; %bb.500:
	v_mul_lo_u32 v9, v18, s8
	v_mul_lo_u32 v23, v19, s9
	v_mad_u64_u32 v[2:3], null, v19, s8, 0
	v_mul_lo_u32 v24, v21, s8
	v_mul_lo_u32 v25, v22, s9
	v_mad_u64_u32 v[6:7], null, v22, s8, 0
	s_mov_b32 s24, 0
	s_mov_b64 s[20:21], s[8:9]
	s_delay_alu instid0(VALU_DEP_4) | instskip(NEXT) | instid1(VALU_DEP_2)
	v_add3_u32 v3, v3, v23, v9
                                        ; implicit-def: $sgpr25
                                        ; implicit-def: $sgpr26
                                        ; implicit-def: $sgpr27
                                        ; implicit-def: $sgpr28
                                        ; implicit-def: $sgpr29
	v_add3_u32 v7, v7, v25, v24
	s_delay_alu instid0(VALU_DEP_2) | instskip(NEXT) | instid1(VALU_DEP_2)
	v_lshlrev_b64 v[2:3], 3, v[2:3]
	v_lshlrev_b64 v[6:7], 3, v[6:7]
	s_delay_alu instid0(VALU_DEP_2) | instskip(NEXT) | instid1(VALU_DEP_3)
	v_add_co_u32 v2, vcc_lo, s10, v2
	v_add_co_ci_u32_e32 v3, vcc_lo, s11, v3, vcc_lo
	s_delay_alu instid0(VALU_DEP_3) | instskip(NEXT) | instid1(VALU_DEP_4)
	v_add_co_u32 v6, vcc_lo, s10, v6
	v_add_co_ci_u32_e32 v7, vcc_lo, s11, v7, vcc_lo
	s_set_inst_prefetch_distance 0x1
	s_branch .LBB512_502
	.p2align	6
.LBB512_501:                            ;   in Loop: Header=BB512_502 Depth=1
	s_or_b32 exec_lo, exec_lo, s0
	s_delay_alu instid0(SALU_CYCLE_1) | instskip(NEXT) | instid1(SALU_CYCLE_1)
	s_and_b32 s0, exec_lo, s26
	s_or_b32 s24, s0, s24
	s_and_not1_b32 s0, s29, exec_lo
	s_and_b32 s29, s28, exec_lo
	s_and_not1_b32 s25, s25, exec_lo
	s_and_b32 s30, s27, exec_lo
	s_or_b32 s29, s0, s29
	s_or_b32 s25, s25, s30
	s_and_not1_b32 exec_lo, exec_lo, s24
	s_cbranch_execz .LBB512_504
.LBB512_502:                            ; =>This Inner Loop Header: Depth=1
	global_load_b64 v[23:24], v[2:3], off
	global_load_b64 v[40:41], v[6:7], off
	s_and_not1_b32 s27, s27, exec_lo
	s_and_not1_b32 s28, s28, exec_lo
	s_or_b32 s26, s26, exec_lo
	s_waitcnt vmcnt(0)
	v_cmp_le_i64_e32 vcc_lo, v[23:24], v[40:41]
	v_cmp_lt_i64_e64 s0, v[23:24], v[40:41]
	s_and_b32 s30, vcc_lo, s29
	s_delay_alu instid0(VALU_DEP_1) | instid1(SALU_CYCLE_1)
	s_or_b32 s30, s0, s30
	s_delay_alu instid0(SALU_CYCLE_1) | instskip(NEXT) | instid1(SALU_CYCLE_1)
	s_and_b32 s0, s30, exec_lo
	s_or_b32 s27, s27, s0
	s_mov_b32 s0, exec_lo
	v_cmpx_eq_u64_e64 v[23:24], v[40:41]
	s_cbranch_execz .LBB512_501
; %bb.503:                              ;   in Loop: Header=BB512_502 Depth=1
	s_add_u32 s20, s20, -1
	s_addc_u32 s21, s21, -1
	v_add_co_u32 v2, vcc_lo, v2, 8
	s_cmp_eq_u64 s[20:21], 0
	v_add_co_ci_u32_e32 v3, vcc_lo, 0, v3, vcc_lo
	v_add_co_u32 v6, vcc_lo, v6, 8
	s_cselect_b32 s29, -1, 0
	v_add_co_ci_u32_e32 v7, vcc_lo, 0, v7, vcc_lo
	s_and_not1_b32 s28, s28, exec_lo
	s_and_b32 s30, s30, exec_lo
	s_and_not1_b32 s26, s26, exec_lo
	s_and_b32 s29, s29, exec_lo
	s_or_b32 s28, s28, s30
	s_and_not1_b32 s27, s27, exec_lo
	s_or_b32 s26, s26, s29
                                        ; implicit-def: $sgpr29
	s_branch .LBB512_501
.LBB512_504:
	s_set_inst_prefetch_distance 0x2
	s_or_b32 exec_lo, exec_lo, s24
	s_xor_b32 s0, s25, -1
	s_branch .LBB512_506
.LBB512_505:
	s_mov_b32 s0, -1
.LBB512_506:
	s_delay_alu instid0(SALU_CYCLE_1)
	s_and_b32 s0, s0, exec_lo
.LBB512_507:
	s_or_b32 exec_lo, exec_lo, s23
	s_delay_alu instid0(SALU_CYCLE_1)
	s_or_not1_b32 s0, s0, exec_lo
.LBB512_508:
	s_or_b32 exec_lo, exec_lo, s22
	v_cndmask_b32_e64 v2, v20, v17, s0
	v_cndmask_b32_e64 v3, 0x3ff, v8, s0
	;; [unrolled: 1-line block ×5, first 2 shown]
	v_add_nc_u32_e32 v23, 1, v2
	v_cndmask_b32_e64 v4, v19, v22, s0
	s_mov_b32 s12, exec_lo
	s_delay_alu instid0(VALU_DEP_2) | instskip(SKIP_2) | instid1(VALU_DEP_3)
	v_min_u32_e32 v2, v23, v3
	v_cndmask_b32_e64 v3, v10, v15, s19
	v_cndmask_b32_e64 v10, v23, v20, s0
	v_lshlrev_b32_e32 v2, 3, v2
	ds_load_b64 v[8:9], v2
	v_cndmask_b32_e64 v2, v11, v16, s19
	s_waitcnt lgkmcnt(0)
	v_cndmask_b32_e64 v7, v21, v9, s0
	v_cndmask_b32_e64 v6, v22, v8, s0
	v_cmpx_gt_u32_e32 0x400, v10
	s_cbranch_execz .LBB512_518
; %bb.509:
	v_cndmask_b32_e64 v10, v17, v23, s0
	v_cndmask_b32_e64 v9, v9, v18, s0
	;; [unrolled: 1-line block ×3, first 2 shown]
	s_mov_b32 s19, exec_lo
	s_delay_alu instid0(VALU_DEP_3)
	v_cmpx_lt_u32_e64 v10, v14
	s_cbranch_execz .LBB512_517
; %bb.510:
	s_and_not1_b32 vcc_lo, exec_lo, s7
	s_cbranch_vccnz .LBB512_516
; %bb.511:
	v_mul_lo_u32 v16, v9, s8
	v_mul_lo_u32 v17, v8, s9
	v_mad_u64_u32 v[10:11], null, v8, s8, 0
	v_mul_lo_u32 v18, v7, s8
	v_mul_lo_u32 v19, v6, s9
	v_mad_u64_u32 v[14:15], null, v6, s8, 0
	s_mov_b32 s7, 0
	s_mov_b64 s[20:21], s[8:9]
	s_delay_alu instid0(VALU_DEP_4) | instskip(NEXT) | instid1(VALU_DEP_2)
	v_add3_u32 v11, v11, v17, v16
                                        ; implicit-def: $sgpr22
                                        ; implicit-def: $sgpr23
                                        ; implicit-def: $sgpr24
                                        ; implicit-def: $sgpr25
                                        ; implicit-def: $sgpr26
	v_add3_u32 v15, v15, v19, v18
	s_delay_alu instid0(VALU_DEP_2) | instskip(NEXT) | instid1(VALU_DEP_2)
	v_lshlrev_b64 v[10:11], 3, v[10:11]
	v_lshlrev_b64 v[14:15], 3, v[14:15]
	s_delay_alu instid0(VALU_DEP_2) | instskip(NEXT) | instid1(VALU_DEP_3)
	v_add_co_u32 v10, vcc_lo, s10, v10
	v_add_co_ci_u32_e32 v11, vcc_lo, s11, v11, vcc_lo
	s_delay_alu instid0(VALU_DEP_3) | instskip(NEXT) | instid1(VALU_DEP_4)
	v_add_co_u32 v14, vcc_lo, s10, v14
	v_add_co_ci_u32_e32 v15, vcc_lo, s11, v15, vcc_lo
	s_set_inst_prefetch_distance 0x1
	s_branch .LBB512_513
	.p2align	6
.LBB512_512:                            ;   in Loop: Header=BB512_513 Depth=1
	s_or_b32 exec_lo, exec_lo, s0
	s_delay_alu instid0(SALU_CYCLE_1) | instskip(NEXT) | instid1(SALU_CYCLE_1)
	s_and_b32 s0, exec_lo, s23
	s_or_b32 s7, s0, s7
	s_and_not1_b32 s0, s26, exec_lo
	s_and_b32 s26, s25, exec_lo
	s_and_not1_b32 s22, s22, exec_lo
	s_and_b32 s27, s24, exec_lo
	s_or_b32 s26, s0, s26
	s_or_b32 s22, s22, s27
	s_and_not1_b32 exec_lo, exec_lo, s7
	s_cbranch_execz .LBB512_515
.LBB512_513:                            ; =>This Inner Loop Header: Depth=1
	global_load_b64 v[16:17], v[10:11], off
	global_load_b64 v[18:19], v[14:15], off
	s_and_not1_b32 s24, s24, exec_lo
	s_and_not1_b32 s25, s25, exec_lo
	s_or_b32 s23, s23, exec_lo
	s_waitcnt vmcnt(0)
	v_cmp_le_i64_e32 vcc_lo, v[16:17], v[18:19]
	v_cmp_lt_i64_e64 s0, v[16:17], v[18:19]
	s_and_b32 s27, vcc_lo, s26
	s_delay_alu instid0(VALU_DEP_1) | instid1(SALU_CYCLE_1)
	s_or_b32 s27, s0, s27
	s_delay_alu instid0(SALU_CYCLE_1) | instskip(NEXT) | instid1(SALU_CYCLE_1)
	s_and_b32 s0, s27, exec_lo
	s_or_b32 s24, s24, s0
	s_mov_b32 s0, exec_lo
	v_cmpx_eq_u64_e64 v[16:17], v[18:19]
	s_cbranch_execz .LBB512_512
; %bb.514:                              ;   in Loop: Header=BB512_513 Depth=1
	s_add_u32 s20, s20, -1
	s_addc_u32 s21, s21, -1
	v_add_co_u32 v10, vcc_lo, v10, 8
	s_cmp_eq_u64 s[20:21], 0
	v_add_co_ci_u32_e32 v11, vcc_lo, 0, v11, vcc_lo
	v_add_co_u32 v14, vcc_lo, v14, 8
	s_cselect_b32 s26, -1, 0
	v_add_co_ci_u32_e32 v15, vcc_lo, 0, v15, vcc_lo
	s_and_not1_b32 s25, s25, exec_lo
	s_and_b32 s27, s27, exec_lo
	s_and_not1_b32 s23, s23, exec_lo
	s_and_b32 s26, s26, exec_lo
	s_or_b32 s25, s25, s27
	s_and_not1_b32 s24, s24, exec_lo
	s_or_b32 s23, s23, s26
                                        ; implicit-def: $sgpr26
	s_branch .LBB512_512
.LBB512_515:
	s_set_inst_prefetch_distance 0x2
	s_or_b32 exec_lo, exec_lo, s7
	v_cndmask_b32_e64 v7, v7, v9, s22
	v_cndmask_b32_e64 v6, v6, v8, s22
.LBB512_516:
	s_delay_alu instid0(VALU_DEP_1)
	v_dual_mov_b32 v9, v7 :: v_dual_mov_b32 v8, v6
.LBB512_517:
	s_or_b32 exec_lo, exec_lo, s19
	s_delay_alu instid0(VALU_DEP_1)
	v_dual_mov_b32 v6, v8 :: v_dual_mov_b32 v7, v9
.LBB512_518:
	s_or_b32 exec_lo, exec_lo, s12
.LBB512_519:
	s_delay_alu instid0(SALU_CYCLE_1)
	s_or_b32 exec_lo, exec_lo, s1
	s_barrier
	buffer_gl0_inv
	s_barrier
	buffer_gl0_inv
	ds_store_2addr_b64 v39, v[0:1], v[2:3] offset1:1
	ds_store_2addr_b64 v39, v[4:5], v[6:7] offset0:2 offset1:3
	s_waitcnt lgkmcnt(0)
	s_barrier
	buffer_gl0_inv
	ds_load_b64 v[2:3], v38 offset:2048
	ds_load_b64 v[4:5], v35
	ds_load_b64 v[6:7], v36 offset:4096
	ds_load_b64 v[0:1], v37 offset:6144
	v_add_co_u32 v8, s0, s14, v26
	s_delay_alu instid0(VALU_DEP_1) | instskip(NEXT) | instid1(VALU_DEP_2)
	v_add_co_ci_u32_e64 v9, null, s15, 0, s0
	v_add_co_u32 v8, vcc_lo, 0x1000, v8
	s_delay_alu instid0(VALU_DEP_2)
	v_add_co_ci_u32_e32 v9, vcc_lo, 0, v9, vcc_lo
	s_mov_b32 s19, -1
	s_waitcnt lgkmcnt(3)
	global_store_b64 v26, v[2:3], s[14:15] offset:2048
	s_waitcnt lgkmcnt(2)
	global_store_b64 v26, v[4:5], s[14:15]
	s_waitcnt lgkmcnt(1)
	global_store_b64 v[8:9], v[6:7], off
	s_branch .LBB512_876
.LBB512_520:
	s_lshl_b64 s[0:1], s[2:3], 10
                                        ; implicit-def: $vgpr0_vgpr1_vgpr2_vgpr3_vgpr4_vgpr5_vgpr6_vgpr7
	s_delay_alu instid0(SALU_CYCLE_1) | instskip(NEXT) | instid1(SALU_CYCLE_1)
	s_sub_i32 s18, s18, s0
	v_cmp_gt_u32_e64 s0, s18, v12
	s_delay_alu instid0(VALU_DEP_1)
	s_and_saveexec_b32 s1, s0
	s_cbranch_execnz .LBB512_531
; %bb.521:
	s_or_b32 exec_lo, exec_lo, s1
	v_cmp_gt_u32_e64 s1, s18, v34
	s_delay_alu instid0(VALU_DEP_1)
	s_and_saveexec_b32 s2, s1
	s_cbranch_execnz .LBB512_532
.LBB512_522:
	s_or_b32 exec_lo, exec_lo, s2
	v_cmp_gt_u32_e64 s2, s18, v33
	s_delay_alu instid0(VALU_DEP_1)
	s_and_saveexec_b32 s3, s2
	s_cbranch_execnz .LBB512_533
.LBB512_523:
	s_or_b32 exec_lo, exec_lo, s3
	v_cmp_gt_u32_e64 s19, s18, v32
	s_delay_alu instid0(VALU_DEP_1)
	s_and_saveexec_b32 s3, s19
	s_cbranch_execz .LBB512_525
.LBB512_524:
	v_lshlrev_b32_e32 v6, 3, v32
	global_load_b64 v[6:7], v6, s[16:17]
.LBB512_525:
	s_or_b32 exec_lo, exec_lo, s3
	v_lshrrev_b32_e32 v8, 2, v34
	v_lshrrev_b32_e32 v9, 2, v33
	;; [unrolled: 1-line block ×3, first 2 shown]
	v_and_b32_e32 v11, 0xf8, v31
	v_add_lshl_u32 v17, v30, v27, 3
	v_and_b32_e32 v8, 0x1f8, v8
	v_and_b32_e32 v9, 0x1f8, v9
	;; [unrolled: 1-line block ×3, first 2 shown]
	v_cmp_gt_i64_e64 s16, s[8:9], 0
	s_delay_alu instid0(VALU_DEP_4)
	v_dual_mov_b32 v8, 0 :: v_dual_add_nc_u32 v13, v8, v26
	v_add_nc_u32_e32 v14, v11, v26
	v_add_nc_u32_e32 v15, v9, v26
	;; [unrolled: 1-line block ×3, first 2 shown]
	s_waitcnt vmcnt(0) lgkmcnt(0)
	ds_store_b64 v14, v[0:1]
	ds_store_b64 v13, v[2:3] offset:2048
	ds_store_b64 v15, v[4:5] offset:4096
	;; [unrolled: 1-line block ×3, first 2 shown]
	s_waitcnt lgkmcnt(0)
	s_waitcnt_vscnt null, 0x0
	s_barrier
	buffer_gl0_inv
	ds_load_2addr_b64 v[0:3], v17 offset1:1
	ds_load_2addr_b64 v[4:7], v17 offset0:2 offset1:3
	s_waitcnt lgkmcnt(0)
	s_barrier
	buffer_gl0_inv
	s_load_b32 s3, s[4:5], 0xc
	s_waitcnt lgkmcnt(0)
	s_lshr_b32 s3, s3, 16
	s_cmp_lt_u32 s13, s6
	v_mad_u32_u24 v9, v29, s3, v28
	s_cselect_b32 s6, 12, 18
	s_delay_alu instid0(SALU_CYCLE_1) | instskip(SKIP_4) | instid1(VALU_DEP_1)
	s_add_u32 s4, s4, s6
	s_addc_u32 s5, s5, 0
	global_load_u16 v8, v8, s[4:5]
	s_waitcnt vmcnt(0)
	v_mul_lo_u32 v8, v9, v8
	v_add_lshl_u32 v18, v8, v12, 2
	s_delay_alu instid0(VALU_DEP_1) | instskip(NEXT) | instid1(VALU_DEP_1)
	v_sub_nc_u32_e64 v19, s18, v18 clamp
	v_cmp_lt_u32_e64 s3, 1, v19
	s_delay_alu instid0(VALU_DEP_1)
	s_and_saveexec_b32 s12, s3
	s_cbranch_execz .LBB512_537
; %bb.526:
	s_and_not1_b32 vcc_lo, exec_lo, s16
	s_cbranch_vccnz .LBB512_537
; %bb.527:
	v_mul_lo_u32 v20, v3, s8
	v_mul_lo_u32 v21, v2, s9
	v_mad_u64_u32 v[8:9], null, v2, s8, 0
	v_mul_lo_u32 v22, v1, s8
	v_mul_lo_u32 v23, v0, s9
	v_mad_u64_u32 v[10:11], null, v0, s8, 0
	s_mov_b32 s13, 0
	s_mov_b64 s[6:7], s[8:9]
	s_delay_alu instid0(VALU_DEP_4) | instskip(NEXT) | instid1(VALU_DEP_2)
	v_add3_u32 v9, v9, v21, v20
                                        ; implicit-def: $sgpr17
                                        ; implicit-def: $sgpr20
                                        ; implicit-def: $sgpr22
                                        ; implicit-def: $sgpr21
                                        ; implicit-def: $sgpr23
                                        ; implicit-def: $sgpr24
	v_add3_u32 v11, v11, v23, v22
	s_delay_alu instid0(VALU_DEP_2) | instskip(NEXT) | instid1(VALU_DEP_2)
	v_lshlrev_b64 v[8:9], 3, v[8:9]
	v_lshlrev_b64 v[10:11], 3, v[10:11]
	s_delay_alu instid0(VALU_DEP_2) | instskip(NEXT) | instid1(VALU_DEP_3)
	v_add_co_u32 v8, vcc_lo, s10, v8
	v_add_co_ci_u32_e32 v9, vcc_lo, s11, v9, vcc_lo
	s_delay_alu instid0(VALU_DEP_3) | instskip(NEXT) | instid1(VALU_DEP_4)
	v_add_co_u32 v10, vcc_lo, s10, v10
	v_add_co_ci_u32_e32 v11, vcc_lo, s11, v11, vcc_lo
	s_set_inst_prefetch_distance 0x1
	s_branch .LBB512_529
	.p2align	6
.LBB512_528:                            ;   in Loop: Header=BB512_529 Depth=1
	s_or_b32 exec_lo, exec_lo, s25
	s_delay_alu instid0(SALU_CYCLE_1) | instskip(NEXT) | instid1(SALU_CYCLE_1)
	s_and_b32 s5, exec_lo, s22
	s_or_b32 s13, s5, s13
	s_and_not1_b32 s5, s24, exec_lo
	s_and_b32 s24, s23, exec_lo
	s_and_not1_b32 s20, s20, exec_lo
	s_or_b32 s24, s5, s24
	s_and_b32 s5, s21, exec_lo
	s_and_not1_b32 s17, s17, exec_lo
	s_and_b32 s4, s4, exec_lo
	s_or_b32 s20, s20, s5
	s_or_b32 s17, s17, s4
	s_and_not1_b32 exec_lo, exec_lo, s13
	s_cbranch_execz .LBB512_534
.LBB512_529:                            ; =>This Inner Loop Header: Depth=1
	global_load_b64 v[20:21], v[8:9], off
	global_load_b64 v[22:23], v[10:11], off
	s_and_not1_b32 s23, s23, exec_lo
	s_or_b32 s21, s21, exec_lo
	s_or_b32 s22, s22, exec_lo
	s_waitcnt vmcnt(0)
	v_cmp_le_i64_e32 vcc_lo, v[20:21], v[22:23]
	v_cmp_lt_i64_e64 s4, v[20:21], v[22:23]
	s_and_b32 s25, vcc_lo, s24
	s_delay_alu instid0(VALU_DEP_1) | instid1(SALU_CYCLE_1)
	s_or_b32 s4, s4, s25
	s_mov_b32 s25, exec_lo
	v_cmpx_eq_u64_e64 v[20:21], v[22:23]
	s_cbranch_execz .LBB512_528
; %bb.530:                              ;   in Loop: Header=BB512_529 Depth=1
	s_add_u32 s6, s6, -1
	s_addc_u32 s7, s7, -1
	v_add_co_u32 v8, vcc_lo, v8, 8
	s_cmp_eq_u64 s[6:7], 0
	v_add_co_ci_u32_e32 v9, vcc_lo, 0, v9, vcc_lo
	v_add_co_u32 v10, vcc_lo, v10, 8
	s_cselect_b32 s5, -1, 0
	v_add_co_ci_u32_e32 v11, vcc_lo, 0, v11, vcc_lo
	s_and_not1_b32 s23, s23, exec_lo
	s_and_b32 s24, s4, exec_lo
	s_and_not1_b32 s22, s22, exec_lo
	s_and_b32 s5, s5, exec_lo
	s_or_b32 s23, s23, s24
	s_and_not1_b32 s21, s21, exec_lo
	s_or_b32 s22, s22, s5
                                        ; implicit-def: $sgpr24
	s_branch .LBB512_528
.LBB512_531:
	s_waitcnt lgkmcnt(0)
	global_load_b64 v[0:1], v26, s[16:17]
	s_or_b32 exec_lo, exec_lo, s1
	v_cmp_gt_u32_e64 s1, s18, v34
	s_delay_alu instid0(VALU_DEP_1)
	s_and_saveexec_b32 s2, s1
	s_cbranch_execz .LBB512_522
.LBB512_532:
	global_load_b64 v[2:3], v26, s[16:17] offset:2048
	s_or_b32 exec_lo, exec_lo, s2
	v_cmp_gt_u32_e64 s2, s18, v33
	s_delay_alu instid0(VALU_DEP_1)
	s_and_saveexec_b32 s3, s2
	s_cbranch_execz .LBB512_523
.LBB512_533:
	v_lshlrev_b32_e32 v4, 3, v33
	global_load_b64 v[4:5], v4, s[16:17]
	s_or_b32 exec_lo, exec_lo, s3
	v_cmp_gt_u32_e64 s19, s18, v32
	s_delay_alu instid0(VALU_DEP_1)
	s_and_saveexec_b32 s3, s19
	s_cbranch_execnz .LBB512_524
	s_branch .LBB512_525
.LBB512_534:
	s_set_inst_prefetch_distance 0x2
	s_or_b32 exec_lo, exec_lo, s13
	s_and_saveexec_b32 s4, s20
	s_delay_alu instid0(SALU_CYCLE_1)
	s_xor_b32 s4, exec_lo, s4
; %bb.535:
	v_cndmask_b32_e64 v28, v0, v2, s17
	v_cndmask_b32_e64 v31, v3, v1, s17
	;; [unrolled: 1-line block ×4, first 2 shown]
	v_dual_mov_b32 v32, v4 :: v_dual_mov_b32 v33, v5
	v_dual_mov_b32 v34, v6 :: v_dual_mov_b32 v35, v7
	s_delay_alu instid0(VALU_DEP_3) | instskip(SKIP_1) | instid1(VALU_DEP_4)
	v_dual_mov_b32 v0, v28 :: v_dual_mov_b32 v1, v29
	v_dual_mov_b32 v2, v30 :: v_dual_mov_b32 v3, v31
	;; [unrolled: 1-line block ×3, first 2 shown]
	s_delay_alu instid0(VALU_DEP_4)
	v_dual_mov_b32 v6, v34 :: v_dual_mov_b32 v7, v35
; %bb.536:
	s_or_b32 exec_lo, exec_lo, s4
.LBB512_537:
	s_delay_alu instid0(SALU_CYCLE_1) | instskip(SKIP_1) | instid1(VALU_DEP_1)
	s_or_b32 exec_lo, exec_lo, s12
	v_cmp_lt_u32_e64 s4, 3, v19
	s_and_saveexec_b32 s7, s4
	s_cbranch_execz .LBB512_546
; %bb.538:
	s_and_not1_b32 vcc_lo, exec_lo, s16
	s_cbranch_vccnz .LBB512_546
; %bb.539:
	v_mul_lo_u32 v20, v7, s8
	v_mul_lo_u32 v21, v6, s9
	v_mad_u64_u32 v[8:9], null, v6, s8, 0
	v_mul_lo_u32 v22, v5, s8
	v_mul_lo_u32 v23, v4, s9
	v_mad_u64_u32 v[10:11], null, v4, s8, 0
	s_mov_b32 s20, 0
	s_mov_b64 s[12:13], s[8:9]
	s_delay_alu instid0(VALU_DEP_4) | instskip(NEXT) | instid1(VALU_DEP_2)
	v_add3_u32 v9, v9, v21, v20
                                        ; implicit-def: $sgpr17
                                        ; implicit-def: $sgpr21
                                        ; implicit-def: $sgpr23
                                        ; implicit-def: $sgpr22
                                        ; implicit-def: $sgpr24
                                        ; implicit-def: $sgpr25
	v_add3_u32 v11, v11, v23, v22
	s_delay_alu instid0(VALU_DEP_2) | instskip(NEXT) | instid1(VALU_DEP_2)
	v_lshlrev_b64 v[8:9], 3, v[8:9]
	v_lshlrev_b64 v[10:11], 3, v[10:11]
	s_delay_alu instid0(VALU_DEP_2) | instskip(NEXT) | instid1(VALU_DEP_3)
	v_add_co_u32 v8, vcc_lo, s10, v8
	v_add_co_ci_u32_e32 v9, vcc_lo, s11, v9, vcc_lo
	s_delay_alu instid0(VALU_DEP_3) | instskip(NEXT) | instid1(VALU_DEP_4)
	v_add_co_u32 v10, vcc_lo, s10, v10
	v_add_co_ci_u32_e32 v11, vcc_lo, s11, v11, vcc_lo
	s_set_inst_prefetch_distance 0x1
	s_branch .LBB512_541
	.p2align	6
.LBB512_540:                            ;   in Loop: Header=BB512_541 Depth=1
	s_or_b32 exec_lo, exec_lo, s26
	s_delay_alu instid0(SALU_CYCLE_1) | instskip(NEXT) | instid1(SALU_CYCLE_1)
	s_and_b32 s6, exec_lo, s23
	s_or_b32 s20, s6, s20
	s_and_not1_b32 s6, s25, exec_lo
	s_and_b32 s25, s24, exec_lo
	s_and_not1_b32 s21, s21, exec_lo
	s_or_b32 s25, s6, s25
	s_and_b32 s6, s22, exec_lo
	s_and_not1_b32 s17, s17, exec_lo
	s_and_b32 s5, s5, exec_lo
	s_or_b32 s21, s21, s6
	s_or_b32 s17, s17, s5
	s_and_not1_b32 exec_lo, exec_lo, s20
	s_cbranch_execz .LBB512_543
.LBB512_541:                            ; =>This Inner Loop Header: Depth=1
	global_load_b64 v[20:21], v[8:9], off
	global_load_b64 v[22:23], v[10:11], off
	s_and_not1_b32 s24, s24, exec_lo
	s_or_b32 s22, s22, exec_lo
	s_or_b32 s23, s23, exec_lo
	s_waitcnt vmcnt(0)
	v_cmp_le_i64_e32 vcc_lo, v[20:21], v[22:23]
	v_cmp_lt_i64_e64 s5, v[20:21], v[22:23]
	s_and_b32 s26, vcc_lo, s25
	s_delay_alu instid0(VALU_DEP_1) | instid1(SALU_CYCLE_1)
	s_or_b32 s5, s5, s26
	s_mov_b32 s26, exec_lo
	v_cmpx_eq_u64_e64 v[20:21], v[22:23]
	s_cbranch_execz .LBB512_540
; %bb.542:                              ;   in Loop: Header=BB512_541 Depth=1
	s_add_u32 s12, s12, -1
	s_addc_u32 s13, s13, -1
	v_add_co_u32 v8, vcc_lo, v8, 8
	s_cmp_eq_u64 s[12:13], 0
	v_add_co_ci_u32_e32 v9, vcc_lo, 0, v9, vcc_lo
	v_add_co_u32 v10, vcc_lo, v10, 8
	s_cselect_b32 s6, -1, 0
	v_add_co_ci_u32_e32 v11, vcc_lo, 0, v11, vcc_lo
	s_and_not1_b32 s24, s24, exec_lo
	s_and_b32 s25, s5, exec_lo
	s_and_not1_b32 s23, s23, exec_lo
	s_and_b32 s6, s6, exec_lo
	s_or_b32 s24, s24, s25
	s_and_not1_b32 s22, s22, exec_lo
	s_or_b32 s23, s23, s6
                                        ; implicit-def: $sgpr25
	s_branch .LBB512_540
.LBB512_543:
	s_set_inst_prefetch_distance 0x2
	s_or_b32 exec_lo, exec_lo, s20
	s_and_saveexec_b32 s5, s21
	s_delay_alu instid0(SALU_CYCLE_1)
	s_xor_b32 s5, exec_lo, s5
; %bb.544:
	v_cndmask_b32_e64 v8, v6, v4, s17
	v_cndmask_b32_e64 v9, v7, v5, s17
	;; [unrolled: 1-line block ×4, first 2 shown]
	s_delay_alu instid0(VALU_DEP_3)
	v_dual_mov_b32 v6, v8 :: v_dual_mov_b32 v7, v9
; %bb.545:
	s_or_b32 exec_lo, exec_lo, s5
.LBB512_546:
	s_delay_alu instid0(SALU_CYCLE_1) | instskip(SKIP_1) | instid1(VALU_DEP_1)
	s_or_b32 exec_lo, exec_lo, s7
	v_cmp_lt_u32_e64 s5, 2, v19
	s_and_saveexec_b32 s6, s5
	s_delay_alu instid0(SALU_CYCLE_1)
	s_xor_b32 s17, exec_lo, s6
	s_cbranch_execz .LBB512_555
; %bb.547:
	s_and_not1_b32 vcc_lo, exec_lo, s16
	s_cbranch_vccnz .LBB512_555
; %bb.548:
	v_mul_lo_u32 v19, v5, s8
	v_mul_lo_u32 v20, v4, s9
	v_mad_u64_u32 v[8:9], null, v4, s8, 0
	v_mul_lo_u32 v21, v3, s8
	v_mul_lo_u32 v22, v2, s9
	v_mad_u64_u32 v[10:11], null, v2, s8, 0
	s_mov_b32 s21, 0
	s_mov_b64 s[12:13], s[8:9]
	s_delay_alu instid0(VALU_DEP_4) | instskip(NEXT) | instid1(VALU_DEP_2)
	v_add3_u32 v9, v9, v20, v19
                                        ; implicit-def: $sgpr20
                                        ; implicit-def: $sgpr22
                                        ; implicit-def: $sgpr24
                                        ; implicit-def: $sgpr23
                                        ; implicit-def: $sgpr25
                                        ; implicit-def: $sgpr26
	v_add3_u32 v11, v11, v22, v21
	s_delay_alu instid0(VALU_DEP_2) | instskip(NEXT) | instid1(VALU_DEP_2)
	v_lshlrev_b64 v[8:9], 3, v[8:9]
	v_lshlrev_b64 v[10:11], 3, v[10:11]
	s_delay_alu instid0(VALU_DEP_2) | instskip(NEXT) | instid1(VALU_DEP_3)
	v_add_co_u32 v8, vcc_lo, s10, v8
	v_add_co_ci_u32_e32 v9, vcc_lo, s11, v9, vcc_lo
	s_delay_alu instid0(VALU_DEP_3) | instskip(NEXT) | instid1(VALU_DEP_4)
	v_add_co_u32 v10, vcc_lo, s10, v10
	v_add_co_ci_u32_e32 v11, vcc_lo, s11, v11, vcc_lo
	s_set_inst_prefetch_distance 0x1
	s_branch .LBB512_550
	.p2align	6
.LBB512_549:                            ;   in Loop: Header=BB512_550 Depth=1
	s_or_b32 exec_lo, exec_lo, s27
	s_delay_alu instid0(SALU_CYCLE_1) | instskip(NEXT) | instid1(SALU_CYCLE_1)
	s_and_b32 s7, exec_lo, s24
	s_or_b32 s21, s7, s21
	s_and_not1_b32 s7, s26, exec_lo
	s_and_b32 s26, s25, exec_lo
	s_and_not1_b32 s22, s22, exec_lo
	s_or_b32 s26, s7, s26
	s_and_b32 s7, s23, exec_lo
	s_and_not1_b32 s20, s20, exec_lo
	s_and_b32 s6, s6, exec_lo
	s_or_b32 s22, s22, s7
	s_or_b32 s20, s20, s6
	s_and_not1_b32 exec_lo, exec_lo, s21
	s_cbranch_execz .LBB512_552
.LBB512_550:                            ; =>This Inner Loop Header: Depth=1
	global_load_b64 v[19:20], v[8:9], off
	global_load_b64 v[21:22], v[10:11], off
	s_and_not1_b32 s25, s25, exec_lo
	s_or_b32 s23, s23, exec_lo
	s_or_b32 s24, s24, exec_lo
	s_waitcnt vmcnt(0)
	v_cmp_le_i64_e32 vcc_lo, v[19:20], v[21:22]
	v_cmp_lt_i64_e64 s6, v[19:20], v[21:22]
	s_and_b32 s27, vcc_lo, s26
	s_delay_alu instid0(VALU_DEP_1) | instid1(SALU_CYCLE_1)
	s_or_b32 s6, s6, s27
	s_mov_b32 s27, exec_lo
	v_cmpx_eq_u64_e64 v[19:20], v[21:22]
	s_cbranch_execz .LBB512_549
; %bb.551:                              ;   in Loop: Header=BB512_550 Depth=1
	s_add_u32 s12, s12, -1
	s_addc_u32 s13, s13, -1
	v_add_co_u32 v8, vcc_lo, v8, 8
	s_cmp_eq_u64 s[12:13], 0
	v_add_co_ci_u32_e32 v9, vcc_lo, 0, v9, vcc_lo
	v_add_co_u32 v10, vcc_lo, v10, 8
	s_cselect_b32 s7, -1, 0
	v_add_co_ci_u32_e32 v11, vcc_lo, 0, v11, vcc_lo
	s_and_not1_b32 s25, s25, exec_lo
	s_and_b32 s26, s6, exec_lo
	s_and_not1_b32 s24, s24, exec_lo
	s_and_b32 s7, s7, exec_lo
	s_or_b32 s25, s25, s26
	s_and_not1_b32 s23, s23, exec_lo
	s_or_b32 s24, s24, s7
                                        ; implicit-def: $sgpr26
	s_branch .LBB512_549
.LBB512_552:
	s_set_inst_prefetch_distance 0x2
	s_or_b32 exec_lo, exec_lo, s21
	s_and_saveexec_b32 s6, s22
	s_delay_alu instid0(SALU_CYCLE_1)
	s_xor_b32 s6, exec_lo, s6
; %bb.553:
	v_cndmask_b32_e64 v8, v4, v2, s20
	v_cndmask_b32_e64 v9, v5, v3, s20
	;; [unrolled: 1-line block ×4, first 2 shown]
	s_delay_alu instid0(VALU_DEP_3)
	v_dual_mov_b32 v4, v8 :: v_dual_mov_b32 v5, v9
; %bb.554:
	s_or_b32 exec_lo, exec_lo, s6
.LBB512_555:
	s_delay_alu instid0(SALU_CYCLE_1)
	s_or_b32 exec_lo, exec_lo, s17
	s_and_saveexec_b32 s7, s3
	s_cbranch_execz .LBB512_564
; %bb.556:
	s_and_not1_b32 vcc_lo, exec_lo, s16
	s_cbranch_vccnz .LBB512_564
; %bb.557:
	v_mul_lo_u32 v19, v3, s8
	v_mul_lo_u32 v20, v2, s9
	v_mad_u64_u32 v[8:9], null, v2, s8, 0
	v_mul_lo_u32 v21, v1, s8
	v_mul_lo_u32 v22, v0, s9
	v_mad_u64_u32 v[10:11], null, v0, s8, 0
	s_mov_b32 s17, 0
	s_mov_b64 s[12:13], s[8:9]
	s_delay_alu instid0(VALU_DEP_4) | instskip(NEXT) | instid1(VALU_DEP_2)
	v_add3_u32 v9, v9, v20, v19
                                        ; implicit-def: $sgpr20
                                        ; implicit-def: $sgpr21
                                        ; implicit-def: $sgpr23
                                        ; implicit-def: $sgpr22
                                        ; implicit-def: $sgpr24
                                        ; implicit-def: $sgpr25
	v_add3_u32 v11, v11, v22, v21
	s_delay_alu instid0(VALU_DEP_2) | instskip(NEXT) | instid1(VALU_DEP_2)
	v_lshlrev_b64 v[8:9], 3, v[8:9]
	v_lshlrev_b64 v[10:11], 3, v[10:11]
	s_delay_alu instid0(VALU_DEP_2) | instskip(NEXT) | instid1(VALU_DEP_3)
	v_add_co_u32 v8, vcc_lo, s10, v8
	v_add_co_ci_u32_e32 v9, vcc_lo, s11, v9, vcc_lo
	s_delay_alu instid0(VALU_DEP_3) | instskip(NEXT) | instid1(VALU_DEP_4)
	v_add_co_u32 v10, vcc_lo, s10, v10
	v_add_co_ci_u32_e32 v11, vcc_lo, s11, v11, vcc_lo
	s_set_inst_prefetch_distance 0x1
	s_branch .LBB512_559
	.p2align	6
.LBB512_558:                            ;   in Loop: Header=BB512_559 Depth=1
	s_or_b32 exec_lo, exec_lo, s26
	s_delay_alu instid0(SALU_CYCLE_1) | instskip(NEXT) | instid1(SALU_CYCLE_1)
	s_and_b32 s6, exec_lo, s23
	s_or_b32 s17, s6, s17
	s_and_not1_b32 s6, s25, exec_lo
	s_and_b32 s25, s24, exec_lo
	s_and_not1_b32 s21, s21, exec_lo
	s_or_b32 s25, s6, s25
	s_and_b32 s6, s22, exec_lo
	s_and_not1_b32 s20, s20, exec_lo
	s_and_b32 s3, s3, exec_lo
	s_or_b32 s21, s21, s6
	s_or_b32 s20, s20, s3
	s_and_not1_b32 exec_lo, exec_lo, s17
	s_cbranch_execz .LBB512_561
.LBB512_559:                            ; =>This Inner Loop Header: Depth=1
	global_load_b64 v[19:20], v[8:9], off
	global_load_b64 v[21:22], v[10:11], off
	s_and_not1_b32 s24, s24, exec_lo
	s_or_b32 s22, s22, exec_lo
	s_or_b32 s23, s23, exec_lo
	s_waitcnt vmcnt(0)
	v_cmp_le_i64_e32 vcc_lo, v[19:20], v[21:22]
	v_cmp_lt_i64_e64 s3, v[19:20], v[21:22]
	s_and_b32 s26, vcc_lo, s25
	s_delay_alu instid0(VALU_DEP_1) | instid1(SALU_CYCLE_1)
	s_or_b32 s3, s3, s26
	s_mov_b32 s26, exec_lo
	v_cmpx_eq_u64_e64 v[19:20], v[21:22]
	s_cbranch_execz .LBB512_558
; %bb.560:                              ;   in Loop: Header=BB512_559 Depth=1
	s_add_u32 s12, s12, -1
	s_addc_u32 s13, s13, -1
	v_add_co_u32 v8, vcc_lo, v8, 8
	s_cmp_eq_u64 s[12:13], 0
	v_add_co_ci_u32_e32 v9, vcc_lo, 0, v9, vcc_lo
	v_add_co_u32 v10, vcc_lo, v10, 8
	s_cselect_b32 s6, -1, 0
	v_add_co_ci_u32_e32 v11, vcc_lo, 0, v11, vcc_lo
	s_and_not1_b32 s24, s24, exec_lo
	s_and_b32 s25, s3, exec_lo
	s_and_not1_b32 s23, s23, exec_lo
	s_and_b32 s6, s6, exec_lo
	s_or_b32 s24, s24, s25
	s_and_not1_b32 s22, s22, exec_lo
	s_or_b32 s23, s23, s6
                                        ; implicit-def: $sgpr25
	s_branch .LBB512_558
.LBB512_561:
	s_set_inst_prefetch_distance 0x2
	s_or_b32 exec_lo, exec_lo, s17
	s_and_saveexec_b32 s3, s21
	s_delay_alu instid0(SALU_CYCLE_1)
	s_xor_b32 s3, exec_lo, s3
; %bb.562:
	v_cndmask_b32_e64 v28, v0, v2, s20
	v_cndmask_b32_e64 v31, v3, v1, s20
	;; [unrolled: 1-line block ×4, first 2 shown]
	v_dual_mov_b32 v32, v4 :: v_dual_mov_b32 v33, v5
	v_dual_mov_b32 v34, v6 :: v_dual_mov_b32 v35, v7
	s_delay_alu instid0(VALU_DEP_3) | instskip(SKIP_1) | instid1(VALU_DEP_4)
	v_dual_mov_b32 v0, v28 :: v_dual_mov_b32 v1, v29
	v_dual_mov_b32 v2, v30 :: v_dual_mov_b32 v3, v31
	;; [unrolled: 1-line block ×3, first 2 shown]
	s_delay_alu instid0(VALU_DEP_4)
	v_dual_mov_b32 v6, v34 :: v_dual_mov_b32 v7, v35
; %bb.563:
	s_or_b32 exec_lo, exec_lo, s3
.LBB512_564:
	s_delay_alu instid0(SALU_CYCLE_1)
	s_or_b32 exec_lo, exec_lo, s7
	s_and_saveexec_b32 s12, s4
	s_cbranch_execz .LBB512_573
; %bb.565:
	s_and_not1_b32 vcc_lo, exec_lo, s16
	s_cbranch_vccnz .LBB512_573
; %bb.566:
	v_mul_lo_u32 v19, v7, s8
	v_mul_lo_u32 v20, v6, s9
	v_mad_u64_u32 v[8:9], null, v6, s8, 0
	v_mul_lo_u32 v21, v5, s8
	v_mul_lo_u32 v22, v4, s9
	v_mad_u64_u32 v[10:11], null, v4, s8, 0
	s_mov_b32 s17, 0
	s_mov_b64 s[6:7], s[8:9]
	s_delay_alu instid0(VALU_DEP_4) | instskip(NEXT) | instid1(VALU_DEP_2)
	v_add3_u32 v9, v9, v20, v19
                                        ; implicit-def: $sgpr13
                                        ; implicit-def: $sgpr20
                                        ; implicit-def: $sgpr22
                                        ; implicit-def: $sgpr21
                                        ; implicit-def: $sgpr23
                                        ; implicit-def: $sgpr24
	v_add3_u32 v11, v11, v22, v21
	s_delay_alu instid0(VALU_DEP_2) | instskip(NEXT) | instid1(VALU_DEP_2)
	v_lshlrev_b64 v[8:9], 3, v[8:9]
	v_lshlrev_b64 v[10:11], 3, v[10:11]
	s_delay_alu instid0(VALU_DEP_2) | instskip(NEXT) | instid1(VALU_DEP_3)
	v_add_co_u32 v8, vcc_lo, s10, v8
	v_add_co_ci_u32_e32 v9, vcc_lo, s11, v9, vcc_lo
	s_delay_alu instid0(VALU_DEP_3) | instskip(NEXT) | instid1(VALU_DEP_4)
	v_add_co_u32 v10, vcc_lo, s10, v10
	v_add_co_ci_u32_e32 v11, vcc_lo, s11, v11, vcc_lo
	s_set_inst_prefetch_distance 0x1
	s_branch .LBB512_568
	.p2align	6
.LBB512_567:                            ;   in Loop: Header=BB512_568 Depth=1
	s_or_b32 exec_lo, exec_lo, s25
	s_delay_alu instid0(SALU_CYCLE_1) | instskip(NEXT) | instid1(SALU_CYCLE_1)
	s_and_b32 s4, exec_lo, s22
	s_or_b32 s17, s4, s17
	s_and_not1_b32 s4, s24, exec_lo
	s_and_b32 s24, s23, exec_lo
	s_and_not1_b32 s20, s20, exec_lo
	s_or_b32 s24, s4, s24
	s_and_b32 s4, s21, exec_lo
	s_and_not1_b32 s13, s13, exec_lo
	s_and_b32 s3, s3, exec_lo
	s_or_b32 s20, s20, s4
	s_or_b32 s13, s13, s3
	s_and_not1_b32 exec_lo, exec_lo, s17
	s_cbranch_execz .LBB512_570
.LBB512_568:                            ; =>This Inner Loop Header: Depth=1
	global_load_b64 v[19:20], v[8:9], off
	global_load_b64 v[21:22], v[10:11], off
	s_and_not1_b32 s23, s23, exec_lo
	s_or_b32 s21, s21, exec_lo
	s_or_b32 s22, s22, exec_lo
	s_waitcnt vmcnt(0)
	v_cmp_le_i64_e32 vcc_lo, v[19:20], v[21:22]
	v_cmp_lt_i64_e64 s3, v[19:20], v[21:22]
	s_and_b32 s25, vcc_lo, s24
	s_delay_alu instid0(VALU_DEP_1) | instid1(SALU_CYCLE_1)
	s_or_b32 s3, s3, s25
	s_mov_b32 s25, exec_lo
	v_cmpx_eq_u64_e64 v[19:20], v[21:22]
	s_cbranch_execz .LBB512_567
; %bb.569:                              ;   in Loop: Header=BB512_568 Depth=1
	s_add_u32 s6, s6, -1
	s_addc_u32 s7, s7, -1
	v_add_co_u32 v8, vcc_lo, v8, 8
	s_cmp_eq_u64 s[6:7], 0
	v_add_co_ci_u32_e32 v9, vcc_lo, 0, v9, vcc_lo
	v_add_co_u32 v10, vcc_lo, v10, 8
	s_cselect_b32 s4, -1, 0
	v_add_co_ci_u32_e32 v11, vcc_lo, 0, v11, vcc_lo
	s_and_not1_b32 s23, s23, exec_lo
	s_and_b32 s24, s3, exec_lo
	s_and_not1_b32 s22, s22, exec_lo
	s_and_b32 s4, s4, exec_lo
	s_or_b32 s23, s23, s24
	s_and_not1_b32 s21, s21, exec_lo
	s_or_b32 s22, s22, s4
                                        ; implicit-def: $sgpr24
	s_branch .LBB512_567
.LBB512_570:
	s_set_inst_prefetch_distance 0x2
	s_or_b32 exec_lo, exec_lo, s17
	s_and_saveexec_b32 s3, s20
	s_delay_alu instid0(SALU_CYCLE_1)
	s_xor_b32 s3, exec_lo, s3
; %bb.571:
	v_cndmask_b32_e64 v8, v6, v4, s13
	v_cndmask_b32_e64 v9, v7, v5, s13
	;; [unrolled: 1-line block ×4, first 2 shown]
	s_delay_alu instid0(VALU_DEP_3)
	v_dual_mov_b32 v6, v8 :: v_dual_mov_b32 v7, v9
; %bb.572:
	s_or_b32 exec_lo, exec_lo, s3
.LBB512_573:
	s_delay_alu instid0(SALU_CYCLE_1)
	s_or_b32 exec_lo, exec_lo, s12
	s_and_saveexec_b32 s12, s5
	s_cbranch_execz .LBB512_582
; %bb.574:
	s_and_not1_b32 vcc_lo, exec_lo, s16
	s_cbranch_vccnz .LBB512_582
; %bb.575:
	v_mul_lo_u32 v19, v5, s8
	v_mul_lo_u32 v20, v4, s9
	v_mad_u64_u32 v[8:9], null, v4, s8, 0
	v_mul_lo_u32 v21, v3, s8
	v_mul_lo_u32 v22, v2, s9
	v_mad_u64_u32 v[10:11], null, v2, s8, 0
	s_mov_b32 s13, 0
	s_mov_b64 s[6:7], s[8:9]
	s_delay_alu instid0(VALU_DEP_4) | instskip(NEXT) | instid1(VALU_DEP_2)
	v_add3_u32 v9, v9, v20, v19
                                        ; implicit-def: $sgpr5
                                        ; implicit-def: $sgpr17
                                        ; implicit-def: $sgpr21
                                        ; implicit-def: $sgpr20
                                        ; implicit-def: $sgpr22
                                        ; implicit-def: $sgpr23
	v_add3_u32 v11, v11, v22, v21
	s_delay_alu instid0(VALU_DEP_2) | instskip(NEXT) | instid1(VALU_DEP_2)
	v_lshlrev_b64 v[8:9], 3, v[8:9]
	v_lshlrev_b64 v[10:11], 3, v[10:11]
	s_delay_alu instid0(VALU_DEP_2) | instskip(NEXT) | instid1(VALU_DEP_3)
	v_add_co_u32 v8, vcc_lo, s10, v8
	v_add_co_ci_u32_e32 v9, vcc_lo, s11, v9, vcc_lo
	s_delay_alu instid0(VALU_DEP_3) | instskip(NEXT) | instid1(VALU_DEP_4)
	v_add_co_u32 v10, vcc_lo, s10, v10
	v_add_co_ci_u32_e32 v11, vcc_lo, s11, v11, vcc_lo
	s_set_inst_prefetch_distance 0x1
	s_branch .LBB512_577
	.p2align	6
.LBB512_576:                            ;   in Loop: Header=BB512_577 Depth=1
	s_or_b32 exec_lo, exec_lo, s24
	s_delay_alu instid0(SALU_CYCLE_1) | instskip(NEXT) | instid1(SALU_CYCLE_1)
	s_and_b32 s4, exec_lo, s21
	s_or_b32 s13, s4, s13
	s_and_not1_b32 s4, s23, exec_lo
	s_and_b32 s23, s22, exec_lo
	s_and_not1_b32 s17, s17, exec_lo
	s_or_b32 s23, s4, s23
	s_and_b32 s4, s20, exec_lo
	s_and_not1_b32 s5, s5, exec_lo
	s_and_b32 s3, s3, exec_lo
	s_or_b32 s17, s17, s4
	s_or_b32 s5, s5, s3
	s_and_not1_b32 exec_lo, exec_lo, s13
	s_cbranch_execz .LBB512_579
.LBB512_577:                            ; =>This Inner Loop Header: Depth=1
	global_load_b64 v[19:20], v[8:9], off
	global_load_b64 v[21:22], v[10:11], off
	s_and_not1_b32 s22, s22, exec_lo
	s_or_b32 s20, s20, exec_lo
	s_or_b32 s21, s21, exec_lo
	s_waitcnt vmcnt(0)
	v_cmp_le_i64_e32 vcc_lo, v[19:20], v[21:22]
	v_cmp_lt_i64_e64 s3, v[19:20], v[21:22]
	s_and_b32 s24, vcc_lo, s23
	s_delay_alu instid0(VALU_DEP_1) | instid1(SALU_CYCLE_1)
	s_or_b32 s3, s3, s24
	s_mov_b32 s24, exec_lo
	v_cmpx_eq_u64_e64 v[19:20], v[21:22]
	s_cbranch_execz .LBB512_576
; %bb.578:                              ;   in Loop: Header=BB512_577 Depth=1
	s_add_u32 s6, s6, -1
	s_addc_u32 s7, s7, -1
	v_add_co_u32 v8, vcc_lo, v8, 8
	s_cmp_eq_u64 s[6:7], 0
	v_add_co_ci_u32_e32 v9, vcc_lo, 0, v9, vcc_lo
	v_add_co_u32 v10, vcc_lo, v10, 8
	s_cselect_b32 s4, -1, 0
	v_add_co_ci_u32_e32 v11, vcc_lo, 0, v11, vcc_lo
	s_and_not1_b32 s22, s22, exec_lo
	s_and_b32 s23, s3, exec_lo
	s_and_not1_b32 s21, s21, exec_lo
	s_and_b32 s4, s4, exec_lo
	s_or_b32 s22, s22, s23
	s_and_not1_b32 s20, s20, exec_lo
	s_or_b32 s21, s21, s4
                                        ; implicit-def: $sgpr23
	s_branch .LBB512_576
.LBB512_579:
	s_set_inst_prefetch_distance 0x2
	s_or_b32 exec_lo, exec_lo, s13
	s_and_saveexec_b32 s3, s17
	s_delay_alu instid0(SALU_CYCLE_1)
	s_xor_b32 s3, exec_lo, s3
; %bb.580:
	v_cndmask_b32_e64 v8, v4, v2, s5
	v_cndmask_b32_e64 v9, v5, v3, s5
	;; [unrolled: 1-line block ×4, first 2 shown]
	s_delay_alu instid0(VALU_DEP_3)
	v_dual_mov_b32 v4, v8 :: v_dual_mov_b32 v5, v9
; %bb.581:
	s_or_b32 exec_lo, exec_lo, s3
.LBB512_582:
	s_delay_alu instid0(SALU_CYCLE_1) | instskip(SKIP_4) | instid1(VALU_DEP_2)
	s_or_b32 exec_lo, exec_lo, s12
	v_mbcnt_lo_u32_b32 v8, -1, 0
	v_and_b32_e32 v9, 0xffffff80, v18
	s_mov_b32 s12, 0
	s_mov_b32 s13, exec_lo
	v_lshlrev_b32_e32 v20, 2, v8
	s_delay_alu instid0(VALU_DEP_2) | instskip(SKIP_1) | instid1(VALU_DEP_3)
	v_sub_nc_u32_e64 v19, s18, v9 clamp
	v_lshlrev_b32_e32 v18, 3, v9
	v_or_b32_e32 v10, 4, v20
	v_and_b32_e32 v11, 4, v20
	v_and_b32_e32 v28, 0x78, v20
	s_delay_alu instid0(VALU_DEP_4)
	v_lshl_or_b32 v21, v8, 5, v18
	ds_store_b128 v21, v[0:3]
	ds_store_b128 v21, v[4:7] offset:16
	v_min_u32_e32 v22, v19, v10
	v_min_u32_e32 v29, v19, v11
	v_lshl_or_b32 v25, v28, 3, v18
	; wave barrier
	s_delay_alu instid0(VALU_DEP_3) | instskip(SKIP_1) | instid1(VALU_DEP_2)
	v_add_nc_u32_e32 v10, 4, v22
	v_sub_nc_u32_e32 v11, v22, v28
	v_min_u32_e32 v23, v19, v10
	s_delay_alu instid0(VALU_DEP_2) | instskip(NEXT) | instid1(VALU_DEP_2)
	v_min_u32_e32 v30, v29, v11
	v_sub_nc_u32_e32 v10, v23, v22
	s_delay_alu instid0(VALU_DEP_1) | instskip(NEXT) | instid1(VALU_DEP_1)
	v_sub_nc_u32_e64 v24, v29, v10 clamp
	v_cmpx_lt_u32_e64 v24, v30
	s_cbranch_execz .LBB512_593
; %bb.583:
	v_lshlrev_b32_e32 v8, 3, v22
	v_lshlrev_b32_e32 v9, 3, v29
	s_lshl_b64 s[4:5], s[8:9], 3
	s_delay_alu instid0(VALU_DEP_1)
	v_add3_u32 v31, v18, v8, v9
	s_branch .LBB512_586
.LBB512_584:                            ;   in Loop: Header=BB512_586 Depth=1
	s_set_inst_prefetch_distance 0x2
	s_or_b32 exec_lo, exec_lo, s17
.LBB512_585:                            ;   in Loop: Header=BB512_586 Depth=1
	s_delay_alu instid0(VALU_DEP_1) | instskip(SKIP_1) | instid1(VALU_DEP_2)
	v_add_nc_u32_e32 v8, 1, v32
	v_cndmask_b32_e64 v30, v30, v32, s20
	v_cndmask_b32_e64 v24, v8, v24, s20
	s_delay_alu instid0(VALU_DEP_1) | instskip(SKIP_1) | instid1(SALU_CYCLE_1)
	v_cmp_ge_u32_e32 vcc_lo, v24, v30
	s_or_b32 s12, vcc_lo, s12
	s_and_not1_b32 exec_lo, exec_lo, s12
	s_cbranch_execz .LBB512_592
.LBB512_586:                            ; =>This Loop Header: Depth=1
                                        ;     Child Loop BB512_589 Depth 2
	v_add_nc_u32_e32 v8, v30, v24
	s_and_not1_b32 vcc_lo, exec_lo, s16
	s_delay_alu instid0(VALU_DEP_1)
	v_lshrrev_b32_e32 v32, 1, v8
	s_cbranch_vccnz .LBB512_591
; %bb.587:                              ;   in Loop: Header=BB512_586 Depth=1
	s_delay_alu instid0(VALU_DEP_1) | instskip(SKIP_3) | instid1(VALU_DEP_2)
	v_not_b32_e32 v8, v32
	v_lshl_add_u32 v9, v32, 3, v25
	s_mov_b32 s17, 0
	s_mov_b64 s[6:7], s[8:9]
                                        ; implicit-def: $sgpr20
                                        ; implicit-def: $sgpr21
                                        ; implicit-def: $sgpr22
                                        ; implicit-def: $sgpr23
                                        ; implicit-def: $sgpr24
	v_lshl_add_u32 v8, v8, 3, v31
	ds_load_b64 v[10:11], v8
	ds_load_b64 v[33:34], v9
	s_waitcnt lgkmcnt(1)
	v_mul_lo_u32 v35, s4, v11
	v_mul_lo_u32 v36, s5, v10
	v_mad_u64_u32 v[8:9], null, s4, v10, s[10:11]
	s_waitcnt lgkmcnt(0)
	v_mul_lo_u32 v34, s4, v34
	v_mul_lo_u32 v37, s5, v33
	v_mad_u64_u32 v[10:11], null, s4, v33, s[10:11]
	s_delay_alu instid0(VALU_DEP_4) | instskip(NEXT) | instid1(VALU_DEP_2)
	v_add3_u32 v9, v36, v9, v35
	v_add3_u32 v11, v37, v11, v34
	s_set_inst_prefetch_distance 0x1
	s_branch .LBB512_589
	.p2align	6
.LBB512_588:                            ;   in Loop: Header=BB512_589 Depth=2
	s_or_b32 exec_lo, exec_lo, s3
	s_delay_alu instid0(SALU_CYCLE_1) | instskip(NEXT) | instid1(SALU_CYCLE_1)
	s_and_b32 s3, exec_lo, s21
	s_or_b32 s17, s3, s17
	s_and_not1_b32 s3, s24, exec_lo
	s_and_b32 s24, s22, exec_lo
	s_and_not1_b32 s20, s20, exec_lo
	s_and_b32 s25, s23, exec_lo
	s_or_b32 s24, s3, s24
	s_or_b32 s20, s20, s25
	s_and_not1_b32 exec_lo, exec_lo, s17
	s_cbranch_execz .LBB512_584
.LBB512_589:                            ;   Parent Loop BB512_586 Depth=1
                                        ; =>  This Inner Loop Header: Depth=2
	global_load_b64 v[33:34], v[8:9], off
	global_load_b64 v[35:36], v[10:11], off
	s_and_not1_b32 s23, s23, exec_lo
	s_and_not1_b32 s22, s22, exec_lo
	s_or_b32 s21, s21, exec_lo
	s_waitcnt vmcnt(0)
	v_cmp_le_i64_e32 vcc_lo, v[33:34], v[35:36]
	v_cmp_lt_i64_e64 s3, v[33:34], v[35:36]
	s_and_b32 s25, vcc_lo, s24
	s_delay_alu instid0(VALU_DEP_1) | instid1(SALU_CYCLE_1)
	s_or_b32 s25, s3, s25
	s_delay_alu instid0(SALU_CYCLE_1) | instskip(NEXT) | instid1(SALU_CYCLE_1)
	s_and_b32 s3, s25, exec_lo
	s_or_b32 s23, s23, s3
	s_mov_b32 s3, exec_lo
	v_cmpx_eq_u64_e64 v[33:34], v[35:36]
	s_cbranch_execz .LBB512_588
; %bb.590:                              ;   in Loop: Header=BB512_589 Depth=2
	s_add_u32 s6, s6, -1
	s_addc_u32 s7, s7, -1
	v_add_co_u32 v8, vcc_lo, v8, 8
	s_cmp_eq_u64 s[6:7], 0
	v_add_co_ci_u32_e32 v9, vcc_lo, 0, v9, vcc_lo
	s_cselect_b32 s24, -1, 0
	v_add_co_u32 v10, vcc_lo, v10, 8
	s_and_not1_b32 s22, s22, exec_lo
	s_and_b32 s25, s25, exec_lo
	s_and_not1_b32 s21, s21, exec_lo
	s_and_b32 s24, s24, exec_lo
	v_add_co_ci_u32_e32 v11, vcc_lo, 0, v11, vcc_lo
	s_and_not1_b32 s23, s23, exec_lo
	s_or_b32 s22, s22, s25
	s_or_b32 s21, s21, s24
                                        ; implicit-def: $sgpr24
	s_branch .LBB512_588
.LBB512_591:                            ;   in Loop: Header=BB512_586 Depth=1
	s_mov_b32 s20, 0
	s_branch .LBB512_585
.LBB512_592:
	s_or_b32 exec_lo, exec_lo, s12
.LBB512_593:
	s_delay_alu instid0(SALU_CYCLE_1) | instskip(SKIP_2) | instid1(VALU_DEP_2)
	s_or_b32 exec_lo, exec_lo, s13
	v_add_nc_u32_e32 v9, v22, v29
	v_add_nc_u32_e32 v8, v24, v28
	v_sub_nc_u32_e32 v9, v9, v24
	s_delay_alu instid0(VALU_DEP_2) | instskip(NEXT) | instid1(VALU_DEP_2)
	v_cmp_le_u32_e32 vcc_lo, v8, v22
	v_cmp_le_u32_e64 s3, v9, v23
	s_delay_alu instid0(VALU_DEP_1) | instskip(NEXT) | instid1(SALU_CYCLE_1)
	s_or_b32 s3, vcc_lo, s3
	s_and_saveexec_b32 s6, s3
	s_cbranch_execz .LBB512_640
; %bb.594:
	v_cmp_ge_u32_e32 vcc_lo, v8, v22
	s_mov_b32 s4, exec_lo
                                        ; implicit-def: $vgpr0_vgpr1
	v_cmpx_lt_u32_e64 v8, v22
	s_cbranch_execz .LBB512_596
; %bb.595:
	v_lshl_add_u32 v0, v24, 3, v25
	ds_load_b64 v[0:1], v0
.LBB512_596:
	s_or_b32 exec_lo, exec_lo, s4
	v_cmp_ge_u32_e64 s7, v9, v23
	s_mov_b32 s4, exec_lo
                                        ; implicit-def: $vgpr2_vgpr3
	v_cmpx_lt_u32_e64 v9, v23
	s_cbranch_execz .LBB512_598
; %bb.597:
	v_lshl_add_u32 v2, v9, 3, v18
	ds_load_b64 v[2:3], v2
.LBB512_598:
	s_or_b32 exec_lo, exec_lo, s4
	s_or_b32 s3, vcc_lo, s7
	s_mov_b32 s12, -1
	s_xor_b32 s3, s3, -1
	s_delay_alu instid0(SALU_CYCLE_1)
	s_and_saveexec_b32 s13, s3
	s_cbranch_execz .LBB512_607
; %bb.599:
	s_and_not1_b32 vcc_lo, exec_lo, s16
	s_cbranch_vccnz .LBB512_605
; %bb.600:
	s_waitcnt lgkmcnt(0)
	v_mul_lo_u32 v10, v3, s8
	v_mul_lo_u32 v11, v2, s9
	v_mad_u64_u32 v[4:5], null, v2, s8, 0
	v_mul_lo_u32 v24, v1, s8
	v_mul_lo_u32 v25, v0, s9
	v_mad_u64_u32 v[6:7], null, v0, s8, 0
	s_mov_b32 s17, 0
	s_mov_b64 s[4:5], s[8:9]
	s_delay_alu instid0(VALU_DEP_4) | instskip(NEXT) | instid1(VALU_DEP_2)
	v_add3_u32 v5, v5, v11, v10
                                        ; implicit-def: $sgpr20
                                        ; implicit-def: $sgpr21
                                        ; implicit-def: $sgpr22
                                        ; implicit-def: $sgpr23
                                        ; implicit-def: $sgpr24
	v_add3_u32 v7, v7, v25, v24
	s_delay_alu instid0(VALU_DEP_2) | instskip(NEXT) | instid1(VALU_DEP_2)
	v_lshlrev_b64 v[4:5], 3, v[4:5]
	v_lshlrev_b64 v[6:7], 3, v[6:7]
	s_delay_alu instid0(VALU_DEP_2) | instskip(NEXT) | instid1(VALU_DEP_3)
	v_add_co_u32 v4, vcc_lo, s10, v4
	v_add_co_ci_u32_e32 v5, vcc_lo, s11, v5, vcc_lo
	s_delay_alu instid0(VALU_DEP_3) | instskip(NEXT) | instid1(VALU_DEP_4)
	v_add_co_u32 v6, vcc_lo, s10, v6
	v_add_co_ci_u32_e32 v7, vcc_lo, s11, v7, vcc_lo
	s_set_inst_prefetch_distance 0x1
	s_branch .LBB512_602
	.p2align	6
.LBB512_601:                            ;   in Loop: Header=BB512_602 Depth=1
	s_or_b32 exec_lo, exec_lo, s3
	s_delay_alu instid0(SALU_CYCLE_1) | instskip(NEXT) | instid1(SALU_CYCLE_1)
	s_and_b32 s3, exec_lo, s21
	s_or_b32 s17, s3, s17
	s_and_not1_b32 s3, s24, exec_lo
	s_and_b32 s24, s23, exec_lo
	s_and_not1_b32 s20, s20, exec_lo
	s_and_b32 s25, s22, exec_lo
	s_or_b32 s24, s3, s24
	s_or_b32 s20, s20, s25
	s_and_not1_b32 exec_lo, exec_lo, s17
	s_cbranch_execz .LBB512_604
.LBB512_602:                            ; =>This Inner Loop Header: Depth=1
	global_load_b64 v[10:11], v[4:5], off
	global_load_b64 v[24:25], v[6:7], off
	s_and_not1_b32 s22, s22, exec_lo
	s_and_not1_b32 s23, s23, exec_lo
	s_or_b32 s21, s21, exec_lo
	s_waitcnt vmcnt(0)
	v_cmp_le_i64_e32 vcc_lo, v[10:11], v[24:25]
	v_cmp_lt_i64_e64 s3, v[10:11], v[24:25]
	s_and_b32 s25, vcc_lo, s24
	s_delay_alu instid0(VALU_DEP_1) | instid1(SALU_CYCLE_1)
	s_or_b32 s25, s3, s25
	s_delay_alu instid0(SALU_CYCLE_1) | instskip(NEXT) | instid1(SALU_CYCLE_1)
	s_and_b32 s3, s25, exec_lo
	s_or_b32 s22, s22, s3
	s_mov_b32 s3, exec_lo
	v_cmpx_eq_u64_e64 v[10:11], v[24:25]
	s_cbranch_execz .LBB512_601
; %bb.603:                              ;   in Loop: Header=BB512_602 Depth=1
	s_add_u32 s4, s4, -1
	s_addc_u32 s5, s5, -1
	v_add_co_u32 v4, vcc_lo, v4, 8
	s_cmp_eq_u64 s[4:5], 0
	v_add_co_ci_u32_e32 v5, vcc_lo, 0, v5, vcc_lo
	s_cselect_b32 s24, -1, 0
	s_and_not1_b32 s23, s23, exec_lo
	s_and_b32 s25, s25, exec_lo
	v_add_co_u32 v6, vcc_lo, v6, 8
	s_and_not1_b32 s21, s21, exec_lo
	s_and_b32 s24, s24, exec_lo
	v_add_co_ci_u32_e32 v7, vcc_lo, 0, v7, vcc_lo
	s_or_b32 s23, s23, s25
	s_and_not1_b32 s22, s22, exec_lo
	s_or_b32 s21, s21, s24
                                        ; implicit-def: $sgpr24
	s_branch .LBB512_601
.LBB512_604:
	s_set_inst_prefetch_distance 0x2
	s_or_b32 exec_lo, exec_lo, s17
	s_xor_b32 s3, s20, -1
	s_branch .LBB512_606
.LBB512_605:
	s_mov_b32 s3, -1
.LBB512_606:
	s_and_not1_b32 s4, s7, exec_lo
	s_and_b32 s3, s3, exec_lo
	s_delay_alu instid0(SALU_CYCLE_1)
	s_or_b32 s7, s4, s3
.LBB512_607:
	s_or_b32 exec_lo, exec_lo, s13
	v_cndmask_b32_e64 v4, v9, v8, s7
	v_cndmask_b32_e64 v5, v23, v22, s7
	s_mov_b32 s13, exec_lo
	s_delay_alu instid0(VALU_DEP_2) | instskip(NEXT) | instid1(VALU_DEP_2)
	v_add_nc_u32_e32 v6, 1, v4
	v_add_nc_u32_e32 v4, -1, v5
	s_delay_alu instid0(VALU_DEP_2) | instskip(NEXT) | instid1(VALU_DEP_2)
	v_cndmask_b32_e64 v9, v6, v9, s7
	v_min_u32_e32 v4, v6, v4
	v_cndmask_b32_e64 v8, v8, v6, s7
	s_delay_alu instid0(VALU_DEP_2)
	v_lshl_add_u32 v4, v4, 3, v18
	ds_load_b64 v[4:5], v4
	s_waitcnt lgkmcnt(0)
	v_cndmask_b32_e64 v24, v5, v3, s7
	v_cndmask_b32_e64 v25, v4, v2, s7
	;; [unrolled: 1-line block ×4, first 2 shown]
	v_cmpx_lt_u32_e64 v9, v23
	s_cbranch_execz .LBB512_618
; %bb.608:
	s_mov_b32 s3, 0
	s_mov_b32 s12, exec_lo
	v_cmpx_lt_u32_e64 v8, v22
	s_cbranch_execz .LBB512_617
; %bb.609:
	s_and_not1_b32 vcc_lo, exec_lo, s16
	s_cbranch_vccnz .LBB512_615
; %bb.610:
	v_mul_lo_u32 v10, v24, s8
	v_mul_lo_u32 v11, v25, s9
	v_mad_u64_u32 v[4:5], null, v25, s8, 0
	v_mul_lo_u32 v30, v28, s8
	v_mul_lo_u32 v31, v29, s9
	v_mad_u64_u32 v[6:7], null, v29, s8, 0
	s_mov_b32 s17, 0
	s_mov_b64 s[4:5], s[8:9]
	s_delay_alu instid0(VALU_DEP_4) | instskip(NEXT) | instid1(VALU_DEP_2)
	v_add3_u32 v5, v5, v11, v10
                                        ; implicit-def: $sgpr20
                                        ; implicit-def: $sgpr21
                                        ; implicit-def: $sgpr22
                                        ; implicit-def: $sgpr23
                                        ; implicit-def: $sgpr24
	v_add3_u32 v7, v7, v31, v30
	s_delay_alu instid0(VALU_DEP_2) | instskip(NEXT) | instid1(VALU_DEP_2)
	v_lshlrev_b64 v[4:5], 3, v[4:5]
	v_lshlrev_b64 v[6:7], 3, v[6:7]
	s_delay_alu instid0(VALU_DEP_2) | instskip(NEXT) | instid1(VALU_DEP_3)
	v_add_co_u32 v4, vcc_lo, s10, v4
	v_add_co_ci_u32_e32 v5, vcc_lo, s11, v5, vcc_lo
	s_delay_alu instid0(VALU_DEP_3) | instskip(NEXT) | instid1(VALU_DEP_4)
	v_add_co_u32 v6, vcc_lo, s10, v6
	v_add_co_ci_u32_e32 v7, vcc_lo, s11, v7, vcc_lo
	s_set_inst_prefetch_distance 0x1
	s_branch .LBB512_612
	.p2align	6
.LBB512_611:                            ;   in Loop: Header=BB512_612 Depth=1
	s_or_b32 exec_lo, exec_lo, s3
	s_delay_alu instid0(SALU_CYCLE_1) | instskip(NEXT) | instid1(SALU_CYCLE_1)
	s_and_b32 s3, exec_lo, s21
	s_or_b32 s17, s3, s17
	s_and_not1_b32 s3, s24, exec_lo
	s_and_b32 s24, s23, exec_lo
	s_and_not1_b32 s20, s20, exec_lo
	s_and_b32 s25, s22, exec_lo
	s_or_b32 s24, s3, s24
	s_or_b32 s20, s20, s25
	s_and_not1_b32 exec_lo, exec_lo, s17
	s_cbranch_execz .LBB512_614
.LBB512_612:                            ; =>This Inner Loop Header: Depth=1
	global_load_b64 v[10:11], v[4:5], off
	global_load_b64 v[30:31], v[6:7], off
	s_and_not1_b32 s22, s22, exec_lo
	s_and_not1_b32 s23, s23, exec_lo
	s_or_b32 s21, s21, exec_lo
	s_waitcnt vmcnt(0)
	v_cmp_le_i64_e32 vcc_lo, v[10:11], v[30:31]
	v_cmp_lt_i64_e64 s3, v[10:11], v[30:31]
	s_and_b32 s25, vcc_lo, s24
	s_delay_alu instid0(VALU_DEP_1) | instid1(SALU_CYCLE_1)
	s_or_b32 s25, s3, s25
	s_delay_alu instid0(SALU_CYCLE_1) | instskip(NEXT) | instid1(SALU_CYCLE_1)
	s_and_b32 s3, s25, exec_lo
	s_or_b32 s22, s22, s3
	s_mov_b32 s3, exec_lo
	v_cmpx_eq_u64_e64 v[10:11], v[30:31]
	s_cbranch_execz .LBB512_611
; %bb.613:                              ;   in Loop: Header=BB512_612 Depth=1
	s_add_u32 s4, s4, -1
	s_addc_u32 s5, s5, -1
	v_add_co_u32 v4, vcc_lo, v4, 8
	s_cmp_eq_u64 s[4:5], 0
	v_add_co_ci_u32_e32 v5, vcc_lo, 0, v5, vcc_lo
	v_add_co_u32 v6, vcc_lo, v6, 8
	s_cselect_b32 s24, -1, 0
	v_add_co_ci_u32_e32 v7, vcc_lo, 0, v7, vcc_lo
	s_and_not1_b32 s23, s23, exec_lo
	s_and_b32 s25, s25, exec_lo
	s_and_not1_b32 s21, s21, exec_lo
	s_and_b32 s24, s24, exec_lo
	s_or_b32 s23, s23, s25
	s_and_not1_b32 s22, s22, exec_lo
	s_or_b32 s21, s21, s24
                                        ; implicit-def: $sgpr24
	s_branch .LBB512_611
.LBB512_614:
	s_set_inst_prefetch_distance 0x2
	s_or_b32 exec_lo, exec_lo, s17
	s_xor_b32 s3, s20, -1
	s_branch .LBB512_616
.LBB512_615:
	s_mov_b32 s3, -1
.LBB512_616:
	s_delay_alu instid0(SALU_CYCLE_1)
	s_and_b32 s3, s3, exec_lo
.LBB512_617:
	s_or_b32 exec_lo, exec_lo, s12
	s_delay_alu instid0(SALU_CYCLE_1)
	s_or_not1_b32 s12, s3, exec_lo
.LBB512_618:
	s_or_b32 exec_lo, exec_lo, s13
	v_cndmask_b32_e64 v4, v9, v8, s12
	v_cndmask_b32_e64 v5, v23, v22, s12
	s_mov_b32 s13, -1
	s_mov_b32 s17, exec_lo
	s_delay_alu instid0(VALU_DEP_2) | instskip(NEXT) | instid1(VALU_DEP_2)
	v_add_nc_u32_e32 v6, 1, v4
	v_add_nc_u32_e32 v4, -1, v5
	s_delay_alu instid0(VALU_DEP_2) | instskip(NEXT) | instid1(VALU_DEP_2)
	v_cndmask_b32_e64 v9, v6, v9, s12
	v_min_u32_e32 v4, v6, v4
	v_cndmask_b32_e64 v8, v8, v6, s12
	s_delay_alu instid0(VALU_DEP_2)
	v_lshl_add_u32 v4, v4, 3, v18
	ds_load_b64 v[4:5], v4
	s_waitcnt lgkmcnt(0)
	v_cndmask_b32_e64 v30, v5, v24, s12
	v_cndmask_b32_e64 v31, v4, v25, s12
	;; [unrolled: 1-line block ×4, first 2 shown]
	v_cmpx_lt_u32_e64 v9, v23
	s_cbranch_execz .LBB512_629
; %bb.619:
	s_mov_b32 s3, 0
	s_mov_b32 s13, exec_lo
	v_cmpx_lt_u32_e64 v8, v22
	s_cbranch_execz .LBB512_628
; %bb.620:
	s_and_not1_b32 vcc_lo, exec_lo, s16
	s_cbranch_vccnz .LBB512_626
; %bb.621:
	v_mul_lo_u32 v10, v30, s8
	v_mul_lo_u32 v11, v31, s9
	v_mad_u64_u32 v[4:5], null, v31, s8, 0
	v_mul_lo_u32 v34, v32, s8
	v_mul_lo_u32 v35, v33, s9
	v_mad_u64_u32 v[6:7], null, v33, s8, 0
	s_mov_b32 s20, 0
	s_mov_b64 s[4:5], s[8:9]
	s_delay_alu instid0(VALU_DEP_4) | instskip(NEXT) | instid1(VALU_DEP_2)
	v_add3_u32 v5, v5, v11, v10
                                        ; implicit-def: $sgpr21
                                        ; implicit-def: $sgpr22
                                        ; implicit-def: $sgpr23
                                        ; implicit-def: $sgpr24
                                        ; implicit-def: $sgpr25
	v_add3_u32 v7, v7, v35, v34
	s_delay_alu instid0(VALU_DEP_2) | instskip(NEXT) | instid1(VALU_DEP_2)
	v_lshlrev_b64 v[4:5], 3, v[4:5]
	v_lshlrev_b64 v[6:7], 3, v[6:7]
	s_delay_alu instid0(VALU_DEP_2) | instskip(NEXT) | instid1(VALU_DEP_3)
	v_add_co_u32 v4, vcc_lo, s10, v4
	v_add_co_ci_u32_e32 v5, vcc_lo, s11, v5, vcc_lo
	s_delay_alu instid0(VALU_DEP_3) | instskip(NEXT) | instid1(VALU_DEP_4)
	v_add_co_u32 v6, vcc_lo, s10, v6
	v_add_co_ci_u32_e32 v7, vcc_lo, s11, v7, vcc_lo
	s_set_inst_prefetch_distance 0x1
	s_branch .LBB512_623
	.p2align	6
.LBB512_622:                            ;   in Loop: Header=BB512_623 Depth=1
	s_or_b32 exec_lo, exec_lo, s3
	s_delay_alu instid0(SALU_CYCLE_1) | instskip(NEXT) | instid1(SALU_CYCLE_1)
	s_and_b32 s3, exec_lo, s22
	s_or_b32 s20, s3, s20
	s_and_not1_b32 s3, s25, exec_lo
	s_and_b32 s25, s24, exec_lo
	s_and_not1_b32 s21, s21, exec_lo
	s_and_b32 s26, s23, exec_lo
	s_or_b32 s25, s3, s25
	s_or_b32 s21, s21, s26
	s_and_not1_b32 exec_lo, exec_lo, s20
	s_cbranch_execz .LBB512_625
.LBB512_623:                            ; =>This Inner Loop Header: Depth=1
	global_load_b64 v[10:11], v[4:5], off
	global_load_b64 v[34:35], v[6:7], off
	s_and_not1_b32 s23, s23, exec_lo
	s_and_not1_b32 s24, s24, exec_lo
	s_or_b32 s22, s22, exec_lo
	s_waitcnt vmcnt(0)
	v_cmp_le_i64_e32 vcc_lo, v[10:11], v[34:35]
	v_cmp_lt_i64_e64 s3, v[10:11], v[34:35]
	s_and_b32 s26, vcc_lo, s25
	s_delay_alu instid0(VALU_DEP_1) | instid1(SALU_CYCLE_1)
	s_or_b32 s26, s3, s26
	s_delay_alu instid0(SALU_CYCLE_1) | instskip(NEXT) | instid1(SALU_CYCLE_1)
	s_and_b32 s3, s26, exec_lo
	s_or_b32 s23, s23, s3
	s_mov_b32 s3, exec_lo
	v_cmpx_eq_u64_e64 v[10:11], v[34:35]
	s_cbranch_execz .LBB512_622
; %bb.624:                              ;   in Loop: Header=BB512_623 Depth=1
	s_add_u32 s4, s4, -1
	s_addc_u32 s5, s5, -1
	v_add_co_u32 v4, vcc_lo, v4, 8
	s_cmp_eq_u64 s[4:5], 0
	v_add_co_ci_u32_e32 v5, vcc_lo, 0, v5, vcc_lo
	v_add_co_u32 v6, vcc_lo, v6, 8
	s_cselect_b32 s25, -1, 0
	v_add_co_ci_u32_e32 v7, vcc_lo, 0, v7, vcc_lo
	s_and_not1_b32 s24, s24, exec_lo
	s_and_b32 s26, s26, exec_lo
	s_and_not1_b32 s22, s22, exec_lo
	s_and_b32 s25, s25, exec_lo
	s_or_b32 s24, s24, s26
	s_and_not1_b32 s23, s23, exec_lo
	s_or_b32 s22, s22, s25
                                        ; implicit-def: $sgpr25
	s_branch .LBB512_622
.LBB512_625:
	s_set_inst_prefetch_distance 0x2
	s_or_b32 exec_lo, exec_lo, s20
	s_xor_b32 s3, s21, -1
	s_branch .LBB512_627
.LBB512_626:
	s_mov_b32 s3, -1
.LBB512_627:
	s_delay_alu instid0(SALU_CYCLE_1)
	s_and_b32 s3, s3, exec_lo
.LBB512_628:
	s_or_b32 exec_lo, exec_lo, s13
	s_delay_alu instid0(SALU_CYCLE_1)
	s_or_not1_b32 s13, s3, exec_lo
.LBB512_629:
	s_or_b32 exec_lo, exec_lo, s17
	v_cndmask_b32_e64 v4, v9, v8, s13
	v_cndmask_b32_e64 v5, v23, v22, s13
	s_mov_b32 s17, exec_lo
	s_delay_alu instid0(VALU_DEP_2) | instskip(NEXT) | instid1(VALU_DEP_2)
	v_add_nc_u32_e32 v10, 1, v4
	v_add_nc_u32_e32 v4, -1, v5
	s_delay_alu instid0(VALU_DEP_2) | instskip(NEXT) | instid1(VALU_DEP_2)
	v_cndmask_b32_e64 v9, v10, v9, s13
	v_min_u32_e32 v4, v10, v4
	s_delay_alu instid0(VALU_DEP_1)
	v_lshl_add_u32 v4, v4, 3, v18
	ds_load_b64 v[4:5], v4
	s_waitcnt lgkmcnt(0)
	v_cndmask_b32_e64 v7, v32, v5, s13
	v_cndmask_b32_e64 v6, v33, v4, s13
	v_cmpx_lt_u32_e64 v9, v23
	s_cbranch_execz .LBB512_639
; %bb.630:
	v_cndmask_b32_e64 v8, v8, v10, s13
	v_cndmask_b32_e64 v5, v5, v30, s13
	;; [unrolled: 1-line block ×3, first 2 shown]
	s_mov_b32 s20, exec_lo
	s_delay_alu instid0(VALU_DEP_3)
	v_cmpx_lt_u32_e64 v8, v22
	s_cbranch_execz .LBB512_638
; %bb.631:
	s_and_not1_b32 vcc_lo, exec_lo, s16
	s_cbranch_vccnz .LBB512_637
; %bb.632:
	v_mul_lo_u32 v22, v5, s8
	v_mul_lo_u32 v23, v4, s9
	v_mad_u64_u32 v[8:9], null, v4, s8, 0
	v_mul_lo_u32 v34, v7, s8
	v_mul_lo_u32 v35, v6, s9
	v_mad_u64_u32 v[10:11], null, v6, s8, 0
	s_mov_b32 s21, 0
	s_mov_b64 s[4:5], s[8:9]
	s_delay_alu instid0(VALU_DEP_4) | instskip(NEXT) | instid1(VALU_DEP_2)
	v_add3_u32 v9, v9, v23, v22
                                        ; implicit-def: $sgpr22
                                        ; implicit-def: $sgpr23
                                        ; implicit-def: $sgpr24
                                        ; implicit-def: $sgpr25
                                        ; implicit-def: $sgpr26
	v_add3_u32 v11, v11, v35, v34
	s_delay_alu instid0(VALU_DEP_2) | instskip(NEXT) | instid1(VALU_DEP_2)
	v_lshlrev_b64 v[8:9], 3, v[8:9]
	v_lshlrev_b64 v[10:11], 3, v[10:11]
	s_delay_alu instid0(VALU_DEP_2) | instskip(NEXT) | instid1(VALU_DEP_3)
	v_add_co_u32 v8, vcc_lo, s10, v8
	v_add_co_ci_u32_e32 v9, vcc_lo, s11, v9, vcc_lo
	s_delay_alu instid0(VALU_DEP_3) | instskip(NEXT) | instid1(VALU_DEP_4)
	v_add_co_u32 v10, vcc_lo, s10, v10
	v_add_co_ci_u32_e32 v11, vcc_lo, s11, v11, vcc_lo
	s_set_inst_prefetch_distance 0x1
	s_branch .LBB512_634
	.p2align	6
.LBB512_633:                            ;   in Loop: Header=BB512_634 Depth=1
	s_or_b32 exec_lo, exec_lo, s3
	s_delay_alu instid0(SALU_CYCLE_1) | instskip(NEXT) | instid1(SALU_CYCLE_1)
	s_and_b32 s3, exec_lo, s23
	s_or_b32 s21, s3, s21
	s_and_not1_b32 s3, s26, exec_lo
	s_and_b32 s26, s25, exec_lo
	s_and_not1_b32 s22, s22, exec_lo
	s_and_b32 s27, s24, exec_lo
	s_or_b32 s26, s3, s26
	s_or_b32 s22, s22, s27
	s_and_not1_b32 exec_lo, exec_lo, s21
	s_cbranch_execz .LBB512_636
.LBB512_634:                            ; =>This Inner Loop Header: Depth=1
	global_load_b64 v[22:23], v[8:9], off
	global_load_b64 v[34:35], v[10:11], off
	s_and_not1_b32 s24, s24, exec_lo
	s_and_not1_b32 s25, s25, exec_lo
	s_or_b32 s23, s23, exec_lo
	s_waitcnt vmcnt(0)
	v_cmp_le_i64_e32 vcc_lo, v[22:23], v[34:35]
	v_cmp_lt_i64_e64 s3, v[22:23], v[34:35]
	s_and_b32 s27, vcc_lo, s26
	s_delay_alu instid0(VALU_DEP_1) | instid1(SALU_CYCLE_1)
	s_or_b32 s27, s3, s27
	s_delay_alu instid0(SALU_CYCLE_1) | instskip(NEXT) | instid1(SALU_CYCLE_1)
	s_and_b32 s3, s27, exec_lo
	s_or_b32 s24, s24, s3
	s_mov_b32 s3, exec_lo
	v_cmpx_eq_u64_e64 v[22:23], v[34:35]
	s_cbranch_execz .LBB512_633
; %bb.635:                              ;   in Loop: Header=BB512_634 Depth=1
	s_add_u32 s4, s4, -1
	s_addc_u32 s5, s5, -1
	v_add_co_u32 v8, vcc_lo, v8, 8
	s_cmp_eq_u64 s[4:5], 0
	v_add_co_ci_u32_e32 v9, vcc_lo, 0, v9, vcc_lo
	v_add_co_u32 v10, vcc_lo, v10, 8
	s_cselect_b32 s26, -1, 0
	v_add_co_ci_u32_e32 v11, vcc_lo, 0, v11, vcc_lo
	s_and_not1_b32 s25, s25, exec_lo
	s_and_b32 s27, s27, exec_lo
	s_and_not1_b32 s23, s23, exec_lo
	s_and_b32 s26, s26, exec_lo
	s_or_b32 s25, s25, s27
	s_and_not1_b32 s24, s24, exec_lo
	s_or_b32 s23, s23, s26
                                        ; implicit-def: $sgpr26
	s_branch .LBB512_633
.LBB512_636:
	s_set_inst_prefetch_distance 0x2
	s_or_b32 exec_lo, exec_lo, s21
	v_cndmask_b32_e64 v7, v7, v5, s22
	v_cndmask_b32_e64 v6, v6, v4, s22
.LBB512_637:
	s_delay_alu instid0(VALU_DEP_1)
	v_dual_mov_b32 v4, v6 :: v_dual_mov_b32 v5, v7
.LBB512_638:
	s_or_b32 exec_lo, exec_lo, s20
	s_delay_alu instid0(VALU_DEP_1)
	v_dual_mov_b32 v7, v5 :: v_dual_mov_b32 v6, v4
.LBB512_639:
	s_or_b32 exec_lo, exec_lo, s17
	v_cndmask_b32_e64 v1, v3, v1, s7
	v_cndmask_b32_e64 v0, v2, v0, s7
	;; [unrolled: 1-line block ×6, first 2 shown]
.LBB512_640:
	s_or_b32 exec_lo, exec_lo, s6
	v_and_b32_e32 v28, 0x70, v20
	v_and_b32_e32 v9, 12, v20
	s_mov_b32 s12, exec_lo
	; wave barrier
	s_delay_alu instid0(VALU_DEP_2) | instskip(NEXT) | instid1(VALU_DEP_2)
	v_or_b32_e32 v8, 8, v28
	v_min_u32_e32 v29, v19, v9
	v_lshl_add_u32 v25, v28, 3, v18
	ds_store_b128 v21, v[0:3]
	ds_store_b128 v21, v[4:7] offset:16
	v_min_u32_e32 v22, v19, v8
	; wave barrier
	s_delay_alu instid0(VALU_DEP_1) | instskip(SKIP_1) | instid1(VALU_DEP_2)
	v_add_nc_u32_e32 v8, 8, v22
	v_sub_nc_u32_e32 v9, v22, v28
	v_min_u32_e32 v23, v19, v8
	s_delay_alu instid0(VALU_DEP_2) | instskip(NEXT) | instid1(VALU_DEP_2)
	v_min_u32_e32 v30, v29, v9
	v_sub_nc_u32_e32 v8, v23, v22
	s_delay_alu instid0(VALU_DEP_1) | instskip(NEXT) | instid1(VALU_DEP_1)
	v_sub_nc_u32_e64 v24, v29, v8 clamp
	v_cmpx_lt_u32_e64 v24, v30
	s_cbranch_execz .LBB512_650
; %bb.641:
	v_lshlrev_b32_e32 v8, 3, v22
	v_lshlrev_b32_e32 v9, 3, v29
	s_lshl_b64 s[4:5], s[8:9], 3
	s_mov_b32 s13, 0
	s_delay_alu instid0(VALU_DEP_1)
	v_add3_u32 v31, v18, v8, v9
	s_branch .LBB512_644
.LBB512_642:                            ;   in Loop: Header=BB512_644 Depth=1
	s_set_inst_prefetch_distance 0x2
	s_or_b32 exec_lo, exec_lo, s17
.LBB512_643:                            ;   in Loop: Header=BB512_644 Depth=1
	s_delay_alu instid0(VALU_DEP_1) | instskip(SKIP_1) | instid1(VALU_DEP_2)
	v_add_nc_u32_e32 v8, 1, v32
	v_cndmask_b32_e64 v30, v30, v32, s20
	v_cndmask_b32_e64 v24, v8, v24, s20
	s_delay_alu instid0(VALU_DEP_1) | instskip(SKIP_1) | instid1(SALU_CYCLE_1)
	v_cmp_ge_u32_e32 vcc_lo, v24, v30
	s_or_b32 s13, vcc_lo, s13
	s_and_not1_b32 exec_lo, exec_lo, s13
	s_cbranch_execz .LBB512_649
.LBB512_644:                            ; =>This Loop Header: Depth=1
                                        ;     Child Loop BB512_647 Depth 2
	v_add_nc_u32_e32 v8, v30, v24
	s_and_not1_b32 vcc_lo, exec_lo, s16
	s_mov_b32 s20, 0
	s_delay_alu instid0(VALU_DEP_1)
	v_lshrrev_b32_e32 v32, 1, v8
	s_cbranch_vccnz .LBB512_643
; %bb.645:                              ;   in Loop: Header=BB512_644 Depth=1
	s_delay_alu instid0(VALU_DEP_1) | instskip(SKIP_3) | instid1(VALU_DEP_2)
	v_not_b32_e32 v8, v32
	v_lshl_add_u32 v9, v32, 3, v25
	s_mov_b32 s17, 0
	s_mov_b64 s[6:7], s[8:9]
                                        ; implicit-def: $sgpr20
                                        ; implicit-def: $sgpr21
                                        ; implicit-def: $sgpr22
                                        ; implicit-def: $sgpr23
                                        ; implicit-def: $sgpr24
	v_lshl_add_u32 v8, v8, 3, v31
	ds_load_b64 v[10:11], v8
	ds_load_b64 v[33:34], v9
	s_waitcnt lgkmcnt(1)
	v_mul_lo_u32 v35, s4, v11
	v_mul_lo_u32 v36, s5, v10
	v_mad_u64_u32 v[8:9], null, s4, v10, s[10:11]
	s_waitcnt lgkmcnt(0)
	v_mul_lo_u32 v34, s4, v34
	v_mul_lo_u32 v37, s5, v33
	v_mad_u64_u32 v[10:11], null, s4, v33, s[10:11]
	s_delay_alu instid0(VALU_DEP_4) | instskip(NEXT) | instid1(VALU_DEP_2)
	v_add3_u32 v9, v36, v9, v35
	v_add3_u32 v11, v37, v11, v34
	s_set_inst_prefetch_distance 0x1
	s_branch .LBB512_647
	.p2align	6
.LBB512_646:                            ;   in Loop: Header=BB512_647 Depth=2
	s_or_b32 exec_lo, exec_lo, s25
	s_delay_alu instid0(SALU_CYCLE_1) | instskip(NEXT) | instid1(SALU_CYCLE_1)
	s_and_b32 s3, exec_lo, s21
	s_or_b32 s17, s3, s17
	s_and_not1_b32 s3, s24, exec_lo
	s_and_b32 s24, s22, exec_lo
	s_and_not1_b32 s20, s20, exec_lo
	s_and_b32 s25, s23, exec_lo
	s_or_b32 s24, s3, s24
	s_or_b32 s20, s20, s25
	s_and_not1_b32 exec_lo, exec_lo, s17
	s_cbranch_execz .LBB512_642
.LBB512_647:                            ;   Parent Loop BB512_644 Depth=1
                                        ; =>  This Inner Loop Header: Depth=2
	global_load_b64 v[33:34], v[8:9], off
	global_load_b64 v[35:36], v[10:11], off
	s_and_not1_b32 s23, s23, exec_lo
	s_and_not1_b32 s22, s22, exec_lo
	s_or_b32 s21, s21, exec_lo
	s_waitcnt vmcnt(0)
	v_cmp_le_i64_e32 vcc_lo, v[33:34], v[35:36]
	v_cmp_lt_i64_e64 s3, v[33:34], v[35:36]
	s_and_b32 s25, vcc_lo, s24
	s_delay_alu instid0(VALU_DEP_1) | instid1(SALU_CYCLE_1)
	s_or_b32 s3, s3, s25
	s_delay_alu instid0(SALU_CYCLE_1) | instskip(NEXT) | instid1(SALU_CYCLE_1)
	s_and_b32 s25, s3, exec_lo
	s_or_b32 s23, s23, s25
	s_mov_b32 s25, exec_lo
	v_cmpx_eq_u64_e64 v[33:34], v[35:36]
	s_cbranch_execz .LBB512_646
; %bb.648:                              ;   in Loop: Header=BB512_647 Depth=2
	s_add_u32 s6, s6, -1
	s_addc_u32 s7, s7, -1
	v_add_co_u32 v8, vcc_lo, v8, 8
	v_add_co_ci_u32_e32 v9, vcc_lo, 0, v9, vcc_lo
	s_cmp_eq_u64 s[6:7], 0
	v_add_co_u32 v10, vcc_lo, v10, 8
	s_cselect_b32 s24, -1, 0
	v_add_co_ci_u32_e32 v11, vcc_lo, 0, v11, vcc_lo
	s_and_not1_b32 s22, s22, exec_lo
	s_and_b32 s3, s3, exec_lo
	s_and_not1_b32 s21, s21, exec_lo
	s_and_b32 s24, s24, exec_lo
	s_and_not1_b32 s23, s23, exec_lo
	s_or_b32 s22, s22, s3
	s_or_b32 s21, s21, s24
                                        ; implicit-def: $sgpr24
	s_branch .LBB512_646
.LBB512_649:
	s_or_b32 exec_lo, exec_lo, s13
.LBB512_650:
	s_delay_alu instid0(SALU_CYCLE_1) | instskip(SKIP_2) | instid1(VALU_DEP_2)
	s_or_b32 exec_lo, exec_lo, s12
	v_add_nc_u32_e32 v9, v22, v29
	v_add_nc_u32_e32 v8, v24, v28
	v_sub_nc_u32_e32 v9, v9, v24
	s_delay_alu instid0(VALU_DEP_2) | instskip(NEXT) | instid1(VALU_DEP_2)
	v_cmp_le_u32_e32 vcc_lo, v8, v22
	v_cmp_le_u32_e64 s3, v9, v23
	s_delay_alu instid0(VALU_DEP_1) | instskip(NEXT) | instid1(SALU_CYCLE_1)
	s_or_b32 s3, vcc_lo, s3
	s_and_saveexec_b32 s6, s3
	s_cbranch_execz .LBB512_697
; %bb.651:
	v_cmp_ge_u32_e32 vcc_lo, v8, v22
	s_mov_b32 s4, exec_lo
                                        ; implicit-def: $vgpr0_vgpr1
	v_cmpx_lt_u32_e64 v8, v22
	s_cbranch_execz .LBB512_653
; %bb.652:
	v_lshl_add_u32 v0, v24, 3, v25
	ds_load_b64 v[0:1], v0
.LBB512_653:
	s_or_b32 exec_lo, exec_lo, s4
	v_cmp_ge_u32_e64 s7, v9, v23
	s_mov_b32 s4, exec_lo
                                        ; implicit-def: $vgpr2_vgpr3
	v_cmpx_lt_u32_e64 v9, v23
	s_cbranch_execz .LBB512_655
; %bb.654:
	v_lshl_add_u32 v2, v9, 3, v18
	ds_load_b64 v[2:3], v2
.LBB512_655:
	s_or_b32 exec_lo, exec_lo, s4
	s_or_b32 s3, vcc_lo, s7
	s_mov_b32 s12, -1
	s_xor_b32 s3, s3, -1
	s_delay_alu instid0(SALU_CYCLE_1)
	s_and_saveexec_b32 s13, s3
	s_cbranch_execz .LBB512_664
; %bb.656:
	s_and_not1_b32 vcc_lo, exec_lo, s16
	s_cbranch_vccnz .LBB512_662
; %bb.657:
	s_waitcnt lgkmcnt(0)
	v_mul_lo_u32 v10, v3, s8
	v_mul_lo_u32 v11, v2, s9
	v_mad_u64_u32 v[4:5], null, v2, s8, 0
	v_mul_lo_u32 v24, v1, s8
	v_mul_lo_u32 v25, v0, s9
	v_mad_u64_u32 v[6:7], null, v0, s8, 0
	s_mov_b32 s17, 0
	s_mov_b64 s[4:5], s[8:9]
	s_delay_alu instid0(VALU_DEP_4) | instskip(NEXT) | instid1(VALU_DEP_2)
	v_add3_u32 v5, v5, v11, v10
                                        ; implicit-def: $sgpr20
                                        ; implicit-def: $sgpr21
                                        ; implicit-def: $sgpr22
                                        ; implicit-def: $sgpr23
                                        ; implicit-def: $sgpr24
	v_add3_u32 v7, v7, v25, v24
	s_delay_alu instid0(VALU_DEP_2) | instskip(NEXT) | instid1(VALU_DEP_2)
	v_lshlrev_b64 v[4:5], 3, v[4:5]
	v_lshlrev_b64 v[6:7], 3, v[6:7]
	s_delay_alu instid0(VALU_DEP_2) | instskip(NEXT) | instid1(VALU_DEP_3)
	v_add_co_u32 v4, vcc_lo, s10, v4
	v_add_co_ci_u32_e32 v5, vcc_lo, s11, v5, vcc_lo
	s_delay_alu instid0(VALU_DEP_3) | instskip(NEXT) | instid1(VALU_DEP_4)
	v_add_co_u32 v6, vcc_lo, s10, v6
	v_add_co_ci_u32_e32 v7, vcc_lo, s11, v7, vcc_lo
	s_set_inst_prefetch_distance 0x1
	s_branch .LBB512_659
	.p2align	6
.LBB512_658:                            ;   in Loop: Header=BB512_659 Depth=1
	s_or_b32 exec_lo, exec_lo, s3
	s_delay_alu instid0(SALU_CYCLE_1) | instskip(NEXT) | instid1(SALU_CYCLE_1)
	s_and_b32 s3, exec_lo, s21
	s_or_b32 s17, s3, s17
	s_and_not1_b32 s3, s24, exec_lo
	s_and_b32 s24, s23, exec_lo
	s_and_not1_b32 s20, s20, exec_lo
	s_and_b32 s25, s22, exec_lo
	s_or_b32 s24, s3, s24
	s_or_b32 s20, s20, s25
	s_and_not1_b32 exec_lo, exec_lo, s17
	s_cbranch_execz .LBB512_661
.LBB512_659:                            ; =>This Inner Loop Header: Depth=1
	global_load_b64 v[10:11], v[4:5], off
	global_load_b64 v[24:25], v[6:7], off
	s_and_not1_b32 s22, s22, exec_lo
	s_and_not1_b32 s23, s23, exec_lo
	s_or_b32 s21, s21, exec_lo
	s_waitcnt vmcnt(0)
	v_cmp_le_i64_e32 vcc_lo, v[10:11], v[24:25]
	v_cmp_lt_i64_e64 s3, v[10:11], v[24:25]
	s_and_b32 s25, vcc_lo, s24
	s_delay_alu instid0(VALU_DEP_1) | instid1(SALU_CYCLE_1)
	s_or_b32 s25, s3, s25
	s_delay_alu instid0(SALU_CYCLE_1) | instskip(NEXT) | instid1(SALU_CYCLE_1)
	s_and_b32 s3, s25, exec_lo
	s_or_b32 s22, s22, s3
	s_mov_b32 s3, exec_lo
	v_cmpx_eq_u64_e64 v[10:11], v[24:25]
	s_cbranch_execz .LBB512_658
; %bb.660:                              ;   in Loop: Header=BB512_659 Depth=1
	s_add_u32 s4, s4, -1
	s_addc_u32 s5, s5, -1
	v_add_co_u32 v4, vcc_lo, v4, 8
	s_cmp_eq_u64 s[4:5], 0
	v_add_co_ci_u32_e32 v5, vcc_lo, 0, v5, vcc_lo
	v_add_co_u32 v6, vcc_lo, v6, 8
	s_cselect_b32 s24, -1, 0
	v_add_co_ci_u32_e32 v7, vcc_lo, 0, v7, vcc_lo
	s_and_not1_b32 s23, s23, exec_lo
	s_and_b32 s25, s25, exec_lo
	s_and_not1_b32 s21, s21, exec_lo
	s_and_b32 s24, s24, exec_lo
	s_or_b32 s23, s23, s25
	s_and_not1_b32 s22, s22, exec_lo
	s_or_b32 s21, s21, s24
                                        ; implicit-def: $sgpr24
	s_branch .LBB512_658
.LBB512_661:
	s_set_inst_prefetch_distance 0x2
	s_or_b32 exec_lo, exec_lo, s17
	s_xor_b32 s3, s20, -1
	s_branch .LBB512_663
.LBB512_662:
	s_mov_b32 s3, -1
.LBB512_663:
	s_and_not1_b32 s4, s7, exec_lo
	s_and_b32 s3, s3, exec_lo
	s_delay_alu instid0(SALU_CYCLE_1)
	s_or_b32 s7, s4, s3
.LBB512_664:
	s_or_b32 exec_lo, exec_lo, s13
	v_cndmask_b32_e64 v4, v9, v8, s7
	v_cndmask_b32_e64 v5, v23, v22, s7
	s_mov_b32 s13, exec_lo
	s_delay_alu instid0(VALU_DEP_2) | instskip(NEXT) | instid1(VALU_DEP_2)
	v_add_nc_u32_e32 v6, 1, v4
	v_add_nc_u32_e32 v4, -1, v5
	s_delay_alu instid0(VALU_DEP_2) | instskip(NEXT) | instid1(VALU_DEP_2)
	v_cndmask_b32_e64 v9, v6, v9, s7
	v_min_u32_e32 v4, v6, v4
	v_cndmask_b32_e64 v8, v8, v6, s7
	s_delay_alu instid0(VALU_DEP_2)
	v_lshl_add_u32 v4, v4, 3, v18
	ds_load_b64 v[4:5], v4
	s_waitcnt lgkmcnt(0)
	v_cndmask_b32_e64 v24, v5, v3, s7
	v_cndmask_b32_e64 v25, v4, v2, s7
	;; [unrolled: 1-line block ×4, first 2 shown]
	v_cmpx_lt_u32_e64 v9, v23
	s_cbranch_execz .LBB512_675
; %bb.665:
	s_mov_b32 s3, 0
	s_mov_b32 s12, exec_lo
	v_cmpx_lt_u32_e64 v8, v22
	s_cbranch_execz .LBB512_674
; %bb.666:
	s_and_not1_b32 vcc_lo, exec_lo, s16
	s_cbranch_vccnz .LBB512_672
; %bb.667:
	v_mul_lo_u32 v10, v24, s8
	v_mul_lo_u32 v11, v25, s9
	v_mad_u64_u32 v[4:5], null, v25, s8, 0
	v_mul_lo_u32 v30, v28, s8
	v_mul_lo_u32 v31, v29, s9
	v_mad_u64_u32 v[6:7], null, v29, s8, 0
	s_mov_b32 s17, 0
	s_mov_b64 s[4:5], s[8:9]
	s_delay_alu instid0(VALU_DEP_4) | instskip(NEXT) | instid1(VALU_DEP_2)
	v_add3_u32 v5, v5, v11, v10
                                        ; implicit-def: $sgpr20
                                        ; implicit-def: $sgpr21
                                        ; implicit-def: $sgpr22
                                        ; implicit-def: $sgpr23
                                        ; implicit-def: $sgpr24
	v_add3_u32 v7, v7, v31, v30
	s_delay_alu instid0(VALU_DEP_2) | instskip(NEXT) | instid1(VALU_DEP_2)
	v_lshlrev_b64 v[4:5], 3, v[4:5]
	v_lshlrev_b64 v[6:7], 3, v[6:7]
	s_delay_alu instid0(VALU_DEP_2) | instskip(NEXT) | instid1(VALU_DEP_3)
	v_add_co_u32 v4, vcc_lo, s10, v4
	v_add_co_ci_u32_e32 v5, vcc_lo, s11, v5, vcc_lo
	s_delay_alu instid0(VALU_DEP_3) | instskip(NEXT) | instid1(VALU_DEP_4)
	v_add_co_u32 v6, vcc_lo, s10, v6
	v_add_co_ci_u32_e32 v7, vcc_lo, s11, v7, vcc_lo
	s_set_inst_prefetch_distance 0x1
	s_branch .LBB512_669
	.p2align	6
.LBB512_668:                            ;   in Loop: Header=BB512_669 Depth=1
	s_or_b32 exec_lo, exec_lo, s3
	s_delay_alu instid0(SALU_CYCLE_1) | instskip(NEXT) | instid1(SALU_CYCLE_1)
	s_and_b32 s3, exec_lo, s21
	s_or_b32 s17, s3, s17
	s_and_not1_b32 s3, s24, exec_lo
	s_and_b32 s24, s23, exec_lo
	s_and_not1_b32 s20, s20, exec_lo
	s_and_b32 s25, s22, exec_lo
	s_or_b32 s24, s3, s24
	s_or_b32 s20, s20, s25
	s_and_not1_b32 exec_lo, exec_lo, s17
	s_cbranch_execz .LBB512_671
.LBB512_669:                            ; =>This Inner Loop Header: Depth=1
	global_load_b64 v[10:11], v[4:5], off
	global_load_b64 v[30:31], v[6:7], off
	s_and_not1_b32 s22, s22, exec_lo
	s_and_not1_b32 s23, s23, exec_lo
	s_or_b32 s21, s21, exec_lo
	s_waitcnt vmcnt(0)
	v_cmp_le_i64_e32 vcc_lo, v[10:11], v[30:31]
	v_cmp_lt_i64_e64 s3, v[10:11], v[30:31]
	s_and_b32 s25, vcc_lo, s24
	s_delay_alu instid0(VALU_DEP_1) | instid1(SALU_CYCLE_1)
	s_or_b32 s25, s3, s25
	s_delay_alu instid0(SALU_CYCLE_1) | instskip(NEXT) | instid1(SALU_CYCLE_1)
	s_and_b32 s3, s25, exec_lo
	s_or_b32 s22, s22, s3
	s_mov_b32 s3, exec_lo
	v_cmpx_eq_u64_e64 v[10:11], v[30:31]
	s_cbranch_execz .LBB512_668
; %bb.670:                              ;   in Loop: Header=BB512_669 Depth=1
	s_add_u32 s4, s4, -1
	s_addc_u32 s5, s5, -1
	v_add_co_u32 v4, vcc_lo, v4, 8
	s_cmp_eq_u64 s[4:5], 0
	v_add_co_ci_u32_e32 v5, vcc_lo, 0, v5, vcc_lo
	v_add_co_u32 v6, vcc_lo, v6, 8
	s_cselect_b32 s24, -1, 0
	v_add_co_ci_u32_e32 v7, vcc_lo, 0, v7, vcc_lo
	s_and_not1_b32 s23, s23, exec_lo
	s_and_b32 s25, s25, exec_lo
	s_and_not1_b32 s21, s21, exec_lo
	s_and_b32 s24, s24, exec_lo
	s_or_b32 s23, s23, s25
	s_and_not1_b32 s22, s22, exec_lo
	s_or_b32 s21, s21, s24
                                        ; implicit-def: $sgpr24
	s_branch .LBB512_668
.LBB512_671:
	s_set_inst_prefetch_distance 0x2
	s_or_b32 exec_lo, exec_lo, s17
	s_xor_b32 s3, s20, -1
	s_branch .LBB512_673
.LBB512_672:
	s_mov_b32 s3, -1
.LBB512_673:
	s_delay_alu instid0(SALU_CYCLE_1)
	s_and_b32 s3, s3, exec_lo
.LBB512_674:
	s_or_b32 exec_lo, exec_lo, s12
	s_delay_alu instid0(SALU_CYCLE_1)
	s_or_not1_b32 s12, s3, exec_lo
.LBB512_675:
	s_or_b32 exec_lo, exec_lo, s13
	v_cndmask_b32_e64 v4, v9, v8, s12
	v_cndmask_b32_e64 v5, v23, v22, s12
	s_mov_b32 s13, -1
	s_mov_b32 s17, exec_lo
	s_delay_alu instid0(VALU_DEP_2) | instskip(NEXT) | instid1(VALU_DEP_2)
	v_add_nc_u32_e32 v6, 1, v4
	v_add_nc_u32_e32 v4, -1, v5
	s_delay_alu instid0(VALU_DEP_2) | instskip(NEXT) | instid1(VALU_DEP_2)
	v_cndmask_b32_e64 v9, v6, v9, s12
	v_min_u32_e32 v4, v6, v4
	v_cndmask_b32_e64 v8, v8, v6, s12
	s_delay_alu instid0(VALU_DEP_2)
	v_lshl_add_u32 v4, v4, 3, v18
	ds_load_b64 v[4:5], v4
	s_waitcnt lgkmcnt(0)
	v_cndmask_b32_e64 v30, v5, v24, s12
	v_cndmask_b32_e64 v31, v4, v25, s12
	;; [unrolled: 1-line block ×4, first 2 shown]
	v_cmpx_lt_u32_e64 v9, v23
	s_cbranch_execz .LBB512_686
; %bb.676:
	s_mov_b32 s3, 0
	s_mov_b32 s13, exec_lo
	v_cmpx_lt_u32_e64 v8, v22
	s_cbranch_execz .LBB512_685
; %bb.677:
	s_and_not1_b32 vcc_lo, exec_lo, s16
	s_cbranch_vccnz .LBB512_683
; %bb.678:
	v_mul_lo_u32 v10, v30, s8
	v_mul_lo_u32 v11, v31, s9
	v_mad_u64_u32 v[4:5], null, v31, s8, 0
	v_mul_lo_u32 v34, v32, s8
	v_mul_lo_u32 v35, v33, s9
	v_mad_u64_u32 v[6:7], null, v33, s8, 0
	s_mov_b32 s20, 0
	s_mov_b64 s[4:5], s[8:9]
	s_delay_alu instid0(VALU_DEP_4) | instskip(NEXT) | instid1(VALU_DEP_2)
	v_add3_u32 v5, v5, v11, v10
                                        ; implicit-def: $sgpr21
                                        ; implicit-def: $sgpr22
                                        ; implicit-def: $sgpr23
                                        ; implicit-def: $sgpr24
                                        ; implicit-def: $sgpr25
	v_add3_u32 v7, v7, v35, v34
	s_delay_alu instid0(VALU_DEP_2) | instskip(NEXT) | instid1(VALU_DEP_2)
	v_lshlrev_b64 v[4:5], 3, v[4:5]
	v_lshlrev_b64 v[6:7], 3, v[6:7]
	s_delay_alu instid0(VALU_DEP_2) | instskip(NEXT) | instid1(VALU_DEP_3)
	v_add_co_u32 v4, vcc_lo, s10, v4
	v_add_co_ci_u32_e32 v5, vcc_lo, s11, v5, vcc_lo
	s_delay_alu instid0(VALU_DEP_3) | instskip(NEXT) | instid1(VALU_DEP_4)
	v_add_co_u32 v6, vcc_lo, s10, v6
	v_add_co_ci_u32_e32 v7, vcc_lo, s11, v7, vcc_lo
	s_set_inst_prefetch_distance 0x1
	s_branch .LBB512_680
	.p2align	6
.LBB512_679:                            ;   in Loop: Header=BB512_680 Depth=1
	s_or_b32 exec_lo, exec_lo, s3
	s_delay_alu instid0(SALU_CYCLE_1) | instskip(NEXT) | instid1(SALU_CYCLE_1)
	s_and_b32 s3, exec_lo, s22
	s_or_b32 s20, s3, s20
	s_and_not1_b32 s3, s25, exec_lo
	s_and_b32 s25, s24, exec_lo
	s_and_not1_b32 s21, s21, exec_lo
	s_and_b32 s26, s23, exec_lo
	s_or_b32 s25, s3, s25
	s_or_b32 s21, s21, s26
	s_and_not1_b32 exec_lo, exec_lo, s20
	s_cbranch_execz .LBB512_682
.LBB512_680:                            ; =>This Inner Loop Header: Depth=1
	global_load_b64 v[10:11], v[4:5], off
	global_load_b64 v[34:35], v[6:7], off
	s_and_not1_b32 s23, s23, exec_lo
	s_and_not1_b32 s24, s24, exec_lo
	s_or_b32 s22, s22, exec_lo
	s_waitcnt vmcnt(0)
	v_cmp_le_i64_e32 vcc_lo, v[10:11], v[34:35]
	v_cmp_lt_i64_e64 s3, v[10:11], v[34:35]
	s_and_b32 s26, vcc_lo, s25
	s_delay_alu instid0(VALU_DEP_1) | instid1(SALU_CYCLE_1)
	s_or_b32 s26, s3, s26
	s_delay_alu instid0(SALU_CYCLE_1) | instskip(NEXT) | instid1(SALU_CYCLE_1)
	s_and_b32 s3, s26, exec_lo
	s_or_b32 s23, s23, s3
	s_mov_b32 s3, exec_lo
	v_cmpx_eq_u64_e64 v[10:11], v[34:35]
	s_cbranch_execz .LBB512_679
; %bb.681:                              ;   in Loop: Header=BB512_680 Depth=1
	s_add_u32 s4, s4, -1
	s_addc_u32 s5, s5, -1
	v_add_co_u32 v4, vcc_lo, v4, 8
	s_cmp_eq_u64 s[4:5], 0
	v_add_co_ci_u32_e32 v5, vcc_lo, 0, v5, vcc_lo
	v_add_co_u32 v6, vcc_lo, v6, 8
	s_cselect_b32 s25, -1, 0
	v_add_co_ci_u32_e32 v7, vcc_lo, 0, v7, vcc_lo
	s_and_not1_b32 s24, s24, exec_lo
	s_and_b32 s26, s26, exec_lo
	s_and_not1_b32 s22, s22, exec_lo
	s_and_b32 s25, s25, exec_lo
	s_or_b32 s24, s24, s26
	s_and_not1_b32 s23, s23, exec_lo
	s_or_b32 s22, s22, s25
                                        ; implicit-def: $sgpr25
	s_branch .LBB512_679
.LBB512_682:
	s_set_inst_prefetch_distance 0x2
	s_or_b32 exec_lo, exec_lo, s20
	s_xor_b32 s3, s21, -1
	s_branch .LBB512_684
.LBB512_683:
	s_mov_b32 s3, -1
.LBB512_684:
	s_delay_alu instid0(SALU_CYCLE_1)
	s_and_b32 s3, s3, exec_lo
.LBB512_685:
	s_or_b32 exec_lo, exec_lo, s13
	s_delay_alu instid0(SALU_CYCLE_1)
	s_or_not1_b32 s13, s3, exec_lo
.LBB512_686:
	s_or_b32 exec_lo, exec_lo, s17
	v_cndmask_b32_e64 v4, v9, v8, s13
	v_cndmask_b32_e64 v5, v23, v22, s13
	s_mov_b32 s17, exec_lo
	s_delay_alu instid0(VALU_DEP_2) | instskip(NEXT) | instid1(VALU_DEP_2)
	v_add_nc_u32_e32 v10, 1, v4
	v_add_nc_u32_e32 v4, -1, v5
	s_delay_alu instid0(VALU_DEP_2) | instskip(NEXT) | instid1(VALU_DEP_2)
	v_cndmask_b32_e64 v9, v10, v9, s13
	v_min_u32_e32 v4, v10, v4
	s_delay_alu instid0(VALU_DEP_1)
	v_lshl_add_u32 v4, v4, 3, v18
	ds_load_b64 v[4:5], v4
	s_waitcnt lgkmcnt(0)
	v_cndmask_b32_e64 v7, v32, v5, s13
	v_cndmask_b32_e64 v6, v33, v4, s13
	v_cmpx_lt_u32_e64 v9, v23
	s_cbranch_execz .LBB512_696
; %bb.687:
	v_cndmask_b32_e64 v8, v8, v10, s13
	v_cndmask_b32_e64 v5, v5, v30, s13
	;; [unrolled: 1-line block ×3, first 2 shown]
	s_mov_b32 s20, exec_lo
	s_delay_alu instid0(VALU_DEP_3)
	v_cmpx_lt_u32_e64 v8, v22
	s_cbranch_execz .LBB512_695
; %bb.688:
	s_and_not1_b32 vcc_lo, exec_lo, s16
	s_cbranch_vccnz .LBB512_694
; %bb.689:
	v_mul_lo_u32 v22, v5, s8
	v_mul_lo_u32 v23, v4, s9
	v_mad_u64_u32 v[8:9], null, v4, s8, 0
	v_mul_lo_u32 v34, v7, s8
	v_mul_lo_u32 v35, v6, s9
	v_mad_u64_u32 v[10:11], null, v6, s8, 0
	s_mov_b32 s21, 0
	s_mov_b64 s[4:5], s[8:9]
	s_delay_alu instid0(VALU_DEP_4) | instskip(NEXT) | instid1(VALU_DEP_2)
	v_add3_u32 v9, v9, v23, v22
                                        ; implicit-def: $sgpr22
                                        ; implicit-def: $sgpr23
                                        ; implicit-def: $sgpr24
                                        ; implicit-def: $sgpr25
                                        ; implicit-def: $sgpr26
	v_add3_u32 v11, v11, v35, v34
	s_delay_alu instid0(VALU_DEP_2) | instskip(NEXT) | instid1(VALU_DEP_2)
	v_lshlrev_b64 v[8:9], 3, v[8:9]
	v_lshlrev_b64 v[10:11], 3, v[10:11]
	s_delay_alu instid0(VALU_DEP_2) | instskip(NEXT) | instid1(VALU_DEP_3)
	v_add_co_u32 v8, vcc_lo, s10, v8
	v_add_co_ci_u32_e32 v9, vcc_lo, s11, v9, vcc_lo
	s_delay_alu instid0(VALU_DEP_3) | instskip(NEXT) | instid1(VALU_DEP_4)
	v_add_co_u32 v10, vcc_lo, s10, v10
	v_add_co_ci_u32_e32 v11, vcc_lo, s11, v11, vcc_lo
	s_set_inst_prefetch_distance 0x1
	s_branch .LBB512_691
	.p2align	6
.LBB512_690:                            ;   in Loop: Header=BB512_691 Depth=1
	s_or_b32 exec_lo, exec_lo, s3
	s_delay_alu instid0(SALU_CYCLE_1) | instskip(NEXT) | instid1(SALU_CYCLE_1)
	s_and_b32 s3, exec_lo, s23
	s_or_b32 s21, s3, s21
	s_and_not1_b32 s3, s26, exec_lo
	s_and_b32 s26, s25, exec_lo
	s_and_not1_b32 s22, s22, exec_lo
	s_and_b32 s27, s24, exec_lo
	s_or_b32 s26, s3, s26
	s_or_b32 s22, s22, s27
	s_and_not1_b32 exec_lo, exec_lo, s21
	s_cbranch_execz .LBB512_693
.LBB512_691:                            ; =>This Inner Loop Header: Depth=1
	global_load_b64 v[22:23], v[8:9], off
	global_load_b64 v[34:35], v[10:11], off
	s_and_not1_b32 s24, s24, exec_lo
	s_and_not1_b32 s25, s25, exec_lo
	s_or_b32 s23, s23, exec_lo
	s_waitcnt vmcnt(0)
	v_cmp_le_i64_e32 vcc_lo, v[22:23], v[34:35]
	v_cmp_lt_i64_e64 s3, v[22:23], v[34:35]
	s_and_b32 s27, vcc_lo, s26
	s_delay_alu instid0(VALU_DEP_1) | instid1(SALU_CYCLE_1)
	s_or_b32 s27, s3, s27
	s_delay_alu instid0(SALU_CYCLE_1) | instskip(NEXT) | instid1(SALU_CYCLE_1)
	s_and_b32 s3, s27, exec_lo
	s_or_b32 s24, s24, s3
	s_mov_b32 s3, exec_lo
	v_cmpx_eq_u64_e64 v[22:23], v[34:35]
	s_cbranch_execz .LBB512_690
; %bb.692:                              ;   in Loop: Header=BB512_691 Depth=1
	s_add_u32 s4, s4, -1
	s_addc_u32 s5, s5, -1
	v_add_co_u32 v8, vcc_lo, v8, 8
	s_cmp_eq_u64 s[4:5], 0
	v_add_co_ci_u32_e32 v9, vcc_lo, 0, v9, vcc_lo
	v_add_co_u32 v10, vcc_lo, v10, 8
	s_cselect_b32 s26, -1, 0
	v_add_co_ci_u32_e32 v11, vcc_lo, 0, v11, vcc_lo
	s_and_not1_b32 s25, s25, exec_lo
	s_and_b32 s27, s27, exec_lo
	s_and_not1_b32 s23, s23, exec_lo
	s_and_b32 s26, s26, exec_lo
	s_or_b32 s25, s25, s27
	s_and_not1_b32 s24, s24, exec_lo
	s_or_b32 s23, s23, s26
                                        ; implicit-def: $sgpr26
	s_branch .LBB512_690
.LBB512_693:
	s_set_inst_prefetch_distance 0x2
	s_or_b32 exec_lo, exec_lo, s21
	v_cndmask_b32_e64 v7, v7, v5, s22
	v_cndmask_b32_e64 v6, v6, v4, s22
.LBB512_694:
	s_delay_alu instid0(VALU_DEP_1)
	v_dual_mov_b32 v4, v6 :: v_dual_mov_b32 v5, v7
.LBB512_695:
	s_or_b32 exec_lo, exec_lo, s20
	s_delay_alu instid0(VALU_DEP_1)
	v_dual_mov_b32 v7, v5 :: v_dual_mov_b32 v6, v4
.LBB512_696:
	s_or_b32 exec_lo, exec_lo, s17
	v_cndmask_b32_e64 v1, v3, v1, s7
	v_cndmask_b32_e64 v0, v2, v0, s7
	;; [unrolled: 1-line block ×6, first 2 shown]
.LBB512_697:
	s_or_b32 exec_lo, exec_lo, s6
	v_and_b32_e32 v28, 0x60, v20
	v_and_b32_e32 v9, 28, v20
	s_mov_b32 s12, exec_lo
	; wave barrier
	s_delay_alu instid0(VALU_DEP_2) | instskip(NEXT) | instid1(VALU_DEP_2)
	v_or_b32_e32 v8, 16, v28
	v_min_u32_e32 v29, v19, v9
	v_lshl_add_u32 v25, v28, 3, v18
	ds_store_b128 v21, v[0:3]
	ds_store_b128 v21, v[4:7] offset:16
	v_min_u32_e32 v22, v19, v8
	; wave barrier
	s_delay_alu instid0(VALU_DEP_1) | instskip(SKIP_1) | instid1(VALU_DEP_2)
	v_add_nc_u32_e32 v8, 16, v22
	v_sub_nc_u32_e32 v9, v22, v28
	v_min_u32_e32 v23, v19, v8
	s_delay_alu instid0(VALU_DEP_2) | instskip(NEXT) | instid1(VALU_DEP_2)
	v_min_u32_e32 v30, v29, v9
	v_sub_nc_u32_e32 v8, v23, v22
	s_delay_alu instid0(VALU_DEP_1) | instskip(NEXT) | instid1(VALU_DEP_1)
	v_sub_nc_u32_e64 v24, v29, v8 clamp
	v_cmpx_lt_u32_e64 v24, v30
	s_cbranch_execz .LBB512_707
; %bb.698:
	v_lshlrev_b32_e32 v8, 3, v22
	v_lshlrev_b32_e32 v9, 3, v29
	s_lshl_b64 s[4:5], s[8:9], 3
	s_mov_b32 s13, 0
	s_delay_alu instid0(VALU_DEP_1)
	v_add3_u32 v31, v18, v8, v9
	s_branch .LBB512_701
.LBB512_699:                            ;   in Loop: Header=BB512_701 Depth=1
	s_set_inst_prefetch_distance 0x2
	s_or_b32 exec_lo, exec_lo, s17
.LBB512_700:                            ;   in Loop: Header=BB512_701 Depth=1
	s_delay_alu instid0(VALU_DEP_1) | instskip(SKIP_1) | instid1(VALU_DEP_2)
	v_add_nc_u32_e32 v8, 1, v32
	v_cndmask_b32_e64 v30, v30, v32, s20
	v_cndmask_b32_e64 v24, v8, v24, s20
	s_delay_alu instid0(VALU_DEP_1) | instskip(SKIP_1) | instid1(SALU_CYCLE_1)
	v_cmp_ge_u32_e32 vcc_lo, v24, v30
	s_or_b32 s13, vcc_lo, s13
	s_and_not1_b32 exec_lo, exec_lo, s13
	s_cbranch_execz .LBB512_706
.LBB512_701:                            ; =>This Loop Header: Depth=1
                                        ;     Child Loop BB512_704 Depth 2
	v_add_nc_u32_e32 v8, v30, v24
	s_and_not1_b32 vcc_lo, exec_lo, s16
	s_mov_b32 s20, 0
	s_delay_alu instid0(VALU_DEP_1)
	v_lshrrev_b32_e32 v32, 1, v8
	s_cbranch_vccnz .LBB512_700
; %bb.702:                              ;   in Loop: Header=BB512_701 Depth=1
	s_delay_alu instid0(VALU_DEP_1) | instskip(SKIP_3) | instid1(VALU_DEP_2)
	v_not_b32_e32 v8, v32
	v_lshl_add_u32 v9, v32, 3, v25
	s_mov_b32 s17, 0
	s_mov_b64 s[6:7], s[8:9]
                                        ; implicit-def: $sgpr20
                                        ; implicit-def: $sgpr21
                                        ; implicit-def: $sgpr22
                                        ; implicit-def: $sgpr23
                                        ; implicit-def: $sgpr24
	v_lshl_add_u32 v8, v8, 3, v31
	ds_load_b64 v[10:11], v8
	ds_load_b64 v[33:34], v9
	s_waitcnt lgkmcnt(1)
	v_mul_lo_u32 v35, s4, v11
	v_mul_lo_u32 v36, s5, v10
	v_mad_u64_u32 v[8:9], null, s4, v10, s[10:11]
	s_waitcnt lgkmcnt(0)
	v_mul_lo_u32 v34, s4, v34
	v_mul_lo_u32 v37, s5, v33
	v_mad_u64_u32 v[10:11], null, s4, v33, s[10:11]
	s_delay_alu instid0(VALU_DEP_4) | instskip(NEXT) | instid1(VALU_DEP_2)
	v_add3_u32 v9, v36, v9, v35
	v_add3_u32 v11, v37, v11, v34
	s_set_inst_prefetch_distance 0x1
	s_branch .LBB512_704
	.p2align	6
.LBB512_703:                            ;   in Loop: Header=BB512_704 Depth=2
	s_or_b32 exec_lo, exec_lo, s25
	s_delay_alu instid0(SALU_CYCLE_1) | instskip(NEXT) | instid1(SALU_CYCLE_1)
	s_and_b32 s3, exec_lo, s21
	s_or_b32 s17, s3, s17
	s_and_not1_b32 s3, s24, exec_lo
	s_and_b32 s24, s22, exec_lo
	s_and_not1_b32 s20, s20, exec_lo
	s_and_b32 s25, s23, exec_lo
	s_or_b32 s24, s3, s24
	s_or_b32 s20, s20, s25
	s_and_not1_b32 exec_lo, exec_lo, s17
	s_cbranch_execz .LBB512_699
.LBB512_704:                            ;   Parent Loop BB512_701 Depth=1
                                        ; =>  This Inner Loop Header: Depth=2
	global_load_b64 v[33:34], v[8:9], off
	global_load_b64 v[35:36], v[10:11], off
	s_and_not1_b32 s23, s23, exec_lo
	s_and_not1_b32 s22, s22, exec_lo
	s_or_b32 s21, s21, exec_lo
	s_waitcnt vmcnt(0)
	v_cmp_le_i64_e32 vcc_lo, v[33:34], v[35:36]
	v_cmp_lt_i64_e64 s3, v[33:34], v[35:36]
	s_and_b32 s25, vcc_lo, s24
	s_delay_alu instid0(VALU_DEP_1) | instid1(SALU_CYCLE_1)
	s_or_b32 s3, s3, s25
	s_delay_alu instid0(SALU_CYCLE_1) | instskip(NEXT) | instid1(SALU_CYCLE_1)
	s_and_b32 s25, s3, exec_lo
	s_or_b32 s23, s23, s25
	s_mov_b32 s25, exec_lo
	v_cmpx_eq_u64_e64 v[33:34], v[35:36]
	s_cbranch_execz .LBB512_703
; %bb.705:                              ;   in Loop: Header=BB512_704 Depth=2
	s_add_u32 s6, s6, -1
	s_addc_u32 s7, s7, -1
	v_add_co_u32 v8, vcc_lo, v8, 8
	v_add_co_ci_u32_e32 v9, vcc_lo, 0, v9, vcc_lo
	s_cmp_eq_u64 s[6:7], 0
	v_add_co_u32 v10, vcc_lo, v10, 8
	s_cselect_b32 s24, -1, 0
	v_add_co_ci_u32_e32 v11, vcc_lo, 0, v11, vcc_lo
	s_and_not1_b32 s22, s22, exec_lo
	s_and_b32 s3, s3, exec_lo
	s_and_not1_b32 s21, s21, exec_lo
	s_and_b32 s24, s24, exec_lo
	s_and_not1_b32 s23, s23, exec_lo
	s_or_b32 s22, s22, s3
	s_or_b32 s21, s21, s24
                                        ; implicit-def: $sgpr24
	s_branch .LBB512_703
.LBB512_706:
	s_or_b32 exec_lo, exec_lo, s13
.LBB512_707:
	s_delay_alu instid0(SALU_CYCLE_1) | instskip(SKIP_2) | instid1(VALU_DEP_2)
	s_or_b32 exec_lo, exec_lo, s12
	v_add_nc_u32_e32 v9, v22, v29
	v_add_nc_u32_e32 v8, v24, v28
	v_sub_nc_u32_e32 v9, v9, v24
	s_delay_alu instid0(VALU_DEP_2) | instskip(NEXT) | instid1(VALU_DEP_2)
	v_cmp_le_u32_e32 vcc_lo, v8, v22
	v_cmp_le_u32_e64 s3, v9, v23
	s_delay_alu instid0(VALU_DEP_1) | instskip(NEXT) | instid1(SALU_CYCLE_1)
	s_or_b32 s3, vcc_lo, s3
	s_and_saveexec_b32 s6, s3
	s_cbranch_execz .LBB512_754
; %bb.708:
	v_cmp_ge_u32_e32 vcc_lo, v8, v22
	s_mov_b32 s4, exec_lo
                                        ; implicit-def: $vgpr0_vgpr1
	v_cmpx_lt_u32_e64 v8, v22
	s_cbranch_execz .LBB512_710
; %bb.709:
	v_lshl_add_u32 v0, v24, 3, v25
	ds_load_b64 v[0:1], v0
.LBB512_710:
	s_or_b32 exec_lo, exec_lo, s4
	v_cmp_ge_u32_e64 s7, v9, v23
	s_mov_b32 s4, exec_lo
                                        ; implicit-def: $vgpr2_vgpr3
	v_cmpx_lt_u32_e64 v9, v23
	s_cbranch_execz .LBB512_712
; %bb.711:
	v_lshl_add_u32 v2, v9, 3, v18
	ds_load_b64 v[2:3], v2
.LBB512_712:
	s_or_b32 exec_lo, exec_lo, s4
	s_or_b32 s3, vcc_lo, s7
	s_mov_b32 s12, -1
	s_xor_b32 s3, s3, -1
	s_delay_alu instid0(SALU_CYCLE_1)
	s_and_saveexec_b32 s13, s3
	s_cbranch_execz .LBB512_721
; %bb.713:
	s_and_not1_b32 vcc_lo, exec_lo, s16
	s_cbranch_vccnz .LBB512_719
; %bb.714:
	s_waitcnt lgkmcnt(0)
	v_mul_lo_u32 v10, v3, s8
	v_mul_lo_u32 v11, v2, s9
	v_mad_u64_u32 v[4:5], null, v2, s8, 0
	v_mul_lo_u32 v24, v1, s8
	v_mul_lo_u32 v25, v0, s9
	v_mad_u64_u32 v[6:7], null, v0, s8, 0
	s_mov_b32 s17, 0
	s_mov_b64 s[4:5], s[8:9]
	s_delay_alu instid0(VALU_DEP_4) | instskip(NEXT) | instid1(VALU_DEP_2)
	v_add3_u32 v5, v5, v11, v10
                                        ; implicit-def: $sgpr20
                                        ; implicit-def: $sgpr21
                                        ; implicit-def: $sgpr22
                                        ; implicit-def: $sgpr23
                                        ; implicit-def: $sgpr24
	v_add3_u32 v7, v7, v25, v24
	s_delay_alu instid0(VALU_DEP_2) | instskip(NEXT) | instid1(VALU_DEP_2)
	v_lshlrev_b64 v[4:5], 3, v[4:5]
	v_lshlrev_b64 v[6:7], 3, v[6:7]
	s_delay_alu instid0(VALU_DEP_2) | instskip(NEXT) | instid1(VALU_DEP_3)
	v_add_co_u32 v4, vcc_lo, s10, v4
	v_add_co_ci_u32_e32 v5, vcc_lo, s11, v5, vcc_lo
	s_delay_alu instid0(VALU_DEP_3) | instskip(NEXT) | instid1(VALU_DEP_4)
	v_add_co_u32 v6, vcc_lo, s10, v6
	v_add_co_ci_u32_e32 v7, vcc_lo, s11, v7, vcc_lo
	s_set_inst_prefetch_distance 0x1
	s_branch .LBB512_716
	.p2align	6
.LBB512_715:                            ;   in Loop: Header=BB512_716 Depth=1
	s_or_b32 exec_lo, exec_lo, s3
	s_delay_alu instid0(SALU_CYCLE_1) | instskip(NEXT) | instid1(SALU_CYCLE_1)
	s_and_b32 s3, exec_lo, s21
	s_or_b32 s17, s3, s17
	s_and_not1_b32 s3, s24, exec_lo
	s_and_b32 s24, s23, exec_lo
	s_and_not1_b32 s20, s20, exec_lo
	s_and_b32 s25, s22, exec_lo
	s_or_b32 s24, s3, s24
	s_or_b32 s20, s20, s25
	s_and_not1_b32 exec_lo, exec_lo, s17
	s_cbranch_execz .LBB512_718
.LBB512_716:                            ; =>This Inner Loop Header: Depth=1
	global_load_b64 v[10:11], v[4:5], off
	global_load_b64 v[24:25], v[6:7], off
	s_and_not1_b32 s22, s22, exec_lo
	s_and_not1_b32 s23, s23, exec_lo
	s_or_b32 s21, s21, exec_lo
	s_waitcnt vmcnt(0)
	v_cmp_le_i64_e32 vcc_lo, v[10:11], v[24:25]
	v_cmp_lt_i64_e64 s3, v[10:11], v[24:25]
	s_and_b32 s25, vcc_lo, s24
	s_delay_alu instid0(VALU_DEP_1) | instid1(SALU_CYCLE_1)
	s_or_b32 s25, s3, s25
	s_delay_alu instid0(SALU_CYCLE_1) | instskip(NEXT) | instid1(SALU_CYCLE_1)
	s_and_b32 s3, s25, exec_lo
	s_or_b32 s22, s22, s3
	s_mov_b32 s3, exec_lo
	v_cmpx_eq_u64_e64 v[10:11], v[24:25]
	s_cbranch_execz .LBB512_715
; %bb.717:                              ;   in Loop: Header=BB512_716 Depth=1
	s_add_u32 s4, s4, -1
	s_addc_u32 s5, s5, -1
	v_add_co_u32 v4, vcc_lo, v4, 8
	s_cmp_eq_u64 s[4:5], 0
	v_add_co_ci_u32_e32 v5, vcc_lo, 0, v5, vcc_lo
	v_add_co_u32 v6, vcc_lo, v6, 8
	s_cselect_b32 s24, -1, 0
	v_add_co_ci_u32_e32 v7, vcc_lo, 0, v7, vcc_lo
	s_and_not1_b32 s23, s23, exec_lo
	s_and_b32 s25, s25, exec_lo
	s_and_not1_b32 s21, s21, exec_lo
	s_and_b32 s24, s24, exec_lo
	s_or_b32 s23, s23, s25
	s_and_not1_b32 s22, s22, exec_lo
	s_or_b32 s21, s21, s24
                                        ; implicit-def: $sgpr24
	s_branch .LBB512_715
.LBB512_718:
	s_set_inst_prefetch_distance 0x2
	s_or_b32 exec_lo, exec_lo, s17
	s_xor_b32 s3, s20, -1
	s_branch .LBB512_720
.LBB512_719:
	s_mov_b32 s3, -1
.LBB512_720:
	s_and_not1_b32 s4, s7, exec_lo
	s_and_b32 s3, s3, exec_lo
	s_delay_alu instid0(SALU_CYCLE_1)
	s_or_b32 s7, s4, s3
.LBB512_721:
	s_or_b32 exec_lo, exec_lo, s13
	v_cndmask_b32_e64 v4, v9, v8, s7
	v_cndmask_b32_e64 v5, v23, v22, s7
	s_mov_b32 s13, exec_lo
	s_delay_alu instid0(VALU_DEP_2) | instskip(NEXT) | instid1(VALU_DEP_2)
	v_add_nc_u32_e32 v6, 1, v4
	v_add_nc_u32_e32 v4, -1, v5
	s_delay_alu instid0(VALU_DEP_2) | instskip(NEXT) | instid1(VALU_DEP_2)
	v_cndmask_b32_e64 v9, v6, v9, s7
	v_min_u32_e32 v4, v6, v4
	v_cndmask_b32_e64 v8, v8, v6, s7
	s_delay_alu instid0(VALU_DEP_2)
	v_lshl_add_u32 v4, v4, 3, v18
	ds_load_b64 v[4:5], v4
	s_waitcnt lgkmcnt(0)
	v_cndmask_b32_e64 v24, v5, v3, s7
	v_cndmask_b32_e64 v25, v4, v2, s7
	;; [unrolled: 1-line block ×4, first 2 shown]
	v_cmpx_lt_u32_e64 v9, v23
	s_cbranch_execz .LBB512_732
; %bb.722:
	s_mov_b32 s3, 0
	s_mov_b32 s12, exec_lo
	v_cmpx_lt_u32_e64 v8, v22
	s_cbranch_execz .LBB512_731
; %bb.723:
	s_and_not1_b32 vcc_lo, exec_lo, s16
	s_cbranch_vccnz .LBB512_729
; %bb.724:
	v_mul_lo_u32 v10, v24, s8
	v_mul_lo_u32 v11, v25, s9
	v_mad_u64_u32 v[4:5], null, v25, s8, 0
	v_mul_lo_u32 v30, v28, s8
	v_mul_lo_u32 v31, v29, s9
	v_mad_u64_u32 v[6:7], null, v29, s8, 0
	s_mov_b32 s17, 0
	s_mov_b64 s[4:5], s[8:9]
	s_delay_alu instid0(VALU_DEP_4) | instskip(NEXT) | instid1(VALU_DEP_2)
	v_add3_u32 v5, v5, v11, v10
                                        ; implicit-def: $sgpr20
                                        ; implicit-def: $sgpr21
                                        ; implicit-def: $sgpr22
                                        ; implicit-def: $sgpr23
                                        ; implicit-def: $sgpr24
	v_add3_u32 v7, v7, v31, v30
	s_delay_alu instid0(VALU_DEP_2) | instskip(NEXT) | instid1(VALU_DEP_2)
	v_lshlrev_b64 v[4:5], 3, v[4:5]
	v_lshlrev_b64 v[6:7], 3, v[6:7]
	s_delay_alu instid0(VALU_DEP_2) | instskip(NEXT) | instid1(VALU_DEP_3)
	v_add_co_u32 v4, vcc_lo, s10, v4
	v_add_co_ci_u32_e32 v5, vcc_lo, s11, v5, vcc_lo
	s_delay_alu instid0(VALU_DEP_3) | instskip(NEXT) | instid1(VALU_DEP_4)
	v_add_co_u32 v6, vcc_lo, s10, v6
	v_add_co_ci_u32_e32 v7, vcc_lo, s11, v7, vcc_lo
	s_set_inst_prefetch_distance 0x1
	s_branch .LBB512_726
	.p2align	6
.LBB512_725:                            ;   in Loop: Header=BB512_726 Depth=1
	s_or_b32 exec_lo, exec_lo, s3
	s_delay_alu instid0(SALU_CYCLE_1) | instskip(NEXT) | instid1(SALU_CYCLE_1)
	s_and_b32 s3, exec_lo, s21
	s_or_b32 s17, s3, s17
	s_and_not1_b32 s3, s24, exec_lo
	s_and_b32 s24, s23, exec_lo
	s_and_not1_b32 s20, s20, exec_lo
	s_and_b32 s25, s22, exec_lo
	s_or_b32 s24, s3, s24
	s_or_b32 s20, s20, s25
	s_and_not1_b32 exec_lo, exec_lo, s17
	s_cbranch_execz .LBB512_728
.LBB512_726:                            ; =>This Inner Loop Header: Depth=1
	global_load_b64 v[10:11], v[4:5], off
	global_load_b64 v[30:31], v[6:7], off
	s_and_not1_b32 s22, s22, exec_lo
	s_and_not1_b32 s23, s23, exec_lo
	s_or_b32 s21, s21, exec_lo
	s_waitcnt vmcnt(0)
	v_cmp_le_i64_e32 vcc_lo, v[10:11], v[30:31]
	v_cmp_lt_i64_e64 s3, v[10:11], v[30:31]
	s_and_b32 s25, vcc_lo, s24
	s_delay_alu instid0(VALU_DEP_1) | instid1(SALU_CYCLE_1)
	s_or_b32 s25, s3, s25
	s_delay_alu instid0(SALU_CYCLE_1) | instskip(NEXT) | instid1(SALU_CYCLE_1)
	s_and_b32 s3, s25, exec_lo
	s_or_b32 s22, s22, s3
	s_mov_b32 s3, exec_lo
	v_cmpx_eq_u64_e64 v[10:11], v[30:31]
	s_cbranch_execz .LBB512_725
; %bb.727:                              ;   in Loop: Header=BB512_726 Depth=1
	s_add_u32 s4, s4, -1
	s_addc_u32 s5, s5, -1
	v_add_co_u32 v4, vcc_lo, v4, 8
	s_cmp_eq_u64 s[4:5], 0
	v_add_co_ci_u32_e32 v5, vcc_lo, 0, v5, vcc_lo
	v_add_co_u32 v6, vcc_lo, v6, 8
	s_cselect_b32 s24, -1, 0
	v_add_co_ci_u32_e32 v7, vcc_lo, 0, v7, vcc_lo
	s_and_not1_b32 s23, s23, exec_lo
	s_and_b32 s25, s25, exec_lo
	s_and_not1_b32 s21, s21, exec_lo
	s_and_b32 s24, s24, exec_lo
	s_or_b32 s23, s23, s25
	s_and_not1_b32 s22, s22, exec_lo
	s_or_b32 s21, s21, s24
                                        ; implicit-def: $sgpr24
	s_branch .LBB512_725
.LBB512_728:
	s_set_inst_prefetch_distance 0x2
	s_or_b32 exec_lo, exec_lo, s17
	s_xor_b32 s3, s20, -1
	s_branch .LBB512_730
.LBB512_729:
	s_mov_b32 s3, -1
.LBB512_730:
	s_delay_alu instid0(SALU_CYCLE_1)
	s_and_b32 s3, s3, exec_lo
.LBB512_731:
	s_or_b32 exec_lo, exec_lo, s12
	s_delay_alu instid0(SALU_CYCLE_1)
	s_or_not1_b32 s12, s3, exec_lo
.LBB512_732:
	s_or_b32 exec_lo, exec_lo, s13
	v_cndmask_b32_e64 v4, v9, v8, s12
	v_cndmask_b32_e64 v5, v23, v22, s12
	s_mov_b32 s13, -1
	s_mov_b32 s17, exec_lo
	s_delay_alu instid0(VALU_DEP_2) | instskip(NEXT) | instid1(VALU_DEP_2)
	v_add_nc_u32_e32 v6, 1, v4
	v_add_nc_u32_e32 v4, -1, v5
	s_delay_alu instid0(VALU_DEP_2) | instskip(NEXT) | instid1(VALU_DEP_2)
	v_cndmask_b32_e64 v9, v6, v9, s12
	v_min_u32_e32 v4, v6, v4
	v_cndmask_b32_e64 v8, v8, v6, s12
	s_delay_alu instid0(VALU_DEP_2)
	v_lshl_add_u32 v4, v4, 3, v18
	ds_load_b64 v[4:5], v4
	s_waitcnt lgkmcnt(0)
	v_cndmask_b32_e64 v30, v5, v24, s12
	v_cndmask_b32_e64 v31, v4, v25, s12
	;; [unrolled: 1-line block ×4, first 2 shown]
	v_cmpx_lt_u32_e64 v9, v23
	s_cbranch_execz .LBB512_743
; %bb.733:
	s_mov_b32 s3, 0
	s_mov_b32 s13, exec_lo
	v_cmpx_lt_u32_e64 v8, v22
	s_cbranch_execz .LBB512_742
; %bb.734:
	s_and_not1_b32 vcc_lo, exec_lo, s16
	s_cbranch_vccnz .LBB512_740
; %bb.735:
	v_mul_lo_u32 v10, v30, s8
	v_mul_lo_u32 v11, v31, s9
	v_mad_u64_u32 v[4:5], null, v31, s8, 0
	v_mul_lo_u32 v34, v32, s8
	v_mul_lo_u32 v35, v33, s9
	v_mad_u64_u32 v[6:7], null, v33, s8, 0
	s_mov_b32 s20, 0
	s_mov_b64 s[4:5], s[8:9]
	s_delay_alu instid0(VALU_DEP_4) | instskip(NEXT) | instid1(VALU_DEP_2)
	v_add3_u32 v5, v5, v11, v10
                                        ; implicit-def: $sgpr21
                                        ; implicit-def: $sgpr22
                                        ; implicit-def: $sgpr23
                                        ; implicit-def: $sgpr24
                                        ; implicit-def: $sgpr25
	v_add3_u32 v7, v7, v35, v34
	s_delay_alu instid0(VALU_DEP_2) | instskip(NEXT) | instid1(VALU_DEP_2)
	v_lshlrev_b64 v[4:5], 3, v[4:5]
	v_lshlrev_b64 v[6:7], 3, v[6:7]
	s_delay_alu instid0(VALU_DEP_2) | instskip(NEXT) | instid1(VALU_DEP_3)
	v_add_co_u32 v4, vcc_lo, s10, v4
	v_add_co_ci_u32_e32 v5, vcc_lo, s11, v5, vcc_lo
	s_delay_alu instid0(VALU_DEP_3) | instskip(NEXT) | instid1(VALU_DEP_4)
	v_add_co_u32 v6, vcc_lo, s10, v6
	v_add_co_ci_u32_e32 v7, vcc_lo, s11, v7, vcc_lo
	s_set_inst_prefetch_distance 0x1
	s_branch .LBB512_737
	.p2align	6
.LBB512_736:                            ;   in Loop: Header=BB512_737 Depth=1
	s_or_b32 exec_lo, exec_lo, s3
	s_delay_alu instid0(SALU_CYCLE_1) | instskip(NEXT) | instid1(SALU_CYCLE_1)
	s_and_b32 s3, exec_lo, s22
	s_or_b32 s20, s3, s20
	s_and_not1_b32 s3, s25, exec_lo
	s_and_b32 s25, s24, exec_lo
	s_and_not1_b32 s21, s21, exec_lo
	s_and_b32 s26, s23, exec_lo
	s_or_b32 s25, s3, s25
	s_or_b32 s21, s21, s26
	s_and_not1_b32 exec_lo, exec_lo, s20
	s_cbranch_execz .LBB512_739
.LBB512_737:                            ; =>This Inner Loop Header: Depth=1
	global_load_b64 v[10:11], v[4:5], off
	global_load_b64 v[34:35], v[6:7], off
	s_and_not1_b32 s23, s23, exec_lo
	s_and_not1_b32 s24, s24, exec_lo
	s_or_b32 s22, s22, exec_lo
	s_waitcnt vmcnt(0)
	v_cmp_le_i64_e32 vcc_lo, v[10:11], v[34:35]
	v_cmp_lt_i64_e64 s3, v[10:11], v[34:35]
	s_and_b32 s26, vcc_lo, s25
	s_delay_alu instid0(VALU_DEP_1) | instid1(SALU_CYCLE_1)
	s_or_b32 s26, s3, s26
	s_delay_alu instid0(SALU_CYCLE_1) | instskip(NEXT) | instid1(SALU_CYCLE_1)
	s_and_b32 s3, s26, exec_lo
	s_or_b32 s23, s23, s3
	s_mov_b32 s3, exec_lo
	v_cmpx_eq_u64_e64 v[10:11], v[34:35]
	s_cbranch_execz .LBB512_736
; %bb.738:                              ;   in Loop: Header=BB512_737 Depth=1
	s_add_u32 s4, s4, -1
	s_addc_u32 s5, s5, -1
	v_add_co_u32 v4, vcc_lo, v4, 8
	s_cmp_eq_u64 s[4:5], 0
	v_add_co_ci_u32_e32 v5, vcc_lo, 0, v5, vcc_lo
	v_add_co_u32 v6, vcc_lo, v6, 8
	s_cselect_b32 s25, -1, 0
	v_add_co_ci_u32_e32 v7, vcc_lo, 0, v7, vcc_lo
	s_and_not1_b32 s24, s24, exec_lo
	s_and_b32 s26, s26, exec_lo
	s_and_not1_b32 s22, s22, exec_lo
	s_and_b32 s25, s25, exec_lo
	s_or_b32 s24, s24, s26
	s_and_not1_b32 s23, s23, exec_lo
	s_or_b32 s22, s22, s25
                                        ; implicit-def: $sgpr25
	s_branch .LBB512_736
.LBB512_739:
	s_set_inst_prefetch_distance 0x2
	s_or_b32 exec_lo, exec_lo, s20
	s_xor_b32 s3, s21, -1
	s_branch .LBB512_741
.LBB512_740:
	s_mov_b32 s3, -1
.LBB512_741:
	s_delay_alu instid0(SALU_CYCLE_1)
	s_and_b32 s3, s3, exec_lo
.LBB512_742:
	s_or_b32 exec_lo, exec_lo, s13
	s_delay_alu instid0(SALU_CYCLE_1)
	s_or_not1_b32 s13, s3, exec_lo
.LBB512_743:
	s_or_b32 exec_lo, exec_lo, s17
	v_cndmask_b32_e64 v4, v9, v8, s13
	v_cndmask_b32_e64 v5, v23, v22, s13
	s_mov_b32 s17, exec_lo
	s_delay_alu instid0(VALU_DEP_2) | instskip(NEXT) | instid1(VALU_DEP_2)
	v_add_nc_u32_e32 v10, 1, v4
	v_add_nc_u32_e32 v4, -1, v5
	s_delay_alu instid0(VALU_DEP_2) | instskip(NEXT) | instid1(VALU_DEP_2)
	v_cndmask_b32_e64 v9, v10, v9, s13
	v_min_u32_e32 v4, v10, v4
	s_delay_alu instid0(VALU_DEP_1)
	v_lshl_add_u32 v4, v4, 3, v18
	ds_load_b64 v[4:5], v4
	s_waitcnt lgkmcnt(0)
	v_cndmask_b32_e64 v7, v32, v5, s13
	v_cndmask_b32_e64 v6, v33, v4, s13
	v_cmpx_lt_u32_e64 v9, v23
	s_cbranch_execz .LBB512_753
; %bb.744:
	v_cndmask_b32_e64 v8, v8, v10, s13
	v_cndmask_b32_e64 v5, v5, v30, s13
	;; [unrolled: 1-line block ×3, first 2 shown]
	s_mov_b32 s20, exec_lo
	s_delay_alu instid0(VALU_DEP_3)
	v_cmpx_lt_u32_e64 v8, v22
	s_cbranch_execz .LBB512_752
; %bb.745:
	s_and_not1_b32 vcc_lo, exec_lo, s16
	s_cbranch_vccnz .LBB512_751
; %bb.746:
	v_mul_lo_u32 v22, v5, s8
	v_mul_lo_u32 v23, v4, s9
	v_mad_u64_u32 v[8:9], null, v4, s8, 0
	v_mul_lo_u32 v34, v7, s8
	v_mul_lo_u32 v35, v6, s9
	v_mad_u64_u32 v[10:11], null, v6, s8, 0
	s_mov_b32 s21, 0
	s_mov_b64 s[4:5], s[8:9]
	s_delay_alu instid0(VALU_DEP_4) | instskip(NEXT) | instid1(VALU_DEP_2)
	v_add3_u32 v9, v9, v23, v22
                                        ; implicit-def: $sgpr22
                                        ; implicit-def: $sgpr23
                                        ; implicit-def: $sgpr24
                                        ; implicit-def: $sgpr25
                                        ; implicit-def: $sgpr26
	v_add3_u32 v11, v11, v35, v34
	s_delay_alu instid0(VALU_DEP_2) | instskip(NEXT) | instid1(VALU_DEP_2)
	v_lshlrev_b64 v[8:9], 3, v[8:9]
	v_lshlrev_b64 v[10:11], 3, v[10:11]
	s_delay_alu instid0(VALU_DEP_2) | instskip(NEXT) | instid1(VALU_DEP_3)
	v_add_co_u32 v8, vcc_lo, s10, v8
	v_add_co_ci_u32_e32 v9, vcc_lo, s11, v9, vcc_lo
	s_delay_alu instid0(VALU_DEP_3) | instskip(NEXT) | instid1(VALU_DEP_4)
	v_add_co_u32 v10, vcc_lo, s10, v10
	v_add_co_ci_u32_e32 v11, vcc_lo, s11, v11, vcc_lo
	s_set_inst_prefetch_distance 0x1
	s_branch .LBB512_748
	.p2align	6
.LBB512_747:                            ;   in Loop: Header=BB512_748 Depth=1
	s_or_b32 exec_lo, exec_lo, s3
	s_delay_alu instid0(SALU_CYCLE_1) | instskip(NEXT) | instid1(SALU_CYCLE_1)
	s_and_b32 s3, exec_lo, s23
	s_or_b32 s21, s3, s21
	s_and_not1_b32 s3, s26, exec_lo
	s_and_b32 s26, s25, exec_lo
	s_and_not1_b32 s22, s22, exec_lo
	s_and_b32 s27, s24, exec_lo
	s_or_b32 s26, s3, s26
	s_or_b32 s22, s22, s27
	s_and_not1_b32 exec_lo, exec_lo, s21
	s_cbranch_execz .LBB512_750
.LBB512_748:                            ; =>This Inner Loop Header: Depth=1
	global_load_b64 v[22:23], v[8:9], off
	global_load_b64 v[34:35], v[10:11], off
	s_and_not1_b32 s24, s24, exec_lo
	s_and_not1_b32 s25, s25, exec_lo
	s_or_b32 s23, s23, exec_lo
	s_waitcnt vmcnt(0)
	v_cmp_le_i64_e32 vcc_lo, v[22:23], v[34:35]
	v_cmp_lt_i64_e64 s3, v[22:23], v[34:35]
	s_and_b32 s27, vcc_lo, s26
	s_delay_alu instid0(VALU_DEP_1) | instid1(SALU_CYCLE_1)
	s_or_b32 s27, s3, s27
	s_delay_alu instid0(SALU_CYCLE_1) | instskip(NEXT) | instid1(SALU_CYCLE_1)
	s_and_b32 s3, s27, exec_lo
	s_or_b32 s24, s24, s3
	s_mov_b32 s3, exec_lo
	v_cmpx_eq_u64_e64 v[22:23], v[34:35]
	s_cbranch_execz .LBB512_747
; %bb.749:                              ;   in Loop: Header=BB512_748 Depth=1
	s_add_u32 s4, s4, -1
	s_addc_u32 s5, s5, -1
	v_add_co_u32 v8, vcc_lo, v8, 8
	s_cmp_eq_u64 s[4:5], 0
	v_add_co_ci_u32_e32 v9, vcc_lo, 0, v9, vcc_lo
	v_add_co_u32 v10, vcc_lo, v10, 8
	s_cselect_b32 s26, -1, 0
	v_add_co_ci_u32_e32 v11, vcc_lo, 0, v11, vcc_lo
	s_and_not1_b32 s25, s25, exec_lo
	s_and_b32 s27, s27, exec_lo
	s_and_not1_b32 s23, s23, exec_lo
	s_and_b32 s26, s26, exec_lo
	s_or_b32 s25, s25, s27
	s_and_not1_b32 s24, s24, exec_lo
	s_or_b32 s23, s23, s26
                                        ; implicit-def: $sgpr26
	s_branch .LBB512_747
.LBB512_750:
	s_set_inst_prefetch_distance 0x2
	s_or_b32 exec_lo, exec_lo, s21
	v_cndmask_b32_e64 v7, v7, v5, s22
	v_cndmask_b32_e64 v6, v6, v4, s22
.LBB512_751:
	s_delay_alu instid0(VALU_DEP_1)
	v_dual_mov_b32 v4, v6 :: v_dual_mov_b32 v5, v7
.LBB512_752:
	s_or_b32 exec_lo, exec_lo, s20
	s_delay_alu instid0(VALU_DEP_1)
	v_dual_mov_b32 v7, v5 :: v_dual_mov_b32 v6, v4
.LBB512_753:
	s_or_b32 exec_lo, exec_lo, s17
	v_cndmask_b32_e64 v1, v3, v1, s7
	v_cndmask_b32_e64 v0, v2, v0, s7
	;; [unrolled: 1-line block ×6, first 2 shown]
.LBB512_754:
	s_or_b32 exec_lo, exec_lo, s6
	v_and_b32_e32 v24, 64, v20
	v_and_b32_e32 v9, 60, v20
	s_mov_b32 s12, exec_lo
	; wave barrier
	s_delay_alu instid0(VALU_DEP_2) | instskip(NEXT) | instid1(VALU_DEP_2)
	v_or_b32_e32 v8, 32, v24
	v_min_u32_e32 v25, v19, v9
	v_lshl_add_u32 v23, v24, 3, v18
	ds_store_b128 v21, v[0:3]
	ds_store_b128 v21, v[4:7] offset:16
	v_min_u32_e32 v22, v19, v8
	; wave barrier
	s_delay_alu instid0(VALU_DEP_1) | instskip(SKIP_1) | instid1(VALU_DEP_2)
	v_add_nc_u32_e32 v8, 32, v22
	v_sub_nc_u32_e32 v9, v22, v24
	v_min_u32_e32 v20, v19, v8
	s_delay_alu instid0(VALU_DEP_2) | instskip(NEXT) | instid1(VALU_DEP_2)
	v_min_u32_e32 v28, v25, v9
	v_sub_nc_u32_e32 v8, v20, v22
	s_delay_alu instid0(VALU_DEP_1) | instskip(NEXT) | instid1(VALU_DEP_1)
	v_sub_nc_u32_e64 v19, v25, v8 clamp
	v_cmpx_lt_u32_e64 v19, v28
	s_cbranch_execz .LBB512_764
; %bb.755:
	v_lshlrev_b32_e32 v8, 3, v22
	v_lshlrev_b32_e32 v9, 3, v25
	s_lshl_b64 s[4:5], s[8:9], 3
	s_mov_b32 s13, 0
	s_delay_alu instid0(VALU_DEP_1)
	v_add3_u32 v21, v18, v8, v9
	s_branch .LBB512_758
.LBB512_756:                            ;   in Loop: Header=BB512_758 Depth=1
	s_set_inst_prefetch_distance 0x2
	s_or_b32 exec_lo, exec_lo, s17
.LBB512_757:                            ;   in Loop: Header=BB512_758 Depth=1
	s_delay_alu instid0(VALU_DEP_1) | instskip(SKIP_1) | instid1(VALU_DEP_2)
	v_add_nc_u32_e32 v8, 1, v29
	v_cndmask_b32_e64 v28, v28, v29, s20
	v_cndmask_b32_e64 v19, v8, v19, s20
	s_delay_alu instid0(VALU_DEP_1) | instskip(SKIP_1) | instid1(SALU_CYCLE_1)
	v_cmp_ge_u32_e32 vcc_lo, v19, v28
	s_or_b32 s13, vcc_lo, s13
	s_and_not1_b32 exec_lo, exec_lo, s13
	s_cbranch_execz .LBB512_763
.LBB512_758:                            ; =>This Loop Header: Depth=1
                                        ;     Child Loop BB512_761 Depth 2
	v_add_nc_u32_e32 v8, v28, v19
	s_and_not1_b32 vcc_lo, exec_lo, s16
	s_mov_b32 s20, 0
	s_delay_alu instid0(VALU_DEP_1)
	v_lshrrev_b32_e32 v29, 1, v8
	s_cbranch_vccnz .LBB512_757
; %bb.759:                              ;   in Loop: Header=BB512_758 Depth=1
	s_delay_alu instid0(VALU_DEP_1) | instskip(SKIP_3) | instid1(VALU_DEP_2)
	v_not_b32_e32 v8, v29
	v_lshl_add_u32 v9, v29, 3, v23
	s_mov_b32 s17, 0
	s_mov_b64 s[6:7], s[8:9]
                                        ; implicit-def: $sgpr20
                                        ; implicit-def: $sgpr21
                                        ; implicit-def: $sgpr22
                                        ; implicit-def: $sgpr23
                                        ; implicit-def: $sgpr24
	v_lshl_add_u32 v8, v8, 3, v21
	ds_load_b64 v[10:11], v8
	ds_load_b64 v[30:31], v9
	s_waitcnt lgkmcnt(1)
	v_mul_lo_u32 v32, s4, v11
	v_mul_lo_u32 v33, s5, v10
	v_mad_u64_u32 v[8:9], null, s4, v10, s[10:11]
	s_waitcnt lgkmcnt(0)
	v_mul_lo_u32 v31, s4, v31
	v_mul_lo_u32 v34, s5, v30
	v_mad_u64_u32 v[10:11], null, s4, v30, s[10:11]
	s_delay_alu instid0(VALU_DEP_4) | instskip(NEXT) | instid1(VALU_DEP_2)
	v_add3_u32 v9, v33, v9, v32
	v_add3_u32 v11, v34, v11, v31
	s_set_inst_prefetch_distance 0x1
	s_branch .LBB512_761
	.p2align	6
.LBB512_760:                            ;   in Loop: Header=BB512_761 Depth=2
	s_or_b32 exec_lo, exec_lo, s25
	s_delay_alu instid0(SALU_CYCLE_1) | instskip(NEXT) | instid1(SALU_CYCLE_1)
	s_and_b32 s3, exec_lo, s21
	s_or_b32 s17, s3, s17
	s_and_not1_b32 s3, s24, exec_lo
	s_and_b32 s24, s22, exec_lo
	s_and_not1_b32 s20, s20, exec_lo
	s_and_b32 s25, s23, exec_lo
	s_or_b32 s24, s3, s24
	s_or_b32 s20, s20, s25
	s_and_not1_b32 exec_lo, exec_lo, s17
	s_cbranch_execz .LBB512_756
.LBB512_761:                            ;   Parent Loop BB512_758 Depth=1
                                        ; =>  This Inner Loop Header: Depth=2
	global_load_b64 v[30:31], v[8:9], off
	global_load_b64 v[32:33], v[10:11], off
	s_and_not1_b32 s23, s23, exec_lo
	s_and_not1_b32 s22, s22, exec_lo
	s_or_b32 s21, s21, exec_lo
	s_waitcnt vmcnt(0)
	v_cmp_le_i64_e32 vcc_lo, v[30:31], v[32:33]
	v_cmp_lt_i64_e64 s3, v[30:31], v[32:33]
	s_and_b32 s25, vcc_lo, s24
	s_delay_alu instid0(VALU_DEP_1) | instid1(SALU_CYCLE_1)
	s_or_b32 s3, s3, s25
	s_delay_alu instid0(SALU_CYCLE_1) | instskip(NEXT) | instid1(SALU_CYCLE_1)
	s_and_b32 s25, s3, exec_lo
	s_or_b32 s23, s23, s25
	s_mov_b32 s25, exec_lo
	v_cmpx_eq_u64_e64 v[30:31], v[32:33]
	s_cbranch_execz .LBB512_760
; %bb.762:                              ;   in Loop: Header=BB512_761 Depth=2
	s_add_u32 s6, s6, -1
	s_addc_u32 s7, s7, -1
	v_add_co_u32 v8, vcc_lo, v8, 8
	v_add_co_ci_u32_e32 v9, vcc_lo, 0, v9, vcc_lo
	s_cmp_eq_u64 s[6:7], 0
	v_add_co_u32 v10, vcc_lo, v10, 8
	s_cselect_b32 s24, -1, 0
	v_add_co_ci_u32_e32 v11, vcc_lo, 0, v11, vcc_lo
	s_and_not1_b32 s22, s22, exec_lo
	s_and_b32 s3, s3, exec_lo
	s_and_not1_b32 s21, s21, exec_lo
	s_and_b32 s24, s24, exec_lo
	s_and_not1_b32 s23, s23, exec_lo
	s_or_b32 s22, s22, s3
	s_or_b32 s21, s21, s24
                                        ; implicit-def: $sgpr24
	s_branch .LBB512_760
.LBB512_763:
	s_or_b32 exec_lo, exec_lo, s13
.LBB512_764:
	s_delay_alu instid0(SALU_CYCLE_1) | instskip(SKIP_2) | instid1(VALU_DEP_2)
	s_or_b32 exec_lo, exec_lo, s12
	v_add_nc_u32_e32 v9, v22, v25
	v_add_nc_u32_e32 v8, v19, v24
	v_sub_nc_u32_e32 v9, v9, v19
	s_delay_alu instid0(VALU_DEP_2) | instskip(NEXT) | instid1(VALU_DEP_2)
	v_cmp_le_u32_e32 vcc_lo, v8, v22
	v_cmp_le_u32_e64 s3, v9, v20
	s_delay_alu instid0(VALU_DEP_1) | instskip(NEXT) | instid1(SALU_CYCLE_1)
	s_or_b32 s3, vcc_lo, s3
	s_and_saveexec_b32 s6, s3
	s_cbranch_execz .LBB512_811
; %bb.765:
	v_cmp_ge_u32_e32 vcc_lo, v8, v22
	s_mov_b32 s4, exec_lo
                                        ; implicit-def: $vgpr0_vgpr1
	v_cmpx_lt_u32_e64 v8, v22
	s_cbranch_execz .LBB512_767
; %bb.766:
	v_lshl_add_u32 v0, v19, 3, v23
	ds_load_b64 v[0:1], v0
.LBB512_767:
	s_or_b32 exec_lo, exec_lo, s4
	v_cmp_ge_u32_e64 s7, v9, v20
	s_mov_b32 s4, exec_lo
                                        ; implicit-def: $vgpr2_vgpr3
	v_cmpx_lt_u32_e64 v9, v20
	s_cbranch_execz .LBB512_769
; %bb.768:
	v_lshl_add_u32 v2, v9, 3, v18
	ds_load_b64 v[2:3], v2
.LBB512_769:
	s_or_b32 exec_lo, exec_lo, s4
	s_or_b32 s3, vcc_lo, s7
	s_mov_b32 s12, -1
	s_xor_b32 s3, s3, -1
	s_delay_alu instid0(SALU_CYCLE_1)
	s_and_saveexec_b32 s13, s3
	s_cbranch_execz .LBB512_778
; %bb.770:
	s_and_not1_b32 vcc_lo, exec_lo, s16
	s_cbranch_vccnz .LBB512_776
; %bb.771:
	s_waitcnt lgkmcnt(0)
	v_mul_lo_u32 v10, v3, s8
	v_mul_lo_u32 v11, v2, s9
	v_mad_u64_u32 v[4:5], null, v2, s8, 0
	v_mul_lo_u32 v19, v1, s8
	v_mul_lo_u32 v21, v0, s9
	v_mad_u64_u32 v[6:7], null, v0, s8, 0
	s_mov_b32 s17, 0
	s_mov_b64 s[4:5], s[8:9]
	s_delay_alu instid0(VALU_DEP_4) | instskip(NEXT) | instid1(VALU_DEP_2)
	v_add3_u32 v5, v5, v11, v10
                                        ; implicit-def: $sgpr20
                                        ; implicit-def: $sgpr21
                                        ; implicit-def: $sgpr22
                                        ; implicit-def: $sgpr23
                                        ; implicit-def: $sgpr24
	v_add3_u32 v7, v7, v21, v19
	s_delay_alu instid0(VALU_DEP_2) | instskip(NEXT) | instid1(VALU_DEP_2)
	v_lshlrev_b64 v[4:5], 3, v[4:5]
	v_lshlrev_b64 v[6:7], 3, v[6:7]
	s_delay_alu instid0(VALU_DEP_2) | instskip(NEXT) | instid1(VALU_DEP_3)
	v_add_co_u32 v4, vcc_lo, s10, v4
	v_add_co_ci_u32_e32 v5, vcc_lo, s11, v5, vcc_lo
	s_delay_alu instid0(VALU_DEP_3) | instskip(NEXT) | instid1(VALU_DEP_4)
	v_add_co_u32 v6, vcc_lo, s10, v6
	v_add_co_ci_u32_e32 v7, vcc_lo, s11, v7, vcc_lo
	s_set_inst_prefetch_distance 0x1
	s_branch .LBB512_773
	.p2align	6
.LBB512_772:                            ;   in Loop: Header=BB512_773 Depth=1
	s_or_b32 exec_lo, exec_lo, s3
	s_delay_alu instid0(SALU_CYCLE_1) | instskip(NEXT) | instid1(SALU_CYCLE_1)
	s_and_b32 s3, exec_lo, s21
	s_or_b32 s17, s3, s17
	s_and_not1_b32 s3, s24, exec_lo
	s_and_b32 s24, s23, exec_lo
	s_and_not1_b32 s20, s20, exec_lo
	s_and_b32 s25, s22, exec_lo
	s_or_b32 s24, s3, s24
	s_or_b32 s20, s20, s25
	s_and_not1_b32 exec_lo, exec_lo, s17
	s_cbranch_execz .LBB512_775
.LBB512_773:                            ; =>This Inner Loop Header: Depth=1
	global_load_b64 v[10:11], v[4:5], off
	global_load_b64 v[23:24], v[6:7], off
	s_and_not1_b32 s22, s22, exec_lo
	s_and_not1_b32 s23, s23, exec_lo
	s_or_b32 s21, s21, exec_lo
	s_waitcnt vmcnt(0)
	v_cmp_le_i64_e32 vcc_lo, v[10:11], v[23:24]
	v_cmp_lt_i64_e64 s3, v[10:11], v[23:24]
	s_and_b32 s25, vcc_lo, s24
	s_delay_alu instid0(VALU_DEP_1) | instid1(SALU_CYCLE_1)
	s_or_b32 s25, s3, s25
	s_delay_alu instid0(SALU_CYCLE_1) | instskip(NEXT) | instid1(SALU_CYCLE_1)
	s_and_b32 s3, s25, exec_lo
	s_or_b32 s22, s22, s3
	s_mov_b32 s3, exec_lo
	v_cmpx_eq_u64_e64 v[10:11], v[23:24]
	s_cbranch_execz .LBB512_772
; %bb.774:                              ;   in Loop: Header=BB512_773 Depth=1
	s_add_u32 s4, s4, -1
	s_addc_u32 s5, s5, -1
	v_add_co_u32 v4, vcc_lo, v4, 8
	s_cmp_eq_u64 s[4:5], 0
	v_add_co_ci_u32_e32 v5, vcc_lo, 0, v5, vcc_lo
	v_add_co_u32 v6, vcc_lo, v6, 8
	s_cselect_b32 s24, -1, 0
	v_add_co_ci_u32_e32 v7, vcc_lo, 0, v7, vcc_lo
	s_and_not1_b32 s23, s23, exec_lo
	s_and_b32 s25, s25, exec_lo
	s_and_not1_b32 s21, s21, exec_lo
	s_and_b32 s24, s24, exec_lo
	s_or_b32 s23, s23, s25
	s_and_not1_b32 s22, s22, exec_lo
	s_or_b32 s21, s21, s24
                                        ; implicit-def: $sgpr24
	s_branch .LBB512_772
.LBB512_775:
	s_set_inst_prefetch_distance 0x2
	s_or_b32 exec_lo, exec_lo, s17
	s_xor_b32 s3, s20, -1
	s_branch .LBB512_777
.LBB512_776:
	s_mov_b32 s3, -1
.LBB512_777:
	s_and_not1_b32 s4, s7, exec_lo
	s_and_b32 s3, s3, exec_lo
	s_delay_alu instid0(SALU_CYCLE_1)
	s_or_b32 s7, s4, s3
.LBB512_778:
	s_or_b32 exec_lo, exec_lo, s13
	v_cndmask_b32_e64 v4, v9, v8, s7
	v_cndmask_b32_e64 v5, v20, v22, s7
	s_mov_b32 s13, exec_lo
	s_delay_alu instid0(VALU_DEP_2) | instskip(NEXT) | instid1(VALU_DEP_2)
	v_add_nc_u32_e32 v6, 1, v4
	v_add_nc_u32_e32 v4, -1, v5
	s_delay_alu instid0(VALU_DEP_2) | instskip(NEXT) | instid1(VALU_DEP_2)
	v_cndmask_b32_e64 v9, v6, v9, s7
	v_min_u32_e32 v4, v6, v4
	v_cndmask_b32_e64 v8, v8, v6, s7
	s_delay_alu instid0(VALU_DEP_2)
	v_lshl_add_u32 v4, v4, 3, v18
	ds_load_b64 v[4:5], v4
	s_waitcnt lgkmcnt(0)
	v_cndmask_b32_e64 v19, v5, v3, s7
	v_cndmask_b32_e64 v21, v4, v2, s7
	;; [unrolled: 1-line block ×4, first 2 shown]
	v_cmpx_lt_u32_e64 v9, v20
	s_cbranch_execz .LBB512_789
; %bb.779:
	s_mov_b32 s3, 0
	s_mov_b32 s12, exec_lo
	v_cmpx_lt_u32_e64 v8, v22
	s_cbranch_execz .LBB512_788
; %bb.780:
	s_and_not1_b32 vcc_lo, exec_lo, s16
	s_cbranch_vccnz .LBB512_786
; %bb.781:
	v_mul_lo_u32 v10, v19, s8
	v_mul_lo_u32 v11, v21, s9
	v_mad_u64_u32 v[4:5], null, v21, s8, 0
	v_mul_lo_u32 v25, v23, s8
	v_mul_lo_u32 v28, v24, s9
	v_mad_u64_u32 v[6:7], null, v24, s8, 0
	s_mov_b32 s17, 0
	s_mov_b64 s[4:5], s[8:9]
	s_delay_alu instid0(VALU_DEP_4) | instskip(NEXT) | instid1(VALU_DEP_2)
	v_add3_u32 v5, v5, v11, v10
                                        ; implicit-def: $sgpr20
                                        ; implicit-def: $sgpr21
                                        ; implicit-def: $sgpr22
                                        ; implicit-def: $sgpr23
                                        ; implicit-def: $sgpr24
	v_add3_u32 v7, v7, v28, v25
	s_delay_alu instid0(VALU_DEP_2) | instskip(NEXT) | instid1(VALU_DEP_2)
	v_lshlrev_b64 v[4:5], 3, v[4:5]
	v_lshlrev_b64 v[6:7], 3, v[6:7]
	s_delay_alu instid0(VALU_DEP_2) | instskip(NEXT) | instid1(VALU_DEP_3)
	v_add_co_u32 v4, vcc_lo, s10, v4
	v_add_co_ci_u32_e32 v5, vcc_lo, s11, v5, vcc_lo
	s_delay_alu instid0(VALU_DEP_3) | instskip(NEXT) | instid1(VALU_DEP_4)
	v_add_co_u32 v6, vcc_lo, s10, v6
	v_add_co_ci_u32_e32 v7, vcc_lo, s11, v7, vcc_lo
	s_set_inst_prefetch_distance 0x1
	s_branch .LBB512_783
	.p2align	6
.LBB512_782:                            ;   in Loop: Header=BB512_783 Depth=1
	s_or_b32 exec_lo, exec_lo, s3
	s_delay_alu instid0(SALU_CYCLE_1) | instskip(NEXT) | instid1(SALU_CYCLE_1)
	s_and_b32 s3, exec_lo, s21
	s_or_b32 s17, s3, s17
	s_and_not1_b32 s3, s24, exec_lo
	s_and_b32 s24, s23, exec_lo
	s_and_not1_b32 s20, s20, exec_lo
	s_and_b32 s25, s22, exec_lo
	s_or_b32 s24, s3, s24
	s_or_b32 s20, s20, s25
	s_and_not1_b32 exec_lo, exec_lo, s17
	s_cbranch_execz .LBB512_785
.LBB512_783:                            ; =>This Inner Loop Header: Depth=1
	global_load_b64 v[10:11], v[4:5], off
	global_load_b64 v[28:29], v[6:7], off
	s_and_not1_b32 s22, s22, exec_lo
	s_and_not1_b32 s23, s23, exec_lo
	s_or_b32 s21, s21, exec_lo
	s_waitcnt vmcnt(0)
	v_cmp_le_i64_e32 vcc_lo, v[10:11], v[28:29]
	v_cmp_lt_i64_e64 s3, v[10:11], v[28:29]
	s_and_b32 s25, vcc_lo, s24
	s_delay_alu instid0(VALU_DEP_1) | instid1(SALU_CYCLE_1)
	s_or_b32 s25, s3, s25
	s_delay_alu instid0(SALU_CYCLE_1) | instskip(NEXT) | instid1(SALU_CYCLE_1)
	s_and_b32 s3, s25, exec_lo
	s_or_b32 s22, s22, s3
	s_mov_b32 s3, exec_lo
	v_cmpx_eq_u64_e64 v[10:11], v[28:29]
	s_cbranch_execz .LBB512_782
; %bb.784:                              ;   in Loop: Header=BB512_783 Depth=1
	s_add_u32 s4, s4, -1
	s_addc_u32 s5, s5, -1
	v_add_co_u32 v4, vcc_lo, v4, 8
	s_cmp_eq_u64 s[4:5], 0
	v_add_co_ci_u32_e32 v5, vcc_lo, 0, v5, vcc_lo
	v_add_co_u32 v6, vcc_lo, v6, 8
	s_cselect_b32 s24, -1, 0
	v_add_co_ci_u32_e32 v7, vcc_lo, 0, v7, vcc_lo
	s_and_not1_b32 s23, s23, exec_lo
	s_and_b32 s25, s25, exec_lo
	s_and_not1_b32 s21, s21, exec_lo
	s_and_b32 s24, s24, exec_lo
	s_or_b32 s23, s23, s25
	s_and_not1_b32 s22, s22, exec_lo
	s_or_b32 s21, s21, s24
                                        ; implicit-def: $sgpr24
	s_branch .LBB512_782
.LBB512_785:
	s_set_inst_prefetch_distance 0x2
	s_or_b32 exec_lo, exec_lo, s17
	s_xor_b32 s3, s20, -1
	s_branch .LBB512_787
.LBB512_786:
	s_mov_b32 s3, -1
.LBB512_787:
	s_delay_alu instid0(SALU_CYCLE_1)
	s_and_b32 s3, s3, exec_lo
.LBB512_788:
	s_or_b32 exec_lo, exec_lo, s12
	s_delay_alu instid0(SALU_CYCLE_1)
	s_or_not1_b32 s12, s3, exec_lo
.LBB512_789:
	s_or_b32 exec_lo, exec_lo, s13
	v_cndmask_b32_e64 v4, v9, v8, s12
	v_cndmask_b32_e64 v5, v20, v22, s12
	s_mov_b32 s13, -1
	s_mov_b32 s17, exec_lo
	s_delay_alu instid0(VALU_DEP_2) | instskip(NEXT) | instid1(VALU_DEP_2)
	v_add_nc_u32_e32 v6, 1, v4
	v_add_nc_u32_e32 v4, -1, v5
	s_delay_alu instid0(VALU_DEP_2) | instskip(NEXT) | instid1(VALU_DEP_2)
	v_cndmask_b32_e64 v9, v6, v9, s12
	v_min_u32_e32 v4, v6, v4
	v_cndmask_b32_e64 v8, v8, v6, s12
	s_delay_alu instid0(VALU_DEP_2)
	v_lshl_add_u32 v4, v4, 3, v18
	ds_load_b64 v[4:5], v4
	s_waitcnt lgkmcnt(0)
	v_cndmask_b32_e64 v25, v5, v19, s12
	v_cndmask_b32_e64 v28, v4, v21, s12
	;; [unrolled: 1-line block ×4, first 2 shown]
	v_cmpx_lt_u32_e64 v9, v20
	s_cbranch_execz .LBB512_800
; %bb.790:
	s_mov_b32 s3, 0
	s_mov_b32 s13, exec_lo
	v_cmpx_lt_u32_e64 v8, v22
	s_cbranch_execz .LBB512_799
; %bb.791:
	s_and_not1_b32 vcc_lo, exec_lo, s16
	s_cbranch_vccnz .LBB512_797
; %bb.792:
	v_mul_lo_u32 v10, v25, s8
	v_mul_lo_u32 v11, v28, s9
	v_mad_u64_u32 v[4:5], null, v28, s8, 0
	v_mul_lo_u32 v31, v29, s8
	v_mul_lo_u32 v32, v30, s9
	v_mad_u64_u32 v[6:7], null, v30, s8, 0
	s_mov_b32 s20, 0
	s_mov_b64 s[4:5], s[8:9]
	s_delay_alu instid0(VALU_DEP_4) | instskip(NEXT) | instid1(VALU_DEP_2)
	v_add3_u32 v5, v5, v11, v10
                                        ; implicit-def: $sgpr21
                                        ; implicit-def: $sgpr22
                                        ; implicit-def: $sgpr23
                                        ; implicit-def: $sgpr24
                                        ; implicit-def: $sgpr25
	v_add3_u32 v7, v7, v32, v31
	s_delay_alu instid0(VALU_DEP_2) | instskip(NEXT) | instid1(VALU_DEP_2)
	v_lshlrev_b64 v[4:5], 3, v[4:5]
	v_lshlrev_b64 v[6:7], 3, v[6:7]
	s_delay_alu instid0(VALU_DEP_2) | instskip(NEXT) | instid1(VALU_DEP_3)
	v_add_co_u32 v4, vcc_lo, s10, v4
	v_add_co_ci_u32_e32 v5, vcc_lo, s11, v5, vcc_lo
	s_delay_alu instid0(VALU_DEP_3) | instskip(NEXT) | instid1(VALU_DEP_4)
	v_add_co_u32 v6, vcc_lo, s10, v6
	v_add_co_ci_u32_e32 v7, vcc_lo, s11, v7, vcc_lo
	s_set_inst_prefetch_distance 0x1
	s_branch .LBB512_794
	.p2align	6
.LBB512_793:                            ;   in Loop: Header=BB512_794 Depth=1
	s_or_b32 exec_lo, exec_lo, s3
	s_delay_alu instid0(SALU_CYCLE_1) | instskip(NEXT) | instid1(SALU_CYCLE_1)
	s_and_b32 s3, exec_lo, s22
	s_or_b32 s20, s3, s20
	s_and_not1_b32 s3, s25, exec_lo
	s_and_b32 s25, s24, exec_lo
	s_and_not1_b32 s21, s21, exec_lo
	s_and_b32 s26, s23, exec_lo
	s_or_b32 s25, s3, s25
	s_or_b32 s21, s21, s26
	s_and_not1_b32 exec_lo, exec_lo, s20
	s_cbranch_execz .LBB512_796
.LBB512_794:                            ; =>This Inner Loop Header: Depth=1
	global_load_b64 v[10:11], v[4:5], off
	global_load_b64 v[31:32], v[6:7], off
	s_and_not1_b32 s23, s23, exec_lo
	s_and_not1_b32 s24, s24, exec_lo
	s_or_b32 s22, s22, exec_lo
	s_waitcnt vmcnt(0)
	v_cmp_le_i64_e32 vcc_lo, v[10:11], v[31:32]
	v_cmp_lt_i64_e64 s3, v[10:11], v[31:32]
	s_and_b32 s26, vcc_lo, s25
	s_delay_alu instid0(VALU_DEP_1) | instid1(SALU_CYCLE_1)
	s_or_b32 s26, s3, s26
	s_delay_alu instid0(SALU_CYCLE_1) | instskip(NEXT) | instid1(SALU_CYCLE_1)
	s_and_b32 s3, s26, exec_lo
	s_or_b32 s23, s23, s3
	s_mov_b32 s3, exec_lo
	v_cmpx_eq_u64_e64 v[10:11], v[31:32]
	s_cbranch_execz .LBB512_793
; %bb.795:                              ;   in Loop: Header=BB512_794 Depth=1
	s_add_u32 s4, s4, -1
	s_addc_u32 s5, s5, -1
	v_add_co_u32 v4, vcc_lo, v4, 8
	s_cmp_eq_u64 s[4:5], 0
	v_add_co_ci_u32_e32 v5, vcc_lo, 0, v5, vcc_lo
	v_add_co_u32 v6, vcc_lo, v6, 8
	s_cselect_b32 s25, -1, 0
	v_add_co_ci_u32_e32 v7, vcc_lo, 0, v7, vcc_lo
	s_and_not1_b32 s24, s24, exec_lo
	s_and_b32 s26, s26, exec_lo
	s_and_not1_b32 s22, s22, exec_lo
	s_and_b32 s25, s25, exec_lo
	s_or_b32 s24, s24, s26
	s_and_not1_b32 s23, s23, exec_lo
	s_or_b32 s22, s22, s25
                                        ; implicit-def: $sgpr25
	s_branch .LBB512_793
.LBB512_796:
	s_set_inst_prefetch_distance 0x2
	s_or_b32 exec_lo, exec_lo, s20
	s_xor_b32 s3, s21, -1
	s_branch .LBB512_798
.LBB512_797:
	s_mov_b32 s3, -1
.LBB512_798:
	s_delay_alu instid0(SALU_CYCLE_1)
	s_and_b32 s3, s3, exec_lo
.LBB512_799:
	s_or_b32 exec_lo, exec_lo, s13
	s_delay_alu instid0(SALU_CYCLE_1)
	s_or_not1_b32 s13, s3, exec_lo
.LBB512_800:
	s_or_b32 exec_lo, exec_lo, s17
	v_cndmask_b32_e64 v4, v9, v8, s13
	v_cndmask_b32_e64 v5, v20, v22, s13
	s_mov_b32 s17, exec_lo
	s_delay_alu instid0(VALU_DEP_2) | instskip(NEXT) | instid1(VALU_DEP_2)
	v_add_nc_u32_e32 v10, 1, v4
	v_add_nc_u32_e32 v4, -1, v5
	s_delay_alu instid0(VALU_DEP_2) | instskip(NEXT) | instid1(VALU_DEP_2)
	v_cndmask_b32_e64 v9, v10, v9, s13
	v_min_u32_e32 v4, v10, v4
	s_delay_alu instid0(VALU_DEP_1)
	v_lshl_add_u32 v4, v4, 3, v18
	ds_load_b64 v[4:5], v4
	s_waitcnt lgkmcnt(0)
	v_cndmask_b32_e64 v7, v29, v5, s13
	v_cndmask_b32_e64 v6, v30, v4, s13
	v_cmpx_lt_u32_e64 v9, v20
	s_cbranch_execz .LBB512_810
; %bb.801:
	v_cndmask_b32_e64 v8, v8, v10, s13
	v_cndmask_b32_e64 v5, v5, v25, s13
	;; [unrolled: 1-line block ×3, first 2 shown]
	s_mov_b32 s20, exec_lo
	s_delay_alu instid0(VALU_DEP_3)
	v_cmpx_lt_u32_e64 v8, v22
	s_cbranch_execz .LBB512_809
; %bb.802:
	s_and_not1_b32 vcc_lo, exec_lo, s16
	s_cbranch_vccnz .LBB512_808
; %bb.803:
	v_mul_lo_u32 v18, v5, s8
	v_mul_lo_u32 v20, v4, s9
	v_mad_u64_u32 v[8:9], null, v4, s8, 0
	v_mul_lo_u32 v22, v7, s8
	v_mul_lo_u32 v31, v6, s9
	v_mad_u64_u32 v[10:11], null, v6, s8, 0
	s_mov_b32 s21, 0
	s_mov_b64 s[4:5], s[8:9]
	s_delay_alu instid0(VALU_DEP_4) | instskip(NEXT) | instid1(VALU_DEP_2)
	v_add3_u32 v9, v9, v20, v18
                                        ; implicit-def: $sgpr22
                                        ; implicit-def: $sgpr23
                                        ; implicit-def: $sgpr24
                                        ; implicit-def: $sgpr25
                                        ; implicit-def: $sgpr26
	v_add3_u32 v11, v11, v31, v22
	s_delay_alu instid0(VALU_DEP_2) | instskip(NEXT) | instid1(VALU_DEP_2)
	v_lshlrev_b64 v[8:9], 3, v[8:9]
	v_lshlrev_b64 v[10:11], 3, v[10:11]
	s_delay_alu instid0(VALU_DEP_2) | instskip(NEXT) | instid1(VALU_DEP_3)
	v_add_co_u32 v8, vcc_lo, s10, v8
	v_add_co_ci_u32_e32 v9, vcc_lo, s11, v9, vcc_lo
	s_delay_alu instid0(VALU_DEP_3) | instskip(NEXT) | instid1(VALU_DEP_4)
	v_add_co_u32 v10, vcc_lo, s10, v10
	v_add_co_ci_u32_e32 v11, vcc_lo, s11, v11, vcc_lo
	s_set_inst_prefetch_distance 0x1
	s_branch .LBB512_805
	.p2align	6
.LBB512_804:                            ;   in Loop: Header=BB512_805 Depth=1
	s_or_b32 exec_lo, exec_lo, s3
	s_delay_alu instid0(SALU_CYCLE_1) | instskip(NEXT) | instid1(SALU_CYCLE_1)
	s_and_b32 s3, exec_lo, s23
	s_or_b32 s21, s3, s21
	s_and_not1_b32 s3, s26, exec_lo
	s_and_b32 s26, s25, exec_lo
	s_and_not1_b32 s22, s22, exec_lo
	s_and_b32 s27, s24, exec_lo
	s_or_b32 s26, s3, s26
	s_or_b32 s22, s22, s27
	s_and_not1_b32 exec_lo, exec_lo, s21
	s_cbranch_execz .LBB512_807
.LBB512_805:                            ; =>This Inner Loop Header: Depth=1
	global_load_b64 v[31:32], v[8:9], off
	global_load_b64 v[33:34], v[10:11], off
	s_and_not1_b32 s24, s24, exec_lo
	s_and_not1_b32 s25, s25, exec_lo
	s_or_b32 s23, s23, exec_lo
	s_waitcnt vmcnt(0)
	v_cmp_le_i64_e32 vcc_lo, v[31:32], v[33:34]
	v_cmp_lt_i64_e64 s3, v[31:32], v[33:34]
	s_and_b32 s27, vcc_lo, s26
	s_delay_alu instid0(VALU_DEP_1) | instid1(SALU_CYCLE_1)
	s_or_b32 s27, s3, s27
	s_delay_alu instid0(SALU_CYCLE_1) | instskip(NEXT) | instid1(SALU_CYCLE_1)
	s_and_b32 s3, s27, exec_lo
	s_or_b32 s24, s24, s3
	s_mov_b32 s3, exec_lo
	v_cmpx_eq_u64_e64 v[31:32], v[33:34]
	s_cbranch_execz .LBB512_804
; %bb.806:                              ;   in Loop: Header=BB512_805 Depth=1
	s_add_u32 s4, s4, -1
	s_addc_u32 s5, s5, -1
	v_add_co_u32 v8, vcc_lo, v8, 8
	s_cmp_eq_u64 s[4:5], 0
	v_add_co_ci_u32_e32 v9, vcc_lo, 0, v9, vcc_lo
	v_add_co_u32 v10, vcc_lo, v10, 8
	s_cselect_b32 s26, -1, 0
	v_add_co_ci_u32_e32 v11, vcc_lo, 0, v11, vcc_lo
	s_and_not1_b32 s25, s25, exec_lo
	s_and_b32 s27, s27, exec_lo
	s_and_not1_b32 s23, s23, exec_lo
	s_and_b32 s26, s26, exec_lo
	s_or_b32 s25, s25, s27
	s_and_not1_b32 s24, s24, exec_lo
	s_or_b32 s23, s23, s26
                                        ; implicit-def: $sgpr26
	s_branch .LBB512_804
.LBB512_807:
	s_set_inst_prefetch_distance 0x2
	s_or_b32 exec_lo, exec_lo, s21
	v_cndmask_b32_e64 v7, v7, v5, s22
	v_cndmask_b32_e64 v6, v6, v4, s22
.LBB512_808:
	s_delay_alu instid0(VALU_DEP_1)
	v_dual_mov_b32 v4, v6 :: v_dual_mov_b32 v5, v7
.LBB512_809:
	s_or_b32 exec_lo, exec_lo, s20
	s_delay_alu instid0(VALU_DEP_1)
	v_dual_mov_b32 v7, v5 :: v_dual_mov_b32 v6, v4
.LBB512_810:
	s_or_b32 exec_lo, exec_lo, s17
	v_cndmask_b32_e64 v1, v3, v1, s7
	v_cndmask_b32_e64 v0, v2, v0, s7
	v_cndmask_b32_e64 v3, v19, v23, s12
	v_cndmask_b32_e64 v2, v21, v24, s12
	v_cndmask_b32_e64 v5, v25, v29, s13
	v_cndmask_b32_e64 v4, v28, v30, s13
.LBB512_811:
	s_or_b32 exec_lo, exec_lo, s6
	s_cmpk_lt_u32 s18, 0x41
	; wave barrier
	s_waitcnt lgkmcnt(0)
	s_barrier
	buffer_gl0_inv
	s_cbranch_scc1 .LBB512_871
; %bb.812:
	v_lshlrev_b32_e32 v18, 3, v27
	s_lshl_b64 s[4:5], s[8:9], 3
	s_mov_b32 s12, 64
	s_branch .LBB512_818
.LBB512_813:                            ;   in Loop: Header=BB512_818 Depth=1
	s_set_inst_prefetch_distance 0x2
	s_or_b32 exec_lo, exec_lo, s24
	v_cndmask_b32_e64 v7, v7, v5, s25
	v_cndmask_b32_e64 v6, v6, v4, s25
.LBB512_814:                            ;   in Loop: Header=BB512_818 Depth=1
	s_delay_alu instid0(VALU_DEP_1)
	v_dual_mov_b32 v4, v6 :: v_dual_mov_b32 v5, v7
.LBB512_815:                            ;   in Loop: Header=BB512_818 Depth=1
	s_or_b32 exec_lo, exec_lo, s23
	s_delay_alu instid0(VALU_DEP_1)
	v_dual_mov_b32 v7, v5 :: v_dual_mov_b32 v6, v4
.LBB512_816:                            ;   in Loop: Header=BB512_818 Depth=1
	s_or_b32 exec_lo, exec_lo, s22
	v_cndmask_b32_e64 v1, v3, v1, s17
	v_cndmask_b32_e64 v0, v2, v0, s17
	;; [unrolled: 1-line block ×6, first 2 shown]
.LBB512_817:                            ;   in Loop: Header=BB512_818 Depth=1
	s_or_b32 exec_lo, exec_lo, s13
	s_cmp_lt_u32 s12, s18
	s_barrier
	buffer_gl0_inv
	s_cbranch_scc0 .LBB512_871
.LBB512_818:                            ; =>This Loop Header: Depth=1
                                        ;     Child Loop BB512_822 Depth 2
                                        ;       Child Loop BB512_825 Depth 3
                                        ;     Child Loop BB512_837 Depth 2
                                        ;     Child Loop BB512_847 Depth 2
	;; [unrolled: 1-line block ×4, first 2 shown]
	s_mov_b32 s3, s12
	s_lshl_b32 s12, s12, 1
	s_mov_b32 s13, exec_lo
	s_sub_i32 s6, 0, s12
	ds_store_b128 v18, v[0:3]
	ds_store_b128 v18, v[4:7] offset:16
	v_and_b32_e32 v23, s6, v27
	s_waitcnt lgkmcnt(0)
	s_barrier
	buffer_gl0_inv
	v_add_nc_u32_e32 v8, s3, v23
	v_lshlrev_b32_e32 v22, 3, v23
	s_delay_alu instid0(VALU_DEP_2) | instskip(NEXT) | instid1(VALU_DEP_1)
	v_min_u32_e32 v19, s18, v8
	v_add_nc_u32_e32 v8, s3, v19
	s_add_i32 s3, s12, -1
	s_delay_alu instid0(SALU_CYCLE_1) | instskip(NEXT) | instid1(VALU_DEP_2)
	v_and_b32_e32 v9, s3, v27
	v_min_u32_e32 v20, s18, v8
	v_sub_nc_u32_e32 v8, v19, v23
	s_delay_alu instid0(VALU_DEP_3) | instskip(NEXT) | instid1(VALU_DEP_3)
	v_min_u32_e32 v24, s18, v9
	v_sub_nc_u32_e32 v9, v20, v19
	s_delay_alu instid0(VALU_DEP_2) | instskip(NEXT) | instid1(VALU_DEP_2)
	v_min_u32_e32 v25, v24, v8
	v_sub_nc_u32_e64 v21, v24, v9 clamp
	s_delay_alu instid0(VALU_DEP_1)
	v_cmpx_lt_u32_e64 v21, v25
	s_cbranch_execz .LBB512_828
; %bb.819:                              ;   in Loop: Header=BB512_818 Depth=1
	v_lshlrev_b32_e32 v8, 3, v24
	s_mov_b32 s17, 0
	s_delay_alu instid0(VALU_DEP_1)
	v_lshl_add_u32 v28, v19, 3, v8
	s_branch .LBB512_822
.LBB512_820:                            ;   in Loop: Header=BB512_822 Depth=2
	s_set_inst_prefetch_distance 0x2
	s_or_b32 exec_lo, exec_lo, s20
.LBB512_821:                            ;   in Loop: Header=BB512_822 Depth=2
	s_delay_alu instid0(VALU_DEP_1) | instskip(SKIP_1) | instid1(VALU_DEP_2)
	v_add_nc_u32_e32 v8, 1, v29
	v_cndmask_b32_e64 v25, v25, v29, s21
	v_cndmask_b32_e64 v21, v8, v21, s21
	s_delay_alu instid0(VALU_DEP_1) | instskip(SKIP_1) | instid1(SALU_CYCLE_1)
	v_cmp_ge_u32_e32 vcc_lo, v21, v25
	s_or_b32 s17, vcc_lo, s17
	s_and_not1_b32 exec_lo, exec_lo, s17
	s_cbranch_execz .LBB512_827
.LBB512_822:                            ;   Parent Loop BB512_818 Depth=1
                                        ; =>  This Loop Header: Depth=2
                                        ;       Child Loop BB512_825 Depth 3
	v_add_nc_u32_e32 v8, v25, v21
	s_and_not1_b32 vcc_lo, exec_lo, s16
	s_mov_b32 s21, 0
	s_delay_alu instid0(VALU_DEP_1)
	v_lshrrev_b32_e32 v29, 1, v8
	s_cbranch_vccnz .LBB512_821
; %bb.823:                              ;   in Loop: Header=BB512_822 Depth=2
	s_delay_alu instid0(VALU_DEP_1) | instskip(SKIP_3) | instid1(VALU_DEP_2)
	v_not_b32_e32 v8, v29
	v_lshl_add_u32 v9, v29, 3, v22
	s_mov_b32 s20, 0
	s_mov_b64 s[6:7], s[8:9]
                                        ; implicit-def: $sgpr21
                                        ; implicit-def: $sgpr22
                                        ; implicit-def: $sgpr23
                                        ; implicit-def: $sgpr24
                                        ; implicit-def: $sgpr25
	v_lshl_add_u32 v8, v8, 3, v28
	ds_load_b64 v[10:11], v8
	ds_load_b64 v[30:31], v9
	s_waitcnt lgkmcnt(1)
	v_mul_lo_u32 v32, s4, v11
	v_mul_lo_u32 v33, s5, v10
	v_mad_u64_u32 v[8:9], null, s4, v10, s[10:11]
	s_waitcnt lgkmcnt(0)
	v_mul_lo_u32 v31, s4, v31
	v_mul_lo_u32 v34, s5, v30
	v_mad_u64_u32 v[10:11], null, s4, v30, s[10:11]
	s_delay_alu instid0(VALU_DEP_4) | instskip(NEXT) | instid1(VALU_DEP_2)
	v_add3_u32 v9, v33, v9, v32
	v_add3_u32 v11, v34, v11, v31
	s_set_inst_prefetch_distance 0x1
	s_branch .LBB512_825
	.p2align	6
.LBB512_824:                            ;   in Loop: Header=BB512_825 Depth=3
	s_or_b32 exec_lo, exec_lo, s3
	s_delay_alu instid0(SALU_CYCLE_1) | instskip(NEXT) | instid1(SALU_CYCLE_1)
	s_and_b32 s3, exec_lo, s22
	s_or_b32 s20, s3, s20
	s_and_not1_b32 s3, s25, exec_lo
	s_and_b32 s25, s23, exec_lo
	s_and_not1_b32 s21, s21, exec_lo
	s_and_b32 s26, s24, exec_lo
	s_or_b32 s25, s3, s25
	s_or_b32 s21, s21, s26
	s_and_not1_b32 exec_lo, exec_lo, s20
	s_cbranch_execz .LBB512_820
.LBB512_825:                            ;   Parent Loop BB512_818 Depth=1
                                        ;     Parent Loop BB512_822 Depth=2
                                        ; =>    This Inner Loop Header: Depth=3
	global_load_b64 v[30:31], v[8:9], off
	global_load_b64 v[32:33], v[10:11], off
	s_and_not1_b32 s24, s24, exec_lo
	s_and_not1_b32 s23, s23, exec_lo
	s_or_b32 s22, s22, exec_lo
	s_waitcnt vmcnt(0)
	v_cmp_le_i64_e32 vcc_lo, v[30:31], v[32:33]
	v_cmp_lt_i64_e64 s3, v[30:31], v[32:33]
	s_and_b32 s26, vcc_lo, s25
	s_delay_alu instid0(VALU_DEP_1) | instid1(SALU_CYCLE_1)
	s_or_b32 s26, s3, s26
	s_delay_alu instid0(SALU_CYCLE_1) | instskip(NEXT) | instid1(SALU_CYCLE_1)
	s_and_b32 s3, s26, exec_lo
	s_or_b32 s24, s24, s3
	s_mov_b32 s3, exec_lo
	v_cmpx_eq_u64_e64 v[30:31], v[32:33]
	s_cbranch_execz .LBB512_824
; %bb.826:                              ;   in Loop: Header=BB512_825 Depth=3
	s_add_u32 s6, s6, -1
	s_addc_u32 s7, s7, -1
	v_add_co_u32 v8, vcc_lo, v8, 8
	v_add_co_ci_u32_e32 v9, vcc_lo, 0, v9, vcc_lo
	s_cmp_eq_u64 s[6:7], 0
	v_add_co_u32 v10, vcc_lo, v10, 8
	s_cselect_b32 s25, -1, 0
	v_add_co_ci_u32_e32 v11, vcc_lo, 0, v11, vcc_lo
	s_and_not1_b32 s23, s23, exec_lo
	s_and_b32 s26, s26, exec_lo
	s_and_not1_b32 s22, s22, exec_lo
	s_and_b32 s25, s25, exec_lo
	s_and_not1_b32 s24, s24, exec_lo
	s_or_b32 s23, s23, s26
	s_or_b32 s22, s22, s25
                                        ; implicit-def: $sgpr25
	s_branch .LBB512_824
.LBB512_827:                            ;   in Loop: Header=BB512_818 Depth=1
	s_or_b32 exec_lo, exec_lo, s17
.LBB512_828:                            ;   in Loop: Header=BB512_818 Depth=1
	s_delay_alu instid0(SALU_CYCLE_1) | instskip(SKIP_2) | instid1(VALU_DEP_2)
	s_or_b32 exec_lo, exec_lo, s13
	v_sub_nc_u32_e32 v9, v24, v21
	v_add_nc_u32_e32 v8, v21, v23
	v_add_nc_u32_e32 v9, v9, v19
	s_delay_alu instid0(VALU_DEP_2) | instskip(NEXT) | instid1(VALU_DEP_2)
	v_cmp_le_u32_e32 vcc_lo, v8, v19
	v_cmp_le_u32_e64 s3, v9, v20
	s_delay_alu instid0(VALU_DEP_1) | instskip(NEXT) | instid1(SALU_CYCLE_1)
	s_or_b32 s3, vcc_lo, s3
	s_and_saveexec_b32 s13, s3
	s_cbranch_execz .LBB512_817
; %bb.829:                              ;   in Loop: Header=BB512_818 Depth=1
	v_cmp_ge_u32_e32 vcc_lo, v8, v19
	s_mov_b32 s6, exec_lo
                                        ; implicit-def: $vgpr0_vgpr1
	v_cmpx_lt_u32_e64 v8, v19
	s_cbranch_execz .LBB512_831
; %bb.830:                              ;   in Loop: Header=BB512_818 Depth=1
	v_lshl_add_u32 v0, v21, 3, v22
	ds_load_b64 v[0:1], v0
.LBB512_831:                            ;   in Loop: Header=BB512_818 Depth=1
	s_or_b32 exec_lo, exec_lo, s6
	v_cmp_ge_u32_e64 s17, v9, v20
	s_mov_b32 s6, exec_lo
                                        ; implicit-def: $vgpr2_vgpr3
	v_cmpx_lt_u32_e64 v9, v20
	s_cbranch_execz .LBB512_833
; %bb.832:                              ;   in Loop: Header=BB512_818 Depth=1
	v_lshlrev_b32_e32 v2, 3, v9
	ds_load_b64 v[2:3], v2
.LBB512_833:                            ;   in Loop: Header=BB512_818 Depth=1
	s_or_b32 exec_lo, exec_lo, s6
	s_or_b32 s3, vcc_lo, s17
	s_delay_alu instid0(SALU_CYCLE_1) | instskip(NEXT) | instid1(SALU_CYCLE_1)
	s_xor_b32 s3, s3, -1
	s_and_saveexec_b32 s20, s3
	s_cbranch_execz .LBB512_842
; %bb.834:                              ;   in Loop: Header=BB512_818 Depth=1
	s_and_not1_b32 vcc_lo, exec_lo, s16
	s_cbranch_vccnz .LBB512_840
; %bb.835:                              ;   in Loop: Header=BB512_818 Depth=1
	s_waitcnt lgkmcnt(0)
	v_mad_u64_u32 v[4:5], null, s4, v2, s[10:11]
	v_mul_lo_u32 v10, s4, v3
	v_mul_lo_u32 v11, s5, v2
	v_mad_u64_u32 v[6:7], null, s4, v0, s[10:11]
	v_mul_lo_u32 v21, s4, v1
	v_mul_lo_u32 v22, s5, v0
	s_mov_b32 s21, 0
	s_mov_b64 s[6:7], s[8:9]
                                        ; implicit-def: $sgpr22
                                        ; implicit-def: $sgpr23
                                        ; implicit-def: $sgpr24
                                        ; implicit-def: $sgpr25
                                        ; implicit-def: $sgpr26
	s_delay_alu instid0(VALU_DEP_4) | instskip(NEXT) | instid1(VALU_DEP_2)
	v_add3_u32 v5, v11, v5, v10
	v_add3_u32 v7, v22, v7, v21
	s_set_inst_prefetch_distance 0x1
	s_branch .LBB512_837
	.p2align	6
.LBB512_836:                            ;   in Loop: Header=BB512_837 Depth=2
	s_or_b32 exec_lo, exec_lo, s3
	s_delay_alu instid0(SALU_CYCLE_1) | instskip(NEXT) | instid1(SALU_CYCLE_1)
	s_and_b32 s3, exec_lo, s23
	s_or_b32 s21, s3, s21
	s_and_not1_b32 s3, s26, exec_lo
	s_and_b32 s26, s25, exec_lo
	s_and_not1_b32 s22, s22, exec_lo
	s_and_b32 s27, s24, exec_lo
	s_or_b32 s26, s3, s26
	s_or_b32 s22, s22, s27
	s_and_not1_b32 exec_lo, exec_lo, s21
	s_cbranch_execz .LBB512_839
.LBB512_837:                            ;   Parent Loop BB512_818 Depth=1
                                        ; =>  This Inner Loop Header: Depth=2
	global_load_b64 v[10:11], v[4:5], off
	global_load_b64 v[21:22], v[6:7], off
	s_and_not1_b32 s24, s24, exec_lo
	s_and_not1_b32 s25, s25, exec_lo
	s_or_b32 s23, s23, exec_lo
	s_waitcnt vmcnt(0)
	v_cmp_le_i64_e32 vcc_lo, v[10:11], v[21:22]
	v_cmp_lt_i64_e64 s3, v[10:11], v[21:22]
	s_and_b32 s27, vcc_lo, s26
	s_delay_alu instid0(VALU_DEP_1) | instid1(SALU_CYCLE_1)
	s_or_b32 s27, s3, s27
	s_delay_alu instid0(SALU_CYCLE_1) | instskip(NEXT) | instid1(SALU_CYCLE_1)
	s_and_b32 s3, s27, exec_lo
	s_or_b32 s24, s24, s3
	s_mov_b32 s3, exec_lo
	v_cmpx_eq_u64_e64 v[10:11], v[21:22]
	s_cbranch_execz .LBB512_836
; %bb.838:                              ;   in Loop: Header=BB512_837 Depth=2
	s_add_u32 s6, s6, -1
	s_addc_u32 s7, s7, -1
	v_add_co_u32 v4, vcc_lo, v4, 8
	s_cmp_eq_u64 s[6:7], 0
	v_add_co_ci_u32_e32 v5, vcc_lo, 0, v5, vcc_lo
	s_cselect_b32 s26, -1, 0
	s_and_not1_b32 s25, s25, exec_lo
	s_and_b32 s27, s27, exec_lo
	v_add_co_u32 v6, vcc_lo, v6, 8
	s_and_not1_b32 s23, s23, exec_lo
	s_and_b32 s26, s26, exec_lo
	v_add_co_ci_u32_e32 v7, vcc_lo, 0, v7, vcc_lo
	s_or_b32 s25, s25, s27
	s_and_not1_b32 s24, s24, exec_lo
	s_or_b32 s23, s23, s26
                                        ; implicit-def: $sgpr26
	s_branch .LBB512_836
.LBB512_839:                            ;   in Loop: Header=BB512_818 Depth=1
	s_set_inst_prefetch_distance 0x2
	s_or_b32 exec_lo, exec_lo, s21
	s_xor_b32 s3, s22, -1
	s_branch .LBB512_841
.LBB512_840:                            ;   in Loop: Header=BB512_818 Depth=1
	s_mov_b32 s3, -1
.LBB512_841:                            ;   in Loop: Header=BB512_818 Depth=1
	s_and_not1_b32 s6, s17, exec_lo
	s_and_b32 s3, s3, exec_lo
	s_delay_alu instid0(SALU_CYCLE_1)
	s_or_b32 s17, s6, s3
.LBB512_842:                            ;   in Loop: Header=BB512_818 Depth=1
	s_or_b32 exec_lo, exec_lo, s20
	v_cndmask_b32_e64 v4, v9, v8, s17
	v_cndmask_b32_e64 v5, v20, v19, s17
	s_mov_b32 s20, -1
	s_mov_b32 s21, -1
	s_mov_b32 s22, exec_lo
	v_add_nc_u32_e32 v6, 1, v4
	v_add_nc_u32_e32 v4, -1, v5
	s_delay_alu instid0(VALU_DEP_2) | instskip(NEXT) | instid1(VALU_DEP_2)
	v_cndmask_b32_e64 v9, v6, v9, s17
	v_min_u32_e32 v4, v6, v4
	v_cndmask_b32_e64 v8, v8, v6, s17
	s_delay_alu instid0(VALU_DEP_2)
	v_lshlrev_b32_e32 v4, 3, v4
	ds_load_b64 v[4:5], v4
	s_waitcnt lgkmcnt(0)
	v_cndmask_b32_e64 v21, v5, v3, s17
	v_cndmask_b32_e64 v22, v4, v2, s17
	;; [unrolled: 1-line block ×4, first 2 shown]
	v_cmpx_lt_u32_e64 v9, v20
	s_cbranch_execz .LBB512_853
; %bb.843:                              ;   in Loop: Header=BB512_818 Depth=1
	s_mov_b32 s3, 0
	s_mov_b32 s21, exec_lo
	v_cmpx_lt_u32_e64 v8, v19
	s_cbranch_execz .LBB512_852
; %bb.844:                              ;   in Loop: Header=BB512_818 Depth=1
	s_and_not1_b32 vcc_lo, exec_lo, s16
	s_cbranch_vccnz .LBB512_850
; %bb.845:                              ;   in Loop: Header=BB512_818 Depth=1
	v_mad_u64_u32 v[4:5], null, s4, v22, s[10:11]
	v_mul_lo_u32 v10, s4, v21
	v_mul_lo_u32 v11, s5, v22
	v_mad_u64_u32 v[6:7], null, s4, v24, s[10:11]
	v_mul_lo_u32 v25, s4, v23
	v_mul_lo_u32 v28, s5, v24
	s_mov_b32 s23, 0
	s_mov_b64 s[6:7], s[8:9]
                                        ; implicit-def: $sgpr24
                                        ; implicit-def: $sgpr25
                                        ; implicit-def: $sgpr26
                                        ; implicit-def: $sgpr27
                                        ; implicit-def: $sgpr28
	s_delay_alu instid0(VALU_DEP_4) | instskip(NEXT) | instid1(VALU_DEP_2)
	v_add3_u32 v5, v11, v5, v10
	v_add3_u32 v7, v28, v7, v25
	s_set_inst_prefetch_distance 0x1
	s_branch .LBB512_847
	.p2align	6
.LBB512_846:                            ;   in Loop: Header=BB512_847 Depth=2
	s_or_b32 exec_lo, exec_lo, s3
	s_delay_alu instid0(SALU_CYCLE_1) | instskip(NEXT) | instid1(SALU_CYCLE_1)
	s_and_b32 s3, exec_lo, s25
	s_or_b32 s23, s3, s23
	s_and_not1_b32 s3, s28, exec_lo
	s_and_b32 s28, s27, exec_lo
	s_and_not1_b32 s24, s24, exec_lo
	s_and_b32 s29, s26, exec_lo
	s_or_b32 s28, s3, s28
	s_or_b32 s24, s24, s29
	s_and_not1_b32 exec_lo, exec_lo, s23
	s_cbranch_execz .LBB512_849
.LBB512_847:                            ;   Parent Loop BB512_818 Depth=1
                                        ; =>  This Inner Loop Header: Depth=2
	global_load_b64 v[10:11], v[4:5], off
	global_load_b64 v[28:29], v[6:7], off
	s_and_not1_b32 s26, s26, exec_lo
	s_and_not1_b32 s27, s27, exec_lo
	s_or_b32 s25, s25, exec_lo
	s_waitcnt vmcnt(0)
	v_cmp_le_i64_e32 vcc_lo, v[10:11], v[28:29]
	v_cmp_lt_i64_e64 s3, v[10:11], v[28:29]
	s_and_b32 s29, vcc_lo, s28
	s_delay_alu instid0(VALU_DEP_1) | instid1(SALU_CYCLE_1)
	s_or_b32 s29, s3, s29
	s_delay_alu instid0(SALU_CYCLE_1) | instskip(NEXT) | instid1(SALU_CYCLE_1)
	s_and_b32 s3, s29, exec_lo
	s_or_b32 s26, s26, s3
	s_mov_b32 s3, exec_lo
	v_cmpx_eq_u64_e64 v[10:11], v[28:29]
	s_cbranch_execz .LBB512_846
; %bb.848:                              ;   in Loop: Header=BB512_847 Depth=2
	s_add_u32 s6, s6, -1
	s_addc_u32 s7, s7, -1
	v_add_co_u32 v4, vcc_lo, v4, 8
	s_cmp_eq_u64 s[6:7], 0
	v_add_co_ci_u32_e32 v5, vcc_lo, 0, v5, vcc_lo
	v_add_co_u32 v6, vcc_lo, v6, 8
	s_cselect_b32 s28, -1, 0
	v_add_co_ci_u32_e32 v7, vcc_lo, 0, v7, vcc_lo
	s_and_not1_b32 s27, s27, exec_lo
	s_and_b32 s29, s29, exec_lo
	s_and_not1_b32 s25, s25, exec_lo
	s_and_b32 s28, s28, exec_lo
	s_or_b32 s27, s27, s29
	s_and_not1_b32 s26, s26, exec_lo
	s_or_b32 s25, s25, s28
                                        ; implicit-def: $sgpr28
	s_branch .LBB512_846
.LBB512_849:                            ;   in Loop: Header=BB512_818 Depth=1
	s_set_inst_prefetch_distance 0x2
	s_or_b32 exec_lo, exec_lo, s23
	s_xor_b32 s3, s24, -1
	s_branch .LBB512_851
.LBB512_850:                            ;   in Loop: Header=BB512_818 Depth=1
	s_mov_b32 s3, -1
.LBB512_851:                            ;   in Loop: Header=BB512_818 Depth=1
	s_delay_alu instid0(SALU_CYCLE_1)
	s_and_b32 s3, s3, exec_lo
.LBB512_852:                            ;   in Loop: Header=BB512_818 Depth=1
	s_or_b32 exec_lo, exec_lo, s21
	s_delay_alu instid0(SALU_CYCLE_1)
	s_or_not1_b32 s21, s3, exec_lo
.LBB512_853:                            ;   in Loop: Header=BB512_818 Depth=1
	s_or_b32 exec_lo, exec_lo, s22
	v_cndmask_b32_e64 v4, v9, v8, s21
	v_cndmask_b32_e64 v5, v20, v19, s21
	s_mov_b32 s22, exec_lo
	s_delay_alu instid0(VALU_DEP_2) | instskip(NEXT) | instid1(VALU_DEP_2)
	v_add_nc_u32_e32 v6, 1, v4
	v_add_nc_u32_e32 v4, -1, v5
	s_delay_alu instid0(VALU_DEP_2) | instskip(NEXT) | instid1(VALU_DEP_2)
	v_cndmask_b32_e64 v9, v6, v9, s21
	v_min_u32_e32 v4, v6, v4
	v_cndmask_b32_e64 v8, v8, v6, s21
	s_delay_alu instid0(VALU_DEP_2)
	v_lshlrev_b32_e32 v4, 3, v4
	ds_load_b64 v[4:5], v4
	s_waitcnt lgkmcnt(0)
	v_cndmask_b32_e64 v25, v5, v21, s21
	v_cndmask_b32_e64 v28, v4, v22, s21
	;; [unrolled: 1-line block ×4, first 2 shown]
	v_cmpx_lt_u32_e64 v9, v20
	s_cbranch_execz .LBB512_864
; %bb.854:                              ;   in Loop: Header=BB512_818 Depth=1
	s_mov_b32 s3, 0
	s_mov_b32 s20, exec_lo
	v_cmpx_lt_u32_e64 v8, v19
	s_cbranch_execz .LBB512_863
; %bb.855:                              ;   in Loop: Header=BB512_818 Depth=1
	s_and_not1_b32 vcc_lo, exec_lo, s16
	s_cbranch_vccnz .LBB512_861
; %bb.856:                              ;   in Loop: Header=BB512_818 Depth=1
	v_mad_u64_u32 v[4:5], null, s4, v28, s[10:11]
	v_mul_lo_u32 v10, s4, v25
	v_mul_lo_u32 v11, s5, v28
	v_mad_u64_u32 v[6:7], null, s4, v30, s[10:11]
	v_mul_lo_u32 v31, s4, v29
	v_mul_lo_u32 v32, s5, v30
	s_mov_b32 s23, 0
	s_mov_b64 s[6:7], s[8:9]
                                        ; implicit-def: $sgpr24
                                        ; implicit-def: $sgpr25
                                        ; implicit-def: $sgpr26
                                        ; implicit-def: $sgpr27
                                        ; implicit-def: $sgpr28
	s_delay_alu instid0(VALU_DEP_4) | instskip(NEXT) | instid1(VALU_DEP_2)
	v_add3_u32 v5, v11, v5, v10
	v_add3_u32 v7, v32, v7, v31
	s_set_inst_prefetch_distance 0x1
	s_branch .LBB512_858
	.p2align	6
.LBB512_857:                            ;   in Loop: Header=BB512_858 Depth=2
	s_or_b32 exec_lo, exec_lo, s3
	s_delay_alu instid0(SALU_CYCLE_1) | instskip(NEXT) | instid1(SALU_CYCLE_1)
	s_and_b32 s3, exec_lo, s25
	s_or_b32 s23, s3, s23
	s_and_not1_b32 s3, s28, exec_lo
	s_and_b32 s28, s27, exec_lo
	s_and_not1_b32 s24, s24, exec_lo
	s_and_b32 s29, s26, exec_lo
	s_or_b32 s28, s3, s28
	s_or_b32 s24, s24, s29
	s_and_not1_b32 exec_lo, exec_lo, s23
	s_cbranch_execz .LBB512_860
.LBB512_858:                            ;   Parent Loop BB512_818 Depth=1
                                        ; =>  This Inner Loop Header: Depth=2
	global_load_b64 v[10:11], v[4:5], off
	global_load_b64 v[31:32], v[6:7], off
	s_and_not1_b32 s26, s26, exec_lo
	s_and_not1_b32 s27, s27, exec_lo
	s_or_b32 s25, s25, exec_lo
	s_waitcnt vmcnt(0)
	v_cmp_le_i64_e32 vcc_lo, v[10:11], v[31:32]
	v_cmp_lt_i64_e64 s3, v[10:11], v[31:32]
	s_and_b32 s29, vcc_lo, s28
	s_delay_alu instid0(VALU_DEP_1) | instid1(SALU_CYCLE_1)
	s_or_b32 s29, s3, s29
	s_delay_alu instid0(SALU_CYCLE_1) | instskip(NEXT) | instid1(SALU_CYCLE_1)
	s_and_b32 s3, s29, exec_lo
	s_or_b32 s26, s26, s3
	s_mov_b32 s3, exec_lo
	v_cmpx_eq_u64_e64 v[10:11], v[31:32]
	s_cbranch_execz .LBB512_857
; %bb.859:                              ;   in Loop: Header=BB512_858 Depth=2
	s_add_u32 s6, s6, -1
	s_addc_u32 s7, s7, -1
	v_add_co_u32 v4, vcc_lo, v4, 8
	s_cmp_eq_u64 s[6:7], 0
	v_add_co_ci_u32_e32 v5, vcc_lo, 0, v5, vcc_lo
	v_add_co_u32 v6, vcc_lo, v6, 8
	s_cselect_b32 s28, -1, 0
	v_add_co_ci_u32_e32 v7, vcc_lo, 0, v7, vcc_lo
	s_and_not1_b32 s27, s27, exec_lo
	s_and_b32 s29, s29, exec_lo
	s_and_not1_b32 s25, s25, exec_lo
	s_and_b32 s28, s28, exec_lo
	s_or_b32 s27, s27, s29
	s_and_not1_b32 s26, s26, exec_lo
	s_or_b32 s25, s25, s28
                                        ; implicit-def: $sgpr28
	s_branch .LBB512_857
.LBB512_860:                            ;   in Loop: Header=BB512_818 Depth=1
	s_set_inst_prefetch_distance 0x2
	s_or_b32 exec_lo, exec_lo, s23
	s_xor_b32 s3, s24, -1
	s_branch .LBB512_862
.LBB512_861:                            ;   in Loop: Header=BB512_818 Depth=1
	s_mov_b32 s3, -1
.LBB512_862:                            ;   in Loop: Header=BB512_818 Depth=1
	s_delay_alu instid0(SALU_CYCLE_1)
	s_and_b32 s3, s3, exec_lo
.LBB512_863:                            ;   in Loop: Header=BB512_818 Depth=1
	s_or_b32 exec_lo, exec_lo, s20
	s_delay_alu instid0(SALU_CYCLE_1)
	s_or_not1_b32 s20, s3, exec_lo
.LBB512_864:                            ;   in Loop: Header=BB512_818 Depth=1
	s_or_b32 exec_lo, exec_lo, s22
	v_cndmask_b32_e64 v4, v9, v8, s20
	v_cndmask_b32_e64 v5, v20, v19, s20
	s_mov_b32 s22, exec_lo
	s_delay_alu instid0(VALU_DEP_2) | instskip(NEXT) | instid1(VALU_DEP_2)
	v_add_nc_u32_e32 v10, 1, v4
	v_add_nc_u32_e32 v4, -1, v5
	s_delay_alu instid0(VALU_DEP_2) | instskip(NEXT) | instid1(VALU_DEP_2)
	v_cndmask_b32_e64 v9, v10, v9, s20
	v_min_u32_e32 v4, v10, v4
	s_delay_alu instid0(VALU_DEP_1)
	v_lshlrev_b32_e32 v4, 3, v4
	ds_load_b64 v[4:5], v4
	s_waitcnt lgkmcnt(0)
	v_cndmask_b32_e64 v7, v29, v5, s20
	v_cndmask_b32_e64 v6, v30, v4, s20
	v_cmpx_lt_u32_e64 v9, v20
	s_cbranch_execz .LBB512_816
; %bb.865:                              ;   in Loop: Header=BB512_818 Depth=1
	v_cndmask_b32_e64 v8, v8, v10, s20
	v_cndmask_b32_e64 v5, v5, v25, s20
	;; [unrolled: 1-line block ×3, first 2 shown]
	s_mov_b32 s23, exec_lo
	s_delay_alu instid0(VALU_DEP_3)
	v_cmpx_lt_u32_e64 v8, v19
	s_cbranch_execz .LBB512_815
; %bb.866:                              ;   in Loop: Header=BB512_818 Depth=1
	s_and_not1_b32 vcc_lo, exec_lo, s16
	s_cbranch_vccnz .LBB512_814
; %bb.867:                              ;   in Loop: Header=BB512_818 Depth=1
	v_mad_u64_u32 v[8:9], null, s4, v4, s[10:11]
	v_mul_lo_u32 v19, s4, v5
	v_mul_lo_u32 v20, s5, v4
	v_mad_u64_u32 v[10:11], null, s4, v6, s[10:11]
	v_mul_lo_u32 v31, s4, v7
	v_mul_lo_u32 v32, s5, v6
	s_mov_b32 s24, 0
	s_mov_b64 s[6:7], s[8:9]
                                        ; implicit-def: $sgpr25
                                        ; implicit-def: $sgpr26
                                        ; implicit-def: $sgpr27
                                        ; implicit-def: $sgpr28
                                        ; implicit-def: $sgpr29
	s_delay_alu instid0(VALU_DEP_4) | instskip(NEXT) | instid1(VALU_DEP_2)
	v_add3_u32 v9, v20, v9, v19
	v_add3_u32 v11, v32, v11, v31
	s_set_inst_prefetch_distance 0x1
	s_branch .LBB512_869
	.p2align	6
.LBB512_868:                            ;   in Loop: Header=BB512_869 Depth=2
	s_or_b32 exec_lo, exec_lo, s3
	s_delay_alu instid0(SALU_CYCLE_1) | instskip(NEXT) | instid1(SALU_CYCLE_1)
	s_and_b32 s3, exec_lo, s26
	s_or_b32 s24, s3, s24
	s_and_not1_b32 s3, s29, exec_lo
	s_and_b32 s29, s28, exec_lo
	s_and_not1_b32 s25, s25, exec_lo
	s_and_b32 s30, s27, exec_lo
	s_or_b32 s29, s3, s29
	s_or_b32 s25, s25, s30
	s_and_not1_b32 exec_lo, exec_lo, s24
	s_cbranch_execz .LBB512_813
.LBB512_869:                            ;   Parent Loop BB512_818 Depth=1
                                        ; =>  This Inner Loop Header: Depth=2
	global_load_b64 v[19:20], v[8:9], off
	global_load_b64 v[31:32], v[10:11], off
	s_and_not1_b32 s27, s27, exec_lo
	s_and_not1_b32 s28, s28, exec_lo
	s_or_b32 s26, s26, exec_lo
	s_waitcnt vmcnt(0)
	v_cmp_le_i64_e32 vcc_lo, v[19:20], v[31:32]
	v_cmp_lt_i64_e64 s3, v[19:20], v[31:32]
	s_and_b32 s30, vcc_lo, s29
	s_delay_alu instid0(VALU_DEP_1) | instid1(SALU_CYCLE_1)
	s_or_b32 s30, s3, s30
	s_delay_alu instid0(SALU_CYCLE_1) | instskip(NEXT) | instid1(SALU_CYCLE_1)
	s_and_b32 s3, s30, exec_lo
	s_or_b32 s27, s27, s3
	s_mov_b32 s3, exec_lo
	v_cmpx_eq_u64_e64 v[19:20], v[31:32]
	s_cbranch_execz .LBB512_868
; %bb.870:                              ;   in Loop: Header=BB512_869 Depth=2
	s_add_u32 s6, s6, -1
	s_addc_u32 s7, s7, -1
	v_add_co_u32 v8, vcc_lo, v8, 8
	s_cmp_eq_u64 s[6:7], 0
	v_add_co_ci_u32_e32 v9, vcc_lo, 0, v9, vcc_lo
	v_add_co_u32 v10, vcc_lo, v10, 8
	s_cselect_b32 s29, -1, 0
	v_add_co_ci_u32_e32 v11, vcc_lo, 0, v11, vcc_lo
	s_and_not1_b32 s28, s28, exec_lo
	s_and_b32 s30, s30, exec_lo
	s_and_not1_b32 s26, s26, exec_lo
	s_and_b32 s29, s29, exec_lo
	s_or_b32 s28, s28, s30
	s_and_not1_b32 s27, s27, exec_lo
	s_or_b32 s26, s26, s29
                                        ; implicit-def: $sgpr29
	s_branch .LBB512_868
.LBB512_871:
	s_barrier
	buffer_gl0_inv
	ds_store_2addr_b64 v17, v[0:1], v[2:3] offset1:1
	ds_store_2addr_b64 v17, v[4:5], v[6:7] offset0:2 offset1:3
	s_waitcnt lgkmcnt(0)
	s_barrier
	buffer_gl0_inv
	ds_load_b64 v[6:7], v13 offset:2048
	ds_load_b64 v[2:3], v15 offset:4096
	;; [unrolled: 1-line block ×3, first 2 shown]
	v_add_co_u32 v4, s3, s14, v26
	v_mov_b32_e32 v13, 0
	v_add_co_ci_u32_e64 v5, null, s15, 0, s3
	s_and_saveexec_b32 s3, s0
	s_cbranch_execnz .LBB512_879
; %bb.872:
	s_or_b32 exec_lo, exec_lo, s3
	s_and_saveexec_b32 s0, s1
	s_cbranch_execnz .LBB512_880
.LBB512_873:
	s_or_b32 exec_lo, exec_lo, s0
	s_and_saveexec_b32 s0, s2
	s_cbranch_execz .LBB512_875
.LBB512_874:
	v_add_co_u32 v4, vcc_lo, 0x1000, v4
	v_add_co_ci_u32_e32 v5, vcc_lo, 0, v5, vcc_lo
	s_waitcnt lgkmcnt(1)
	global_store_b64 v[4:5], v[2:3], off
.LBB512_875:
	s_or_b32 exec_lo, exec_lo, s0
.LBB512_876:
	s_and_saveexec_b32 s0, s19
	s_cbranch_execz .LBB512_878
; %bb.877:
	s_waitcnt lgkmcnt(1)
	v_lshlrev_b64 v[2:3], 3, v[12:13]
	s_delay_alu instid0(VALU_DEP_1) | instskip(NEXT) | instid1(VALU_DEP_2)
	v_add_co_u32 v2, vcc_lo, s14, v2
	v_add_co_ci_u32_e32 v3, vcc_lo, s15, v3, vcc_lo
	s_delay_alu instid0(VALU_DEP_2) | instskip(NEXT) | instid1(VALU_DEP_2)
	v_add_co_u32 v2, vcc_lo, 0x1000, v2
	v_add_co_ci_u32_e32 v3, vcc_lo, 0, v3, vcc_lo
	s_waitcnt lgkmcnt(0)
	global_store_b64 v[2:3], v[0:1], off offset:2048
.LBB512_878:
	s_nop 0
	s_sendmsg sendmsg(MSG_DEALLOC_VGPRS)
	s_endpgm
.LBB512_879:
	ds_load_b64 v[8:9], v14
	s_waitcnt lgkmcnt(0)
	global_store_b64 v[4:5], v[8:9], off
	s_or_b32 exec_lo, exec_lo, s3
	s_and_saveexec_b32 s0, s1
	s_cbranch_execz .LBB512_873
.LBB512_880:
	s_waitcnt lgkmcnt(2)
	global_store_b64 v[4:5], v[6:7], off offset:2048
	s_or_b32 exec_lo, exec_lo, s0
	s_and_saveexec_b32 s0, s2
	s_cbranch_execnz .LBB512_874
	s_branch .LBB512_875
	.section	.rodata,"a",@progbits
	.p2align	6, 0x0
	.amdhsa_kernel _ZN7rocprim17ROCPRIM_400000_NS6detail17trampoline_kernelINS0_14default_configENS1_37merge_sort_block_sort_config_selectorIlNS0_10empty_typeEEEZNS1_21merge_sort_block_sortIS3_PlS8_PS5_S9_ZN2at6native12_GLOBAL__N_124unique_dim_cuda_templateIlEESt5tupleIJNSA_6TensorESF_SF_EERKSF_lbbbEUlllE_EE10hipError_tT0_T1_T2_T3_mRjT4_P12ihipStream_tbNS1_7vsmem_tEEUlT_E_NS1_11comp_targetILNS1_3genE9ELNS1_11target_archE1100ELNS1_3gpuE3ELNS1_3repE0EEENS1_30default_config_static_selectorELNS0_4arch9wavefront6targetE0EEEvSM_
		.amdhsa_group_segment_fixed_size 8448
		.amdhsa_private_segment_fixed_size 0
		.amdhsa_kernarg_size 328
		.amdhsa_user_sgpr_count 13
		.amdhsa_user_sgpr_dispatch_ptr 0
		.amdhsa_user_sgpr_queue_ptr 0
		.amdhsa_user_sgpr_kernarg_segment_ptr 1
		.amdhsa_user_sgpr_dispatch_id 0
		.amdhsa_user_sgpr_private_segment_size 0
		.amdhsa_wavefront_size32 1
		.amdhsa_uses_dynamic_stack 0
		.amdhsa_enable_private_segment 0
		.amdhsa_system_sgpr_workgroup_id_x 1
		.amdhsa_system_sgpr_workgroup_id_y 1
		.amdhsa_system_sgpr_workgroup_id_z 1
		.amdhsa_system_sgpr_workgroup_info 0
		.amdhsa_system_vgpr_workitem_id 2
		.amdhsa_next_free_vgpr 49
		.amdhsa_next_free_sgpr 32
		.amdhsa_reserve_vcc 1
		.amdhsa_float_round_mode_32 0
		.amdhsa_float_round_mode_16_64 0
		.amdhsa_float_denorm_mode_32 3
		.amdhsa_float_denorm_mode_16_64 3
		.amdhsa_dx10_clamp 1
		.amdhsa_ieee_mode 1
		.amdhsa_fp16_overflow 0
		.amdhsa_workgroup_processor_mode 1
		.amdhsa_memory_ordered 1
		.amdhsa_forward_progress 0
		.amdhsa_shared_vgpr_count 0
		.amdhsa_exception_fp_ieee_invalid_op 0
		.amdhsa_exception_fp_denorm_src 0
		.amdhsa_exception_fp_ieee_div_zero 0
		.amdhsa_exception_fp_ieee_overflow 0
		.amdhsa_exception_fp_ieee_underflow 0
		.amdhsa_exception_fp_ieee_inexact 0
		.amdhsa_exception_int_div_zero 0
	.end_amdhsa_kernel
	.section	.text._ZN7rocprim17ROCPRIM_400000_NS6detail17trampoline_kernelINS0_14default_configENS1_37merge_sort_block_sort_config_selectorIlNS0_10empty_typeEEEZNS1_21merge_sort_block_sortIS3_PlS8_PS5_S9_ZN2at6native12_GLOBAL__N_124unique_dim_cuda_templateIlEESt5tupleIJNSA_6TensorESF_SF_EERKSF_lbbbEUlllE_EE10hipError_tT0_T1_T2_T3_mRjT4_P12ihipStream_tbNS1_7vsmem_tEEUlT_E_NS1_11comp_targetILNS1_3genE9ELNS1_11target_archE1100ELNS1_3gpuE3ELNS1_3repE0EEENS1_30default_config_static_selectorELNS0_4arch9wavefront6targetE0EEEvSM_,"axG",@progbits,_ZN7rocprim17ROCPRIM_400000_NS6detail17trampoline_kernelINS0_14default_configENS1_37merge_sort_block_sort_config_selectorIlNS0_10empty_typeEEEZNS1_21merge_sort_block_sortIS3_PlS8_PS5_S9_ZN2at6native12_GLOBAL__N_124unique_dim_cuda_templateIlEESt5tupleIJNSA_6TensorESF_SF_EERKSF_lbbbEUlllE_EE10hipError_tT0_T1_T2_T3_mRjT4_P12ihipStream_tbNS1_7vsmem_tEEUlT_E_NS1_11comp_targetILNS1_3genE9ELNS1_11target_archE1100ELNS1_3gpuE3ELNS1_3repE0EEENS1_30default_config_static_selectorELNS0_4arch9wavefront6targetE0EEEvSM_,comdat
.Lfunc_end512:
	.size	_ZN7rocprim17ROCPRIM_400000_NS6detail17trampoline_kernelINS0_14default_configENS1_37merge_sort_block_sort_config_selectorIlNS0_10empty_typeEEEZNS1_21merge_sort_block_sortIS3_PlS8_PS5_S9_ZN2at6native12_GLOBAL__N_124unique_dim_cuda_templateIlEESt5tupleIJNSA_6TensorESF_SF_EERKSF_lbbbEUlllE_EE10hipError_tT0_T1_T2_T3_mRjT4_P12ihipStream_tbNS1_7vsmem_tEEUlT_E_NS1_11comp_targetILNS1_3genE9ELNS1_11target_archE1100ELNS1_3gpuE3ELNS1_3repE0EEENS1_30default_config_static_selectorELNS0_4arch9wavefront6targetE0EEEvSM_, .Lfunc_end512-_ZN7rocprim17ROCPRIM_400000_NS6detail17trampoline_kernelINS0_14default_configENS1_37merge_sort_block_sort_config_selectorIlNS0_10empty_typeEEEZNS1_21merge_sort_block_sortIS3_PlS8_PS5_S9_ZN2at6native12_GLOBAL__N_124unique_dim_cuda_templateIlEESt5tupleIJNSA_6TensorESF_SF_EERKSF_lbbbEUlllE_EE10hipError_tT0_T1_T2_T3_mRjT4_P12ihipStream_tbNS1_7vsmem_tEEUlT_E_NS1_11comp_targetILNS1_3genE9ELNS1_11target_archE1100ELNS1_3gpuE3ELNS1_3repE0EEENS1_30default_config_static_selectorELNS0_4arch9wavefront6targetE0EEEvSM_
                                        ; -- End function
	.section	.AMDGPU.csdata,"",@progbits
; Kernel info:
; codeLenInByte = 42940
; NumSgprs: 34
; NumVgprs: 49
; ScratchSize: 0
; MemoryBound: 0
; FloatMode: 240
; IeeeMode: 1
; LDSByteSize: 8448 bytes/workgroup (compile time only)
; SGPRBlocks: 4
; VGPRBlocks: 6
; NumSGPRsForWavesPerEU: 34
; NumVGPRsForWavesPerEU: 49
; Occupancy: 16
; WaveLimiterHint : 1
; COMPUTE_PGM_RSRC2:SCRATCH_EN: 0
; COMPUTE_PGM_RSRC2:USER_SGPR: 13
; COMPUTE_PGM_RSRC2:TRAP_HANDLER: 0
; COMPUTE_PGM_RSRC2:TGID_X_EN: 1
; COMPUTE_PGM_RSRC2:TGID_Y_EN: 1
; COMPUTE_PGM_RSRC2:TGID_Z_EN: 1
; COMPUTE_PGM_RSRC2:TIDIG_COMP_CNT: 2
	.section	.text._ZN7rocprim17ROCPRIM_400000_NS6detail17trampoline_kernelINS0_14default_configENS1_37merge_sort_block_sort_config_selectorIlNS0_10empty_typeEEEZNS1_21merge_sort_block_sortIS3_PlS8_PS5_S9_ZN2at6native12_GLOBAL__N_124unique_dim_cuda_templateIlEESt5tupleIJNSA_6TensorESF_SF_EERKSF_lbbbEUlllE_EE10hipError_tT0_T1_T2_T3_mRjT4_P12ihipStream_tbNS1_7vsmem_tEEUlT_E_NS1_11comp_targetILNS1_3genE8ELNS1_11target_archE1030ELNS1_3gpuE2ELNS1_3repE0EEENS1_30default_config_static_selectorELNS0_4arch9wavefront6targetE0EEEvSM_,"axG",@progbits,_ZN7rocprim17ROCPRIM_400000_NS6detail17trampoline_kernelINS0_14default_configENS1_37merge_sort_block_sort_config_selectorIlNS0_10empty_typeEEEZNS1_21merge_sort_block_sortIS3_PlS8_PS5_S9_ZN2at6native12_GLOBAL__N_124unique_dim_cuda_templateIlEESt5tupleIJNSA_6TensorESF_SF_EERKSF_lbbbEUlllE_EE10hipError_tT0_T1_T2_T3_mRjT4_P12ihipStream_tbNS1_7vsmem_tEEUlT_E_NS1_11comp_targetILNS1_3genE8ELNS1_11target_archE1030ELNS1_3gpuE2ELNS1_3repE0EEENS1_30default_config_static_selectorELNS0_4arch9wavefront6targetE0EEEvSM_,comdat
	.globl	_ZN7rocprim17ROCPRIM_400000_NS6detail17trampoline_kernelINS0_14default_configENS1_37merge_sort_block_sort_config_selectorIlNS0_10empty_typeEEEZNS1_21merge_sort_block_sortIS3_PlS8_PS5_S9_ZN2at6native12_GLOBAL__N_124unique_dim_cuda_templateIlEESt5tupleIJNSA_6TensorESF_SF_EERKSF_lbbbEUlllE_EE10hipError_tT0_T1_T2_T3_mRjT4_P12ihipStream_tbNS1_7vsmem_tEEUlT_E_NS1_11comp_targetILNS1_3genE8ELNS1_11target_archE1030ELNS1_3gpuE2ELNS1_3repE0EEENS1_30default_config_static_selectorELNS0_4arch9wavefront6targetE0EEEvSM_ ; -- Begin function _ZN7rocprim17ROCPRIM_400000_NS6detail17trampoline_kernelINS0_14default_configENS1_37merge_sort_block_sort_config_selectorIlNS0_10empty_typeEEEZNS1_21merge_sort_block_sortIS3_PlS8_PS5_S9_ZN2at6native12_GLOBAL__N_124unique_dim_cuda_templateIlEESt5tupleIJNSA_6TensorESF_SF_EERKSF_lbbbEUlllE_EE10hipError_tT0_T1_T2_T3_mRjT4_P12ihipStream_tbNS1_7vsmem_tEEUlT_E_NS1_11comp_targetILNS1_3genE8ELNS1_11target_archE1030ELNS1_3gpuE2ELNS1_3repE0EEENS1_30default_config_static_selectorELNS0_4arch9wavefront6targetE0EEEvSM_
	.p2align	8
	.type	_ZN7rocprim17ROCPRIM_400000_NS6detail17trampoline_kernelINS0_14default_configENS1_37merge_sort_block_sort_config_selectorIlNS0_10empty_typeEEEZNS1_21merge_sort_block_sortIS3_PlS8_PS5_S9_ZN2at6native12_GLOBAL__N_124unique_dim_cuda_templateIlEESt5tupleIJNSA_6TensorESF_SF_EERKSF_lbbbEUlllE_EE10hipError_tT0_T1_T2_T3_mRjT4_P12ihipStream_tbNS1_7vsmem_tEEUlT_E_NS1_11comp_targetILNS1_3genE8ELNS1_11target_archE1030ELNS1_3gpuE2ELNS1_3repE0EEENS1_30default_config_static_selectorELNS0_4arch9wavefront6targetE0EEEvSM_,@function
_ZN7rocprim17ROCPRIM_400000_NS6detail17trampoline_kernelINS0_14default_configENS1_37merge_sort_block_sort_config_selectorIlNS0_10empty_typeEEEZNS1_21merge_sort_block_sortIS3_PlS8_PS5_S9_ZN2at6native12_GLOBAL__N_124unique_dim_cuda_templateIlEESt5tupleIJNSA_6TensorESF_SF_EERKSF_lbbbEUlllE_EE10hipError_tT0_T1_T2_T3_mRjT4_P12ihipStream_tbNS1_7vsmem_tEEUlT_E_NS1_11comp_targetILNS1_3genE8ELNS1_11target_archE1030ELNS1_3gpuE2ELNS1_3repE0EEENS1_30default_config_static_selectorELNS0_4arch9wavefront6targetE0EEEvSM_: ; @_ZN7rocprim17ROCPRIM_400000_NS6detail17trampoline_kernelINS0_14default_configENS1_37merge_sort_block_sort_config_selectorIlNS0_10empty_typeEEEZNS1_21merge_sort_block_sortIS3_PlS8_PS5_S9_ZN2at6native12_GLOBAL__N_124unique_dim_cuda_templateIlEESt5tupleIJNSA_6TensorESF_SF_EERKSF_lbbbEUlllE_EE10hipError_tT0_T1_T2_T3_mRjT4_P12ihipStream_tbNS1_7vsmem_tEEUlT_E_NS1_11comp_targetILNS1_3genE8ELNS1_11target_archE1030ELNS1_3gpuE2ELNS1_3repE0EEENS1_30default_config_static_selectorELNS0_4arch9wavefront6targetE0EEEvSM_
; %bb.0:
	.section	.rodata,"a",@progbits
	.p2align	6, 0x0
	.amdhsa_kernel _ZN7rocprim17ROCPRIM_400000_NS6detail17trampoline_kernelINS0_14default_configENS1_37merge_sort_block_sort_config_selectorIlNS0_10empty_typeEEEZNS1_21merge_sort_block_sortIS3_PlS8_PS5_S9_ZN2at6native12_GLOBAL__N_124unique_dim_cuda_templateIlEESt5tupleIJNSA_6TensorESF_SF_EERKSF_lbbbEUlllE_EE10hipError_tT0_T1_T2_T3_mRjT4_P12ihipStream_tbNS1_7vsmem_tEEUlT_E_NS1_11comp_targetILNS1_3genE8ELNS1_11target_archE1030ELNS1_3gpuE2ELNS1_3repE0EEENS1_30default_config_static_selectorELNS0_4arch9wavefront6targetE0EEEvSM_
		.amdhsa_group_segment_fixed_size 0
		.amdhsa_private_segment_fixed_size 0
		.amdhsa_kernarg_size 72
		.amdhsa_user_sgpr_count 15
		.amdhsa_user_sgpr_dispatch_ptr 0
		.amdhsa_user_sgpr_queue_ptr 0
		.amdhsa_user_sgpr_kernarg_segment_ptr 1
		.amdhsa_user_sgpr_dispatch_id 0
		.amdhsa_user_sgpr_private_segment_size 0
		.amdhsa_wavefront_size32 1
		.amdhsa_uses_dynamic_stack 0
		.amdhsa_enable_private_segment 0
		.amdhsa_system_sgpr_workgroup_id_x 1
		.amdhsa_system_sgpr_workgroup_id_y 0
		.amdhsa_system_sgpr_workgroup_id_z 0
		.amdhsa_system_sgpr_workgroup_info 0
		.amdhsa_system_vgpr_workitem_id 0
		.amdhsa_next_free_vgpr 1
		.amdhsa_next_free_sgpr 1
		.amdhsa_reserve_vcc 0
		.amdhsa_float_round_mode_32 0
		.amdhsa_float_round_mode_16_64 0
		.amdhsa_float_denorm_mode_32 3
		.amdhsa_float_denorm_mode_16_64 3
		.amdhsa_dx10_clamp 1
		.amdhsa_ieee_mode 1
		.amdhsa_fp16_overflow 0
		.amdhsa_workgroup_processor_mode 1
		.amdhsa_memory_ordered 1
		.amdhsa_forward_progress 0
		.amdhsa_shared_vgpr_count 0
		.amdhsa_exception_fp_ieee_invalid_op 0
		.amdhsa_exception_fp_denorm_src 0
		.amdhsa_exception_fp_ieee_div_zero 0
		.amdhsa_exception_fp_ieee_overflow 0
		.amdhsa_exception_fp_ieee_underflow 0
		.amdhsa_exception_fp_ieee_inexact 0
		.amdhsa_exception_int_div_zero 0
	.end_amdhsa_kernel
	.section	.text._ZN7rocprim17ROCPRIM_400000_NS6detail17trampoline_kernelINS0_14default_configENS1_37merge_sort_block_sort_config_selectorIlNS0_10empty_typeEEEZNS1_21merge_sort_block_sortIS3_PlS8_PS5_S9_ZN2at6native12_GLOBAL__N_124unique_dim_cuda_templateIlEESt5tupleIJNSA_6TensorESF_SF_EERKSF_lbbbEUlllE_EE10hipError_tT0_T1_T2_T3_mRjT4_P12ihipStream_tbNS1_7vsmem_tEEUlT_E_NS1_11comp_targetILNS1_3genE8ELNS1_11target_archE1030ELNS1_3gpuE2ELNS1_3repE0EEENS1_30default_config_static_selectorELNS0_4arch9wavefront6targetE0EEEvSM_,"axG",@progbits,_ZN7rocprim17ROCPRIM_400000_NS6detail17trampoline_kernelINS0_14default_configENS1_37merge_sort_block_sort_config_selectorIlNS0_10empty_typeEEEZNS1_21merge_sort_block_sortIS3_PlS8_PS5_S9_ZN2at6native12_GLOBAL__N_124unique_dim_cuda_templateIlEESt5tupleIJNSA_6TensorESF_SF_EERKSF_lbbbEUlllE_EE10hipError_tT0_T1_T2_T3_mRjT4_P12ihipStream_tbNS1_7vsmem_tEEUlT_E_NS1_11comp_targetILNS1_3genE8ELNS1_11target_archE1030ELNS1_3gpuE2ELNS1_3repE0EEENS1_30default_config_static_selectorELNS0_4arch9wavefront6targetE0EEEvSM_,comdat
.Lfunc_end513:
	.size	_ZN7rocprim17ROCPRIM_400000_NS6detail17trampoline_kernelINS0_14default_configENS1_37merge_sort_block_sort_config_selectorIlNS0_10empty_typeEEEZNS1_21merge_sort_block_sortIS3_PlS8_PS5_S9_ZN2at6native12_GLOBAL__N_124unique_dim_cuda_templateIlEESt5tupleIJNSA_6TensorESF_SF_EERKSF_lbbbEUlllE_EE10hipError_tT0_T1_T2_T3_mRjT4_P12ihipStream_tbNS1_7vsmem_tEEUlT_E_NS1_11comp_targetILNS1_3genE8ELNS1_11target_archE1030ELNS1_3gpuE2ELNS1_3repE0EEENS1_30default_config_static_selectorELNS0_4arch9wavefront6targetE0EEEvSM_, .Lfunc_end513-_ZN7rocprim17ROCPRIM_400000_NS6detail17trampoline_kernelINS0_14default_configENS1_37merge_sort_block_sort_config_selectorIlNS0_10empty_typeEEEZNS1_21merge_sort_block_sortIS3_PlS8_PS5_S9_ZN2at6native12_GLOBAL__N_124unique_dim_cuda_templateIlEESt5tupleIJNSA_6TensorESF_SF_EERKSF_lbbbEUlllE_EE10hipError_tT0_T1_T2_T3_mRjT4_P12ihipStream_tbNS1_7vsmem_tEEUlT_E_NS1_11comp_targetILNS1_3genE8ELNS1_11target_archE1030ELNS1_3gpuE2ELNS1_3repE0EEENS1_30default_config_static_selectorELNS0_4arch9wavefront6targetE0EEEvSM_
                                        ; -- End function
	.section	.AMDGPU.csdata,"",@progbits
; Kernel info:
; codeLenInByte = 0
; NumSgprs: 0
; NumVgprs: 0
; ScratchSize: 0
; MemoryBound: 0
; FloatMode: 240
; IeeeMode: 1
; LDSByteSize: 0 bytes/workgroup (compile time only)
; SGPRBlocks: 0
; VGPRBlocks: 0
; NumSGPRsForWavesPerEU: 1
; NumVGPRsForWavesPerEU: 1
; Occupancy: 16
; WaveLimiterHint : 0
; COMPUTE_PGM_RSRC2:SCRATCH_EN: 0
; COMPUTE_PGM_RSRC2:USER_SGPR: 15
; COMPUTE_PGM_RSRC2:TRAP_HANDLER: 0
; COMPUTE_PGM_RSRC2:TGID_X_EN: 1
; COMPUTE_PGM_RSRC2:TGID_Y_EN: 0
; COMPUTE_PGM_RSRC2:TGID_Z_EN: 0
; COMPUTE_PGM_RSRC2:TIDIG_COMP_CNT: 0
	.section	.text._ZN7rocprim17ROCPRIM_400000_NS6detail17trampoline_kernelINS0_14default_configENS1_38merge_sort_block_merge_config_selectorIlNS0_10empty_typeEEEZZNS1_27merge_sort_block_merge_implIS3_PlPS5_mZN2at6native12_GLOBAL__N_124unique_dim_cuda_templateIlEESt5tupleIJNSA_6TensorESF_SF_EERKSF_lbbbEUlllE_EE10hipError_tT0_T1_T2_jT3_P12ihipStream_tbPNSt15iterator_traitsISL_E10value_typeEPNSR_ISM_E10value_typeEPSN_NS1_7vsmem_tEENKUlT_SL_SM_SN_E_clIS8_S8_S9_S9_EESK_S10_SL_SM_SN_EUlS10_E_NS1_11comp_targetILNS1_3genE0ELNS1_11target_archE4294967295ELNS1_3gpuE0ELNS1_3repE0EEENS1_48merge_mergepath_partition_config_static_selectorELNS0_4arch9wavefront6targetE0EEEvSM_,"axG",@progbits,_ZN7rocprim17ROCPRIM_400000_NS6detail17trampoline_kernelINS0_14default_configENS1_38merge_sort_block_merge_config_selectorIlNS0_10empty_typeEEEZZNS1_27merge_sort_block_merge_implIS3_PlPS5_mZN2at6native12_GLOBAL__N_124unique_dim_cuda_templateIlEESt5tupleIJNSA_6TensorESF_SF_EERKSF_lbbbEUlllE_EE10hipError_tT0_T1_T2_jT3_P12ihipStream_tbPNSt15iterator_traitsISL_E10value_typeEPNSR_ISM_E10value_typeEPSN_NS1_7vsmem_tEENKUlT_SL_SM_SN_E_clIS8_S8_S9_S9_EESK_S10_SL_SM_SN_EUlS10_E_NS1_11comp_targetILNS1_3genE0ELNS1_11target_archE4294967295ELNS1_3gpuE0ELNS1_3repE0EEENS1_48merge_mergepath_partition_config_static_selectorELNS0_4arch9wavefront6targetE0EEEvSM_,comdat
	.globl	_ZN7rocprim17ROCPRIM_400000_NS6detail17trampoline_kernelINS0_14default_configENS1_38merge_sort_block_merge_config_selectorIlNS0_10empty_typeEEEZZNS1_27merge_sort_block_merge_implIS3_PlPS5_mZN2at6native12_GLOBAL__N_124unique_dim_cuda_templateIlEESt5tupleIJNSA_6TensorESF_SF_EERKSF_lbbbEUlllE_EE10hipError_tT0_T1_T2_jT3_P12ihipStream_tbPNSt15iterator_traitsISL_E10value_typeEPNSR_ISM_E10value_typeEPSN_NS1_7vsmem_tEENKUlT_SL_SM_SN_E_clIS8_S8_S9_S9_EESK_S10_SL_SM_SN_EUlS10_E_NS1_11comp_targetILNS1_3genE0ELNS1_11target_archE4294967295ELNS1_3gpuE0ELNS1_3repE0EEENS1_48merge_mergepath_partition_config_static_selectorELNS0_4arch9wavefront6targetE0EEEvSM_ ; -- Begin function _ZN7rocprim17ROCPRIM_400000_NS6detail17trampoline_kernelINS0_14default_configENS1_38merge_sort_block_merge_config_selectorIlNS0_10empty_typeEEEZZNS1_27merge_sort_block_merge_implIS3_PlPS5_mZN2at6native12_GLOBAL__N_124unique_dim_cuda_templateIlEESt5tupleIJNSA_6TensorESF_SF_EERKSF_lbbbEUlllE_EE10hipError_tT0_T1_T2_jT3_P12ihipStream_tbPNSt15iterator_traitsISL_E10value_typeEPNSR_ISM_E10value_typeEPSN_NS1_7vsmem_tEENKUlT_SL_SM_SN_E_clIS8_S8_S9_S9_EESK_S10_SL_SM_SN_EUlS10_E_NS1_11comp_targetILNS1_3genE0ELNS1_11target_archE4294967295ELNS1_3gpuE0ELNS1_3repE0EEENS1_48merge_mergepath_partition_config_static_selectorELNS0_4arch9wavefront6targetE0EEEvSM_
	.p2align	8
	.type	_ZN7rocprim17ROCPRIM_400000_NS6detail17trampoline_kernelINS0_14default_configENS1_38merge_sort_block_merge_config_selectorIlNS0_10empty_typeEEEZZNS1_27merge_sort_block_merge_implIS3_PlPS5_mZN2at6native12_GLOBAL__N_124unique_dim_cuda_templateIlEESt5tupleIJNSA_6TensorESF_SF_EERKSF_lbbbEUlllE_EE10hipError_tT0_T1_T2_jT3_P12ihipStream_tbPNSt15iterator_traitsISL_E10value_typeEPNSR_ISM_E10value_typeEPSN_NS1_7vsmem_tEENKUlT_SL_SM_SN_E_clIS8_S8_S9_S9_EESK_S10_SL_SM_SN_EUlS10_E_NS1_11comp_targetILNS1_3genE0ELNS1_11target_archE4294967295ELNS1_3gpuE0ELNS1_3repE0EEENS1_48merge_mergepath_partition_config_static_selectorELNS0_4arch9wavefront6targetE0EEEvSM_,@function
_ZN7rocprim17ROCPRIM_400000_NS6detail17trampoline_kernelINS0_14default_configENS1_38merge_sort_block_merge_config_selectorIlNS0_10empty_typeEEEZZNS1_27merge_sort_block_merge_implIS3_PlPS5_mZN2at6native12_GLOBAL__N_124unique_dim_cuda_templateIlEESt5tupleIJNSA_6TensorESF_SF_EERKSF_lbbbEUlllE_EE10hipError_tT0_T1_T2_jT3_P12ihipStream_tbPNSt15iterator_traitsISL_E10value_typeEPNSR_ISM_E10value_typeEPSN_NS1_7vsmem_tEENKUlT_SL_SM_SN_E_clIS8_S8_S9_S9_EESK_S10_SL_SM_SN_EUlS10_E_NS1_11comp_targetILNS1_3genE0ELNS1_11target_archE4294967295ELNS1_3gpuE0ELNS1_3repE0EEENS1_48merge_mergepath_partition_config_static_selectorELNS0_4arch9wavefront6targetE0EEEvSM_: ; @_ZN7rocprim17ROCPRIM_400000_NS6detail17trampoline_kernelINS0_14default_configENS1_38merge_sort_block_merge_config_selectorIlNS0_10empty_typeEEEZZNS1_27merge_sort_block_merge_implIS3_PlPS5_mZN2at6native12_GLOBAL__N_124unique_dim_cuda_templateIlEESt5tupleIJNSA_6TensorESF_SF_EERKSF_lbbbEUlllE_EE10hipError_tT0_T1_T2_jT3_P12ihipStream_tbPNSt15iterator_traitsISL_E10value_typeEPNSR_ISM_E10value_typeEPSN_NS1_7vsmem_tEENKUlT_SL_SM_SN_E_clIS8_S8_S9_S9_EESK_S10_SL_SM_SN_EUlS10_E_NS1_11comp_targetILNS1_3genE0ELNS1_11target_archE4294967295ELNS1_3gpuE0ELNS1_3repE0EEENS1_48merge_mergepath_partition_config_static_selectorELNS0_4arch9wavefront6targetE0EEEvSM_
; %bb.0:
	.section	.rodata,"a",@progbits
	.p2align	6, 0x0
	.amdhsa_kernel _ZN7rocprim17ROCPRIM_400000_NS6detail17trampoline_kernelINS0_14default_configENS1_38merge_sort_block_merge_config_selectorIlNS0_10empty_typeEEEZZNS1_27merge_sort_block_merge_implIS3_PlPS5_mZN2at6native12_GLOBAL__N_124unique_dim_cuda_templateIlEESt5tupleIJNSA_6TensorESF_SF_EERKSF_lbbbEUlllE_EE10hipError_tT0_T1_T2_jT3_P12ihipStream_tbPNSt15iterator_traitsISL_E10value_typeEPNSR_ISM_E10value_typeEPSN_NS1_7vsmem_tEENKUlT_SL_SM_SN_E_clIS8_S8_S9_S9_EESK_S10_SL_SM_SN_EUlS10_E_NS1_11comp_targetILNS1_3genE0ELNS1_11target_archE4294967295ELNS1_3gpuE0ELNS1_3repE0EEENS1_48merge_mergepath_partition_config_static_selectorELNS0_4arch9wavefront6targetE0EEEvSM_
		.amdhsa_group_segment_fixed_size 0
		.amdhsa_private_segment_fixed_size 0
		.amdhsa_kernarg_size 56
		.amdhsa_user_sgpr_count 15
		.amdhsa_user_sgpr_dispatch_ptr 0
		.amdhsa_user_sgpr_queue_ptr 0
		.amdhsa_user_sgpr_kernarg_segment_ptr 1
		.amdhsa_user_sgpr_dispatch_id 0
		.amdhsa_user_sgpr_private_segment_size 0
		.amdhsa_wavefront_size32 1
		.amdhsa_uses_dynamic_stack 0
		.amdhsa_enable_private_segment 0
		.amdhsa_system_sgpr_workgroup_id_x 1
		.amdhsa_system_sgpr_workgroup_id_y 0
		.amdhsa_system_sgpr_workgroup_id_z 0
		.amdhsa_system_sgpr_workgroup_info 0
		.amdhsa_system_vgpr_workitem_id 0
		.amdhsa_next_free_vgpr 1
		.amdhsa_next_free_sgpr 1
		.amdhsa_reserve_vcc 0
		.amdhsa_float_round_mode_32 0
		.amdhsa_float_round_mode_16_64 0
		.amdhsa_float_denorm_mode_32 3
		.amdhsa_float_denorm_mode_16_64 3
		.amdhsa_dx10_clamp 1
		.amdhsa_ieee_mode 1
		.amdhsa_fp16_overflow 0
		.amdhsa_workgroup_processor_mode 1
		.amdhsa_memory_ordered 1
		.amdhsa_forward_progress 0
		.amdhsa_shared_vgpr_count 0
		.amdhsa_exception_fp_ieee_invalid_op 0
		.amdhsa_exception_fp_denorm_src 0
		.amdhsa_exception_fp_ieee_div_zero 0
		.amdhsa_exception_fp_ieee_overflow 0
		.amdhsa_exception_fp_ieee_underflow 0
		.amdhsa_exception_fp_ieee_inexact 0
		.amdhsa_exception_int_div_zero 0
	.end_amdhsa_kernel
	.section	.text._ZN7rocprim17ROCPRIM_400000_NS6detail17trampoline_kernelINS0_14default_configENS1_38merge_sort_block_merge_config_selectorIlNS0_10empty_typeEEEZZNS1_27merge_sort_block_merge_implIS3_PlPS5_mZN2at6native12_GLOBAL__N_124unique_dim_cuda_templateIlEESt5tupleIJNSA_6TensorESF_SF_EERKSF_lbbbEUlllE_EE10hipError_tT0_T1_T2_jT3_P12ihipStream_tbPNSt15iterator_traitsISL_E10value_typeEPNSR_ISM_E10value_typeEPSN_NS1_7vsmem_tEENKUlT_SL_SM_SN_E_clIS8_S8_S9_S9_EESK_S10_SL_SM_SN_EUlS10_E_NS1_11comp_targetILNS1_3genE0ELNS1_11target_archE4294967295ELNS1_3gpuE0ELNS1_3repE0EEENS1_48merge_mergepath_partition_config_static_selectorELNS0_4arch9wavefront6targetE0EEEvSM_,"axG",@progbits,_ZN7rocprim17ROCPRIM_400000_NS6detail17trampoline_kernelINS0_14default_configENS1_38merge_sort_block_merge_config_selectorIlNS0_10empty_typeEEEZZNS1_27merge_sort_block_merge_implIS3_PlPS5_mZN2at6native12_GLOBAL__N_124unique_dim_cuda_templateIlEESt5tupleIJNSA_6TensorESF_SF_EERKSF_lbbbEUlllE_EE10hipError_tT0_T1_T2_jT3_P12ihipStream_tbPNSt15iterator_traitsISL_E10value_typeEPNSR_ISM_E10value_typeEPSN_NS1_7vsmem_tEENKUlT_SL_SM_SN_E_clIS8_S8_S9_S9_EESK_S10_SL_SM_SN_EUlS10_E_NS1_11comp_targetILNS1_3genE0ELNS1_11target_archE4294967295ELNS1_3gpuE0ELNS1_3repE0EEENS1_48merge_mergepath_partition_config_static_selectorELNS0_4arch9wavefront6targetE0EEEvSM_,comdat
.Lfunc_end514:
	.size	_ZN7rocprim17ROCPRIM_400000_NS6detail17trampoline_kernelINS0_14default_configENS1_38merge_sort_block_merge_config_selectorIlNS0_10empty_typeEEEZZNS1_27merge_sort_block_merge_implIS3_PlPS5_mZN2at6native12_GLOBAL__N_124unique_dim_cuda_templateIlEESt5tupleIJNSA_6TensorESF_SF_EERKSF_lbbbEUlllE_EE10hipError_tT0_T1_T2_jT3_P12ihipStream_tbPNSt15iterator_traitsISL_E10value_typeEPNSR_ISM_E10value_typeEPSN_NS1_7vsmem_tEENKUlT_SL_SM_SN_E_clIS8_S8_S9_S9_EESK_S10_SL_SM_SN_EUlS10_E_NS1_11comp_targetILNS1_3genE0ELNS1_11target_archE4294967295ELNS1_3gpuE0ELNS1_3repE0EEENS1_48merge_mergepath_partition_config_static_selectorELNS0_4arch9wavefront6targetE0EEEvSM_, .Lfunc_end514-_ZN7rocprim17ROCPRIM_400000_NS6detail17trampoline_kernelINS0_14default_configENS1_38merge_sort_block_merge_config_selectorIlNS0_10empty_typeEEEZZNS1_27merge_sort_block_merge_implIS3_PlPS5_mZN2at6native12_GLOBAL__N_124unique_dim_cuda_templateIlEESt5tupleIJNSA_6TensorESF_SF_EERKSF_lbbbEUlllE_EE10hipError_tT0_T1_T2_jT3_P12ihipStream_tbPNSt15iterator_traitsISL_E10value_typeEPNSR_ISM_E10value_typeEPSN_NS1_7vsmem_tEENKUlT_SL_SM_SN_E_clIS8_S8_S9_S9_EESK_S10_SL_SM_SN_EUlS10_E_NS1_11comp_targetILNS1_3genE0ELNS1_11target_archE4294967295ELNS1_3gpuE0ELNS1_3repE0EEENS1_48merge_mergepath_partition_config_static_selectorELNS0_4arch9wavefront6targetE0EEEvSM_
                                        ; -- End function
	.section	.AMDGPU.csdata,"",@progbits
; Kernel info:
; codeLenInByte = 0
; NumSgprs: 0
; NumVgprs: 0
; ScratchSize: 0
; MemoryBound: 0
; FloatMode: 240
; IeeeMode: 1
; LDSByteSize: 0 bytes/workgroup (compile time only)
; SGPRBlocks: 0
; VGPRBlocks: 0
; NumSGPRsForWavesPerEU: 1
; NumVGPRsForWavesPerEU: 1
; Occupancy: 16
; WaveLimiterHint : 0
; COMPUTE_PGM_RSRC2:SCRATCH_EN: 0
; COMPUTE_PGM_RSRC2:USER_SGPR: 15
; COMPUTE_PGM_RSRC2:TRAP_HANDLER: 0
; COMPUTE_PGM_RSRC2:TGID_X_EN: 1
; COMPUTE_PGM_RSRC2:TGID_Y_EN: 0
; COMPUTE_PGM_RSRC2:TGID_Z_EN: 0
; COMPUTE_PGM_RSRC2:TIDIG_COMP_CNT: 0
	.section	.text._ZN7rocprim17ROCPRIM_400000_NS6detail17trampoline_kernelINS0_14default_configENS1_38merge_sort_block_merge_config_selectorIlNS0_10empty_typeEEEZZNS1_27merge_sort_block_merge_implIS3_PlPS5_mZN2at6native12_GLOBAL__N_124unique_dim_cuda_templateIlEESt5tupleIJNSA_6TensorESF_SF_EERKSF_lbbbEUlllE_EE10hipError_tT0_T1_T2_jT3_P12ihipStream_tbPNSt15iterator_traitsISL_E10value_typeEPNSR_ISM_E10value_typeEPSN_NS1_7vsmem_tEENKUlT_SL_SM_SN_E_clIS8_S8_S9_S9_EESK_S10_SL_SM_SN_EUlS10_E_NS1_11comp_targetILNS1_3genE10ELNS1_11target_archE1201ELNS1_3gpuE5ELNS1_3repE0EEENS1_48merge_mergepath_partition_config_static_selectorELNS0_4arch9wavefront6targetE0EEEvSM_,"axG",@progbits,_ZN7rocprim17ROCPRIM_400000_NS6detail17trampoline_kernelINS0_14default_configENS1_38merge_sort_block_merge_config_selectorIlNS0_10empty_typeEEEZZNS1_27merge_sort_block_merge_implIS3_PlPS5_mZN2at6native12_GLOBAL__N_124unique_dim_cuda_templateIlEESt5tupleIJNSA_6TensorESF_SF_EERKSF_lbbbEUlllE_EE10hipError_tT0_T1_T2_jT3_P12ihipStream_tbPNSt15iterator_traitsISL_E10value_typeEPNSR_ISM_E10value_typeEPSN_NS1_7vsmem_tEENKUlT_SL_SM_SN_E_clIS8_S8_S9_S9_EESK_S10_SL_SM_SN_EUlS10_E_NS1_11comp_targetILNS1_3genE10ELNS1_11target_archE1201ELNS1_3gpuE5ELNS1_3repE0EEENS1_48merge_mergepath_partition_config_static_selectorELNS0_4arch9wavefront6targetE0EEEvSM_,comdat
	.globl	_ZN7rocprim17ROCPRIM_400000_NS6detail17trampoline_kernelINS0_14default_configENS1_38merge_sort_block_merge_config_selectorIlNS0_10empty_typeEEEZZNS1_27merge_sort_block_merge_implIS3_PlPS5_mZN2at6native12_GLOBAL__N_124unique_dim_cuda_templateIlEESt5tupleIJNSA_6TensorESF_SF_EERKSF_lbbbEUlllE_EE10hipError_tT0_T1_T2_jT3_P12ihipStream_tbPNSt15iterator_traitsISL_E10value_typeEPNSR_ISM_E10value_typeEPSN_NS1_7vsmem_tEENKUlT_SL_SM_SN_E_clIS8_S8_S9_S9_EESK_S10_SL_SM_SN_EUlS10_E_NS1_11comp_targetILNS1_3genE10ELNS1_11target_archE1201ELNS1_3gpuE5ELNS1_3repE0EEENS1_48merge_mergepath_partition_config_static_selectorELNS0_4arch9wavefront6targetE0EEEvSM_ ; -- Begin function _ZN7rocprim17ROCPRIM_400000_NS6detail17trampoline_kernelINS0_14default_configENS1_38merge_sort_block_merge_config_selectorIlNS0_10empty_typeEEEZZNS1_27merge_sort_block_merge_implIS3_PlPS5_mZN2at6native12_GLOBAL__N_124unique_dim_cuda_templateIlEESt5tupleIJNSA_6TensorESF_SF_EERKSF_lbbbEUlllE_EE10hipError_tT0_T1_T2_jT3_P12ihipStream_tbPNSt15iterator_traitsISL_E10value_typeEPNSR_ISM_E10value_typeEPSN_NS1_7vsmem_tEENKUlT_SL_SM_SN_E_clIS8_S8_S9_S9_EESK_S10_SL_SM_SN_EUlS10_E_NS1_11comp_targetILNS1_3genE10ELNS1_11target_archE1201ELNS1_3gpuE5ELNS1_3repE0EEENS1_48merge_mergepath_partition_config_static_selectorELNS0_4arch9wavefront6targetE0EEEvSM_
	.p2align	8
	.type	_ZN7rocprim17ROCPRIM_400000_NS6detail17trampoline_kernelINS0_14default_configENS1_38merge_sort_block_merge_config_selectorIlNS0_10empty_typeEEEZZNS1_27merge_sort_block_merge_implIS3_PlPS5_mZN2at6native12_GLOBAL__N_124unique_dim_cuda_templateIlEESt5tupleIJNSA_6TensorESF_SF_EERKSF_lbbbEUlllE_EE10hipError_tT0_T1_T2_jT3_P12ihipStream_tbPNSt15iterator_traitsISL_E10value_typeEPNSR_ISM_E10value_typeEPSN_NS1_7vsmem_tEENKUlT_SL_SM_SN_E_clIS8_S8_S9_S9_EESK_S10_SL_SM_SN_EUlS10_E_NS1_11comp_targetILNS1_3genE10ELNS1_11target_archE1201ELNS1_3gpuE5ELNS1_3repE0EEENS1_48merge_mergepath_partition_config_static_selectorELNS0_4arch9wavefront6targetE0EEEvSM_,@function
_ZN7rocprim17ROCPRIM_400000_NS6detail17trampoline_kernelINS0_14default_configENS1_38merge_sort_block_merge_config_selectorIlNS0_10empty_typeEEEZZNS1_27merge_sort_block_merge_implIS3_PlPS5_mZN2at6native12_GLOBAL__N_124unique_dim_cuda_templateIlEESt5tupleIJNSA_6TensorESF_SF_EERKSF_lbbbEUlllE_EE10hipError_tT0_T1_T2_jT3_P12ihipStream_tbPNSt15iterator_traitsISL_E10value_typeEPNSR_ISM_E10value_typeEPSN_NS1_7vsmem_tEENKUlT_SL_SM_SN_E_clIS8_S8_S9_S9_EESK_S10_SL_SM_SN_EUlS10_E_NS1_11comp_targetILNS1_3genE10ELNS1_11target_archE1201ELNS1_3gpuE5ELNS1_3repE0EEENS1_48merge_mergepath_partition_config_static_selectorELNS0_4arch9wavefront6targetE0EEEvSM_: ; @_ZN7rocprim17ROCPRIM_400000_NS6detail17trampoline_kernelINS0_14default_configENS1_38merge_sort_block_merge_config_selectorIlNS0_10empty_typeEEEZZNS1_27merge_sort_block_merge_implIS3_PlPS5_mZN2at6native12_GLOBAL__N_124unique_dim_cuda_templateIlEESt5tupleIJNSA_6TensorESF_SF_EERKSF_lbbbEUlllE_EE10hipError_tT0_T1_T2_jT3_P12ihipStream_tbPNSt15iterator_traitsISL_E10value_typeEPNSR_ISM_E10value_typeEPSN_NS1_7vsmem_tEENKUlT_SL_SM_SN_E_clIS8_S8_S9_S9_EESK_S10_SL_SM_SN_EUlS10_E_NS1_11comp_targetILNS1_3genE10ELNS1_11target_archE1201ELNS1_3gpuE5ELNS1_3repE0EEENS1_48merge_mergepath_partition_config_static_selectorELNS0_4arch9wavefront6targetE0EEEvSM_
; %bb.0:
	.section	.rodata,"a",@progbits
	.p2align	6, 0x0
	.amdhsa_kernel _ZN7rocprim17ROCPRIM_400000_NS6detail17trampoline_kernelINS0_14default_configENS1_38merge_sort_block_merge_config_selectorIlNS0_10empty_typeEEEZZNS1_27merge_sort_block_merge_implIS3_PlPS5_mZN2at6native12_GLOBAL__N_124unique_dim_cuda_templateIlEESt5tupleIJNSA_6TensorESF_SF_EERKSF_lbbbEUlllE_EE10hipError_tT0_T1_T2_jT3_P12ihipStream_tbPNSt15iterator_traitsISL_E10value_typeEPNSR_ISM_E10value_typeEPSN_NS1_7vsmem_tEENKUlT_SL_SM_SN_E_clIS8_S8_S9_S9_EESK_S10_SL_SM_SN_EUlS10_E_NS1_11comp_targetILNS1_3genE10ELNS1_11target_archE1201ELNS1_3gpuE5ELNS1_3repE0EEENS1_48merge_mergepath_partition_config_static_selectorELNS0_4arch9wavefront6targetE0EEEvSM_
		.amdhsa_group_segment_fixed_size 0
		.amdhsa_private_segment_fixed_size 0
		.amdhsa_kernarg_size 56
		.amdhsa_user_sgpr_count 15
		.amdhsa_user_sgpr_dispatch_ptr 0
		.amdhsa_user_sgpr_queue_ptr 0
		.amdhsa_user_sgpr_kernarg_segment_ptr 1
		.amdhsa_user_sgpr_dispatch_id 0
		.amdhsa_user_sgpr_private_segment_size 0
		.amdhsa_wavefront_size32 1
		.amdhsa_uses_dynamic_stack 0
		.amdhsa_enable_private_segment 0
		.amdhsa_system_sgpr_workgroup_id_x 1
		.amdhsa_system_sgpr_workgroup_id_y 0
		.amdhsa_system_sgpr_workgroup_id_z 0
		.amdhsa_system_sgpr_workgroup_info 0
		.amdhsa_system_vgpr_workitem_id 0
		.amdhsa_next_free_vgpr 1
		.amdhsa_next_free_sgpr 1
		.amdhsa_reserve_vcc 0
		.amdhsa_float_round_mode_32 0
		.amdhsa_float_round_mode_16_64 0
		.amdhsa_float_denorm_mode_32 3
		.amdhsa_float_denorm_mode_16_64 3
		.amdhsa_dx10_clamp 1
		.amdhsa_ieee_mode 1
		.amdhsa_fp16_overflow 0
		.amdhsa_workgroup_processor_mode 1
		.amdhsa_memory_ordered 1
		.amdhsa_forward_progress 0
		.amdhsa_shared_vgpr_count 0
		.amdhsa_exception_fp_ieee_invalid_op 0
		.amdhsa_exception_fp_denorm_src 0
		.amdhsa_exception_fp_ieee_div_zero 0
		.amdhsa_exception_fp_ieee_overflow 0
		.amdhsa_exception_fp_ieee_underflow 0
		.amdhsa_exception_fp_ieee_inexact 0
		.amdhsa_exception_int_div_zero 0
	.end_amdhsa_kernel
	.section	.text._ZN7rocprim17ROCPRIM_400000_NS6detail17trampoline_kernelINS0_14default_configENS1_38merge_sort_block_merge_config_selectorIlNS0_10empty_typeEEEZZNS1_27merge_sort_block_merge_implIS3_PlPS5_mZN2at6native12_GLOBAL__N_124unique_dim_cuda_templateIlEESt5tupleIJNSA_6TensorESF_SF_EERKSF_lbbbEUlllE_EE10hipError_tT0_T1_T2_jT3_P12ihipStream_tbPNSt15iterator_traitsISL_E10value_typeEPNSR_ISM_E10value_typeEPSN_NS1_7vsmem_tEENKUlT_SL_SM_SN_E_clIS8_S8_S9_S9_EESK_S10_SL_SM_SN_EUlS10_E_NS1_11comp_targetILNS1_3genE10ELNS1_11target_archE1201ELNS1_3gpuE5ELNS1_3repE0EEENS1_48merge_mergepath_partition_config_static_selectorELNS0_4arch9wavefront6targetE0EEEvSM_,"axG",@progbits,_ZN7rocprim17ROCPRIM_400000_NS6detail17trampoline_kernelINS0_14default_configENS1_38merge_sort_block_merge_config_selectorIlNS0_10empty_typeEEEZZNS1_27merge_sort_block_merge_implIS3_PlPS5_mZN2at6native12_GLOBAL__N_124unique_dim_cuda_templateIlEESt5tupleIJNSA_6TensorESF_SF_EERKSF_lbbbEUlllE_EE10hipError_tT0_T1_T2_jT3_P12ihipStream_tbPNSt15iterator_traitsISL_E10value_typeEPNSR_ISM_E10value_typeEPSN_NS1_7vsmem_tEENKUlT_SL_SM_SN_E_clIS8_S8_S9_S9_EESK_S10_SL_SM_SN_EUlS10_E_NS1_11comp_targetILNS1_3genE10ELNS1_11target_archE1201ELNS1_3gpuE5ELNS1_3repE0EEENS1_48merge_mergepath_partition_config_static_selectorELNS0_4arch9wavefront6targetE0EEEvSM_,comdat
.Lfunc_end515:
	.size	_ZN7rocprim17ROCPRIM_400000_NS6detail17trampoline_kernelINS0_14default_configENS1_38merge_sort_block_merge_config_selectorIlNS0_10empty_typeEEEZZNS1_27merge_sort_block_merge_implIS3_PlPS5_mZN2at6native12_GLOBAL__N_124unique_dim_cuda_templateIlEESt5tupleIJNSA_6TensorESF_SF_EERKSF_lbbbEUlllE_EE10hipError_tT0_T1_T2_jT3_P12ihipStream_tbPNSt15iterator_traitsISL_E10value_typeEPNSR_ISM_E10value_typeEPSN_NS1_7vsmem_tEENKUlT_SL_SM_SN_E_clIS8_S8_S9_S9_EESK_S10_SL_SM_SN_EUlS10_E_NS1_11comp_targetILNS1_3genE10ELNS1_11target_archE1201ELNS1_3gpuE5ELNS1_3repE0EEENS1_48merge_mergepath_partition_config_static_selectorELNS0_4arch9wavefront6targetE0EEEvSM_, .Lfunc_end515-_ZN7rocprim17ROCPRIM_400000_NS6detail17trampoline_kernelINS0_14default_configENS1_38merge_sort_block_merge_config_selectorIlNS0_10empty_typeEEEZZNS1_27merge_sort_block_merge_implIS3_PlPS5_mZN2at6native12_GLOBAL__N_124unique_dim_cuda_templateIlEESt5tupleIJNSA_6TensorESF_SF_EERKSF_lbbbEUlllE_EE10hipError_tT0_T1_T2_jT3_P12ihipStream_tbPNSt15iterator_traitsISL_E10value_typeEPNSR_ISM_E10value_typeEPSN_NS1_7vsmem_tEENKUlT_SL_SM_SN_E_clIS8_S8_S9_S9_EESK_S10_SL_SM_SN_EUlS10_E_NS1_11comp_targetILNS1_3genE10ELNS1_11target_archE1201ELNS1_3gpuE5ELNS1_3repE0EEENS1_48merge_mergepath_partition_config_static_selectorELNS0_4arch9wavefront6targetE0EEEvSM_
                                        ; -- End function
	.section	.AMDGPU.csdata,"",@progbits
; Kernel info:
; codeLenInByte = 0
; NumSgprs: 0
; NumVgprs: 0
; ScratchSize: 0
; MemoryBound: 0
; FloatMode: 240
; IeeeMode: 1
; LDSByteSize: 0 bytes/workgroup (compile time only)
; SGPRBlocks: 0
; VGPRBlocks: 0
; NumSGPRsForWavesPerEU: 1
; NumVGPRsForWavesPerEU: 1
; Occupancy: 16
; WaveLimiterHint : 0
; COMPUTE_PGM_RSRC2:SCRATCH_EN: 0
; COMPUTE_PGM_RSRC2:USER_SGPR: 15
; COMPUTE_PGM_RSRC2:TRAP_HANDLER: 0
; COMPUTE_PGM_RSRC2:TGID_X_EN: 1
; COMPUTE_PGM_RSRC2:TGID_Y_EN: 0
; COMPUTE_PGM_RSRC2:TGID_Z_EN: 0
; COMPUTE_PGM_RSRC2:TIDIG_COMP_CNT: 0
	.section	.text._ZN7rocprim17ROCPRIM_400000_NS6detail17trampoline_kernelINS0_14default_configENS1_38merge_sort_block_merge_config_selectorIlNS0_10empty_typeEEEZZNS1_27merge_sort_block_merge_implIS3_PlPS5_mZN2at6native12_GLOBAL__N_124unique_dim_cuda_templateIlEESt5tupleIJNSA_6TensorESF_SF_EERKSF_lbbbEUlllE_EE10hipError_tT0_T1_T2_jT3_P12ihipStream_tbPNSt15iterator_traitsISL_E10value_typeEPNSR_ISM_E10value_typeEPSN_NS1_7vsmem_tEENKUlT_SL_SM_SN_E_clIS8_S8_S9_S9_EESK_S10_SL_SM_SN_EUlS10_E_NS1_11comp_targetILNS1_3genE5ELNS1_11target_archE942ELNS1_3gpuE9ELNS1_3repE0EEENS1_48merge_mergepath_partition_config_static_selectorELNS0_4arch9wavefront6targetE0EEEvSM_,"axG",@progbits,_ZN7rocprim17ROCPRIM_400000_NS6detail17trampoline_kernelINS0_14default_configENS1_38merge_sort_block_merge_config_selectorIlNS0_10empty_typeEEEZZNS1_27merge_sort_block_merge_implIS3_PlPS5_mZN2at6native12_GLOBAL__N_124unique_dim_cuda_templateIlEESt5tupleIJNSA_6TensorESF_SF_EERKSF_lbbbEUlllE_EE10hipError_tT0_T1_T2_jT3_P12ihipStream_tbPNSt15iterator_traitsISL_E10value_typeEPNSR_ISM_E10value_typeEPSN_NS1_7vsmem_tEENKUlT_SL_SM_SN_E_clIS8_S8_S9_S9_EESK_S10_SL_SM_SN_EUlS10_E_NS1_11comp_targetILNS1_3genE5ELNS1_11target_archE942ELNS1_3gpuE9ELNS1_3repE0EEENS1_48merge_mergepath_partition_config_static_selectorELNS0_4arch9wavefront6targetE0EEEvSM_,comdat
	.globl	_ZN7rocprim17ROCPRIM_400000_NS6detail17trampoline_kernelINS0_14default_configENS1_38merge_sort_block_merge_config_selectorIlNS0_10empty_typeEEEZZNS1_27merge_sort_block_merge_implIS3_PlPS5_mZN2at6native12_GLOBAL__N_124unique_dim_cuda_templateIlEESt5tupleIJNSA_6TensorESF_SF_EERKSF_lbbbEUlllE_EE10hipError_tT0_T1_T2_jT3_P12ihipStream_tbPNSt15iterator_traitsISL_E10value_typeEPNSR_ISM_E10value_typeEPSN_NS1_7vsmem_tEENKUlT_SL_SM_SN_E_clIS8_S8_S9_S9_EESK_S10_SL_SM_SN_EUlS10_E_NS1_11comp_targetILNS1_3genE5ELNS1_11target_archE942ELNS1_3gpuE9ELNS1_3repE0EEENS1_48merge_mergepath_partition_config_static_selectorELNS0_4arch9wavefront6targetE0EEEvSM_ ; -- Begin function _ZN7rocprim17ROCPRIM_400000_NS6detail17trampoline_kernelINS0_14default_configENS1_38merge_sort_block_merge_config_selectorIlNS0_10empty_typeEEEZZNS1_27merge_sort_block_merge_implIS3_PlPS5_mZN2at6native12_GLOBAL__N_124unique_dim_cuda_templateIlEESt5tupleIJNSA_6TensorESF_SF_EERKSF_lbbbEUlllE_EE10hipError_tT0_T1_T2_jT3_P12ihipStream_tbPNSt15iterator_traitsISL_E10value_typeEPNSR_ISM_E10value_typeEPSN_NS1_7vsmem_tEENKUlT_SL_SM_SN_E_clIS8_S8_S9_S9_EESK_S10_SL_SM_SN_EUlS10_E_NS1_11comp_targetILNS1_3genE5ELNS1_11target_archE942ELNS1_3gpuE9ELNS1_3repE0EEENS1_48merge_mergepath_partition_config_static_selectorELNS0_4arch9wavefront6targetE0EEEvSM_
	.p2align	8
	.type	_ZN7rocprim17ROCPRIM_400000_NS6detail17trampoline_kernelINS0_14default_configENS1_38merge_sort_block_merge_config_selectorIlNS0_10empty_typeEEEZZNS1_27merge_sort_block_merge_implIS3_PlPS5_mZN2at6native12_GLOBAL__N_124unique_dim_cuda_templateIlEESt5tupleIJNSA_6TensorESF_SF_EERKSF_lbbbEUlllE_EE10hipError_tT0_T1_T2_jT3_P12ihipStream_tbPNSt15iterator_traitsISL_E10value_typeEPNSR_ISM_E10value_typeEPSN_NS1_7vsmem_tEENKUlT_SL_SM_SN_E_clIS8_S8_S9_S9_EESK_S10_SL_SM_SN_EUlS10_E_NS1_11comp_targetILNS1_3genE5ELNS1_11target_archE942ELNS1_3gpuE9ELNS1_3repE0EEENS1_48merge_mergepath_partition_config_static_selectorELNS0_4arch9wavefront6targetE0EEEvSM_,@function
_ZN7rocprim17ROCPRIM_400000_NS6detail17trampoline_kernelINS0_14default_configENS1_38merge_sort_block_merge_config_selectorIlNS0_10empty_typeEEEZZNS1_27merge_sort_block_merge_implIS3_PlPS5_mZN2at6native12_GLOBAL__N_124unique_dim_cuda_templateIlEESt5tupleIJNSA_6TensorESF_SF_EERKSF_lbbbEUlllE_EE10hipError_tT0_T1_T2_jT3_P12ihipStream_tbPNSt15iterator_traitsISL_E10value_typeEPNSR_ISM_E10value_typeEPSN_NS1_7vsmem_tEENKUlT_SL_SM_SN_E_clIS8_S8_S9_S9_EESK_S10_SL_SM_SN_EUlS10_E_NS1_11comp_targetILNS1_3genE5ELNS1_11target_archE942ELNS1_3gpuE9ELNS1_3repE0EEENS1_48merge_mergepath_partition_config_static_selectorELNS0_4arch9wavefront6targetE0EEEvSM_: ; @_ZN7rocprim17ROCPRIM_400000_NS6detail17trampoline_kernelINS0_14default_configENS1_38merge_sort_block_merge_config_selectorIlNS0_10empty_typeEEEZZNS1_27merge_sort_block_merge_implIS3_PlPS5_mZN2at6native12_GLOBAL__N_124unique_dim_cuda_templateIlEESt5tupleIJNSA_6TensorESF_SF_EERKSF_lbbbEUlllE_EE10hipError_tT0_T1_T2_jT3_P12ihipStream_tbPNSt15iterator_traitsISL_E10value_typeEPNSR_ISM_E10value_typeEPSN_NS1_7vsmem_tEENKUlT_SL_SM_SN_E_clIS8_S8_S9_S9_EESK_S10_SL_SM_SN_EUlS10_E_NS1_11comp_targetILNS1_3genE5ELNS1_11target_archE942ELNS1_3gpuE9ELNS1_3repE0EEENS1_48merge_mergepath_partition_config_static_selectorELNS0_4arch9wavefront6targetE0EEEvSM_
; %bb.0:
	.section	.rodata,"a",@progbits
	.p2align	6, 0x0
	.amdhsa_kernel _ZN7rocprim17ROCPRIM_400000_NS6detail17trampoline_kernelINS0_14default_configENS1_38merge_sort_block_merge_config_selectorIlNS0_10empty_typeEEEZZNS1_27merge_sort_block_merge_implIS3_PlPS5_mZN2at6native12_GLOBAL__N_124unique_dim_cuda_templateIlEESt5tupleIJNSA_6TensorESF_SF_EERKSF_lbbbEUlllE_EE10hipError_tT0_T1_T2_jT3_P12ihipStream_tbPNSt15iterator_traitsISL_E10value_typeEPNSR_ISM_E10value_typeEPSN_NS1_7vsmem_tEENKUlT_SL_SM_SN_E_clIS8_S8_S9_S9_EESK_S10_SL_SM_SN_EUlS10_E_NS1_11comp_targetILNS1_3genE5ELNS1_11target_archE942ELNS1_3gpuE9ELNS1_3repE0EEENS1_48merge_mergepath_partition_config_static_selectorELNS0_4arch9wavefront6targetE0EEEvSM_
		.amdhsa_group_segment_fixed_size 0
		.amdhsa_private_segment_fixed_size 0
		.amdhsa_kernarg_size 56
		.amdhsa_user_sgpr_count 15
		.amdhsa_user_sgpr_dispatch_ptr 0
		.amdhsa_user_sgpr_queue_ptr 0
		.amdhsa_user_sgpr_kernarg_segment_ptr 1
		.amdhsa_user_sgpr_dispatch_id 0
		.amdhsa_user_sgpr_private_segment_size 0
		.amdhsa_wavefront_size32 1
		.amdhsa_uses_dynamic_stack 0
		.amdhsa_enable_private_segment 0
		.amdhsa_system_sgpr_workgroup_id_x 1
		.amdhsa_system_sgpr_workgroup_id_y 0
		.amdhsa_system_sgpr_workgroup_id_z 0
		.amdhsa_system_sgpr_workgroup_info 0
		.amdhsa_system_vgpr_workitem_id 0
		.amdhsa_next_free_vgpr 1
		.amdhsa_next_free_sgpr 1
		.amdhsa_reserve_vcc 0
		.amdhsa_float_round_mode_32 0
		.amdhsa_float_round_mode_16_64 0
		.amdhsa_float_denorm_mode_32 3
		.amdhsa_float_denorm_mode_16_64 3
		.amdhsa_dx10_clamp 1
		.amdhsa_ieee_mode 1
		.amdhsa_fp16_overflow 0
		.amdhsa_workgroup_processor_mode 1
		.amdhsa_memory_ordered 1
		.amdhsa_forward_progress 0
		.amdhsa_shared_vgpr_count 0
		.amdhsa_exception_fp_ieee_invalid_op 0
		.amdhsa_exception_fp_denorm_src 0
		.amdhsa_exception_fp_ieee_div_zero 0
		.amdhsa_exception_fp_ieee_overflow 0
		.amdhsa_exception_fp_ieee_underflow 0
		.amdhsa_exception_fp_ieee_inexact 0
		.amdhsa_exception_int_div_zero 0
	.end_amdhsa_kernel
	.section	.text._ZN7rocprim17ROCPRIM_400000_NS6detail17trampoline_kernelINS0_14default_configENS1_38merge_sort_block_merge_config_selectorIlNS0_10empty_typeEEEZZNS1_27merge_sort_block_merge_implIS3_PlPS5_mZN2at6native12_GLOBAL__N_124unique_dim_cuda_templateIlEESt5tupleIJNSA_6TensorESF_SF_EERKSF_lbbbEUlllE_EE10hipError_tT0_T1_T2_jT3_P12ihipStream_tbPNSt15iterator_traitsISL_E10value_typeEPNSR_ISM_E10value_typeEPSN_NS1_7vsmem_tEENKUlT_SL_SM_SN_E_clIS8_S8_S9_S9_EESK_S10_SL_SM_SN_EUlS10_E_NS1_11comp_targetILNS1_3genE5ELNS1_11target_archE942ELNS1_3gpuE9ELNS1_3repE0EEENS1_48merge_mergepath_partition_config_static_selectorELNS0_4arch9wavefront6targetE0EEEvSM_,"axG",@progbits,_ZN7rocprim17ROCPRIM_400000_NS6detail17trampoline_kernelINS0_14default_configENS1_38merge_sort_block_merge_config_selectorIlNS0_10empty_typeEEEZZNS1_27merge_sort_block_merge_implIS3_PlPS5_mZN2at6native12_GLOBAL__N_124unique_dim_cuda_templateIlEESt5tupleIJNSA_6TensorESF_SF_EERKSF_lbbbEUlllE_EE10hipError_tT0_T1_T2_jT3_P12ihipStream_tbPNSt15iterator_traitsISL_E10value_typeEPNSR_ISM_E10value_typeEPSN_NS1_7vsmem_tEENKUlT_SL_SM_SN_E_clIS8_S8_S9_S9_EESK_S10_SL_SM_SN_EUlS10_E_NS1_11comp_targetILNS1_3genE5ELNS1_11target_archE942ELNS1_3gpuE9ELNS1_3repE0EEENS1_48merge_mergepath_partition_config_static_selectorELNS0_4arch9wavefront6targetE0EEEvSM_,comdat
.Lfunc_end516:
	.size	_ZN7rocprim17ROCPRIM_400000_NS6detail17trampoline_kernelINS0_14default_configENS1_38merge_sort_block_merge_config_selectorIlNS0_10empty_typeEEEZZNS1_27merge_sort_block_merge_implIS3_PlPS5_mZN2at6native12_GLOBAL__N_124unique_dim_cuda_templateIlEESt5tupleIJNSA_6TensorESF_SF_EERKSF_lbbbEUlllE_EE10hipError_tT0_T1_T2_jT3_P12ihipStream_tbPNSt15iterator_traitsISL_E10value_typeEPNSR_ISM_E10value_typeEPSN_NS1_7vsmem_tEENKUlT_SL_SM_SN_E_clIS8_S8_S9_S9_EESK_S10_SL_SM_SN_EUlS10_E_NS1_11comp_targetILNS1_3genE5ELNS1_11target_archE942ELNS1_3gpuE9ELNS1_3repE0EEENS1_48merge_mergepath_partition_config_static_selectorELNS0_4arch9wavefront6targetE0EEEvSM_, .Lfunc_end516-_ZN7rocprim17ROCPRIM_400000_NS6detail17trampoline_kernelINS0_14default_configENS1_38merge_sort_block_merge_config_selectorIlNS0_10empty_typeEEEZZNS1_27merge_sort_block_merge_implIS3_PlPS5_mZN2at6native12_GLOBAL__N_124unique_dim_cuda_templateIlEESt5tupleIJNSA_6TensorESF_SF_EERKSF_lbbbEUlllE_EE10hipError_tT0_T1_T2_jT3_P12ihipStream_tbPNSt15iterator_traitsISL_E10value_typeEPNSR_ISM_E10value_typeEPSN_NS1_7vsmem_tEENKUlT_SL_SM_SN_E_clIS8_S8_S9_S9_EESK_S10_SL_SM_SN_EUlS10_E_NS1_11comp_targetILNS1_3genE5ELNS1_11target_archE942ELNS1_3gpuE9ELNS1_3repE0EEENS1_48merge_mergepath_partition_config_static_selectorELNS0_4arch9wavefront6targetE0EEEvSM_
                                        ; -- End function
	.section	.AMDGPU.csdata,"",@progbits
; Kernel info:
; codeLenInByte = 0
; NumSgprs: 0
; NumVgprs: 0
; ScratchSize: 0
; MemoryBound: 0
; FloatMode: 240
; IeeeMode: 1
; LDSByteSize: 0 bytes/workgroup (compile time only)
; SGPRBlocks: 0
; VGPRBlocks: 0
; NumSGPRsForWavesPerEU: 1
; NumVGPRsForWavesPerEU: 1
; Occupancy: 16
; WaveLimiterHint : 0
; COMPUTE_PGM_RSRC2:SCRATCH_EN: 0
; COMPUTE_PGM_RSRC2:USER_SGPR: 15
; COMPUTE_PGM_RSRC2:TRAP_HANDLER: 0
; COMPUTE_PGM_RSRC2:TGID_X_EN: 1
; COMPUTE_PGM_RSRC2:TGID_Y_EN: 0
; COMPUTE_PGM_RSRC2:TGID_Z_EN: 0
; COMPUTE_PGM_RSRC2:TIDIG_COMP_CNT: 0
	.section	.text._ZN7rocprim17ROCPRIM_400000_NS6detail17trampoline_kernelINS0_14default_configENS1_38merge_sort_block_merge_config_selectorIlNS0_10empty_typeEEEZZNS1_27merge_sort_block_merge_implIS3_PlPS5_mZN2at6native12_GLOBAL__N_124unique_dim_cuda_templateIlEESt5tupleIJNSA_6TensorESF_SF_EERKSF_lbbbEUlllE_EE10hipError_tT0_T1_T2_jT3_P12ihipStream_tbPNSt15iterator_traitsISL_E10value_typeEPNSR_ISM_E10value_typeEPSN_NS1_7vsmem_tEENKUlT_SL_SM_SN_E_clIS8_S8_S9_S9_EESK_S10_SL_SM_SN_EUlS10_E_NS1_11comp_targetILNS1_3genE4ELNS1_11target_archE910ELNS1_3gpuE8ELNS1_3repE0EEENS1_48merge_mergepath_partition_config_static_selectorELNS0_4arch9wavefront6targetE0EEEvSM_,"axG",@progbits,_ZN7rocprim17ROCPRIM_400000_NS6detail17trampoline_kernelINS0_14default_configENS1_38merge_sort_block_merge_config_selectorIlNS0_10empty_typeEEEZZNS1_27merge_sort_block_merge_implIS3_PlPS5_mZN2at6native12_GLOBAL__N_124unique_dim_cuda_templateIlEESt5tupleIJNSA_6TensorESF_SF_EERKSF_lbbbEUlllE_EE10hipError_tT0_T1_T2_jT3_P12ihipStream_tbPNSt15iterator_traitsISL_E10value_typeEPNSR_ISM_E10value_typeEPSN_NS1_7vsmem_tEENKUlT_SL_SM_SN_E_clIS8_S8_S9_S9_EESK_S10_SL_SM_SN_EUlS10_E_NS1_11comp_targetILNS1_3genE4ELNS1_11target_archE910ELNS1_3gpuE8ELNS1_3repE0EEENS1_48merge_mergepath_partition_config_static_selectorELNS0_4arch9wavefront6targetE0EEEvSM_,comdat
	.globl	_ZN7rocprim17ROCPRIM_400000_NS6detail17trampoline_kernelINS0_14default_configENS1_38merge_sort_block_merge_config_selectorIlNS0_10empty_typeEEEZZNS1_27merge_sort_block_merge_implIS3_PlPS5_mZN2at6native12_GLOBAL__N_124unique_dim_cuda_templateIlEESt5tupleIJNSA_6TensorESF_SF_EERKSF_lbbbEUlllE_EE10hipError_tT0_T1_T2_jT3_P12ihipStream_tbPNSt15iterator_traitsISL_E10value_typeEPNSR_ISM_E10value_typeEPSN_NS1_7vsmem_tEENKUlT_SL_SM_SN_E_clIS8_S8_S9_S9_EESK_S10_SL_SM_SN_EUlS10_E_NS1_11comp_targetILNS1_3genE4ELNS1_11target_archE910ELNS1_3gpuE8ELNS1_3repE0EEENS1_48merge_mergepath_partition_config_static_selectorELNS0_4arch9wavefront6targetE0EEEvSM_ ; -- Begin function _ZN7rocprim17ROCPRIM_400000_NS6detail17trampoline_kernelINS0_14default_configENS1_38merge_sort_block_merge_config_selectorIlNS0_10empty_typeEEEZZNS1_27merge_sort_block_merge_implIS3_PlPS5_mZN2at6native12_GLOBAL__N_124unique_dim_cuda_templateIlEESt5tupleIJNSA_6TensorESF_SF_EERKSF_lbbbEUlllE_EE10hipError_tT0_T1_T2_jT3_P12ihipStream_tbPNSt15iterator_traitsISL_E10value_typeEPNSR_ISM_E10value_typeEPSN_NS1_7vsmem_tEENKUlT_SL_SM_SN_E_clIS8_S8_S9_S9_EESK_S10_SL_SM_SN_EUlS10_E_NS1_11comp_targetILNS1_3genE4ELNS1_11target_archE910ELNS1_3gpuE8ELNS1_3repE0EEENS1_48merge_mergepath_partition_config_static_selectorELNS0_4arch9wavefront6targetE0EEEvSM_
	.p2align	8
	.type	_ZN7rocprim17ROCPRIM_400000_NS6detail17trampoline_kernelINS0_14default_configENS1_38merge_sort_block_merge_config_selectorIlNS0_10empty_typeEEEZZNS1_27merge_sort_block_merge_implIS3_PlPS5_mZN2at6native12_GLOBAL__N_124unique_dim_cuda_templateIlEESt5tupleIJNSA_6TensorESF_SF_EERKSF_lbbbEUlllE_EE10hipError_tT0_T1_T2_jT3_P12ihipStream_tbPNSt15iterator_traitsISL_E10value_typeEPNSR_ISM_E10value_typeEPSN_NS1_7vsmem_tEENKUlT_SL_SM_SN_E_clIS8_S8_S9_S9_EESK_S10_SL_SM_SN_EUlS10_E_NS1_11comp_targetILNS1_3genE4ELNS1_11target_archE910ELNS1_3gpuE8ELNS1_3repE0EEENS1_48merge_mergepath_partition_config_static_selectorELNS0_4arch9wavefront6targetE0EEEvSM_,@function
_ZN7rocprim17ROCPRIM_400000_NS6detail17trampoline_kernelINS0_14default_configENS1_38merge_sort_block_merge_config_selectorIlNS0_10empty_typeEEEZZNS1_27merge_sort_block_merge_implIS3_PlPS5_mZN2at6native12_GLOBAL__N_124unique_dim_cuda_templateIlEESt5tupleIJNSA_6TensorESF_SF_EERKSF_lbbbEUlllE_EE10hipError_tT0_T1_T2_jT3_P12ihipStream_tbPNSt15iterator_traitsISL_E10value_typeEPNSR_ISM_E10value_typeEPSN_NS1_7vsmem_tEENKUlT_SL_SM_SN_E_clIS8_S8_S9_S9_EESK_S10_SL_SM_SN_EUlS10_E_NS1_11comp_targetILNS1_3genE4ELNS1_11target_archE910ELNS1_3gpuE8ELNS1_3repE0EEENS1_48merge_mergepath_partition_config_static_selectorELNS0_4arch9wavefront6targetE0EEEvSM_: ; @_ZN7rocprim17ROCPRIM_400000_NS6detail17trampoline_kernelINS0_14default_configENS1_38merge_sort_block_merge_config_selectorIlNS0_10empty_typeEEEZZNS1_27merge_sort_block_merge_implIS3_PlPS5_mZN2at6native12_GLOBAL__N_124unique_dim_cuda_templateIlEESt5tupleIJNSA_6TensorESF_SF_EERKSF_lbbbEUlllE_EE10hipError_tT0_T1_T2_jT3_P12ihipStream_tbPNSt15iterator_traitsISL_E10value_typeEPNSR_ISM_E10value_typeEPSN_NS1_7vsmem_tEENKUlT_SL_SM_SN_E_clIS8_S8_S9_S9_EESK_S10_SL_SM_SN_EUlS10_E_NS1_11comp_targetILNS1_3genE4ELNS1_11target_archE910ELNS1_3gpuE8ELNS1_3repE0EEENS1_48merge_mergepath_partition_config_static_selectorELNS0_4arch9wavefront6targetE0EEEvSM_
; %bb.0:
	.section	.rodata,"a",@progbits
	.p2align	6, 0x0
	.amdhsa_kernel _ZN7rocprim17ROCPRIM_400000_NS6detail17trampoline_kernelINS0_14default_configENS1_38merge_sort_block_merge_config_selectorIlNS0_10empty_typeEEEZZNS1_27merge_sort_block_merge_implIS3_PlPS5_mZN2at6native12_GLOBAL__N_124unique_dim_cuda_templateIlEESt5tupleIJNSA_6TensorESF_SF_EERKSF_lbbbEUlllE_EE10hipError_tT0_T1_T2_jT3_P12ihipStream_tbPNSt15iterator_traitsISL_E10value_typeEPNSR_ISM_E10value_typeEPSN_NS1_7vsmem_tEENKUlT_SL_SM_SN_E_clIS8_S8_S9_S9_EESK_S10_SL_SM_SN_EUlS10_E_NS1_11comp_targetILNS1_3genE4ELNS1_11target_archE910ELNS1_3gpuE8ELNS1_3repE0EEENS1_48merge_mergepath_partition_config_static_selectorELNS0_4arch9wavefront6targetE0EEEvSM_
		.amdhsa_group_segment_fixed_size 0
		.amdhsa_private_segment_fixed_size 0
		.amdhsa_kernarg_size 56
		.amdhsa_user_sgpr_count 15
		.amdhsa_user_sgpr_dispatch_ptr 0
		.amdhsa_user_sgpr_queue_ptr 0
		.amdhsa_user_sgpr_kernarg_segment_ptr 1
		.amdhsa_user_sgpr_dispatch_id 0
		.amdhsa_user_sgpr_private_segment_size 0
		.amdhsa_wavefront_size32 1
		.amdhsa_uses_dynamic_stack 0
		.amdhsa_enable_private_segment 0
		.amdhsa_system_sgpr_workgroup_id_x 1
		.amdhsa_system_sgpr_workgroup_id_y 0
		.amdhsa_system_sgpr_workgroup_id_z 0
		.amdhsa_system_sgpr_workgroup_info 0
		.amdhsa_system_vgpr_workitem_id 0
		.amdhsa_next_free_vgpr 1
		.amdhsa_next_free_sgpr 1
		.amdhsa_reserve_vcc 0
		.amdhsa_float_round_mode_32 0
		.amdhsa_float_round_mode_16_64 0
		.amdhsa_float_denorm_mode_32 3
		.amdhsa_float_denorm_mode_16_64 3
		.amdhsa_dx10_clamp 1
		.amdhsa_ieee_mode 1
		.amdhsa_fp16_overflow 0
		.amdhsa_workgroup_processor_mode 1
		.amdhsa_memory_ordered 1
		.amdhsa_forward_progress 0
		.amdhsa_shared_vgpr_count 0
		.amdhsa_exception_fp_ieee_invalid_op 0
		.amdhsa_exception_fp_denorm_src 0
		.amdhsa_exception_fp_ieee_div_zero 0
		.amdhsa_exception_fp_ieee_overflow 0
		.amdhsa_exception_fp_ieee_underflow 0
		.amdhsa_exception_fp_ieee_inexact 0
		.amdhsa_exception_int_div_zero 0
	.end_amdhsa_kernel
	.section	.text._ZN7rocprim17ROCPRIM_400000_NS6detail17trampoline_kernelINS0_14default_configENS1_38merge_sort_block_merge_config_selectorIlNS0_10empty_typeEEEZZNS1_27merge_sort_block_merge_implIS3_PlPS5_mZN2at6native12_GLOBAL__N_124unique_dim_cuda_templateIlEESt5tupleIJNSA_6TensorESF_SF_EERKSF_lbbbEUlllE_EE10hipError_tT0_T1_T2_jT3_P12ihipStream_tbPNSt15iterator_traitsISL_E10value_typeEPNSR_ISM_E10value_typeEPSN_NS1_7vsmem_tEENKUlT_SL_SM_SN_E_clIS8_S8_S9_S9_EESK_S10_SL_SM_SN_EUlS10_E_NS1_11comp_targetILNS1_3genE4ELNS1_11target_archE910ELNS1_3gpuE8ELNS1_3repE0EEENS1_48merge_mergepath_partition_config_static_selectorELNS0_4arch9wavefront6targetE0EEEvSM_,"axG",@progbits,_ZN7rocprim17ROCPRIM_400000_NS6detail17trampoline_kernelINS0_14default_configENS1_38merge_sort_block_merge_config_selectorIlNS0_10empty_typeEEEZZNS1_27merge_sort_block_merge_implIS3_PlPS5_mZN2at6native12_GLOBAL__N_124unique_dim_cuda_templateIlEESt5tupleIJNSA_6TensorESF_SF_EERKSF_lbbbEUlllE_EE10hipError_tT0_T1_T2_jT3_P12ihipStream_tbPNSt15iterator_traitsISL_E10value_typeEPNSR_ISM_E10value_typeEPSN_NS1_7vsmem_tEENKUlT_SL_SM_SN_E_clIS8_S8_S9_S9_EESK_S10_SL_SM_SN_EUlS10_E_NS1_11comp_targetILNS1_3genE4ELNS1_11target_archE910ELNS1_3gpuE8ELNS1_3repE0EEENS1_48merge_mergepath_partition_config_static_selectorELNS0_4arch9wavefront6targetE0EEEvSM_,comdat
.Lfunc_end517:
	.size	_ZN7rocprim17ROCPRIM_400000_NS6detail17trampoline_kernelINS0_14default_configENS1_38merge_sort_block_merge_config_selectorIlNS0_10empty_typeEEEZZNS1_27merge_sort_block_merge_implIS3_PlPS5_mZN2at6native12_GLOBAL__N_124unique_dim_cuda_templateIlEESt5tupleIJNSA_6TensorESF_SF_EERKSF_lbbbEUlllE_EE10hipError_tT0_T1_T2_jT3_P12ihipStream_tbPNSt15iterator_traitsISL_E10value_typeEPNSR_ISM_E10value_typeEPSN_NS1_7vsmem_tEENKUlT_SL_SM_SN_E_clIS8_S8_S9_S9_EESK_S10_SL_SM_SN_EUlS10_E_NS1_11comp_targetILNS1_3genE4ELNS1_11target_archE910ELNS1_3gpuE8ELNS1_3repE0EEENS1_48merge_mergepath_partition_config_static_selectorELNS0_4arch9wavefront6targetE0EEEvSM_, .Lfunc_end517-_ZN7rocprim17ROCPRIM_400000_NS6detail17trampoline_kernelINS0_14default_configENS1_38merge_sort_block_merge_config_selectorIlNS0_10empty_typeEEEZZNS1_27merge_sort_block_merge_implIS3_PlPS5_mZN2at6native12_GLOBAL__N_124unique_dim_cuda_templateIlEESt5tupleIJNSA_6TensorESF_SF_EERKSF_lbbbEUlllE_EE10hipError_tT0_T1_T2_jT3_P12ihipStream_tbPNSt15iterator_traitsISL_E10value_typeEPNSR_ISM_E10value_typeEPSN_NS1_7vsmem_tEENKUlT_SL_SM_SN_E_clIS8_S8_S9_S9_EESK_S10_SL_SM_SN_EUlS10_E_NS1_11comp_targetILNS1_3genE4ELNS1_11target_archE910ELNS1_3gpuE8ELNS1_3repE0EEENS1_48merge_mergepath_partition_config_static_selectorELNS0_4arch9wavefront6targetE0EEEvSM_
                                        ; -- End function
	.section	.AMDGPU.csdata,"",@progbits
; Kernel info:
; codeLenInByte = 0
; NumSgprs: 0
; NumVgprs: 0
; ScratchSize: 0
; MemoryBound: 0
; FloatMode: 240
; IeeeMode: 1
; LDSByteSize: 0 bytes/workgroup (compile time only)
; SGPRBlocks: 0
; VGPRBlocks: 0
; NumSGPRsForWavesPerEU: 1
; NumVGPRsForWavesPerEU: 1
; Occupancy: 16
; WaveLimiterHint : 0
; COMPUTE_PGM_RSRC2:SCRATCH_EN: 0
; COMPUTE_PGM_RSRC2:USER_SGPR: 15
; COMPUTE_PGM_RSRC2:TRAP_HANDLER: 0
; COMPUTE_PGM_RSRC2:TGID_X_EN: 1
; COMPUTE_PGM_RSRC2:TGID_Y_EN: 0
; COMPUTE_PGM_RSRC2:TGID_Z_EN: 0
; COMPUTE_PGM_RSRC2:TIDIG_COMP_CNT: 0
	.section	.text._ZN7rocprim17ROCPRIM_400000_NS6detail17trampoline_kernelINS0_14default_configENS1_38merge_sort_block_merge_config_selectorIlNS0_10empty_typeEEEZZNS1_27merge_sort_block_merge_implIS3_PlPS5_mZN2at6native12_GLOBAL__N_124unique_dim_cuda_templateIlEESt5tupleIJNSA_6TensorESF_SF_EERKSF_lbbbEUlllE_EE10hipError_tT0_T1_T2_jT3_P12ihipStream_tbPNSt15iterator_traitsISL_E10value_typeEPNSR_ISM_E10value_typeEPSN_NS1_7vsmem_tEENKUlT_SL_SM_SN_E_clIS8_S8_S9_S9_EESK_S10_SL_SM_SN_EUlS10_E_NS1_11comp_targetILNS1_3genE3ELNS1_11target_archE908ELNS1_3gpuE7ELNS1_3repE0EEENS1_48merge_mergepath_partition_config_static_selectorELNS0_4arch9wavefront6targetE0EEEvSM_,"axG",@progbits,_ZN7rocprim17ROCPRIM_400000_NS6detail17trampoline_kernelINS0_14default_configENS1_38merge_sort_block_merge_config_selectorIlNS0_10empty_typeEEEZZNS1_27merge_sort_block_merge_implIS3_PlPS5_mZN2at6native12_GLOBAL__N_124unique_dim_cuda_templateIlEESt5tupleIJNSA_6TensorESF_SF_EERKSF_lbbbEUlllE_EE10hipError_tT0_T1_T2_jT3_P12ihipStream_tbPNSt15iterator_traitsISL_E10value_typeEPNSR_ISM_E10value_typeEPSN_NS1_7vsmem_tEENKUlT_SL_SM_SN_E_clIS8_S8_S9_S9_EESK_S10_SL_SM_SN_EUlS10_E_NS1_11comp_targetILNS1_3genE3ELNS1_11target_archE908ELNS1_3gpuE7ELNS1_3repE0EEENS1_48merge_mergepath_partition_config_static_selectorELNS0_4arch9wavefront6targetE0EEEvSM_,comdat
	.globl	_ZN7rocprim17ROCPRIM_400000_NS6detail17trampoline_kernelINS0_14default_configENS1_38merge_sort_block_merge_config_selectorIlNS0_10empty_typeEEEZZNS1_27merge_sort_block_merge_implIS3_PlPS5_mZN2at6native12_GLOBAL__N_124unique_dim_cuda_templateIlEESt5tupleIJNSA_6TensorESF_SF_EERKSF_lbbbEUlllE_EE10hipError_tT0_T1_T2_jT3_P12ihipStream_tbPNSt15iterator_traitsISL_E10value_typeEPNSR_ISM_E10value_typeEPSN_NS1_7vsmem_tEENKUlT_SL_SM_SN_E_clIS8_S8_S9_S9_EESK_S10_SL_SM_SN_EUlS10_E_NS1_11comp_targetILNS1_3genE3ELNS1_11target_archE908ELNS1_3gpuE7ELNS1_3repE0EEENS1_48merge_mergepath_partition_config_static_selectorELNS0_4arch9wavefront6targetE0EEEvSM_ ; -- Begin function _ZN7rocprim17ROCPRIM_400000_NS6detail17trampoline_kernelINS0_14default_configENS1_38merge_sort_block_merge_config_selectorIlNS0_10empty_typeEEEZZNS1_27merge_sort_block_merge_implIS3_PlPS5_mZN2at6native12_GLOBAL__N_124unique_dim_cuda_templateIlEESt5tupleIJNSA_6TensorESF_SF_EERKSF_lbbbEUlllE_EE10hipError_tT0_T1_T2_jT3_P12ihipStream_tbPNSt15iterator_traitsISL_E10value_typeEPNSR_ISM_E10value_typeEPSN_NS1_7vsmem_tEENKUlT_SL_SM_SN_E_clIS8_S8_S9_S9_EESK_S10_SL_SM_SN_EUlS10_E_NS1_11comp_targetILNS1_3genE3ELNS1_11target_archE908ELNS1_3gpuE7ELNS1_3repE0EEENS1_48merge_mergepath_partition_config_static_selectorELNS0_4arch9wavefront6targetE0EEEvSM_
	.p2align	8
	.type	_ZN7rocprim17ROCPRIM_400000_NS6detail17trampoline_kernelINS0_14default_configENS1_38merge_sort_block_merge_config_selectorIlNS0_10empty_typeEEEZZNS1_27merge_sort_block_merge_implIS3_PlPS5_mZN2at6native12_GLOBAL__N_124unique_dim_cuda_templateIlEESt5tupleIJNSA_6TensorESF_SF_EERKSF_lbbbEUlllE_EE10hipError_tT0_T1_T2_jT3_P12ihipStream_tbPNSt15iterator_traitsISL_E10value_typeEPNSR_ISM_E10value_typeEPSN_NS1_7vsmem_tEENKUlT_SL_SM_SN_E_clIS8_S8_S9_S9_EESK_S10_SL_SM_SN_EUlS10_E_NS1_11comp_targetILNS1_3genE3ELNS1_11target_archE908ELNS1_3gpuE7ELNS1_3repE0EEENS1_48merge_mergepath_partition_config_static_selectorELNS0_4arch9wavefront6targetE0EEEvSM_,@function
_ZN7rocprim17ROCPRIM_400000_NS6detail17trampoline_kernelINS0_14default_configENS1_38merge_sort_block_merge_config_selectorIlNS0_10empty_typeEEEZZNS1_27merge_sort_block_merge_implIS3_PlPS5_mZN2at6native12_GLOBAL__N_124unique_dim_cuda_templateIlEESt5tupleIJNSA_6TensorESF_SF_EERKSF_lbbbEUlllE_EE10hipError_tT0_T1_T2_jT3_P12ihipStream_tbPNSt15iterator_traitsISL_E10value_typeEPNSR_ISM_E10value_typeEPSN_NS1_7vsmem_tEENKUlT_SL_SM_SN_E_clIS8_S8_S9_S9_EESK_S10_SL_SM_SN_EUlS10_E_NS1_11comp_targetILNS1_3genE3ELNS1_11target_archE908ELNS1_3gpuE7ELNS1_3repE0EEENS1_48merge_mergepath_partition_config_static_selectorELNS0_4arch9wavefront6targetE0EEEvSM_: ; @_ZN7rocprim17ROCPRIM_400000_NS6detail17trampoline_kernelINS0_14default_configENS1_38merge_sort_block_merge_config_selectorIlNS0_10empty_typeEEEZZNS1_27merge_sort_block_merge_implIS3_PlPS5_mZN2at6native12_GLOBAL__N_124unique_dim_cuda_templateIlEESt5tupleIJNSA_6TensorESF_SF_EERKSF_lbbbEUlllE_EE10hipError_tT0_T1_T2_jT3_P12ihipStream_tbPNSt15iterator_traitsISL_E10value_typeEPNSR_ISM_E10value_typeEPSN_NS1_7vsmem_tEENKUlT_SL_SM_SN_E_clIS8_S8_S9_S9_EESK_S10_SL_SM_SN_EUlS10_E_NS1_11comp_targetILNS1_3genE3ELNS1_11target_archE908ELNS1_3gpuE7ELNS1_3repE0EEENS1_48merge_mergepath_partition_config_static_selectorELNS0_4arch9wavefront6targetE0EEEvSM_
; %bb.0:
	.section	.rodata,"a",@progbits
	.p2align	6, 0x0
	.amdhsa_kernel _ZN7rocprim17ROCPRIM_400000_NS6detail17trampoline_kernelINS0_14default_configENS1_38merge_sort_block_merge_config_selectorIlNS0_10empty_typeEEEZZNS1_27merge_sort_block_merge_implIS3_PlPS5_mZN2at6native12_GLOBAL__N_124unique_dim_cuda_templateIlEESt5tupleIJNSA_6TensorESF_SF_EERKSF_lbbbEUlllE_EE10hipError_tT0_T1_T2_jT3_P12ihipStream_tbPNSt15iterator_traitsISL_E10value_typeEPNSR_ISM_E10value_typeEPSN_NS1_7vsmem_tEENKUlT_SL_SM_SN_E_clIS8_S8_S9_S9_EESK_S10_SL_SM_SN_EUlS10_E_NS1_11comp_targetILNS1_3genE3ELNS1_11target_archE908ELNS1_3gpuE7ELNS1_3repE0EEENS1_48merge_mergepath_partition_config_static_selectorELNS0_4arch9wavefront6targetE0EEEvSM_
		.amdhsa_group_segment_fixed_size 0
		.amdhsa_private_segment_fixed_size 0
		.amdhsa_kernarg_size 56
		.amdhsa_user_sgpr_count 15
		.amdhsa_user_sgpr_dispatch_ptr 0
		.amdhsa_user_sgpr_queue_ptr 0
		.amdhsa_user_sgpr_kernarg_segment_ptr 1
		.amdhsa_user_sgpr_dispatch_id 0
		.amdhsa_user_sgpr_private_segment_size 0
		.amdhsa_wavefront_size32 1
		.amdhsa_uses_dynamic_stack 0
		.amdhsa_enable_private_segment 0
		.amdhsa_system_sgpr_workgroup_id_x 1
		.amdhsa_system_sgpr_workgroup_id_y 0
		.amdhsa_system_sgpr_workgroup_id_z 0
		.amdhsa_system_sgpr_workgroup_info 0
		.amdhsa_system_vgpr_workitem_id 0
		.amdhsa_next_free_vgpr 1
		.amdhsa_next_free_sgpr 1
		.amdhsa_reserve_vcc 0
		.amdhsa_float_round_mode_32 0
		.amdhsa_float_round_mode_16_64 0
		.amdhsa_float_denorm_mode_32 3
		.amdhsa_float_denorm_mode_16_64 3
		.amdhsa_dx10_clamp 1
		.amdhsa_ieee_mode 1
		.amdhsa_fp16_overflow 0
		.amdhsa_workgroup_processor_mode 1
		.amdhsa_memory_ordered 1
		.amdhsa_forward_progress 0
		.amdhsa_shared_vgpr_count 0
		.amdhsa_exception_fp_ieee_invalid_op 0
		.amdhsa_exception_fp_denorm_src 0
		.amdhsa_exception_fp_ieee_div_zero 0
		.amdhsa_exception_fp_ieee_overflow 0
		.amdhsa_exception_fp_ieee_underflow 0
		.amdhsa_exception_fp_ieee_inexact 0
		.amdhsa_exception_int_div_zero 0
	.end_amdhsa_kernel
	.section	.text._ZN7rocprim17ROCPRIM_400000_NS6detail17trampoline_kernelINS0_14default_configENS1_38merge_sort_block_merge_config_selectorIlNS0_10empty_typeEEEZZNS1_27merge_sort_block_merge_implIS3_PlPS5_mZN2at6native12_GLOBAL__N_124unique_dim_cuda_templateIlEESt5tupleIJNSA_6TensorESF_SF_EERKSF_lbbbEUlllE_EE10hipError_tT0_T1_T2_jT3_P12ihipStream_tbPNSt15iterator_traitsISL_E10value_typeEPNSR_ISM_E10value_typeEPSN_NS1_7vsmem_tEENKUlT_SL_SM_SN_E_clIS8_S8_S9_S9_EESK_S10_SL_SM_SN_EUlS10_E_NS1_11comp_targetILNS1_3genE3ELNS1_11target_archE908ELNS1_3gpuE7ELNS1_3repE0EEENS1_48merge_mergepath_partition_config_static_selectorELNS0_4arch9wavefront6targetE0EEEvSM_,"axG",@progbits,_ZN7rocprim17ROCPRIM_400000_NS6detail17trampoline_kernelINS0_14default_configENS1_38merge_sort_block_merge_config_selectorIlNS0_10empty_typeEEEZZNS1_27merge_sort_block_merge_implIS3_PlPS5_mZN2at6native12_GLOBAL__N_124unique_dim_cuda_templateIlEESt5tupleIJNSA_6TensorESF_SF_EERKSF_lbbbEUlllE_EE10hipError_tT0_T1_T2_jT3_P12ihipStream_tbPNSt15iterator_traitsISL_E10value_typeEPNSR_ISM_E10value_typeEPSN_NS1_7vsmem_tEENKUlT_SL_SM_SN_E_clIS8_S8_S9_S9_EESK_S10_SL_SM_SN_EUlS10_E_NS1_11comp_targetILNS1_3genE3ELNS1_11target_archE908ELNS1_3gpuE7ELNS1_3repE0EEENS1_48merge_mergepath_partition_config_static_selectorELNS0_4arch9wavefront6targetE0EEEvSM_,comdat
.Lfunc_end518:
	.size	_ZN7rocprim17ROCPRIM_400000_NS6detail17trampoline_kernelINS0_14default_configENS1_38merge_sort_block_merge_config_selectorIlNS0_10empty_typeEEEZZNS1_27merge_sort_block_merge_implIS3_PlPS5_mZN2at6native12_GLOBAL__N_124unique_dim_cuda_templateIlEESt5tupleIJNSA_6TensorESF_SF_EERKSF_lbbbEUlllE_EE10hipError_tT0_T1_T2_jT3_P12ihipStream_tbPNSt15iterator_traitsISL_E10value_typeEPNSR_ISM_E10value_typeEPSN_NS1_7vsmem_tEENKUlT_SL_SM_SN_E_clIS8_S8_S9_S9_EESK_S10_SL_SM_SN_EUlS10_E_NS1_11comp_targetILNS1_3genE3ELNS1_11target_archE908ELNS1_3gpuE7ELNS1_3repE0EEENS1_48merge_mergepath_partition_config_static_selectorELNS0_4arch9wavefront6targetE0EEEvSM_, .Lfunc_end518-_ZN7rocprim17ROCPRIM_400000_NS6detail17trampoline_kernelINS0_14default_configENS1_38merge_sort_block_merge_config_selectorIlNS0_10empty_typeEEEZZNS1_27merge_sort_block_merge_implIS3_PlPS5_mZN2at6native12_GLOBAL__N_124unique_dim_cuda_templateIlEESt5tupleIJNSA_6TensorESF_SF_EERKSF_lbbbEUlllE_EE10hipError_tT0_T1_T2_jT3_P12ihipStream_tbPNSt15iterator_traitsISL_E10value_typeEPNSR_ISM_E10value_typeEPSN_NS1_7vsmem_tEENKUlT_SL_SM_SN_E_clIS8_S8_S9_S9_EESK_S10_SL_SM_SN_EUlS10_E_NS1_11comp_targetILNS1_3genE3ELNS1_11target_archE908ELNS1_3gpuE7ELNS1_3repE0EEENS1_48merge_mergepath_partition_config_static_selectorELNS0_4arch9wavefront6targetE0EEEvSM_
                                        ; -- End function
	.section	.AMDGPU.csdata,"",@progbits
; Kernel info:
; codeLenInByte = 0
; NumSgprs: 0
; NumVgprs: 0
; ScratchSize: 0
; MemoryBound: 0
; FloatMode: 240
; IeeeMode: 1
; LDSByteSize: 0 bytes/workgroup (compile time only)
; SGPRBlocks: 0
; VGPRBlocks: 0
; NumSGPRsForWavesPerEU: 1
; NumVGPRsForWavesPerEU: 1
; Occupancy: 16
; WaveLimiterHint : 0
; COMPUTE_PGM_RSRC2:SCRATCH_EN: 0
; COMPUTE_PGM_RSRC2:USER_SGPR: 15
; COMPUTE_PGM_RSRC2:TRAP_HANDLER: 0
; COMPUTE_PGM_RSRC2:TGID_X_EN: 1
; COMPUTE_PGM_RSRC2:TGID_Y_EN: 0
; COMPUTE_PGM_RSRC2:TGID_Z_EN: 0
; COMPUTE_PGM_RSRC2:TIDIG_COMP_CNT: 0
	.section	.text._ZN7rocprim17ROCPRIM_400000_NS6detail17trampoline_kernelINS0_14default_configENS1_38merge_sort_block_merge_config_selectorIlNS0_10empty_typeEEEZZNS1_27merge_sort_block_merge_implIS3_PlPS5_mZN2at6native12_GLOBAL__N_124unique_dim_cuda_templateIlEESt5tupleIJNSA_6TensorESF_SF_EERKSF_lbbbEUlllE_EE10hipError_tT0_T1_T2_jT3_P12ihipStream_tbPNSt15iterator_traitsISL_E10value_typeEPNSR_ISM_E10value_typeEPSN_NS1_7vsmem_tEENKUlT_SL_SM_SN_E_clIS8_S8_S9_S9_EESK_S10_SL_SM_SN_EUlS10_E_NS1_11comp_targetILNS1_3genE2ELNS1_11target_archE906ELNS1_3gpuE6ELNS1_3repE0EEENS1_48merge_mergepath_partition_config_static_selectorELNS0_4arch9wavefront6targetE0EEEvSM_,"axG",@progbits,_ZN7rocprim17ROCPRIM_400000_NS6detail17trampoline_kernelINS0_14default_configENS1_38merge_sort_block_merge_config_selectorIlNS0_10empty_typeEEEZZNS1_27merge_sort_block_merge_implIS3_PlPS5_mZN2at6native12_GLOBAL__N_124unique_dim_cuda_templateIlEESt5tupleIJNSA_6TensorESF_SF_EERKSF_lbbbEUlllE_EE10hipError_tT0_T1_T2_jT3_P12ihipStream_tbPNSt15iterator_traitsISL_E10value_typeEPNSR_ISM_E10value_typeEPSN_NS1_7vsmem_tEENKUlT_SL_SM_SN_E_clIS8_S8_S9_S9_EESK_S10_SL_SM_SN_EUlS10_E_NS1_11comp_targetILNS1_3genE2ELNS1_11target_archE906ELNS1_3gpuE6ELNS1_3repE0EEENS1_48merge_mergepath_partition_config_static_selectorELNS0_4arch9wavefront6targetE0EEEvSM_,comdat
	.globl	_ZN7rocprim17ROCPRIM_400000_NS6detail17trampoline_kernelINS0_14default_configENS1_38merge_sort_block_merge_config_selectorIlNS0_10empty_typeEEEZZNS1_27merge_sort_block_merge_implIS3_PlPS5_mZN2at6native12_GLOBAL__N_124unique_dim_cuda_templateIlEESt5tupleIJNSA_6TensorESF_SF_EERKSF_lbbbEUlllE_EE10hipError_tT0_T1_T2_jT3_P12ihipStream_tbPNSt15iterator_traitsISL_E10value_typeEPNSR_ISM_E10value_typeEPSN_NS1_7vsmem_tEENKUlT_SL_SM_SN_E_clIS8_S8_S9_S9_EESK_S10_SL_SM_SN_EUlS10_E_NS1_11comp_targetILNS1_3genE2ELNS1_11target_archE906ELNS1_3gpuE6ELNS1_3repE0EEENS1_48merge_mergepath_partition_config_static_selectorELNS0_4arch9wavefront6targetE0EEEvSM_ ; -- Begin function _ZN7rocprim17ROCPRIM_400000_NS6detail17trampoline_kernelINS0_14default_configENS1_38merge_sort_block_merge_config_selectorIlNS0_10empty_typeEEEZZNS1_27merge_sort_block_merge_implIS3_PlPS5_mZN2at6native12_GLOBAL__N_124unique_dim_cuda_templateIlEESt5tupleIJNSA_6TensorESF_SF_EERKSF_lbbbEUlllE_EE10hipError_tT0_T1_T2_jT3_P12ihipStream_tbPNSt15iterator_traitsISL_E10value_typeEPNSR_ISM_E10value_typeEPSN_NS1_7vsmem_tEENKUlT_SL_SM_SN_E_clIS8_S8_S9_S9_EESK_S10_SL_SM_SN_EUlS10_E_NS1_11comp_targetILNS1_3genE2ELNS1_11target_archE906ELNS1_3gpuE6ELNS1_3repE0EEENS1_48merge_mergepath_partition_config_static_selectorELNS0_4arch9wavefront6targetE0EEEvSM_
	.p2align	8
	.type	_ZN7rocprim17ROCPRIM_400000_NS6detail17trampoline_kernelINS0_14default_configENS1_38merge_sort_block_merge_config_selectorIlNS0_10empty_typeEEEZZNS1_27merge_sort_block_merge_implIS3_PlPS5_mZN2at6native12_GLOBAL__N_124unique_dim_cuda_templateIlEESt5tupleIJNSA_6TensorESF_SF_EERKSF_lbbbEUlllE_EE10hipError_tT0_T1_T2_jT3_P12ihipStream_tbPNSt15iterator_traitsISL_E10value_typeEPNSR_ISM_E10value_typeEPSN_NS1_7vsmem_tEENKUlT_SL_SM_SN_E_clIS8_S8_S9_S9_EESK_S10_SL_SM_SN_EUlS10_E_NS1_11comp_targetILNS1_3genE2ELNS1_11target_archE906ELNS1_3gpuE6ELNS1_3repE0EEENS1_48merge_mergepath_partition_config_static_selectorELNS0_4arch9wavefront6targetE0EEEvSM_,@function
_ZN7rocprim17ROCPRIM_400000_NS6detail17trampoline_kernelINS0_14default_configENS1_38merge_sort_block_merge_config_selectorIlNS0_10empty_typeEEEZZNS1_27merge_sort_block_merge_implIS3_PlPS5_mZN2at6native12_GLOBAL__N_124unique_dim_cuda_templateIlEESt5tupleIJNSA_6TensorESF_SF_EERKSF_lbbbEUlllE_EE10hipError_tT0_T1_T2_jT3_P12ihipStream_tbPNSt15iterator_traitsISL_E10value_typeEPNSR_ISM_E10value_typeEPSN_NS1_7vsmem_tEENKUlT_SL_SM_SN_E_clIS8_S8_S9_S9_EESK_S10_SL_SM_SN_EUlS10_E_NS1_11comp_targetILNS1_3genE2ELNS1_11target_archE906ELNS1_3gpuE6ELNS1_3repE0EEENS1_48merge_mergepath_partition_config_static_selectorELNS0_4arch9wavefront6targetE0EEEvSM_: ; @_ZN7rocprim17ROCPRIM_400000_NS6detail17trampoline_kernelINS0_14default_configENS1_38merge_sort_block_merge_config_selectorIlNS0_10empty_typeEEEZZNS1_27merge_sort_block_merge_implIS3_PlPS5_mZN2at6native12_GLOBAL__N_124unique_dim_cuda_templateIlEESt5tupleIJNSA_6TensorESF_SF_EERKSF_lbbbEUlllE_EE10hipError_tT0_T1_T2_jT3_P12ihipStream_tbPNSt15iterator_traitsISL_E10value_typeEPNSR_ISM_E10value_typeEPSN_NS1_7vsmem_tEENKUlT_SL_SM_SN_E_clIS8_S8_S9_S9_EESK_S10_SL_SM_SN_EUlS10_E_NS1_11comp_targetILNS1_3genE2ELNS1_11target_archE906ELNS1_3gpuE6ELNS1_3repE0EEENS1_48merge_mergepath_partition_config_static_selectorELNS0_4arch9wavefront6targetE0EEEvSM_
; %bb.0:
	.section	.rodata,"a",@progbits
	.p2align	6, 0x0
	.amdhsa_kernel _ZN7rocprim17ROCPRIM_400000_NS6detail17trampoline_kernelINS0_14default_configENS1_38merge_sort_block_merge_config_selectorIlNS0_10empty_typeEEEZZNS1_27merge_sort_block_merge_implIS3_PlPS5_mZN2at6native12_GLOBAL__N_124unique_dim_cuda_templateIlEESt5tupleIJNSA_6TensorESF_SF_EERKSF_lbbbEUlllE_EE10hipError_tT0_T1_T2_jT3_P12ihipStream_tbPNSt15iterator_traitsISL_E10value_typeEPNSR_ISM_E10value_typeEPSN_NS1_7vsmem_tEENKUlT_SL_SM_SN_E_clIS8_S8_S9_S9_EESK_S10_SL_SM_SN_EUlS10_E_NS1_11comp_targetILNS1_3genE2ELNS1_11target_archE906ELNS1_3gpuE6ELNS1_3repE0EEENS1_48merge_mergepath_partition_config_static_selectorELNS0_4arch9wavefront6targetE0EEEvSM_
		.amdhsa_group_segment_fixed_size 0
		.amdhsa_private_segment_fixed_size 0
		.amdhsa_kernarg_size 56
		.amdhsa_user_sgpr_count 15
		.amdhsa_user_sgpr_dispatch_ptr 0
		.amdhsa_user_sgpr_queue_ptr 0
		.amdhsa_user_sgpr_kernarg_segment_ptr 1
		.amdhsa_user_sgpr_dispatch_id 0
		.amdhsa_user_sgpr_private_segment_size 0
		.amdhsa_wavefront_size32 1
		.amdhsa_uses_dynamic_stack 0
		.amdhsa_enable_private_segment 0
		.amdhsa_system_sgpr_workgroup_id_x 1
		.amdhsa_system_sgpr_workgroup_id_y 0
		.amdhsa_system_sgpr_workgroup_id_z 0
		.amdhsa_system_sgpr_workgroup_info 0
		.amdhsa_system_vgpr_workitem_id 0
		.amdhsa_next_free_vgpr 1
		.amdhsa_next_free_sgpr 1
		.amdhsa_reserve_vcc 0
		.amdhsa_float_round_mode_32 0
		.amdhsa_float_round_mode_16_64 0
		.amdhsa_float_denorm_mode_32 3
		.amdhsa_float_denorm_mode_16_64 3
		.amdhsa_dx10_clamp 1
		.amdhsa_ieee_mode 1
		.amdhsa_fp16_overflow 0
		.amdhsa_workgroup_processor_mode 1
		.amdhsa_memory_ordered 1
		.amdhsa_forward_progress 0
		.amdhsa_shared_vgpr_count 0
		.amdhsa_exception_fp_ieee_invalid_op 0
		.amdhsa_exception_fp_denorm_src 0
		.amdhsa_exception_fp_ieee_div_zero 0
		.amdhsa_exception_fp_ieee_overflow 0
		.amdhsa_exception_fp_ieee_underflow 0
		.amdhsa_exception_fp_ieee_inexact 0
		.amdhsa_exception_int_div_zero 0
	.end_amdhsa_kernel
	.section	.text._ZN7rocprim17ROCPRIM_400000_NS6detail17trampoline_kernelINS0_14default_configENS1_38merge_sort_block_merge_config_selectorIlNS0_10empty_typeEEEZZNS1_27merge_sort_block_merge_implIS3_PlPS5_mZN2at6native12_GLOBAL__N_124unique_dim_cuda_templateIlEESt5tupleIJNSA_6TensorESF_SF_EERKSF_lbbbEUlllE_EE10hipError_tT0_T1_T2_jT3_P12ihipStream_tbPNSt15iterator_traitsISL_E10value_typeEPNSR_ISM_E10value_typeEPSN_NS1_7vsmem_tEENKUlT_SL_SM_SN_E_clIS8_S8_S9_S9_EESK_S10_SL_SM_SN_EUlS10_E_NS1_11comp_targetILNS1_3genE2ELNS1_11target_archE906ELNS1_3gpuE6ELNS1_3repE0EEENS1_48merge_mergepath_partition_config_static_selectorELNS0_4arch9wavefront6targetE0EEEvSM_,"axG",@progbits,_ZN7rocprim17ROCPRIM_400000_NS6detail17trampoline_kernelINS0_14default_configENS1_38merge_sort_block_merge_config_selectorIlNS0_10empty_typeEEEZZNS1_27merge_sort_block_merge_implIS3_PlPS5_mZN2at6native12_GLOBAL__N_124unique_dim_cuda_templateIlEESt5tupleIJNSA_6TensorESF_SF_EERKSF_lbbbEUlllE_EE10hipError_tT0_T1_T2_jT3_P12ihipStream_tbPNSt15iterator_traitsISL_E10value_typeEPNSR_ISM_E10value_typeEPSN_NS1_7vsmem_tEENKUlT_SL_SM_SN_E_clIS8_S8_S9_S9_EESK_S10_SL_SM_SN_EUlS10_E_NS1_11comp_targetILNS1_3genE2ELNS1_11target_archE906ELNS1_3gpuE6ELNS1_3repE0EEENS1_48merge_mergepath_partition_config_static_selectorELNS0_4arch9wavefront6targetE0EEEvSM_,comdat
.Lfunc_end519:
	.size	_ZN7rocprim17ROCPRIM_400000_NS6detail17trampoline_kernelINS0_14default_configENS1_38merge_sort_block_merge_config_selectorIlNS0_10empty_typeEEEZZNS1_27merge_sort_block_merge_implIS3_PlPS5_mZN2at6native12_GLOBAL__N_124unique_dim_cuda_templateIlEESt5tupleIJNSA_6TensorESF_SF_EERKSF_lbbbEUlllE_EE10hipError_tT0_T1_T2_jT3_P12ihipStream_tbPNSt15iterator_traitsISL_E10value_typeEPNSR_ISM_E10value_typeEPSN_NS1_7vsmem_tEENKUlT_SL_SM_SN_E_clIS8_S8_S9_S9_EESK_S10_SL_SM_SN_EUlS10_E_NS1_11comp_targetILNS1_3genE2ELNS1_11target_archE906ELNS1_3gpuE6ELNS1_3repE0EEENS1_48merge_mergepath_partition_config_static_selectorELNS0_4arch9wavefront6targetE0EEEvSM_, .Lfunc_end519-_ZN7rocprim17ROCPRIM_400000_NS6detail17trampoline_kernelINS0_14default_configENS1_38merge_sort_block_merge_config_selectorIlNS0_10empty_typeEEEZZNS1_27merge_sort_block_merge_implIS3_PlPS5_mZN2at6native12_GLOBAL__N_124unique_dim_cuda_templateIlEESt5tupleIJNSA_6TensorESF_SF_EERKSF_lbbbEUlllE_EE10hipError_tT0_T1_T2_jT3_P12ihipStream_tbPNSt15iterator_traitsISL_E10value_typeEPNSR_ISM_E10value_typeEPSN_NS1_7vsmem_tEENKUlT_SL_SM_SN_E_clIS8_S8_S9_S9_EESK_S10_SL_SM_SN_EUlS10_E_NS1_11comp_targetILNS1_3genE2ELNS1_11target_archE906ELNS1_3gpuE6ELNS1_3repE0EEENS1_48merge_mergepath_partition_config_static_selectorELNS0_4arch9wavefront6targetE0EEEvSM_
                                        ; -- End function
	.section	.AMDGPU.csdata,"",@progbits
; Kernel info:
; codeLenInByte = 0
; NumSgprs: 0
; NumVgprs: 0
; ScratchSize: 0
; MemoryBound: 0
; FloatMode: 240
; IeeeMode: 1
; LDSByteSize: 0 bytes/workgroup (compile time only)
; SGPRBlocks: 0
; VGPRBlocks: 0
; NumSGPRsForWavesPerEU: 1
; NumVGPRsForWavesPerEU: 1
; Occupancy: 16
; WaveLimiterHint : 0
; COMPUTE_PGM_RSRC2:SCRATCH_EN: 0
; COMPUTE_PGM_RSRC2:USER_SGPR: 15
; COMPUTE_PGM_RSRC2:TRAP_HANDLER: 0
; COMPUTE_PGM_RSRC2:TGID_X_EN: 1
; COMPUTE_PGM_RSRC2:TGID_Y_EN: 0
; COMPUTE_PGM_RSRC2:TGID_Z_EN: 0
; COMPUTE_PGM_RSRC2:TIDIG_COMP_CNT: 0
	.section	.text._ZN7rocprim17ROCPRIM_400000_NS6detail17trampoline_kernelINS0_14default_configENS1_38merge_sort_block_merge_config_selectorIlNS0_10empty_typeEEEZZNS1_27merge_sort_block_merge_implIS3_PlPS5_mZN2at6native12_GLOBAL__N_124unique_dim_cuda_templateIlEESt5tupleIJNSA_6TensorESF_SF_EERKSF_lbbbEUlllE_EE10hipError_tT0_T1_T2_jT3_P12ihipStream_tbPNSt15iterator_traitsISL_E10value_typeEPNSR_ISM_E10value_typeEPSN_NS1_7vsmem_tEENKUlT_SL_SM_SN_E_clIS8_S8_S9_S9_EESK_S10_SL_SM_SN_EUlS10_E_NS1_11comp_targetILNS1_3genE9ELNS1_11target_archE1100ELNS1_3gpuE3ELNS1_3repE0EEENS1_48merge_mergepath_partition_config_static_selectorELNS0_4arch9wavefront6targetE0EEEvSM_,"axG",@progbits,_ZN7rocprim17ROCPRIM_400000_NS6detail17trampoline_kernelINS0_14default_configENS1_38merge_sort_block_merge_config_selectorIlNS0_10empty_typeEEEZZNS1_27merge_sort_block_merge_implIS3_PlPS5_mZN2at6native12_GLOBAL__N_124unique_dim_cuda_templateIlEESt5tupleIJNSA_6TensorESF_SF_EERKSF_lbbbEUlllE_EE10hipError_tT0_T1_T2_jT3_P12ihipStream_tbPNSt15iterator_traitsISL_E10value_typeEPNSR_ISM_E10value_typeEPSN_NS1_7vsmem_tEENKUlT_SL_SM_SN_E_clIS8_S8_S9_S9_EESK_S10_SL_SM_SN_EUlS10_E_NS1_11comp_targetILNS1_3genE9ELNS1_11target_archE1100ELNS1_3gpuE3ELNS1_3repE0EEENS1_48merge_mergepath_partition_config_static_selectorELNS0_4arch9wavefront6targetE0EEEvSM_,comdat
	.globl	_ZN7rocprim17ROCPRIM_400000_NS6detail17trampoline_kernelINS0_14default_configENS1_38merge_sort_block_merge_config_selectorIlNS0_10empty_typeEEEZZNS1_27merge_sort_block_merge_implIS3_PlPS5_mZN2at6native12_GLOBAL__N_124unique_dim_cuda_templateIlEESt5tupleIJNSA_6TensorESF_SF_EERKSF_lbbbEUlllE_EE10hipError_tT0_T1_T2_jT3_P12ihipStream_tbPNSt15iterator_traitsISL_E10value_typeEPNSR_ISM_E10value_typeEPSN_NS1_7vsmem_tEENKUlT_SL_SM_SN_E_clIS8_S8_S9_S9_EESK_S10_SL_SM_SN_EUlS10_E_NS1_11comp_targetILNS1_3genE9ELNS1_11target_archE1100ELNS1_3gpuE3ELNS1_3repE0EEENS1_48merge_mergepath_partition_config_static_selectorELNS0_4arch9wavefront6targetE0EEEvSM_ ; -- Begin function _ZN7rocprim17ROCPRIM_400000_NS6detail17trampoline_kernelINS0_14default_configENS1_38merge_sort_block_merge_config_selectorIlNS0_10empty_typeEEEZZNS1_27merge_sort_block_merge_implIS3_PlPS5_mZN2at6native12_GLOBAL__N_124unique_dim_cuda_templateIlEESt5tupleIJNSA_6TensorESF_SF_EERKSF_lbbbEUlllE_EE10hipError_tT0_T1_T2_jT3_P12ihipStream_tbPNSt15iterator_traitsISL_E10value_typeEPNSR_ISM_E10value_typeEPSN_NS1_7vsmem_tEENKUlT_SL_SM_SN_E_clIS8_S8_S9_S9_EESK_S10_SL_SM_SN_EUlS10_E_NS1_11comp_targetILNS1_3genE9ELNS1_11target_archE1100ELNS1_3gpuE3ELNS1_3repE0EEENS1_48merge_mergepath_partition_config_static_selectorELNS0_4arch9wavefront6targetE0EEEvSM_
	.p2align	8
	.type	_ZN7rocprim17ROCPRIM_400000_NS6detail17trampoline_kernelINS0_14default_configENS1_38merge_sort_block_merge_config_selectorIlNS0_10empty_typeEEEZZNS1_27merge_sort_block_merge_implIS3_PlPS5_mZN2at6native12_GLOBAL__N_124unique_dim_cuda_templateIlEESt5tupleIJNSA_6TensorESF_SF_EERKSF_lbbbEUlllE_EE10hipError_tT0_T1_T2_jT3_P12ihipStream_tbPNSt15iterator_traitsISL_E10value_typeEPNSR_ISM_E10value_typeEPSN_NS1_7vsmem_tEENKUlT_SL_SM_SN_E_clIS8_S8_S9_S9_EESK_S10_SL_SM_SN_EUlS10_E_NS1_11comp_targetILNS1_3genE9ELNS1_11target_archE1100ELNS1_3gpuE3ELNS1_3repE0EEENS1_48merge_mergepath_partition_config_static_selectorELNS0_4arch9wavefront6targetE0EEEvSM_,@function
_ZN7rocprim17ROCPRIM_400000_NS6detail17trampoline_kernelINS0_14default_configENS1_38merge_sort_block_merge_config_selectorIlNS0_10empty_typeEEEZZNS1_27merge_sort_block_merge_implIS3_PlPS5_mZN2at6native12_GLOBAL__N_124unique_dim_cuda_templateIlEESt5tupleIJNSA_6TensorESF_SF_EERKSF_lbbbEUlllE_EE10hipError_tT0_T1_T2_jT3_P12ihipStream_tbPNSt15iterator_traitsISL_E10value_typeEPNSR_ISM_E10value_typeEPSN_NS1_7vsmem_tEENKUlT_SL_SM_SN_E_clIS8_S8_S9_S9_EESK_S10_SL_SM_SN_EUlS10_E_NS1_11comp_targetILNS1_3genE9ELNS1_11target_archE1100ELNS1_3gpuE3ELNS1_3repE0EEENS1_48merge_mergepath_partition_config_static_selectorELNS0_4arch9wavefront6targetE0EEEvSM_: ; @_ZN7rocprim17ROCPRIM_400000_NS6detail17trampoline_kernelINS0_14default_configENS1_38merge_sort_block_merge_config_selectorIlNS0_10empty_typeEEEZZNS1_27merge_sort_block_merge_implIS3_PlPS5_mZN2at6native12_GLOBAL__N_124unique_dim_cuda_templateIlEESt5tupleIJNSA_6TensorESF_SF_EERKSF_lbbbEUlllE_EE10hipError_tT0_T1_T2_jT3_P12ihipStream_tbPNSt15iterator_traitsISL_E10value_typeEPNSR_ISM_E10value_typeEPSN_NS1_7vsmem_tEENKUlT_SL_SM_SN_E_clIS8_S8_S9_S9_EESK_S10_SL_SM_SN_EUlS10_E_NS1_11comp_targetILNS1_3genE9ELNS1_11target_archE1100ELNS1_3gpuE3ELNS1_3repE0EEENS1_48merge_mergepath_partition_config_static_selectorELNS0_4arch9wavefront6targetE0EEEvSM_
; %bb.0:
	s_load_b32 s2, s[0:1], 0x0
	v_lshl_or_b32 v0, s15, 7, v0
	s_waitcnt lgkmcnt(0)
	s_delay_alu instid0(VALU_DEP_1)
	v_cmp_gt_u32_e32 vcc_lo, s2, v0
	s_and_saveexec_b32 s2, vcc_lo
	s_cbranch_execz .LBB520_13
; %bb.1:
	s_load_b128 s[4:7], s[0:1], 0x8
	s_mov_b32 s12, 0
	v_mov_b32_e32 v2, 0
	s_waitcnt lgkmcnt(0)
	v_alignbit_b32 v1, s5, s4, 9
	s_delay_alu instid0(VALU_DEP_1) | instskip(NEXT) | instid1(VALU_DEP_1)
	v_and_b32_e32 v3, -2, v1
	v_sub_nc_u32_e32 v1, 0, v3
	s_delay_alu instid0(VALU_DEP_1) | instskip(NEXT) | instid1(VALU_DEP_1)
	v_and_b32_e32 v1, v0, v1
	v_lshlrev_b64 v[4:5], 10, v[1:2]
	v_add_nc_u32_e32 v1, -1, v3
	s_delay_alu instid0(VALU_DEP_1) | instskip(NEXT) | instid1(VALU_DEP_3)
	v_dual_mov_b32 v11, v2 :: v_dual_and_b32 v10, v1, v0
	v_add_co_u32 v6, vcc_lo, v4, s4
	s_delay_alu instid0(VALU_DEP_4) | instskip(NEXT) | instid1(VALU_DEP_1)
	v_add_co_ci_u32_e32 v7, vcc_lo, s5, v5, vcc_lo
	v_cmp_lt_u64_e32 vcc_lo, s[6:7], v[6:7]
	v_cndmask_b32_e64 v8, v6, s6, vcc_lo
	v_cndmask_b32_e64 v9, v7, s7, vcc_lo
	s_delay_alu instid0(VALU_DEP_2) | instskip(NEXT) | instid1(VALU_DEP_2)
	v_add_co_u32 v6, vcc_lo, v8, s4
	v_add_co_ci_u32_e32 v7, vcc_lo, s5, v9, vcc_lo
	v_cmp_lt_u64_e32 vcc_lo, s[6:7], v[4:5]
	s_delay_alu instid0(VALU_DEP_2) | instskip(SKIP_3) | instid1(VALU_DEP_4)
	v_cmp_lt_u64_e64 s2, s[6:7], v[6:7]
	v_cndmask_b32_e64 v2, v4, s6, vcc_lo
	v_cndmask_b32_e64 v3, v5, s7, vcc_lo
	v_lshlrev_b64 v[4:5], 10, v[10:11]
	v_cndmask_b32_e64 v12, v6, s6, s2
	v_cndmask_b32_e64 v1, v7, s7, s2
	s_load_b256 s[4:11], s[0:1], 0x18
	s_mov_b32 s1, exec_lo
	s_delay_alu instid0(VALU_DEP_2) | instskip(NEXT) | instid1(VALU_DEP_2)
	v_sub_co_u32 v6, vcc_lo, v12, v2
	v_sub_co_ci_u32_e32 v7, vcc_lo, v1, v3, vcc_lo
	s_delay_alu instid0(VALU_DEP_1) | instskip(SKIP_3) | instid1(VALU_DEP_2)
	v_cmp_lt_u64_e32 vcc_lo, v[6:7], v[4:5]
	v_dual_cndmask_b32 v11, v5, v7 :: v_dual_cndmask_b32 v10, v4, v6
	v_sub_co_u32 v4, vcc_lo, v8, v12
	v_sub_co_ci_u32_e32 v1, vcc_lo, v9, v1, vcc_lo
	v_add_co_u32 v4, vcc_lo, v10, v4
	s_delay_alu instid0(VALU_DEP_2) | instskip(SKIP_2) | instid1(VALU_DEP_3)
	v_add_co_ci_u32_e32 v5, vcc_lo, v11, v1, vcc_lo
	v_sub_co_u32 v6, vcc_lo, v8, v2
	v_sub_co_ci_u32_e32 v7, vcc_lo, v9, v3, vcc_lo
	v_cmp_gt_u64_e32 vcc_lo, v[4:5], v[10:11]
	s_delay_alu instid0(VALU_DEP_2) | instskip(SKIP_2) | instid1(VALU_DEP_3)
	v_cmp_lt_u64_e64 s0, v[10:11], v[6:7]
	v_cndmask_b32_e64 v5, v5, 0, vcc_lo
	v_cndmask_b32_e64 v4, v4, 0, vcc_lo
	v_cndmask_b32_e64 v7, v7, v11, s0
	v_cndmask_b32_e64 v6, v6, v10, s0
	s_delay_alu instid0(VALU_DEP_1)
	v_cmpx_lt_u64_e64 v[4:5], v[6:7]
	s_cbranch_execz .LBB520_12
; %bb.2:
	v_lshlrev_b64 v[8:9], 3, v[8:9]
	v_lshlrev_b64 v[12:13], 3, v[2:3]
	;; [unrolled: 1-line block ×3, first 2 shown]
	s_waitcnt lgkmcnt(0)
	v_cmp_gt_i64_e64 s13, s[6:7], 0
	s_lshl_b64 s[2:3], s[6:7], 3
	v_add_co_u32 v8, vcc_lo, s4, v8
	v_add_co_ci_u32_e32 v9, vcc_lo, s5, v9, vcc_lo
	v_add_co_u32 v1, vcc_lo, s4, v12
	v_add_co_ci_u32_e32 v14, vcc_lo, s5, v13, vcc_lo
	s_delay_alu instid0(VALU_DEP_4) | instskip(NEXT) | instid1(VALU_DEP_4)
	v_add_co_u32 v15, vcc_lo, v8, v10
	v_add_co_ci_u32_e32 v16, vcc_lo, v9, v11, vcc_lo
	s_branch .LBB520_5
.LBB520_3:                              ;   in Loop: Header=BB520_5 Depth=1
	s_set_inst_prefetch_distance 0x2
	s_or_b32 exec_lo, exec_lo, s15
.LBB520_4:                              ;   in Loop: Header=BB520_5 Depth=1
	s_delay_alu instid0(VALU_DEP_1) | instskip(NEXT) | instid1(VALU_DEP_2)
	v_add_co_u32 v10, vcc_lo, v8, 1
	v_add_co_ci_u32_e32 v11, vcc_lo, 0, v9, vcc_lo
	v_cndmask_b32_e64 v7, v7, v9, s14
	v_cndmask_b32_e64 v6, v6, v8, s14
	s_delay_alu instid0(VALU_DEP_4) | instskip(NEXT) | instid1(VALU_DEP_4)
	v_cndmask_b32_e64 v4, v10, v4, s14
	v_cndmask_b32_e64 v5, v11, v5, s14
	s_delay_alu instid0(VALU_DEP_1) | instskip(SKIP_1) | instid1(SALU_CYCLE_1)
	v_cmp_ge_u64_e32 vcc_lo, v[4:5], v[6:7]
	s_or_b32 s12, vcc_lo, s12
	s_and_not1_b32 exec_lo, exec_lo, s12
	s_cbranch_execz .LBB520_11
.LBB520_5:                              ; =>This Loop Header: Depth=1
                                        ;     Child Loop BB520_8 Depth 2
	v_add_co_u32 v8, vcc_lo, v6, v4
	v_add_co_ci_u32_e32 v9, vcc_lo, v7, v5, vcc_lo
	s_and_not1_b32 vcc_lo, exec_lo, s13
	s_delay_alu instid0(VALU_DEP_1)
	v_lshrrev_b64 v[8:9], 1, v[8:9]
	s_cbranch_vccnz .LBB520_10
; %bb.6:                                ;   in Loop: Header=BB520_5 Depth=1
	s_delay_alu instid0(VALU_DEP_1) | instskip(NEXT) | instid1(VALU_DEP_2)
	v_not_b32_e32 v11, v9
	v_not_b32_e32 v10, v8
	v_lshlrev_b64 v[12:13], 3, v[8:9]
	s_mov_b32 s15, 0
	s_mov_b64 s[4:5], s[6:7]
                                        ; implicit-def: $sgpr14
                                        ; implicit-def: $sgpr16
                                        ; implicit-def: $sgpr17
                                        ; implicit-def: $sgpr18
                                        ; implicit-def: $sgpr19
	s_delay_alu instid0(VALU_DEP_2) | instskip(NEXT) | instid1(VALU_DEP_1)
	v_lshlrev_b64 v[10:11], 3, v[10:11]
	v_add_co_u32 v10, vcc_lo, v15, v10
	s_delay_alu instid0(VALU_DEP_2)
	v_add_co_ci_u32_e32 v11, vcc_lo, v16, v11, vcc_lo
	v_add_co_u32 v12, vcc_lo, v1, v12
	v_add_co_ci_u32_e32 v13, vcc_lo, v14, v13, vcc_lo
	s_clause 0x1
	global_load_b64 v[17:18], v[10:11], off
	global_load_b64 v[19:20], v[12:13], off
	s_waitcnt vmcnt(1)
	v_mul_lo_u32 v18, s2, v18
	v_mul_lo_u32 v21, s3, v17
	v_mad_u64_u32 v[10:11], null, s2, v17, s[8:9]
	s_waitcnt vmcnt(0)
	v_mul_lo_u32 v17, s2, v20
	v_mul_lo_u32 v20, s3, v19
	v_mad_u64_u32 v[12:13], null, s2, v19, s[8:9]
	s_delay_alu instid0(VALU_DEP_4) | instskip(NEXT) | instid1(VALU_DEP_2)
	v_add3_u32 v11, v21, v11, v18
	v_add3_u32 v13, v20, v13, v17
	s_set_inst_prefetch_distance 0x1
	s_branch .LBB520_8
	.p2align	6
.LBB520_7:                              ;   in Loop: Header=BB520_8 Depth=2
	s_or_b32 exec_lo, exec_lo, s0
	s_delay_alu instid0(SALU_CYCLE_1) | instskip(NEXT) | instid1(SALU_CYCLE_1)
	s_and_b32 s0, exec_lo, s16
	s_or_b32 s15, s0, s15
	s_and_not1_b32 s0, s19, exec_lo
	s_and_b32 s19, s17, exec_lo
	s_and_not1_b32 s14, s14, exec_lo
	s_and_b32 s20, s18, exec_lo
	s_or_b32 s19, s0, s19
	s_or_b32 s14, s14, s20
	s_and_not1_b32 exec_lo, exec_lo, s15
	s_cbranch_execz .LBB520_3
.LBB520_8:                              ;   Parent Loop BB520_5 Depth=1
                                        ; =>  This Inner Loop Header: Depth=2
	global_load_b64 v[17:18], v[10:11], off
	global_load_b64 v[19:20], v[12:13], off
	s_and_not1_b32 s18, s18, exec_lo
	s_and_not1_b32 s17, s17, exec_lo
	s_or_b32 s16, s16, exec_lo
	s_waitcnt vmcnt(0)
	v_cmp_le_i64_e32 vcc_lo, v[17:18], v[19:20]
	v_cmp_lt_i64_e64 s0, v[17:18], v[19:20]
	s_and_b32 s20, vcc_lo, s19
	s_delay_alu instid0(VALU_DEP_1) | instid1(SALU_CYCLE_1)
	s_or_b32 s20, s0, s20
	s_delay_alu instid0(SALU_CYCLE_1) | instskip(NEXT) | instid1(SALU_CYCLE_1)
	s_and_b32 s0, s20, exec_lo
	s_or_b32 s18, s18, s0
	s_mov_b32 s0, exec_lo
	v_cmpx_eq_u64_e64 v[17:18], v[19:20]
	s_cbranch_execz .LBB520_7
; %bb.9:                                ;   in Loop: Header=BB520_8 Depth=2
	s_add_u32 s4, s4, -1
	s_addc_u32 s5, s5, -1
	v_add_co_u32 v10, vcc_lo, v10, 8
	s_cmp_eq_u64 s[4:5], 0
	v_add_co_ci_u32_e32 v11, vcc_lo, 0, v11, vcc_lo
	s_cselect_b32 s19, -1, 0
	v_add_co_u32 v12, vcc_lo, v12, 8
	s_and_not1_b32 s17, s17, exec_lo
	s_and_b32 s20, s20, exec_lo
	s_and_not1_b32 s16, s16, exec_lo
	s_and_b32 s19, s19, exec_lo
	v_add_co_ci_u32_e32 v13, vcc_lo, 0, v13, vcc_lo
	s_and_not1_b32 s18, s18, exec_lo
	s_or_b32 s17, s17, s20
	s_or_b32 s16, s16, s19
                                        ; implicit-def: $sgpr19
	s_branch .LBB520_7
.LBB520_10:                             ;   in Loop: Header=BB520_5 Depth=1
	s_mov_b32 s14, 0
	s_branch .LBB520_4
.LBB520_11:
	s_or_b32 exec_lo, exec_lo, s12
.LBB520_12:
	s_delay_alu instid0(SALU_CYCLE_1) | instskip(SKIP_3) | instid1(VALU_DEP_3)
	s_or_b32 exec_lo, exec_lo, s1
	v_mov_b32_e32 v1, 0
	v_add_co_u32 v2, vcc_lo, v4, v2
	v_add_co_ci_u32_e32 v3, vcc_lo, v5, v3, vcc_lo
	v_lshlrev_b64 v[0:1], 3, v[0:1]
	s_waitcnt lgkmcnt(0)
	s_delay_alu instid0(VALU_DEP_1) | instskip(NEXT) | instid1(VALU_DEP_2)
	v_add_co_u32 v0, vcc_lo, s10, v0
	v_add_co_ci_u32_e32 v1, vcc_lo, s11, v1, vcc_lo
	global_store_b64 v[0:1], v[2:3], off
.LBB520_13:
	s_nop 0
	s_sendmsg sendmsg(MSG_DEALLOC_VGPRS)
	s_endpgm
	.section	.rodata,"a",@progbits
	.p2align	6, 0x0
	.amdhsa_kernel _ZN7rocprim17ROCPRIM_400000_NS6detail17trampoline_kernelINS0_14default_configENS1_38merge_sort_block_merge_config_selectorIlNS0_10empty_typeEEEZZNS1_27merge_sort_block_merge_implIS3_PlPS5_mZN2at6native12_GLOBAL__N_124unique_dim_cuda_templateIlEESt5tupleIJNSA_6TensorESF_SF_EERKSF_lbbbEUlllE_EE10hipError_tT0_T1_T2_jT3_P12ihipStream_tbPNSt15iterator_traitsISL_E10value_typeEPNSR_ISM_E10value_typeEPSN_NS1_7vsmem_tEENKUlT_SL_SM_SN_E_clIS8_S8_S9_S9_EESK_S10_SL_SM_SN_EUlS10_E_NS1_11comp_targetILNS1_3genE9ELNS1_11target_archE1100ELNS1_3gpuE3ELNS1_3repE0EEENS1_48merge_mergepath_partition_config_static_selectorELNS0_4arch9wavefront6targetE0EEEvSM_
		.amdhsa_group_segment_fixed_size 0
		.amdhsa_private_segment_fixed_size 0
		.amdhsa_kernarg_size 56
		.amdhsa_user_sgpr_count 15
		.amdhsa_user_sgpr_dispatch_ptr 0
		.amdhsa_user_sgpr_queue_ptr 0
		.amdhsa_user_sgpr_kernarg_segment_ptr 1
		.amdhsa_user_sgpr_dispatch_id 0
		.amdhsa_user_sgpr_private_segment_size 0
		.amdhsa_wavefront_size32 1
		.amdhsa_uses_dynamic_stack 0
		.amdhsa_enable_private_segment 0
		.amdhsa_system_sgpr_workgroup_id_x 1
		.amdhsa_system_sgpr_workgroup_id_y 0
		.amdhsa_system_sgpr_workgroup_id_z 0
		.amdhsa_system_sgpr_workgroup_info 0
		.amdhsa_system_vgpr_workitem_id 0
		.amdhsa_next_free_vgpr 22
		.amdhsa_next_free_sgpr 21
		.amdhsa_reserve_vcc 1
		.amdhsa_float_round_mode_32 0
		.amdhsa_float_round_mode_16_64 0
		.amdhsa_float_denorm_mode_32 3
		.amdhsa_float_denorm_mode_16_64 3
		.amdhsa_dx10_clamp 1
		.amdhsa_ieee_mode 1
		.amdhsa_fp16_overflow 0
		.amdhsa_workgroup_processor_mode 1
		.amdhsa_memory_ordered 1
		.amdhsa_forward_progress 0
		.amdhsa_shared_vgpr_count 0
		.amdhsa_exception_fp_ieee_invalid_op 0
		.amdhsa_exception_fp_denorm_src 0
		.amdhsa_exception_fp_ieee_div_zero 0
		.amdhsa_exception_fp_ieee_overflow 0
		.amdhsa_exception_fp_ieee_underflow 0
		.amdhsa_exception_fp_ieee_inexact 0
		.amdhsa_exception_int_div_zero 0
	.end_amdhsa_kernel
	.section	.text._ZN7rocprim17ROCPRIM_400000_NS6detail17trampoline_kernelINS0_14default_configENS1_38merge_sort_block_merge_config_selectorIlNS0_10empty_typeEEEZZNS1_27merge_sort_block_merge_implIS3_PlPS5_mZN2at6native12_GLOBAL__N_124unique_dim_cuda_templateIlEESt5tupleIJNSA_6TensorESF_SF_EERKSF_lbbbEUlllE_EE10hipError_tT0_T1_T2_jT3_P12ihipStream_tbPNSt15iterator_traitsISL_E10value_typeEPNSR_ISM_E10value_typeEPSN_NS1_7vsmem_tEENKUlT_SL_SM_SN_E_clIS8_S8_S9_S9_EESK_S10_SL_SM_SN_EUlS10_E_NS1_11comp_targetILNS1_3genE9ELNS1_11target_archE1100ELNS1_3gpuE3ELNS1_3repE0EEENS1_48merge_mergepath_partition_config_static_selectorELNS0_4arch9wavefront6targetE0EEEvSM_,"axG",@progbits,_ZN7rocprim17ROCPRIM_400000_NS6detail17trampoline_kernelINS0_14default_configENS1_38merge_sort_block_merge_config_selectorIlNS0_10empty_typeEEEZZNS1_27merge_sort_block_merge_implIS3_PlPS5_mZN2at6native12_GLOBAL__N_124unique_dim_cuda_templateIlEESt5tupleIJNSA_6TensorESF_SF_EERKSF_lbbbEUlllE_EE10hipError_tT0_T1_T2_jT3_P12ihipStream_tbPNSt15iterator_traitsISL_E10value_typeEPNSR_ISM_E10value_typeEPSN_NS1_7vsmem_tEENKUlT_SL_SM_SN_E_clIS8_S8_S9_S9_EESK_S10_SL_SM_SN_EUlS10_E_NS1_11comp_targetILNS1_3genE9ELNS1_11target_archE1100ELNS1_3gpuE3ELNS1_3repE0EEENS1_48merge_mergepath_partition_config_static_selectorELNS0_4arch9wavefront6targetE0EEEvSM_,comdat
.Lfunc_end520:
	.size	_ZN7rocprim17ROCPRIM_400000_NS6detail17trampoline_kernelINS0_14default_configENS1_38merge_sort_block_merge_config_selectorIlNS0_10empty_typeEEEZZNS1_27merge_sort_block_merge_implIS3_PlPS5_mZN2at6native12_GLOBAL__N_124unique_dim_cuda_templateIlEESt5tupleIJNSA_6TensorESF_SF_EERKSF_lbbbEUlllE_EE10hipError_tT0_T1_T2_jT3_P12ihipStream_tbPNSt15iterator_traitsISL_E10value_typeEPNSR_ISM_E10value_typeEPSN_NS1_7vsmem_tEENKUlT_SL_SM_SN_E_clIS8_S8_S9_S9_EESK_S10_SL_SM_SN_EUlS10_E_NS1_11comp_targetILNS1_3genE9ELNS1_11target_archE1100ELNS1_3gpuE3ELNS1_3repE0EEENS1_48merge_mergepath_partition_config_static_selectorELNS0_4arch9wavefront6targetE0EEEvSM_, .Lfunc_end520-_ZN7rocprim17ROCPRIM_400000_NS6detail17trampoline_kernelINS0_14default_configENS1_38merge_sort_block_merge_config_selectorIlNS0_10empty_typeEEEZZNS1_27merge_sort_block_merge_implIS3_PlPS5_mZN2at6native12_GLOBAL__N_124unique_dim_cuda_templateIlEESt5tupleIJNSA_6TensorESF_SF_EERKSF_lbbbEUlllE_EE10hipError_tT0_T1_T2_jT3_P12ihipStream_tbPNSt15iterator_traitsISL_E10value_typeEPNSR_ISM_E10value_typeEPSN_NS1_7vsmem_tEENKUlT_SL_SM_SN_E_clIS8_S8_S9_S9_EESK_S10_SL_SM_SN_EUlS10_E_NS1_11comp_targetILNS1_3genE9ELNS1_11target_archE1100ELNS1_3gpuE3ELNS1_3repE0EEENS1_48merge_mergepath_partition_config_static_selectorELNS0_4arch9wavefront6targetE0EEEvSM_
                                        ; -- End function
	.section	.AMDGPU.csdata,"",@progbits
; Kernel info:
; codeLenInByte = 1020
; NumSgprs: 23
; NumVgprs: 22
; ScratchSize: 0
; MemoryBound: 0
; FloatMode: 240
; IeeeMode: 1
; LDSByteSize: 0 bytes/workgroup (compile time only)
; SGPRBlocks: 2
; VGPRBlocks: 2
; NumSGPRsForWavesPerEU: 23
; NumVGPRsForWavesPerEU: 22
; Occupancy: 16
; WaveLimiterHint : 0
; COMPUTE_PGM_RSRC2:SCRATCH_EN: 0
; COMPUTE_PGM_RSRC2:USER_SGPR: 15
; COMPUTE_PGM_RSRC2:TRAP_HANDLER: 0
; COMPUTE_PGM_RSRC2:TGID_X_EN: 1
; COMPUTE_PGM_RSRC2:TGID_Y_EN: 0
; COMPUTE_PGM_RSRC2:TGID_Z_EN: 0
; COMPUTE_PGM_RSRC2:TIDIG_COMP_CNT: 0
	.section	.text._ZN7rocprim17ROCPRIM_400000_NS6detail17trampoline_kernelINS0_14default_configENS1_38merge_sort_block_merge_config_selectorIlNS0_10empty_typeEEEZZNS1_27merge_sort_block_merge_implIS3_PlPS5_mZN2at6native12_GLOBAL__N_124unique_dim_cuda_templateIlEESt5tupleIJNSA_6TensorESF_SF_EERKSF_lbbbEUlllE_EE10hipError_tT0_T1_T2_jT3_P12ihipStream_tbPNSt15iterator_traitsISL_E10value_typeEPNSR_ISM_E10value_typeEPSN_NS1_7vsmem_tEENKUlT_SL_SM_SN_E_clIS8_S8_S9_S9_EESK_S10_SL_SM_SN_EUlS10_E_NS1_11comp_targetILNS1_3genE8ELNS1_11target_archE1030ELNS1_3gpuE2ELNS1_3repE0EEENS1_48merge_mergepath_partition_config_static_selectorELNS0_4arch9wavefront6targetE0EEEvSM_,"axG",@progbits,_ZN7rocprim17ROCPRIM_400000_NS6detail17trampoline_kernelINS0_14default_configENS1_38merge_sort_block_merge_config_selectorIlNS0_10empty_typeEEEZZNS1_27merge_sort_block_merge_implIS3_PlPS5_mZN2at6native12_GLOBAL__N_124unique_dim_cuda_templateIlEESt5tupleIJNSA_6TensorESF_SF_EERKSF_lbbbEUlllE_EE10hipError_tT0_T1_T2_jT3_P12ihipStream_tbPNSt15iterator_traitsISL_E10value_typeEPNSR_ISM_E10value_typeEPSN_NS1_7vsmem_tEENKUlT_SL_SM_SN_E_clIS8_S8_S9_S9_EESK_S10_SL_SM_SN_EUlS10_E_NS1_11comp_targetILNS1_3genE8ELNS1_11target_archE1030ELNS1_3gpuE2ELNS1_3repE0EEENS1_48merge_mergepath_partition_config_static_selectorELNS0_4arch9wavefront6targetE0EEEvSM_,comdat
	.globl	_ZN7rocprim17ROCPRIM_400000_NS6detail17trampoline_kernelINS0_14default_configENS1_38merge_sort_block_merge_config_selectorIlNS0_10empty_typeEEEZZNS1_27merge_sort_block_merge_implIS3_PlPS5_mZN2at6native12_GLOBAL__N_124unique_dim_cuda_templateIlEESt5tupleIJNSA_6TensorESF_SF_EERKSF_lbbbEUlllE_EE10hipError_tT0_T1_T2_jT3_P12ihipStream_tbPNSt15iterator_traitsISL_E10value_typeEPNSR_ISM_E10value_typeEPSN_NS1_7vsmem_tEENKUlT_SL_SM_SN_E_clIS8_S8_S9_S9_EESK_S10_SL_SM_SN_EUlS10_E_NS1_11comp_targetILNS1_3genE8ELNS1_11target_archE1030ELNS1_3gpuE2ELNS1_3repE0EEENS1_48merge_mergepath_partition_config_static_selectorELNS0_4arch9wavefront6targetE0EEEvSM_ ; -- Begin function _ZN7rocprim17ROCPRIM_400000_NS6detail17trampoline_kernelINS0_14default_configENS1_38merge_sort_block_merge_config_selectorIlNS0_10empty_typeEEEZZNS1_27merge_sort_block_merge_implIS3_PlPS5_mZN2at6native12_GLOBAL__N_124unique_dim_cuda_templateIlEESt5tupleIJNSA_6TensorESF_SF_EERKSF_lbbbEUlllE_EE10hipError_tT0_T1_T2_jT3_P12ihipStream_tbPNSt15iterator_traitsISL_E10value_typeEPNSR_ISM_E10value_typeEPSN_NS1_7vsmem_tEENKUlT_SL_SM_SN_E_clIS8_S8_S9_S9_EESK_S10_SL_SM_SN_EUlS10_E_NS1_11comp_targetILNS1_3genE8ELNS1_11target_archE1030ELNS1_3gpuE2ELNS1_3repE0EEENS1_48merge_mergepath_partition_config_static_selectorELNS0_4arch9wavefront6targetE0EEEvSM_
	.p2align	8
	.type	_ZN7rocprim17ROCPRIM_400000_NS6detail17trampoline_kernelINS0_14default_configENS1_38merge_sort_block_merge_config_selectorIlNS0_10empty_typeEEEZZNS1_27merge_sort_block_merge_implIS3_PlPS5_mZN2at6native12_GLOBAL__N_124unique_dim_cuda_templateIlEESt5tupleIJNSA_6TensorESF_SF_EERKSF_lbbbEUlllE_EE10hipError_tT0_T1_T2_jT3_P12ihipStream_tbPNSt15iterator_traitsISL_E10value_typeEPNSR_ISM_E10value_typeEPSN_NS1_7vsmem_tEENKUlT_SL_SM_SN_E_clIS8_S8_S9_S9_EESK_S10_SL_SM_SN_EUlS10_E_NS1_11comp_targetILNS1_3genE8ELNS1_11target_archE1030ELNS1_3gpuE2ELNS1_3repE0EEENS1_48merge_mergepath_partition_config_static_selectorELNS0_4arch9wavefront6targetE0EEEvSM_,@function
_ZN7rocprim17ROCPRIM_400000_NS6detail17trampoline_kernelINS0_14default_configENS1_38merge_sort_block_merge_config_selectorIlNS0_10empty_typeEEEZZNS1_27merge_sort_block_merge_implIS3_PlPS5_mZN2at6native12_GLOBAL__N_124unique_dim_cuda_templateIlEESt5tupleIJNSA_6TensorESF_SF_EERKSF_lbbbEUlllE_EE10hipError_tT0_T1_T2_jT3_P12ihipStream_tbPNSt15iterator_traitsISL_E10value_typeEPNSR_ISM_E10value_typeEPSN_NS1_7vsmem_tEENKUlT_SL_SM_SN_E_clIS8_S8_S9_S9_EESK_S10_SL_SM_SN_EUlS10_E_NS1_11comp_targetILNS1_3genE8ELNS1_11target_archE1030ELNS1_3gpuE2ELNS1_3repE0EEENS1_48merge_mergepath_partition_config_static_selectorELNS0_4arch9wavefront6targetE0EEEvSM_: ; @_ZN7rocprim17ROCPRIM_400000_NS6detail17trampoline_kernelINS0_14default_configENS1_38merge_sort_block_merge_config_selectorIlNS0_10empty_typeEEEZZNS1_27merge_sort_block_merge_implIS3_PlPS5_mZN2at6native12_GLOBAL__N_124unique_dim_cuda_templateIlEESt5tupleIJNSA_6TensorESF_SF_EERKSF_lbbbEUlllE_EE10hipError_tT0_T1_T2_jT3_P12ihipStream_tbPNSt15iterator_traitsISL_E10value_typeEPNSR_ISM_E10value_typeEPSN_NS1_7vsmem_tEENKUlT_SL_SM_SN_E_clIS8_S8_S9_S9_EESK_S10_SL_SM_SN_EUlS10_E_NS1_11comp_targetILNS1_3genE8ELNS1_11target_archE1030ELNS1_3gpuE2ELNS1_3repE0EEENS1_48merge_mergepath_partition_config_static_selectorELNS0_4arch9wavefront6targetE0EEEvSM_
; %bb.0:
	.section	.rodata,"a",@progbits
	.p2align	6, 0x0
	.amdhsa_kernel _ZN7rocprim17ROCPRIM_400000_NS6detail17trampoline_kernelINS0_14default_configENS1_38merge_sort_block_merge_config_selectorIlNS0_10empty_typeEEEZZNS1_27merge_sort_block_merge_implIS3_PlPS5_mZN2at6native12_GLOBAL__N_124unique_dim_cuda_templateIlEESt5tupleIJNSA_6TensorESF_SF_EERKSF_lbbbEUlllE_EE10hipError_tT0_T1_T2_jT3_P12ihipStream_tbPNSt15iterator_traitsISL_E10value_typeEPNSR_ISM_E10value_typeEPSN_NS1_7vsmem_tEENKUlT_SL_SM_SN_E_clIS8_S8_S9_S9_EESK_S10_SL_SM_SN_EUlS10_E_NS1_11comp_targetILNS1_3genE8ELNS1_11target_archE1030ELNS1_3gpuE2ELNS1_3repE0EEENS1_48merge_mergepath_partition_config_static_selectorELNS0_4arch9wavefront6targetE0EEEvSM_
		.amdhsa_group_segment_fixed_size 0
		.amdhsa_private_segment_fixed_size 0
		.amdhsa_kernarg_size 56
		.amdhsa_user_sgpr_count 15
		.amdhsa_user_sgpr_dispatch_ptr 0
		.amdhsa_user_sgpr_queue_ptr 0
		.amdhsa_user_sgpr_kernarg_segment_ptr 1
		.amdhsa_user_sgpr_dispatch_id 0
		.amdhsa_user_sgpr_private_segment_size 0
		.amdhsa_wavefront_size32 1
		.amdhsa_uses_dynamic_stack 0
		.amdhsa_enable_private_segment 0
		.amdhsa_system_sgpr_workgroup_id_x 1
		.amdhsa_system_sgpr_workgroup_id_y 0
		.amdhsa_system_sgpr_workgroup_id_z 0
		.amdhsa_system_sgpr_workgroup_info 0
		.amdhsa_system_vgpr_workitem_id 0
		.amdhsa_next_free_vgpr 1
		.amdhsa_next_free_sgpr 1
		.amdhsa_reserve_vcc 0
		.amdhsa_float_round_mode_32 0
		.amdhsa_float_round_mode_16_64 0
		.amdhsa_float_denorm_mode_32 3
		.amdhsa_float_denorm_mode_16_64 3
		.amdhsa_dx10_clamp 1
		.amdhsa_ieee_mode 1
		.amdhsa_fp16_overflow 0
		.amdhsa_workgroup_processor_mode 1
		.amdhsa_memory_ordered 1
		.amdhsa_forward_progress 0
		.amdhsa_shared_vgpr_count 0
		.amdhsa_exception_fp_ieee_invalid_op 0
		.amdhsa_exception_fp_denorm_src 0
		.amdhsa_exception_fp_ieee_div_zero 0
		.amdhsa_exception_fp_ieee_overflow 0
		.amdhsa_exception_fp_ieee_underflow 0
		.amdhsa_exception_fp_ieee_inexact 0
		.amdhsa_exception_int_div_zero 0
	.end_amdhsa_kernel
	.section	.text._ZN7rocprim17ROCPRIM_400000_NS6detail17trampoline_kernelINS0_14default_configENS1_38merge_sort_block_merge_config_selectorIlNS0_10empty_typeEEEZZNS1_27merge_sort_block_merge_implIS3_PlPS5_mZN2at6native12_GLOBAL__N_124unique_dim_cuda_templateIlEESt5tupleIJNSA_6TensorESF_SF_EERKSF_lbbbEUlllE_EE10hipError_tT0_T1_T2_jT3_P12ihipStream_tbPNSt15iterator_traitsISL_E10value_typeEPNSR_ISM_E10value_typeEPSN_NS1_7vsmem_tEENKUlT_SL_SM_SN_E_clIS8_S8_S9_S9_EESK_S10_SL_SM_SN_EUlS10_E_NS1_11comp_targetILNS1_3genE8ELNS1_11target_archE1030ELNS1_3gpuE2ELNS1_3repE0EEENS1_48merge_mergepath_partition_config_static_selectorELNS0_4arch9wavefront6targetE0EEEvSM_,"axG",@progbits,_ZN7rocprim17ROCPRIM_400000_NS6detail17trampoline_kernelINS0_14default_configENS1_38merge_sort_block_merge_config_selectorIlNS0_10empty_typeEEEZZNS1_27merge_sort_block_merge_implIS3_PlPS5_mZN2at6native12_GLOBAL__N_124unique_dim_cuda_templateIlEESt5tupleIJNSA_6TensorESF_SF_EERKSF_lbbbEUlllE_EE10hipError_tT0_T1_T2_jT3_P12ihipStream_tbPNSt15iterator_traitsISL_E10value_typeEPNSR_ISM_E10value_typeEPSN_NS1_7vsmem_tEENKUlT_SL_SM_SN_E_clIS8_S8_S9_S9_EESK_S10_SL_SM_SN_EUlS10_E_NS1_11comp_targetILNS1_3genE8ELNS1_11target_archE1030ELNS1_3gpuE2ELNS1_3repE0EEENS1_48merge_mergepath_partition_config_static_selectorELNS0_4arch9wavefront6targetE0EEEvSM_,comdat
.Lfunc_end521:
	.size	_ZN7rocprim17ROCPRIM_400000_NS6detail17trampoline_kernelINS0_14default_configENS1_38merge_sort_block_merge_config_selectorIlNS0_10empty_typeEEEZZNS1_27merge_sort_block_merge_implIS3_PlPS5_mZN2at6native12_GLOBAL__N_124unique_dim_cuda_templateIlEESt5tupleIJNSA_6TensorESF_SF_EERKSF_lbbbEUlllE_EE10hipError_tT0_T1_T2_jT3_P12ihipStream_tbPNSt15iterator_traitsISL_E10value_typeEPNSR_ISM_E10value_typeEPSN_NS1_7vsmem_tEENKUlT_SL_SM_SN_E_clIS8_S8_S9_S9_EESK_S10_SL_SM_SN_EUlS10_E_NS1_11comp_targetILNS1_3genE8ELNS1_11target_archE1030ELNS1_3gpuE2ELNS1_3repE0EEENS1_48merge_mergepath_partition_config_static_selectorELNS0_4arch9wavefront6targetE0EEEvSM_, .Lfunc_end521-_ZN7rocprim17ROCPRIM_400000_NS6detail17trampoline_kernelINS0_14default_configENS1_38merge_sort_block_merge_config_selectorIlNS0_10empty_typeEEEZZNS1_27merge_sort_block_merge_implIS3_PlPS5_mZN2at6native12_GLOBAL__N_124unique_dim_cuda_templateIlEESt5tupleIJNSA_6TensorESF_SF_EERKSF_lbbbEUlllE_EE10hipError_tT0_T1_T2_jT3_P12ihipStream_tbPNSt15iterator_traitsISL_E10value_typeEPNSR_ISM_E10value_typeEPSN_NS1_7vsmem_tEENKUlT_SL_SM_SN_E_clIS8_S8_S9_S9_EESK_S10_SL_SM_SN_EUlS10_E_NS1_11comp_targetILNS1_3genE8ELNS1_11target_archE1030ELNS1_3gpuE2ELNS1_3repE0EEENS1_48merge_mergepath_partition_config_static_selectorELNS0_4arch9wavefront6targetE0EEEvSM_
                                        ; -- End function
	.section	.AMDGPU.csdata,"",@progbits
; Kernel info:
; codeLenInByte = 0
; NumSgprs: 0
; NumVgprs: 0
; ScratchSize: 0
; MemoryBound: 0
; FloatMode: 240
; IeeeMode: 1
; LDSByteSize: 0 bytes/workgroup (compile time only)
; SGPRBlocks: 0
; VGPRBlocks: 0
; NumSGPRsForWavesPerEU: 1
; NumVGPRsForWavesPerEU: 1
; Occupancy: 16
; WaveLimiterHint : 0
; COMPUTE_PGM_RSRC2:SCRATCH_EN: 0
; COMPUTE_PGM_RSRC2:USER_SGPR: 15
; COMPUTE_PGM_RSRC2:TRAP_HANDLER: 0
; COMPUTE_PGM_RSRC2:TGID_X_EN: 1
; COMPUTE_PGM_RSRC2:TGID_Y_EN: 0
; COMPUTE_PGM_RSRC2:TGID_Z_EN: 0
; COMPUTE_PGM_RSRC2:TIDIG_COMP_CNT: 0
	.section	.text._ZN7rocprim17ROCPRIM_400000_NS6detail17trampoline_kernelINS0_14default_configENS1_38merge_sort_block_merge_config_selectorIlNS0_10empty_typeEEEZZNS1_27merge_sort_block_merge_implIS3_PlPS5_mZN2at6native12_GLOBAL__N_124unique_dim_cuda_templateIlEESt5tupleIJNSA_6TensorESF_SF_EERKSF_lbbbEUlllE_EE10hipError_tT0_T1_T2_jT3_P12ihipStream_tbPNSt15iterator_traitsISL_E10value_typeEPNSR_ISM_E10value_typeEPSN_NS1_7vsmem_tEENKUlT_SL_SM_SN_E_clIS8_S8_S9_S9_EESK_S10_SL_SM_SN_EUlS10_E0_NS1_11comp_targetILNS1_3genE0ELNS1_11target_archE4294967295ELNS1_3gpuE0ELNS1_3repE0EEENS1_38merge_mergepath_config_static_selectorELNS0_4arch9wavefront6targetE0EEEvSM_,"axG",@progbits,_ZN7rocprim17ROCPRIM_400000_NS6detail17trampoline_kernelINS0_14default_configENS1_38merge_sort_block_merge_config_selectorIlNS0_10empty_typeEEEZZNS1_27merge_sort_block_merge_implIS3_PlPS5_mZN2at6native12_GLOBAL__N_124unique_dim_cuda_templateIlEESt5tupleIJNSA_6TensorESF_SF_EERKSF_lbbbEUlllE_EE10hipError_tT0_T1_T2_jT3_P12ihipStream_tbPNSt15iterator_traitsISL_E10value_typeEPNSR_ISM_E10value_typeEPSN_NS1_7vsmem_tEENKUlT_SL_SM_SN_E_clIS8_S8_S9_S9_EESK_S10_SL_SM_SN_EUlS10_E0_NS1_11comp_targetILNS1_3genE0ELNS1_11target_archE4294967295ELNS1_3gpuE0ELNS1_3repE0EEENS1_38merge_mergepath_config_static_selectorELNS0_4arch9wavefront6targetE0EEEvSM_,comdat
	.globl	_ZN7rocprim17ROCPRIM_400000_NS6detail17trampoline_kernelINS0_14default_configENS1_38merge_sort_block_merge_config_selectorIlNS0_10empty_typeEEEZZNS1_27merge_sort_block_merge_implIS3_PlPS5_mZN2at6native12_GLOBAL__N_124unique_dim_cuda_templateIlEESt5tupleIJNSA_6TensorESF_SF_EERKSF_lbbbEUlllE_EE10hipError_tT0_T1_T2_jT3_P12ihipStream_tbPNSt15iterator_traitsISL_E10value_typeEPNSR_ISM_E10value_typeEPSN_NS1_7vsmem_tEENKUlT_SL_SM_SN_E_clIS8_S8_S9_S9_EESK_S10_SL_SM_SN_EUlS10_E0_NS1_11comp_targetILNS1_3genE0ELNS1_11target_archE4294967295ELNS1_3gpuE0ELNS1_3repE0EEENS1_38merge_mergepath_config_static_selectorELNS0_4arch9wavefront6targetE0EEEvSM_ ; -- Begin function _ZN7rocprim17ROCPRIM_400000_NS6detail17trampoline_kernelINS0_14default_configENS1_38merge_sort_block_merge_config_selectorIlNS0_10empty_typeEEEZZNS1_27merge_sort_block_merge_implIS3_PlPS5_mZN2at6native12_GLOBAL__N_124unique_dim_cuda_templateIlEESt5tupleIJNSA_6TensorESF_SF_EERKSF_lbbbEUlllE_EE10hipError_tT0_T1_T2_jT3_P12ihipStream_tbPNSt15iterator_traitsISL_E10value_typeEPNSR_ISM_E10value_typeEPSN_NS1_7vsmem_tEENKUlT_SL_SM_SN_E_clIS8_S8_S9_S9_EESK_S10_SL_SM_SN_EUlS10_E0_NS1_11comp_targetILNS1_3genE0ELNS1_11target_archE4294967295ELNS1_3gpuE0ELNS1_3repE0EEENS1_38merge_mergepath_config_static_selectorELNS0_4arch9wavefront6targetE0EEEvSM_
	.p2align	8
	.type	_ZN7rocprim17ROCPRIM_400000_NS6detail17trampoline_kernelINS0_14default_configENS1_38merge_sort_block_merge_config_selectorIlNS0_10empty_typeEEEZZNS1_27merge_sort_block_merge_implIS3_PlPS5_mZN2at6native12_GLOBAL__N_124unique_dim_cuda_templateIlEESt5tupleIJNSA_6TensorESF_SF_EERKSF_lbbbEUlllE_EE10hipError_tT0_T1_T2_jT3_P12ihipStream_tbPNSt15iterator_traitsISL_E10value_typeEPNSR_ISM_E10value_typeEPSN_NS1_7vsmem_tEENKUlT_SL_SM_SN_E_clIS8_S8_S9_S9_EESK_S10_SL_SM_SN_EUlS10_E0_NS1_11comp_targetILNS1_3genE0ELNS1_11target_archE4294967295ELNS1_3gpuE0ELNS1_3repE0EEENS1_38merge_mergepath_config_static_selectorELNS0_4arch9wavefront6targetE0EEEvSM_,@function
_ZN7rocprim17ROCPRIM_400000_NS6detail17trampoline_kernelINS0_14default_configENS1_38merge_sort_block_merge_config_selectorIlNS0_10empty_typeEEEZZNS1_27merge_sort_block_merge_implIS3_PlPS5_mZN2at6native12_GLOBAL__N_124unique_dim_cuda_templateIlEESt5tupleIJNSA_6TensorESF_SF_EERKSF_lbbbEUlllE_EE10hipError_tT0_T1_T2_jT3_P12ihipStream_tbPNSt15iterator_traitsISL_E10value_typeEPNSR_ISM_E10value_typeEPSN_NS1_7vsmem_tEENKUlT_SL_SM_SN_E_clIS8_S8_S9_S9_EESK_S10_SL_SM_SN_EUlS10_E0_NS1_11comp_targetILNS1_3genE0ELNS1_11target_archE4294967295ELNS1_3gpuE0ELNS1_3repE0EEENS1_38merge_mergepath_config_static_selectorELNS0_4arch9wavefront6targetE0EEEvSM_: ; @_ZN7rocprim17ROCPRIM_400000_NS6detail17trampoline_kernelINS0_14default_configENS1_38merge_sort_block_merge_config_selectorIlNS0_10empty_typeEEEZZNS1_27merge_sort_block_merge_implIS3_PlPS5_mZN2at6native12_GLOBAL__N_124unique_dim_cuda_templateIlEESt5tupleIJNSA_6TensorESF_SF_EERKSF_lbbbEUlllE_EE10hipError_tT0_T1_T2_jT3_P12ihipStream_tbPNSt15iterator_traitsISL_E10value_typeEPNSR_ISM_E10value_typeEPSN_NS1_7vsmem_tEENKUlT_SL_SM_SN_E_clIS8_S8_S9_S9_EESK_S10_SL_SM_SN_EUlS10_E0_NS1_11comp_targetILNS1_3genE0ELNS1_11target_archE4294967295ELNS1_3gpuE0ELNS1_3repE0EEENS1_38merge_mergepath_config_static_selectorELNS0_4arch9wavefront6targetE0EEEvSM_
; %bb.0:
	.section	.rodata,"a",@progbits
	.p2align	6, 0x0
	.amdhsa_kernel _ZN7rocprim17ROCPRIM_400000_NS6detail17trampoline_kernelINS0_14default_configENS1_38merge_sort_block_merge_config_selectorIlNS0_10empty_typeEEEZZNS1_27merge_sort_block_merge_implIS3_PlPS5_mZN2at6native12_GLOBAL__N_124unique_dim_cuda_templateIlEESt5tupleIJNSA_6TensorESF_SF_EERKSF_lbbbEUlllE_EE10hipError_tT0_T1_T2_jT3_P12ihipStream_tbPNSt15iterator_traitsISL_E10value_typeEPNSR_ISM_E10value_typeEPSN_NS1_7vsmem_tEENKUlT_SL_SM_SN_E_clIS8_S8_S9_S9_EESK_S10_SL_SM_SN_EUlS10_E0_NS1_11comp_targetILNS1_3genE0ELNS1_11target_archE4294967295ELNS1_3gpuE0ELNS1_3repE0EEENS1_38merge_mergepath_config_static_selectorELNS0_4arch9wavefront6targetE0EEEvSM_
		.amdhsa_group_segment_fixed_size 0
		.amdhsa_private_segment_fixed_size 0
		.amdhsa_kernarg_size 88
		.amdhsa_user_sgpr_count 15
		.amdhsa_user_sgpr_dispatch_ptr 0
		.amdhsa_user_sgpr_queue_ptr 0
		.amdhsa_user_sgpr_kernarg_segment_ptr 1
		.amdhsa_user_sgpr_dispatch_id 0
		.amdhsa_user_sgpr_private_segment_size 0
		.amdhsa_wavefront_size32 1
		.amdhsa_uses_dynamic_stack 0
		.amdhsa_enable_private_segment 0
		.amdhsa_system_sgpr_workgroup_id_x 1
		.amdhsa_system_sgpr_workgroup_id_y 0
		.amdhsa_system_sgpr_workgroup_id_z 0
		.amdhsa_system_sgpr_workgroup_info 0
		.amdhsa_system_vgpr_workitem_id 0
		.amdhsa_next_free_vgpr 1
		.amdhsa_next_free_sgpr 1
		.amdhsa_reserve_vcc 0
		.amdhsa_float_round_mode_32 0
		.amdhsa_float_round_mode_16_64 0
		.amdhsa_float_denorm_mode_32 3
		.amdhsa_float_denorm_mode_16_64 3
		.amdhsa_dx10_clamp 1
		.amdhsa_ieee_mode 1
		.amdhsa_fp16_overflow 0
		.amdhsa_workgroup_processor_mode 1
		.amdhsa_memory_ordered 1
		.amdhsa_forward_progress 0
		.amdhsa_shared_vgpr_count 0
		.amdhsa_exception_fp_ieee_invalid_op 0
		.amdhsa_exception_fp_denorm_src 0
		.amdhsa_exception_fp_ieee_div_zero 0
		.amdhsa_exception_fp_ieee_overflow 0
		.amdhsa_exception_fp_ieee_underflow 0
		.amdhsa_exception_fp_ieee_inexact 0
		.amdhsa_exception_int_div_zero 0
	.end_amdhsa_kernel
	.section	.text._ZN7rocprim17ROCPRIM_400000_NS6detail17trampoline_kernelINS0_14default_configENS1_38merge_sort_block_merge_config_selectorIlNS0_10empty_typeEEEZZNS1_27merge_sort_block_merge_implIS3_PlPS5_mZN2at6native12_GLOBAL__N_124unique_dim_cuda_templateIlEESt5tupleIJNSA_6TensorESF_SF_EERKSF_lbbbEUlllE_EE10hipError_tT0_T1_T2_jT3_P12ihipStream_tbPNSt15iterator_traitsISL_E10value_typeEPNSR_ISM_E10value_typeEPSN_NS1_7vsmem_tEENKUlT_SL_SM_SN_E_clIS8_S8_S9_S9_EESK_S10_SL_SM_SN_EUlS10_E0_NS1_11comp_targetILNS1_3genE0ELNS1_11target_archE4294967295ELNS1_3gpuE0ELNS1_3repE0EEENS1_38merge_mergepath_config_static_selectorELNS0_4arch9wavefront6targetE0EEEvSM_,"axG",@progbits,_ZN7rocprim17ROCPRIM_400000_NS6detail17trampoline_kernelINS0_14default_configENS1_38merge_sort_block_merge_config_selectorIlNS0_10empty_typeEEEZZNS1_27merge_sort_block_merge_implIS3_PlPS5_mZN2at6native12_GLOBAL__N_124unique_dim_cuda_templateIlEESt5tupleIJNSA_6TensorESF_SF_EERKSF_lbbbEUlllE_EE10hipError_tT0_T1_T2_jT3_P12ihipStream_tbPNSt15iterator_traitsISL_E10value_typeEPNSR_ISM_E10value_typeEPSN_NS1_7vsmem_tEENKUlT_SL_SM_SN_E_clIS8_S8_S9_S9_EESK_S10_SL_SM_SN_EUlS10_E0_NS1_11comp_targetILNS1_3genE0ELNS1_11target_archE4294967295ELNS1_3gpuE0ELNS1_3repE0EEENS1_38merge_mergepath_config_static_selectorELNS0_4arch9wavefront6targetE0EEEvSM_,comdat
.Lfunc_end522:
	.size	_ZN7rocprim17ROCPRIM_400000_NS6detail17trampoline_kernelINS0_14default_configENS1_38merge_sort_block_merge_config_selectorIlNS0_10empty_typeEEEZZNS1_27merge_sort_block_merge_implIS3_PlPS5_mZN2at6native12_GLOBAL__N_124unique_dim_cuda_templateIlEESt5tupleIJNSA_6TensorESF_SF_EERKSF_lbbbEUlllE_EE10hipError_tT0_T1_T2_jT3_P12ihipStream_tbPNSt15iterator_traitsISL_E10value_typeEPNSR_ISM_E10value_typeEPSN_NS1_7vsmem_tEENKUlT_SL_SM_SN_E_clIS8_S8_S9_S9_EESK_S10_SL_SM_SN_EUlS10_E0_NS1_11comp_targetILNS1_3genE0ELNS1_11target_archE4294967295ELNS1_3gpuE0ELNS1_3repE0EEENS1_38merge_mergepath_config_static_selectorELNS0_4arch9wavefront6targetE0EEEvSM_, .Lfunc_end522-_ZN7rocprim17ROCPRIM_400000_NS6detail17trampoline_kernelINS0_14default_configENS1_38merge_sort_block_merge_config_selectorIlNS0_10empty_typeEEEZZNS1_27merge_sort_block_merge_implIS3_PlPS5_mZN2at6native12_GLOBAL__N_124unique_dim_cuda_templateIlEESt5tupleIJNSA_6TensorESF_SF_EERKSF_lbbbEUlllE_EE10hipError_tT0_T1_T2_jT3_P12ihipStream_tbPNSt15iterator_traitsISL_E10value_typeEPNSR_ISM_E10value_typeEPSN_NS1_7vsmem_tEENKUlT_SL_SM_SN_E_clIS8_S8_S9_S9_EESK_S10_SL_SM_SN_EUlS10_E0_NS1_11comp_targetILNS1_3genE0ELNS1_11target_archE4294967295ELNS1_3gpuE0ELNS1_3repE0EEENS1_38merge_mergepath_config_static_selectorELNS0_4arch9wavefront6targetE0EEEvSM_
                                        ; -- End function
	.section	.AMDGPU.csdata,"",@progbits
; Kernel info:
; codeLenInByte = 0
; NumSgprs: 0
; NumVgprs: 0
; ScratchSize: 0
; MemoryBound: 0
; FloatMode: 240
; IeeeMode: 1
; LDSByteSize: 0 bytes/workgroup (compile time only)
; SGPRBlocks: 0
; VGPRBlocks: 0
; NumSGPRsForWavesPerEU: 1
; NumVGPRsForWavesPerEU: 1
; Occupancy: 16
; WaveLimiterHint : 0
; COMPUTE_PGM_RSRC2:SCRATCH_EN: 0
; COMPUTE_PGM_RSRC2:USER_SGPR: 15
; COMPUTE_PGM_RSRC2:TRAP_HANDLER: 0
; COMPUTE_PGM_RSRC2:TGID_X_EN: 1
; COMPUTE_PGM_RSRC2:TGID_Y_EN: 0
; COMPUTE_PGM_RSRC2:TGID_Z_EN: 0
; COMPUTE_PGM_RSRC2:TIDIG_COMP_CNT: 0
	.section	.text._ZN7rocprim17ROCPRIM_400000_NS6detail17trampoline_kernelINS0_14default_configENS1_38merge_sort_block_merge_config_selectorIlNS0_10empty_typeEEEZZNS1_27merge_sort_block_merge_implIS3_PlPS5_mZN2at6native12_GLOBAL__N_124unique_dim_cuda_templateIlEESt5tupleIJNSA_6TensorESF_SF_EERKSF_lbbbEUlllE_EE10hipError_tT0_T1_T2_jT3_P12ihipStream_tbPNSt15iterator_traitsISL_E10value_typeEPNSR_ISM_E10value_typeEPSN_NS1_7vsmem_tEENKUlT_SL_SM_SN_E_clIS8_S8_S9_S9_EESK_S10_SL_SM_SN_EUlS10_E0_NS1_11comp_targetILNS1_3genE10ELNS1_11target_archE1201ELNS1_3gpuE5ELNS1_3repE0EEENS1_38merge_mergepath_config_static_selectorELNS0_4arch9wavefront6targetE0EEEvSM_,"axG",@progbits,_ZN7rocprim17ROCPRIM_400000_NS6detail17trampoline_kernelINS0_14default_configENS1_38merge_sort_block_merge_config_selectorIlNS0_10empty_typeEEEZZNS1_27merge_sort_block_merge_implIS3_PlPS5_mZN2at6native12_GLOBAL__N_124unique_dim_cuda_templateIlEESt5tupleIJNSA_6TensorESF_SF_EERKSF_lbbbEUlllE_EE10hipError_tT0_T1_T2_jT3_P12ihipStream_tbPNSt15iterator_traitsISL_E10value_typeEPNSR_ISM_E10value_typeEPSN_NS1_7vsmem_tEENKUlT_SL_SM_SN_E_clIS8_S8_S9_S9_EESK_S10_SL_SM_SN_EUlS10_E0_NS1_11comp_targetILNS1_3genE10ELNS1_11target_archE1201ELNS1_3gpuE5ELNS1_3repE0EEENS1_38merge_mergepath_config_static_selectorELNS0_4arch9wavefront6targetE0EEEvSM_,comdat
	.globl	_ZN7rocprim17ROCPRIM_400000_NS6detail17trampoline_kernelINS0_14default_configENS1_38merge_sort_block_merge_config_selectorIlNS0_10empty_typeEEEZZNS1_27merge_sort_block_merge_implIS3_PlPS5_mZN2at6native12_GLOBAL__N_124unique_dim_cuda_templateIlEESt5tupleIJNSA_6TensorESF_SF_EERKSF_lbbbEUlllE_EE10hipError_tT0_T1_T2_jT3_P12ihipStream_tbPNSt15iterator_traitsISL_E10value_typeEPNSR_ISM_E10value_typeEPSN_NS1_7vsmem_tEENKUlT_SL_SM_SN_E_clIS8_S8_S9_S9_EESK_S10_SL_SM_SN_EUlS10_E0_NS1_11comp_targetILNS1_3genE10ELNS1_11target_archE1201ELNS1_3gpuE5ELNS1_3repE0EEENS1_38merge_mergepath_config_static_selectorELNS0_4arch9wavefront6targetE0EEEvSM_ ; -- Begin function _ZN7rocprim17ROCPRIM_400000_NS6detail17trampoline_kernelINS0_14default_configENS1_38merge_sort_block_merge_config_selectorIlNS0_10empty_typeEEEZZNS1_27merge_sort_block_merge_implIS3_PlPS5_mZN2at6native12_GLOBAL__N_124unique_dim_cuda_templateIlEESt5tupleIJNSA_6TensorESF_SF_EERKSF_lbbbEUlllE_EE10hipError_tT0_T1_T2_jT3_P12ihipStream_tbPNSt15iterator_traitsISL_E10value_typeEPNSR_ISM_E10value_typeEPSN_NS1_7vsmem_tEENKUlT_SL_SM_SN_E_clIS8_S8_S9_S9_EESK_S10_SL_SM_SN_EUlS10_E0_NS1_11comp_targetILNS1_3genE10ELNS1_11target_archE1201ELNS1_3gpuE5ELNS1_3repE0EEENS1_38merge_mergepath_config_static_selectorELNS0_4arch9wavefront6targetE0EEEvSM_
	.p2align	8
	.type	_ZN7rocprim17ROCPRIM_400000_NS6detail17trampoline_kernelINS0_14default_configENS1_38merge_sort_block_merge_config_selectorIlNS0_10empty_typeEEEZZNS1_27merge_sort_block_merge_implIS3_PlPS5_mZN2at6native12_GLOBAL__N_124unique_dim_cuda_templateIlEESt5tupleIJNSA_6TensorESF_SF_EERKSF_lbbbEUlllE_EE10hipError_tT0_T1_T2_jT3_P12ihipStream_tbPNSt15iterator_traitsISL_E10value_typeEPNSR_ISM_E10value_typeEPSN_NS1_7vsmem_tEENKUlT_SL_SM_SN_E_clIS8_S8_S9_S9_EESK_S10_SL_SM_SN_EUlS10_E0_NS1_11comp_targetILNS1_3genE10ELNS1_11target_archE1201ELNS1_3gpuE5ELNS1_3repE0EEENS1_38merge_mergepath_config_static_selectorELNS0_4arch9wavefront6targetE0EEEvSM_,@function
_ZN7rocprim17ROCPRIM_400000_NS6detail17trampoline_kernelINS0_14default_configENS1_38merge_sort_block_merge_config_selectorIlNS0_10empty_typeEEEZZNS1_27merge_sort_block_merge_implIS3_PlPS5_mZN2at6native12_GLOBAL__N_124unique_dim_cuda_templateIlEESt5tupleIJNSA_6TensorESF_SF_EERKSF_lbbbEUlllE_EE10hipError_tT0_T1_T2_jT3_P12ihipStream_tbPNSt15iterator_traitsISL_E10value_typeEPNSR_ISM_E10value_typeEPSN_NS1_7vsmem_tEENKUlT_SL_SM_SN_E_clIS8_S8_S9_S9_EESK_S10_SL_SM_SN_EUlS10_E0_NS1_11comp_targetILNS1_3genE10ELNS1_11target_archE1201ELNS1_3gpuE5ELNS1_3repE0EEENS1_38merge_mergepath_config_static_selectorELNS0_4arch9wavefront6targetE0EEEvSM_: ; @_ZN7rocprim17ROCPRIM_400000_NS6detail17trampoline_kernelINS0_14default_configENS1_38merge_sort_block_merge_config_selectorIlNS0_10empty_typeEEEZZNS1_27merge_sort_block_merge_implIS3_PlPS5_mZN2at6native12_GLOBAL__N_124unique_dim_cuda_templateIlEESt5tupleIJNSA_6TensorESF_SF_EERKSF_lbbbEUlllE_EE10hipError_tT0_T1_T2_jT3_P12ihipStream_tbPNSt15iterator_traitsISL_E10value_typeEPNSR_ISM_E10value_typeEPSN_NS1_7vsmem_tEENKUlT_SL_SM_SN_E_clIS8_S8_S9_S9_EESK_S10_SL_SM_SN_EUlS10_E0_NS1_11comp_targetILNS1_3genE10ELNS1_11target_archE1201ELNS1_3gpuE5ELNS1_3repE0EEENS1_38merge_mergepath_config_static_selectorELNS0_4arch9wavefront6targetE0EEEvSM_
; %bb.0:
	.section	.rodata,"a",@progbits
	.p2align	6, 0x0
	.amdhsa_kernel _ZN7rocprim17ROCPRIM_400000_NS6detail17trampoline_kernelINS0_14default_configENS1_38merge_sort_block_merge_config_selectorIlNS0_10empty_typeEEEZZNS1_27merge_sort_block_merge_implIS3_PlPS5_mZN2at6native12_GLOBAL__N_124unique_dim_cuda_templateIlEESt5tupleIJNSA_6TensorESF_SF_EERKSF_lbbbEUlllE_EE10hipError_tT0_T1_T2_jT3_P12ihipStream_tbPNSt15iterator_traitsISL_E10value_typeEPNSR_ISM_E10value_typeEPSN_NS1_7vsmem_tEENKUlT_SL_SM_SN_E_clIS8_S8_S9_S9_EESK_S10_SL_SM_SN_EUlS10_E0_NS1_11comp_targetILNS1_3genE10ELNS1_11target_archE1201ELNS1_3gpuE5ELNS1_3repE0EEENS1_38merge_mergepath_config_static_selectorELNS0_4arch9wavefront6targetE0EEEvSM_
		.amdhsa_group_segment_fixed_size 0
		.amdhsa_private_segment_fixed_size 0
		.amdhsa_kernarg_size 88
		.amdhsa_user_sgpr_count 15
		.amdhsa_user_sgpr_dispatch_ptr 0
		.amdhsa_user_sgpr_queue_ptr 0
		.amdhsa_user_sgpr_kernarg_segment_ptr 1
		.amdhsa_user_sgpr_dispatch_id 0
		.amdhsa_user_sgpr_private_segment_size 0
		.amdhsa_wavefront_size32 1
		.amdhsa_uses_dynamic_stack 0
		.amdhsa_enable_private_segment 0
		.amdhsa_system_sgpr_workgroup_id_x 1
		.amdhsa_system_sgpr_workgroup_id_y 0
		.amdhsa_system_sgpr_workgroup_id_z 0
		.amdhsa_system_sgpr_workgroup_info 0
		.amdhsa_system_vgpr_workitem_id 0
		.amdhsa_next_free_vgpr 1
		.amdhsa_next_free_sgpr 1
		.amdhsa_reserve_vcc 0
		.amdhsa_float_round_mode_32 0
		.amdhsa_float_round_mode_16_64 0
		.amdhsa_float_denorm_mode_32 3
		.amdhsa_float_denorm_mode_16_64 3
		.amdhsa_dx10_clamp 1
		.amdhsa_ieee_mode 1
		.amdhsa_fp16_overflow 0
		.amdhsa_workgroup_processor_mode 1
		.amdhsa_memory_ordered 1
		.amdhsa_forward_progress 0
		.amdhsa_shared_vgpr_count 0
		.amdhsa_exception_fp_ieee_invalid_op 0
		.amdhsa_exception_fp_denorm_src 0
		.amdhsa_exception_fp_ieee_div_zero 0
		.amdhsa_exception_fp_ieee_overflow 0
		.amdhsa_exception_fp_ieee_underflow 0
		.amdhsa_exception_fp_ieee_inexact 0
		.amdhsa_exception_int_div_zero 0
	.end_amdhsa_kernel
	.section	.text._ZN7rocprim17ROCPRIM_400000_NS6detail17trampoline_kernelINS0_14default_configENS1_38merge_sort_block_merge_config_selectorIlNS0_10empty_typeEEEZZNS1_27merge_sort_block_merge_implIS3_PlPS5_mZN2at6native12_GLOBAL__N_124unique_dim_cuda_templateIlEESt5tupleIJNSA_6TensorESF_SF_EERKSF_lbbbEUlllE_EE10hipError_tT0_T1_T2_jT3_P12ihipStream_tbPNSt15iterator_traitsISL_E10value_typeEPNSR_ISM_E10value_typeEPSN_NS1_7vsmem_tEENKUlT_SL_SM_SN_E_clIS8_S8_S9_S9_EESK_S10_SL_SM_SN_EUlS10_E0_NS1_11comp_targetILNS1_3genE10ELNS1_11target_archE1201ELNS1_3gpuE5ELNS1_3repE0EEENS1_38merge_mergepath_config_static_selectorELNS0_4arch9wavefront6targetE0EEEvSM_,"axG",@progbits,_ZN7rocprim17ROCPRIM_400000_NS6detail17trampoline_kernelINS0_14default_configENS1_38merge_sort_block_merge_config_selectorIlNS0_10empty_typeEEEZZNS1_27merge_sort_block_merge_implIS3_PlPS5_mZN2at6native12_GLOBAL__N_124unique_dim_cuda_templateIlEESt5tupleIJNSA_6TensorESF_SF_EERKSF_lbbbEUlllE_EE10hipError_tT0_T1_T2_jT3_P12ihipStream_tbPNSt15iterator_traitsISL_E10value_typeEPNSR_ISM_E10value_typeEPSN_NS1_7vsmem_tEENKUlT_SL_SM_SN_E_clIS8_S8_S9_S9_EESK_S10_SL_SM_SN_EUlS10_E0_NS1_11comp_targetILNS1_3genE10ELNS1_11target_archE1201ELNS1_3gpuE5ELNS1_3repE0EEENS1_38merge_mergepath_config_static_selectorELNS0_4arch9wavefront6targetE0EEEvSM_,comdat
.Lfunc_end523:
	.size	_ZN7rocprim17ROCPRIM_400000_NS6detail17trampoline_kernelINS0_14default_configENS1_38merge_sort_block_merge_config_selectorIlNS0_10empty_typeEEEZZNS1_27merge_sort_block_merge_implIS3_PlPS5_mZN2at6native12_GLOBAL__N_124unique_dim_cuda_templateIlEESt5tupleIJNSA_6TensorESF_SF_EERKSF_lbbbEUlllE_EE10hipError_tT0_T1_T2_jT3_P12ihipStream_tbPNSt15iterator_traitsISL_E10value_typeEPNSR_ISM_E10value_typeEPSN_NS1_7vsmem_tEENKUlT_SL_SM_SN_E_clIS8_S8_S9_S9_EESK_S10_SL_SM_SN_EUlS10_E0_NS1_11comp_targetILNS1_3genE10ELNS1_11target_archE1201ELNS1_3gpuE5ELNS1_3repE0EEENS1_38merge_mergepath_config_static_selectorELNS0_4arch9wavefront6targetE0EEEvSM_, .Lfunc_end523-_ZN7rocprim17ROCPRIM_400000_NS6detail17trampoline_kernelINS0_14default_configENS1_38merge_sort_block_merge_config_selectorIlNS0_10empty_typeEEEZZNS1_27merge_sort_block_merge_implIS3_PlPS5_mZN2at6native12_GLOBAL__N_124unique_dim_cuda_templateIlEESt5tupleIJNSA_6TensorESF_SF_EERKSF_lbbbEUlllE_EE10hipError_tT0_T1_T2_jT3_P12ihipStream_tbPNSt15iterator_traitsISL_E10value_typeEPNSR_ISM_E10value_typeEPSN_NS1_7vsmem_tEENKUlT_SL_SM_SN_E_clIS8_S8_S9_S9_EESK_S10_SL_SM_SN_EUlS10_E0_NS1_11comp_targetILNS1_3genE10ELNS1_11target_archE1201ELNS1_3gpuE5ELNS1_3repE0EEENS1_38merge_mergepath_config_static_selectorELNS0_4arch9wavefront6targetE0EEEvSM_
                                        ; -- End function
	.section	.AMDGPU.csdata,"",@progbits
; Kernel info:
; codeLenInByte = 0
; NumSgprs: 0
; NumVgprs: 0
; ScratchSize: 0
; MemoryBound: 0
; FloatMode: 240
; IeeeMode: 1
; LDSByteSize: 0 bytes/workgroup (compile time only)
; SGPRBlocks: 0
; VGPRBlocks: 0
; NumSGPRsForWavesPerEU: 1
; NumVGPRsForWavesPerEU: 1
; Occupancy: 16
; WaveLimiterHint : 0
; COMPUTE_PGM_RSRC2:SCRATCH_EN: 0
; COMPUTE_PGM_RSRC2:USER_SGPR: 15
; COMPUTE_PGM_RSRC2:TRAP_HANDLER: 0
; COMPUTE_PGM_RSRC2:TGID_X_EN: 1
; COMPUTE_PGM_RSRC2:TGID_Y_EN: 0
; COMPUTE_PGM_RSRC2:TGID_Z_EN: 0
; COMPUTE_PGM_RSRC2:TIDIG_COMP_CNT: 0
	.section	.text._ZN7rocprim17ROCPRIM_400000_NS6detail17trampoline_kernelINS0_14default_configENS1_38merge_sort_block_merge_config_selectorIlNS0_10empty_typeEEEZZNS1_27merge_sort_block_merge_implIS3_PlPS5_mZN2at6native12_GLOBAL__N_124unique_dim_cuda_templateIlEESt5tupleIJNSA_6TensorESF_SF_EERKSF_lbbbEUlllE_EE10hipError_tT0_T1_T2_jT3_P12ihipStream_tbPNSt15iterator_traitsISL_E10value_typeEPNSR_ISM_E10value_typeEPSN_NS1_7vsmem_tEENKUlT_SL_SM_SN_E_clIS8_S8_S9_S9_EESK_S10_SL_SM_SN_EUlS10_E0_NS1_11comp_targetILNS1_3genE5ELNS1_11target_archE942ELNS1_3gpuE9ELNS1_3repE0EEENS1_38merge_mergepath_config_static_selectorELNS0_4arch9wavefront6targetE0EEEvSM_,"axG",@progbits,_ZN7rocprim17ROCPRIM_400000_NS6detail17trampoline_kernelINS0_14default_configENS1_38merge_sort_block_merge_config_selectorIlNS0_10empty_typeEEEZZNS1_27merge_sort_block_merge_implIS3_PlPS5_mZN2at6native12_GLOBAL__N_124unique_dim_cuda_templateIlEESt5tupleIJNSA_6TensorESF_SF_EERKSF_lbbbEUlllE_EE10hipError_tT0_T1_T2_jT3_P12ihipStream_tbPNSt15iterator_traitsISL_E10value_typeEPNSR_ISM_E10value_typeEPSN_NS1_7vsmem_tEENKUlT_SL_SM_SN_E_clIS8_S8_S9_S9_EESK_S10_SL_SM_SN_EUlS10_E0_NS1_11comp_targetILNS1_3genE5ELNS1_11target_archE942ELNS1_3gpuE9ELNS1_3repE0EEENS1_38merge_mergepath_config_static_selectorELNS0_4arch9wavefront6targetE0EEEvSM_,comdat
	.globl	_ZN7rocprim17ROCPRIM_400000_NS6detail17trampoline_kernelINS0_14default_configENS1_38merge_sort_block_merge_config_selectorIlNS0_10empty_typeEEEZZNS1_27merge_sort_block_merge_implIS3_PlPS5_mZN2at6native12_GLOBAL__N_124unique_dim_cuda_templateIlEESt5tupleIJNSA_6TensorESF_SF_EERKSF_lbbbEUlllE_EE10hipError_tT0_T1_T2_jT3_P12ihipStream_tbPNSt15iterator_traitsISL_E10value_typeEPNSR_ISM_E10value_typeEPSN_NS1_7vsmem_tEENKUlT_SL_SM_SN_E_clIS8_S8_S9_S9_EESK_S10_SL_SM_SN_EUlS10_E0_NS1_11comp_targetILNS1_3genE5ELNS1_11target_archE942ELNS1_3gpuE9ELNS1_3repE0EEENS1_38merge_mergepath_config_static_selectorELNS0_4arch9wavefront6targetE0EEEvSM_ ; -- Begin function _ZN7rocprim17ROCPRIM_400000_NS6detail17trampoline_kernelINS0_14default_configENS1_38merge_sort_block_merge_config_selectorIlNS0_10empty_typeEEEZZNS1_27merge_sort_block_merge_implIS3_PlPS5_mZN2at6native12_GLOBAL__N_124unique_dim_cuda_templateIlEESt5tupleIJNSA_6TensorESF_SF_EERKSF_lbbbEUlllE_EE10hipError_tT0_T1_T2_jT3_P12ihipStream_tbPNSt15iterator_traitsISL_E10value_typeEPNSR_ISM_E10value_typeEPSN_NS1_7vsmem_tEENKUlT_SL_SM_SN_E_clIS8_S8_S9_S9_EESK_S10_SL_SM_SN_EUlS10_E0_NS1_11comp_targetILNS1_3genE5ELNS1_11target_archE942ELNS1_3gpuE9ELNS1_3repE0EEENS1_38merge_mergepath_config_static_selectorELNS0_4arch9wavefront6targetE0EEEvSM_
	.p2align	8
	.type	_ZN7rocprim17ROCPRIM_400000_NS6detail17trampoline_kernelINS0_14default_configENS1_38merge_sort_block_merge_config_selectorIlNS0_10empty_typeEEEZZNS1_27merge_sort_block_merge_implIS3_PlPS5_mZN2at6native12_GLOBAL__N_124unique_dim_cuda_templateIlEESt5tupleIJNSA_6TensorESF_SF_EERKSF_lbbbEUlllE_EE10hipError_tT0_T1_T2_jT3_P12ihipStream_tbPNSt15iterator_traitsISL_E10value_typeEPNSR_ISM_E10value_typeEPSN_NS1_7vsmem_tEENKUlT_SL_SM_SN_E_clIS8_S8_S9_S9_EESK_S10_SL_SM_SN_EUlS10_E0_NS1_11comp_targetILNS1_3genE5ELNS1_11target_archE942ELNS1_3gpuE9ELNS1_3repE0EEENS1_38merge_mergepath_config_static_selectorELNS0_4arch9wavefront6targetE0EEEvSM_,@function
_ZN7rocprim17ROCPRIM_400000_NS6detail17trampoline_kernelINS0_14default_configENS1_38merge_sort_block_merge_config_selectorIlNS0_10empty_typeEEEZZNS1_27merge_sort_block_merge_implIS3_PlPS5_mZN2at6native12_GLOBAL__N_124unique_dim_cuda_templateIlEESt5tupleIJNSA_6TensorESF_SF_EERKSF_lbbbEUlllE_EE10hipError_tT0_T1_T2_jT3_P12ihipStream_tbPNSt15iterator_traitsISL_E10value_typeEPNSR_ISM_E10value_typeEPSN_NS1_7vsmem_tEENKUlT_SL_SM_SN_E_clIS8_S8_S9_S9_EESK_S10_SL_SM_SN_EUlS10_E0_NS1_11comp_targetILNS1_3genE5ELNS1_11target_archE942ELNS1_3gpuE9ELNS1_3repE0EEENS1_38merge_mergepath_config_static_selectorELNS0_4arch9wavefront6targetE0EEEvSM_: ; @_ZN7rocprim17ROCPRIM_400000_NS6detail17trampoline_kernelINS0_14default_configENS1_38merge_sort_block_merge_config_selectorIlNS0_10empty_typeEEEZZNS1_27merge_sort_block_merge_implIS3_PlPS5_mZN2at6native12_GLOBAL__N_124unique_dim_cuda_templateIlEESt5tupleIJNSA_6TensorESF_SF_EERKSF_lbbbEUlllE_EE10hipError_tT0_T1_T2_jT3_P12ihipStream_tbPNSt15iterator_traitsISL_E10value_typeEPNSR_ISM_E10value_typeEPSN_NS1_7vsmem_tEENKUlT_SL_SM_SN_E_clIS8_S8_S9_S9_EESK_S10_SL_SM_SN_EUlS10_E0_NS1_11comp_targetILNS1_3genE5ELNS1_11target_archE942ELNS1_3gpuE9ELNS1_3repE0EEENS1_38merge_mergepath_config_static_selectorELNS0_4arch9wavefront6targetE0EEEvSM_
; %bb.0:
	.section	.rodata,"a",@progbits
	.p2align	6, 0x0
	.amdhsa_kernel _ZN7rocprim17ROCPRIM_400000_NS6detail17trampoline_kernelINS0_14default_configENS1_38merge_sort_block_merge_config_selectorIlNS0_10empty_typeEEEZZNS1_27merge_sort_block_merge_implIS3_PlPS5_mZN2at6native12_GLOBAL__N_124unique_dim_cuda_templateIlEESt5tupleIJNSA_6TensorESF_SF_EERKSF_lbbbEUlllE_EE10hipError_tT0_T1_T2_jT3_P12ihipStream_tbPNSt15iterator_traitsISL_E10value_typeEPNSR_ISM_E10value_typeEPSN_NS1_7vsmem_tEENKUlT_SL_SM_SN_E_clIS8_S8_S9_S9_EESK_S10_SL_SM_SN_EUlS10_E0_NS1_11comp_targetILNS1_3genE5ELNS1_11target_archE942ELNS1_3gpuE9ELNS1_3repE0EEENS1_38merge_mergepath_config_static_selectorELNS0_4arch9wavefront6targetE0EEEvSM_
		.amdhsa_group_segment_fixed_size 0
		.amdhsa_private_segment_fixed_size 0
		.amdhsa_kernarg_size 88
		.amdhsa_user_sgpr_count 15
		.amdhsa_user_sgpr_dispatch_ptr 0
		.amdhsa_user_sgpr_queue_ptr 0
		.amdhsa_user_sgpr_kernarg_segment_ptr 1
		.amdhsa_user_sgpr_dispatch_id 0
		.amdhsa_user_sgpr_private_segment_size 0
		.amdhsa_wavefront_size32 1
		.amdhsa_uses_dynamic_stack 0
		.amdhsa_enable_private_segment 0
		.amdhsa_system_sgpr_workgroup_id_x 1
		.amdhsa_system_sgpr_workgroup_id_y 0
		.amdhsa_system_sgpr_workgroup_id_z 0
		.amdhsa_system_sgpr_workgroup_info 0
		.amdhsa_system_vgpr_workitem_id 0
		.amdhsa_next_free_vgpr 1
		.amdhsa_next_free_sgpr 1
		.amdhsa_reserve_vcc 0
		.amdhsa_float_round_mode_32 0
		.amdhsa_float_round_mode_16_64 0
		.amdhsa_float_denorm_mode_32 3
		.amdhsa_float_denorm_mode_16_64 3
		.amdhsa_dx10_clamp 1
		.amdhsa_ieee_mode 1
		.amdhsa_fp16_overflow 0
		.amdhsa_workgroup_processor_mode 1
		.amdhsa_memory_ordered 1
		.amdhsa_forward_progress 0
		.amdhsa_shared_vgpr_count 0
		.amdhsa_exception_fp_ieee_invalid_op 0
		.amdhsa_exception_fp_denorm_src 0
		.amdhsa_exception_fp_ieee_div_zero 0
		.amdhsa_exception_fp_ieee_overflow 0
		.amdhsa_exception_fp_ieee_underflow 0
		.amdhsa_exception_fp_ieee_inexact 0
		.amdhsa_exception_int_div_zero 0
	.end_amdhsa_kernel
	.section	.text._ZN7rocprim17ROCPRIM_400000_NS6detail17trampoline_kernelINS0_14default_configENS1_38merge_sort_block_merge_config_selectorIlNS0_10empty_typeEEEZZNS1_27merge_sort_block_merge_implIS3_PlPS5_mZN2at6native12_GLOBAL__N_124unique_dim_cuda_templateIlEESt5tupleIJNSA_6TensorESF_SF_EERKSF_lbbbEUlllE_EE10hipError_tT0_T1_T2_jT3_P12ihipStream_tbPNSt15iterator_traitsISL_E10value_typeEPNSR_ISM_E10value_typeEPSN_NS1_7vsmem_tEENKUlT_SL_SM_SN_E_clIS8_S8_S9_S9_EESK_S10_SL_SM_SN_EUlS10_E0_NS1_11comp_targetILNS1_3genE5ELNS1_11target_archE942ELNS1_3gpuE9ELNS1_3repE0EEENS1_38merge_mergepath_config_static_selectorELNS0_4arch9wavefront6targetE0EEEvSM_,"axG",@progbits,_ZN7rocprim17ROCPRIM_400000_NS6detail17trampoline_kernelINS0_14default_configENS1_38merge_sort_block_merge_config_selectorIlNS0_10empty_typeEEEZZNS1_27merge_sort_block_merge_implIS3_PlPS5_mZN2at6native12_GLOBAL__N_124unique_dim_cuda_templateIlEESt5tupleIJNSA_6TensorESF_SF_EERKSF_lbbbEUlllE_EE10hipError_tT0_T1_T2_jT3_P12ihipStream_tbPNSt15iterator_traitsISL_E10value_typeEPNSR_ISM_E10value_typeEPSN_NS1_7vsmem_tEENKUlT_SL_SM_SN_E_clIS8_S8_S9_S9_EESK_S10_SL_SM_SN_EUlS10_E0_NS1_11comp_targetILNS1_3genE5ELNS1_11target_archE942ELNS1_3gpuE9ELNS1_3repE0EEENS1_38merge_mergepath_config_static_selectorELNS0_4arch9wavefront6targetE0EEEvSM_,comdat
.Lfunc_end524:
	.size	_ZN7rocprim17ROCPRIM_400000_NS6detail17trampoline_kernelINS0_14default_configENS1_38merge_sort_block_merge_config_selectorIlNS0_10empty_typeEEEZZNS1_27merge_sort_block_merge_implIS3_PlPS5_mZN2at6native12_GLOBAL__N_124unique_dim_cuda_templateIlEESt5tupleIJNSA_6TensorESF_SF_EERKSF_lbbbEUlllE_EE10hipError_tT0_T1_T2_jT3_P12ihipStream_tbPNSt15iterator_traitsISL_E10value_typeEPNSR_ISM_E10value_typeEPSN_NS1_7vsmem_tEENKUlT_SL_SM_SN_E_clIS8_S8_S9_S9_EESK_S10_SL_SM_SN_EUlS10_E0_NS1_11comp_targetILNS1_3genE5ELNS1_11target_archE942ELNS1_3gpuE9ELNS1_3repE0EEENS1_38merge_mergepath_config_static_selectorELNS0_4arch9wavefront6targetE0EEEvSM_, .Lfunc_end524-_ZN7rocprim17ROCPRIM_400000_NS6detail17trampoline_kernelINS0_14default_configENS1_38merge_sort_block_merge_config_selectorIlNS0_10empty_typeEEEZZNS1_27merge_sort_block_merge_implIS3_PlPS5_mZN2at6native12_GLOBAL__N_124unique_dim_cuda_templateIlEESt5tupleIJNSA_6TensorESF_SF_EERKSF_lbbbEUlllE_EE10hipError_tT0_T1_T2_jT3_P12ihipStream_tbPNSt15iterator_traitsISL_E10value_typeEPNSR_ISM_E10value_typeEPSN_NS1_7vsmem_tEENKUlT_SL_SM_SN_E_clIS8_S8_S9_S9_EESK_S10_SL_SM_SN_EUlS10_E0_NS1_11comp_targetILNS1_3genE5ELNS1_11target_archE942ELNS1_3gpuE9ELNS1_3repE0EEENS1_38merge_mergepath_config_static_selectorELNS0_4arch9wavefront6targetE0EEEvSM_
                                        ; -- End function
	.section	.AMDGPU.csdata,"",@progbits
; Kernel info:
; codeLenInByte = 0
; NumSgprs: 0
; NumVgprs: 0
; ScratchSize: 0
; MemoryBound: 0
; FloatMode: 240
; IeeeMode: 1
; LDSByteSize: 0 bytes/workgroup (compile time only)
; SGPRBlocks: 0
; VGPRBlocks: 0
; NumSGPRsForWavesPerEU: 1
; NumVGPRsForWavesPerEU: 1
; Occupancy: 16
; WaveLimiterHint : 0
; COMPUTE_PGM_RSRC2:SCRATCH_EN: 0
; COMPUTE_PGM_RSRC2:USER_SGPR: 15
; COMPUTE_PGM_RSRC2:TRAP_HANDLER: 0
; COMPUTE_PGM_RSRC2:TGID_X_EN: 1
; COMPUTE_PGM_RSRC2:TGID_Y_EN: 0
; COMPUTE_PGM_RSRC2:TGID_Z_EN: 0
; COMPUTE_PGM_RSRC2:TIDIG_COMP_CNT: 0
	.section	.text._ZN7rocprim17ROCPRIM_400000_NS6detail17trampoline_kernelINS0_14default_configENS1_38merge_sort_block_merge_config_selectorIlNS0_10empty_typeEEEZZNS1_27merge_sort_block_merge_implIS3_PlPS5_mZN2at6native12_GLOBAL__N_124unique_dim_cuda_templateIlEESt5tupleIJNSA_6TensorESF_SF_EERKSF_lbbbEUlllE_EE10hipError_tT0_T1_T2_jT3_P12ihipStream_tbPNSt15iterator_traitsISL_E10value_typeEPNSR_ISM_E10value_typeEPSN_NS1_7vsmem_tEENKUlT_SL_SM_SN_E_clIS8_S8_S9_S9_EESK_S10_SL_SM_SN_EUlS10_E0_NS1_11comp_targetILNS1_3genE4ELNS1_11target_archE910ELNS1_3gpuE8ELNS1_3repE0EEENS1_38merge_mergepath_config_static_selectorELNS0_4arch9wavefront6targetE0EEEvSM_,"axG",@progbits,_ZN7rocprim17ROCPRIM_400000_NS6detail17trampoline_kernelINS0_14default_configENS1_38merge_sort_block_merge_config_selectorIlNS0_10empty_typeEEEZZNS1_27merge_sort_block_merge_implIS3_PlPS5_mZN2at6native12_GLOBAL__N_124unique_dim_cuda_templateIlEESt5tupleIJNSA_6TensorESF_SF_EERKSF_lbbbEUlllE_EE10hipError_tT0_T1_T2_jT3_P12ihipStream_tbPNSt15iterator_traitsISL_E10value_typeEPNSR_ISM_E10value_typeEPSN_NS1_7vsmem_tEENKUlT_SL_SM_SN_E_clIS8_S8_S9_S9_EESK_S10_SL_SM_SN_EUlS10_E0_NS1_11comp_targetILNS1_3genE4ELNS1_11target_archE910ELNS1_3gpuE8ELNS1_3repE0EEENS1_38merge_mergepath_config_static_selectorELNS0_4arch9wavefront6targetE0EEEvSM_,comdat
	.globl	_ZN7rocprim17ROCPRIM_400000_NS6detail17trampoline_kernelINS0_14default_configENS1_38merge_sort_block_merge_config_selectorIlNS0_10empty_typeEEEZZNS1_27merge_sort_block_merge_implIS3_PlPS5_mZN2at6native12_GLOBAL__N_124unique_dim_cuda_templateIlEESt5tupleIJNSA_6TensorESF_SF_EERKSF_lbbbEUlllE_EE10hipError_tT0_T1_T2_jT3_P12ihipStream_tbPNSt15iterator_traitsISL_E10value_typeEPNSR_ISM_E10value_typeEPSN_NS1_7vsmem_tEENKUlT_SL_SM_SN_E_clIS8_S8_S9_S9_EESK_S10_SL_SM_SN_EUlS10_E0_NS1_11comp_targetILNS1_3genE4ELNS1_11target_archE910ELNS1_3gpuE8ELNS1_3repE0EEENS1_38merge_mergepath_config_static_selectorELNS0_4arch9wavefront6targetE0EEEvSM_ ; -- Begin function _ZN7rocprim17ROCPRIM_400000_NS6detail17trampoline_kernelINS0_14default_configENS1_38merge_sort_block_merge_config_selectorIlNS0_10empty_typeEEEZZNS1_27merge_sort_block_merge_implIS3_PlPS5_mZN2at6native12_GLOBAL__N_124unique_dim_cuda_templateIlEESt5tupleIJNSA_6TensorESF_SF_EERKSF_lbbbEUlllE_EE10hipError_tT0_T1_T2_jT3_P12ihipStream_tbPNSt15iterator_traitsISL_E10value_typeEPNSR_ISM_E10value_typeEPSN_NS1_7vsmem_tEENKUlT_SL_SM_SN_E_clIS8_S8_S9_S9_EESK_S10_SL_SM_SN_EUlS10_E0_NS1_11comp_targetILNS1_3genE4ELNS1_11target_archE910ELNS1_3gpuE8ELNS1_3repE0EEENS1_38merge_mergepath_config_static_selectorELNS0_4arch9wavefront6targetE0EEEvSM_
	.p2align	8
	.type	_ZN7rocprim17ROCPRIM_400000_NS6detail17trampoline_kernelINS0_14default_configENS1_38merge_sort_block_merge_config_selectorIlNS0_10empty_typeEEEZZNS1_27merge_sort_block_merge_implIS3_PlPS5_mZN2at6native12_GLOBAL__N_124unique_dim_cuda_templateIlEESt5tupleIJNSA_6TensorESF_SF_EERKSF_lbbbEUlllE_EE10hipError_tT0_T1_T2_jT3_P12ihipStream_tbPNSt15iterator_traitsISL_E10value_typeEPNSR_ISM_E10value_typeEPSN_NS1_7vsmem_tEENKUlT_SL_SM_SN_E_clIS8_S8_S9_S9_EESK_S10_SL_SM_SN_EUlS10_E0_NS1_11comp_targetILNS1_3genE4ELNS1_11target_archE910ELNS1_3gpuE8ELNS1_3repE0EEENS1_38merge_mergepath_config_static_selectorELNS0_4arch9wavefront6targetE0EEEvSM_,@function
_ZN7rocprim17ROCPRIM_400000_NS6detail17trampoline_kernelINS0_14default_configENS1_38merge_sort_block_merge_config_selectorIlNS0_10empty_typeEEEZZNS1_27merge_sort_block_merge_implIS3_PlPS5_mZN2at6native12_GLOBAL__N_124unique_dim_cuda_templateIlEESt5tupleIJNSA_6TensorESF_SF_EERKSF_lbbbEUlllE_EE10hipError_tT0_T1_T2_jT3_P12ihipStream_tbPNSt15iterator_traitsISL_E10value_typeEPNSR_ISM_E10value_typeEPSN_NS1_7vsmem_tEENKUlT_SL_SM_SN_E_clIS8_S8_S9_S9_EESK_S10_SL_SM_SN_EUlS10_E0_NS1_11comp_targetILNS1_3genE4ELNS1_11target_archE910ELNS1_3gpuE8ELNS1_3repE0EEENS1_38merge_mergepath_config_static_selectorELNS0_4arch9wavefront6targetE0EEEvSM_: ; @_ZN7rocprim17ROCPRIM_400000_NS6detail17trampoline_kernelINS0_14default_configENS1_38merge_sort_block_merge_config_selectorIlNS0_10empty_typeEEEZZNS1_27merge_sort_block_merge_implIS3_PlPS5_mZN2at6native12_GLOBAL__N_124unique_dim_cuda_templateIlEESt5tupleIJNSA_6TensorESF_SF_EERKSF_lbbbEUlllE_EE10hipError_tT0_T1_T2_jT3_P12ihipStream_tbPNSt15iterator_traitsISL_E10value_typeEPNSR_ISM_E10value_typeEPSN_NS1_7vsmem_tEENKUlT_SL_SM_SN_E_clIS8_S8_S9_S9_EESK_S10_SL_SM_SN_EUlS10_E0_NS1_11comp_targetILNS1_3genE4ELNS1_11target_archE910ELNS1_3gpuE8ELNS1_3repE0EEENS1_38merge_mergepath_config_static_selectorELNS0_4arch9wavefront6targetE0EEEvSM_
; %bb.0:
	.section	.rodata,"a",@progbits
	.p2align	6, 0x0
	.amdhsa_kernel _ZN7rocprim17ROCPRIM_400000_NS6detail17trampoline_kernelINS0_14default_configENS1_38merge_sort_block_merge_config_selectorIlNS0_10empty_typeEEEZZNS1_27merge_sort_block_merge_implIS3_PlPS5_mZN2at6native12_GLOBAL__N_124unique_dim_cuda_templateIlEESt5tupleIJNSA_6TensorESF_SF_EERKSF_lbbbEUlllE_EE10hipError_tT0_T1_T2_jT3_P12ihipStream_tbPNSt15iterator_traitsISL_E10value_typeEPNSR_ISM_E10value_typeEPSN_NS1_7vsmem_tEENKUlT_SL_SM_SN_E_clIS8_S8_S9_S9_EESK_S10_SL_SM_SN_EUlS10_E0_NS1_11comp_targetILNS1_3genE4ELNS1_11target_archE910ELNS1_3gpuE8ELNS1_3repE0EEENS1_38merge_mergepath_config_static_selectorELNS0_4arch9wavefront6targetE0EEEvSM_
		.amdhsa_group_segment_fixed_size 0
		.amdhsa_private_segment_fixed_size 0
		.amdhsa_kernarg_size 88
		.amdhsa_user_sgpr_count 15
		.amdhsa_user_sgpr_dispatch_ptr 0
		.amdhsa_user_sgpr_queue_ptr 0
		.amdhsa_user_sgpr_kernarg_segment_ptr 1
		.amdhsa_user_sgpr_dispatch_id 0
		.amdhsa_user_sgpr_private_segment_size 0
		.amdhsa_wavefront_size32 1
		.amdhsa_uses_dynamic_stack 0
		.amdhsa_enable_private_segment 0
		.amdhsa_system_sgpr_workgroup_id_x 1
		.amdhsa_system_sgpr_workgroup_id_y 0
		.amdhsa_system_sgpr_workgroup_id_z 0
		.amdhsa_system_sgpr_workgroup_info 0
		.amdhsa_system_vgpr_workitem_id 0
		.amdhsa_next_free_vgpr 1
		.amdhsa_next_free_sgpr 1
		.amdhsa_reserve_vcc 0
		.amdhsa_float_round_mode_32 0
		.amdhsa_float_round_mode_16_64 0
		.amdhsa_float_denorm_mode_32 3
		.amdhsa_float_denorm_mode_16_64 3
		.amdhsa_dx10_clamp 1
		.amdhsa_ieee_mode 1
		.amdhsa_fp16_overflow 0
		.amdhsa_workgroup_processor_mode 1
		.amdhsa_memory_ordered 1
		.amdhsa_forward_progress 0
		.amdhsa_shared_vgpr_count 0
		.amdhsa_exception_fp_ieee_invalid_op 0
		.amdhsa_exception_fp_denorm_src 0
		.amdhsa_exception_fp_ieee_div_zero 0
		.amdhsa_exception_fp_ieee_overflow 0
		.amdhsa_exception_fp_ieee_underflow 0
		.amdhsa_exception_fp_ieee_inexact 0
		.amdhsa_exception_int_div_zero 0
	.end_amdhsa_kernel
	.section	.text._ZN7rocprim17ROCPRIM_400000_NS6detail17trampoline_kernelINS0_14default_configENS1_38merge_sort_block_merge_config_selectorIlNS0_10empty_typeEEEZZNS1_27merge_sort_block_merge_implIS3_PlPS5_mZN2at6native12_GLOBAL__N_124unique_dim_cuda_templateIlEESt5tupleIJNSA_6TensorESF_SF_EERKSF_lbbbEUlllE_EE10hipError_tT0_T1_T2_jT3_P12ihipStream_tbPNSt15iterator_traitsISL_E10value_typeEPNSR_ISM_E10value_typeEPSN_NS1_7vsmem_tEENKUlT_SL_SM_SN_E_clIS8_S8_S9_S9_EESK_S10_SL_SM_SN_EUlS10_E0_NS1_11comp_targetILNS1_3genE4ELNS1_11target_archE910ELNS1_3gpuE8ELNS1_3repE0EEENS1_38merge_mergepath_config_static_selectorELNS0_4arch9wavefront6targetE0EEEvSM_,"axG",@progbits,_ZN7rocprim17ROCPRIM_400000_NS6detail17trampoline_kernelINS0_14default_configENS1_38merge_sort_block_merge_config_selectorIlNS0_10empty_typeEEEZZNS1_27merge_sort_block_merge_implIS3_PlPS5_mZN2at6native12_GLOBAL__N_124unique_dim_cuda_templateIlEESt5tupleIJNSA_6TensorESF_SF_EERKSF_lbbbEUlllE_EE10hipError_tT0_T1_T2_jT3_P12ihipStream_tbPNSt15iterator_traitsISL_E10value_typeEPNSR_ISM_E10value_typeEPSN_NS1_7vsmem_tEENKUlT_SL_SM_SN_E_clIS8_S8_S9_S9_EESK_S10_SL_SM_SN_EUlS10_E0_NS1_11comp_targetILNS1_3genE4ELNS1_11target_archE910ELNS1_3gpuE8ELNS1_3repE0EEENS1_38merge_mergepath_config_static_selectorELNS0_4arch9wavefront6targetE0EEEvSM_,comdat
.Lfunc_end525:
	.size	_ZN7rocprim17ROCPRIM_400000_NS6detail17trampoline_kernelINS0_14default_configENS1_38merge_sort_block_merge_config_selectorIlNS0_10empty_typeEEEZZNS1_27merge_sort_block_merge_implIS3_PlPS5_mZN2at6native12_GLOBAL__N_124unique_dim_cuda_templateIlEESt5tupleIJNSA_6TensorESF_SF_EERKSF_lbbbEUlllE_EE10hipError_tT0_T1_T2_jT3_P12ihipStream_tbPNSt15iterator_traitsISL_E10value_typeEPNSR_ISM_E10value_typeEPSN_NS1_7vsmem_tEENKUlT_SL_SM_SN_E_clIS8_S8_S9_S9_EESK_S10_SL_SM_SN_EUlS10_E0_NS1_11comp_targetILNS1_3genE4ELNS1_11target_archE910ELNS1_3gpuE8ELNS1_3repE0EEENS1_38merge_mergepath_config_static_selectorELNS0_4arch9wavefront6targetE0EEEvSM_, .Lfunc_end525-_ZN7rocprim17ROCPRIM_400000_NS6detail17trampoline_kernelINS0_14default_configENS1_38merge_sort_block_merge_config_selectorIlNS0_10empty_typeEEEZZNS1_27merge_sort_block_merge_implIS3_PlPS5_mZN2at6native12_GLOBAL__N_124unique_dim_cuda_templateIlEESt5tupleIJNSA_6TensorESF_SF_EERKSF_lbbbEUlllE_EE10hipError_tT0_T1_T2_jT3_P12ihipStream_tbPNSt15iterator_traitsISL_E10value_typeEPNSR_ISM_E10value_typeEPSN_NS1_7vsmem_tEENKUlT_SL_SM_SN_E_clIS8_S8_S9_S9_EESK_S10_SL_SM_SN_EUlS10_E0_NS1_11comp_targetILNS1_3genE4ELNS1_11target_archE910ELNS1_3gpuE8ELNS1_3repE0EEENS1_38merge_mergepath_config_static_selectorELNS0_4arch9wavefront6targetE0EEEvSM_
                                        ; -- End function
	.section	.AMDGPU.csdata,"",@progbits
; Kernel info:
; codeLenInByte = 0
; NumSgprs: 0
; NumVgprs: 0
; ScratchSize: 0
; MemoryBound: 0
; FloatMode: 240
; IeeeMode: 1
; LDSByteSize: 0 bytes/workgroup (compile time only)
; SGPRBlocks: 0
; VGPRBlocks: 0
; NumSGPRsForWavesPerEU: 1
; NumVGPRsForWavesPerEU: 1
; Occupancy: 16
; WaveLimiterHint : 0
; COMPUTE_PGM_RSRC2:SCRATCH_EN: 0
; COMPUTE_PGM_RSRC2:USER_SGPR: 15
; COMPUTE_PGM_RSRC2:TRAP_HANDLER: 0
; COMPUTE_PGM_RSRC2:TGID_X_EN: 1
; COMPUTE_PGM_RSRC2:TGID_Y_EN: 0
; COMPUTE_PGM_RSRC2:TGID_Z_EN: 0
; COMPUTE_PGM_RSRC2:TIDIG_COMP_CNT: 0
	.section	.text._ZN7rocprim17ROCPRIM_400000_NS6detail17trampoline_kernelINS0_14default_configENS1_38merge_sort_block_merge_config_selectorIlNS0_10empty_typeEEEZZNS1_27merge_sort_block_merge_implIS3_PlPS5_mZN2at6native12_GLOBAL__N_124unique_dim_cuda_templateIlEESt5tupleIJNSA_6TensorESF_SF_EERKSF_lbbbEUlllE_EE10hipError_tT0_T1_T2_jT3_P12ihipStream_tbPNSt15iterator_traitsISL_E10value_typeEPNSR_ISM_E10value_typeEPSN_NS1_7vsmem_tEENKUlT_SL_SM_SN_E_clIS8_S8_S9_S9_EESK_S10_SL_SM_SN_EUlS10_E0_NS1_11comp_targetILNS1_3genE3ELNS1_11target_archE908ELNS1_3gpuE7ELNS1_3repE0EEENS1_38merge_mergepath_config_static_selectorELNS0_4arch9wavefront6targetE0EEEvSM_,"axG",@progbits,_ZN7rocprim17ROCPRIM_400000_NS6detail17trampoline_kernelINS0_14default_configENS1_38merge_sort_block_merge_config_selectorIlNS0_10empty_typeEEEZZNS1_27merge_sort_block_merge_implIS3_PlPS5_mZN2at6native12_GLOBAL__N_124unique_dim_cuda_templateIlEESt5tupleIJNSA_6TensorESF_SF_EERKSF_lbbbEUlllE_EE10hipError_tT0_T1_T2_jT3_P12ihipStream_tbPNSt15iterator_traitsISL_E10value_typeEPNSR_ISM_E10value_typeEPSN_NS1_7vsmem_tEENKUlT_SL_SM_SN_E_clIS8_S8_S9_S9_EESK_S10_SL_SM_SN_EUlS10_E0_NS1_11comp_targetILNS1_3genE3ELNS1_11target_archE908ELNS1_3gpuE7ELNS1_3repE0EEENS1_38merge_mergepath_config_static_selectorELNS0_4arch9wavefront6targetE0EEEvSM_,comdat
	.globl	_ZN7rocprim17ROCPRIM_400000_NS6detail17trampoline_kernelINS0_14default_configENS1_38merge_sort_block_merge_config_selectorIlNS0_10empty_typeEEEZZNS1_27merge_sort_block_merge_implIS3_PlPS5_mZN2at6native12_GLOBAL__N_124unique_dim_cuda_templateIlEESt5tupleIJNSA_6TensorESF_SF_EERKSF_lbbbEUlllE_EE10hipError_tT0_T1_T2_jT3_P12ihipStream_tbPNSt15iterator_traitsISL_E10value_typeEPNSR_ISM_E10value_typeEPSN_NS1_7vsmem_tEENKUlT_SL_SM_SN_E_clIS8_S8_S9_S9_EESK_S10_SL_SM_SN_EUlS10_E0_NS1_11comp_targetILNS1_3genE3ELNS1_11target_archE908ELNS1_3gpuE7ELNS1_3repE0EEENS1_38merge_mergepath_config_static_selectorELNS0_4arch9wavefront6targetE0EEEvSM_ ; -- Begin function _ZN7rocprim17ROCPRIM_400000_NS6detail17trampoline_kernelINS0_14default_configENS1_38merge_sort_block_merge_config_selectorIlNS0_10empty_typeEEEZZNS1_27merge_sort_block_merge_implIS3_PlPS5_mZN2at6native12_GLOBAL__N_124unique_dim_cuda_templateIlEESt5tupleIJNSA_6TensorESF_SF_EERKSF_lbbbEUlllE_EE10hipError_tT0_T1_T2_jT3_P12ihipStream_tbPNSt15iterator_traitsISL_E10value_typeEPNSR_ISM_E10value_typeEPSN_NS1_7vsmem_tEENKUlT_SL_SM_SN_E_clIS8_S8_S9_S9_EESK_S10_SL_SM_SN_EUlS10_E0_NS1_11comp_targetILNS1_3genE3ELNS1_11target_archE908ELNS1_3gpuE7ELNS1_3repE0EEENS1_38merge_mergepath_config_static_selectorELNS0_4arch9wavefront6targetE0EEEvSM_
	.p2align	8
	.type	_ZN7rocprim17ROCPRIM_400000_NS6detail17trampoline_kernelINS0_14default_configENS1_38merge_sort_block_merge_config_selectorIlNS0_10empty_typeEEEZZNS1_27merge_sort_block_merge_implIS3_PlPS5_mZN2at6native12_GLOBAL__N_124unique_dim_cuda_templateIlEESt5tupleIJNSA_6TensorESF_SF_EERKSF_lbbbEUlllE_EE10hipError_tT0_T1_T2_jT3_P12ihipStream_tbPNSt15iterator_traitsISL_E10value_typeEPNSR_ISM_E10value_typeEPSN_NS1_7vsmem_tEENKUlT_SL_SM_SN_E_clIS8_S8_S9_S9_EESK_S10_SL_SM_SN_EUlS10_E0_NS1_11comp_targetILNS1_3genE3ELNS1_11target_archE908ELNS1_3gpuE7ELNS1_3repE0EEENS1_38merge_mergepath_config_static_selectorELNS0_4arch9wavefront6targetE0EEEvSM_,@function
_ZN7rocprim17ROCPRIM_400000_NS6detail17trampoline_kernelINS0_14default_configENS1_38merge_sort_block_merge_config_selectorIlNS0_10empty_typeEEEZZNS1_27merge_sort_block_merge_implIS3_PlPS5_mZN2at6native12_GLOBAL__N_124unique_dim_cuda_templateIlEESt5tupleIJNSA_6TensorESF_SF_EERKSF_lbbbEUlllE_EE10hipError_tT0_T1_T2_jT3_P12ihipStream_tbPNSt15iterator_traitsISL_E10value_typeEPNSR_ISM_E10value_typeEPSN_NS1_7vsmem_tEENKUlT_SL_SM_SN_E_clIS8_S8_S9_S9_EESK_S10_SL_SM_SN_EUlS10_E0_NS1_11comp_targetILNS1_3genE3ELNS1_11target_archE908ELNS1_3gpuE7ELNS1_3repE0EEENS1_38merge_mergepath_config_static_selectorELNS0_4arch9wavefront6targetE0EEEvSM_: ; @_ZN7rocprim17ROCPRIM_400000_NS6detail17trampoline_kernelINS0_14default_configENS1_38merge_sort_block_merge_config_selectorIlNS0_10empty_typeEEEZZNS1_27merge_sort_block_merge_implIS3_PlPS5_mZN2at6native12_GLOBAL__N_124unique_dim_cuda_templateIlEESt5tupleIJNSA_6TensorESF_SF_EERKSF_lbbbEUlllE_EE10hipError_tT0_T1_T2_jT3_P12ihipStream_tbPNSt15iterator_traitsISL_E10value_typeEPNSR_ISM_E10value_typeEPSN_NS1_7vsmem_tEENKUlT_SL_SM_SN_E_clIS8_S8_S9_S9_EESK_S10_SL_SM_SN_EUlS10_E0_NS1_11comp_targetILNS1_3genE3ELNS1_11target_archE908ELNS1_3gpuE7ELNS1_3repE0EEENS1_38merge_mergepath_config_static_selectorELNS0_4arch9wavefront6targetE0EEEvSM_
; %bb.0:
	.section	.rodata,"a",@progbits
	.p2align	6, 0x0
	.amdhsa_kernel _ZN7rocprim17ROCPRIM_400000_NS6detail17trampoline_kernelINS0_14default_configENS1_38merge_sort_block_merge_config_selectorIlNS0_10empty_typeEEEZZNS1_27merge_sort_block_merge_implIS3_PlPS5_mZN2at6native12_GLOBAL__N_124unique_dim_cuda_templateIlEESt5tupleIJNSA_6TensorESF_SF_EERKSF_lbbbEUlllE_EE10hipError_tT0_T1_T2_jT3_P12ihipStream_tbPNSt15iterator_traitsISL_E10value_typeEPNSR_ISM_E10value_typeEPSN_NS1_7vsmem_tEENKUlT_SL_SM_SN_E_clIS8_S8_S9_S9_EESK_S10_SL_SM_SN_EUlS10_E0_NS1_11comp_targetILNS1_3genE3ELNS1_11target_archE908ELNS1_3gpuE7ELNS1_3repE0EEENS1_38merge_mergepath_config_static_selectorELNS0_4arch9wavefront6targetE0EEEvSM_
		.amdhsa_group_segment_fixed_size 0
		.amdhsa_private_segment_fixed_size 0
		.amdhsa_kernarg_size 88
		.amdhsa_user_sgpr_count 15
		.amdhsa_user_sgpr_dispatch_ptr 0
		.amdhsa_user_sgpr_queue_ptr 0
		.amdhsa_user_sgpr_kernarg_segment_ptr 1
		.amdhsa_user_sgpr_dispatch_id 0
		.amdhsa_user_sgpr_private_segment_size 0
		.amdhsa_wavefront_size32 1
		.amdhsa_uses_dynamic_stack 0
		.amdhsa_enable_private_segment 0
		.amdhsa_system_sgpr_workgroup_id_x 1
		.amdhsa_system_sgpr_workgroup_id_y 0
		.amdhsa_system_sgpr_workgroup_id_z 0
		.amdhsa_system_sgpr_workgroup_info 0
		.amdhsa_system_vgpr_workitem_id 0
		.amdhsa_next_free_vgpr 1
		.amdhsa_next_free_sgpr 1
		.amdhsa_reserve_vcc 0
		.amdhsa_float_round_mode_32 0
		.amdhsa_float_round_mode_16_64 0
		.amdhsa_float_denorm_mode_32 3
		.amdhsa_float_denorm_mode_16_64 3
		.amdhsa_dx10_clamp 1
		.amdhsa_ieee_mode 1
		.amdhsa_fp16_overflow 0
		.amdhsa_workgroup_processor_mode 1
		.amdhsa_memory_ordered 1
		.amdhsa_forward_progress 0
		.amdhsa_shared_vgpr_count 0
		.amdhsa_exception_fp_ieee_invalid_op 0
		.amdhsa_exception_fp_denorm_src 0
		.amdhsa_exception_fp_ieee_div_zero 0
		.amdhsa_exception_fp_ieee_overflow 0
		.amdhsa_exception_fp_ieee_underflow 0
		.amdhsa_exception_fp_ieee_inexact 0
		.amdhsa_exception_int_div_zero 0
	.end_amdhsa_kernel
	.section	.text._ZN7rocprim17ROCPRIM_400000_NS6detail17trampoline_kernelINS0_14default_configENS1_38merge_sort_block_merge_config_selectorIlNS0_10empty_typeEEEZZNS1_27merge_sort_block_merge_implIS3_PlPS5_mZN2at6native12_GLOBAL__N_124unique_dim_cuda_templateIlEESt5tupleIJNSA_6TensorESF_SF_EERKSF_lbbbEUlllE_EE10hipError_tT0_T1_T2_jT3_P12ihipStream_tbPNSt15iterator_traitsISL_E10value_typeEPNSR_ISM_E10value_typeEPSN_NS1_7vsmem_tEENKUlT_SL_SM_SN_E_clIS8_S8_S9_S9_EESK_S10_SL_SM_SN_EUlS10_E0_NS1_11comp_targetILNS1_3genE3ELNS1_11target_archE908ELNS1_3gpuE7ELNS1_3repE0EEENS1_38merge_mergepath_config_static_selectorELNS0_4arch9wavefront6targetE0EEEvSM_,"axG",@progbits,_ZN7rocprim17ROCPRIM_400000_NS6detail17trampoline_kernelINS0_14default_configENS1_38merge_sort_block_merge_config_selectorIlNS0_10empty_typeEEEZZNS1_27merge_sort_block_merge_implIS3_PlPS5_mZN2at6native12_GLOBAL__N_124unique_dim_cuda_templateIlEESt5tupleIJNSA_6TensorESF_SF_EERKSF_lbbbEUlllE_EE10hipError_tT0_T1_T2_jT3_P12ihipStream_tbPNSt15iterator_traitsISL_E10value_typeEPNSR_ISM_E10value_typeEPSN_NS1_7vsmem_tEENKUlT_SL_SM_SN_E_clIS8_S8_S9_S9_EESK_S10_SL_SM_SN_EUlS10_E0_NS1_11comp_targetILNS1_3genE3ELNS1_11target_archE908ELNS1_3gpuE7ELNS1_3repE0EEENS1_38merge_mergepath_config_static_selectorELNS0_4arch9wavefront6targetE0EEEvSM_,comdat
.Lfunc_end526:
	.size	_ZN7rocprim17ROCPRIM_400000_NS6detail17trampoline_kernelINS0_14default_configENS1_38merge_sort_block_merge_config_selectorIlNS0_10empty_typeEEEZZNS1_27merge_sort_block_merge_implIS3_PlPS5_mZN2at6native12_GLOBAL__N_124unique_dim_cuda_templateIlEESt5tupleIJNSA_6TensorESF_SF_EERKSF_lbbbEUlllE_EE10hipError_tT0_T1_T2_jT3_P12ihipStream_tbPNSt15iterator_traitsISL_E10value_typeEPNSR_ISM_E10value_typeEPSN_NS1_7vsmem_tEENKUlT_SL_SM_SN_E_clIS8_S8_S9_S9_EESK_S10_SL_SM_SN_EUlS10_E0_NS1_11comp_targetILNS1_3genE3ELNS1_11target_archE908ELNS1_3gpuE7ELNS1_3repE0EEENS1_38merge_mergepath_config_static_selectorELNS0_4arch9wavefront6targetE0EEEvSM_, .Lfunc_end526-_ZN7rocprim17ROCPRIM_400000_NS6detail17trampoline_kernelINS0_14default_configENS1_38merge_sort_block_merge_config_selectorIlNS0_10empty_typeEEEZZNS1_27merge_sort_block_merge_implIS3_PlPS5_mZN2at6native12_GLOBAL__N_124unique_dim_cuda_templateIlEESt5tupleIJNSA_6TensorESF_SF_EERKSF_lbbbEUlllE_EE10hipError_tT0_T1_T2_jT3_P12ihipStream_tbPNSt15iterator_traitsISL_E10value_typeEPNSR_ISM_E10value_typeEPSN_NS1_7vsmem_tEENKUlT_SL_SM_SN_E_clIS8_S8_S9_S9_EESK_S10_SL_SM_SN_EUlS10_E0_NS1_11comp_targetILNS1_3genE3ELNS1_11target_archE908ELNS1_3gpuE7ELNS1_3repE0EEENS1_38merge_mergepath_config_static_selectorELNS0_4arch9wavefront6targetE0EEEvSM_
                                        ; -- End function
	.section	.AMDGPU.csdata,"",@progbits
; Kernel info:
; codeLenInByte = 0
; NumSgprs: 0
; NumVgprs: 0
; ScratchSize: 0
; MemoryBound: 0
; FloatMode: 240
; IeeeMode: 1
; LDSByteSize: 0 bytes/workgroup (compile time only)
; SGPRBlocks: 0
; VGPRBlocks: 0
; NumSGPRsForWavesPerEU: 1
; NumVGPRsForWavesPerEU: 1
; Occupancy: 16
; WaveLimiterHint : 0
; COMPUTE_PGM_RSRC2:SCRATCH_EN: 0
; COMPUTE_PGM_RSRC2:USER_SGPR: 15
; COMPUTE_PGM_RSRC2:TRAP_HANDLER: 0
; COMPUTE_PGM_RSRC2:TGID_X_EN: 1
; COMPUTE_PGM_RSRC2:TGID_Y_EN: 0
; COMPUTE_PGM_RSRC2:TGID_Z_EN: 0
; COMPUTE_PGM_RSRC2:TIDIG_COMP_CNT: 0
	.section	.text._ZN7rocprim17ROCPRIM_400000_NS6detail17trampoline_kernelINS0_14default_configENS1_38merge_sort_block_merge_config_selectorIlNS0_10empty_typeEEEZZNS1_27merge_sort_block_merge_implIS3_PlPS5_mZN2at6native12_GLOBAL__N_124unique_dim_cuda_templateIlEESt5tupleIJNSA_6TensorESF_SF_EERKSF_lbbbEUlllE_EE10hipError_tT0_T1_T2_jT3_P12ihipStream_tbPNSt15iterator_traitsISL_E10value_typeEPNSR_ISM_E10value_typeEPSN_NS1_7vsmem_tEENKUlT_SL_SM_SN_E_clIS8_S8_S9_S9_EESK_S10_SL_SM_SN_EUlS10_E0_NS1_11comp_targetILNS1_3genE2ELNS1_11target_archE906ELNS1_3gpuE6ELNS1_3repE0EEENS1_38merge_mergepath_config_static_selectorELNS0_4arch9wavefront6targetE0EEEvSM_,"axG",@progbits,_ZN7rocprim17ROCPRIM_400000_NS6detail17trampoline_kernelINS0_14default_configENS1_38merge_sort_block_merge_config_selectorIlNS0_10empty_typeEEEZZNS1_27merge_sort_block_merge_implIS3_PlPS5_mZN2at6native12_GLOBAL__N_124unique_dim_cuda_templateIlEESt5tupleIJNSA_6TensorESF_SF_EERKSF_lbbbEUlllE_EE10hipError_tT0_T1_T2_jT3_P12ihipStream_tbPNSt15iterator_traitsISL_E10value_typeEPNSR_ISM_E10value_typeEPSN_NS1_7vsmem_tEENKUlT_SL_SM_SN_E_clIS8_S8_S9_S9_EESK_S10_SL_SM_SN_EUlS10_E0_NS1_11comp_targetILNS1_3genE2ELNS1_11target_archE906ELNS1_3gpuE6ELNS1_3repE0EEENS1_38merge_mergepath_config_static_selectorELNS0_4arch9wavefront6targetE0EEEvSM_,comdat
	.globl	_ZN7rocprim17ROCPRIM_400000_NS6detail17trampoline_kernelINS0_14default_configENS1_38merge_sort_block_merge_config_selectorIlNS0_10empty_typeEEEZZNS1_27merge_sort_block_merge_implIS3_PlPS5_mZN2at6native12_GLOBAL__N_124unique_dim_cuda_templateIlEESt5tupleIJNSA_6TensorESF_SF_EERKSF_lbbbEUlllE_EE10hipError_tT0_T1_T2_jT3_P12ihipStream_tbPNSt15iterator_traitsISL_E10value_typeEPNSR_ISM_E10value_typeEPSN_NS1_7vsmem_tEENKUlT_SL_SM_SN_E_clIS8_S8_S9_S9_EESK_S10_SL_SM_SN_EUlS10_E0_NS1_11comp_targetILNS1_3genE2ELNS1_11target_archE906ELNS1_3gpuE6ELNS1_3repE0EEENS1_38merge_mergepath_config_static_selectorELNS0_4arch9wavefront6targetE0EEEvSM_ ; -- Begin function _ZN7rocprim17ROCPRIM_400000_NS6detail17trampoline_kernelINS0_14default_configENS1_38merge_sort_block_merge_config_selectorIlNS0_10empty_typeEEEZZNS1_27merge_sort_block_merge_implIS3_PlPS5_mZN2at6native12_GLOBAL__N_124unique_dim_cuda_templateIlEESt5tupleIJNSA_6TensorESF_SF_EERKSF_lbbbEUlllE_EE10hipError_tT0_T1_T2_jT3_P12ihipStream_tbPNSt15iterator_traitsISL_E10value_typeEPNSR_ISM_E10value_typeEPSN_NS1_7vsmem_tEENKUlT_SL_SM_SN_E_clIS8_S8_S9_S9_EESK_S10_SL_SM_SN_EUlS10_E0_NS1_11comp_targetILNS1_3genE2ELNS1_11target_archE906ELNS1_3gpuE6ELNS1_3repE0EEENS1_38merge_mergepath_config_static_selectorELNS0_4arch9wavefront6targetE0EEEvSM_
	.p2align	8
	.type	_ZN7rocprim17ROCPRIM_400000_NS6detail17trampoline_kernelINS0_14default_configENS1_38merge_sort_block_merge_config_selectorIlNS0_10empty_typeEEEZZNS1_27merge_sort_block_merge_implIS3_PlPS5_mZN2at6native12_GLOBAL__N_124unique_dim_cuda_templateIlEESt5tupleIJNSA_6TensorESF_SF_EERKSF_lbbbEUlllE_EE10hipError_tT0_T1_T2_jT3_P12ihipStream_tbPNSt15iterator_traitsISL_E10value_typeEPNSR_ISM_E10value_typeEPSN_NS1_7vsmem_tEENKUlT_SL_SM_SN_E_clIS8_S8_S9_S9_EESK_S10_SL_SM_SN_EUlS10_E0_NS1_11comp_targetILNS1_3genE2ELNS1_11target_archE906ELNS1_3gpuE6ELNS1_3repE0EEENS1_38merge_mergepath_config_static_selectorELNS0_4arch9wavefront6targetE0EEEvSM_,@function
_ZN7rocprim17ROCPRIM_400000_NS6detail17trampoline_kernelINS0_14default_configENS1_38merge_sort_block_merge_config_selectorIlNS0_10empty_typeEEEZZNS1_27merge_sort_block_merge_implIS3_PlPS5_mZN2at6native12_GLOBAL__N_124unique_dim_cuda_templateIlEESt5tupleIJNSA_6TensorESF_SF_EERKSF_lbbbEUlllE_EE10hipError_tT0_T1_T2_jT3_P12ihipStream_tbPNSt15iterator_traitsISL_E10value_typeEPNSR_ISM_E10value_typeEPSN_NS1_7vsmem_tEENKUlT_SL_SM_SN_E_clIS8_S8_S9_S9_EESK_S10_SL_SM_SN_EUlS10_E0_NS1_11comp_targetILNS1_3genE2ELNS1_11target_archE906ELNS1_3gpuE6ELNS1_3repE0EEENS1_38merge_mergepath_config_static_selectorELNS0_4arch9wavefront6targetE0EEEvSM_: ; @_ZN7rocprim17ROCPRIM_400000_NS6detail17trampoline_kernelINS0_14default_configENS1_38merge_sort_block_merge_config_selectorIlNS0_10empty_typeEEEZZNS1_27merge_sort_block_merge_implIS3_PlPS5_mZN2at6native12_GLOBAL__N_124unique_dim_cuda_templateIlEESt5tupleIJNSA_6TensorESF_SF_EERKSF_lbbbEUlllE_EE10hipError_tT0_T1_T2_jT3_P12ihipStream_tbPNSt15iterator_traitsISL_E10value_typeEPNSR_ISM_E10value_typeEPSN_NS1_7vsmem_tEENKUlT_SL_SM_SN_E_clIS8_S8_S9_S9_EESK_S10_SL_SM_SN_EUlS10_E0_NS1_11comp_targetILNS1_3genE2ELNS1_11target_archE906ELNS1_3gpuE6ELNS1_3repE0EEENS1_38merge_mergepath_config_static_selectorELNS0_4arch9wavefront6targetE0EEEvSM_
; %bb.0:
	.section	.rodata,"a",@progbits
	.p2align	6, 0x0
	.amdhsa_kernel _ZN7rocprim17ROCPRIM_400000_NS6detail17trampoline_kernelINS0_14default_configENS1_38merge_sort_block_merge_config_selectorIlNS0_10empty_typeEEEZZNS1_27merge_sort_block_merge_implIS3_PlPS5_mZN2at6native12_GLOBAL__N_124unique_dim_cuda_templateIlEESt5tupleIJNSA_6TensorESF_SF_EERKSF_lbbbEUlllE_EE10hipError_tT0_T1_T2_jT3_P12ihipStream_tbPNSt15iterator_traitsISL_E10value_typeEPNSR_ISM_E10value_typeEPSN_NS1_7vsmem_tEENKUlT_SL_SM_SN_E_clIS8_S8_S9_S9_EESK_S10_SL_SM_SN_EUlS10_E0_NS1_11comp_targetILNS1_3genE2ELNS1_11target_archE906ELNS1_3gpuE6ELNS1_3repE0EEENS1_38merge_mergepath_config_static_selectorELNS0_4arch9wavefront6targetE0EEEvSM_
		.amdhsa_group_segment_fixed_size 0
		.amdhsa_private_segment_fixed_size 0
		.amdhsa_kernarg_size 88
		.amdhsa_user_sgpr_count 15
		.amdhsa_user_sgpr_dispatch_ptr 0
		.amdhsa_user_sgpr_queue_ptr 0
		.amdhsa_user_sgpr_kernarg_segment_ptr 1
		.amdhsa_user_sgpr_dispatch_id 0
		.amdhsa_user_sgpr_private_segment_size 0
		.amdhsa_wavefront_size32 1
		.amdhsa_uses_dynamic_stack 0
		.amdhsa_enable_private_segment 0
		.amdhsa_system_sgpr_workgroup_id_x 1
		.amdhsa_system_sgpr_workgroup_id_y 0
		.amdhsa_system_sgpr_workgroup_id_z 0
		.amdhsa_system_sgpr_workgroup_info 0
		.amdhsa_system_vgpr_workitem_id 0
		.amdhsa_next_free_vgpr 1
		.amdhsa_next_free_sgpr 1
		.amdhsa_reserve_vcc 0
		.amdhsa_float_round_mode_32 0
		.amdhsa_float_round_mode_16_64 0
		.amdhsa_float_denorm_mode_32 3
		.amdhsa_float_denorm_mode_16_64 3
		.amdhsa_dx10_clamp 1
		.amdhsa_ieee_mode 1
		.amdhsa_fp16_overflow 0
		.amdhsa_workgroup_processor_mode 1
		.amdhsa_memory_ordered 1
		.amdhsa_forward_progress 0
		.amdhsa_shared_vgpr_count 0
		.amdhsa_exception_fp_ieee_invalid_op 0
		.amdhsa_exception_fp_denorm_src 0
		.amdhsa_exception_fp_ieee_div_zero 0
		.amdhsa_exception_fp_ieee_overflow 0
		.amdhsa_exception_fp_ieee_underflow 0
		.amdhsa_exception_fp_ieee_inexact 0
		.amdhsa_exception_int_div_zero 0
	.end_amdhsa_kernel
	.section	.text._ZN7rocprim17ROCPRIM_400000_NS6detail17trampoline_kernelINS0_14default_configENS1_38merge_sort_block_merge_config_selectorIlNS0_10empty_typeEEEZZNS1_27merge_sort_block_merge_implIS3_PlPS5_mZN2at6native12_GLOBAL__N_124unique_dim_cuda_templateIlEESt5tupleIJNSA_6TensorESF_SF_EERKSF_lbbbEUlllE_EE10hipError_tT0_T1_T2_jT3_P12ihipStream_tbPNSt15iterator_traitsISL_E10value_typeEPNSR_ISM_E10value_typeEPSN_NS1_7vsmem_tEENKUlT_SL_SM_SN_E_clIS8_S8_S9_S9_EESK_S10_SL_SM_SN_EUlS10_E0_NS1_11comp_targetILNS1_3genE2ELNS1_11target_archE906ELNS1_3gpuE6ELNS1_3repE0EEENS1_38merge_mergepath_config_static_selectorELNS0_4arch9wavefront6targetE0EEEvSM_,"axG",@progbits,_ZN7rocprim17ROCPRIM_400000_NS6detail17trampoline_kernelINS0_14default_configENS1_38merge_sort_block_merge_config_selectorIlNS0_10empty_typeEEEZZNS1_27merge_sort_block_merge_implIS3_PlPS5_mZN2at6native12_GLOBAL__N_124unique_dim_cuda_templateIlEESt5tupleIJNSA_6TensorESF_SF_EERKSF_lbbbEUlllE_EE10hipError_tT0_T1_T2_jT3_P12ihipStream_tbPNSt15iterator_traitsISL_E10value_typeEPNSR_ISM_E10value_typeEPSN_NS1_7vsmem_tEENKUlT_SL_SM_SN_E_clIS8_S8_S9_S9_EESK_S10_SL_SM_SN_EUlS10_E0_NS1_11comp_targetILNS1_3genE2ELNS1_11target_archE906ELNS1_3gpuE6ELNS1_3repE0EEENS1_38merge_mergepath_config_static_selectorELNS0_4arch9wavefront6targetE0EEEvSM_,comdat
.Lfunc_end527:
	.size	_ZN7rocprim17ROCPRIM_400000_NS6detail17trampoline_kernelINS0_14default_configENS1_38merge_sort_block_merge_config_selectorIlNS0_10empty_typeEEEZZNS1_27merge_sort_block_merge_implIS3_PlPS5_mZN2at6native12_GLOBAL__N_124unique_dim_cuda_templateIlEESt5tupleIJNSA_6TensorESF_SF_EERKSF_lbbbEUlllE_EE10hipError_tT0_T1_T2_jT3_P12ihipStream_tbPNSt15iterator_traitsISL_E10value_typeEPNSR_ISM_E10value_typeEPSN_NS1_7vsmem_tEENKUlT_SL_SM_SN_E_clIS8_S8_S9_S9_EESK_S10_SL_SM_SN_EUlS10_E0_NS1_11comp_targetILNS1_3genE2ELNS1_11target_archE906ELNS1_3gpuE6ELNS1_3repE0EEENS1_38merge_mergepath_config_static_selectorELNS0_4arch9wavefront6targetE0EEEvSM_, .Lfunc_end527-_ZN7rocprim17ROCPRIM_400000_NS6detail17trampoline_kernelINS0_14default_configENS1_38merge_sort_block_merge_config_selectorIlNS0_10empty_typeEEEZZNS1_27merge_sort_block_merge_implIS3_PlPS5_mZN2at6native12_GLOBAL__N_124unique_dim_cuda_templateIlEESt5tupleIJNSA_6TensorESF_SF_EERKSF_lbbbEUlllE_EE10hipError_tT0_T1_T2_jT3_P12ihipStream_tbPNSt15iterator_traitsISL_E10value_typeEPNSR_ISM_E10value_typeEPSN_NS1_7vsmem_tEENKUlT_SL_SM_SN_E_clIS8_S8_S9_S9_EESK_S10_SL_SM_SN_EUlS10_E0_NS1_11comp_targetILNS1_3genE2ELNS1_11target_archE906ELNS1_3gpuE6ELNS1_3repE0EEENS1_38merge_mergepath_config_static_selectorELNS0_4arch9wavefront6targetE0EEEvSM_
                                        ; -- End function
	.section	.AMDGPU.csdata,"",@progbits
; Kernel info:
; codeLenInByte = 0
; NumSgprs: 0
; NumVgprs: 0
; ScratchSize: 0
; MemoryBound: 0
; FloatMode: 240
; IeeeMode: 1
; LDSByteSize: 0 bytes/workgroup (compile time only)
; SGPRBlocks: 0
; VGPRBlocks: 0
; NumSGPRsForWavesPerEU: 1
; NumVGPRsForWavesPerEU: 1
; Occupancy: 16
; WaveLimiterHint : 0
; COMPUTE_PGM_RSRC2:SCRATCH_EN: 0
; COMPUTE_PGM_RSRC2:USER_SGPR: 15
; COMPUTE_PGM_RSRC2:TRAP_HANDLER: 0
; COMPUTE_PGM_RSRC2:TGID_X_EN: 1
; COMPUTE_PGM_RSRC2:TGID_Y_EN: 0
; COMPUTE_PGM_RSRC2:TGID_Z_EN: 0
; COMPUTE_PGM_RSRC2:TIDIG_COMP_CNT: 0
	.section	.text._ZN7rocprim17ROCPRIM_400000_NS6detail17trampoline_kernelINS0_14default_configENS1_38merge_sort_block_merge_config_selectorIlNS0_10empty_typeEEEZZNS1_27merge_sort_block_merge_implIS3_PlPS5_mZN2at6native12_GLOBAL__N_124unique_dim_cuda_templateIlEESt5tupleIJNSA_6TensorESF_SF_EERKSF_lbbbEUlllE_EE10hipError_tT0_T1_T2_jT3_P12ihipStream_tbPNSt15iterator_traitsISL_E10value_typeEPNSR_ISM_E10value_typeEPSN_NS1_7vsmem_tEENKUlT_SL_SM_SN_E_clIS8_S8_S9_S9_EESK_S10_SL_SM_SN_EUlS10_E0_NS1_11comp_targetILNS1_3genE9ELNS1_11target_archE1100ELNS1_3gpuE3ELNS1_3repE0EEENS1_38merge_mergepath_config_static_selectorELNS0_4arch9wavefront6targetE0EEEvSM_,"axG",@progbits,_ZN7rocprim17ROCPRIM_400000_NS6detail17trampoline_kernelINS0_14default_configENS1_38merge_sort_block_merge_config_selectorIlNS0_10empty_typeEEEZZNS1_27merge_sort_block_merge_implIS3_PlPS5_mZN2at6native12_GLOBAL__N_124unique_dim_cuda_templateIlEESt5tupleIJNSA_6TensorESF_SF_EERKSF_lbbbEUlllE_EE10hipError_tT0_T1_T2_jT3_P12ihipStream_tbPNSt15iterator_traitsISL_E10value_typeEPNSR_ISM_E10value_typeEPSN_NS1_7vsmem_tEENKUlT_SL_SM_SN_E_clIS8_S8_S9_S9_EESK_S10_SL_SM_SN_EUlS10_E0_NS1_11comp_targetILNS1_3genE9ELNS1_11target_archE1100ELNS1_3gpuE3ELNS1_3repE0EEENS1_38merge_mergepath_config_static_selectorELNS0_4arch9wavefront6targetE0EEEvSM_,comdat
	.globl	_ZN7rocprim17ROCPRIM_400000_NS6detail17trampoline_kernelINS0_14default_configENS1_38merge_sort_block_merge_config_selectorIlNS0_10empty_typeEEEZZNS1_27merge_sort_block_merge_implIS3_PlPS5_mZN2at6native12_GLOBAL__N_124unique_dim_cuda_templateIlEESt5tupleIJNSA_6TensorESF_SF_EERKSF_lbbbEUlllE_EE10hipError_tT0_T1_T2_jT3_P12ihipStream_tbPNSt15iterator_traitsISL_E10value_typeEPNSR_ISM_E10value_typeEPSN_NS1_7vsmem_tEENKUlT_SL_SM_SN_E_clIS8_S8_S9_S9_EESK_S10_SL_SM_SN_EUlS10_E0_NS1_11comp_targetILNS1_3genE9ELNS1_11target_archE1100ELNS1_3gpuE3ELNS1_3repE0EEENS1_38merge_mergepath_config_static_selectorELNS0_4arch9wavefront6targetE0EEEvSM_ ; -- Begin function _ZN7rocprim17ROCPRIM_400000_NS6detail17trampoline_kernelINS0_14default_configENS1_38merge_sort_block_merge_config_selectorIlNS0_10empty_typeEEEZZNS1_27merge_sort_block_merge_implIS3_PlPS5_mZN2at6native12_GLOBAL__N_124unique_dim_cuda_templateIlEESt5tupleIJNSA_6TensorESF_SF_EERKSF_lbbbEUlllE_EE10hipError_tT0_T1_T2_jT3_P12ihipStream_tbPNSt15iterator_traitsISL_E10value_typeEPNSR_ISM_E10value_typeEPSN_NS1_7vsmem_tEENKUlT_SL_SM_SN_E_clIS8_S8_S9_S9_EESK_S10_SL_SM_SN_EUlS10_E0_NS1_11comp_targetILNS1_3genE9ELNS1_11target_archE1100ELNS1_3gpuE3ELNS1_3repE0EEENS1_38merge_mergepath_config_static_selectorELNS0_4arch9wavefront6targetE0EEEvSM_
	.p2align	8
	.type	_ZN7rocprim17ROCPRIM_400000_NS6detail17trampoline_kernelINS0_14default_configENS1_38merge_sort_block_merge_config_selectorIlNS0_10empty_typeEEEZZNS1_27merge_sort_block_merge_implIS3_PlPS5_mZN2at6native12_GLOBAL__N_124unique_dim_cuda_templateIlEESt5tupleIJNSA_6TensorESF_SF_EERKSF_lbbbEUlllE_EE10hipError_tT0_T1_T2_jT3_P12ihipStream_tbPNSt15iterator_traitsISL_E10value_typeEPNSR_ISM_E10value_typeEPSN_NS1_7vsmem_tEENKUlT_SL_SM_SN_E_clIS8_S8_S9_S9_EESK_S10_SL_SM_SN_EUlS10_E0_NS1_11comp_targetILNS1_3genE9ELNS1_11target_archE1100ELNS1_3gpuE3ELNS1_3repE0EEENS1_38merge_mergepath_config_static_selectorELNS0_4arch9wavefront6targetE0EEEvSM_,@function
_ZN7rocprim17ROCPRIM_400000_NS6detail17trampoline_kernelINS0_14default_configENS1_38merge_sort_block_merge_config_selectorIlNS0_10empty_typeEEEZZNS1_27merge_sort_block_merge_implIS3_PlPS5_mZN2at6native12_GLOBAL__N_124unique_dim_cuda_templateIlEESt5tupleIJNSA_6TensorESF_SF_EERKSF_lbbbEUlllE_EE10hipError_tT0_T1_T2_jT3_P12ihipStream_tbPNSt15iterator_traitsISL_E10value_typeEPNSR_ISM_E10value_typeEPSN_NS1_7vsmem_tEENKUlT_SL_SM_SN_E_clIS8_S8_S9_S9_EESK_S10_SL_SM_SN_EUlS10_E0_NS1_11comp_targetILNS1_3genE9ELNS1_11target_archE1100ELNS1_3gpuE3ELNS1_3repE0EEENS1_38merge_mergepath_config_static_selectorELNS0_4arch9wavefront6targetE0EEEvSM_: ; @_ZN7rocprim17ROCPRIM_400000_NS6detail17trampoline_kernelINS0_14default_configENS1_38merge_sort_block_merge_config_selectorIlNS0_10empty_typeEEEZZNS1_27merge_sort_block_merge_implIS3_PlPS5_mZN2at6native12_GLOBAL__N_124unique_dim_cuda_templateIlEESt5tupleIJNSA_6TensorESF_SF_EERKSF_lbbbEUlllE_EE10hipError_tT0_T1_T2_jT3_P12ihipStream_tbPNSt15iterator_traitsISL_E10value_typeEPNSR_ISM_E10value_typeEPSN_NS1_7vsmem_tEENKUlT_SL_SM_SN_E_clIS8_S8_S9_S9_EESK_S10_SL_SM_SN_EUlS10_E0_NS1_11comp_targetILNS1_3genE9ELNS1_11target_archE1100ELNS1_3gpuE3ELNS1_3repE0EEENS1_38merge_mergepath_config_static_selectorELNS0_4arch9wavefront6targetE0EEEvSM_
; %bb.0:
	s_clause 0x1
	s_load_b64 s[24:25], s[0:1], 0x58
	s_load_b32 s3, s[0:1], 0x38
	s_add_u32 s22, s0, 0x58
	s_addc_u32 s23, s1, 0
	s_waitcnt lgkmcnt(0)
	s_mul_i32 s2, s25, s15
	s_delay_alu instid0(SALU_CYCLE_1) | instskip(NEXT) | instid1(SALU_CYCLE_1)
	s_add_i32 s2, s2, s14
	s_mul_i32 s2, s2, s24
	s_delay_alu instid0(SALU_CYCLE_1) | instskip(NEXT) | instid1(SALU_CYCLE_1)
	s_add_i32 s2, s2, s13
	s_cmp_ge_u32 s2, s3
	s_cbranch_scc1 .LBB528_53
; %bb.1:
	s_clause 0x1
	s_load_b128 s[4:7], s[0:1], 0x28
	s_load_b64 s[8:9], s[0:1], 0x50
	s_mov_b32 s3, 0
	s_delay_alu instid0(SALU_CYCLE_1)
	s_lshl_b64 s[10:11], s[2:3], 3
	s_waitcnt lgkmcnt(0)
	v_alignbit_b32 v1, s7, s6, 9
	s_add_u32 s8, s8, s10
	s_addc_u32 s9, s9, s11
	s_lshl_b64 s[20:21], s[2:3], 10
	s_load_b128 s[16:19], s[8:9], 0x0
	v_readfirstlane_b32 s10, v1
	s_mov_b32 s9, s3
	s_delay_alu instid0(VALU_DEP_1) | instskip(NEXT) | instid1(SALU_CYCLE_1)
	s_and_b32 s8, s10, -2
	s_sub_i32 s25, 0, s8
	s_delay_alu instid0(SALU_CYCLE_1) | instskip(NEXT) | instid1(SALU_CYCLE_1)
	s_and_b32 s8, s2, s25
	s_lshl_b64 s[14:15], s[8:9], 10
	s_delay_alu instid0(SALU_CYCLE_1)
	s_sub_u32 s12, s20, s14
	s_subb_u32 s30, s21, s15
	s_lshl_b64 s[26:27], s[8:9], 11
	s_load_b128 s[8:11], s[0:1], 0x8
	s_add_u32 s28, s26, s6
	s_addc_u32 s29, s27, s7
	s_add_u32 s12, s28, s12
	s_addc_u32 s26, s29, s30
	s_waitcnt lgkmcnt(0)
	s_sub_u32 s27, s12, s18
	s_subb_u32 s19, s26, s19
	s_add_u32 s30, s27, 0x400
	s_addc_u32 s31, s19, 0
	s_delay_alu instid0(SALU_CYCLE_1) | instskip(NEXT) | instid1(VALU_DEP_1)
	v_cmp_lt_u64_e64 s19, s[4:5], s[30:31]
	s_and_b32 s19, s19, exec_lo
	s_cselect_b32 s27, s4, s30
	s_or_b32 s19, s2, s25
	s_mov_b32 s25, -1
	s_cmp_lg_u32 s19, -1
	s_cbranch_scc1 .LBB528_3
; %bb.2:
	s_sub_u32 s14, s28, s14
	s_subb_u32 s15, s29, s15
	s_delay_alu instid0(SALU_CYCLE_1) | instskip(NEXT) | instid1(VALU_DEP_1)
	v_cmp_lt_u64_e64 s18, s[4:5], s[14:15]
	s_and_b32 s18, s18, exec_lo
	s_cselect_b32 s18, s4, s14
	s_add_u32 s6, s14, s6
	s_addc_u32 s7, s15, s7
	s_delay_alu instid0(SALU_CYCLE_1) | instskip(NEXT) | instid1(VALU_DEP_1)
	v_cmp_lt_u64_e64 s7, s[4:5], s[6:7]
	s_and_b32 s7, s7, exec_lo
	s_cselect_b32 s27, s4, s6
.LBB528_3:
	s_lshr_b64 s[28:29], s[4:5], 10
	v_mov_b32_e32 v2, 0
	s_cmp_lg_u64 s[28:29], s[2:3]
	v_lshlrev_b32_e32 v11, 3, v0
	s_cselect_b32 s19, -1, 0
	s_sub_u32 s6, s12, s16
	s_subb_u32 s7, s26, s17
	global_load_b32 v1, v2, s[22:23] offset:14
	v_cmp_lt_u64_e64 s12, s[4:5], s[6:7]
	s_delay_alu instid0(VALU_DEP_1)
	s_and_b32 s12, s12, exec_lo
	s_cselect_b32 s30, s4, s6
	s_cselect_b32 s31, s5, s7
	s_lshl_b64 s[14:15], s[16:17], 3
	s_sub_i32 s5, s18, s16
	s_sub_i32 s6, s27, s30
	s_add_u32 s12, s8, s14
	s_addc_u32 s14, s9, s15
	s_lshl_b64 s[16:17], s[30:31], 3
	s_delay_alu instid0(SALU_CYCLE_1) | instskip(SKIP_3) | instid1(SALU_CYCLE_1)
	s_add_u32 s7, s8, s16
	s_addc_u32 s9, s9, s17
	s_cmp_lt_u32 s13, s24
	s_cselect_b32 s8, 12, 18
	s_add_u32 s16, s22, s8
	s_addc_u32 s17, s23, 0
	s_cmp_eq_u64 s[28:29], s[2:3]
	global_load_u16 v3, v2, s[16:17]
	s_waitcnt vmcnt(1)
	v_lshrrev_b32_e32 v4, 16, v1
	v_and_b32_e32 v1, 0xffff, v1
	s_delay_alu instid0(VALU_DEP_1) | instskip(SKIP_1) | instid1(VALU_DEP_1)
	v_mul_lo_u32 v1, v1, v4
	s_waitcnt vmcnt(0)
	v_mul_lo_u32 v7, v1, v3
	s_cbranch_scc1 .LBB528_5
; %bb.4:
	v_subrev_nc_u32_e32 v1, s5, v0
	v_add_co_u32 v8, s2, s12, v11
	s_delay_alu instid0(VALU_DEP_1) | instskip(NEXT) | instid1(VALU_DEP_3)
	v_add_co_ci_u32_e64 v9, null, s14, 0, s2
	v_lshlrev_b64 v[3:4], 3, v[1:2]
	v_add_nc_u32_e32 v1, v7, v0
	s_add_i32 s8, s5, s6
	s_delay_alu instid0(VALU_DEP_1) | instskip(NEXT) | instid1(VALU_DEP_3)
	v_lshlrev_b64 v[5:6], 3, v[1:2]
	v_add_co_u32 v3, s2, s7, v3
	s_delay_alu instid0(VALU_DEP_1) | instskip(SKIP_1) | instid1(VALU_DEP_4)
	v_add_co_ci_u32_e64 v4, s2, s9, v4, s2
	v_cmp_gt_u32_e64 s2, s5, v0
	v_add_co_u32 v5, vcc_lo, s12, v5
	v_add_co_ci_u32_e32 v6, vcc_lo, s14, v6, vcc_lo
	v_cmp_gt_u32_e32 vcc_lo, s5, v1
	v_subrev_nc_u32_e32 v1, s5, v1
	s_delay_alu instid0(VALU_DEP_1) | instskip(NEXT) | instid1(VALU_DEP_1)
	v_lshlrev_b64 v[1:2], 3, v[1:2]
	v_add_co_u32 v10, s3, s7, v1
	s_delay_alu instid0(VALU_DEP_1) | instskip(SKIP_2) | instid1(VALU_DEP_3)
	v_add_co_ci_u32_e64 v12, s3, s9, v2, s3
	v_cndmask_b32_e64 v2, v4, v9, s2
	v_cndmask_b32_e64 v1, v3, v8, s2
	v_dual_cndmask_b32 v3, v10, v5 :: v_dual_cndmask_b32 v4, v12, v6
	global_load_b64 v[1:2], v[1:2], off
	global_load_b64 v[5:6], v[3:4], off
	s_cbranch_execz .LBB528_6
	s_branch .LBB528_11
.LBB528_5:
                                        ; implicit-def: $vgpr5_vgpr6
                                        ; implicit-def: $sgpr8
                                        ; implicit-def: $vgpr1_vgpr2_vgpr3_vgpr4
	s_and_not1_b32 vcc_lo, exec_lo, s25
	s_cbranch_vccnz .LBB528_11
.LBB528_6:
	s_add_i32 s8, s5, s6
	s_mov_b32 s2, exec_lo
                                        ; implicit-def: $vgpr1_vgpr2
	v_cmpx_gt_u32_e64 s8, v0
	s_cbranch_execz .LBB528_8
; %bb.7:
	s_waitcnt vmcnt(1)
	v_subrev_nc_u32_e32 v1, s5, v0
	v_add_co_u32 v3, s3, s12, v11
	v_mov_b32_e32 v2, 0
	v_add_co_ci_u32_e64 v4, null, s14, 0, s3
	s_delay_alu instid0(VALU_DEP_2) | instskip(NEXT) | instid1(VALU_DEP_1)
	v_lshlrev_b64 v[1:2], 3, v[1:2]
	v_add_co_u32 v1, vcc_lo, s7, v1
	s_delay_alu instid0(VALU_DEP_2) | instskip(SKIP_1) | instid1(VALU_DEP_2)
	v_add_co_ci_u32_e32 v2, vcc_lo, s9, v2, vcc_lo
	v_cmp_gt_u32_e32 vcc_lo, s5, v0
	v_dual_cndmask_b32 v1, v1, v3 :: v_dual_cndmask_b32 v2, v2, v4
	global_load_b64 v[1:2], v[1:2], off
.LBB528_8:
	s_or_b32 exec_lo, exec_lo, s2
	v_add_nc_u32_e32 v7, v7, v0
	s_mov_b32 s3, exec_lo
	s_delay_alu instid0(VALU_DEP_1)
	v_cmpx_gt_u32_e64 s8, v7
                                        ; implicit-def: $vgpr3_vgpr4_vgpr5_vgpr6
	s_cbranch_execz .LBB528_10
; %bb.9:
	v_mov_b32_e32 v8, 0
	s_delay_alu instid0(VALU_DEP_1) | instskip(SKIP_1) | instid1(VALU_DEP_1)
	v_lshlrev_b64 v[3:4], 3, v[7:8]
	s_waitcnt vmcnt(0)
	v_add_co_u32 v5, vcc_lo, s12, v3
	s_delay_alu instid0(VALU_DEP_2) | instskip(SKIP_2) | instid1(VALU_DEP_1)
	v_add_co_ci_u32_e32 v6, vcc_lo, s14, v4, vcc_lo
	v_cmp_gt_u32_e32 vcc_lo, s5, v7
	v_subrev_nc_u32_e32 v7, s5, v7
	v_lshlrev_b64 v[3:4], 3, v[7:8]
	s_delay_alu instid0(VALU_DEP_1) | instskip(NEXT) | instid1(VALU_DEP_1)
	v_add_co_u32 v3, s2, s7, v3
	v_add_co_ci_u32_e64 v4, s2, s9, v4, s2
	s_delay_alu instid0(VALU_DEP_1)
	v_dual_cndmask_b32 v3, v3, v5 :: v_dual_cndmask_b32 v4, v4, v6
	global_load_b64 v[5:6], v[3:4], off
.LBB528_10:
	s_or_b32 exec_lo, exec_lo, s3
.LBB528_11:
	s_load_b128 s[12:15], s[0:1], 0x40
	v_lshlrev_b32_e32 v12, 1, v0
	s_mov_b32 s1, exec_lo
	s_waitcnt vmcnt(0)
	ds_store_2addr_stride64_b64 v11, v[1:2], v[5:6] offset1:8
	s_waitcnt lgkmcnt(0)
	s_barrier
	v_min_u32_e32 v9, s8, v12
	buffer_gl0_inv
	v_sub_nc_u32_e64 v13, v9, s6 clamp
	v_min_u32_e32 v10, s5, v9
	s_delay_alu instid0(VALU_DEP_1)
	v_cmpx_lt_u32_e64 v13, v10
	s_cbranch_execz .LBB528_21
; %bb.12:
	v_lshlrev_b32_e32 v3, 3, v9
	v_cmp_gt_i64_e64 s9, s[12:13], 0
	s_lshl_b64 s[2:3], s[12:13], 3
	s_mov_b32 s16, 0
	s_delay_alu instid0(VALU_DEP_2)
	v_lshl_add_u32 v14, s5, 3, v3
	s_branch .LBB528_15
.LBB528_13:                             ;   in Loop: Header=BB528_15 Depth=1
	s_set_inst_prefetch_distance 0x2
	s_or_b32 exec_lo, exec_lo, s17
.LBB528_14:                             ;   in Loop: Header=BB528_15 Depth=1
	s_delay_alu instid0(VALU_DEP_1) | instskip(SKIP_1) | instid1(VALU_DEP_2)
	v_add_nc_u32_e32 v3, 1, v15
	v_cndmask_b32_e64 v10, v10, v15, s18
	v_cndmask_b32_e64 v13, v3, v13, s18
	s_delay_alu instid0(VALU_DEP_1) | instskip(SKIP_1) | instid1(SALU_CYCLE_1)
	v_cmp_ge_u32_e32 vcc_lo, v13, v10
	s_or_b32 s16, vcc_lo, s16
	s_and_not1_b32 exec_lo, exec_lo, s16
	s_cbranch_execz .LBB528_20
.LBB528_15:                             ; =>This Loop Header: Depth=1
                                        ;     Child Loop BB528_18 Depth 2
	v_add_nc_u32_e32 v3, v10, v13
	s_and_not1_b32 vcc_lo, exec_lo, s9
	s_mov_b32 s18, 0
	s_delay_alu instid0(VALU_DEP_1)
	v_lshrrev_b32_e32 v15, 1, v3
	s_cbranch_vccnz .LBB528_14
; %bb.16:                               ;   in Loop: Header=BB528_15 Depth=1
	s_delay_alu instid0(VALU_DEP_1) | instskip(SKIP_3) | instid1(VALU_DEP_2)
	v_not_b32_e32 v3, v15
	v_lshlrev_b32_e32 v4, 3, v15
	s_mov_b32 s17, 0
	s_mov_b64 s[6:7], s[12:13]
                                        ; implicit-def: $sgpr18
                                        ; implicit-def: $sgpr22
                                        ; implicit-def: $sgpr23
                                        ; implicit-def: $sgpr24
                                        ; implicit-def: $sgpr25
	v_lshl_add_u32 v3, v3, 3, v14
	ds_load_b64 v[7:8], v3
	ds_load_b64 v[16:17], v4
	s_waitcnt lgkmcnt(1)
	v_mul_lo_u32 v18, s2, v8
	v_mul_lo_u32 v19, s3, v7
	v_mad_u64_u32 v[3:4], null, s2, v7, s[14:15]
	s_waitcnt lgkmcnt(0)
	v_mul_lo_u32 v17, s2, v17
	v_mul_lo_u32 v20, s3, v16
	v_mad_u64_u32 v[7:8], null, s2, v16, s[14:15]
	s_delay_alu instid0(VALU_DEP_4) | instskip(NEXT) | instid1(VALU_DEP_2)
	v_add3_u32 v4, v19, v4, v18
	v_add3_u32 v8, v20, v8, v17
	s_set_inst_prefetch_distance 0x1
	s_branch .LBB528_18
	.p2align	6
.LBB528_17:                             ;   in Loop: Header=BB528_18 Depth=2
	s_or_b32 exec_lo, exec_lo, s0
	s_delay_alu instid0(SALU_CYCLE_1) | instskip(NEXT) | instid1(SALU_CYCLE_1)
	s_and_b32 s0, exec_lo, s22
	s_or_b32 s17, s0, s17
	s_and_not1_b32 s0, s25, exec_lo
	s_and_b32 s25, s23, exec_lo
	s_and_not1_b32 s18, s18, exec_lo
	s_and_b32 s26, s24, exec_lo
	s_or_b32 s25, s0, s25
	s_or_b32 s18, s18, s26
	s_and_not1_b32 exec_lo, exec_lo, s17
	s_cbranch_execz .LBB528_13
.LBB528_18:                             ;   Parent Loop BB528_15 Depth=1
                                        ; =>  This Inner Loop Header: Depth=2
	global_load_b64 v[16:17], v[3:4], off
	global_load_b64 v[18:19], v[7:8], off
	s_and_not1_b32 s24, s24, exec_lo
	s_and_not1_b32 s23, s23, exec_lo
	s_or_b32 s22, s22, exec_lo
	s_waitcnt vmcnt(0)
	v_cmp_le_i64_e32 vcc_lo, v[16:17], v[18:19]
	v_cmp_lt_i64_e64 s0, v[16:17], v[18:19]
	s_and_b32 s26, vcc_lo, s25
	s_delay_alu instid0(VALU_DEP_1) | instid1(SALU_CYCLE_1)
	s_or_b32 s26, s0, s26
	s_delay_alu instid0(SALU_CYCLE_1) | instskip(NEXT) | instid1(SALU_CYCLE_1)
	s_and_b32 s0, s26, exec_lo
	s_or_b32 s24, s24, s0
	s_mov_b32 s0, exec_lo
	v_cmpx_eq_u64_e64 v[16:17], v[18:19]
	s_cbranch_execz .LBB528_17
; %bb.19:                               ;   in Loop: Header=BB528_18 Depth=2
	s_add_u32 s6, s6, -1
	s_addc_u32 s7, s7, -1
	v_add_co_u32 v3, vcc_lo, v3, 8
	v_add_co_ci_u32_e32 v4, vcc_lo, 0, v4, vcc_lo
	s_cmp_eq_u64 s[6:7], 0
	v_add_co_u32 v7, vcc_lo, v7, 8
	s_cselect_b32 s25, -1, 0
	v_add_co_ci_u32_e32 v8, vcc_lo, 0, v8, vcc_lo
	s_and_not1_b32 s23, s23, exec_lo
	s_and_b32 s26, s26, exec_lo
	s_and_not1_b32 s22, s22, exec_lo
	s_and_b32 s25, s25, exec_lo
	s_and_not1_b32 s24, s24, exec_lo
	s_or_b32 s23, s23, s26
	s_or_b32 s22, s22, s25
                                        ; implicit-def: $sgpr25
	s_branch .LBB528_17
.LBB528_20:
	s_or_b32 exec_lo, exec_lo, s16
.LBB528_21:
	s_delay_alu instid0(SALU_CYCLE_1) | instskip(SKIP_2) | instid1(VALU_DEP_2)
	s_or_b32 exec_lo, exec_lo, s1
	v_sub_nc_u32_e32 v3, v9, v13
	v_cmp_ge_u32_e32 vcc_lo, s5, v13
	v_add_nc_u32_e32 v14, s5, v3
	s_delay_alu instid0(VALU_DEP_1) | instskip(NEXT) | instid1(VALU_DEP_1)
	v_cmp_ge_u32_e64 s0, s8, v14
	s_or_b32 s0, vcc_lo, s0
	s_delay_alu instid0(SALU_CYCLE_1)
	s_and_saveexec_b32 s1, s0
	s_cbranch_execz .LBB528_45
; %bb.22:
	v_cmp_le_u32_e32 vcc_lo, s5, v13
	s_mov_b32 s2, exec_lo
                                        ; implicit-def: $vgpr3_vgpr4
	v_cmpx_gt_u32_e64 s5, v13
	s_cbranch_execz .LBB528_24
; %bb.23:
	v_lshlrev_b32_e32 v1, 3, v13
	ds_load_b64 v[3:4], v1
.LBB528_24:
	s_or_b32 exec_lo, exec_lo, s2
	v_cmp_le_u32_e64 s6, s8, v14
	s_mov_b32 s2, exec_lo
                                        ; implicit-def: $vgpr7_vgpr8
	v_cmpx_gt_u32_e64 s8, v14
	s_cbranch_execz .LBB528_26
; %bb.25:
	v_lshlrev_b32_e32 v1, 3, v14
	ds_load_b64 v[7:8], v1
.LBB528_26:
	s_or_b32 exec_lo, exec_lo, s2
	v_cmp_gt_i64_e64 s7, s[12:13], 0
	s_or_b32 s2, vcc_lo, s6
	s_mov_b32 s0, -1
	s_xor_b32 s2, s2, -1
	s_delay_alu instid0(SALU_CYCLE_1)
	s_and_saveexec_b32 s9, s2
	s_cbranch_execz .LBB528_34
; %bb.27:
	s_and_not1_b32 vcc_lo, exec_lo, s7
	s_cbranch_vccnz .LBB528_33
; %bb.28:
	s_waitcnt lgkmcnt(0)
	v_mul_lo_u32 v9, v8, s12
	v_mul_lo_u32 v10, v7, s13
	v_mad_u64_u32 v[1:2], null, v7, s12, 0
	v_mul_lo_u32 v15, v4, s12
	v_mul_lo_u32 v16, v3, s13
	v_mad_u64_u32 v[5:6], null, v3, s12, 0
	s_mov_b32 s16, 0
	s_mov_b64 s[2:3], s[12:13]
	s_delay_alu instid0(VALU_DEP_4) | instskip(NEXT) | instid1(VALU_DEP_2)
	v_add3_u32 v2, v2, v10, v9
                                        ; implicit-def: $sgpr17
                                        ; implicit-def: $sgpr18
                                        ; implicit-def: $sgpr22
                                        ; implicit-def: $sgpr23
                                        ; implicit-def: $sgpr24
	v_add3_u32 v6, v6, v16, v15
	s_delay_alu instid0(VALU_DEP_2) | instskip(NEXT) | instid1(VALU_DEP_2)
	v_lshlrev_b64 v[1:2], 3, v[1:2]
	v_lshlrev_b64 v[5:6], 3, v[5:6]
	s_delay_alu instid0(VALU_DEP_2) | instskip(NEXT) | instid1(VALU_DEP_3)
	v_add_co_u32 v1, vcc_lo, s14, v1
	v_add_co_ci_u32_e32 v2, vcc_lo, s15, v2, vcc_lo
	s_delay_alu instid0(VALU_DEP_3) | instskip(NEXT) | instid1(VALU_DEP_4)
	v_add_co_u32 v5, vcc_lo, s14, v5
	v_add_co_ci_u32_e32 v6, vcc_lo, s15, v6, vcc_lo
	s_set_inst_prefetch_distance 0x1
	s_branch .LBB528_30
	.p2align	6
.LBB528_29:                             ;   in Loop: Header=BB528_30 Depth=1
	s_or_b32 exec_lo, exec_lo, s0
	s_delay_alu instid0(SALU_CYCLE_1) | instskip(NEXT) | instid1(SALU_CYCLE_1)
	s_and_b32 s0, exec_lo, s18
	s_or_b32 s16, s0, s16
	s_and_not1_b32 s0, s24, exec_lo
	s_and_b32 s24, s23, exec_lo
	s_and_not1_b32 s17, s17, exec_lo
	s_and_b32 s25, s22, exec_lo
	s_or_b32 s24, s0, s24
	s_or_b32 s17, s17, s25
	s_and_not1_b32 exec_lo, exec_lo, s16
	s_cbranch_execz .LBB528_32
.LBB528_30:                             ; =>This Inner Loop Header: Depth=1
	global_load_b64 v[9:10], v[1:2], off
	global_load_b64 v[15:16], v[5:6], off
	s_and_not1_b32 s22, s22, exec_lo
	s_and_not1_b32 s23, s23, exec_lo
	s_or_b32 s18, s18, exec_lo
	s_waitcnt vmcnt(0)
	v_cmp_le_i64_e32 vcc_lo, v[9:10], v[15:16]
	v_cmp_lt_i64_e64 s0, v[9:10], v[15:16]
	s_and_b32 s25, vcc_lo, s24
	s_delay_alu instid0(VALU_DEP_1) | instid1(SALU_CYCLE_1)
	s_or_b32 s25, s0, s25
	s_delay_alu instid0(SALU_CYCLE_1) | instskip(NEXT) | instid1(SALU_CYCLE_1)
	s_and_b32 s0, s25, exec_lo
	s_or_b32 s22, s22, s0
	s_mov_b32 s0, exec_lo
	v_cmpx_eq_u64_e64 v[9:10], v[15:16]
	s_cbranch_execz .LBB528_29
; %bb.31:                               ;   in Loop: Header=BB528_30 Depth=1
	s_add_u32 s2, s2, -1
	s_addc_u32 s3, s3, -1
	v_add_co_u32 v1, vcc_lo, v1, 8
	s_cmp_eq_u64 s[2:3], 0
	v_add_co_ci_u32_e32 v2, vcc_lo, 0, v2, vcc_lo
	v_add_co_u32 v5, vcc_lo, v5, 8
	s_cselect_b32 s24, -1, 0
	v_add_co_ci_u32_e32 v6, vcc_lo, 0, v6, vcc_lo
	s_and_not1_b32 s23, s23, exec_lo
	s_and_b32 s25, s25, exec_lo
	s_and_not1_b32 s18, s18, exec_lo
	s_and_b32 s24, s24, exec_lo
	s_or_b32 s23, s23, s25
	s_and_not1_b32 s22, s22, exec_lo
	s_or_b32 s18, s18, s24
                                        ; implicit-def: $sgpr24
	s_branch .LBB528_29
.LBB528_32:
	s_set_inst_prefetch_distance 0x2
	s_or_b32 exec_lo, exec_lo, s16
	s_xor_b32 s0, s17, -1
.LBB528_33:
	s_and_not1_b32 s2, s6, exec_lo
	s_and_b32 s0, s0, exec_lo
	s_delay_alu instid0(SALU_CYCLE_1)
	s_or_b32 s6, s2, s0
.LBB528_34:
	s_or_b32 exec_lo, exec_lo, s9
	v_mov_b32_e32 v1, s5
	v_cndmask_b32_e64 v2, v14, v13, s6
	s_mov_b32 s2, exec_lo
	s_delay_alu instid0(VALU_DEP_2) | instskip(NEXT) | instid1(VALU_DEP_2)
	v_cndmask_b32_e64 v1, s8, v1, s6
	v_add_nc_u32_e32 v15, 1, v2
	s_waitcnt lgkmcnt(0)
	v_cndmask_b32_e64 v2, v8, v4, s6
	s_delay_alu instid0(VALU_DEP_3) | instskip(NEXT) | instid1(VALU_DEP_3)
	v_add_nc_u32_e32 v1, -1, v1
	v_cndmask_b32_e64 v14, v15, v14, s6
	s_delay_alu instid0(VALU_DEP_2) | instskip(NEXT) | instid1(VALU_DEP_1)
	v_min_u32_e32 v1, v15, v1
	v_lshlrev_b32_e32 v1, 3, v1
	ds_load_b64 v[9:10], v1
	v_cndmask_b32_e64 v1, v7, v3, s6
	s_waitcnt lgkmcnt(0)
	v_cndmask_b32_e64 v6, v4, v10, s6
	v_cndmask_b32_e64 v5, v3, v9, s6
	v_cmpx_gt_u32_e64 s8, v14
	s_cbranch_execz .LBB528_44
; %bb.35:
	v_cndmask_b32_e64 v13, v13, v15, s6
	v_cndmask_b32_e64 v4, v10, v8, s6
	;; [unrolled: 1-line block ×3, first 2 shown]
	s_mov_b32 s3, exec_lo
	s_delay_alu instid0(VALU_DEP_3)
	v_cmpx_gt_u32_e64 s5, v13
	s_cbranch_execz .LBB528_43
; %bb.36:
	s_and_not1_b32 vcc_lo, exec_lo, s7
	s_cbranch_vccnz .LBB528_42
; %bb.37:
	v_mul_lo_u32 v13, v4, s12
	v_mul_lo_u32 v14, v3, s13
	v_mad_u64_u32 v[7:8], null, v3, s12, 0
	v_mul_lo_u32 v15, v6, s12
	v_mul_lo_u32 v16, v5, s13
	v_mad_u64_u32 v[9:10], null, v5, s12, 0
	s_mov_b32 s5, 0
                                        ; implicit-def: $sgpr6
                                        ; implicit-def: $sgpr7
                                        ; implicit-def: $sgpr8
                                        ; implicit-def: $sgpr9
	s_delay_alu instid0(VALU_DEP_4) | instskip(NEXT) | instid1(VALU_DEP_2)
	v_add3_u32 v8, v8, v14, v13
	v_add3_u32 v10, v10, v16, v15
	s_delay_alu instid0(VALU_DEP_2) | instskip(NEXT) | instid1(VALU_DEP_2)
	v_lshlrev_b64 v[7:8], 3, v[7:8]
	v_lshlrev_b64 v[9:10], 3, v[9:10]
	s_delay_alu instid0(VALU_DEP_2) | instskip(NEXT) | instid1(VALU_DEP_3)
	v_add_co_u32 v7, vcc_lo, s14, v7
	v_add_co_ci_u32_e32 v8, vcc_lo, s15, v8, vcc_lo
	s_delay_alu instid0(VALU_DEP_3) | instskip(NEXT) | instid1(VALU_DEP_4)
	v_add_co_u32 v9, vcc_lo, s14, v9
	v_add_co_ci_u32_e32 v10, vcc_lo, s15, v10, vcc_lo
                                        ; implicit-def: $sgpr14
	s_set_inst_prefetch_distance 0x1
	s_branch .LBB528_39
	.p2align	6
.LBB528_38:                             ;   in Loop: Header=BB528_39 Depth=1
	s_or_b32 exec_lo, exec_lo, s0
	s_delay_alu instid0(SALU_CYCLE_1) | instskip(NEXT) | instid1(SALU_CYCLE_1)
	s_and_b32 s0, exec_lo, s7
	s_or_b32 s5, s0, s5
	s_and_not1_b32 s0, s14, exec_lo
	s_and_b32 s14, s9, exec_lo
	s_and_not1_b32 s6, s6, exec_lo
	s_and_b32 s15, s8, exec_lo
	s_or_b32 s14, s0, s14
	s_or_b32 s6, s6, s15
	s_and_not1_b32 exec_lo, exec_lo, s5
	s_cbranch_execz .LBB528_41
.LBB528_39:                             ; =>This Inner Loop Header: Depth=1
	global_load_b64 v[13:14], v[7:8], off
	global_load_b64 v[15:16], v[9:10], off
	s_and_not1_b32 s8, s8, exec_lo
	s_and_not1_b32 s9, s9, exec_lo
	s_or_b32 s7, s7, exec_lo
	s_waitcnt vmcnt(0)
	v_cmp_le_i64_e32 vcc_lo, v[13:14], v[15:16]
	v_cmp_lt_i64_e64 s0, v[13:14], v[15:16]
	s_and_b32 s15, vcc_lo, s14
	s_delay_alu instid0(VALU_DEP_1) | instid1(SALU_CYCLE_1)
	s_or_b32 s15, s0, s15
	s_delay_alu instid0(SALU_CYCLE_1) | instskip(NEXT) | instid1(SALU_CYCLE_1)
	s_and_b32 s0, s15, exec_lo
	s_or_b32 s8, s8, s0
	s_mov_b32 s0, exec_lo
	v_cmpx_eq_u64_e64 v[13:14], v[15:16]
	s_cbranch_execz .LBB528_38
; %bb.40:                               ;   in Loop: Header=BB528_39 Depth=1
	s_add_u32 s12, s12, -1
	s_addc_u32 s13, s13, -1
	v_add_co_u32 v7, vcc_lo, v7, 8
	s_cmp_eq_u64 s[12:13], 0
	v_add_co_ci_u32_e32 v8, vcc_lo, 0, v8, vcc_lo
	v_add_co_u32 v9, vcc_lo, v9, 8
	s_cselect_b32 s14, -1, 0
	v_add_co_ci_u32_e32 v10, vcc_lo, 0, v10, vcc_lo
	s_and_not1_b32 s9, s9, exec_lo
	s_and_b32 s15, s15, exec_lo
	s_and_not1_b32 s7, s7, exec_lo
	s_and_b32 s14, s14, exec_lo
	s_or_b32 s9, s9, s15
	s_and_not1_b32 s8, s8, exec_lo
	s_or_b32 s7, s7, s14
                                        ; implicit-def: $sgpr14
	s_branch .LBB528_38
.LBB528_41:
	s_set_inst_prefetch_distance 0x2
	s_or_b32 exec_lo, exec_lo, s5
	v_cndmask_b32_e64 v6, v6, v4, s6
	v_cndmask_b32_e64 v5, v5, v3, s6
.LBB528_42:
	s_delay_alu instid0(VALU_DEP_1)
	v_dual_mov_b32 v3, v5 :: v_dual_mov_b32 v4, v6
.LBB528_43:
	s_or_b32 exec_lo, exec_lo, s3
	s_delay_alu instid0(VALU_DEP_1)
	v_dual_mov_b32 v6, v4 :: v_dual_mov_b32 v5, v3
.LBB528_44:
	s_or_b32 exec_lo, exec_lo, s2
.LBB528_45:
	s_delay_alu instid0(SALU_CYCLE_1) | instskip(SKIP_4) | instid1(VALU_DEP_3)
	s_or_b32 exec_lo, exec_lo, s1
	v_lshrrev_b32_e32 v3, 1, v0
	v_or_b32_e32 v7, 0x200, v0
	v_lshrrev_b32_e32 v4, 2, v0
	s_lshl_b64 s[0:1], s[20:21], 3
	v_and_b32_e32 v3, 0xf8, v3
	s_delay_alu instid0(VALU_DEP_3) | instskip(NEXT) | instid1(VALU_DEP_3)
	v_lshrrev_b32_e32 v8, 2, v7
	v_and_b32_e32 v4, 0x78, v4
	s_add_u32 s0, s10, s0
	s_barrier
	v_lshl_add_u32 v3, v12, 3, v3
	v_and_b32_e32 v8, 0xf8, v8
	buffer_gl0_inv
	s_barrier
	buffer_gl0_inv
	s_addc_u32 s1, s11, s1
	ds_store_2addr_b64 v3, v[1:2], v[5:6] offset1:1
	v_add_co_u32 v1, s0, s0, v11
	v_add_nc_u32_e32 v5, v11, v4
	v_add_nc_u32_e32 v6, v11, v8
	v_add_co_ci_u32_e64 v2, null, s1, 0, s0
	s_and_b32 vcc_lo, exec_lo, s19
	s_mov_b32 s0, 0
	s_waitcnt lgkmcnt(0)
	s_cbranch_vccz .LBB528_47
; %bb.46:
	s_barrier
	buffer_gl0_inv
	ds_load_b64 v[8:9], v5
	ds_load_b64 v[3:4], v6 offset:4096
	s_mov_b32 s0, -1
	s_waitcnt lgkmcnt(1)
	global_store_b64 v[1:2], v[8:9], off
	s_cbranch_execz .LBB528_48
	s_branch .LBB528_51
.LBB528_47:
                                        ; implicit-def: $vgpr3_vgpr4
.LBB528_48:
	s_waitcnt lgkmcnt(0)
	s_waitcnt_vscnt null, 0x0
	s_barrier
	buffer_gl0_inv
	ds_load_b64 v[3:4], v6 offset:4096
	s_sub_i32 s0, s4, s20
	s_mov_b32 s1, exec_lo
	v_cmpx_gt_u32_e64 s0, v0
	s_cbranch_execz .LBB528_50
; %bb.49:
	ds_load_b64 v[5:6], v5
	s_waitcnt lgkmcnt(0)
	global_store_b64 v[1:2], v[5:6], off
.LBB528_50:
	s_or_b32 exec_lo, exec_lo, s1
	v_cmp_gt_u32_e64 s0, s0, v7
.LBB528_51:
	s_delay_alu instid0(VALU_DEP_1)
	s_and_saveexec_b32 s1, s0
	s_cbranch_execz .LBB528_53
; %bb.52:
	v_add_co_u32 v0, vcc_lo, 0x1000, v1
	v_add_co_ci_u32_e32 v1, vcc_lo, 0, v2, vcc_lo
	s_waitcnt lgkmcnt(0)
	global_store_b64 v[0:1], v[3:4], off
.LBB528_53:
	s_nop 0
	s_sendmsg sendmsg(MSG_DEALLOC_VGPRS)
	s_endpgm
	.section	.rodata,"a",@progbits
	.p2align	6, 0x0
	.amdhsa_kernel _ZN7rocprim17ROCPRIM_400000_NS6detail17trampoline_kernelINS0_14default_configENS1_38merge_sort_block_merge_config_selectorIlNS0_10empty_typeEEEZZNS1_27merge_sort_block_merge_implIS3_PlPS5_mZN2at6native12_GLOBAL__N_124unique_dim_cuda_templateIlEESt5tupleIJNSA_6TensorESF_SF_EERKSF_lbbbEUlllE_EE10hipError_tT0_T1_T2_jT3_P12ihipStream_tbPNSt15iterator_traitsISL_E10value_typeEPNSR_ISM_E10value_typeEPSN_NS1_7vsmem_tEENKUlT_SL_SM_SN_E_clIS8_S8_S9_S9_EESK_S10_SL_SM_SN_EUlS10_E0_NS1_11comp_targetILNS1_3genE9ELNS1_11target_archE1100ELNS1_3gpuE3ELNS1_3repE0EEENS1_38merge_mergepath_config_static_selectorELNS0_4arch9wavefront6targetE0EEEvSM_
		.amdhsa_group_segment_fixed_size 8448
		.amdhsa_private_segment_fixed_size 0
		.amdhsa_kernarg_size 344
		.amdhsa_user_sgpr_count 13
		.amdhsa_user_sgpr_dispatch_ptr 0
		.amdhsa_user_sgpr_queue_ptr 0
		.amdhsa_user_sgpr_kernarg_segment_ptr 1
		.amdhsa_user_sgpr_dispatch_id 0
		.amdhsa_user_sgpr_private_segment_size 0
		.amdhsa_wavefront_size32 1
		.amdhsa_uses_dynamic_stack 0
		.amdhsa_enable_private_segment 0
		.amdhsa_system_sgpr_workgroup_id_x 1
		.amdhsa_system_sgpr_workgroup_id_y 1
		.amdhsa_system_sgpr_workgroup_id_z 1
		.amdhsa_system_sgpr_workgroup_info 0
		.amdhsa_system_vgpr_workitem_id 0
		.amdhsa_next_free_vgpr 21
		.amdhsa_next_free_sgpr 32
		.amdhsa_reserve_vcc 1
		.amdhsa_float_round_mode_32 0
		.amdhsa_float_round_mode_16_64 0
		.amdhsa_float_denorm_mode_32 3
		.amdhsa_float_denorm_mode_16_64 3
		.amdhsa_dx10_clamp 1
		.amdhsa_ieee_mode 1
		.amdhsa_fp16_overflow 0
		.amdhsa_workgroup_processor_mode 1
		.amdhsa_memory_ordered 1
		.amdhsa_forward_progress 0
		.amdhsa_shared_vgpr_count 0
		.amdhsa_exception_fp_ieee_invalid_op 0
		.amdhsa_exception_fp_denorm_src 0
		.amdhsa_exception_fp_ieee_div_zero 0
		.amdhsa_exception_fp_ieee_overflow 0
		.amdhsa_exception_fp_ieee_underflow 0
		.amdhsa_exception_fp_ieee_inexact 0
		.amdhsa_exception_int_div_zero 0
	.end_amdhsa_kernel
	.section	.text._ZN7rocprim17ROCPRIM_400000_NS6detail17trampoline_kernelINS0_14default_configENS1_38merge_sort_block_merge_config_selectorIlNS0_10empty_typeEEEZZNS1_27merge_sort_block_merge_implIS3_PlPS5_mZN2at6native12_GLOBAL__N_124unique_dim_cuda_templateIlEESt5tupleIJNSA_6TensorESF_SF_EERKSF_lbbbEUlllE_EE10hipError_tT0_T1_T2_jT3_P12ihipStream_tbPNSt15iterator_traitsISL_E10value_typeEPNSR_ISM_E10value_typeEPSN_NS1_7vsmem_tEENKUlT_SL_SM_SN_E_clIS8_S8_S9_S9_EESK_S10_SL_SM_SN_EUlS10_E0_NS1_11comp_targetILNS1_3genE9ELNS1_11target_archE1100ELNS1_3gpuE3ELNS1_3repE0EEENS1_38merge_mergepath_config_static_selectorELNS0_4arch9wavefront6targetE0EEEvSM_,"axG",@progbits,_ZN7rocprim17ROCPRIM_400000_NS6detail17trampoline_kernelINS0_14default_configENS1_38merge_sort_block_merge_config_selectorIlNS0_10empty_typeEEEZZNS1_27merge_sort_block_merge_implIS3_PlPS5_mZN2at6native12_GLOBAL__N_124unique_dim_cuda_templateIlEESt5tupleIJNSA_6TensorESF_SF_EERKSF_lbbbEUlllE_EE10hipError_tT0_T1_T2_jT3_P12ihipStream_tbPNSt15iterator_traitsISL_E10value_typeEPNSR_ISM_E10value_typeEPSN_NS1_7vsmem_tEENKUlT_SL_SM_SN_E_clIS8_S8_S9_S9_EESK_S10_SL_SM_SN_EUlS10_E0_NS1_11comp_targetILNS1_3genE9ELNS1_11target_archE1100ELNS1_3gpuE3ELNS1_3repE0EEENS1_38merge_mergepath_config_static_selectorELNS0_4arch9wavefront6targetE0EEEvSM_,comdat
.Lfunc_end528:
	.size	_ZN7rocprim17ROCPRIM_400000_NS6detail17trampoline_kernelINS0_14default_configENS1_38merge_sort_block_merge_config_selectorIlNS0_10empty_typeEEEZZNS1_27merge_sort_block_merge_implIS3_PlPS5_mZN2at6native12_GLOBAL__N_124unique_dim_cuda_templateIlEESt5tupleIJNSA_6TensorESF_SF_EERKSF_lbbbEUlllE_EE10hipError_tT0_T1_T2_jT3_P12ihipStream_tbPNSt15iterator_traitsISL_E10value_typeEPNSR_ISM_E10value_typeEPSN_NS1_7vsmem_tEENKUlT_SL_SM_SN_E_clIS8_S8_S9_S9_EESK_S10_SL_SM_SN_EUlS10_E0_NS1_11comp_targetILNS1_3genE9ELNS1_11target_archE1100ELNS1_3gpuE3ELNS1_3repE0EEENS1_38merge_mergepath_config_static_selectorELNS0_4arch9wavefront6targetE0EEEvSM_, .Lfunc_end528-_ZN7rocprim17ROCPRIM_400000_NS6detail17trampoline_kernelINS0_14default_configENS1_38merge_sort_block_merge_config_selectorIlNS0_10empty_typeEEEZZNS1_27merge_sort_block_merge_implIS3_PlPS5_mZN2at6native12_GLOBAL__N_124unique_dim_cuda_templateIlEESt5tupleIJNSA_6TensorESF_SF_EERKSF_lbbbEUlllE_EE10hipError_tT0_T1_T2_jT3_P12ihipStream_tbPNSt15iterator_traitsISL_E10value_typeEPNSR_ISM_E10value_typeEPSN_NS1_7vsmem_tEENKUlT_SL_SM_SN_E_clIS8_S8_S9_S9_EESK_S10_SL_SM_SN_EUlS10_E0_NS1_11comp_targetILNS1_3genE9ELNS1_11target_archE1100ELNS1_3gpuE3ELNS1_3repE0EEENS1_38merge_mergepath_config_static_selectorELNS0_4arch9wavefront6targetE0EEEvSM_
                                        ; -- End function
	.section	.AMDGPU.csdata,"",@progbits
; Kernel info:
; codeLenInByte = 2856
; NumSgprs: 34
; NumVgprs: 21
; ScratchSize: 0
; MemoryBound: 0
; FloatMode: 240
; IeeeMode: 1
; LDSByteSize: 8448 bytes/workgroup (compile time only)
; SGPRBlocks: 4
; VGPRBlocks: 2
; NumSGPRsForWavesPerEU: 34
; NumVGPRsForWavesPerEU: 21
; Occupancy: 16
; WaveLimiterHint : 1
; COMPUTE_PGM_RSRC2:SCRATCH_EN: 0
; COMPUTE_PGM_RSRC2:USER_SGPR: 13
; COMPUTE_PGM_RSRC2:TRAP_HANDLER: 0
; COMPUTE_PGM_RSRC2:TGID_X_EN: 1
; COMPUTE_PGM_RSRC2:TGID_Y_EN: 1
; COMPUTE_PGM_RSRC2:TGID_Z_EN: 1
; COMPUTE_PGM_RSRC2:TIDIG_COMP_CNT: 0
	.section	.text._ZN7rocprim17ROCPRIM_400000_NS6detail17trampoline_kernelINS0_14default_configENS1_38merge_sort_block_merge_config_selectorIlNS0_10empty_typeEEEZZNS1_27merge_sort_block_merge_implIS3_PlPS5_mZN2at6native12_GLOBAL__N_124unique_dim_cuda_templateIlEESt5tupleIJNSA_6TensorESF_SF_EERKSF_lbbbEUlllE_EE10hipError_tT0_T1_T2_jT3_P12ihipStream_tbPNSt15iterator_traitsISL_E10value_typeEPNSR_ISM_E10value_typeEPSN_NS1_7vsmem_tEENKUlT_SL_SM_SN_E_clIS8_S8_S9_S9_EESK_S10_SL_SM_SN_EUlS10_E0_NS1_11comp_targetILNS1_3genE8ELNS1_11target_archE1030ELNS1_3gpuE2ELNS1_3repE0EEENS1_38merge_mergepath_config_static_selectorELNS0_4arch9wavefront6targetE0EEEvSM_,"axG",@progbits,_ZN7rocprim17ROCPRIM_400000_NS6detail17trampoline_kernelINS0_14default_configENS1_38merge_sort_block_merge_config_selectorIlNS0_10empty_typeEEEZZNS1_27merge_sort_block_merge_implIS3_PlPS5_mZN2at6native12_GLOBAL__N_124unique_dim_cuda_templateIlEESt5tupleIJNSA_6TensorESF_SF_EERKSF_lbbbEUlllE_EE10hipError_tT0_T1_T2_jT3_P12ihipStream_tbPNSt15iterator_traitsISL_E10value_typeEPNSR_ISM_E10value_typeEPSN_NS1_7vsmem_tEENKUlT_SL_SM_SN_E_clIS8_S8_S9_S9_EESK_S10_SL_SM_SN_EUlS10_E0_NS1_11comp_targetILNS1_3genE8ELNS1_11target_archE1030ELNS1_3gpuE2ELNS1_3repE0EEENS1_38merge_mergepath_config_static_selectorELNS0_4arch9wavefront6targetE0EEEvSM_,comdat
	.globl	_ZN7rocprim17ROCPRIM_400000_NS6detail17trampoline_kernelINS0_14default_configENS1_38merge_sort_block_merge_config_selectorIlNS0_10empty_typeEEEZZNS1_27merge_sort_block_merge_implIS3_PlPS5_mZN2at6native12_GLOBAL__N_124unique_dim_cuda_templateIlEESt5tupleIJNSA_6TensorESF_SF_EERKSF_lbbbEUlllE_EE10hipError_tT0_T1_T2_jT3_P12ihipStream_tbPNSt15iterator_traitsISL_E10value_typeEPNSR_ISM_E10value_typeEPSN_NS1_7vsmem_tEENKUlT_SL_SM_SN_E_clIS8_S8_S9_S9_EESK_S10_SL_SM_SN_EUlS10_E0_NS1_11comp_targetILNS1_3genE8ELNS1_11target_archE1030ELNS1_3gpuE2ELNS1_3repE0EEENS1_38merge_mergepath_config_static_selectorELNS0_4arch9wavefront6targetE0EEEvSM_ ; -- Begin function _ZN7rocprim17ROCPRIM_400000_NS6detail17trampoline_kernelINS0_14default_configENS1_38merge_sort_block_merge_config_selectorIlNS0_10empty_typeEEEZZNS1_27merge_sort_block_merge_implIS3_PlPS5_mZN2at6native12_GLOBAL__N_124unique_dim_cuda_templateIlEESt5tupleIJNSA_6TensorESF_SF_EERKSF_lbbbEUlllE_EE10hipError_tT0_T1_T2_jT3_P12ihipStream_tbPNSt15iterator_traitsISL_E10value_typeEPNSR_ISM_E10value_typeEPSN_NS1_7vsmem_tEENKUlT_SL_SM_SN_E_clIS8_S8_S9_S9_EESK_S10_SL_SM_SN_EUlS10_E0_NS1_11comp_targetILNS1_3genE8ELNS1_11target_archE1030ELNS1_3gpuE2ELNS1_3repE0EEENS1_38merge_mergepath_config_static_selectorELNS0_4arch9wavefront6targetE0EEEvSM_
	.p2align	8
	.type	_ZN7rocprim17ROCPRIM_400000_NS6detail17trampoline_kernelINS0_14default_configENS1_38merge_sort_block_merge_config_selectorIlNS0_10empty_typeEEEZZNS1_27merge_sort_block_merge_implIS3_PlPS5_mZN2at6native12_GLOBAL__N_124unique_dim_cuda_templateIlEESt5tupleIJNSA_6TensorESF_SF_EERKSF_lbbbEUlllE_EE10hipError_tT0_T1_T2_jT3_P12ihipStream_tbPNSt15iterator_traitsISL_E10value_typeEPNSR_ISM_E10value_typeEPSN_NS1_7vsmem_tEENKUlT_SL_SM_SN_E_clIS8_S8_S9_S9_EESK_S10_SL_SM_SN_EUlS10_E0_NS1_11comp_targetILNS1_3genE8ELNS1_11target_archE1030ELNS1_3gpuE2ELNS1_3repE0EEENS1_38merge_mergepath_config_static_selectorELNS0_4arch9wavefront6targetE0EEEvSM_,@function
_ZN7rocprim17ROCPRIM_400000_NS6detail17trampoline_kernelINS0_14default_configENS1_38merge_sort_block_merge_config_selectorIlNS0_10empty_typeEEEZZNS1_27merge_sort_block_merge_implIS3_PlPS5_mZN2at6native12_GLOBAL__N_124unique_dim_cuda_templateIlEESt5tupleIJNSA_6TensorESF_SF_EERKSF_lbbbEUlllE_EE10hipError_tT0_T1_T2_jT3_P12ihipStream_tbPNSt15iterator_traitsISL_E10value_typeEPNSR_ISM_E10value_typeEPSN_NS1_7vsmem_tEENKUlT_SL_SM_SN_E_clIS8_S8_S9_S9_EESK_S10_SL_SM_SN_EUlS10_E0_NS1_11comp_targetILNS1_3genE8ELNS1_11target_archE1030ELNS1_3gpuE2ELNS1_3repE0EEENS1_38merge_mergepath_config_static_selectorELNS0_4arch9wavefront6targetE0EEEvSM_: ; @_ZN7rocprim17ROCPRIM_400000_NS6detail17trampoline_kernelINS0_14default_configENS1_38merge_sort_block_merge_config_selectorIlNS0_10empty_typeEEEZZNS1_27merge_sort_block_merge_implIS3_PlPS5_mZN2at6native12_GLOBAL__N_124unique_dim_cuda_templateIlEESt5tupleIJNSA_6TensorESF_SF_EERKSF_lbbbEUlllE_EE10hipError_tT0_T1_T2_jT3_P12ihipStream_tbPNSt15iterator_traitsISL_E10value_typeEPNSR_ISM_E10value_typeEPSN_NS1_7vsmem_tEENKUlT_SL_SM_SN_E_clIS8_S8_S9_S9_EESK_S10_SL_SM_SN_EUlS10_E0_NS1_11comp_targetILNS1_3genE8ELNS1_11target_archE1030ELNS1_3gpuE2ELNS1_3repE0EEENS1_38merge_mergepath_config_static_selectorELNS0_4arch9wavefront6targetE0EEEvSM_
; %bb.0:
	.section	.rodata,"a",@progbits
	.p2align	6, 0x0
	.amdhsa_kernel _ZN7rocprim17ROCPRIM_400000_NS6detail17trampoline_kernelINS0_14default_configENS1_38merge_sort_block_merge_config_selectorIlNS0_10empty_typeEEEZZNS1_27merge_sort_block_merge_implIS3_PlPS5_mZN2at6native12_GLOBAL__N_124unique_dim_cuda_templateIlEESt5tupleIJNSA_6TensorESF_SF_EERKSF_lbbbEUlllE_EE10hipError_tT0_T1_T2_jT3_P12ihipStream_tbPNSt15iterator_traitsISL_E10value_typeEPNSR_ISM_E10value_typeEPSN_NS1_7vsmem_tEENKUlT_SL_SM_SN_E_clIS8_S8_S9_S9_EESK_S10_SL_SM_SN_EUlS10_E0_NS1_11comp_targetILNS1_3genE8ELNS1_11target_archE1030ELNS1_3gpuE2ELNS1_3repE0EEENS1_38merge_mergepath_config_static_selectorELNS0_4arch9wavefront6targetE0EEEvSM_
		.amdhsa_group_segment_fixed_size 0
		.amdhsa_private_segment_fixed_size 0
		.amdhsa_kernarg_size 88
		.amdhsa_user_sgpr_count 15
		.amdhsa_user_sgpr_dispatch_ptr 0
		.amdhsa_user_sgpr_queue_ptr 0
		.amdhsa_user_sgpr_kernarg_segment_ptr 1
		.amdhsa_user_sgpr_dispatch_id 0
		.amdhsa_user_sgpr_private_segment_size 0
		.amdhsa_wavefront_size32 1
		.amdhsa_uses_dynamic_stack 0
		.amdhsa_enable_private_segment 0
		.amdhsa_system_sgpr_workgroup_id_x 1
		.amdhsa_system_sgpr_workgroup_id_y 0
		.amdhsa_system_sgpr_workgroup_id_z 0
		.amdhsa_system_sgpr_workgroup_info 0
		.amdhsa_system_vgpr_workitem_id 0
		.amdhsa_next_free_vgpr 1
		.amdhsa_next_free_sgpr 1
		.amdhsa_reserve_vcc 0
		.amdhsa_float_round_mode_32 0
		.amdhsa_float_round_mode_16_64 0
		.amdhsa_float_denorm_mode_32 3
		.amdhsa_float_denorm_mode_16_64 3
		.amdhsa_dx10_clamp 1
		.amdhsa_ieee_mode 1
		.amdhsa_fp16_overflow 0
		.amdhsa_workgroup_processor_mode 1
		.amdhsa_memory_ordered 1
		.amdhsa_forward_progress 0
		.amdhsa_shared_vgpr_count 0
		.amdhsa_exception_fp_ieee_invalid_op 0
		.amdhsa_exception_fp_denorm_src 0
		.amdhsa_exception_fp_ieee_div_zero 0
		.amdhsa_exception_fp_ieee_overflow 0
		.amdhsa_exception_fp_ieee_underflow 0
		.amdhsa_exception_fp_ieee_inexact 0
		.amdhsa_exception_int_div_zero 0
	.end_amdhsa_kernel
	.section	.text._ZN7rocprim17ROCPRIM_400000_NS6detail17trampoline_kernelINS0_14default_configENS1_38merge_sort_block_merge_config_selectorIlNS0_10empty_typeEEEZZNS1_27merge_sort_block_merge_implIS3_PlPS5_mZN2at6native12_GLOBAL__N_124unique_dim_cuda_templateIlEESt5tupleIJNSA_6TensorESF_SF_EERKSF_lbbbEUlllE_EE10hipError_tT0_T1_T2_jT3_P12ihipStream_tbPNSt15iterator_traitsISL_E10value_typeEPNSR_ISM_E10value_typeEPSN_NS1_7vsmem_tEENKUlT_SL_SM_SN_E_clIS8_S8_S9_S9_EESK_S10_SL_SM_SN_EUlS10_E0_NS1_11comp_targetILNS1_3genE8ELNS1_11target_archE1030ELNS1_3gpuE2ELNS1_3repE0EEENS1_38merge_mergepath_config_static_selectorELNS0_4arch9wavefront6targetE0EEEvSM_,"axG",@progbits,_ZN7rocprim17ROCPRIM_400000_NS6detail17trampoline_kernelINS0_14default_configENS1_38merge_sort_block_merge_config_selectorIlNS0_10empty_typeEEEZZNS1_27merge_sort_block_merge_implIS3_PlPS5_mZN2at6native12_GLOBAL__N_124unique_dim_cuda_templateIlEESt5tupleIJNSA_6TensorESF_SF_EERKSF_lbbbEUlllE_EE10hipError_tT0_T1_T2_jT3_P12ihipStream_tbPNSt15iterator_traitsISL_E10value_typeEPNSR_ISM_E10value_typeEPSN_NS1_7vsmem_tEENKUlT_SL_SM_SN_E_clIS8_S8_S9_S9_EESK_S10_SL_SM_SN_EUlS10_E0_NS1_11comp_targetILNS1_3genE8ELNS1_11target_archE1030ELNS1_3gpuE2ELNS1_3repE0EEENS1_38merge_mergepath_config_static_selectorELNS0_4arch9wavefront6targetE0EEEvSM_,comdat
.Lfunc_end529:
	.size	_ZN7rocprim17ROCPRIM_400000_NS6detail17trampoline_kernelINS0_14default_configENS1_38merge_sort_block_merge_config_selectorIlNS0_10empty_typeEEEZZNS1_27merge_sort_block_merge_implIS3_PlPS5_mZN2at6native12_GLOBAL__N_124unique_dim_cuda_templateIlEESt5tupleIJNSA_6TensorESF_SF_EERKSF_lbbbEUlllE_EE10hipError_tT0_T1_T2_jT3_P12ihipStream_tbPNSt15iterator_traitsISL_E10value_typeEPNSR_ISM_E10value_typeEPSN_NS1_7vsmem_tEENKUlT_SL_SM_SN_E_clIS8_S8_S9_S9_EESK_S10_SL_SM_SN_EUlS10_E0_NS1_11comp_targetILNS1_3genE8ELNS1_11target_archE1030ELNS1_3gpuE2ELNS1_3repE0EEENS1_38merge_mergepath_config_static_selectorELNS0_4arch9wavefront6targetE0EEEvSM_, .Lfunc_end529-_ZN7rocprim17ROCPRIM_400000_NS6detail17trampoline_kernelINS0_14default_configENS1_38merge_sort_block_merge_config_selectorIlNS0_10empty_typeEEEZZNS1_27merge_sort_block_merge_implIS3_PlPS5_mZN2at6native12_GLOBAL__N_124unique_dim_cuda_templateIlEESt5tupleIJNSA_6TensorESF_SF_EERKSF_lbbbEUlllE_EE10hipError_tT0_T1_T2_jT3_P12ihipStream_tbPNSt15iterator_traitsISL_E10value_typeEPNSR_ISM_E10value_typeEPSN_NS1_7vsmem_tEENKUlT_SL_SM_SN_E_clIS8_S8_S9_S9_EESK_S10_SL_SM_SN_EUlS10_E0_NS1_11comp_targetILNS1_3genE8ELNS1_11target_archE1030ELNS1_3gpuE2ELNS1_3repE0EEENS1_38merge_mergepath_config_static_selectorELNS0_4arch9wavefront6targetE0EEEvSM_
                                        ; -- End function
	.section	.AMDGPU.csdata,"",@progbits
; Kernel info:
; codeLenInByte = 0
; NumSgprs: 0
; NumVgprs: 0
; ScratchSize: 0
; MemoryBound: 0
; FloatMode: 240
; IeeeMode: 1
; LDSByteSize: 0 bytes/workgroup (compile time only)
; SGPRBlocks: 0
; VGPRBlocks: 0
; NumSGPRsForWavesPerEU: 1
; NumVGPRsForWavesPerEU: 1
; Occupancy: 16
; WaveLimiterHint : 0
; COMPUTE_PGM_RSRC2:SCRATCH_EN: 0
; COMPUTE_PGM_RSRC2:USER_SGPR: 15
; COMPUTE_PGM_RSRC2:TRAP_HANDLER: 0
; COMPUTE_PGM_RSRC2:TGID_X_EN: 1
; COMPUTE_PGM_RSRC2:TGID_Y_EN: 0
; COMPUTE_PGM_RSRC2:TGID_Z_EN: 0
; COMPUTE_PGM_RSRC2:TIDIG_COMP_CNT: 0
	.section	.text._ZN7rocprim17ROCPRIM_400000_NS6detail17trampoline_kernelINS0_14default_configENS1_38merge_sort_block_merge_config_selectorIlNS0_10empty_typeEEEZZNS1_27merge_sort_block_merge_implIS3_PlPS5_mZN2at6native12_GLOBAL__N_124unique_dim_cuda_templateIlEESt5tupleIJNSA_6TensorESF_SF_EERKSF_lbbbEUlllE_EE10hipError_tT0_T1_T2_jT3_P12ihipStream_tbPNSt15iterator_traitsISL_E10value_typeEPNSR_ISM_E10value_typeEPSN_NS1_7vsmem_tEENKUlT_SL_SM_SN_E_clIS8_S8_S9_S9_EESK_S10_SL_SM_SN_EUlS10_E1_NS1_11comp_targetILNS1_3genE0ELNS1_11target_archE4294967295ELNS1_3gpuE0ELNS1_3repE0EEENS1_36merge_oddeven_config_static_selectorELNS0_4arch9wavefront6targetE0EEEvSM_,"axG",@progbits,_ZN7rocprim17ROCPRIM_400000_NS6detail17trampoline_kernelINS0_14default_configENS1_38merge_sort_block_merge_config_selectorIlNS0_10empty_typeEEEZZNS1_27merge_sort_block_merge_implIS3_PlPS5_mZN2at6native12_GLOBAL__N_124unique_dim_cuda_templateIlEESt5tupleIJNSA_6TensorESF_SF_EERKSF_lbbbEUlllE_EE10hipError_tT0_T1_T2_jT3_P12ihipStream_tbPNSt15iterator_traitsISL_E10value_typeEPNSR_ISM_E10value_typeEPSN_NS1_7vsmem_tEENKUlT_SL_SM_SN_E_clIS8_S8_S9_S9_EESK_S10_SL_SM_SN_EUlS10_E1_NS1_11comp_targetILNS1_3genE0ELNS1_11target_archE4294967295ELNS1_3gpuE0ELNS1_3repE0EEENS1_36merge_oddeven_config_static_selectorELNS0_4arch9wavefront6targetE0EEEvSM_,comdat
	.globl	_ZN7rocprim17ROCPRIM_400000_NS6detail17trampoline_kernelINS0_14default_configENS1_38merge_sort_block_merge_config_selectorIlNS0_10empty_typeEEEZZNS1_27merge_sort_block_merge_implIS3_PlPS5_mZN2at6native12_GLOBAL__N_124unique_dim_cuda_templateIlEESt5tupleIJNSA_6TensorESF_SF_EERKSF_lbbbEUlllE_EE10hipError_tT0_T1_T2_jT3_P12ihipStream_tbPNSt15iterator_traitsISL_E10value_typeEPNSR_ISM_E10value_typeEPSN_NS1_7vsmem_tEENKUlT_SL_SM_SN_E_clIS8_S8_S9_S9_EESK_S10_SL_SM_SN_EUlS10_E1_NS1_11comp_targetILNS1_3genE0ELNS1_11target_archE4294967295ELNS1_3gpuE0ELNS1_3repE0EEENS1_36merge_oddeven_config_static_selectorELNS0_4arch9wavefront6targetE0EEEvSM_ ; -- Begin function _ZN7rocprim17ROCPRIM_400000_NS6detail17trampoline_kernelINS0_14default_configENS1_38merge_sort_block_merge_config_selectorIlNS0_10empty_typeEEEZZNS1_27merge_sort_block_merge_implIS3_PlPS5_mZN2at6native12_GLOBAL__N_124unique_dim_cuda_templateIlEESt5tupleIJNSA_6TensorESF_SF_EERKSF_lbbbEUlllE_EE10hipError_tT0_T1_T2_jT3_P12ihipStream_tbPNSt15iterator_traitsISL_E10value_typeEPNSR_ISM_E10value_typeEPSN_NS1_7vsmem_tEENKUlT_SL_SM_SN_E_clIS8_S8_S9_S9_EESK_S10_SL_SM_SN_EUlS10_E1_NS1_11comp_targetILNS1_3genE0ELNS1_11target_archE4294967295ELNS1_3gpuE0ELNS1_3repE0EEENS1_36merge_oddeven_config_static_selectorELNS0_4arch9wavefront6targetE0EEEvSM_
	.p2align	8
	.type	_ZN7rocprim17ROCPRIM_400000_NS6detail17trampoline_kernelINS0_14default_configENS1_38merge_sort_block_merge_config_selectorIlNS0_10empty_typeEEEZZNS1_27merge_sort_block_merge_implIS3_PlPS5_mZN2at6native12_GLOBAL__N_124unique_dim_cuda_templateIlEESt5tupleIJNSA_6TensorESF_SF_EERKSF_lbbbEUlllE_EE10hipError_tT0_T1_T2_jT3_P12ihipStream_tbPNSt15iterator_traitsISL_E10value_typeEPNSR_ISM_E10value_typeEPSN_NS1_7vsmem_tEENKUlT_SL_SM_SN_E_clIS8_S8_S9_S9_EESK_S10_SL_SM_SN_EUlS10_E1_NS1_11comp_targetILNS1_3genE0ELNS1_11target_archE4294967295ELNS1_3gpuE0ELNS1_3repE0EEENS1_36merge_oddeven_config_static_selectorELNS0_4arch9wavefront6targetE0EEEvSM_,@function
_ZN7rocprim17ROCPRIM_400000_NS6detail17trampoline_kernelINS0_14default_configENS1_38merge_sort_block_merge_config_selectorIlNS0_10empty_typeEEEZZNS1_27merge_sort_block_merge_implIS3_PlPS5_mZN2at6native12_GLOBAL__N_124unique_dim_cuda_templateIlEESt5tupleIJNSA_6TensorESF_SF_EERKSF_lbbbEUlllE_EE10hipError_tT0_T1_T2_jT3_P12ihipStream_tbPNSt15iterator_traitsISL_E10value_typeEPNSR_ISM_E10value_typeEPSN_NS1_7vsmem_tEENKUlT_SL_SM_SN_E_clIS8_S8_S9_S9_EESK_S10_SL_SM_SN_EUlS10_E1_NS1_11comp_targetILNS1_3genE0ELNS1_11target_archE4294967295ELNS1_3gpuE0ELNS1_3repE0EEENS1_36merge_oddeven_config_static_selectorELNS0_4arch9wavefront6targetE0EEEvSM_: ; @_ZN7rocprim17ROCPRIM_400000_NS6detail17trampoline_kernelINS0_14default_configENS1_38merge_sort_block_merge_config_selectorIlNS0_10empty_typeEEEZZNS1_27merge_sort_block_merge_implIS3_PlPS5_mZN2at6native12_GLOBAL__N_124unique_dim_cuda_templateIlEESt5tupleIJNSA_6TensorESF_SF_EERKSF_lbbbEUlllE_EE10hipError_tT0_T1_T2_jT3_P12ihipStream_tbPNSt15iterator_traitsISL_E10value_typeEPNSR_ISM_E10value_typeEPSN_NS1_7vsmem_tEENKUlT_SL_SM_SN_E_clIS8_S8_S9_S9_EESK_S10_SL_SM_SN_EUlS10_E1_NS1_11comp_targetILNS1_3genE0ELNS1_11target_archE4294967295ELNS1_3gpuE0ELNS1_3repE0EEENS1_36merge_oddeven_config_static_selectorELNS0_4arch9wavefront6targetE0EEEvSM_
; %bb.0:
	.section	.rodata,"a",@progbits
	.p2align	6, 0x0
	.amdhsa_kernel _ZN7rocprim17ROCPRIM_400000_NS6detail17trampoline_kernelINS0_14default_configENS1_38merge_sort_block_merge_config_selectorIlNS0_10empty_typeEEEZZNS1_27merge_sort_block_merge_implIS3_PlPS5_mZN2at6native12_GLOBAL__N_124unique_dim_cuda_templateIlEESt5tupleIJNSA_6TensorESF_SF_EERKSF_lbbbEUlllE_EE10hipError_tT0_T1_T2_jT3_P12ihipStream_tbPNSt15iterator_traitsISL_E10value_typeEPNSR_ISM_E10value_typeEPSN_NS1_7vsmem_tEENKUlT_SL_SM_SN_E_clIS8_S8_S9_S9_EESK_S10_SL_SM_SN_EUlS10_E1_NS1_11comp_targetILNS1_3genE0ELNS1_11target_archE4294967295ELNS1_3gpuE0ELNS1_3repE0EEENS1_36merge_oddeven_config_static_selectorELNS0_4arch9wavefront6targetE0EEEvSM_
		.amdhsa_group_segment_fixed_size 0
		.amdhsa_private_segment_fixed_size 0
		.amdhsa_kernarg_size 64
		.amdhsa_user_sgpr_count 15
		.amdhsa_user_sgpr_dispatch_ptr 0
		.amdhsa_user_sgpr_queue_ptr 0
		.amdhsa_user_sgpr_kernarg_segment_ptr 1
		.amdhsa_user_sgpr_dispatch_id 0
		.amdhsa_user_sgpr_private_segment_size 0
		.amdhsa_wavefront_size32 1
		.amdhsa_uses_dynamic_stack 0
		.amdhsa_enable_private_segment 0
		.amdhsa_system_sgpr_workgroup_id_x 1
		.amdhsa_system_sgpr_workgroup_id_y 0
		.amdhsa_system_sgpr_workgroup_id_z 0
		.amdhsa_system_sgpr_workgroup_info 0
		.amdhsa_system_vgpr_workitem_id 0
		.amdhsa_next_free_vgpr 1
		.amdhsa_next_free_sgpr 1
		.amdhsa_reserve_vcc 0
		.amdhsa_float_round_mode_32 0
		.amdhsa_float_round_mode_16_64 0
		.amdhsa_float_denorm_mode_32 3
		.amdhsa_float_denorm_mode_16_64 3
		.amdhsa_dx10_clamp 1
		.amdhsa_ieee_mode 1
		.amdhsa_fp16_overflow 0
		.amdhsa_workgroup_processor_mode 1
		.amdhsa_memory_ordered 1
		.amdhsa_forward_progress 0
		.amdhsa_shared_vgpr_count 0
		.amdhsa_exception_fp_ieee_invalid_op 0
		.amdhsa_exception_fp_denorm_src 0
		.amdhsa_exception_fp_ieee_div_zero 0
		.amdhsa_exception_fp_ieee_overflow 0
		.amdhsa_exception_fp_ieee_underflow 0
		.amdhsa_exception_fp_ieee_inexact 0
		.amdhsa_exception_int_div_zero 0
	.end_amdhsa_kernel
	.section	.text._ZN7rocprim17ROCPRIM_400000_NS6detail17trampoline_kernelINS0_14default_configENS1_38merge_sort_block_merge_config_selectorIlNS0_10empty_typeEEEZZNS1_27merge_sort_block_merge_implIS3_PlPS5_mZN2at6native12_GLOBAL__N_124unique_dim_cuda_templateIlEESt5tupleIJNSA_6TensorESF_SF_EERKSF_lbbbEUlllE_EE10hipError_tT0_T1_T2_jT3_P12ihipStream_tbPNSt15iterator_traitsISL_E10value_typeEPNSR_ISM_E10value_typeEPSN_NS1_7vsmem_tEENKUlT_SL_SM_SN_E_clIS8_S8_S9_S9_EESK_S10_SL_SM_SN_EUlS10_E1_NS1_11comp_targetILNS1_3genE0ELNS1_11target_archE4294967295ELNS1_3gpuE0ELNS1_3repE0EEENS1_36merge_oddeven_config_static_selectorELNS0_4arch9wavefront6targetE0EEEvSM_,"axG",@progbits,_ZN7rocprim17ROCPRIM_400000_NS6detail17trampoline_kernelINS0_14default_configENS1_38merge_sort_block_merge_config_selectorIlNS0_10empty_typeEEEZZNS1_27merge_sort_block_merge_implIS3_PlPS5_mZN2at6native12_GLOBAL__N_124unique_dim_cuda_templateIlEESt5tupleIJNSA_6TensorESF_SF_EERKSF_lbbbEUlllE_EE10hipError_tT0_T1_T2_jT3_P12ihipStream_tbPNSt15iterator_traitsISL_E10value_typeEPNSR_ISM_E10value_typeEPSN_NS1_7vsmem_tEENKUlT_SL_SM_SN_E_clIS8_S8_S9_S9_EESK_S10_SL_SM_SN_EUlS10_E1_NS1_11comp_targetILNS1_3genE0ELNS1_11target_archE4294967295ELNS1_3gpuE0ELNS1_3repE0EEENS1_36merge_oddeven_config_static_selectorELNS0_4arch9wavefront6targetE0EEEvSM_,comdat
.Lfunc_end530:
	.size	_ZN7rocprim17ROCPRIM_400000_NS6detail17trampoline_kernelINS0_14default_configENS1_38merge_sort_block_merge_config_selectorIlNS0_10empty_typeEEEZZNS1_27merge_sort_block_merge_implIS3_PlPS5_mZN2at6native12_GLOBAL__N_124unique_dim_cuda_templateIlEESt5tupleIJNSA_6TensorESF_SF_EERKSF_lbbbEUlllE_EE10hipError_tT0_T1_T2_jT3_P12ihipStream_tbPNSt15iterator_traitsISL_E10value_typeEPNSR_ISM_E10value_typeEPSN_NS1_7vsmem_tEENKUlT_SL_SM_SN_E_clIS8_S8_S9_S9_EESK_S10_SL_SM_SN_EUlS10_E1_NS1_11comp_targetILNS1_3genE0ELNS1_11target_archE4294967295ELNS1_3gpuE0ELNS1_3repE0EEENS1_36merge_oddeven_config_static_selectorELNS0_4arch9wavefront6targetE0EEEvSM_, .Lfunc_end530-_ZN7rocprim17ROCPRIM_400000_NS6detail17trampoline_kernelINS0_14default_configENS1_38merge_sort_block_merge_config_selectorIlNS0_10empty_typeEEEZZNS1_27merge_sort_block_merge_implIS3_PlPS5_mZN2at6native12_GLOBAL__N_124unique_dim_cuda_templateIlEESt5tupleIJNSA_6TensorESF_SF_EERKSF_lbbbEUlllE_EE10hipError_tT0_T1_T2_jT3_P12ihipStream_tbPNSt15iterator_traitsISL_E10value_typeEPNSR_ISM_E10value_typeEPSN_NS1_7vsmem_tEENKUlT_SL_SM_SN_E_clIS8_S8_S9_S9_EESK_S10_SL_SM_SN_EUlS10_E1_NS1_11comp_targetILNS1_3genE0ELNS1_11target_archE4294967295ELNS1_3gpuE0ELNS1_3repE0EEENS1_36merge_oddeven_config_static_selectorELNS0_4arch9wavefront6targetE0EEEvSM_
                                        ; -- End function
	.section	.AMDGPU.csdata,"",@progbits
; Kernel info:
; codeLenInByte = 0
; NumSgprs: 0
; NumVgprs: 0
; ScratchSize: 0
; MemoryBound: 0
; FloatMode: 240
; IeeeMode: 1
; LDSByteSize: 0 bytes/workgroup (compile time only)
; SGPRBlocks: 0
; VGPRBlocks: 0
; NumSGPRsForWavesPerEU: 1
; NumVGPRsForWavesPerEU: 1
; Occupancy: 16
; WaveLimiterHint : 0
; COMPUTE_PGM_RSRC2:SCRATCH_EN: 0
; COMPUTE_PGM_RSRC2:USER_SGPR: 15
; COMPUTE_PGM_RSRC2:TRAP_HANDLER: 0
; COMPUTE_PGM_RSRC2:TGID_X_EN: 1
; COMPUTE_PGM_RSRC2:TGID_Y_EN: 0
; COMPUTE_PGM_RSRC2:TGID_Z_EN: 0
; COMPUTE_PGM_RSRC2:TIDIG_COMP_CNT: 0
	.section	.text._ZN7rocprim17ROCPRIM_400000_NS6detail17trampoline_kernelINS0_14default_configENS1_38merge_sort_block_merge_config_selectorIlNS0_10empty_typeEEEZZNS1_27merge_sort_block_merge_implIS3_PlPS5_mZN2at6native12_GLOBAL__N_124unique_dim_cuda_templateIlEESt5tupleIJNSA_6TensorESF_SF_EERKSF_lbbbEUlllE_EE10hipError_tT0_T1_T2_jT3_P12ihipStream_tbPNSt15iterator_traitsISL_E10value_typeEPNSR_ISM_E10value_typeEPSN_NS1_7vsmem_tEENKUlT_SL_SM_SN_E_clIS8_S8_S9_S9_EESK_S10_SL_SM_SN_EUlS10_E1_NS1_11comp_targetILNS1_3genE10ELNS1_11target_archE1201ELNS1_3gpuE5ELNS1_3repE0EEENS1_36merge_oddeven_config_static_selectorELNS0_4arch9wavefront6targetE0EEEvSM_,"axG",@progbits,_ZN7rocprim17ROCPRIM_400000_NS6detail17trampoline_kernelINS0_14default_configENS1_38merge_sort_block_merge_config_selectorIlNS0_10empty_typeEEEZZNS1_27merge_sort_block_merge_implIS3_PlPS5_mZN2at6native12_GLOBAL__N_124unique_dim_cuda_templateIlEESt5tupleIJNSA_6TensorESF_SF_EERKSF_lbbbEUlllE_EE10hipError_tT0_T1_T2_jT3_P12ihipStream_tbPNSt15iterator_traitsISL_E10value_typeEPNSR_ISM_E10value_typeEPSN_NS1_7vsmem_tEENKUlT_SL_SM_SN_E_clIS8_S8_S9_S9_EESK_S10_SL_SM_SN_EUlS10_E1_NS1_11comp_targetILNS1_3genE10ELNS1_11target_archE1201ELNS1_3gpuE5ELNS1_3repE0EEENS1_36merge_oddeven_config_static_selectorELNS0_4arch9wavefront6targetE0EEEvSM_,comdat
	.globl	_ZN7rocprim17ROCPRIM_400000_NS6detail17trampoline_kernelINS0_14default_configENS1_38merge_sort_block_merge_config_selectorIlNS0_10empty_typeEEEZZNS1_27merge_sort_block_merge_implIS3_PlPS5_mZN2at6native12_GLOBAL__N_124unique_dim_cuda_templateIlEESt5tupleIJNSA_6TensorESF_SF_EERKSF_lbbbEUlllE_EE10hipError_tT0_T1_T2_jT3_P12ihipStream_tbPNSt15iterator_traitsISL_E10value_typeEPNSR_ISM_E10value_typeEPSN_NS1_7vsmem_tEENKUlT_SL_SM_SN_E_clIS8_S8_S9_S9_EESK_S10_SL_SM_SN_EUlS10_E1_NS1_11comp_targetILNS1_3genE10ELNS1_11target_archE1201ELNS1_3gpuE5ELNS1_3repE0EEENS1_36merge_oddeven_config_static_selectorELNS0_4arch9wavefront6targetE0EEEvSM_ ; -- Begin function _ZN7rocprim17ROCPRIM_400000_NS6detail17trampoline_kernelINS0_14default_configENS1_38merge_sort_block_merge_config_selectorIlNS0_10empty_typeEEEZZNS1_27merge_sort_block_merge_implIS3_PlPS5_mZN2at6native12_GLOBAL__N_124unique_dim_cuda_templateIlEESt5tupleIJNSA_6TensorESF_SF_EERKSF_lbbbEUlllE_EE10hipError_tT0_T1_T2_jT3_P12ihipStream_tbPNSt15iterator_traitsISL_E10value_typeEPNSR_ISM_E10value_typeEPSN_NS1_7vsmem_tEENKUlT_SL_SM_SN_E_clIS8_S8_S9_S9_EESK_S10_SL_SM_SN_EUlS10_E1_NS1_11comp_targetILNS1_3genE10ELNS1_11target_archE1201ELNS1_3gpuE5ELNS1_3repE0EEENS1_36merge_oddeven_config_static_selectorELNS0_4arch9wavefront6targetE0EEEvSM_
	.p2align	8
	.type	_ZN7rocprim17ROCPRIM_400000_NS6detail17trampoline_kernelINS0_14default_configENS1_38merge_sort_block_merge_config_selectorIlNS0_10empty_typeEEEZZNS1_27merge_sort_block_merge_implIS3_PlPS5_mZN2at6native12_GLOBAL__N_124unique_dim_cuda_templateIlEESt5tupleIJNSA_6TensorESF_SF_EERKSF_lbbbEUlllE_EE10hipError_tT0_T1_T2_jT3_P12ihipStream_tbPNSt15iterator_traitsISL_E10value_typeEPNSR_ISM_E10value_typeEPSN_NS1_7vsmem_tEENKUlT_SL_SM_SN_E_clIS8_S8_S9_S9_EESK_S10_SL_SM_SN_EUlS10_E1_NS1_11comp_targetILNS1_3genE10ELNS1_11target_archE1201ELNS1_3gpuE5ELNS1_3repE0EEENS1_36merge_oddeven_config_static_selectorELNS0_4arch9wavefront6targetE0EEEvSM_,@function
_ZN7rocprim17ROCPRIM_400000_NS6detail17trampoline_kernelINS0_14default_configENS1_38merge_sort_block_merge_config_selectorIlNS0_10empty_typeEEEZZNS1_27merge_sort_block_merge_implIS3_PlPS5_mZN2at6native12_GLOBAL__N_124unique_dim_cuda_templateIlEESt5tupleIJNSA_6TensorESF_SF_EERKSF_lbbbEUlllE_EE10hipError_tT0_T1_T2_jT3_P12ihipStream_tbPNSt15iterator_traitsISL_E10value_typeEPNSR_ISM_E10value_typeEPSN_NS1_7vsmem_tEENKUlT_SL_SM_SN_E_clIS8_S8_S9_S9_EESK_S10_SL_SM_SN_EUlS10_E1_NS1_11comp_targetILNS1_3genE10ELNS1_11target_archE1201ELNS1_3gpuE5ELNS1_3repE0EEENS1_36merge_oddeven_config_static_selectorELNS0_4arch9wavefront6targetE0EEEvSM_: ; @_ZN7rocprim17ROCPRIM_400000_NS6detail17trampoline_kernelINS0_14default_configENS1_38merge_sort_block_merge_config_selectorIlNS0_10empty_typeEEEZZNS1_27merge_sort_block_merge_implIS3_PlPS5_mZN2at6native12_GLOBAL__N_124unique_dim_cuda_templateIlEESt5tupleIJNSA_6TensorESF_SF_EERKSF_lbbbEUlllE_EE10hipError_tT0_T1_T2_jT3_P12ihipStream_tbPNSt15iterator_traitsISL_E10value_typeEPNSR_ISM_E10value_typeEPSN_NS1_7vsmem_tEENKUlT_SL_SM_SN_E_clIS8_S8_S9_S9_EESK_S10_SL_SM_SN_EUlS10_E1_NS1_11comp_targetILNS1_3genE10ELNS1_11target_archE1201ELNS1_3gpuE5ELNS1_3repE0EEENS1_36merge_oddeven_config_static_selectorELNS0_4arch9wavefront6targetE0EEEvSM_
; %bb.0:
	.section	.rodata,"a",@progbits
	.p2align	6, 0x0
	.amdhsa_kernel _ZN7rocprim17ROCPRIM_400000_NS6detail17trampoline_kernelINS0_14default_configENS1_38merge_sort_block_merge_config_selectorIlNS0_10empty_typeEEEZZNS1_27merge_sort_block_merge_implIS3_PlPS5_mZN2at6native12_GLOBAL__N_124unique_dim_cuda_templateIlEESt5tupleIJNSA_6TensorESF_SF_EERKSF_lbbbEUlllE_EE10hipError_tT0_T1_T2_jT3_P12ihipStream_tbPNSt15iterator_traitsISL_E10value_typeEPNSR_ISM_E10value_typeEPSN_NS1_7vsmem_tEENKUlT_SL_SM_SN_E_clIS8_S8_S9_S9_EESK_S10_SL_SM_SN_EUlS10_E1_NS1_11comp_targetILNS1_3genE10ELNS1_11target_archE1201ELNS1_3gpuE5ELNS1_3repE0EEENS1_36merge_oddeven_config_static_selectorELNS0_4arch9wavefront6targetE0EEEvSM_
		.amdhsa_group_segment_fixed_size 0
		.amdhsa_private_segment_fixed_size 0
		.amdhsa_kernarg_size 64
		.amdhsa_user_sgpr_count 15
		.amdhsa_user_sgpr_dispatch_ptr 0
		.amdhsa_user_sgpr_queue_ptr 0
		.amdhsa_user_sgpr_kernarg_segment_ptr 1
		.amdhsa_user_sgpr_dispatch_id 0
		.amdhsa_user_sgpr_private_segment_size 0
		.amdhsa_wavefront_size32 1
		.amdhsa_uses_dynamic_stack 0
		.amdhsa_enable_private_segment 0
		.amdhsa_system_sgpr_workgroup_id_x 1
		.amdhsa_system_sgpr_workgroup_id_y 0
		.amdhsa_system_sgpr_workgroup_id_z 0
		.amdhsa_system_sgpr_workgroup_info 0
		.amdhsa_system_vgpr_workitem_id 0
		.amdhsa_next_free_vgpr 1
		.amdhsa_next_free_sgpr 1
		.amdhsa_reserve_vcc 0
		.amdhsa_float_round_mode_32 0
		.amdhsa_float_round_mode_16_64 0
		.amdhsa_float_denorm_mode_32 3
		.amdhsa_float_denorm_mode_16_64 3
		.amdhsa_dx10_clamp 1
		.amdhsa_ieee_mode 1
		.amdhsa_fp16_overflow 0
		.amdhsa_workgroup_processor_mode 1
		.amdhsa_memory_ordered 1
		.amdhsa_forward_progress 0
		.amdhsa_shared_vgpr_count 0
		.amdhsa_exception_fp_ieee_invalid_op 0
		.amdhsa_exception_fp_denorm_src 0
		.amdhsa_exception_fp_ieee_div_zero 0
		.amdhsa_exception_fp_ieee_overflow 0
		.amdhsa_exception_fp_ieee_underflow 0
		.amdhsa_exception_fp_ieee_inexact 0
		.amdhsa_exception_int_div_zero 0
	.end_amdhsa_kernel
	.section	.text._ZN7rocprim17ROCPRIM_400000_NS6detail17trampoline_kernelINS0_14default_configENS1_38merge_sort_block_merge_config_selectorIlNS0_10empty_typeEEEZZNS1_27merge_sort_block_merge_implIS3_PlPS5_mZN2at6native12_GLOBAL__N_124unique_dim_cuda_templateIlEESt5tupleIJNSA_6TensorESF_SF_EERKSF_lbbbEUlllE_EE10hipError_tT0_T1_T2_jT3_P12ihipStream_tbPNSt15iterator_traitsISL_E10value_typeEPNSR_ISM_E10value_typeEPSN_NS1_7vsmem_tEENKUlT_SL_SM_SN_E_clIS8_S8_S9_S9_EESK_S10_SL_SM_SN_EUlS10_E1_NS1_11comp_targetILNS1_3genE10ELNS1_11target_archE1201ELNS1_3gpuE5ELNS1_3repE0EEENS1_36merge_oddeven_config_static_selectorELNS0_4arch9wavefront6targetE0EEEvSM_,"axG",@progbits,_ZN7rocprim17ROCPRIM_400000_NS6detail17trampoline_kernelINS0_14default_configENS1_38merge_sort_block_merge_config_selectorIlNS0_10empty_typeEEEZZNS1_27merge_sort_block_merge_implIS3_PlPS5_mZN2at6native12_GLOBAL__N_124unique_dim_cuda_templateIlEESt5tupleIJNSA_6TensorESF_SF_EERKSF_lbbbEUlllE_EE10hipError_tT0_T1_T2_jT3_P12ihipStream_tbPNSt15iterator_traitsISL_E10value_typeEPNSR_ISM_E10value_typeEPSN_NS1_7vsmem_tEENKUlT_SL_SM_SN_E_clIS8_S8_S9_S9_EESK_S10_SL_SM_SN_EUlS10_E1_NS1_11comp_targetILNS1_3genE10ELNS1_11target_archE1201ELNS1_3gpuE5ELNS1_3repE0EEENS1_36merge_oddeven_config_static_selectorELNS0_4arch9wavefront6targetE0EEEvSM_,comdat
.Lfunc_end531:
	.size	_ZN7rocprim17ROCPRIM_400000_NS6detail17trampoline_kernelINS0_14default_configENS1_38merge_sort_block_merge_config_selectorIlNS0_10empty_typeEEEZZNS1_27merge_sort_block_merge_implIS3_PlPS5_mZN2at6native12_GLOBAL__N_124unique_dim_cuda_templateIlEESt5tupleIJNSA_6TensorESF_SF_EERKSF_lbbbEUlllE_EE10hipError_tT0_T1_T2_jT3_P12ihipStream_tbPNSt15iterator_traitsISL_E10value_typeEPNSR_ISM_E10value_typeEPSN_NS1_7vsmem_tEENKUlT_SL_SM_SN_E_clIS8_S8_S9_S9_EESK_S10_SL_SM_SN_EUlS10_E1_NS1_11comp_targetILNS1_3genE10ELNS1_11target_archE1201ELNS1_3gpuE5ELNS1_3repE0EEENS1_36merge_oddeven_config_static_selectorELNS0_4arch9wavefront6targetE0EEEvSM_, .Lfunc_end531-_ZN7rocprim17ROCPRIM_400000_NS6detail17trampoline_kernelINS0_14default_configENS1_38merge_sort_block_merge_config_selectorIlNS0_10empty_typeEEEZZNS1_27merge_sort_block_merge_implIS3_PlPS5_mZN2at6native12_GLOBAL__N_124unique_dim_cuda_templateIlEESt5tupleIJNSA_6TensorESF_SF_EERKSF_lbbbEUlllE_EE10hipError_tT0_T1_T2_jT3_P12ihipStream_tbPNSt15iterator_traitsISL_E10value_typeEPNSR_ISM_E10value_typeEPSN_NS1_7vsmem_tEENKUlT_SL_SM_SN_E_clIS8_S8_S9_S9_EESK_S10_SL_SM_SN_EUlS10_E1_NS1_11comp_targetILNS1_3genE10ELNS1_11target_archE1201ELNS1_3gpuE5ELNS1_3repE0EEENS1_36merge_oddeven_config_static_selectorELNS0_4arch9wavefront6targetE0EEEvSM_
                                        ; -- End function
	.section	.AMDGPU.csdata,"",@progbits
; Kernel info:
; codeLenInByte = 0
; NumSgprs: 0
; NumVgprs: 0
; ScratchSize: 0
; MemoryBound: 0
; FloatMode: 240
; IeeeMode: 1
; LDSByteSize: 0 bytes/workgroup (compile time only)
; SGPRBlocks: 0
; VGPRBlocks: 0
; NumSGPRsForWavesPerEU: 1
; NumVGPRsForWavesPerEU: 1
; Occupancy: 16
; WaveLimiterHint : 0
; COMPUTE_PGM_RSRC2:SCRATCH_EN: 0
; COMPUTE_PGM_RSRC2:USER_SGPR: 15
; COMPUTE_PGM_RSRC2:TRAP_HANDLER: 0
; COMPUTE_PGM_RSRC2:TGID_X_EN: 1
; COMPUTE_PGM_RSRC2:TGID_Y_EN: 0
; COMPUTE_PGM_RSRC2:TGID_Z_EN: 0
; COMPUTE_PGM_RSRC2:TIDIG_COMP_CNT: 0
	.section	.text._ZN7rocprim17ROCPRIM_400000_NS6detail17trampoline_kernelINS0_14default_configENS1_38merge_sort_block_merge_config_selectorIlNS0_10empty_typeEEEZZNS1_27merge_sort_block_merge_implIS3_PlPS5_mZN2at6native12_GLOBAL__N_124unique_dim_cuda_templateIlEESt5tupleIJNSA_6TensorESF_SF_EERKSF_lbbbEUlllE_EE10hipError_tT0_T1_T2_jT3_P12ihipStream_tbPNSt15iterator_traitsISL_E10value_typeEPNSR_ISM_E10value_typeEPSN_NS1_7vsmem_tEENKUlT_SL_SM_SN_E_clIS8_S8_S9_S9_EESK_S10_SL_SM_SN_EUlS10_E1_NS1_11comp_targetILNS1_3genE5ELNS1_11target_archE942ELNS1_3gpuE9ELNS1_3repE0EEENS1_36merge_oddeven_config_static_selectorELNS0_4arch9wavefront6targetE0EEEvSM_,"axG",@progbits,_ZN7rocprim17ROCPRIM_400000_NS6detail17trampoline_kernelINS0_14default_configENS1_38merge_sort_block_merge_config_selectorIlNS0_10empty_typeEEEZZNS1_27merge_sort_block_merge_implIS3_PlPS5_mZN2at6native12_GLOBAL__N_124unique_dim_cuda_templateIlEESt5tupleIJNSA_6TensorESF_SF_EERKSF_lbbbEUlllE_EE10hipError_tT0_T1_T2_jT3_P12ihipStream_tbPNSt15iterator_traitsISL_E10value_typeEPNSR_ISM_E10value_typeEPSN_NS1_7vsmem_tEENKUlT_SL_SM_SN_E_clIS8_S8_S9_S9_EESK_S10_SL_SM_SN_EUlS10_E1_NS1_11comp_targetILNS1_3genE5ELNS1_11target_archE942ELNS1_3gpuE9ELNS1_3repE0EEENS1_36merge_oddeven_config_static_selectorELNS0_4arch9wavefront6targetE0EEEvSM_,comdat
	.globl	_ZN7rocprim17ROCPRIM_400000_NS6detail17trampoline_kernelINS0_14default_configENS1_38merge_sort_block_merge_config_selectorIlNS0_10empty_typeEEEZZNS1_27merge_sort_block_merge_implIS3_PlPS5_mZN2at6native12_GLOBAL__N_124unique_dim_cuda_templateIlEESt5tupleIJNSA_6TensorESF_SF_EERKSF_lbbbEUlllE_EE10hipError_tT0_T1_T2_jT3_P12ihipStream_tbPNSt15iterator_traitsISL_E10value_typeEPNSR_ISM_E10value_typeEPSN_NS1_7vsmem_tEENKUlT_SL_SM_SN_E_clIS8_S8_S9_S9_EESK_S10_SL_SM_SN_EUlS10_E1_NS1_11comp_targetILNS1_3genE5ELNS1_11target_archE942ELNS1_3gpuE9ELNS1_3repE0EEENS1_36merge_oddeven_config_static_selectorELNS0_4arch9wavefront6targetE0EEEvSM_ ; -- Begin function _ZN7rocprim17ROCPRIM_400000_NS6detail17trampoline_kernelINS0_14default_configENS1_38merge_sort_block_merge_config_selectorIlNS0_10empty_typeEEEZZNS1_27merge_sort_block_merge_implIS3_PlPS5_mZN2at6native12_GLOBAL__N_124unique_dim_cuda_templateIlEESt5tupleIJNSA_6TensorESF_SF_EERKSF_lbbbEUlllE_EE10hipError_tT0_T1_T2_jT3_P12ihipStream_tbPNSt15iterator_traitsISL_E10value_typeEPNSR_ISM_E10value_typeEPSN_NS1_7vsmem_tEENKUlT_SL_SM_SN_E_clIS8_S8_S9_S9_EESK_S10_SL_SM_SN_EUlS10_E1_NS1_11comp_targetILNS1_3genE5ELNS1_11target_archE942ELNS1_3gpuE9ELNS1_3repE0EEENS1_36merge_oddeven_config_static_selectorELNS0_4arch9wavefront6targetE0EEEvSM_
	.p2align	8
	.type	_ZN7rocprim17ROCPRIM_400000_NS6detail17trampoline_kernelINS0_14default_configENS1_38merge_sort_block_merge_config_selectorIlNS0_10empty_typeEEEZZNS1_27merge_sort_block_merge_implIS3_PlPS5_mZN2at6native12_GLOBAL__N_124unique_dim_cuda_templateIlEESt5tupleIJNSA_6TensorESF_SF_EERKSF_lbbbEUlllE_EE10hipError_tT0_T1_T2_jT3_P12ihipStream_tbPNSt15iterator_traitsISL_E10value_typeEPNSR_ISM_E10value_typeEPSN_NS1_7vsmem_tEENKUlT_SL_SM_SN_E_clIS8_S8_S9_S9_EESK_S10_SL_SM_SN_EUlS10_E1_NS1_11comp_targetILNS1_3genE5ELNS1_11target_archE942ELNS1_3gpuE9ELNS1_3repE0EEENS1_36merge_oddeven_config_static_selectorELNS0_4arch9wavefront6targetE0EEEvSM_,@function
_ZN7rocprim17ROCPRIM_400000_NS6detail17trampoline_kernelINS0_14default_configENS1_38merge_sort_block_merge_config_selectorIlNS0_10empty_typeEEEZZNS1_27merge_sort_block_merge_implIS3_PlPS5_mZN2at6native12_GLOBAL__N_124unique_dim_cuda_templateIlEESt5tupleIJNSA_6TensorESF_SF_EERKSF_lbbbEUlllE_EE10hipError_tT0_T1_T2_jT3_P12ihipStream_tbPNSt15iterator_traitsISL_E10value_typeEPNSR_ISM_E10value_typeEPSN_NS1_7vsmem_tEENKUlT_SL_SM_SN_E_clIS8_S8_S9_S9_EESK_S10_SL_SM_SN_EUlS10_E1_NS1_11comp_targetILNS1_3genE5ELNS1_11target_archE942ELNS1_3gpuE9ELNS1_3repE0EEENS1_36merge_oddeven_config_static_selectorELNS0_4arch9wavefront6targetE0EEEvSM_: ; @_ZN7rocprim17ROCPRIM_400000_NS6detail17trampoline_kernelINS0_14default_configENS1_38merge_sort_block_merge_config_selectorIlNS0_10empty_typeEEEZZNS1_27merge_sort_block_merge_implIS3_PlPS5_mZN2at6native12_GLOBAL__N_124unique_dim_cuda_templateIlEESt5tupleIJNSA_6TensorESF_SF_EERKSF_lbbbEUlllE_EE10hipError_tT0_T1_T2_jT3_P12ihipStream_tbPNSt15iterator_traitsISL_E10value_typeEPNSR_ISM_E10value_typeEPSN_NS1_7vsmem_tEENKUlT_SL_SM_SN_E_clIS8_S8_S9_S9_EESK_S10_SL_SM_SN_EUlS10_E1_NS1_11comp_targetILNS1_3genE5ELNS1_11target_archE942ELNS1_3gpuE9ELNS1_3repE0EEENS1_36merge_oddeven_config_static_selectorELNS0_4arch9wavefront6targetE0EEEvSM_
; %bb.0:
	.section	.rodata,"a",@progbits
	.p2align	6, 0x0
	.amdhsa_kernel _ZN7rocprim17ROCPRIM_400000_NS6detail17trampoline_kernelINS0_14default_configENS1_38merge_sort_block_merge_config_selectorIlNS0_10empty_typeEEEZZNS1_27merge_sort_block_merge_implIS3_PlPS5_mZN2at6native12_GLOBAL__N_124unique_dim_cuda_templateIlEESt5tupleIJNSA_6TensorESF_SF_EERKSF_lbbbEUlllE_EE10hipError_tT0_T1_T2_jT3_P12ihipStream_tbPNSt15iterator_traitsISL_E10value_typeEPNSR_ISM_E10value_typeEPSN_NS1_7vsmem_tEENKUlT_SL_SM_SN_E_clIS8_S8_S9_S9_EESK_S10_SL_SM_SN_EUlS10_E1_NS1_11comp_targetILNS1_3genE5ELNS1_11target_archE942ELNS1_3gpuE9ELNS1_3repE0EEENS1_36merge_oddeven_config_static_selectorELNS0_4arch9wavefront6targetE0EEEvSM_
		.amdhsa_group_segment_fixed_size 0
		.amdhsa_private_segment_fixed_size 0
		.amdhsa_kernarg_size 64
		.amdhsa_user_sgpr_count 15
		.amdhsa_user_sgpr_dispatch_ptr 0
		.amdhsa_user_sgpr_queue_ptr 0
		.amdhsa_user_sgpr_kernarg_segment_ptr 1
		.amdhsa_user_sgpr_dispatch_id 0
		.amdhsa_user_sgpr_private_segment_size 0
		.amdhsa_wavefront_size32 1
		.amdhsa_uses_dynamic_stack 0
		.amdhsa_enable_private_segment 0
		.amdhsa_system_sgpr_workgroup_id_x 1
		.amdhsa_system_sgpr_workgroup_id_y 0
		.amdhsa_system_sgpr_workgroup_id_z 0
		.amdhsa_system_sgpr_workgroup_info 0
		.amdhsa_system_vgpr_workitem_id 0
		.amdhsa_next_free_vgpr 1
		.amdhsa_next_free_sgpr 1
		.amdhsa_reserve_vcc 0
		.amdhsa_float_round_mode_32 0
		.amdhsa_float_round_mode_16_64 0
		.amdhsa_float_denorm_mode_32 3
		.amdhsa_float_denorm_mode_16_64 3
		.amdhsa_dx10_clamp 1
		.amdhsa_ieee_mode 1
		.amdhsa_fp16_overflow 0
		.amdhsa_workgroup_processor_mode 1
		.amdhsa_memory_ordered 1
		.amdhsa_forward_progress 0
		.amdhsa_shared_vgpr_count 0
		.amdhsa_exception_fp_ieee_invalid_op 0
		.amdhsa_exception_fp_denorm_src 0
		.amdhsa_exception_fp_ieee_div_zero 0
		.amdhsa_exception_fp_ieee_overflow 0
		.amdhsa_exception_fp_ieee_underflow 0
		.amdhsa_exception_fp_ieee_inexact 0
		.amdhsa_exception_int_div_zero 0
	.end_amdhsa_kernel
	.section	.text._ZN7rocprim17ROCPRIM_400000_NS6detail17trampoline_kernelINS0_14default_configENS1_38merge_sort_block_merge_config_selectorIlNS0_10empty_typeEEEZZNS1_27merge_sort_block_merge_implIS3_PlPS5_mZN2at6native12_GLOBAL__N_124unique_dim_cuda_templateIlEESt5tupleIJNSA_6TensorESF_SF_EERKSF_lbbbEUlllE_EE10hipError_tT0_T1_T2_jT3_P12ihipStream_tbPNSt15iterator_traitsISL_E10value_typeEPNSR_ISM_E10value_typeEPSN_NS1_7vsmem_tEENKUlT_SL_SM_SN_E_clIS8_S8_S9_S9_EESK_S10_SL_SM_SN_EUlS10_E1_NS1_11comp_targetILNS1_3genE5ELNS1_11target_archE942ELNS1_3gpuE9ELNS1_3repE0EEENS1_36merge_oddeven_config_static_selectorELNS0_4arch9wavefront6targetE0EEEvSM_,"axG",@progbits,_ZN7rocprim17ROCPRIM_400000_NS6detail17trampoline_kernelINS0_14default_configENS1_38merge_sort_block_merge_config_selectorIlNS0_10empty_typeEEEZZNS1_27merge_sort_block_merge_implIS3_PlPS5_mZN2at6native12_GLOBAL__N_124unique_dim_cuda_templateIlEESt5tupleIJNSA_6TensorESF_SF_EERKSF_lbbbEUlllE_EE10hipError_tT0_T1_T2_jT3_P12ihipStream_tbPNSt15iterator_traitsISL_E10value_typeEPNSR_ISM_E10value_typeEPSN_NS1_7vsmem_tEENKUlT_SL_SM_SN_E_clIS8_S8_S9_S9_EESK_S10_SL_SM_SN_EUlS10_E1_NS1_11comp_targetILNS1_3genE5ELNS1_11target_archE942ELNS1_3gpuE9ELNS1_3repE0EEENS1_36merge_oddeven_config_static_selectorELNS0_4arch9wavefront6targetE0EEEvSM_,comdat
.Lfunc_end532:
	.size	_ZN7rocprim17ROCPRIM_400000_NS6detail17trampoline_kernelINS0_14default_configENS1_38merge_sort_block_merge_config_selectorIlNS0_10empty_typeEEEZZNS1_27merge_sort_block_merge_implIS3_PlPS5_mZN2at6native12_GLOBAL__N_124unique_dim_cuda_templateIlEESt5tupleIJNSA_6TensorESF_SF_EERKSF_lbbbEUlllE_EE10hipError_tT0_T1_T2_jT3_P12ihipStream_tbPNSt15iterator_traitsISL_E10value_typeEPNSR_ISM_E10value_typeEPSN_NS1_7vsmem_tEENKUlT_SL_SM_SN_E_clIS8_S8_S9_S9_EESK_S10_SL_SM_SN_EUlS10_E1_NS1_11comp_targetILNS1_3genE5ELNS1_11target_archE942ELNS1_3gpuE9ELNS1_3repE0EEENS1_36merge_oddeven_config_static_selectorELNS0_4arch9wavefront6targetE0EEEvSM_, .Lfunc_end532-_ZN7rocprim17ROCPRIM_400000_NS6detail17trampoline_kernelINS0_14default_configENS1_38merge_sort_block_merge_config_selectorIlNS0_10empty_typeEEEZZNS1_27merge_sort_block_merge_implIS3_PlPS5_mZN2at6native12_GLOBAL__N_124unique_dim_cuda_templateIlEESt5tupleIJNSA_6TensorESF_SF_EERKSF_lbbbEUlllE_EE10hipError_tT0_T1_T2_jT3_P12ihipStream_tbPNSt15iterator_traitsISL_E10value_typeEPNSR_ISM_E10value_typeEPSN_NS1_7vsmem_tEENKUlT_SL_SM_SN_E_clIS8_S8_S9_S9_EESK_S10_SL_SM_SN_EUlS10_E1_NS1_11comp_targetILNS1_3genE5ELNS1_11target_archE942ELNS1_3gpuE9ELNS1_3repE0EEENS1_36merge_oddeven_config_static_selectorELNS0_4arch9wavefront6targetE0EEEvSM_
                                        ; -- End function
	.section	.AMDGPU.csdata,"",@progbits
; Kernel info:
; codeLenInByte = 0
; NumSgprs: 0
; NumVgprs: 0
; ScratchSize: 0
; MemoryBound: 0
; FloatMode: 240
; IeeeMode: 1
; LDSByteSize: 0 bytes/workgroup (compile time only)
; SGPRBlocks: 0
; VGPRBlocks: 0
; NumSGPRsForWavesPerEU: 1
; NumVGPRsForWavesPerEU: 1
; Occupancy: 16
; WaveLimiterHint : 0
; COMPUTE_PGM_RSRC2:SCRATCH_EN: 0
; COMPUTE_PGM_RSRC2:USER_SGPR: 15
; COMPUTE_PGM_RSRC2:TRAP_HANDLER: 0
; COMPUTE_PGM_RSRC2:TGID_X_EN: 1
; COMPUTE_PGM_RSRC2:TGID_Y_EN: 0
; COMPUTE_PGM_RSRC2:TGID_Z_EN: 0
; COMPUTE_PGM_RSRC2:TIDIG_COMP_CNT: 0
	.section	.text._ZN7rocprim17ROCPRIM_400000_NS6detail17trampoline_kernelINS0_14default_configENS1_38merge_sort_block_merge_config_selectorIlNS0_10empty_typeEEEZZNS1_27merge_sort_block_merge_implIS3_PlPS5_mZN2at6native12_GLOBAL__N_124unique_dim_cuda_templateIlEESt5tupleIJNSA_6TensorESF_SF_EERKSF_lbbbEUlllE_EE10hipError_tT0_T1_T2_jT3_P12ihipStream_tbPNSt15iterator_traitsISL_E10value_typeEPNSR_ISM_E10value_typeEPSN_NS1_7vsmem_tEENKUlT_SL_SM_SN_E_clIS8_S8_S9_S9_EESK_S10_SL_SM_SN_EUlS10_E1_NS1_11comp_targetILNS1_3genE4ELNS1_11target_archE910ELNS1_3gpuE8ELNS1_3repE0EEENS1_36merge_oddeven_config_static_selectorELNS0_4arch9wavefront6targetE0EEEvSM_,"axG",@progbits,_ZN7rocprim17ROCPRIM_400000_NS6detail17trampoline_kernelINS0_14default_configENS1_38merge_sort_block_merge_config_selectorIlNS0_10empty_typeEEEZZNS1_27merge_sort_block_merge_implIS3_PlPS5_mZN2at6native12_GLOBAL__N_124unique_dim_cuda_templateIlEESt5tupleIJNSA_6TensorESF_SF_EERKSF_lbbbEUlllE_EE10hipError_tT0_T1_T2_jT3_P12ihipStream_tbPNSt15iterator_traitsISL_E10value_typeEPNSR_ISM_E10value_typeEPSN_NS1_7vsmem_tEENKUlT_SL_SM_SN_E_clIS8_S8_S9_S9_EESK_S10_SL_SM_SN_EUlS10_E1_NS1_11comp_targetILNS1_3genE4ELNS1_11target_archE910ELNS1_3gpuE8ELNS1_3repE0EEENS1_36merge_oddeven_config_static_selectorELNS0_4arch9wavefront6targetE0EEEvSM_,comdat
	.globl	_ZN7rocprim17ROCPRIM_400000_NS6detail17trampoline_kernelINS0_14default_configENS1_38merge_sort_block_merge_config_selectorIlNS0_10empty_typeEEEZZNS1_27merge_sort_block_merge_implIS3_PlPS5_mZN2at6native12_GLOBAL__N_124unique_dim_cuda_templateIlEESt5tupleIJNSA_6TensorESF_SF_EERKSF_lbbbEUlllE_EE10hipError_tT0_T1_T2_jT3_P12ihipStream_tbPNSt15iterator_traitsISL_E10value_typeEPNSR_ISM_E10value_typeEPSN_NS1_7vsmem_tEENKUlT_SL_SM_SN_E_clIS8_S8_S9_S9_EESK_S10_SL_SM_SN_EUlS10_E1_NS1_11comp_targetILNS1_3genE4ELNS1_11target_archE910ELNS1_3gpuE8ELNS1_3repE0EEENS1_36merge_oddeven_config_static_selectorELNS0_4arch9wavefront6targetE0EEEvSM_ ; -- Begin function _ZN7rocprim17ROCPRIM_400000_NS6detail17trampoline_kernelINS0_14default_configENS1_38merge_sort_block_merge_config_selectorIlNS0_10empty_typeEEEZZNS1_27merge_sort_block_merge_implIS3_PlPS5_mZN2at6native12_GLOBAL__N_124unique_dim_cuda_templateIlEESt5tupleIJNSA_6TensorESF_SF_EERKSF_lbbbEUlllE_EE10hipError_tT0_T1_T2_jT3_P12ihipStream_tbPNSt15iterator_traitsISL_E10value_typeEPNSR_ISM_E10value_typeEPSN_NS1_7vsmem_tEENKUlT_SL_SM_SN_E_clIS8_S8_S9_S9_EESK_S10_SL_SM_SN_EUlS10_E1_NS1_11comp_targetILNS1_3genE4ELNS1_11target_archE910ELNS1_3gpuE8ELNS1_3repE0EEENS1_36merge_oddeven_config_static_selectorELNS0_4arch9wavefront6targetE0EEEvSM_
	.p2align	8
	.type	_ZN7rocprim17ROCPRIM_400000_NS6detail17trampoline_kernelINS0_14default_configENS1_38merge_sort_block_merge_config_selectorIlNS0_10empty_typeEEEZZNS1_27merge_sort_block_merge_implIS3_PlPS5_mZN2at6native12_GLOBAL__N_124unique_dim_cuda_templateIlEESt5tupleIJNSA_6TensorESF_SF_EERKSF_lbbbEUlllE_EE10hipError_tT0_T1_T2_jT3_P12ihipStream_tbPNSt15iterator_traitsISL_E10value_typeEPNSR_ISM_E10value_typeEPSN_NS1_7vsmem_tEENKUlT_SL_SM_SN_E_clIS8_S8_S9_S9_EESK_S10_SL_SM_SN_EUlS10_E1_NS1_11comp_targetILNS1_3genE4ELNS1_11target_archE910ELNS1_3gpuE8ELNS1_3repE0EEENS1_36merge_oddeven_config_static_selectorELNS0_4arch9wavefront6targetE0EEEvSM_,@function
_ZN7rocprim17ROCPRIM_400000_NS6detail17trampoline_kernelINS0_14default_configENS1_38merge_sort_block_merge_config_selectorIlNS0_10empty_typeEEEZZNS1_27merge_sort_block_merge_implIS3_PlPS5_mZN2at6native12_GLOBAL__N_124unique_dim_cuda_templateIlEESt5tupleIJNSA_6TensorESF_SF_EERKSF_lbbbEUlllE_EE10hipError_tT0_T1_T2_jT3_P12ihipStream_tbPNSt15iterator_traitsISL_E10value_typeEPNSR_ISM_E10value_typeEPSN_NS1_7vsmem_tEENKUlT_SL_SM_SN_E_clIS8_S8_S9_S9_EESK_S10_SL_SM_SN_EUlS10_E1_NS1_11comp_targetILNS1_3genE4ELNS1_11target_archE910ELNS1_3gpuE8ELNS1_3repE0EEENS1_36merge_oddeven_config_static_selectorELNS0_4arch9wavefront6targetE0EEEvSM_: ; @_ZN7rocprim17ROCPRIM_400000_NS6detail17trampoline_kernelINS0_14default_configENS1_38merge_sort_block_merge_config_selectorIlNS0_10empty_typeEEEZZNS1_27merge_sort_block_merge_implIS3_PlPS5_mZN2at6native12_GLOBAL__N_124unique_dim_cuda_templateIlEESt5tupleIJNSA_6TensorESF_SF_EERKSF_lbbbEUlllE_EE10hipError_tT0_T1_T2_jT3_P12ihipStream_tbPNSt15iterator_traitsISL_E10value_typeEPNSR_ISM_E10value_typeEPSN_NS1_7vsmem_tEENKUlT_SL_SM_SN_E_clIS8_S8_S9_S9_EESK_S10_SL_SM_SN_EUlS10_E1_NS1_11comp_targetILNS1_3genE4ELNS1_11target_archE910ELNS1_3gpuE8ELNS1_3repE0EEENS1_36merge_oddeven_config_static_selectorELNS0_4arch9wavefront6targetE0EEEvSM_
; %bb.0:
	.section	.rodata,"a",@progbits
	.p2align	6, 0x0
	.amdhsa_kernel _ZN7rocprim17ROCPRIM_400000_NS6detail17trampoline_kernelINS0_14default_configENS1_38merge_sort_block_merge_config_selectorIlNS0_10empty_typeEEEZZNS1_27merge_sort_block_merge_implIS3_PlPS5_mZN2at6native12_GLOBAL__N_124unique_dim_cuda_templateIlEESt5tupleIJNSA_6TensorESF_SF_EERKSF_lbbbEUlllE_EE10hipError_tT0_T1_T2_jT3_P12ihipStream_tbPNSt15iterator_traitsISL_E10value_typeEPNSR_ISM_E10value_typeEPSN_NS1_7vsmem_tEENKUlT_SL_SM_SN_E_clIS8_S8_S9_S9_EESK_S10_SL_SM_SN_EUlS10_E1_NS1_11comp_targetILNS1_3genE4ELNS1_11target_archE910ELNS1_3gpuE8ELNS1_3repE0EEENS1_36merge_oddeven_config_static_selectorELNS0_4arch9wavefront6targetE0EEEvSM_
		.amdhsa_group_segment_fixed_size 0
		.amdhsa_private_segment_fixed_size 0
		.amdhsa_kernarg_size 64
		.amdhsa_user_sgpr_count 15
		.amdhsa_user_sgpr_dispatch_ptr 0
		.amdhsa_user_sgpr_queue_ptr 0
		.amdhsa_user_sgpr_kernarg_segment_ptr 1
		.amdhsa_user_sgpr_dispatch_id 0
		.amdhsa_user_sgpr_private_segment_size 0
		.amdhsa_wavefront_size32 1
		.amdhsa_uses_dynamic_stack 0
		.amdhsa_enable_private_segment 0
		.amdhsa_system_sgpr_workgroup_id_x 1
		.amdhsa_system_sgpr_workgroup_id_y 0
		.amdhsa_system_sgpr_workgroup_id_z 0
		.amdhsa_system_sgpr_workgroup_info 0
		.amdhsa_system_vgpr_workitem_id 0
		.amdhsa_next_free_vgpr 1
		.amdhsa_next_free_sgpr 1
		.amdhsa_reserve_vcc 0
		.amdhsa_float_round_mode_32 0
		.amdhsa_float_round_mode_16_64 0
		.amdhsa_float_denorm_mode_32 3
		.amdhsa_float_denorm_mode_16_64 3
		.amdhsa_dx10_clamp 1
		.amdhsa_ieee_mode 1
		.amdhsa_fp16_overflow 0
		.amdhsa_workgroup_processor_mode 1
		.amdhsa_memory_ordered 1
		.amdhsa_forward_progress 0
		.amdhsa_shared_vgpr_count 0
		.amdhsa_exception_fp_ieee_invalid_op 0
		.amdhsa_exception_fp_denorm_src 0
		.amdhsa_exception_fp_ieee_div_zero 0
		.amdhsa_exception_fp_ieee_overflow 0
		.amdhsa_exception_fp_ieee_underflow 0
		.amdhsa_exception_fp_ieee_inexact 0
		.amdhsa_exception_int_div_zero 0
	.end_amdhsa_kernel
	.section	.text._ZN7rocprim17ROCPRIM_400000_NS6detail17trampoline_kernelINS0_14default_configENS1_38merge_sort_block_merge_config_selectorIlNS0_10empty_typeEEEZZNS1_27merge_sort_block_merge_implIS3_PlPS5_mZN2at6native12_GLOBAL__N_124unique_dim_cuda_templateIlEESt5tupleIJNSA_6TensorESF_SF_EERKSF_lbbbEUlllE_EE10hipError_tT0_T1_T2_jT3_P12ihipStream_tbPNSt15iterator_traitsISL_E10value_typeEPNSR_ISM_E10value_typeEPSN_NS1_7vsmem_tEENKUlT_SL_SM_SN_E_clIS8_S8_S9_S9_EESK_S10_SL_SM_SN_EUlS10_E1_NS1_11comp_targetILNS1_3genE4ELNS1_11target_archE910ELNS1_3gpuE8ELNS1_3repE0EEENS1_36merge_oddeven_config_static_selectorELNS0_4arch9wavefront6targetE0EEEvSM_,"axG",@progbits,_ZN7rocprim17ROCPRIM_400000_NS6detail17trampoline_kernelINS0_14default_configENS1_38merge_sort_block_merge_config_selectorIlNS0_10empty_typeEEEZZNS1_27merge_sort_block_merge_implIS3_PlPS5_mZN2at6native12_GLOBAL__N_124unique_dim_cuda_templateIlEESt5tupleIJNSA_6TensorESF_SF_EERKSF_lbbbEUlllE_EE10hipError_tT0_T1_T2_jT3_P12ihipStream_tbPNSt15iterator_traitsISL_E10value_typeEPNSR_ISM_E10value_typeEPSN_NS1_7vsmem_tEENKUlT_SL_SM_SN_E_clIS8_S8_S9_S9_EESK_S10_SL_SM_SN_EUlS10_E1_NS1_11comp_targetILNS1_3genE4ELNS1_11target_archE910ELNS1_3gpuE8ELNS1_3repE0EEENS1_36merge_oddeven_config_static_selectorELNS0_4arch9wavefront6targetE0EEEvSM_,comdat
.Lfunc_end533:
	.size	_ZN7rocprim17ROCPRIM_400000_NS6detail17trampoline_kernelINS0_14default_configENS1_38merge_sort_block_merge_config_selectorIlNS0_10empty_typeEEEZZNS1_27merge_sort_block_merge_implIS3_PlPS5_mZN2at6native12_GLOBAL__N_124unique_dim_cuda_templateIlEESt5tupleIJNSA_6TensorESF_SF_EERKSF_lbbbEUlllE_EE10hipError_tT0_T1_T2_jT3_P12ihipStream_tbPNSt15iterator_traitsISL_E10value_typeEPNSR_ISM_E10value_typeEPSN_NS1_7vsmem_tEENKUlT_SL_SM_SN_E_clIS8_S8_S9_S9_EESK_S10_SL_SM_SN_EUlS10_E1_NS1_11comp_targetILNS1_3genE4ELNS1_11target_archE910ELNS1_3gpuE8ELNS1_3repE0EEENS1_36merge_oddeven_config_static_selectorELNS0_4arch9wavefront6targetE0EEEvSM_, .Lfunc_end533-_ZN7rocprim17ROCPRIM_400000_NS6detail17trampoline_kernelINS0_14default_configENS1_38merge_sort_block_merge_config_selectorIlNS0_10empty_typeEEEZZNS1_27merge_sort_block_merge_implIS3_PlPS5_mZN2at6native12_GLOBAL__N_124unique_dim_cuda_templateIlEESt5tupleIJNSA_6TensorESF_SF_EERKSF_lbbbEUlllE_EE10hipError_tT0_T1_T2_jT3_P12ihipStream_tbPNSt15iterator_traitsISL_E10value_typeEPNSR_ISM_E10value_typeEPSN_NS1_7vsmem_tEENKUlT_SL_SM_SN_E_clIS8_S8_S9_S9_EESK_S10_SL_SM_SN_EUlS10_E1_NS1_11comp_targetILNS1_3genE4ELNS1_11target_archE910ELNS1_3gpuE8ELNS1_3repE0EEENS1_36merge_oddeven_config_static_selectorELNS0_4arch9wavefront6targetE0EEEvSM_
                                        ; -- End function
	.section	.AMDGPU.csdata,"",@progbits
; Kernel info:
; codeLenInByte = 0
; NumSgprs: 0
; NumVgprs: 0
; ScratchSize: 0
; MemoryBound: 0
; FloatMode: 240
; IeeeMode: 1
; LDSByteSize: 0 bytes/workgroup (compile time only)
; SGPRBlocks: 0
; VGPRBlocks: 0
; NumSGPRsForWavesPerEU: 1
; NumVGPRsForWavesPerEU: 1
; Occupancy: 16
; WaveLimiterHint : 0
; COMPUTE_PGM_RSRC2:SCRATCH_EN: 0
; COMPUTE_PGM_RSRC2:USER_SGPR: 15
; COMPUTE_PGM_RSRC2:TRAP_HANDLER: 0
; COMPUTE_PGM_RSRC2:TGID_X_EN: 1
; COMPUTE_PGM_RSRC2:TGID_Y_EN: 0
; COMPUTE_PGM_RSRC2:TGID_Z_EN: 0
; COMPUTE_PGM_RSRC2:TIDIG_COMP_CNT: 0
	.section	.text._ZN7rocprim17ROCPRIM_400000_NS6detail17trampoline_kernelINS0_14default_configENS1_38merge_sort_block_merge_config_selectorIlNS0_10empty_typeEEEZZNS1_27merge_sort_block_merge_implIS3_PlPS5_mZN2at6native12_GLOBAL__N_124unique_dim_cuda_templateIlEESt5tupleIJNSA_6TensorESF_SF_EERKSF_lbbbEUlllE_EE10hipError_tT0_T1_T2_jT3_P12ihipStream_tbPNSt15iterator_traitsISL_E10value_typeEPNSR_ISM_E10value_typeEPSN_NS1_7vsmem_tEENKUlT_SL_SM_SN_E_clIS8_S8_S9_S9_EESK_S10_SL_SM_SN_EUlS10_E1_NS1_11comp_targetILNS1_3genE3ELNS1_11target_archE908ELNS1_3gpuE7ELNS1_3repE0EEENS1_36merge_oddeven_config_static_selectorELNS0_4arch9wavefront6targetE0EEEvSM_,"axG",@progbits,_ZN7rocprim17ROCPRIM_400000_NS6detail17trampoline_kernelINS0_14default_configENS1_38merge_sort_block_merge_config_selectorIlNS0_10empty_typeEEEZZNS1_27merge_sort_block_merge_implIS3_PlPS5_mZN2at6native12_GLOBAL__N_124unique_dim_cuda_templateIlEESt5tupleIJNSA_6TensorESF_SF_EERKSF_lbbbEUlllE_EE10hipError_tT0_T1_T2_jT3_P12ihipStream_tbPNSt15iterator_traitsISL_E10value_typeEPNSR_ISM_E10value_typeEPSN_NS1_7vsmem_tEENKUlT_SL_SM_SN_E_clIS8_S8_S9_S9_EESK_S10_SL_SM_SN_EUlS10_E1_NS1_11comp_targetILNS1_3genE3ELNS1_11target_archE908ELNS1_3gpuE7ELNS1_3repE0EEENS1_36merge_oddeven_config_static_selectorELNS0_4arch9wavefront6targetE0EEEvSM_,comdat
	.globl	_ZN7rocprim17ROCPRIM_400000_NS6detail17trampoline_kernelINS0_14default_configENS1_38merge_sort_block_merge_config_selectorIlNS0_10empty_typeEEEZZNS1_27merge_sort_block_merge_implIS3_PlPS5_mZN2at6native12_GLOBAL__N_124unique_dim_cuda_templateIlEESt5tupleIJNSA_6TensorESF_SF_EERKSF_lbbbEUlllE_EE10hipError_tT0_T1_T2_jT3_P12ihipStream_tbPNSt15iterator_traitsISL_E10value_typeEPNSR_ISM_E10value_typeEPSN_NS1_7vsmem_tEENKUlT_SL_SM_SN_E_clIS8_S8_S9_S9_EESK_S10_SL_SM_SN_EUlS10_E1_NS1_11comp_targetILNS1_3genE3ELNS1_11target_archE908ELNS1_3gpuE7ELNS1_3repE0EEENS1_36merge_oddeven_config_static_selectorELNS0_4arch9wavefront6targetE0EEEvSM_ ; -- Begin function _ZN7rocprim17ROCPRIM_400000_NS6detail17trampoline_kernelINS0_14default_configENS1_38merge_sort_block_merge_config_selectorIlNS0_10empty_typeEEEZZNS1_27merge_sort_block_merge_implIS3_PlPS5_mZN2at6native12_GLOBAL__N_124unique_dim_cuda_templateIlEESt5tupleIJNSA_6TensorESF_SF_EERKSF_lbbbEUlllE_EE10hipError_tT0_T1_T2_jT3_P12ihipStream_tbPNSt15iterator_traitsISL_E10value_typeEPNSR_ISM_E10value_typeEPSN_NS1_7vsmem_tEENKUlT_SL_SM_SN_E_clIS8_S8_S9_S9_EESK_S10_SL_SM_SN_EUlS10_E1_NS1_11comp_targetILNS1_3genE3ELNS1_11target_archE908ELNS1_3gpuE7ELNS1_3repE0EEENS1_36merge_oddeven_config_static_selectorELNS0_4arch9wavefront6targetE0EEEvSM_
	.p2align	8
	.type	_ZN7rocprim17ROCPRIM_400000_NS6detail17trampoline_kernelINS0_14default_configENS1_38merge_sort_block_merge_config_selectorIlNS0_10empty_typeEEEZZNS1_27merge_sort_block_merge_implIS3_PlPS5_mZN2at6native12_GLOBAL__N_124unique_dim_cuda_templateIlEESt5tupleIJNSA_6TensorESF_SF_EERKSF_lbbbEUlllE_EE10hipError_tT0_T1_T2_jT3_P12ihipStream_tbPNSt15iterator_traitsISL_E10value_typeEPNSR_ISM_E10value_typeEPSN_NS1_7vsmem_tEENKUlT_SL_SM_SN_E_clIS8_S8_S9_S9_EESK_S10_SL_SM_SN_EUlS10_E1_NS1_11comp_targetILNS1_3genE3ELNS1_11target_archE908ELNS1_3gpuE7ELNS1_3repE0EEENS1_36merge_oddeven_config_static_selectorELNS0_4arch9wavefront6targetE0EEEvSM_,@function
_ZN7rocprim17ROCPRIM_400000_NS6detail17trampoline_kernelINS0_14default_configENS1_38merge_sort_block_merge_config_selectorIlNS0_10empty_typeEEEZZNS1_27merge_sort_block_merge_implIS3_PlPS5_mZN2at6native12_GLOBAL__N_124unique_dim_cuda_templateIlEESt5tupleIJNSA_6TensorESF_SF_EERKSF_lbbbEUlllE_EE10hipError_tT0_T1_T2_jT3_P12ihipStream_tbPNSt15iterator_traitsISL_E10value_typeEPNSR_ISM_E10value_typeEPSN_NS1_7vsmem_tEENKUlT_SL_SM_SN_E_clIS8_S8_S9_S9_EESK_S10_SL_SM_SN_EUlS10_E1_NS1_11comp_targetILNS1_3genE3ELNS1_11target_archE908ELNS1_3gpuE7ELNS1_3repE0EEENS1_36merge_oddeven_config_static_selectorELNS0_4arch9wavefront6targetE0EEEvSM_: ; @_ZN7rocprim17ROCPRIM_400000_NS6detail17trampoline_kernelINS0_14default_configENS1_38merge_sort_block_merge_config_selectorIlNS0_10empty_typeEEEZZNS1_27merge_sort_block_merge_implIS3_PlPS5_mZN2at6native12_GLOBAL__N_124unique_dim_cuda_templateIlEESt5tupleIJNSA_6TensorESF_SF_EERKSF_lbbbEUlllE_EE10hipError_tT0_T1_T2_jT3_P12ihipStream_tbPNSt15iterator_traitsISL_E10value_typeEPNSR_ISM_E10value_typeEPSN_NS1_7vsmem_tEENKUlT_SL_SM_SN_E_clIS8_S8_S9_S9_EESK_S10_SL_SM_SN_EUlS10_E1_NS1_11comp_targetILNS1_3genE3ELNS1_11target_archE908ELNS1_3gpuE7ELNS1_3repE0EEENS1_36merge_oddeven_config_static_selectorELNS0_4arch9wavefront6targetE0EEEvSM_
; %bb.0:
	.section	.rodata,"a",@progbits
	.p2align	6, 0x0
	.amdhsa_kernel _ZN7rocprim17ROCPRIM_400000_NS6detail17trampoline_kernelINS0_14default_configENS1_38merge_sort_block_merge_config_selectorIlNS0_10empty_typeEEEZZNS1_27merge_sort_block_merge_implIS3_PlPS5_mZN2at6native12_GLOBAL__N_124unique_dim_cuda_templateIlEESt5tupleIJNSA_6TensorESF_SF_EERKSF_lbbbEUlllE_EE10hipError_tT0_T1_T2_jT3_P12ihipStream_tbPNSt15iterator_traitsISL_E10value_typeEPNSR_ISM_E10value_typeEPSN_NS1_7vsmem_tEENKUlT_SL_SM_SN_E_clIS8_S8_S9_S9_EESK_S10_SL_SM_SN_EUlS10_E1_NS1_11comp_targetILNS1_3genE3ELNS1_11target_archE908ELNS1_3gpuE7ELNS1_3repE0EEENS1_36merge_oddeven_config_static_selectorELNS0_4arch9wavefront6targetE0EEEvSM_
		.amdhsa_group_segment_fixed_size 0
		.amdhsa_private_segment_fixed_size 0
		.amdhsa_kernarg_size 64
		.amdhsa_user_sgpr_count 15
		.amdhsa_user_sgpr_dispatch_ptr 0
		.amdhsa_user_sgpr_queue_ptr 0
		.amdhsa_user_sgpr_kernarg_segment_ptr 1
		.amdhsa_user_sgpr_dispatch_id 0
		.amdhsa_user_sgpr_private_segment_size 0
		.amdhsa_wavefront_size32 1
		.amdhsa_uses_dynamic_stack 0
		.amdhsa_enable_private_segment 0
		.amdhsa_system_sgpr_workgroup_id_x 1
		.amdhsa_system_sgpr_workgroup_id_y 0
		.amdhsa_system_sgpr_workgroup_id_z 0
		.amdhsa_system_sgpr_workgroup_info 0
		.amdhsa_system_vgpr_workitem_id 0
		.amdhsa_next_free_vgpr 1
		.amdhsa_next_free_sgpr 1
		.amdhsa_reserve_vcc 0
		.amdhsa_float_round_mode_32 0
		.amdhsa_float_round_mode_16_64 0
		.amdhsa_float_denorm_mode_32 3
		.amdhsa_float_denorm_mode_16_64 3
		.amdhsa_dx10_clamp 1
		.amdhsa_ieee_mode 1
		.amdhsa_fp16_overflow 0
		.amdhsa_workgroup_processor_mode 1
		.amdhsa_memory_ordered 1
		.amdhsa_forward_progress 0
		.amdhsa_shared_vgpr_count 0
		.amdhsa_exception_fp_ieee_invalid_op 0
		.amdhsa_exception_fp_denorm_src 0
		.amdhsa_exception_fp_ieee_div_zero 0
		.amdhsa_exception_fp_ieee_overflow 0
		.amdhsa_exception_fp_ieee_underflow 0
		.amdhsa_exception_fp_ieee_inexact 0
		.amdhsa_exception_int_div_zero 0
	.end_amdhsa_kernel
	.section	.text._ZN7rocprim17ROCPRIM_400000_NS6detail17trampoline_kernelINS0_14default_configENS1_38merge_sort_block_merge_config_selectorIlNS0_10empty_typeEEEZZNS1_27merge_sort_block_merge_implIS3_PlPS5_mZN2at6native12_GLOBAL__N_124unique_dim_cuda_templateIlEESt5tupleIJNSA_6TensorESF_SF_EERKSF_lbbbEUlllE_EE10hipError_tT0_T1_T2_jT3_P12ihipStream_tbPNSt15iterator_traitsISL_E10value_typeEPNSR_ISM_E10value_typeEPSN_NS1_7vsmem_tEENKUlT_SL_SM_SN_E_clIS8_S8_S9_S9_EESK_S10_SL_SM_SN_EUlS10_E1_NS1_11comp_targetILNS1_3genE3ELNS1_11target_archE908ELNS1_3gpuE7ELNS1_3repE0EEENS1_36merge_oddeven_config_static_selectorELNS0_4arch9wavefront6targetE0EEEvSM_,"axG",@progbits,_ZN7rocprim17ROCPRIM_400000_NS6detail17trampoline_kernelINS0_14default_configENS1_38merge_sort_block_merge_config_selectorIlNS0_10empty_typeEEEZZNS1_27merge_sort_block_merge_implIS3_PlPS5_mZN2at6native12_GLOBAL__N_124unique_dim_cuda_templateIlEESt5tupleIJNSA_6TensorESF_SF_EERKSF_lbbbEUlllE_EE10hipError_tT0_T1_T2_jT3_P12ihipStream_tbPNSt15iterator_traitsISL_E10value_typeEPNSR_ISM_E10value_typeEPSN_NS1_7vsmem_tEENKUlT_SL_SM_SN_E_clIS8_S8_S9_S9_EESK_S10_SL_SM_SN_EUlS10_E1_NS1_11comp_targetILNS1_3genE3ELNS1_11target_archE908ELNS1_3gpuE7ELNS1_3repE0EEENS1_36merge_oddeven_config_static_selectorELNS0_4arch9wavefront6targetE0EEEvSM_,comdat
.Lfunc_end534:
	.size	_ZN7rocprim17ROCPRIM_400000_NS6detail17trampoline_kernelINS0_14default_configENS1_38merge_sort_block_merge_config_selectorIlNS0_10empty_typeEEEZZNS1_27merge_sort_block_merge_implIS3_PlPS5_mZN2at6native12_GLOBAL__N_124unique_dim_cuda_templateIlEESt5tupleIJNSA_6TensorESF_SF_EERKSF_lbbbEUlllE_EE10hipError_tT0_T1_T2_jT3_P12ihipStream_tbPNSt15iterator_traitsISL_E10value_typeEPNSR_ISM_E10value_typeEPSN_NS1_7vsmem_tEENKUlT_SL_SM_SN_E_clIS8_S8_S9_S9_EESK_S10_SL_SM_SN_EUlS10_E1_NS1_11comp_targetILNS1_3genE3ELNS1_11target_archE908ELNS1_3gpuE7ELNS1_3repE0EEENS1_36merge_oddeven_config_static_selectorELNS0_4arch9wavefront6targetE0EEEvSM_, .Lfunc_end534-_ZN7rocprim17ROCPRIM_400000_NS6detail17trampoline_kernelINS0_14default_configENS1_38merge_sort_block_merge_config_selectorIlNS0_10empty_typeEEEZZNS1_27merge_sort_block_merge_implIS3_PlPS5_mZN2at6native12_GLOBAL__N_124unique_dim_cuda_templateIlEESt5tupleIJNSA_6TensorESF_SF_EERKSF_lbbbEUlllE_EE10hipError_tT0_T1_T2_jT3_P12ihipStream_tbPNSt15iterator_traitsISL_E10value_typeEPNSR_ISM_E10value_typeEPSN_NS1_7vsmem_tEENKUlT_SL_SM_SN_E_clIS8_S8_S9_S9_EESK_S10_SL_SM_SN_EUlS10_E1_NS1_11comp_targetILNS1_3genE3ELNS1_11target_archE908ELNS1_3gpuE7ELNS1_3repE0EEENS1_36merge_oddeven_config_static_selectorELNS0_4arch9wavefront6targetE0EEEvSM_
                                        ; -- End function
	.section	.AMDGPU.csdata,"",@progbits
; Kernel info:
; codeLenInByte = 0
; NumSgprs: 0
; NumVgprs: 0
; ScratchSize: 0
; MemoryBound: 0
; FloatMode: 240
; IeeeMode: 1
; LDSByteSize: 0 bytes/workgroup (compile time only)
; SGPRBlocks: 0
; VGPRBlocks: 0
; NumSGPRsForWavesPerEU: 1
; NumVGPRsForWavesPerEU: 1
; Occupancy: 16
; WaveLimiterHint : 0
; COMPUTE_PGM_RSRC2:SCRATCH_EN: 0
; COMPUTE_PGM_RSRC2:USER_SGPR: 15
; COMPUTE_PGM_RSRC2:TRAP_HANDLER: 0
; COMPUTE_PGM_RSRC2:TGID_X_EN: 1
; COMPUTE_PGM_RSRC2:TGID_Y_EN: 0
; COMPUTE_PGM_RSRC2:TGID_Z_EN: 0
; COMPUTE_PGM_RSRC2:TIDIG_COMP_CNT: 0
	.section	.text._ZN7rocprim17ROCPRIM_400000_NS6detail17trampoline_kernelINS0_14default_configENS1_38merge_sort_block_merge_config_selectorIlNS0_10empty_typeEEEZZNS1_27merge_sort_block_merge_implIS3_PlPS5_mZN2at6native12_GLOBAL__N_124unique_dim_cuda_templateIlEESt5tupleIJNSA_6TensorESF_SF_EERKSF_lbbbEUlllE_EE10hipError_tT0_T1_T2_jT3_P12ihipStream_tbPNSt15iterator_traitsISL_E10value_typeEPNSR_ISM_E10value_typeEPSN_NS1_7vsmem_tEENKUlT_SL_SM_SN_E_clIS8_S8_S9_S9_EESK_S10_SL_SM_SN_EUlS10_E1_NS1_11comp_targetILNS1_3genE2ELNS1_11target_archE906ELNS1_3gpuE6ELNS1_3repE0EEENS1_36merge_oddeven_config_static_selectorELNS0_4arch9wavefront6targetE0EEEvSM_,"axG",@progbits,_ZN7rocprim17ROCPRIM_400000_NS6detail17trampoline_kernelINS0_14default_configENS1_38merge_sort_block_merge_config_selectorIlNS0_10empty_typeEEEZZNS1_27merge_sort_block_merge_implIS3_PlPS5_mZN2at6native12_GLOBAL__N_124unique_dim_cuda_templateIlEESt5tupleIJNSA_6TensorESF_SF_EERKSF_lbbbEUlllE_EE10hipError_tT0_T1_T2_jT3_P12ihipStream_tbPNSt15iterator_traitsISL_E10value_typeEPNSR_ISM_E10value_typeEPSN_NS1_7vsmem_tEENKUlT_SL_SM_SN_E_clIS8_S8_S9_S9_EESK_S10_SL_SM_SN_EUlS10_E1_NS1_11comp_targetILNS1_3genE2ELNS1_11target_archE906ELNS1_3gpuE6ELNS1_3repE0EEENS1_36merge_oddeven_config_static_selectorELNS0_4arch9wavefront6targetE0EEEvSM_,comdat
	.globl	_ZN7rocprim17ROCPRIM_400000_NS6detail17trampoline_kernelINS0_14default_configENS1_38merge_sort_block_merge_config_selectorIlNS0_10empty_typeEEEZZNS1_27merge_sort_block_merge_implIS3_PlPS5_mZN2at6native12_GLOBAL__N_124unique_dim_cuda_templateIlEESt5tupleIJNSA_6TensorESF_SF_EERKSF_lbbbEUlllE_EE10hipError_tT0_T1_T2_jT3_P12ihipStream_tbPNSt15iterator_traitsISL_E10value_typeEPNSR_ISM_E10value_typeEPSN_NS1_7vsmem_tEENKUlT_SL_SM_SN_E_clIS8_S8_S9_S9_EESK_S10_SL_SM_SN_EUlS10_E1_NS1_11comp_targetILNS1_3genE2ELNS1_11target_archE906ELNS1_3gpuE6ELNS1_3repE0EEENS1_36merge_oddeven_config_static_selectorELNS0_4arch9wavefront6targetE0EEEvSM_ ; -- Begin function _ZN7rocprim17ROCPRIM_400000_NS6detail17trampoline_kernelINS0_14default_configENS1_38merge_sort_block_merge_config_selectorIlNS0_10empty_typeEEEZZNS1_27merge_sort_block_merge_implIS3_PlPS5_mZN2at6native12_GLOBAL__N_124unique_dim_cuda_templateIlEESt5tupleIJNSA_6TensorESF_SF_EERKSF_lbbbEUlllE_EE10hipError_tT0_T1_T2_jT3_P12ihipStream_tbPNSt15iterator_traitsISL_E10value_typeEPNSR_ISM_E10value_typeEPSN_NS1_7vsmem_tEENKUlT_SL_SM_SN_E_clIS8_S8_S9_S9_EESK_S10_SL_SM_SN_EUlS10_E1_NS1_11comp_targetILNS1_3genE2ELNS1_11target_archE906ELNS1_3gpuE6ELNS1_3repE0EEENS1_36merge_oddeven_config_static_selectorELNS0_4arch9wavefront6targetE0EEEvSM_
	.p2align	8
	.type	_ZN7rocprim17ROCPRIM_400000_NS6detail17trampoline_kernelINS0_14default_configENS1_38merge_sort_block_merge_config_selectorIlNS0_10empty_typeEEEZZNS1_27merge_sort_block_merge_implIS3_PlPS5_mZN2at6native12_GLOBAL__N_124unique_dim_cuda_templateIlEESt5tupleIJNSA_6TensorESF_SF_EERKSF_lbbbEUlllE_EE10hipError_tT0_T1_T2_jT3_P12ihipStream_tbPNSt15iterator_traitsISL_E10value_typeEPNSR_ISM_E10value_typeEPSN_NS1_7vsmem_tEENKUlT_SL_SM_SN_E_clIS8_S8_S9_S9_EESK_S10_SL_SM_SN_EUlS10_E1_NS1_11comp_targetILNS1_3genE2ELNS1_11target_archE906ELNS1_3gpuE6ELNS1_3repE0EEENS1_36merge_oddeven_config_static_selectorELNS0_4arch9wavefront6targetE0EEEvSM_,@function
_ZN7rocprim17ROCPRIM_400000_NS6detail17trampoline_kernelINS0_14default_configENS1_38merge_sort_block_merge_config_selectorIlNS0_10empty_typeEEEZZNS1_27merge_sort_block_merge_implIS3_PlPS5_mZN2at6native12_GLOBAL__N_124unique_dim_cuda_templateIlEESt5tupleIJNSA_6TensorESF_SF_EERKSF_lbbbEUlllE_EE10hipError_tT0_T1_T2_jT3_P12ihipStream_tbPNSt15iterator_traitsISL_E10value_typeEPNSR_ISM_E10value_typeEPSN_NS1_7vsmem_tEENKUlT_SL_SM_SN_E_clIS8_S8_S9_S9_EESK_S10_SL_SM_SN_EUlS10_E1_NS1_11comp_targetILNS1_3genE2ELNS1_11target_archE906ELNS1_3gpuE6ELNS1_3repE0EEENS1_36merge_oddeven_config_static_selectorELNS0_4arch9wavefront6targetE0EEEvSM_: ; @_ZN7rocprim17ROCPRIM_400000_NS6detail17trampoline_kernelINS0_14default_configENS1_38merge_sort_block_merge_config_selectorIlNS0_10empty_typeEEEZZNS1_27merge_sort_block_merge_implIS3_PlPS5_mZN2at6native12_GLOBAL__N_124unique_dim_cuda_templateIlEESt5tupleIJNSA_6TensorESF_SF_EERKSF_lbbbEUlllE_EE10hipError_tT0_T1_T2_jT3_P12ihipStream_tbPNSt15iterator_traitsISL_E10value_typeEPNSR_ISM_E10value_typeEPSN_NS1_7vsmem_tEENKUlT_SL_SM_SN_E_clIS8_S8_S9_S9_EESK_S10_SL_SM_SN_EUlS10_E1_NS1_11comp_targetILNS1_3genE2ELNS1_11target_archE906ELNS1_3gpuE6ELNS1_3repE0EEENS1_36merge_oddeven_config_static_selectorELNS0_4arch9wavefront6targetE0EEEvSM_
; %bb.0:
	.section	.rodata,"a",@progbits
	.p2align	6, 0x0
	.amdhsa_kernel _ZN7rocprim17ROCPRIM_400000_NS6detail17trampoline_kernelINS0_14default_configENS1_38merge_sort_block_merge_config_selectorIlNS0_10empty_typeEEEZZNS1_27merge_sort_block_merge_implIS3_PlPS5_mZN2at6native12_GLOBAL__N_124unique_dim_cuda_templateIlEESt5tupleIJNSA_6TensorESF_SF_EERKSF_lbbbEUlllE_EE10hipError_tT0_T1_T2_jT3_P12ihipStream_tbPNSt15iterator_traitsISL_E10value_typeEPNSR_ISM_E10value_typeEPSN_NS1_7vsmem_tEENKUlT_SL_SM_SN_E_clIS8_S8_S9_S9_EESK_S10_SL_SM_SN_EUlS10_E1_NS1_11comp_targetILNS1_3genE2ELNS1_11target_archE906ELNS1_3gpuE6ELNS1_3repE0EEENS1_36merge_oddeven_config_static_selectorELNS0_4arch9wavefront6targetE0EEEvSM_
		.amdhsa_group_segment_fixed_size 0
		.amdhsa_private_segment_fixed_size 0
		.amdhsa_kernarg_size 64
		.amdhsa_user_sgpr_count 15
		.amdhsa_user_sgpr_dispatch_ptr 0
		.amdhsa_user_sgpr_queue_ptr 0
		.amdhsa_user_sgpr_kernarg_segment_ptr 1
		.amdhsa_user_sgpr_dispatch_id 0
		.amdhsa_user_sgpr_private_segment_size 0
		.amdhsa_wavefront_size32 1
		.amdhsa_uses_dynamic_stack 0
		.amdhsa_enable_private_segment 0
		.amdhsa_system_sgpr_workgroup_id_x 1
		.amdhsa_system_sgpr_workgroup_id_y 0
		.amdhsa_system_sgpr_workgroup_id_z 0
		.amdhsa_system_sgpr_workgroup_info 0
		.amdhsa_system_vgpr_workitem_id 0
		.amdhsa_next_free_vgpr 1
		.amdhsa_next_free_sgpr 1
		.amdhsa_reserve_vcc 0
		.amdhsa_float_round_mode_32 0
		.amdhsa_float_round_mode_16_64 0
		.amdhsa_float_denorm_mode_32 3
		.amdhsa_float_denorm_mode_16_64 3
		.amdhsa_dx10_clamp 1
		.amdhsa_ieee_mode 1
		.amdhsa_fp16_overflow 0
		.amdhsa_workgroup_processor_mode 1
		.amdhsa_memory_ordered 1
		.amdhsa_forward_progress 0
		.amdhsa_shared_vgpr_count 0
		.amdhsa_exception_fp_ieee_invalid_op 0
		.amdhsa_exception_fp_denorm_src 0
		.amdhsa_exception_fp_ieee_div_zero 0
		.amdhsa_exception_fp_ieee_overflow 0
		.amdhsa_exception_fp_ieee_underflow 0
		.amdhsa_exception_fp_ieee_inexact 0
		.amdhsa_exception_int_div_zero 0
	.end_amdhsa_kernel
	.section	.text._ZN7rocprim17ROCPRIM_400000_NS6detail17trampoline_kernelINS0_14default_configENS1_38merge_sort_block_merge_config_selectorIlNS0_10empty_typeEEEZZNS1_27merge_sort_block_merge_implIS3_PlPS5_mZN2at6native12_GLOBAL__N_124unique_dim_cuda_templateIlEESt5tupleIJNSA_6TensorESF_SF_EERKSF_lbbbEUlllE_EE10hipError_tT0_T1_T2_jT3_P12ihipStream_tbPNSt15iterator_traitsISL_E10value_typeEPNSR_ISM_E10value_typeEPSN_NS1_7vsmem_tEENKUlT_SL_SM_SN_E_clIS8_S8_S9_S9_EESK_S10_SL_SM_SN_EUlS10_E1_NS1_11comp_targetILNS1_3genE2ELNS1_11target_archE906ELNS1_3gpuE6ELNS1_3repE0EEENS1_36merge_oddeven_config_static_selectorELNS0_4arch9wavefront6targetE0EEEvSM_,"axG",@progbits,_ZN7rocprim17ROCPRIM_400000_NS6detail17trampoline_kernelINS0_14default_configENS1_38merge_sort_block_merge_config_selectorIlNS0_10empty_typeEEEZZNS1_27merge_sort_block_merge_implIS3_PlPS5_mZN2at6native12_GLOBAL__N_124unique_dim_cuda_templateIlEESt5tupleIJNSA_6TensorESF_SF_EERKSF_lbbbEUlllE_EE10hipError_tT0_T1_T2_jT3_P12ihipStream_tbPNSt15iterator_traitsISL_E10value_typeEPNSR_ISM_E10value_typeEPSN_NS1_7vsmem_tEENKUlT_SL_SM_SN_E_clIS8_S8_S9_S9_EESK_S10_SL_SM_SN_EUlS10_E1_NS1_11comp_targetILNS1_3genE2ELNS1_11target_archE906ELNS1_3gpuE6ELNS1_3repE0EEENS1_36merge_oddeven_config_static_selectorELNS0_4arch9wavefront6targetE0EEEvSM_,comdat
.Lfunc_end535:
	.size	_ZN7rocprim17ROCPRIM_400000_NS6detail17trampoline_kernelINS0_14default_configENS1_38merge_sort_block_merge_config_selectorIlNS0_10empty_typeEEEZZNS1_27merge_sort_block_merge_implIS3_PlPS5_mZN2at6native12_GLOBAL__N_124unique_dim_cuda_templateIlEESt5tupleIJNSA_6TensorESF_SF_EERKSF_lbbbEUlllE_EE10hipError_tT0_T1_T2_jT3_P12ihipStream_tbPNSt15iterator_traitsISL_E10value_typeEPNSR_ISM_E10value_typeEPSN_NS1_7vsmem_tEENKUlT_SL_SM_SN_E_clIS8_S8_S9_S9_EESK_S10_SL_SM_SN_EUlS10_E1_NS1_11comp_targetILNS1_3genE2ELNS1_11target_archE906ELNS1_3gpuE6ELNS1_3repE0EEENS1_36merge_oddeven_config_static_selectorELNS0_4arch9wavefront6targetE0EEEvSM_, .Lfunc_end535-_ZN7rocprim17ROCPRIM_400000_NS6detail17trampoline_kernelINS0_14default_configENS1_38merge_sort_block_merge_config_selectorIlNS0_10empty_typeEEEZZNS1_27merge_sort_block_merge_implIS3_PlPS5_mZN2at6native12_GLOBAL__N_124unique_dim_cuda_templateIlEESt5tupleIJNSA_6TensorESF_SF_EERKSF_lbbbEUlllE_EE10hipError_tT0_T1_T2_jT3_P12ihipStream_tbPNSt15iterator_traitsISL_E10value_typeEPNSR_ISM_E10value_typeEPSN_NS1_7vsmem_tEENKUlT_SL_SM_SN_E_clIS8_S8_S9_S9_EESK_S10_SL_SM_SN_EUlS10_E1_NS1_11comp_targetILNS1_3genE2ELNS1_11target_archE906ELNS1_3gpuE6ELNS1_3repE0EEENS1_36merge_oddeven_config_static_selectorELNS0_4arch9wavefront6targetE0EEEvSM_
                                        ; -- End function
	.section	.AMDGPU.csdata,"",@progbits
; Kernel info:
; codeLenInByte = 0
; NumSgprs: 0
; NumVgprs: 0
; ScratchSize: 0
; MemoryBound: 0
; FloatMode: 240
; IeeeMode: 1
; LDSByteSize: 0 bytes/workgroup (compile time only)
; SGPRBlocks: 0
; VGPRBlocks: 0
; NumSGPRsForWavesPerEU: 1
; NumVGPRsForWavesPerEU: 1
; Occupancy: 16
; WaveLimiterHint : 0
; COMPUTE_PGM_RSRC2:SCRATCH_EN: 0
; COMPUTE_PGM_RSRC2:USER_SGPR: 15
; COMPUTE_PGM_RSRC2:TRAP_HANDLER: 0
; COMPUTE_PGM_RSRC2:TGID_X_EN: 1
; COMPUTE_PGM_RSRC2:TGID_Y_EN: 0
; COMPUTE_PGM_RSRC2:TGID_Z_EN: 0
; COMPUTE_PGM_RSRC2:TIDIG_COMP_CNT: 0
	.section	.text._ZN7rocprim17ROCPRIM_400000_NS6detail17trampoline_kernelINS0_14default_configENS1_38merge_sort_block_merge_config_selectorIlNS0_10empty_typeEEEZZNS1_27merge_sort_block_merge_implIS3_PlPS5_mZN2at6native12_GLOBAL__N_124unique_dim_cuda_templateIlEESt5tupleIJNSA_6TensorESF_SF_EERKSF_lbbbEUlllE_EE10hipError_tT0_T1_T2_jT3_P12ihipStream_tbPNSt15iterator_traitsISL_E10value_typeEPNSR_ISM_E10value_typeEPSN_NS1_7vsmem_tEENKUlT_SL_SM_SN_E_clIS8_S8_S9_S9_EESK_S10_SL_SM_SN_EUlS10_E1_NS1_11comp_targetILNS1_3genE9ELNS1_11target_archE1100ELNS1_3gpuE3ELNS1_3repE0EEENS1_36merge_oddeven_config_static_selectorELNS0_4arch9wavefront6targetE0EEEvSM_,"axG",@progbits,_ZN7rocprim17ROCPRIM_400000_NS6detail17trampoline_kernelINS0_14default_configENS1_38merge_sort_block_merge_config_selectorIlNS0_10empty_typeEEEZZNS1_27merge_sort_block_merge_implIS3_PlPS5_mZN2at6native12_GLOBAL__N_124unique_dim_cuda_templateIlEESt5tupleIJNSA_6TensorESF_SF_EERKSF_lbbbEUlllE_EE10hipError_tT0_T1_T2_jT3_P12ihipStream_tbPNSt15iterator_traitsISL_E10value_typeEPNSR_ISM_E10value_typeEPSN_NS1_7vsmem_tEENKUlT_SL_SM_SN_E_clIS8_S8_S9_S9_EESK_S10_SL_SM_SN_EUlS10_E1_NS1_11comp_targetILNS1_3genE9ELNS1_11target_archE1100ELNS1_3gpuE3ELNS1_3repE0EEENS1_36merge_oddeven_config_static_selectorELNS0_4arch9wavefront6targetE0EEEvSM_,comdat
	.globl	_ZN7rocprim17ROCPRIM_400000_NS6detail17trampoline_kernelINS0_14default_configENS1_38merge_sort_block_merge_config_selectorIlNS0_10empty_typeEEEZZNS1_27merge_sort_block_merge_implIS3_PlPS5_mZN2at6native12_GLOBAL__N_124unique_dim_cuda_templateIlEESt5tupleIJNSA_6TensorESF_SF_EERKSF_lbbbEUlllE_EE10hipError_tT0_T1_T2_jT3_P12ihipStream_tbPNSt15iterator_traitsISL_E10value_typeEPNSR_ISM_E10value_typeEPSN_NS1_7vsmem_tEENKUlT_SL_SM_SN_E_clIS8_S8_S9_S9_EESK_S10_SL_SM_SN_EUlS10_E1_NS1_11comp_targetILNS1_3genE9ELNS1_11target_archE1100ELNS1_3gpuE3ELNS1_3repE0EEENS1_36merge_oddeven_config_static_selectorELNS0_4arch9wavefront6targetE0EEEvSM_ ; -- Begin function _ZN7rocprim17ROCPRIM_400000_NS6detail17trampoline_kernelINS0_14default_configENS1_38merge_sort_block_merge_config_selectorIlNS0_10empty_typeEEEZZNS1_27merge_sort_block_merge_implIS3_PlPS5_mZN2at6native12_GLOBAL__N_124unique_dim_cuda_templateIlEESt5tupleIJNSA_6TensorESF_SF_EERKSF_lbbbEUlllE_EE10hipError_tT0_T1_T2_jT3_P12ihipStream_tbPNSt15iterator_traitsISL_E10value_typeEPNSR_ISM_E10value_typeEPSN_NS1_7vsmem_tEENKUlT_SL_SM_SN_E_clIS8_S8_S9_S9_EESK_S10_SL_SM_SN_EUlS10_E1_NS1_11comp_targetILNS1_3genE9ELNS1_11target_archE1100ELNS1_3gpuE3ELNS1_3repE0EEENS1_36merge_oddeven_config_static_selectorELNS0_4arch9wavefront6targetE0EEEvSM_
	.p2align	8
	.type	_ZN7rocprim17ROCPRIM_400000_NS6detail17trampoline_kernelINS0_14default_configENS1_38merge_sort_block_merge_config_selectorIlNS0_10empty_typeEEEZZNS1_27merge_sort_block_merge_implIS3_PlPS5_mZN2at6native12_GLOBAL__N_124unique_dim_cuda_templateIlEESt5tupleIJNSA_6TensorESF_SF_EERKSF_lbbbEUlllE_EE10hipError_tT0_T1_T2_jT3_P12ihipStream_tbPNSt15iterator_traitsISL_E10value_typeEPNSR_ISM_E10value_typeEPSN_NS1_7vsmem_tEENKUlT_SL_SM_SN_E_clIS8_S8_S9_S9_EESK_S10_SL_SM_SN_EUlS10_E1_NS1_11comp_targetILNS1_3genE9ELNS1_11target_archE1100ELNS1_3gpuE3ELNS1_3repE0EEENS1_36merge_oddeven_config_static_selectorELNS0_4arch9wavefront6targetE0EEEvSM_,@function
_ZN7rocprim17ROCPRIM_400000_NS6detail17trampoline_kernelINS0_14default_configENS1_38merge_sort_block_merge_config_selectorIlNS0_10empty_typeEEEZZNS1_27merge_sort_block_merge_implIS3_PlPS5_mZN2at6native12_GLOBAL__N_124unique_dim_cuda_templateIlEESt5tupleIJNSA_6TensorESF_SF_EERKSF_lbbbEUlllE_EE10hipError_tT0_T1_T2_jT3_P12ihipStream_tbPNSt15iterator_traitsISL_E10value_typeEPNSR_ISM_E10value_typeEPSN_NS1_7vsmem_tEENKUlT_SL_SM_SN_E_clIS8_S8_S9_S9_EESK_S10_SL_SM_SN_EUlS10_E1_NS1_11comp_targetILNS1_3genE9ELNS1_11target_archE1100ELNS1_3gpuE3ELNS1_3repE0EEENS1_36merge_oddeven_config_static_selectorELNS0_4arch9wavefront6targetE0EEEvSM_: ; @_ZN7rocprim17ROCPRIM_400000_NS6detail17trampoline_kernelINS0_14default_configENS1_38merge_sort_block_merge_config_selectorIlNS0_10empty_typeEEEZZNS1_27merge_sort_block_merge_implIS3_PlPS5_mZN2at6native12_GLOBAL__N_124unique_dim_cuda_templateIlEESt5tupleIJNSA_6TensorESF_SF_EERKSF_lbbbEUlllE_EE10hipError_tT0_T1_T2_jT3_P12ihipStream_tbPNSt15iterator_traitsISL_E10value_typeEPNSR_ISM_E10value_typeEPSN_NS1_7vsmem_tEENKUlT_SL_SM_SN_E_clIS8_S8_S9_S9_EESK_S10_SL_SM_SN_EUlS10_E1_NS1_11comp_targetILNS1_3genE9ELNS1_11target_archE1100ELNS1_3gpuE3ELNS1_3repE0EEENS1_36merge_oddeven_config_static_selectorELNS0_4arch9wavefront6targetE0EEEvSM_
; %bb.0:
	s_load_b32 s3, s[0:1], 0x20
	s_waitcnt lgkmcnt(0)
	s_lshr_b32 s2, s3, 8
	s_delay_alu instid0(SALU_CYCLE_1) | instskip(SKIP_4) | instid1(SALU_CYCLE_1)
	s_cmp_lg_u32 s15, s2
	s_cselect_b32 s8, -1, 0
	s_cmp_eq_u32 s15, s2
	s_cselect_b32 s14, -1, 0
	s_lshl_b32 s12, s15, 8
	s_sub_i32 s2, s3, s12
	s_delay_alu instid0(SALU_CYCLE_1) | instskip(NEXT) | instid1(VALU_DEP_1)
	v_cmp_gt_u32_e64 s2, s2, v0
	s_or_b32 s4, s8, s2
	s_delay_alu instid0(SALU_CYCLE_1)
	s_and_saveexec_b32 s5, s4
	s_cbranch_execz .LBB536_54
; %bb.1:
	s_clause 0x1
	s_load_b128 s[4:7], s[0:1], 0x0
	s_load_b32 s18, s[0:1], 0x28
	s_mov_b32 s13, 0
	v_lshlrev_b32_e32 v1, 3, v0
	s_lshl_b64 s[10:11], s[12:13], 3
	s_waitcnt lgkmcnt(0)
	s_add_u32 s10, s4, s10
	s_addc_u32 s11, s5, s11
	s_lshr_b32 s9, s18, 8
	global_load_b64 v[1:2], v1, s[10:11]
	s_sub_i32 s10, 0, s9
	s_delay_alu instid0(SALU_CYCLE_1) | instskip(NEXT) | instid1(SALU_CYCLE_1)
	s_and_b32 s10, s15, s10
	s_and_b32 s9, s10, s9
	s_delay_alu instid0(SALU_CYCLE_1)
	s_cmp_lg_u32 s9, 0
	s_cselect_b32 s16, -1, 0
	s_lshl_b32 s15, s10, 8
	s_sub_i32 s10, 0, s18
	s_cmp_eq_u32 s9, 0
	s_cselect_b32 s17, s18, s10
	s_delay_alu instid0(SALU_CYCLE_1) | instskip(NEXT) | instid1(SALU_CYCLE_1)
	s_add_i32 s17, s17, s15
	s_cmp_lt_u32 s17, s3
	s_cbranch_scc1 .LBB536_3
; %bb.2:
	v_add_nc_u32_e32 v3, s12, v0
	s_delay_alu instid0(VALU_DEP_1) | instskip(SKIP_1) | instid1(SALU_CYCLE_1)
	v_cmp_gt_u32_e32 vcc_lo, s3, v3
	s_or_b32 s9, vcc_lo, s8
	s_and_b32 s13, s9, exec_lo
	s_cbranch_execz .LBB536_4
	s_branch .LBB536_52
.LBB536_3:
                                        ; implicit-def: $vgpr3
.LBB536_4:
	s_load_b128 s[8:11], s[0:1], 0x30
	v_add_nc_u32_e32 v0, s12, v0
	s_min_u32 s1, s17, s3
	s_and_b32 vcc_lo, exec_lo, s14
	s_add_i32 s0, s15, s1
	s_add_i32 s12, s1, s18
	v_subrev_nc_u32_e32 v0, s0, v0
	s_min_u32 s0, s15, s1
	s_min_u32 s12, s12, s3
	s_delay_alu instid0(VALU_DEP_1)
	v_add_nc_u32_e32 v0, s0, v0
	s_cbranch_vccz .LBB536_26
; %bb.5:
                                        ; implicit-def: $vgpr3
	s_and_saveexec_b32 s18, s2
	s_cbranch_execz .LBB536_29
; %bb.6:
	v_mov_b32_e32 v13, s1
	s_cmp_ge_u32 s17, s12
	s_cbranch_scc1 .LBB536_28
; %bb.7:
	s_waitcnt vmcnt(0) lgkmcnt(0)
	v_mul_lo_u32 v5, v2, s8
	v_mul_lo_u32 v6, v1, s9
	v_mad_u64_u32 v[3:4], null, v1, s8, 0
	v_cmp_gt_i64_e64 s19, s[8:9], 0
	v_dual_mov_b32 v14, s12 :: v_dual_mov_b32 v13, s1
	s_lshl_b64 s[2:3], s[8:9], 3
	s_mov_b32 s20, 0
	s_delay_alu instid0(VALU_DEP_3) | instskip(NEXT) | instid1(VALU_DEP_1)
	v_add3_u32 v4, v4, v6, v5
	v_lshlrev_b64 v[5:6], 3, v[3:4]
	v_mov_b32_e32 v4, 0
	s_delay_alu instid0(VALU_DEP_2) | instskip(NEXT) | instid1(VALU_DEP_3)
	v_add_co_u32 v5, vcc_lo, s10, v5
	v_add_co_ci_u32_e32 v6, vcc_lo, s11, v6, vcc_lo
	s_branch .LBB536_10
.LBB536_8:                              ;   in Loop: Header=BB536_10 Depth=1
	s_set_inst_prefetch_distance 0x2
	s_or_b32 exec_lo, exec_lo, s22
.LBB536_9:                              ;   in Loop: Header=BB536_10 Depth=1
	s_waitcnt vmcnt(0)
	v_add_nc_u32_e32 v7, 1, v3
	v_cndmask_b32_e64 v14, v3, v14, s21
	s_delay_alu instid0(VALU_DEP_2) | instskip(NEXT) | instid1(VALU_DEP_1)
	v_cndmask_b32_e64 v13, v13, v7, s21
	v_cmp_ge_u32_e32 vcc_lo, v13, v14
	s_or_b32 s20, vcc_lo, s20
	s_delay_alu instid0(SALU_CYCLE_1)
	s_and_not1_b32 exec_lo, exec_lo, s20
	s_cbranch_execz .LBB536_27
.LBB536_10:                             ; =>This Loop Header: Depth=1
                                        ;     Child Loop BB536_14 Depth 2
                                        ;     Child Loop BB536_23 Depth 2
	v_add_nc_u32_e32 v3, v13, v14
	s_mov_b32 s0, -1
                                        ; implicit-def: $sgpr21
	s_delay_alu instid0(VALU_DEP_1) | instskip(NEXT) | instid1(VALU_DEP_1)
	v_lshrrev_b32_e32 v3, 1, v3
	v_lshlrev_b64 v[7:8], 3, v[3:4]
	s_delay_alu instid0(VALU_DEP_1) | instskip(NEXT) | instid1(VALU_DEP_2)
	v_add_co_u32 v7, vcc_lo, s4, v7
	v_add_co_ci_u32_e32 v8, vcc_lo, s5, v8, vcc_lo
	s_and_not1_b32 vcc_lo, exec_lo, s16
	global_load_b64 v[7:8], v[7:8], off
	s_cbranch_vccnz .LBB536_19
; %bb.11:                               ;   in Loop: Header=BB536_10 Depth=1
	s_and_not1_b32 vcc_lo, exec_lo, s19
	s_cbranch_vccnz .LBB536_17
; %bb.12:                               ;   in Loop: Header=BB536_10 Depth=1
	s_waitcnt vmcnt(0)
	v_mad_u64_u32 v[9:10], null, s2, v7, s[10:11]
	v_mul_lo_u32 v11, s2, v8
	v_mul_lo_u32 v12, s3, v7
	s_mov_b32 s22, 0
	s_mov_b64 s[14:15], s[8:9]
                                        ; implicit-def: $sgpr21
                                        ; implicit-def: $sgpr23
                                        ; implicit-def: $sgpr24
                                        ; implicit-def: $sgpr25
                                        ; implicit-def: $sgpr26
	s_delay_alu instid0(VALU_DEP_1)
	v_add3_u32 v10, v12, v10, v11
	v_dual_mov_b32 v12, v6 :: v_dual_mov_b32 v11, v5
	s_set_inst_prefetch_distance 0x1
	s_branch .LBB536_14
	.p2align	6
.LBB536_13:                             ;   in Loop: Header=BB536_14 Depth=2
	s_or_b32 exec_lo, exec_lo, s0
	s_delay_alu instid0(SALU_CYCLE_1) | instskip(NEXT) | instid1(SALU_CYCLE_1)
	s_and_b32 s0, exec_lo, s23
	s_or_b32 s22, s0, s22
	s_and_not1_b32 s0, s26, exec_lo
	s_and_b32 s26, s24, exec_lo
	s_and_not1_b32 s21, s21, exec_lo
	s_and_b32 s27, s25, exec_lo
	s_or_b32 s26, s0, s26
	s_or_b32 s21, s21, s27
	s_and_not1_b32 exec_lo, exec_lo, s22
	s_cbranch_execz .LBB536_16
.LBB536_14:                             ;   Parent Loop BB536_10 Depth=1
                                        ; =>  This Inner Loop Header: Depth=2
	global_load_b64 v[15:16], v[11:12], off
	global_load_b64 v[17:18], v[9:10], off
	s_and_not1_b32 s25, s25, exec_lo
	s_and_not1_b32 s24, s24, exec_lo
	s_or_b32 s23, s23, exec_lo
	s_waitcnt vmcnt(0)
	v_cmp_le_i64_e32 vcc_lo, v[15:16], v[17:18]
	v_cmp_lt_i64_e64 s0, v[15:16], v[17:18]
	s_and_b32 s27, vcc_lo, s26
	s_delay_alu instid0(VALU_DEP_1) | instid1(SALU_CYCLE_1)
	s_or_b32 s27, s0, s27
	s_delay_alu instid0(SALU_CYCLE_1) | instskip(NEXT) | instid1(SALU_CYCLE_1)
	s_and_b32 s0, s27, exec_lo
	s_or_b32 s25, s25, s0
	s_mov_b32 s0, exec_lo
	v_cmpx_eq_u64_e64 v[15:16], v[17:18]
	s_cbranch_execz .LBB536_13
; %bb.15:                               ;   in Loop: Header=BB536_14 Depth=2
	s_add_u32 s14, s14, -1
	s_addc_u32 s15, s15, -1
	v_add_co_u32 v11, vcc_lo, v11, 8
	s_cmp_eq_u64 s[14:15], 0
	v_add_co_ci_u32_e32 v12, vcc_lo, 0, v12, vcc_lo
	s_cselect_b32 s26, -1, 0
	v_add_co_u32 v9, vcc_lo, v9, 8
	s_and_not1_b32 s24, s24, exec_lo
	s_and_b32 s27, s27, exec_lo
	s_and_not1_b32 s23, s23, exec_lo
	s_and_b32 s26, s26, exec_lo
	v_add_co_ci_u32_e32 v10, vcc_lo, 0, v10, vcc_lo
	s_and_not1_b32 s25, s25, exec_lo
	s_or_b32 s24, s24, s27
	s_or_b32 s23, s23, s26
                                        ; implicit-def: $sgpr26
	s_branch .LBB536_13
.LBB536_16:                             ;   in Loop: Header=BB536_10 Depth=1
	s_set_inst_prefetch_distance 0x2
	s_or_b32 exec_lo, exec_lo, s22
	s_branch .LBB536_18
.LBB536_17:                             ;   in Loop: Header=BB536_10 Depth=1
	s_mov_b32 s21, 0
.LBB536_18:                             ;   in Loop: Header=BB536_10 Depth=1
	s_delay_alu instid0(SALU_CYCLE_1)
	s_xor_b32 s21, s21, -1
	s_mov_b32 s0, 0
.LBB536_19:                             ;   in Loop: Header=BB536_10 Depth=1
	s_delay_alu instid0(SALU_CYCLE_1)
	s_and_b32 vcc_lo, exec_lo, s0
	s_cbranch_vccz .LBB536_9
; %bb.20:                               ;   in Loop: Header=BB536_10 Depth=1
	s_and_not1_b32 vcc_lo, exec_lo, s19
	s_cbranch_vccnz .LBB536_25
; %bb.21:                               ;   in Loop: Header=BB536_10 Depth=1
	s_waitcnt vmcnt(0)
	v_mad_u64_u32 v[9:10], null, s2, v7, s[10:11]
	v_mul_lo_u32 v8, s2, v8
	v_mul_lo_u32 v7, s3, v7
	s_mov_b32 s22, 0
	s_mov_b64 s[14:15], s[8:9]
                                        ; implicit-def: $sgpr21
                                        ; implicit-def: $sgpr23
                                        ; implicit-def: $sgpr24
                                        ; implicit-def: $sgpr25
                                        ; implicit-def: $sgpr26
	s_delay_alu instid0(VALU_DEP_1)
	v_add3_u32 v10, v7, v10, v8
	v_dual_mov_b32 v8, v6 :: v_dual_mov_b32 v7, v5
	s_set_inst_prefetch_distance 0x1
	s_branch .LBB536_23
	.p2align	6
.LBB536_22:                             ;   in Loop: Header=BB536_23 Depth=2
	s_or_b32 exec_lo, exec_lo, s0
	s_delay_alu instid0(SALU_CYCLE_1) | instskip(NEXT) | instid1(SALU_CYCLE_1)
	s_and_b32 s0, exec_lo, s23
	s_or_b32 s22, s0, s22
	s_and_not1_b32 s0, s26, exec_lo
	s_and_b32 s26, s24, exec_lo
	s_and_not1_b32 s21, s21, exec_lo
	s_and_b32 s27, s25, exec_lo
	s_or_b32 s26, s0, s26
	s_or_b32 s21, s21, s27
	s_and_not1_b32 exec_lo, exec_lo, s22
	s_cbranch_execz .LBB536_8
.LBB536_23:                             ;   Parent Loop BB536_10 Depth=1
                                        ; =>  This Inner Loop Header: Depth=2
	global_load_b64 v[11:12], v[9:10], off
	global_load_b64 v[15:16], v[7:8], off
	s_and_not1_b32 s25, s25, exec_lo
	s_and_not1_b32 s24, s24, exec_lo
	s_or_b32 s23, s23, exec_lo
	s_waitcnt vmcnt(0)
	v_cmp_le_i64_e32 vcc_lo, v[11:12], v[15:16]
	v_cmp_lt_i64_e64 s0, v[11:12], v[15:16]
	s_and_b32 s27, vcc_lo, s26
	s_delay_alu instid0(VALU_DEP_1) | instid1(SALU_CYCLE_1)
	s_or_b32 s27, s0, s27
	s_delay_alu instid0(SALU_CYCLE_1) | instskip(NEXT) | instid1(SALU_CYCLE_1)
	s_and_b32 s0, s27, exec_lo
	s_or_b32 s25, s25, s0
	s_mov_b32 s0, exec_lo
	v_cmpx_eq_u64_e64 v[11:12], v[15:16]
	s_cbranch_execz .LBB536_22
; %bb.24:                               ;   in Loop: Header=BB536_23 Depth=2
	s_add_u32 s14, s14, -1
	s_addc_u32 s15, s15, -1
	v_add_co_u32 v9, vcc_lo, v9, 8
	s_cmp_eq_u64 s[14:15], 0
	v_add_co_ci_u32_e32 v10, vcc_lo, 0, v10, vcc_lo
	s_cselect_b32 s26, -1, 0
	v_add_co_u32 v7, vcc_lo, v7, 8
	s_and_not1_b32 s24, s24, exec_lo
	s_and_b32 s27, s27, exec_lo
	s_and_not1_b32 s23, s23, exec_lo
	s_and_b32 s26, s26, exec_lo
	v_add_co_ci_u32_e32 v8, vcc_lo, 0, v8, vcc_lo
	s_and_not1_b32 s25, s25, exec_lo
	s_or_b32 s24, s24, s27
	s_or_b32 s23, s23, s26
                                        ; implicit-def: $sgpr26
	s_branch .LBB536_22
.LBB536_25:                             ;   in Loop: Header=BB536_10 Depth=1
	s_mov_b32 s21, 0
	s_branch .LBB536_9
.LBB536_26:
                                        ; implicit-def: $vgpr3
	s_cbranch_execnz .LBB536_30
	s_branch .LBB536_52
.LBB536_27:
	s_or_b32 exec_lo, exec_lo, s20
.LBB536_28:
	s_delay_alu instid0(VALU_DEP_1)
	v_add_nc_u32_e32 v3, v13, v0
	s_or_b32 s13, s13, exec_lo
.LBB536_29:
	s_or_b32 exec_lo, exec_lo, s18
	s_branch .LBB536_52
.LBB536_30:
	v_mov_b32_e32 v13, s1
	s_cmp_ge_u32 s17, s12
	s_cbranch_scc1 .LBB536_51
; %bb.31:
	s_waitcnt vmcnt(0) lgkmcnt(0)
	v_mul_lo_u32 v5, v2, s8
	v_mul_lo_u32 v6, v1, s9
	v_mad_u64_u32 v[3:4], null, v1, s8, 0
	v_dual_mov_b32 v14, s12 :: v_dual_mov_b32 v13, s1
	v_cmp_gt_i64_e64 s1, s[8:9], 0
	s_lshl_b64 s[2:3], s[8:9], 3
	s_mov_b32 s14, 0
	s_delay_alu instid0(VALU_DEP_3) | instskip(NEXT) | instid1(VALU_DEP_2)
	v_add3_u32 v4, v4, v6, v5
	v_cndmask_b32_e64 v15, 0, 1, s1
	s_delay_alu instid0(VALU_DEP_2) | instskip(SKIP_1) | instid1(VALU_DEP_2)
	v_lshlrev_b64 v[5:6], 3, v[3:4]
	v_mov_b32_e32 v4, 0
	v_add_co_u32 v5, vcc_lo, s10, v5
	s_delay_alu instid0(VALU_DEP_3)
	v_add_co_ci_u32_e32 v6, vcc_lo, s11, v6, vcc_lo
	s_branch .LBB536_34
.LBB536_32:                             ;   in Loop: Header=BB536_34 Depth=1
	s_set_inst_prefetch_distance 0x2
	s_or_b32 exec_lo, exec_lo, s17
.LBB536_33:                             ;   in Loop: Header=BB536_34 Depth=1
	s_waitcnt vmcnt(0)
	v_add_nc_u32_e32 v7, 1, v3
	v_cndmask_b32_e64 v14, v3, v14, s15
	s_delay_alu instid0(VALU_DEP_2) | instskip(NEXT) | instid1(VALU_DEP_1)
	v_cndmask_b32_e64 v13, v13, v7, s15
	v_cmp_ge_u32_e32 vcc_lo, v13, v14
	s_or_b32 s14, vcc_lo, s14
	s_delay_alu instid0(SALU_CYCLE_1)
	s_and_not1_b32 exec_lo, exec_lo, s14
	s_cbranch_execz .LBB536_50
.LBB536_34:                             ; =>This Loop Header: Depth=1
                                        ;     Child Loop BB536_38 Depth 2
                                        ;     Child Loop BB536_47 Depth 2
	v_add_nc_u32_e32 v3, v13, v14
	v_cmp_ne_u32_e64 s0, 1, v15
	s_mov_b32 s12, -1
                                        ; implicit-def: $sgpr15
	s_delay_alu instid0(VALU_DEP_2) | instskip(NEXT) | instid1(VALU_DEP_1)
	v_lshrrev_b32_e32 v3, 1, v3
	v_lshlrev_b64 v[7:8], 3, v[3:4]
	s_delay_alu instid0(VALU_DEP_1) | instskip(NEXT) | instid1(VALU_DEP_2)
	v_add_co_u32 v7, vcc_lo, s4, v7
	v_add_co_ci_u32_e32 v8, vcc_lo, s5, v8, vcc_lo
	s_and_not1_b32 vcc_lo, exec_lo, s16
	global_load_b64 v[7:8], v[7:8], off
	s_cbranch_vccnz .LBB536_43
; %bb.35:                               ;   in Loop: Header=BB536_34 Depth=1
	s_and_b32 vcc_lo, exec_lo, s0
	s_cbranch_vccnz .LBB536_41
; %bb.36:                               ;   in Loop: Header=BB536_34 Depth=1
	s_waitcnt vmcnt(0)
	v_mad_u64_u32 v[9:10], null, s2, v7, s[10:11]
	v_mul_lo_u32 v11, s2, v8
	v_mul_lo_u32 v12, s3, v7
	s_mov_b32 s17, 0
	s_mov_b64 s[12:13], s[8:9]
                                        ; implicit-def: $sgpr15
                                        ; implicit-def: $sgpr18
                                        ; implicit-def: $sgpr19
                                        ; implicit-def: $sgpr20
                                        ; implicit-def: $sgpr21
	s_delay_alu instid0(VALU_DEP_1)
	v_add3_u32 v10, v12, v10, v11
	v_dual_mov_b32 v12, v6 :: v_dual_mov_b32 v11, v5
	s_set_inst_prefetch_distance 0x1
	s_branch .LBB536_38
	.p2align	6
.LBB536_37:                             ;   in Loop: Header=BB536_38 Depth=2
	s_or_b32 exec_lo, exec_lo, s0
	s_delay_alu instid0(SALU_CYCLE_1) | instskip(NEXT) | instid1(SALU_CYCLE_1)
	s_and_b32 s0, exec_lo, s18
	s_or_b32 s17, s0, s17
	s_and_not1_b32 s0, s21, exec_lo
	s_and_b32 s21, s19, exec_lo
	s_and_not1_b32 s15, s15, exec_lo
	s_and_b32 s22, s20, exec_lo
	s_or_b32 s21, s0, s21
	s_or_b32 s15, s15, s22
	s_and_not1_b32 exec_lo, exec_lo, s17
	s_cbranch_execz .LBB536_40
.LBB536_38:                             ;   Parent Loop BB536_34 Depth=1
                                        ; =>  This Inner Loop Header: Depth=2
	global_load_b64 v[16:17], v[11:12], off
	global_load_b64 v[18:19], v[9:10], off
	s_and_not1_b32 s20, s20, exec_lo
	s_and_not1_b32 s19, s19, exec_lo
	s_or_b32 s18, s18, exec_lo
	s_waitcnt vmcnt(0)
	v_cmp_le_i64_e32 vcc_lo, v[16:17], v[18:19]
	v_cmp_lt_i64_e64 s0, v[16:17], v[18:19]
	s_and_b32 s22, vcc_lo, s21
	s_delay_alu instid0(VALU_DEP_1) | instid1(SALU_CYCLE_1)
	s_or_b32 s22, s0, s22
	s_delay_alu instid0(SALU_CYCLE_1) | instskip(NEXT) | instid1(SALU_CYCLE_1)
	s_and_b32 s0, s22, exec_lo
	s_or_b32 s20, s20, s0
	s_mov_b32 s0, exec_lo
	v_cmpx_eq_u64_e64 v[16:17], v[18:19]
	s_cbranch_execz .LBB536_37
; %bb.39:                               ;   in Loop: Header=BB536_38 Depth=2
	s_add_u32 s12, s12, -1
	s_addc_u32 s13, s13, -1
	v_add_co_u32 v11, vcc_lo, v11, 8
	s_cmp_eq_u64 s[12:13], 0
	v_add_co_ci_u32_e32 v12, vcc_lo, 0, v12, vcc_lo
	s_cselect_b32 s21, -1, 0
	v_add_co_u32 v9, vcc_lo, v9, 8
	s_and_not1_b32 s19, s19, exec_lo
	s_and_b32 s22, s22, exec_lo
	s_and_not1_b32 s18, s18, exec_lo
	s_and_b32 s21, s21, exec_lo
	v_add_co_ci_u32_e32 v10, vcc_lo, 0, v10, vcc_lo
	s_and_not1_b32 s20, s20, exec_lo
	s_or_b32 s19, s19, s22
	s_or_b32 s18, s18, s21
                                        ; implicit-def: $sgpr21
	s_branch .LBB536_37
.LBB536_40:                             ;   in Loop: Header=BB536_34 Depth=1
	s_set_inst_prefetch_distance 0x2
	s_or_b32 exec_lo, exec_lo, s17
	s_branch .LBB536_42
.LBB536_41:                             ;   in Loop: Header=BB536_34 Depth=1
	s_mov_b32 s15, 0
.LBB536_42:                             ;   in Loop: Header=BB536_34 Depth=1
	s_delay_alu instid0(SALU_CYCLE_1)
	s_xor_b32 s15, s15, -1
	s_mov_b32 s12, 0
.LBB536_43:                             ;   in Loop: Header=BB536_34 Depth=1
	s_delay_alu instid0(SALU_CYCLE_1)
	s_and_b32 vcc_lo, exec_lo, s12
	s_cbranch_vccz .LBB536_33
; %bb.44:                               ;   in Loop: Header=BB536_34 Depth=1
	s_and_not1_b32 vcc_lo, exec_lo, s1
	s_cbranch_vccnz .LBB536_49
; %bb.45:                               ;   in Loop: Header=BB536_34 Depth=1
	s_waitcnt vmcnt(0)
	v_mad_u64_u32 v[9:10], null, s2, v7, s[10:11]
	v_mul_lo_u32 v8, s2, v8
	v_mul_lo_u32 v7, s3, v7
	s_mov_b32 s17, 0
	s_mov_b64 s[12:13], s[8:9]
                                        ; implicit-def: $sgpr15
                                        ; implicit-def: $sgpr18
                                        ; implicit-def: $sgpr19
                                        ; implicit-def: $sgpr20
                                        ; implicit-def: $sgpr21
	s_delay_alu instid0(VALU_DEP_1)
	v_add3_u32 v10, v7, v10, v8
	v_dual_mov_b32 v8, v6 :: v_dual_mov_b32 v7, v5
	s_set_inst_prefetch_distance 0x1
	s_branch .LBB536_47
	.p2align	6
.LBB536_46:                             ;   in Loop: Header=BB536_47 Depth=2
	s_or_b32 exec_lo, exec_lo, s0
	s_delay_alu instid0(SALU_CYCLE_1) | instskip(NEXT) | instid1(SALU_CYCLE_1)
	s_and_b32 s0, exec_lo, s18
	s_or_b32 s17, s0, s17
	s_and_not1_b32 s0, s21, exec_lo
	s_and_b32 s21, s19, exec_lo
	s_and_not1_b32 s15, s15, exec_lo
	s_and_b32 s22, s20, exec_lo
	s_or_b32 s21, s0, s21
	s_or_b32 s15, s15, s22
	s_and_not1_b32 exec_lo, exec_lo, s17
	s_cbranch_execz .LBB536_32
.LBB536_47:                             ;   Parent Loop BB536_34 Depth=1
                                        ; =>  This Inner Loop Header: Depth=2
	global_load_b64 v[11:12], v[9:10], off
	global_load_b64 v[16:17], v[7:8], off
	s_and_not1_b32 s20, s20, exec_lo
	s_and_not1_b32 s19, s19, exec_lo
	s_or_b32 s18, s18, exec_lo
	s_waitcnt vmcnt(0)
	v_cmp_le_i64_e32 vcc_lo, v[11:12], v[16:17]
	v_cmp_lt_i64_e64 s0, v[11:12], v[16:17]
	s_and_b32 s22, vcc_lo, s21
	s_delay_alu instid0(VALU_DEP_1) | instid1(SALU_CYCLE_1)
	s_or_b32 s22, s0, s22
	s_delay_alu instid0(SALU_CYCLE_1) | instskip(NEXT) | instid1(SALU_CYCLE_1)
	s_and_b32 s0, s22, exec_lo
	s_or_b32 s20, s20, s0
	s_mov_b32 s0, exec_lo
	v_cmpx_eq_u64_e64 v[11:12], v[16:17]
	s_cbranch_execz .LBB536_46
; %bb.48:                               ;   in Loop: Header=BB536_47 Depth=2
	s_add_u32 s12, s12, -1
	s_addc_u32 s13, s13, -1
	v_add_co_u32 v9, vcc_lo, v9, 8
	s_cmp_eq_u64 s[12:13], 0
	v_add_co_ci_u32_e32 v10, vcc_lo, 0, v10, vcc_lo
	s_cselect_b32 s21, -1, 0
	v_add_co_u32 v7, vcc_lo, v7, 8
	s_and_not1_b32 s19, s19, exec_lo
	s_and_b32 s22, s22, exec_lo
	s_and_not1_b32 s18, s18, exec_lo
	s_and_b32 s21, s21, exec_lo
	v_add_co_ci_u32_e32 v8, vcc_lo, 0, v8, vcc_lo
	s_and_not1_b32 s20, s20, exec_lo
	s_or_b32 s19, s19, s22
	s_or_b32 s18, s18, s21
                                        ; implicit-def: $sgpr21
	s_branch .LBB536_46
.LBB536_49:                             ;   in Loop: Header=BB536_34 Depth=1
	s_mov_b32 s15, 0
	s_branch .LBB536_33
.LBB536_50:
	s_or_b32 exec_lo, exec_lo, s14
.LBB536_51:
	s_delay_alu instid0(VALU_DEP_1)
	v_add_nc_u32_e32 v3, v13, v0
	s_mov_b32 s13, -1
.LBB536_52:
	s_delay_alu instid0(SALU_CYCLE_1)
	s_and_b32 exec_lo, exec_lo, s13
	s_cbranch_execz .LBB536_54
; %bb.53:
	v_mov_b32_e32 v4, 0
	s_delay_alu instid0(VALU_DEP_1) | instskip(NEXT) | instid1(VALU_DEP_1)
	v_lshlrev_b64 v[3:4], 3, v[3:4]
	v_add_co_u32 v3, vcc_lo, s6, v3
	s_delay_alu instid0(VALU_DEP_2)
	v_add_co_ci_u32_e32 v4, vcc_lo, s7, v4, vcc_lo
	s_waitcnt vmcnt(0)
	global_store_b64 v[3:4], v[1:2], off
.LBB536_54:
	s_nop 0
	s_sendmsg sendmsg(MSG_DEALLOC_VGPRS)
	s_endpgm
	.section	.rodata,"a",@progbits
	.p2align	6, 0x0
	.amdhsa_kernel _ZN7rocprim17ROCPRIM_400000_NS6detail17trampoline_kernelINS0_14default_configENS1_38merge_sort_block_merge_config_selectorIlNS0_10empty_typeEEEZZNS1_27merge_sort_block_merge_implIS3_PlPS5_mZN2at6native12_GLOBAL__N_124unique_dim_cuda_templateIlEESt5tupleIJNSA_6TensorESF_SF_EERKSF_lbbbEUlllE_EE10hipError_tT0_T1_T2_jT3_P12ihipStream_tbPNSt15iterator_traitsISL_E10value_typeEPNSR_ISM_E10value_typeEPSN_NS1_7vsmem_tEENKUlT_SL_SM_SN_E_clIS8_S8_S9_S9_EESK_S10_SL_SM_SN_EUlS10_E1_NS1_11comp_targetILNS1_3genE9ELNS1_11target_archE1100ELNS1_3gpuE3ELNS1_3repE0EEENS1_36merge_oddeven_config_static_selectorELNS0_4arch9wavefront6targetE0EEEvSM_
		.amdhsa_group_segment_fixed_size 0
		.amdhsa_private_segment_fixed_size 0
		.amdhsa_kernarg_size 64
		.amdhsa_user_sgpr_count 15
		.amdhsa_user_sgpr_dispatch_ptr 0
		.amdhsa_user_sgpr_queue_ptr 0
		.amdhsa_user_sgpr_kernarg_segment_ptr 1
		.amdhsa_user_sgpr_dispatch_id 0
		.amdhsa_user_sgpr_private_segment_size 0
		.amdhsa_wavefront_size32 1
		.amdhsa_uses_dynamic_stack 0
		.amdhsa_enable_private_segment 0
		.amdhsa_system_sgpr_workgroup_id_x 1
		.amdhsa_system_sgpr_workgroup_id_y 0
		.amdhsa_system_sgpr_workgroup_id_z 0
		.amdhsa_system_sgpr_workgroup_info 0
		.amdhsa_system_vgpr_workitem_id 0
		.amdhsa_next_free_vgpr 20
		.amdhsa_next_free_sgpr 28
		.amdhsa_reserve_vcc 1
		.amdhsa_float_round_mode_32 0
		.amdhsa_float_round_mode_16_64 0
		.amdhsa_float_denorm_mode_32 3
		.amdhsa_float_denorm_mode_16_64 3
		.amdhsa_dx10_clamp 1
		.amdhsa_ieee_mode 1
		.amdhsa_fp16_overflow 0
		.amdhsa_workgroup_processor_mode 1
		.amdhsa_memory_ordered 1
		.amdhsa_forward_progress 0
		.amdhsa_shared_vgpr_count 0
		.amdhsa_exception_fp_ieee_invalid_op 0
		.amdhsa_exception_fp_denorm_src 0
		.amdhsa_exception_fp_ieee_div_zero 0
		.amdhsa_exception_fp_ieee_overflow 0
		.amdhsa_exception_fp_ieee_underflow 0
		.amdhsa_exception_fp_ieee_inexact 0
		.amdhsa_exception_int_div_zero 0
	.end_amdhsa_kernel
	.section	.text._ZN7rocprim17ROCPRIM_400000_NS6detail17trampoline_kernelINS0_14default_configENS1_38merge_sort_block_merge_config_selectorIlNS0_10empty_typeEEEZZNS1_27merge_sort_block_merge_implIS3_PlPS5_mZN2at6native12_GLOBAL__N_124unique_dim_cuda_templateIlEESt5tupleIJNSA_6TensorESF_SF_EERKSF_lbbbEUlllE_EE10hipError_tT0_T1_T2_jT3_P12ihipStream_tbPNSt15iterator_traitsISL_E10value_typeEPNSR_ISM_E10value_typeEPSN_NS1_7vsmem_tEENKUlT_SL_SM_SN_E_clIS8_S8_S9_S9_EESK_S10_SL_SM_SN_EUlS10_E1_NS1_11comp_targetILNS1_3genE9ELNS1_11target_archE1100ELNS1_3gpuE3ELNS1_3repE0EEENS1_36merge_oddeven_config_static_selectorELNS0_4arch9wavefront6targetE0EEEvSM_,"axG",@progbits,_ZN7rocprim17ROCPRIM_400000_NS6detail17trampoline_kernelINS0_14default_configENS1_38merge_sort_block_merge_config_selectorIlNS0_10empty_typeEEEZZNS1_27merge_sort_block_merge_implIS3_PlPS5_mZN2at6native12_GLOBAL__N_124unique_dim_cuda_templateIlEESt5tupleIJNSA_6TensorESF_SF_EERKSF_lbbbEUlllE_EE10hipError_tT0_T1_T2_jT3_P12ihipStream_tbPNSt15iterator_traitsISL_E10value_typeEPNSR_ISM_E10value_typeEPSN_NS1_7vsmem_tEENKUlT_SL_SM_SN_E_clIS8_S8_S9_S9_EESK_S10_SL_SM_SN_EUlS10_E1_NS1_11comp_targetILNS1_3genE9ELNS1_11target_archE1100ELNS1_3gpuE3ELNS1_3repE0EEENS1_36merge_oddeven_config_static_selectorELNS0_4arch9wavefront6targetE0EEEvSM_,comdat
.Lfunc_end536:
	.size	_ZN7rocprim17ROCPRIM_400000_NS6detail17trampoline_kernelINS0_14default_configENS1_38merge_sort_block_merge_config_selectorIlNS0_10empty_typeEEEZZNS1_27merge_sort_block_merge_implIS3_PlPS5_mZN2at6native12_GLOBAL__N_124unique_dim_cuda_templateIlEESt5tupleIJNSA_6TensorESF_SF_EERKSF_lbbbEUlllE_EE10hipError_tT0_T1_T2_jT3_P12ihipStream_tbPNSt15iterator_traitsISL_E10value_typeEPNSR_ISM_E10value_typeEPSN_NS1_7vsmem_tEENKUlT_SL_SM_SN_E_clIS8_S8_S9_S9_EESK_S10_SL_SM_SN_EUlS10_E1_NS1_11comp_targetILNS1_3genE9ELNS1_11target_archE1100ELNS1_3gpuE3ELNS1_3repE0EEENS1_36merge_oddeven_config_static_selectorELNS0_4arch9wavefront6targetE0EEEvSM_, .Lfunc_end536-_ZN7rocprim17ROCPRIM_400000_NS6detail17trampoline_kernelINS0_14default_configENS1_38merge_sort_block_merge_config_selectorIlNS0_10empty_typeEEEZZNS1_27merge_sort_block_merge_implIS3_PlPS5_mZN2at6native12_GLOBAL__N_124unique_dim_cuda_templateIlEESt5tupleIJNSA_6TensorESF_SF_EERKSF_lbbbEUlllE_EE10hipError_tT0_T1_T2_jT3_P12ihipStream_tbPNSt15iterator_traitsISL_E10value_typeEPNSR_ISM_E10value_typeEPSN_NS1_7vsmem_tEENKUlT_SL_SM_SN_E_clIS8_S8_S9_S9_EESK_S10_SL_SM_SN_EUlS10_E1_NS1_11comp_targetILNS1_3genE9ELNS1_11target_archE1100ELNS1_3gpuE3ELNS1_3repE0EEENS1_36merge_oddeven_config_static_selectorELNS0_4arch9wavefront6targetE0EEEvSM_
                                        ; -- End function
	.section	.AMDGPU.csdata,"",@progbits
; Kernel info:
; codeLenInByte = 2052
; NumSgprs: 30
; NumVgprs: 20
; ScratchSize: 0
; MemoryBound: 0
; FloatMode: 240
; IeeeMode: 1
; LDSByteSize: 0 bytes/workgroup (compile time only)
; SGPRBlocks: 3
; VGPRBlocks: 2
; NumSGPRsForWavesPerEU: 30
; NumVGPRsForWavesPerEU: 20
; Occupancy: 16
; WaveLimiterHint : 0
; COMPUTE_PGM_RSRC2:SCRATCH_EN: 0
; COMPUTE_PGM_RSRC2:USER_SGPR: 15
; COMPUTE_PGM_RSRC2:TRAP_HANDLER: 0
; COMPUTE_PGM_RSRC2:TGID_X_EN: 1
; COMPUTE_PGM_RSRC2:TGID_Y_EN: 0
; COMPUTE_PGM_RSRC2:TGID_Z_EN: 0
; COMPUTE_PGM_RSRC2:TIDIG_COMP_CNT: 0
	.section	.text._ZN7rocprim17ROCPRIM_400000_NS6detail17trampoline_kernelINS0_14default_configENS1_38merge_sort_block_merge_config_selectorIlNS0_10empty_typeEEEZZNS1_27merge_sort_block_merge_implIS3_PlPS5_mZN2at6native12_GLOBAL__N_124unique_dim_cuda_templateIlEESt5tupleIJNSA_6TensorESF_SF_EERKSF_lbbbEUlllE_EE10hipError_tT0_T1_T2_jT3_P12ihipStream_tbPNSt15iterator_traitsISL_E10value_typeEPNSR_ISM_E10value_typeEPSN_NS1_7vsmem_tEENKUlT_SL_SM_SN_E_clIS8_S8_S9_S9_EESK_S10_SL_SM_SN_EUlS10_E1_NS1_11comp_targetILNS1_3genE8ELNS1_11target_archE1030ELNS1_3gpuE2ELNS1_3repE0EEENS1_36merge_oddeven_config_static_selectorELNS0_4arch9wavefront6targetE0EEEvSM_,"axG",@progbits,_ZN7rocprim17ROCPRIM_400000_NS6detail17trampoline_kernelINS0_14default_configENS1_38merge_sort_block_merge_config_selectorIlNS0_10empty_typeEEEZZNS1_27merge_sort_block_merge_implIS3_PlPS5_mZN2at6native12_GLOBAL__N_124unique_dim_cuda_templateIlEESt5tupleIJNSA_6TensorESF_SF_EERKSF_lbbbEUlllE_EE10hipError_tT0_T1_T2_jT3_P12ihipStream_tbPNSt15iterator_traitsISL_E10value_typeEPNSR_ISM_E10value_typeEPSN_NS1_7vsmem_tEENKUlT_SL_SM_SN_E_clIS8_S8_S9_S9_EESK_S10_SL_SM_SN_EUlS10_E1_NS1_11comp_targetILNS1_3genE8ELNS1_11target_archE1030ELNS1_3gpuE2ELNS1_3repE0EEENS1_36merge_oddeven_config_static_selectorELNS0_4arch9wavefront6targetE0EEEvSM_,comdat
	.globl	_ZN7rocprim17ROCPRIM_400000_NS6detail17trampoline_kernelINS0_14default_configENS1_38merge_sort_block_merge_config_selectorIlNS0_10empty_typeEEEZZNS1_27merge_sort_block_merge_implIS3_PlPS5_mZN2at6native12_GLOBAL__N_124unique_dim_cuda_templateIlEESt5tupleIJNSA_6TensorESF_SF_EERKSF_lbbbEUlllE_EE10hipError_tT0_T1_T2_jT3_P12ihipStream_tbPNSt15iterator_traitsISL_E10value_typeEPNSR_ISM_E10value_typeEPSN_NS1_7vsmem_tEENKUlT_SL_SM_SN_E_clIS8_S8_S9_S9_EESK_S10_SL_SM_SN_EUlS10_E1_NS1_11comp_targetILNS1_3genE8ELNS1_11target_archE1030ELNS1_3gpuE2ELNS1_3repE0EEENS1_36merge_oddeven_config_static_selectorELNS0_4arch9wavefront6targetE0EEEvSM_ ; -- Begin function _ZN7rocprim17ROCPRIM_400000_NS6detail17trampoline_kernelINS0_14default_configENS1_38merge_sort_block_merge_config_selectorIlNS0_10empty_typeEEEZZNS1_27merge_sort_block_merge_implIS3_PlPS5_mZN2at6native12_GLOBAL__N_124unique_dim_cuda_templateIlEESt5tupleIJNSA_6TensorESF_SF_EERKSF_lbbbEUlllE_EE10hipError_tT0_T1_T2_jT3_P12ihipStream_tbPNSt15iterator_traitsISL_E10value_typeEPNSR_ISM_E10value_typeEPSN_NS1_7vsmem_tEENKUlT_SL_SM_SN_E_clIS8_S8_S9_S9_EESK_S10_SL_SM_SN_EUlS10_E1_NS1_11comp_targetILNS1_3genE8ELNS1_11target_archE1030ELNS1_3gpuE2ELNS1_3repE0EEENS1_36merge_oddeven_config_static_selectorELNS0_4arch9wavefront6targetE0EEEvSM_
	.p2align	8
	.type	_ZN7rocprim17ROCPRIM_400000_NS6detail17trampoline_kernelINS0_14default_configENS1_38merge_sort_block_merge_config_selectorIlNS0_10empty_typeEEEZZNS1_27merge_sort_block_merge_implIS3_PlPS5_mZN2at6native12_GLOBAL__N_124unique_dim_cuda_templateIlEESt5tupleIJNSA_6TensorESF_SF_EERKSF_lbbbEUlllE_EE10hipError_tT0_T1_T2_jT3_P12ihipStream_tbPNSt15iterator_traitsISL_E10value_typeEPNSR_ISM_E10value_typeEPSN_NS1_7vsmem_tEENKUlT_SL_SM_SN_E_clIS8_S8_S9_S9_EESK_S10_SL_SM_SN_EUlS10_E1_NS1_11comp_targetILNS1_3genE8ELNS1_11target_archE1030ELNS1_3gpuE2ELNS1_3repE0EEENS1_36merge_oddeven_config_static_selectorELNS0_4arch9wavefront6targetE0EEEvSM_,@function
_ZN7rocprim17ROCPRIM_400000_NS6detail17trampoline_kernelINS0_14default_configENS1_38merge_sort_block_merge_config_selectorIlNS0_10empty_typeEEEZZNS1_27merge_sort_block_merge_implIS3_PlPS5_mZN2at6native12_GLOBAL__N_124unique_dim_cuda_templateIlEESt5tupleIJNSA_6TensorESF_SF_EERKSF_lbbbEUlllE_EE10hipError_tT0_T1_T2_jT3_P12ihipStream_tbPNSt15iterator_traitsISL_E10value_typeEPNSR_ISM_E10value_typeEPSN_NS1_7vsmem_tEENKUlT_SL_SM_SN_E_clIS8_S8_S9_S9_EESK_S10_SL_SM_SN_EUlS10_E1_NS1_11comp_targetILNS1_3genE8ELNS1_11target_archE1030ELNS1_3gpuE2ELNS1_3repE0EEENS1_36merge_oddeven_config_static_selectorELNS0_4arch9wavefront6targetE0EEEvSM_: ; @_ZN7rocprim17ROCPRIM_400000_NS6detail17trampoline_kernelINS0_14default_configENS1_38merge_sort_block_merge_config_selectorIlNS0_10empty_typeEEEZZNS1_27merge_sort_block_merge_implIS3_PlPS5_mZN2at6native12_GLOBAL__N_124unique_dim_cuda_templateIlEESt5tupleIJNSA_6TensorESF_SF_EERKSF_lbbbEUlllE_EE10hipError_tT0_T1_T2_jT3_P12ihipStream_tbPNSt15iterator_traitsISL_E10value_typeEPNSR_ISM_E10value_typeEPSN_NS1_7vsmem_tEENKUlT_SL_SM_SN_E_clIS8_S8_S9_S9_EESK_S10_SL_SM_SN_EUlS10_E1_NS1_11comp_targetILNS1_3genE8ELNS1_11target_archE1030ELNS1_3gpuE2ELNS1_3repE0EEENS1_36merge_oddeven_config_static_selectorELNS0_4arch9wavefront6targetE0EEEvSM_
; %bb.0:
	.section	.rodata,"a",@progbits
	.p2align	6, 0x0
	.amdhsa_kernel _ZN7rocprim17ROCPRIM_400000_NS6detail17trampoline_kernelINS0_14default_configENS1_38merge_sort_block_merge_config_selectorIlNS0_10empty_typeEEEZZNS1_27merge_sort_block_merge_implIS3_PlPS5_mZN2at6native12_GLOBAL__N_124unique_dim_cuda_templateIlEESt5tupleIJNSA_6TensorESF_SF_EERKSF_lbbbEUlllE_EE10hipError_tT0_T1_T2_jT3_P12ihipStream_tbPNSt15iterator_traitsISL_E10value_typeEPNSR_ISM_E10value_typeEPSN_NS1_7vsmem_tEENKUlT_SL_SM_SN_E_clIS8_S8_S9_S9_EESK_S10_SL_SM_SN_EUlS10_E1_NS1_11comp_targetILNS1_3genE8ELNS1_11target_archE1030ELNS1_3gpuE2ELNS1_3repE0EEENS1_36merge_oddeven_config_static_selectorELNS0_4arch9wavefront6targetE0EEEvSM_
		.amdhsa_group_segment_fixed_size 0
		.amdhsa_private_segment_fixed_size 0
		.amdhsa_kernarg_size 64
		.amdhsa_user_sgpr_count 15
		.amdhsa_user_sgpr_dispatch_ptr 0
		.amdhsa_user_sgpr_queue_ptr 0
		.amdhsa_user_sgpr_kernarg_segment_ptr 1
		.amdhsa_user_sgpr_dispatch_id 0
		.amdhsa_user_sgpr_private_segment_size 0
		.amdhsa_wavefront_size32 1
		.amdhsa_uses_dynamic_stack 0
		.amdhsa_enable_private_segment 0
		.amdhsa_system_sgpr_workgroup_id_x 1
		.amdhsa_system_sgpr_workgroup_id_y 0
		.amdhsa_system_sgpr_workgroup_id_z 0
		.amdhsa_system_sgpr_workgroup_info 0
		.amdhsa_system_vgpr_workitem_id 0
		.amdhsa_next_free_vgpr 1
		.amdhsa_next_free_sgpr 1
		.amdhsa_reserve_vcc 0
		.amdhsa_float_round_mode_32 0
		.amdhsa_float_round_mode_16_64 0
		.amdhsa_float_denorm_mode_32 3
		.amdhsa_float_denorm_mode_16_64 3
		.amdhsa_dx10_clamp 1
		.amdhsa_ieee_mode 1
		.amdhsa_fp16_overflow 0
		.amdhsa_workgroup_processor_mode 1
		.amdhsa_memory_ordered 1
		.amdhsa_forward_progress 0
		.amdhsa_shared_vgpr_count 0
		.amdhsa_exception_fp_ieee_invalid_op 0
		.amdhsa_exception_fp_denorm_src 0
		.amdhsa_exception_fp_ieee_div_zero 0
		.amdhsa_exception_fp_ieee_overflow 0
		.amdhsa_exception_fp_ieee_underflow 0
		.amdhsa_exception_fp_ieee_inexact 0
		.amdhsa_exception_int_div_zero 0
	.end_amdhsa_kernel
	.section	.text._ZN7rocprim17ROCPRIM_400000_NS6detail17trampoline_kernelINS0_14default_configENS1_38merge_sort_block_merge_config_selectorIlNS0_10empty_typeEEEZZNS1_27merge_sort_block_merge_implIS3_PlPS5_mZN2at6native12_GLOBAL__N_124unique_dim_cuda_templateIlEESt5tupleIJNSA_6TensorESF_SF_EERKSF_lbbbEUlllE_EE10hipError_tT0_T1_T2_jT3_P12ihipStream_tbPNSt15iterator_traitsISL_E10value_typeEPNSR_ISM_E10value_typeEPSN_NS1_7vsmem_tEENKUlT_SL_SM_SN_E_clIS8_S8_S9_S9_EESK_S10_SL_SM_SN_EUlS10_E1_NS1_11comp_targetILNS1_3genE8ELNS1_11target_archE1030ELNS1_3gpuE2ELNS1_3repE0EEENS1_36merge_oddeven_config_static_selectorELNS0_4arch9wavefront6targetE0EEEvSM_,"axG",@progbits,_ZN7rocprim17ROCPRIM_400000_NS6detail17trampoline_kernelINS0_14default_configENS1_38merge_sort_block_merge_config_selectorIlNS0_10empty_typeEEEZZNS1_27merge_sort_block_merge_implIS3_PlPS5_mZN2at6native12_GLOBAL__N_124unique_dim_cuda_templateIlEESt5tupleIJNSA_6TensorESF_SF_EERKSF_lbbbEUlllE_EE10hipError_tT0_T1_T2_jT3_P12ihipStream_tbPNSt15iterator_traitsISL_E10value_typeEPNSR_ISM_E10value_typeEPSN_NS1_7vsmem_tEENKUlT_SL_SM_SN_E_clIS8_S8_S9_S9_EESK_S10_SL_SM_SN_EUlS10_E1_NS1_11comp_targetILNS1_3genE8ELNS1_11target_archE1030ELNS1_3gpuE2ELNS1_3repE0EEENS1_36merge_oddeven_config_static_selectorELNS0_4arch9wavefront6targetE0EEEvSM_,comdat
.Lfunc_end537:
	.size	_ZN7rocprim17ROCPRIM_400000_NS6detail17trampoline_kernelINS0_14default_configENS1_38merge_sort_block_merge_config_selectorIlNS0_10empty_typeEEEZZNS1_27merge_sort_block_merge_implIS3_PlPS5_mZN2at6native12_GLOBAL__N_124unique_dim_cuda_templateIlEESt5tupleIJNSA_6TensorESF_SF_EERKSF_lbbbEUlllE_EE10hipError_tT0_T1_T2_jT3_P12ihipStream_tbPNSt15iterator_traitsISL_E10value_typeEPNSR_ISM_E10value_typeEPSN_NS1_7vsmem_tEENKUlT_SL_SM_SN_E_clIS8_S8_S9_S9_EESK_S10_SL_SM_SN_EUlS10_E1_NS1_11comp_targetILNS1_3genE8ELNS1_11target_archE1030ELNS1_3gpuE2ELNS1_3repE0EEENS1_36merge_oddeven_config_static_selectorELNS0_4arch9wavefront6targetE0EEEvSM_, .Lfunc_end537-_ZN7rocprim17ROCPRIM_400000_NS6detail17trampoline_kernelINS0_14default_configENS1_38merge_sort_block_merge_config_selectorIlNS0_10empty_typeEEEZZNS1_27merge_sort_block_merge_implIS3_PlPS5_mZN2at6native12_GLOBAL__N_124unique_dim_cuda_templateIlEESt5tupleIJNSA_6TensorESF_SF_EERKSF_lbbbEUlllE_EE10hipError_tT0_T1_T2_jT3_P12ihipStream_tbPNSt15iterator_traitsISL_E10value_typeEPNSR_ISM_E10value_typeEPSN_NS1_7vsmem_tEENKUlT_SL_SM_SN_E_clIS8_S8_S9_S9_EESK_S10_SL_SM_SN_EUlS10_E1_NS1_11comp_targetILNS1_3genE8ELNS1_11target_archE1030ELNS1_3gpuE2ELNS1_3repE0EEENS1_36merge_oddeven_config_static_selectorELNS0_4arch9wavefront6targetE0EEEvSM_
                                        ; -- End function
	.section	.AMDGPU.csdata,"",@progbits
; Kernel info:
; codeLenInByte = 0
; NumSgprs: 0
; NumVgprs: 0
; ScratchSize: 0
; MemoryBound: 0
; FloatMode: 240
; IeeeMode: 1
; LDSByteSize: 0 bytes/workgroup (compile time only)
; SGPRBlocks: 0
; VGPRBlocks: 0
; NumSGPRsForWavesPerEU: 1
; NumVGPRsForWavesPerEU: 1
; Occupancy: 16
; WaveLimiterHint : 0
; COMPUTE_PGM_RSRC2:SCRATCH_EN: 0
; COMPUTE_PGM_RSRC2:USER_SGPR: 15
; COMPUTE_PGM_RSRC2:TRAP_HANDLER: 0
; COMPUTE_PGM_RSRC2:TGID_X_EN: 1
; COMPUTE_PGM_RSRC2:TGID_Y_EN: 0
; COMPUTE_PGM_RSRC2:TGID_Z_EN: 0
; COMPUTE_PGM_RSRC2:TIDIG_COMP_CNT: 0
	.section	.text._ZN7rocprim17ROCPRIM_400000_NS6detail17trampoline_kernelINS0_14default_configENS1_35adjacent_difference_config_selectorILb0ElEEZNS1_24adjacent_difference_implIS3_Lb0ELb0EPlS7_ZN2at6native12_GLOBAL__N_124unique_dim_cuda_templateIlEESt5tupleIJNS8_6TensorESD_SD_EERKSD_lbbbEUlllE1_EE10hipError_tPvRmT2_T3_mT4_P12ihipStream_tbEUlT_E_NS1_11comp_targetILNS1_3genE0ELNS1_11target_archE4294967295ELNS1_3gpuE0ELNS1_3repE0EEENS1_30default_config_static_selectorELNS0_4arch9wavefront6targetE0EEEvT1_,"axG",@progbits,_ZN7rocprim17ROCPRIM_400000_NS6detail17trampoline_kernelINS0_14default_configENS1_35adjacent_difference_config_selectorILb0ElEEZNS1_24adjacent_difference_implIS3_Lb0ELb0EPlS7_ZN2at6native12_GLOBAL__N_124unique_dim_cuda_templateIlEESt5tupleIJNS8_6TensorESD_SD_EERKSD_lbbbEUlllE1_EE10hipError_tPvRmT2_T3_mT4_P12ihipStream_tbEUlT_E_NS1_11comp_targetILNS1_3genE0ELNS1_11target_archE4294967295ELNS1_3gpuE0ELNS1_3repE0EEENS1_30default_config_static_selectorELNS0_4arch9wavefront6targetE0EEEvT1_,comdat
	.globl	_ZN7rocprim17ROCPRIM_400000_NS6detail17trampoline_kernelINS0_14default_configENS1_35adjacent_difference_config_selectorILb0ElEEZNS1_24adjacent_difference_implIS3_Lb0ELb0EPlS7_ZN2at6native12_GLOBAL__N_124unique_dim_cuda_templateIlEESt5tupleIJNS8_6TensorESD_SD_EERKSD_lbbbEUlllE1_EE10hipError_tPvRmT2_T3_mT4_P12ihipStream_tbEUlT_E_NS1_11comp_targetILNS1_3genE0ELNS1_11target_archE4294967295ELNS1_3gpuE0ELNS1_3repE0EEENS1_30default_config_static_selectorELNS0_4arch9wavefront6targetE0EEEvT1_ ; -- Begin function _ZN7rocprim17ROCPRIM_400000_NS6detail17trampoline_kernelINS0_14default_configENS1_35adjacent_difference_config_selectorILb0ElEEZNS1_24adjacent_difference_implIS3_Lb0ELb0EPlS7_ZN2at6native12_GLOBAL__N_124unique_dim_cuda_templateIlEESt5tupleIJNS8_6TensorESD_SD_EERKSD_lbbbEUlllE1_EE10hipError_tPvRmT2_T3_mT4_P12ihipStream_tbEUlT_E_NS1_11comp_targetILNS1_3genE0ELNS1_11target_archE4294967295ELNS1_3gpuE0ELNS1_3repE0EEENS1_30default_config_static_selectorELNS0_4arch9wavefront6targetE0EEEvT1_
	.p2align	8
	.type	_ZN7rocprim17ROCPRIM_400000_NS6detail17trampoline_kernelINS0_14default_configENS1_35adjacent_difference_config_selectorILb0ElEEZNS1_24adjacent_difference_implIS3_Lb0ELb0EPlS7_ZN2at6native12_GLOBAL__N_124unique_dim_cuda_templateIlEESt5tupleIJNS8_6TensorESD_SD_EERKSD_lbbbEUlllE1_EE10hipError_tPvRmT2_T3_mT4_P12ihipStream_tbEUlT_E_NS1_11comp_targetILNS1_3genE0ELNS1_11target_archE4294967295ELNS1_3gpuE0ELNS1_3repE0EEENS1_30default_config_static_selectorELNS0_4arch9wavefront6targetE0EEEvT1_,@function
_ZN7rocprim17ROCPRIM_400000_NS6detail17trampoline_kernelINS0_14default_configENS1_35adjacent_difference_config_selectorILb0ElEEZNS1_24adjacent_difference_implIS3_Lb0ELb0EPlS7_ZN2at6native12_GLOBAL__N_124unique_dim_cuda_templateIlEESt5tupleIJNS8_6TensorESD_SD_EERKSD_lbbbEUlllE1_EE10hipError_tPvRmT2_T3_mT4_P12ihipStream_tbEUlT_E_NS1_11comp_targetILNS1_3genE0ELNS1_11target_archE4294967295ELNS1_3gpuE0ELNS1_3repE0EEENS1_30default_config_static_selectorELNS0_4arch9wavefront6targetE0EEEvT1_: ; @_ZN7rocprim17ROCPRIM_400000_NS6detail17trampoline_kernelINS0_14default_configENS1_35adjacent_difference_config_selectorILb0ElEEZNS1_24adjacent_difference_implIS3_Lb0ELb0EPlS7_ZN2at6native12_GLOBAL__N_124unique_dim_cuda_templateIlEESt5tupleIJNS8_6TensorESD_SD_EERKSD_lbbbEUlllE1_EE10hipError_tPvRmT2_T3_mT4_P12ihipStream_tbEUlT_E_NS1_11comp_targetILNS1_3genE0ELNS1_11target_archE4294967295ELNS1_3gpuE0ELNS1_3repE0EEENS1_30default_config_static_selectorELNS0_4arch9wavefront6targetE0EEEvT1_
; %bb.0:
	.section	.rodata,"a",@progbits
	.p2align	6, 0x0
	.amdhsa_kernel _ZN7rocprim17ROCPRIM_400000_NS6detail17trampoline_kernelINS0_14default_configENS1_35adjacent_difference_config_selectorILb0ElEEZNS1_24adjacent_difference_implIS3_Lb0ELb0EPlS7_ZN2at6native12_GLOBAL__N_124unique_dim_cuda_templateIlEESt5tupleIJNS8_6TensorESD_SD_EERKSD_lbbbEUlllE1_EE10hipError_tPvRmT2_T3_mT4_P12ihipStream_tbEUlT_E_NS1_11comp_targetILNS1_3genE0ELNS1_11target_archE4294967295ELNS1_3gpuE0ELNS1_3repE0EEENS1_30default_config_static_selectorELNS0_4arch9wavefront6targetE0EEEvT1_
		.amdhsa_group_segment_fixed_size 0
		.amdhsa_private_segment_fixed_size 0
		.amdhsa_kernarg_size 64
		.amdhsa_user_sgpr_count 15
		.amdhsa_user_sgpr_dispatch_ptr 0
		.amdhsa_user_sgpr_queue_ptr 0
		.amdhsa_user_sgpr_kernarg_segment_ptr 1
		.amdhsa_user_sgpr_dispatch_id 0
		.amdhsa_user_sgpr_private_segment_size 0
		.amdhsa_wavefront_size32 1
		.amdhsa_uses_dynamic_stack 0
		.amdhsa_enable_private_segment 0
		.amdhsa_system_sgpr_workgroup_id_x 1
		.amdhsa_system_sgpr_workgroup_id_y 0
		.amdhsa_system_sgpr_workgroup_id_z 0
		.amdhsa_system_sgpr_workgroup_info 0
		.amdhsa_system_vgpr_workitem_id 0
		.amdhsa_next_free_vgpr 1
		.amdhsa_next_free_sgpr 1
		.amdhsa_reserve_vcc 0
		.amdhsa_float_round_mode_32 0
		.amdhsa_float_round_mode_16_64 0
		.amdhsa_float_denorm_mode_32 3
		.amdhsa_float_denorm_mode_16_64 3
		.amdhsa_dx10_clamp 1
		.amdhsa_ieee_mode 1
		.amdhsa_fp16_overflow 0
		.amdhsa_workgroup_processor_mode 1
		.amdhsa_memory_ordered 1
		.amdhsa_forward_progress 0
		.amdhsa_shared_vgpr_count 0
		.amdhsa_exception_fp_ieee_invalid_op 0
		.amdhsa_exception_fp_denorm_src 0
		.amdhsa_exception_fp_ieee_div_zero 0
		.amdhsa_exception_fp_ieee_overflow 0
		.amdhsa_exception_fp_ieee_underflow 0
		.amdhsa_exception_fp_ieee_inexact 0
		.amdhsa_exception_int_div_zero 0
	.end_amdhsa_kernel
	.section	.text._ZN7rocprim17ROCPRIM_400000_NS6detail17trampoline_kernelINS0_14default_configENS1_35adjacent_difference_config_selectorILb0ElEEZNS1_24adjacent_difference_implIS3_Lb0ELb0EPlS7_ZN2at6native12_GLOBAL__N_124unique_dim_cuda_templateIlEESt5tupleIJNS8_6TensorESD_SD_EERKSD_lbbbEUlllE1_EE10hipError_tPvRmT2_T3_mT4_P12ihipStream_tbEUlT_E_NS1_11comp_targetILNS1_3genE0ELNS1_11target_archE4294967295ELNS1_3gpuE0ELNS1_3repE0EEENS1_30default_config_static_selectorELNS0_4arch9wavefront6targetE0EEEvT1_,"axG",@progbits,_ZN7rocprim17ROCPRIM_400000_NS6detail17trampoline_kernelINS0_14default_configENS1_35adjacent_difference_config_selectorILb0ElEEZNS1_24adjacent_difference_implIS3_Lb0ELb0EPlS7_ZN2at6native12_GLOBAL__N_124unique_dim_cuda_templateIlEESt5tupleIJNS8_6TensorESD_SD_EERKSD_lbbbEUlllE1_EE10hipError_tPvRmT2_T3_mT4_P12ihipStream_tbEUlT_E_NS1_11comp_targetILNS1_3genE0ELNS1_11target_archE4294967295ELNS1_3gpuE0ELNS1_3repE0EEENS1_30default_config_static_selectorELNS0_4arch9wavefront6targetE0EEEvT1_,comdat
.Lfunc_end538:
	.size	_ZN7rocprim17ROCPRIM_400000_NS6detail17trampoline_kernelINS0_14default_configENS1_35adjacent_difference_config_selectorILb0ElEEZNS1_24adjacent_difference_implIS3_Lb0ELb0EPlS7_ZN2at6native12_GLOBAL__N_124unique_dim_cuda_templateIlEESt5tupleIJNS8_6TensorESD_SD_EERKSD_lbbbEUlllE1_EE10hipError_tPvRmT2_T3_mT4_P12ihipStream_tbEUlT_E_NS1_11comp_targetILNS1_3genE0ELNS1_11target_archE4294967295ELNS1_3gpuE0ELNS1_3repE0EEENS1_30default_config_static_selectorELNS0_4arch9wavefront6targetE0EEEvT1_, .Lfunc_end538-_ZN7rocprim17ROCPRIM_400000_NS6detail17trampoline_kernelINS0_14default_configENS1_35adjacent_difference_config_selectorILb0ElEEZNS1_24adjacent_difference_implIS3_Lb0ELb0EPlS7_ZN2at6native12_GLOBAL__N_124unique_dim_cuda_templateIlEESt5tupleIJNS8_6TensorESD_SD_EERKSD_lbbbEUlllE1_EE10hipError_tPvRmT2_T3_mT4_P12ihipStream_tbEUlT_E_NS1_11comp_targetILNS1_3genE0ELNS1_11target_archE4294967295ELNS1_3gpuE0ELNS1_3repE0EEENS1_30default_config_static_selectorELNS0_4arch9wavefront6targetE0EEEvT1_
                                        ; -- End function
	.section	.AMDGPU.csdata,"",@progbits
; Kernel info:
; codeLenInByte = 0
; NumSgprs: 0
; NumVgprs: 0
; ScratchSize: 0
; MemoryBound: 0
; FloatMode: 240
; IeeeMode: 1
; LDSByteSize: 0 bytes/workgroup (compile time only)
; SGPRBlocks: 0
; VGPRBlocks: 0
; NumSGPRsForWavesPerEU: 1
; NumVGPRsForWavesPerEU: 1
; Occupancy: 16
; WaveLimiterHint : 0
; COMPUTE_PGM_RSRC2:SCRATCH_EN: 0
; COMPUTE_PGM_RSRC2:USER_SGPR: 15
; COMPUTE_PGM_RSRC2:TRAP_HANDLER: 0
; COMPUTE_PGM_RSRC2:TGID_X_EN: 1
; COMPUTE_PGM_RSRC2:TGID_Y_EN: 0
; COMPUTE_PGM_RSRC2:TGID_Z_EN: 0
; COMPUTE_PGM_RSRC2:TIDIG_COMP_CNT: 0
	.section	.text._ZN7rocprim17ROCPRIM_400000_NS6detail17trampoline_kernelINS0_14default_configENS1_35adjacent_difference_config_selectorILb0ElEEZNS1_24adjacent_difference_implIS3_Lb0ELb0EPlS7_ZN2at6native12_GLOBAL__N_124unique_dim_cuda_templateIlEESt5tupleIJNS8_6TensorESD_SD_EERKSD_lbbbEUlllE1_EE10hipError_tPvRmT2_T3_mT4_P12ihipStream_tbEUlT_E_NS1_11comp_targetILNS1_3genE10ELNS1_11target_archE1201ELNS1_3gpuE5ELNS1_3repE0EEENS1_30default_config_static_selectorELNS0_4arch9wavefront6targetE0EEEvT1_,"axG",@progbits,_ZN7rocprim17ROCPRIM_400000_NS6detail17trampoline_kernelINS0_14default_configENS1_35adjacent_difference_config_selectorILb0ElEEZNS1_24adjacent_difference_implIS3_Lb0ELb0EPlS7_ZN2at6native12_GLOBAL__N_124unique_dim_cuda_templateIlEESt5tupleIJNS8_6TensorESD_SD_EERKSD_lbbbEUlllE1_EE10hipError_tPvRmT2_T3_mT4_P12ihipStream_tbEUlT_E_NS1_11comp_targetILNS1_3genE10ELNS1_11target_archE1201ELNS1_3gpuE5ELNS1_3repE0EEENS1_30default_config_static_selectorELNS0_4arch9wavefront6targetE0EEEvT1_,comdat
	.globl	_ZN7rocprim17ROCPRIM_400000_NS6detail17trampoline_kernelINS0_14default_configENS1_35adjacent_difference_config_selectorILb0ElEEZNS1_24adjacent_difference_implIS3_Lb0ELb0EPlS7_ZN2at6native12_GLOBAL__N_124unique_dim_cuda_templateIlEESt5tupleIJNS8_6TensorESD_SD_EERKSD_lbbbEUlllE1_EE10hipError_tPvRmT2_T3_mT4_P12ihipStream_tbEUlT_E_NS1_11comp_targetILNS1_3genE10ELNS1_11target_archE1201ELNS1_3gpuE5ELNS1_3repE0EEENS1_30default_config_static_selectorELNS0_4arch9wavefront6targetE0EEEvT1_ ; -- Begin function _ZN7rocprim17ROCPRIM_400000_NS6detail17trampoline_kernelINS0_14default_configENS1_35adjacent_difference_config_selectorILb0ElEEZNS1_24adjacent_difference_implIS3_Lb0ELb0EPlS7_ZN2at6native12_GLOBAL__N_124unique_dim_cuda_templateIlEESt5tupleIJNS8_6TensorESD_SD_EERKSD_lbbbEUlllE1_EE10hipError_tPvRmT2_T3_mT4_P12ihipStream_tbEUlT_E_NS1_11comp_targetILNS1_3genE10ELNS1_11target_archE1201ELNS1_3gpuE5ELNS1_3repE0EEENS1_30default_config_static_selectorELNS0_4arch9wavefront6targetE0EEEvT1_
	.p2align	8
	.type	_ZN7rocprim17ROCPRIM_400000_NS6detail17trampoline_kernelINS0_14default_configENS1_35adjacent_difference_config_selectorILb0ElEEZNS1_24adjacent_difference_implIS3_Lb0ELb0EPlS7_ZN2at6native12_GLOBAL__N_124unique_dim_cuda_templateIlEESt5tupleIJNS8_6TensorESD_SD_EERKSD_lbbbEUlllE1_EE10hipError_tPvRmT2_T3_mT4_P12ihipStream_tbEUlT_E_NS1_11comp_targetILNS1_3genE10ELNS1_11target_archE1201ELNS1_3gpuE5ELNS1_3repE0EEENS1_30default_config_static_selectorELNS0_4arch9wavefront6targetE0EEEvT1_,@function
_ZN7rocprim17ROCPRIM_400000_NS6detail17trampoline_kernelINS0_14default_configENS1_35adjacent_difference_config_selectorILb0ElEEZNS1_24adjacent_difference_implIS3_Lb0ELb0EPlS7_ZN2at6native12_GLOBAL__N_124unique_dim_cuda_templateIlEESt5tupleIJNS8_6TensorESD_SD_EERKSD_lbbbEUlllE1_EE10hipError_tPvRmT2_T3_mT4_P12ihipStream_tbEUlT_E_NS1_11comp_targetILNS1_3genE10ELNS1_11target_archE1201ELNS1_3gpuE5ELNS1_3repE0EEENS1_30default_config_static_selectorELNS0_4arch9wavefront6targetE0EEEvT1_: ; @_ZN7rocprim17ROCPRIM_400000_NS6detail17trampoline_kernelINS0_14default_configENS1_35adjacent_difference_config_selectorILb0ElEEZNS1_24adjacent_difference_implIS3_Lb0ELb0EPlS7_ZN2at6native12_GLOBAL__N_124unique_dim_cuda_templateIlEESt5tupleIJNS8_6TensorESD_SD_EERKSD_lbbbEUlllE1_EE10hipError_tPvRmT2_T3_mT4_P12ihipStream_tbEUlT_E_NS1_11comp_targetILNS1_3genE10ELNS1_11target_archE1201ELNS1_3gpuE5ELNS1_3repE0EEENS1_30default_config_static_selectorELNS0_4arch9wavefront6targetE0EEEvT1_
; %bb.0:
	.section	.rodata,"a",@progbits
	.p2align	6, 0x0
	.amdhsa_kernel _ZN7rocprim17ROCPRIM_400000_NS6detail17trampoline_kernelINS0_14default_configENS1_35adjacent_difference_config_selectorILb0ElEEZNS1_24adjacent_difference_implIS3_Lb0ELb0EPlS7_ZN2at6native12_GLOBAL__N_124unique_dim_cuda_templateIlEESt5tupleIJNS8_6TensorESD_SD_EERKSD_lbbbEUlllE1_EE10hipError_tPvRmT2_T3_mT4_P12ihipStream_tbEUlT_E_NS1_11comp_targetILNS1_3genE10ELNS1_11target_archE1201ELNS1_3gpuE5ELNS1_3repE0EEENS1_30default_config_static_selectorELNS0_4arch9wavefront6targetE0EEEvT1_
		.amdhsa_group_segment_fixed_size 0
		.amdhsa_private_segment_fixed_size 0
		.amdhsa_kernarg_size 64
		.amdhsa_user_sgpr_count 15
		.amdhsa_user_sgpr_dispatch_ptr 0
		.amdhsa_user_sgpr_queue_ptr 0
		.amdhsa_user_sgpr_kernarg_segment_ptr 1
		.amdhsa_user_sgpr_dispatch_id 0
		.amdhsa_user_sgpr_private_segment_size 0
		.amdhsa_wavefront_size32 1
		.amdhsa_uses_dynamic_stack 0
		.amdhsa_enable_private_segment 0
		.amdhsa_system_sgpr_workgroup_id_x 1
		.amdhsa_system_sgpr_workgroup_id_y 0
		.amdhsa_system_sgpr_workgroup_id_z 0
		.amdhsa_system_sgpr_workgroup_info 0
		.amdhsa_system_vgpr_workitem_id 0
		.amdhsa_next_free_vgpr 1
		.amdhsa_next_free_sgpr 1
		.amdhsa_reserve_vcc 0
		.amdhsa_float_round_mode_32 0
		.amdhsa_float_round_mode_16_64 0
		.amdhsa_float_denorm_mode_32 3
		.amdhsa_float_denorm_mode_16_64 3
		.amdhsa_dx10_clamp 1
		.amdhsa_ieee_mode 1
		.amdhsa_fp16_overflow 0
		.amdhsa_workgroup_processor_mode 1
		.amdhsa_memory_ordered 1
		.amdhsa_forward_progress 0
		.amdhsa_shared_vgpr_count 0
		.amdhsa_exception_fp_ieee_invalid_op 0
		.amdhsa_exception_fp_denorm_src 0
		.amdhsa_exception_fp_ieee_div_zero 0
		.amdhsa_exception_fp_ieee_overflow 0
		.amdhsa_exception_fp_ieee_underflow 0
		.amdhsa_exception_fp_ieee_inexact 0
		.amdhsa_exception_int_div_zero 0
	.end_amdhsa_kernel
	.section	.text._ZN7rocprim17ROCPRIM_400000_NS6detail17trampoline_kernelINS0_14default_configENS1_35adjacent_difference_config_selectorILb0ElEEZNS1_24adjacent_difference_implIS3_Lb0ELb0EPlS7_ZN2at6native12_GLOBAL__N_124unique_dim_cuda_templateIlEESt5tupleIJNS8_6TensorESD_SD_EERKSD_lbbbEUlllE1_EE10hipError_tPvRmT2_T3_mT4_P12ihipStream_tbEUlT_E_NS1_11comp_targetILNS1_3genE10ELNS1_11target_archE1201ELNS1_3gpuE5ELNS1_3repE0EEENS1_30default_config_static_selectorELNS0_4arch9wavefront6targetE0EEEvT1_,"axG",@progbits,_ZN7rocprim17ROCPRIM_400000_NS6detail17trampoline_kernelINS0_14default_configENS1_35adjacent_difference_config_selectorILb0ElEEZNS1_24adjacent_difference_implIS3_Lb0ELb0EPlS7_ZN2at6native12_GLOBAL__N_124unique_dim_cuda_templateIlEESt5tupleIJNS8_6TensorESD_SD_EERKSD_lbbbEUlllE1_EE10hipError_tPvRmT2_T3_mT4_P12ihipStream_tbEUlT_E_NS1_11comp_targetILNS1_3genE10ELNS1_11target_archE1201ELNS1_3gpuE5ELNS1_3repE0EEENS1_30default_config_static_selectorELNS0_4arch9wavefront6targetE0EEEvT1_,comdat
.Lfunc_end539:
	.size	_ZN7rocprim17ROCPRIM_400000_NS6detail17trampoline_kernelINS0_14default_configENS1_35adjacent_difference_config_selectorILb0ElEEZNS1_24adjacent_difference_implIS3_Lb0ELb0EPlS7_ZN2at6native12_GLOBAL__N_124unique_dim_cuda_templateIlEESt5tupleIJNS8_6TensorESD_SD_EERKSD_lbbbEUlllE1_EE10hipError_tPvRmT2_T3_mT4_P12ihipStream_tbEUlT_E_NS1_11comp_targetILNS1_3genE10ELNS1_11target_archE1201ELNS1_3gpuE5ELNS1_3repE0EEENS1_30default_config_static_selectorELNS0_4arch9wavefront6targetE0EEEvT1_, .Lfunc_end539-_ZN7rocprim17ROCPRIM_400000_NS6detail17trampoline_kernelINS0_14default_configENS1_35adjacent_difference_config_selectorILb0ElEEZNS1_24adjacent_difference_implIS3_Lb0ELb0EPlS7_ZN2at6native12_GLOBAL__N_124unique_dim_cuda_templateIlEESt5tupleIJNS8_6TensorESD_SD_EERKSD_lbbbEUlllE1_EE10hipError_tPvRmT2_T3_mT4_P12ihipStream_tbEUlT_E_NS1_11comp_targetILNS1_3genE10ELNS1_11target_archE1201ELNS1_3gpuE5ELNS1_3repE0EEENS1_30default_config_static_selectorELNS0_4arch9wavefront6targetE0EEEvT1_
                                        ; -- End function
	.section	.AMDGPU.csdata,"",@progbits
; Kernel info:
; codeLenInByte = 0
; NumSgprs: 0
; NumVgprs: 0
; ScratchSize: 0
; MemoryBound: 0
; FloatMode: 240
; IeeeMode: 1
; LDSByteSize: 0 bytes/workgroup (compile time only)
; SGPRBlocks: 0
; VGPRBlocks: 0
; NumSGPRsForWavesPerEU: 1
; NumVGPRsForWavesPerEU: 1
; Occupancy: 16
; WaveLimiterHint : 0
; COMPUTE_PGM_RSRC2:SCRATCH_EN: 0
; COMPUTE_PGM_RSRC2:USER_SGPR: 15
; COMPUTE_PGM_RSRC2:TRAP_HANDLER: 0
; COMPUTE_PGM_RSRC2:TGID_X_EN: 1
; COMPUTE_PGM_RSRC2:TGID_Y_EN: 0
; COMPUTE_PGM_RSRC2:TGID_Z_EN: 0
; COMPUTE_PGM_RSRC2:TIDIG_COMP_CNT: 0
	.section	.text._ZN7rocprim17ROCPRIM_400000_NS6detail17trampoline_kernelINS0_14default_configENS1_35adjacent_difference_config_selectorILb0ElEEZNS1_24adjacent_difference_implIS3_Lb0ELb0EPlS7_ZN2at6native12_GLOBAL__N_124unique_dim_cuda_templateIlEESt5tupleIJNS8_6TensorESD_SD_EERKSD_lbbbEUlllE1_EE10hipError_tPvRmT2_T3_mT4_P12ihipStream_tbEUlT_E_NS1_11comp_targetILNS1_3genE5ELNS1_11target_archE942ELNS1_3gpuE9ELNS1_3repE0EEENS1_30default_config_static_selectorELNS0_4arch9wavefront6targetE0EEEvT1_,"axG",@progbits,_ZN7rocprim17ROCPRIM_400000_NS6detail17trampoline_kernelINS0_14default_configENS1_35adjacent_difference_config_selectorILb0ElEEZNS1_24adjacent_difference_implIS3_Lb0ELb0EPlS7_ZN2at6native12_GLOBAL__N_124unique_dim_cuda_templateIlEESt5tupleIJNS8_6TensorESD_SD_EERKSD_lbbbEUlllE1_EE10hipError_tPvRmT2_T3_mT4_P12ihipStream_tbEUlT_E_NS1_11comp_targetILNS1_3genE5ELNS1_11target_archE942ELNS1_3gpuE9ELNS1_3repE0EEENS1_30default_config_static_selectorELNS0_4arch9wavefront6targetE0EEEvT1_,comdat
	.globl	_ZN7rocprim17ROCPRIM_400000_NS6detail17trampoline_kernelINS0_14default_configENS1_35adjacent_difference_config_selectorILb0ElEEZNS1_24adjacent_difference_implIS3_Lb0ELb0EPlS7_ZN2at6native12_GLOBAL__N_124unique_dim_cuda_templateIlEESt5tupleIJNS8_6TensorESD_SD_EERKSD_lbbbEUlllE1_EE10hipError_tPvRmT2_T3_mT4_P12ihipStream_tbEUlT_E_NS1_11comp_targetILNS1_3genE5ELNS1_11target_archE942ELNS1_3gpuE9ELNS1_3repE0EEENS1_30default_config_static_selectorELNS0_4arch9wavefront6targetE0EEEvT1_ ; -- Begin function _ZN7rocprim17ROCPRIM_400000_NS6detail17trampoline_kernelINS0_14default_configENS1_35adjacent_difference_config_selectorILb0ElEEZNS1_24adjacent_difference_implIS3_Lb0ELb0EPlS7_ZN2at6native12_GLOBAL__N_124unique_dim_cuda_templateIlEESt5tupleIJNS8_6TensorESD_SD_EERKSD_lbbbEUlllE1_EE10hipError_tPvRmT2_T3_mT4_P12ihipStream_tbEUlT_E_NS1_11comp_targetILNS1_3genE5ELNS1_11target_archE942ELNS1_3gpuE9ELNS1_3repE0EEENS1_30default_config_static_selectorELNS0_4arch9wavefront6targetE0EEEvT1_
	.p2align	8
	.type	_ZN7rocprim17ROCPRIM_400000_NS6detail17trampoline_kernelINS0_14default_configENS1_35adjacent_difference_config_selectorILb0ElEEZNS1_24adjacent_difference_implIS3_Lb0ELb0EPlS7_ZN2at6native12_GLOBAL__N_124unique_dim_cuda_templateIlEESt5tupleIJNS8_6TensorESD_SD_EERKSD_lbbbEUlllE1_EE10hipError_tPvRmT2_T3_mT4_P12ihipStream_tbEUlT_E_NS1_11comp_targetILNS1_3genE5ELNS1_11target_archE942ELNS1_3gpuE9ELNS1_3repE0EEENS1_30default_config_static_selectorELNS0_4arch9wavefront6targetE0EEEvT1_,@function
_ZN7rocprim17ROCPRIM_400000_NS6detail17trampoline_kernelINS0_14default_configENS1_35adjacent_difference_config_selectorILb0ElEEZNS1_24adjacent_difference_implIS3_Lb0ELb0EPlS7_ZN2at6native12_GLOBAL__N_124unique_dim_cuda_templateIlEESt5tupleIJNS8_6TensorESD_SD_EERKSD_lbbbEUlllE1_EE10hipError_tPvRmT2_T3_mT4_P12ihipStream_tbEUlT_E_NS1_11comp_targetILNS1_3genE5ELNS1_11target_archE942ELNS1_3gpuE9ELNS1_3repE0EEENS1_30default_config_static_selectorELNS0_4arch9wavefront6targetE0EEEvT1_: ; @_ZN7rocprim17ROCPRIM_400000_NS6detail17trampoline_kernelINS0_14default_configENS1_35adjacent_difference_config_selectorILb0ElEEZNS1_24adjacent_difference_implIS3_Lb0ELb0EPlS7_ZN2at6native12_GLOBAL__N_124unique_dim_cuda_templateIlEESt5tupleIJNS8_6TensorESD_SD_EERKSD_lbbbEUlllE1_EE10hipError_tPvRmT2_T3_mT4_P12ihipStream_tbEUlT_E_NS1_11comp_targetILNS1_3genE5ELNS1_11target_archE942ELNS1_3gpuE9ELNS1_3repE0EEENS1_30default_config_static_selectorELNS0_4arch9wavefront6targetE0EEEvT1_
; %bb.0:
	.section	.rodata,"a",@progbits
	.p2align	6, 0x0
	.amdhsa_kernel _ZN7rocprim17ROCPRIM_400000_NS6detail17trampoline_kernelINS0_14default_configENS1_35adjacent_difference_config_selectorILb0ElEEZNS1_24adjacent_difference_implIS3_Lb0ELb0EPlS7_ZN2at6native12_GLOBAL__N_124unique_dim_cuda_templateIlEESt5tupleIJNS8_6TensorESD_SD_EERKSD_lbbbEUlllE1_EE10hipError_tPvRmT2_T3_mT4_P12ihipStream_tbEUlT_E_NS1_11comp_targetILNS1_3genE5ELNS1_11target_archE942ELNS1_3gpuE9ELNS1_3repE0EEENS1_30default_config_static_selectorELNS0_4arch9wavefront6targetE0EEEvT1_
		.amdhsa_group_segment_fixed_size 0
		.amdhsa_private_segment_fixed_size 0
		.amdhsa_kernarg_size 64
		.amdhsa_user_sgpr_count 15
		.amdhsa_user_sgpr_dispatch_ptr 0
		.amdhsa_user_sgpr_queue_ptr 0
		.amdhsa_user_sgpr_kernarg_segment_ptr 1
		.amdhsa_user_sgpr_dispatch_id 0
		.amdhsa_user_sgpr_private_segment_size 0
		.amdhsa_wavefront_size32 1
		.amdhsa_uses_dynamic_stack 0
		.amdhsa_enable_private_segment 0
		.amdhsa_system_sgpr_workgroup_id_x 1
		.amdhsa_system_sgpr_workgroup_id_y 0
		.amdhsa_system_sgpr_workgroup_id_z 0
		.amdhsa_system_sgpr_workgroup_info 0
		.amdhsa_system_vgpr_workitem_id 0
		.amdhsa_next_free_vgpr 1
		.amdhsa_next_free_sgpr 1
		.amdhsa_reserve_vcc 0
		.amdhsa_float_round_mode_32 0
		.amdhsa_float_round_mode_16_64 0
		.amdhsa_float_denorm_mode_32 3
		.amdhsa_float_denorm_mode_16_64 3
		.amdhsa_dx10_clamp 1
		.amdhsa_ieee_mode 1
		.amdhsa_fp16_overflow 0
		.amdhsa_workgroup_processor_mode 1
		.amdhsa_memory_ordered 1
		.amdhsa_forward_progress 0
		.amdhsa_shared_vgpr_count 0
		.amdhsa_exception_fp_ieee_invalid_op 0
		.amdhsa_exception_fp_denorm_src 0
		.amdhsa_exception_fp_ieee_div_zero 0
		.amdhsa_exception_fp_ieee_overflow 0
		.amdhsa_exception_fp_ieee_underflow 0
		.amdhsa_exception_fp_ieee_inexact 0
		.amdhsa_exception_int_div_zero 0
	.end_amdhsa_kernel
	.section	.text._ZN7rocprim17ROCPRIM_400000_NS6detail17trampoline_kernelINS0_14default_configENS1_35adjacent_difference_config_selectorILb0ElEEZNS1_24adjacent_difference_implIS3_Lb0ELb0EPlS7_ZN2at6native12_GLOBAL__N_124unique_dim_cuda_templateIlEESt5tupleIJNS8_6TensorESD_SD_EERKSD_lbbbEUlllE1_EE10hipError_tPvRmT2_T3_mT4_P12ihipStream_tbEUlT_E_NS1_11comp_targetILNS1_3genE5ELNS1_11target_archE942ELNS1_3gpuE9ELNS1_3repE0EEENS1_30default_config_static_selectorELNS0_4arch9wavefront6targetE0EEEvT1_,"axG",@progbits,_ZN7rocprim17ROCPRIM_400000_NS6detail17trampoline_kernelINS0_14default_configENS1_35adjacent_difference_config_selectorILb0ElEEZNS1_24adjacent_difference_implIS3_Lb0ELb0EPlS7_ZN2at6native12_GLOBAL__N_124unique_dim_cuda_templateIlEESt5tupleIJNS8_6TensorESD_SD_EERKSD_lbbbEUlllE1_EE10hipError_tPvRmT2_T3_mT4_P12ihipStream_tbEUlT_E_NS1_11comp_targetILNS1_3genE5ELNS1_11target_archE942ELNS1_3gpuE9ELNS1_3repE0EEENS1_30default_config_static_selectorELNS0_4arch9wavefront6targetE0EEEvT1_,comdat
.Lfunc_end540:
	.size	_ZN7rocprim17ROCPRIM_400000_NS6detail17trampoline_kernelINS0_14default_configENS1_35adjacent_difference_config_selectorILb0ElEEZNS1_24adjacent_difference_implIS3_Lb0ELb0EPlS7_ZN2at6native12_GLOBAL__N_124unique_dim_cuda_templateIlEESt5tupleIJNS8_6TensorESD_SD_EERKSD_lbbbEUlllE1_EE10hipError_tPvRmT2_T3_mT4_P12ihipStream_tbEUlT_E_NS1_11comp_targetILNS1_3genE5ELNS1_11target_archE942ELNS1_3gpuE9ELNS1_3repE0EEENS1_30default_config_static_selectorELNS0_4arch9wavefront6targetE0EEEvT1_, .Lfunc_end540-_ZN7rocprim17ROCPRIM_400000_NS6detail17trampoline_kernelINS0_14default_configENS1_35adjacent_difference_config_selectorILb0ElEEZNS1_24adjacent_difference_implIS3_Lb0ELb0EPlS7_ZN2at6native12_GLOBAL__N_124unique_dim_cuda_templateIlEESt5tupleIJNS8_6TensorESD_SD_EERKSD_lbbbEUlllE1_EE10hipError_tPvRmT2_T3_mT4_P12ihipStream_tbEUlT_E_NS1_11comp_targetILNS1_3genE5ELNS1_11target_archE942ELNS1_3gpuE9ELNS1_3repE0EEENS1_30default_config_static_selectorELNS0_4arch9wavefront6targetE0EEEvT1_
                                        ; -- End function
	.section	.AMDGPU.csdata,"",@progbits
; Kernel info:
; codeLenInByte = 0
; NumSgprs: 0
; NumVgprs: 0
; ScratchSize: 0
; MemoryBound: 0
; FloatMode: 240
; IeeeMode: 1
; LDSByteSize: 0 bytes/workgroup (compile time only)
; SGPRBlocks: 0
; VGPRBlocks: 0
; NumSGPRsForWavesPerEU: 1
; NumVGPRsForWavesPerEU: 1
; Occupancy: 16
; WaveLimiterHint : 0
; COMPUTE_PGM_RSRC2:SCRATCH_EN: 0
; COMPUTE_PGM_RSRC2:USER_SGPR: 15
; COMPUTE_PGM_RSRC2:TRAP_HANDLER: 0
; COMPUTE_PGM_RSRC2:TGID_X_EN: 1
; COMPUTE_PGM_RSRC2:TGID_Y_EN: 0
; COMPUTE_PGM_RSRC2:TGID_Z_EN: 0
; COMPUTE_PGM_RSRC2:TIDIG_COMP_CNT: 0
	.section	.text._ZN7rocprim17ROCPRIM_400000_NS6detail17trampoline_kernelINS0_14default_configENS1_35adjacent_difference_config_selectorILb0ElEEZNS1_24adjacent_difference_implIS3_Lb0ELb0EPlS7_ZN2at6native12_GLOBAL__N_124unique_dim_cuda_templateIlEESt5tupleIJNS8_6TensorESD_SD_EERKSD_lbbbEUlllE1_EE10hipError_tPvRmT2_T3_mT4_P12ihipStream_tbEUlT_E_NS1_11comp_targetILNS1_3genE4ELNS1_11target_archE910ELNS1_3gpuE8ELNS1_3repE0EEENS1_30default_config_static_selectorELNS0_4arch9wavefront6targetE0EEEvT1_,"axG",@progbits,_ZN7rocprim17ROCPRIM_400000_NS6detail17trampoline_kernelINS0_14default_configENS1_35adjacent_difference_config_selectorILb0ElEEZNS1_24adjacent_difference_implIS3_Lb0ELb0EPlS7_ZN2at6native12_GLOBAL__N_124unique_dim_cuda_templateIlEESt5tupleIJNS8_6TensorESD_SD_EERKSD_lbbbEUlllE1_EE10hipError_tPvRmT2_T3_mT4_P12ihipStream_tbEUlT_E_NS1_11comp_targetILNS1_3genE4ELNS1_11target_archE910ELNS1_3gpuE8ELNS1_3repE0EEENS1_30default_config_static_selectorELNS0_4arch9wavefront6targetE0EEEvT1_,comdat
	.globl	_ZN7rocprim17ROCPRIM_400000_NS6detail17trampoline_kernelINS0_14default_configENS1_35adjacent_difference_config_selectorILb0ElEEZNS1_24adjacent_difference_implIS3_Lb0ELb0EPlS7_ZN2at6native12_GLOBAL__N_124unique_dim_cuda_templateIlEESt5tupleIJNS8_6TensorESD_SD_EERKSD_lbbbEUlllE1_EE10hipError_tPvRmT2_T3_mT4_P12ihipStream_tbEUlT_E_NS1_11comp_targetILNS1_3genE4ELNS1_11target_archE910ELNS1_3gpuE8ELNS1_3repE0EEENS1_30default_config_static_selectorELNS0_4arch9wavefront6targetE0EEEvT1_ ; -- Begin function _ZN7rocprim17ROCPRIM_400000_NS6detail17trampoline_kernelINS0_14default_configENS1_35adjacent_difference_config_selectorILb0ElEEZNS1_24adjacent_difference_implIS3_Lb0ELb0EPlS7_ZN2at6native12_GLOBAL__N_124unique_dim_cuda_templateIlEESt5tupleIJNS8_6TensorESD_SD_EERKSD_lbbbEUlllE1_EE10hipError_tPvRmT2_T3_mT4_P12ihipStream_tbEUlT_E_NS1_11comp_targetILNS1_3genE4ELNS1_11target_archE910ELNS1_3gpuE8ELNS1_3repE0EEENS1_30default_config_static_selectorELNS0_4arch9wavefront6targetE0EEEvT1_
	.p2align	8
	.type	_ZN7rocprim17ROCPRIM_400000_NS6detail17trampoline_kernelINS0_14default_configENS1_35adjacent_difference_config_selectorILb0ElEEZNS1_24adjacent_difference_implIS3_Lb0ELb0EPlS7_ZN2at6native12_GLOBAL__N_124unique_dim_cuda_templateIlEESt5tupleIJNS8_6TensorESD_SD_EERKSD_lbbbEUlllE1_EE10hipError_tPvRmT2_T3_mT4_P12ihipStream_tbEUlT_E_NS1_11comp_targetILNS1_3genE4ELNS1_11target_archE910ELNS1_3gpuE8ELNS1_3repE0EEENS1_30default_config_static_selectorELNS0_4arch9wavefront6targetE0EEEvT1_,@function
_ZN7rocprim17ROCPRIM_400000_NS6detail17trampoline_kernelINS0_14default_configENS1_35adjacent_difference_config_selectorILb0ElEEZNS1_24adjacent_difference_implIS3_Lb0ELb0EPlS7_ZN2at6native12_GLOBAL__N_124unique_dim_cuda_templateIlEESt5tupleIJNS8_6TensorESD_SD_EERKSD_lbbbEUlllE1_EE10hipError_tPvRmT2_T3_mT4_P12ihipStream_tbEUlT_E_NS1_11comp_targetILNS1_3genE4ELNS1_11target_archE910ELNS1_3gpuE8ELNS1_3repE0EEENS1_30default_config_static_selectorELNS0_4arch9wavefront6targetE0EEEvT1_: ; @_ZN7rocprim17ROCPRIM_400000_NS6detail17trampoline_kernelINS0_14default_configENS1_35adjacent_difference_config_selectorILb0ElEEZNS1_24adjacent_difference_implIS3_Lb0ELb0EPlS7_ZN2at6native12_GLOBAL__N_124unique_dim_cuda_templateIlEESt5tupleIJNS8_6TensorESD_SD_EERKSD_lbbbEUlllE1_EE10hipError_tPvRmT2_T3_mT4_P12ihipStream_tbEUlT_E_NS1_11comp_targetILNS1_3genE4ELNS1_11target_archE910ELNS1_3gpuE8ELNS1_3repE0EEENS1_30default_config_static_selectorELNS0_4arch9wavefront6targetE0EEEvT1_
; %bb.0:
	.section	.rodata,"a",@progbits
	.p2align	6, 0x0
	.amdhsa_kernel _ZN7rocprim17ROCPRIM_400000_NS6detail17trampoline_kernelINS0_14default_configENS1_35adjacent_difference_config_selectorILb0ElEEZNS1_24adjacent_difference_implIS3_Lb0ELb0EPlS7_ZN2at6native12_GLOBAL__N_124unique_dim_cuda_templateIlEESt5tupleIJNS8_6TensorESD_SD_EERKSD_lbbbEUlllE1_EE10hipError_tPvRmT2_T3_mT4_P12ihipStream_tbEUlT_E_NS1_11comp_targetILNS1_3genE4ELNS1_11target_archE910ELNS1_3gpuE8ELNS1_3repE0EEENS1_30default_config_static_selectorELNS0_4arch9wavefront6targetE0EEEvT1_
		.amdhsa_group_segment_fixed_size 0
		.amdhsa_private_segment_fixed_size 0
		.amdhsa_kernarg_size 64
		.amdhsa_user_sgpr_count 15
		.amdhsa_user_sgpr_dispatch_ptr 0
		.amdhsa_user_sgpr_queue_ptr 0
		.amdhsa_user_sgpr_kernarg_segment_ptr 1
		.amdhsa_user_sgpr_dispatch_id 0
		.amdhsa_user_sgpr_private_segment_size 0
		.amdhsa_wavefront_size32 1
		.amdhsa_uses_dynamic_stack 0
		.amdhsa_enable_private_segment 0
		.amdhsa_system_sgpr_workgroup_id_x 1
		.amdhsa_system_sgpr_workgroup_id_y 0
		.amdhsa_system_sgpr_workgroup_id_z 0
		.amdhsa_system_sgpr_workgroup_info 0
		.amdhsa_system_vgpr_workitem_id 0
		.amdhsa_next_free_vgpr 1
		.amdhsa_next_free_sgpr 1
		.amdhsa_reserve_vcc 0
		.amdhsa_float_round_mode_32 0
		.amdhsa_float_round_mode_16_64 0
		.amdhsa_float_denorm_mode_32 3
		.amdhsa_float_denorm_mode_16_64 3
		.amdhsa_dx10_clamp 1
		.amdhsa_ieee_mode 1
		.amdhsa_fp16_overflow 0
		.amdhsa_workgroup_processor_mode 1
		.amdhsa_memory_ordered 1
		.amdhsa_forward_progress 0
		.amdhsa_shared_vgpr_count 0
		.amdhsa_exception_fp_ieee_invalid_op 0
		.amdhsa_exception_fp_denorm_src 0
		.amdhsa_exception_fp_ieee_div_zero 0
		.amdhsa_exception_fp_ieee_overflow 0
		.amdhsa_exception_fp_ieee_underflow 0
		.amdhsa_exception_fp_ieee_inexact 0
		.amdhsa_exception_int_div_zero 0
	.end_amdhsa_kernel
	.section	.text._ZN7rocprim17ROCPRIM_400000_NS6detail17trampoline_kernelINS0_14default_configENS1_35adjacent_difference_config_selectorILb0ElEEZNS1_24adjacent_difference_implIS3_Lb0ELb0EPlS7_ZN2at6native12_GLOBAL__N_124unique_dim_cuda_templateIlEESt5tupleIJNS8_6TensorESD_SD_EERKSD_lbbbEUlllE1_EE10hipError_tPvRmT2_T3_mT4_P12ihipStream_tbEUlT_E_NS1_11comp_targetILNS1_3genE4ELNS1_11target_archE910ELNS1_3gpuE8ELNS1_3repE0EEENS1_30default_config_static_selectorELNS0_4arch9wavefront6targetE0EEEvT1_,"axG",@progbits,_ZN7rocprim17ROCPRIM_400000_NS6detail17trampoline_kernelINS0_14default_configENS1_35adjacent_difference_config_selectorILb0ElEEZNS1_24adjacent_difference_implIS3_Lb0ELb0EPlS7_ZN2at6native12_GLOBAL__N_124unique_dim_cuda_templateIlEESt5tupleIJNS8_6TensorESD_SD_EERKSD_lbbbEUlllE1_EE10hipError_tPvRmT2_T3_mT4_P12ihipStream_tbEUlT_E_NS1_11comp_targetILNS1_3genE4ELNS1_11target_archE910ELNS1_3gpuE8ELNS1_3repE0EEENS1_30default_config_static_selectorELNS0_4arch9wavefront6targetE0EEEvT1_,comdat
.Lfunc_end541:
	.size	_ZN7rocprim17ROCPRIM_400000_NS6detail17trampoline_kernelINS0_14default_configENS1_35adjacent_difference_config_selectorILb0ElEEZNS1_24adjacent_difference_implIS3_Lb0ELb0EPlS7_ZN2at6native12_GLOBAL__N_124unique_dim_cuda_templateIlEESt5tupleIJNS8_6TensorESD_SD_EERKSD_lbbbEUlllE1_EE10hipError_tPvRmT2_T3_mT4_P12ihipStream_tbEUlT_E_NS1_11comp_targetILNS1_3genE4ELNS1_11target_archE910ELNS1_3gpuE8ELNS1_3repE0EEENS1_30default_config_static_selectorELNS0_4arch9wavefront6targetE0EEEvT1_, .Lfunc_end541-_ZN7rocprim17ROCPRIM_400000_NS6detail17trampoline_kernelINS0_14default_configENS1_35adjacent_difference_config_selectorILb0ElEEZNS1_24adjacent_difference_implIS3_Lb0ELb0EPlS7_ZN2at6native12_GLOBAL__N_124unique_dim_cuda_templateIlEESt5tupleIJNS8_6TensorESD_SD_EERKSD_lbbbEUlllE1_EE10hipError_tPvRmT2_T3_mT4_P12ihipStream_tbEUlT_E_NS1_11comp_targetILNS1_3genE4ELNS1_11target_archE910ELNS1_3gpuE8ELNS1_3repE0EEENS1_30default_config_static_selectorELNS0_4arch9wavefront6targetE0EEEvT1_
                                        ; -- End function
	.section	.AMDGPU.csdata,"",@progbits
; Kernel info:
; codeLenInByte = 0
; NumSgprs: 0
; NumVgprs: 0
; ScratchSize: 0
; MemoryBound: 0
; FloatMode: 240
; IeeeMode: 1
; LDSByteSize: 0 bytes/workgroup (compile time only)
; SGPRBlocks: 0
; VGPRBlocks: 0
; NumSGPRsForWavesPerEU: 1
; NumVGPRsForWavesPerEU: 1
; Occupancy: 16
; WaveLimiterHint : 0
; COMPUTE_PGM_RSRC2:SCRATCH_EN: 0
; COMPUTE_PGM_RSRC2:USER_SGPR: 15
; COMPUTE_PGM_RSRC2:TRAP_HANDLER: 0
; COMPUTE_PGM_RSRC2:TGID_X_EN: 1
; COMPUTE_PGM_RSRC2:TGID_Y_EN: 0
; COMPUTE_PGM_RSRC2:TGID_Z_EN: 0
; COMPUTE_PGM_RSRC2:TIDIG_COMP_CNT: 0
	.section	.text._ZN7rocprim17ROCPRIM_400000_NS6detail17trampoline_kernelINS0_14default_configENS1_35adjacent_difference_config_selectorILb0ElEEZNS1_24adjacent_difference_implIS3_Lb0ELb0EPlS7_ZN2at6native12_GLOBAL__N_124unique_dim_cuda_templateIlEESt5tupleIJNS8_6TensorESD_SD_EERKSD_lbbbEUlllE1_EE10hipError_tPvRmT2_T3_mT4_P12ihipStream_tbEUlT_E_NS1_11comp_targetILNS1_3genE3ELNS1_11target_archE908ELNS1_3gpuE7ELNS1_3repE0EEENS1_30default_config_static_selectorELNS0_4arch9wavefront6targetE0EEEvT1_,"axG",@progbits,_ZN7rocprim17ROCPRIM_400000_NS6detail17trampoline_kernelINS0_14default_configENS1_35adjacent_difference_config_selectorILb0ElEEZNS1_24adjacent_difference_implIS3_Lb0ELb0EPlS7_ZN2at6native12_GLOBAL__N_124unique_dim_cuda_templateIlEESt5tupleIJNS8_6TensorESD_SD_EERKSD_lbbbEUlllE1_EE10hipError_tPvRmT2_T3_mT4_P12ihipStream_tbEUlT_E_NS1_11comp_targetILNS1_3genE3ELNS1_11target_archE908ELNS1_3gpuE7ELNS1_3repE0EEENS1_30default_config_static_selectorELNS0_4arch9wavefront6targetE0EEEvT1_,comdat
	.globl	_ZN7rocprim17ROCPRIM_400000_NS6detail17trampoline_kernelINS0_14default_configENS1_35adjacent_difference_config_selectorILb0ElEEZNS1_24adjacent_difference_implIS3_Lb0ELb0EPlS7_ZN2at6native12_GLOBAL__N_124unique_dim_cuda_templateIlEESt5tupleIJNS8_6TensorESD_SD_EERKSD_lbbbEUlllE1_EE10hipError_tPvRmT2_T3_mT4_P12ihipStream_tbEUlT_E_NS1_11comp_targetILNS1_3genE3ELNS1_11target_archE908ELNS1_3gpuE7ELNS1_3repE0EEENS1_30default_config_static_selectorELNS0_4arch9wavefront6targetE0EEEvT1_ ; -- Begin function _ZN7rocprim17ROCPRIM_400000_NS6detail17trampoline_kernelINS0_14default_configENS1_35adjacent_difference_config_selectorILb0ElEEZNS1_24adjacent_difference_implIS3_Lb0ELb0EPlS7_ZN2at6native12_GLOBAL__N_124unique_dim_cuda_templateIlEESt5tupleIJNS8_6TensorESD_SD_EERKSD_lbbbEUlllE1_EE10hipError_tPvRmT2_T3_mT4_P12ihipStream_tbEUlT_E_NS1_11comp_targetILNS1_3genE3ELNS1_11target_archE908ELNS1_3gpuE7ELNS1_3repE0EEENS1_30default_config_static_selectorELNS0_4arch9wavefront6targetE0EEEvT1_
	.p2align	8
	.type	_ZN7rocprim17ROCPRIM_400000_NS6detail17trampoline_kernelINS0_14default_configENS1_35adjacent_difference_config_selectorILb0ElEEZNS1_24adjacent_difference_implIS3_Lb0ELb0EPlS7_ZN2at6native12_GLOBAL__N_124unique_dim_cuda_templateIlEESt5tupleIJNS8_6TensorESD_SD_EERKSD_lbbbEUlllE1_EE10hipError_tPvRmT2_T3_mT4_P12ihipStream_tbEUlT_E_NS1_11comp_targetILNS1_3genE3ELNS1_11target_archE908ELNS1_3gpuE7ELNS1_3repE0EEENS1_30default_config_static_selectorELNS0_4arch9wavefront6targetE0EEEvT1_,@function
_ZN7rocprim17ROCPRIM_400000_NS6detail17trampoline_kernelINS0_14default_configENS1_35adjacent_difference_config_selectorILb0ElEEZNS1_24adjacent_difference_implIS3_Lb0ELb0EPlS7_ZN2at6native12_GLOBAL__N_124unique_dim_cuda_templateIlEESt5tupleIJNS8_6TensorESD_SD_EERKSD_lbbbEUlllE1_EE10hipError_tPvRmT2_T3_mT4_P12ihipStream_tbEUlT_E_NS1_11comp_targetILNS1_3genE3ELNS1_11target_archE908ELNS1_3gpuE7ELNS1_3repE0EEENS1_30default_config_static_selectorELNS0_4arch9wavefront6targetE0EEEvT1_: ; @_ZN7rocprim17ROCPRIM_400000_NS6detail17trampoline_kernelINS0_14default_configENS1_35adjacent_difference_config_selectorILb0ElEEZNS1_24adjacent_difference_implIS3_Lb0ELb0EPlS7_ZN2at6native12_GLOBAL__N_124unique_dim_cuda_templateIlEESt5tupleIJNS8_6TensorESD_SD_EERKSD_lbbbEUlllE1_EE10hipError_tPvRmT2_T3_mT4_P12ihipStream_tbEUlT_E_NS1_11comp_targetILNS1_3genE3ELNS1_11target_archE908ELNS1_3gpuE7ELNS1_3repE0EEENS1_30default_config_static_selectorELNS0_4arch9wavefront6targetE0EEEvT1_
; %bb.0:
	.section	.rodata,"a",@progbits
	.p2align	6, 0x0
	.amdhsa_kernel _ZN7rocprim17ROCPRIM_400000_NS6detail17trampoline_kernelINS0_14default_configENS1_35adjacent_difference_config_selectorILb0ElEEZNS1_24adjacent_difference_implIS3_Lb0ELb0EPlS7_ZN2at6native12_GLOBAL__N_124unique_dim_cuda_templateIlEESt5tupleIJNS8_6TensorESD_SD_EERKSD_lbbbEUlllE1_EE10hipError_tPvRmT2_T3_mT4_P12ihipStream_tbEUlT_E_NS1_11comp_targetILNS1_3genE3ELNS1_11target_archE908ELNS1_3gpuE7ELNS1_3repE0EEENS1_30default_config_static_selectorELNS0_4arch9wavefront6targetE0EEEvT1_
		.amdhsa_group_segment_fixed_size 0
		.amdhsa_private_segment_fixed_size 0
		.amdhsa_kernarg_size 64
		.amdhsa_user_sgpr_count 15
		.amdhsa_user_sgpr_dispatch_ptr 0
		.amdhsa_user_sgpr_queue_ptr 0
		.amdhsa_user_sgpr_kernarg_segment_ptr 1
		.amdhsa_user_sgpr_dispatch_id 0
		.amdhsa_user_sgpr_private_segment_size 0
		.amdhsa_wavefront_size32 1
		.amdhsa_uses_dynamic_stack 0
		.amdhsa_enable_private_segment 0
		.amdhsa_system_sgpr_workgroup_id_x 1
		.amdhsa_system_sgpr_workgroup_id_y 0
		.amdhsa_system_sgpr_workgroup_id_z 0
		.amdhsa_system_sgpr_workgroup_info 0
		.amdhsa_system_vgpr_workitem_id 0
		.amdhsa_next_free_vgpr 1
		.amdhsa_next_free_sgpr 1
		.amdhsa_reserve_vcc 0
		.amdhsa_float_round_mode_32 0
		.amdhsa_float_round_mode_16_64 0
		.amdhsa_float_denorm_mode_32 3
		.amdhsa_float_denorm_mode_16_64 3
		.amdhsa_dx10_clamp 1
		.amdhsa_ieee_mode 1
		.amdhsa_fp16_overflow 0
		.amdhsa_workgroup_processor_mode 1
		.amdhsa_memory_ordered 1
		.amdhsa_forward_progress 0
		.amdhsa_shared_vgpr_count 0
		.amdhsa_exception_fp_ieee_invalid_op 0
		.amdhsa_exception_fp_denorm_src 0
		.amdhsa_exception_fp_ieee_div_zero 0
		.amdhsa_exception_fp_ieee_overflow 0
		.amdhsa_exception_fp_ieee_underflow 0
		.amdhsa_exception_fp_ieee_inexact 0
		.amdhsa_exception_int_div_zero 0
	.end_amdhsa_kernel
	.section	.text._ZN7rocprim17ROCPRIM_400000_NS6detail17trampoline_kernelINS0_14default_configENS1_35adjacent_difference_config_selectorILb0ElEEZNS1_24adjacent_difference_implIS3_Lb0ELb0EPlS7_ZN2at6native12_GLOBAL__N_124unique_dim_cuda_templateIlEESt5tupleIJNS8_6TensorESD_SD_EERKSD_lbbbEUlllE1_EE10hipError_tPvRmT2_T3_mT4_P12ihipStream_tbEUlT_E_NS1_11comp_targetILNS1_3genE3ELNS1_11target_archE908ELNS1_3gpuE7ELNS1_3repE0EEENS1_30default_config_static_selectorELNS0_4arch9wavefront6targetE0EEEvT1_,"axG",@progbits,_ZN7rocprim17ROCPRIM_400000_NS6detail17trampoline_kernelINS0_14default_configENS1_35adjacent_difference_config_selectorILb0ElEEZNS1_24adjacent_difference_implIS3_Lb0ELb0EPlS7_ZN2at6native12_GLOBAL__N_124unique_dim_cuda_templateIlEESt5tupleIJNS8_6TensorESD_SD_EERKSD_lbbbEUlllE1_EE10hipError_tPvRmT2_T3_mT4_P12ihipStream_tbEUlT_E_NS1_11comp_targetILNS1_3genE3ELNS1_11target_archE908ELNS1_3gpuE7ELNS1_3repE0EEENS1_30default_config_static_selectorELNS0_4arch9wavefront6targetE0EEEvT1_,comdat
.Lfunc_end542:
	.size	_ZN7rocprim17ROCPRIM_400000_NS6detail17trampoline_kernelINS0_14default_configENS1_35adjacent_difference_config_selectorILb0ElEEZNS1_24adjacent_difference_implIS3_Lb0ELb0EPlS7_ZN2at6native12_GLOBAL__N_124unique_dim_cuda_templateIlEESt5tupleIJNS8_6TensorESD_SD_EERKSD_lbbbEUlllE1_EE10hipError_tPvRmT2_T3_mT4_P12ihipStream_tbEUlT_E_NS1_11comp_targetILNS1_3genE3ELNS1_11target_archE908ELNS1_3gpuE7ELNS1_3repE0EEENS1_30default_config_static_selectorELNS0_4arch9wavefront6targetE0EEEvT1_, .Lfunc_end542-_ZN7rocprim17ROCPRIM_400000_NS6detail17trampoline_kernelINS0_14default_configENS1_35adjacent_difference_config_selectorILb0ElEEZNS1_24adjacent_difference_implIS3_Lb0ELb0EPlS7_ZN2at6native12_GLOBAL__N_124unique_dim_cuda_templateIlEESt5tupleIJNS8_6TensorESD_SD_EERKSD_lbbbEUlllE1_EE10hipError_tPvRmT2_T3_mT4_P12ihipStream_tbEUlT_E_NS1_11comp_targetILNS1_3genE3ELNS1_11target_archE908ELNS1_3gpuE7ELNS1_3repE0EEENS1_30default_config_static_selectorELNS0_4arch9wavefront6targetE0EEEvT1_
                                        ; -- End function
	.section	.AMDGPU.csdata,"",@progbits
; Kernel info:
; codeLenInByte = 0
; NumSgprs: 0
; NumVgprs: 0
; ScratchSize: 0
; MemoryBound: 0
; FloatMode: 240
; IeeeMode: 1
; LDSByteSize: 0 bytes/workgroup (compile time only)
; SGPRBlocks: 0
; VGPRBlocks: 0
; NumSGPRsForWavesPerEU: 1
; NumVGPRsForWavesPerEU: 1
; Occupancy: 16
; WaveLimiterHint : 0
; COMPUTE_PGM_RSRC2:SCRATCH_EN: 0
; COMPUTE_PGM_RSRC2:USER_SGPR: 15
; COMPUTE_PGM_RSRC2:TRAP_HANDLER: 0
; COMPUTE_PGM_RSRC2:TGID_X_EN: 1
; COMPUTE_PGM_RSRC2:TGID_Y_EN: 0
; COMPUTE_PGM_RSRC2:TGID_Z_EN: 0
; COMPUTE_PGM_RSRC2:TIDIG_COMP_CNT: 0
	.section	.text._ZN7rocprim17ROCPRIM_400000_NS6detail17trampoline_kernelINS0_14default_configENS1_35adjacent_difference_config_selectorILb0ElEEZNS1_24adjacent_difference_implIS3_Lb0ELb0EPlS7_ZN2at6native12_GLOBAL__N_124unique_dim_cuda_templateIlEESt5tupleIJNS8_6TensorESD_SD_EERKSD_lbbbEUlllE1_EE10hipError_tPvRmT2_T3_mT4_P12ihipStream_tbEUlT_E_NS1_11comp_targetILNS1_3genE2ELNS1_11target_archE906ELNS1_3gpuE6ELNS1_3repE0EEENS1_30default_config_static_selectorELNS0_4arch9wavefront6targetE0EEEvT1_,"axG",@progbits,_ZN7rocprim17ROCPRIM_400000_NS6detail17trampoline_kernelINS0_14default_configENS1_35adjacent_difference_config_selectorILb0ElEEZNS1_24adjacent_difference_implIS3_Lb0ELb0EPlS7_ZN2at6native12_GLOBAL__N_124unique_dim_cuda_templateIlEESt5tupleIJNS8_6TensorESD_SD_EERKSD_lbbbEUlllE1_EE10hipError_tPvRmT2_T3_mT4_P12ihipStream_tbEUlT_E_NS1_11comp_targetILNS1_3genE2ELNS1_11target_archE906ELNS1_3gpuE6ELNS1_3repE0EEENS1_30default_config_static_selectorELNS0_4arch9wavefront6targetE0EEEvT1_,comdat
	.globl	_ZN7rocprim17ROCPRIM_400000_NS6detail17trampoline_kernelINS0_14default_configENS1_35adjacent_difference_config_selectorILb0ElEEZNS1_24adjacent_difference_implIS3_Lb0ELb0EPlS7_ZN2at6native12_GLOBAL__N_124unique_dim_cuda_templateIlEESt5tupleIJNS8_6TensorESD_SD_EERKSD_lbbbEUlllE1_EE10hipError_tPvRmT2_T3_mT4_P12ihipStream_tbEUlT_E_NS1_11comp_targetILNS1_3genE2ELNS1_11target_archE906ELNS1_3gpuE6ELNS1_3repE0EEENS1_30default_config_static_selectorELNS0_4arch9wavefront6targetE0EEEvT1_ ; -- Begin function _ZN7rocprim17ROCPRIM_400000_NS6detail17trampoline_kernelINS0_14default_configENS1_35adjacent_difference_config_selectorILb0ElEEZNS1_24adjacent_difference_implIS3_Lb0ELb0EPlS7_ZN2at6native12_GLOBAL__N_124unique_dim_cuda_templateIlEESt5tupleIJNS8_6TensorESD_SD_EERKSD_lbbbEUlllE1_EE10hipError_tPvRmT2_T3_mT4_P12ihipStream_tbEUlT_E_NS1_11comp_targetILNS1_3genE2ELNS1_11target_archE906ELNS1_3gpuE6ELNS1_3repE0EEENS1_30default_config_static_selectorELNS0_4arch9wavefront6targetE0EEEvT1_
	.p2align	8
	.type	_ZN7rocprim17ROCPRIM_400000_NS6detail17trampoline_kernelINS0_14default_configENS1_35adjacent_difference_config_selectorILb0ElEEZNS1_24adjacent_difference_implIS3_Lb0ELb0EPlS7_ZN2at6native12_GLOBAL__N_124unique_dim_cuda_templateIlEESt5tupleIJNS8_6TensorESD_SD_EERKSD_lbbbEUlllE1_EE10hipError_tPvRmT2_T3_mT4_P12ihipStream_tbEUlT_E_NS1_11comp_targetILNS1_3genE2ELNS1_11target_archE906ELNS1_3gpuE6ELNS1_3repE0EEENS1_30default_config_static_selectorELNS0_4arch9wavefront6targetE0EEEvT1_,@function
_ZN7rocprim17ROCPRIM_400000_NS6detail17trampoline_kernelINS0_14default_configENS1_35adjacent_difference_config_selectorILb0ElEEZNS1_24adjacent_difference_implIS3_Lb0ELb0EPlS7_ZN2at6native12_GLOBAL__N_124unique_dim_cuda_templateIlEESt5tupleIJNS8_6TensorESD_SD_EERKSD_lbbbEUlllE1_EE10hipError_tPvRmT2_T3_mT4_P12ihipStream_tbEUlT_E_NS1_11comp_targetILNS1_3genE2ELNS1_11target_archE906ELNS1_3gpuE6ELNS1_3repE0EEENS1_30default_config_static_selectorELNS0_4arch9wavefront6targetE0EEEvT1_: ; @_ZN7rocprim17ROCPRIM_400000_NS6detail17trampoline_kernelINS0_14default_configENS1_35adjacent_difference_config_selectorILb0ElEEZNS1_24adjacent_difference_implIS3_Lb0ELb0EPlS7_ZN2at6native12_GLOBAL__N_124unique_dim_cuda_templateIlEESt5tupleIJNS8_6TensorESD_SD_EERKSD_lbbbEUlllE1_EE10hipError_tPvRmT2_T3_mT4_P12ihipStream_tbEUlT_E_NS1_11comp_targetILNS1_3genE2ELNS1_11target_archE906ELNS1_3gpuE6ELNS1_3repE0EEENS1_30default_config_static_selectorELNS0_4arch9wavefront6targetE0EEEvT1_
; %bb.0:
	.section	.rodata,"a",@progbits
	.p2align	6, 0x0
	.amdhsa_kernel _ZN7rocprim17ROCPRIM_400000_NS6detail17trampoline_kernelINS0_14default_configENS1_35adjacent_difference_config_selectorILb0ElEEZNS1_24adjacent_difference_implIS3_Lb0ELb0EPlS7_ZN2at6native12_GLOBAL__N_124unique_dim_cuda_templateIlEESt5tupleIJNS8_6TensorESD_SD_EERKSD_lbbbEUlllE1_EE10hipError_tPvRmT2_T3_mT4_P12ihipStream_tbEUlT_E_NS1_11comp_targetILNS1_3genE2ELNS1_11target_archE906ELNS1_3gpuE6ELNS1_3repE0EEENS1_30default_config_static_selectorELNS0_4arch9wavefront6targetE0EEEvT1_
		.amdhsa_group_segment_fixed_size 0
		.amdhsa_private_segment_fixed_size 0
		.amdhsa_kernarg_size 64
		.amdhsa_user_sgpr_count 15
		.amdhsa_user_sgpr_dispatch_ptr 0
		.amdhsa_user_sgpr_queue_ptr 0
		.amdhsa_user_sgpr_kernarg_segment_ptr 1
		.amdhsa_user_sgpr_dispatch_id 0
		.amdhsa_user_sgpr_private_segment_size 0
		.amdhsa_wavefront_size32 1
		.amdhsa_uses_dynamic_stack 0
		.amdhsa_enable_private_segment 0
		.amdhsa_system_sgpr_workgroup_id_x 1
		.amdhsa_system_sgpr_workgroup_id_y 0
		.amdhsa_system_sgpr_workgroup_id_z 0
		.amdhsa_system_sgpr_workgroup_info 0
		.amdhsa_system_vgpr_workitem_id 0
		.amdhsa_next_free_vgpr 1
		.amdhsa_next_free_sgpr 1
		.amdhsa_reserve_vcc 0
		.amdhsa_float_round_mode_32 0
		.amdhsa_float_round_mode_16_64 0
		.amdhsa_float_denorm_mode_32 3
		.amdhsa_float_denorm_mode_16_64 3
		.amdhsa_dx10_clamp 1
		.amdhsa_ieee_mode 1
		.amdhsa_fp16_overflow 0
		.amdhsa_workgroup_processor_mode 1
		.amdhsa_memory_ordered 1
		.amdhsa_forward_progress 0
		.amdhsa_shared_vgpr_count 0
		.amdhsa_exception_fp_ieee_invalid_op 0
		.amdhsa_exception_fp_denorm_src 0
		.amdhsa_exception_fp_ieee_div_zero 0
		.amdhsa_exception_fp_ieee_overflow 0
		.amdhsa_exception_fp_ieee_underflow 0
		.amdhsa_exception_fp_ieee_inexact 0
		.amdhsa_exception_int_div_zero 0
	.end_amdhsa_kernel
	.section	.text._ZN7rocprim17ROCPRIM_400000_NS6detail17trampoline_kernelINS0_14default_configENS1_35adjacent_difference_config_selectorILb0ElEEZNS1_24adjacent_difference_implIS3_Lb0ELb0EPlS7_ZN2at6native12_GLOBAL__N_124unique_dim_cuda_templateIlEESt5tupleIJNS8_6TensorESD_SD_EERKSD_lbbbEUlllE1_EE10hipError_tPvRmT2_T3_mT4_P12ihipStream_tbEUlT_E_NS1_11comp_targetILNS1_3genE2ELNS1_11target_archE906ELNS1_3gpuE6ELNS1_3repE0EEENS1_30default_config_static_selectorELNS0_4arch9wavefront6targetE0EEEvT1_,"axG",@progbits,_ZN7rocprim17ROCPRIM_400000_NS6detail17trampoline_kernelINS0_14default_configENS1_35adjacent_difference_config_selectorILb0ElEEZNS1_24adjacent_difference_implIS3_Lb0ELb0EPlS7_ZN2at6native12_GLOBAL__N_124unique_dim_cuda_templateIlEESt5tupleIJNS8_6TensorESD_SD_EERKSD_lbbbEUlllE1_EE10hipError_tPvRmT2_T3_mT4_P12ihipStream_tbEUlT_E_NS1_11comp_targetILNS1_3genE2ELNS1_11target_archE906ELNS1_3gpuE6ELNS1_3repE0EEENS1_30default_config_static_selectorELNS0_4arch9wavefront6targetE0EEEvT1_,comdat
.Lfunc_end543:
	.size	_ZN7rocprim17ROCPRIM_400000_NS6detail17trampoline_kernelINS0_14default_configENS1_35adjacent_difference_config_selectorILb0ElEEZNS1_24adjacent_difference_implIS3_Lb0ELb0EPlS7_ZN2at6native12_GLOBAL__N_124unique_dim_cuda_templateIlEESt5tupleIJNS8_6TensorESD_SD_EERKSD_lbbbEUlllE1_EE10hipError_tPvRmT2_T3_mT4_P12ihipStream_tbEUlT_E_NS1_11comp_targetILNS1_3genE2ELNS1_11target_archE906ELNS1_3gpuE6ELNS1_3repE0EEENS1_30default_config_static_selectorELNS0_4arch9wavefront6targetE0EEEvT1_, .Lfunc_end543-_ZN7rocprim17ROCPRIM_400000_NS6detail17trampoline_kernelINS0_14default_configENS1_35adjacent_difference_config_selectorILb0ElEEZNS1_24adjacent_difference_implIS3_Lb0ELb0EPlS7_ZN2at6native12_GLOBAL__N_124unique_dim_cuda_templateIlEESt5tupleIJNS8_6TensorESD_SD_EERKSD_lbbbEUlllE1_EE10hipError_tPvRmT2_T3_mT4_P12ihipStream_tbEUlT_E_NS1_11comp_targetILNS1_3genE2ELNS1_11target_archE906ELNS1_3gpuE6ELNS1_3repE0EEENS1_30default_config_static_selectorELNS0_4arch9wavefront6targetE0EEEvT1_
                                        ; -- End function
	.section	.AMDGPU.csdata,"",@progbits
; Kernel info:
; codeLenInByte = 0
; NumSgprs: 0
; NumVgprs: 0
; ScratchSize: 0
; MemoryBound: 0
; FloatMode: 240
; IeeeMode: 1
; LDSByteSize: 0 bytes/workgroup (compile time only)
; SGPRBlocks: 0
; VGPRBlocks: 0
; NumSGPRsForWavesPerEU: 1
; NumVGPRsForWavesPerEU: 1
; Occupancy: 16
; WaveLimiterHint : 0
; COMPUTE_PGM_RSRC2:SCRATCH_EN: 0
; COMPUTE_PGM_RSRC2:USER_SGPR: 15
; COMPUTE_PGM_RSRC2:TRAP_HANDLER: 0
; COMPUTE_PGM_RSRC2:TGID_X_EN: 1
; COMPUTE_PGM_RSRC2:TGID_Y_EN: 0
; COMPUTE_PGM_RSRC2:TGID_Z_EN: 0
; COMPUTE_PGM_RSRC2:TIDIG_COMP_CNT: 0
	.section	.text._ZN7rocprim17ROCPRIM_400000_NS6detail17trampoline_kernelINS0_14default_configENS1_35adjacent_difference_config_selectorILb0ElEEZNS1_24adjacent_difference_implIS3_Lb0ELb0EPlS7_ZN2at6native12_GLOBAL__N_124unique_dim_cuda_templateIlEESt5tupleIJNS8_6TensorESD_SD_EERKSD_lbbbEUlllE1_EE10hipError_tPvRmT2_T3_mT4_P12ihipStream_tbEUlT_E_NS1_11comp_targetILNS1_3genE9ELNS1_11target_archE1100ELNS1_3gpuE3ELNS1_3repE0EEENS1_30default_config_static_selectorELNS0_4arch9wavefront6targetE0EEEvT1_,"axG",@progbits,_ZN7rocprim17ROCPRIM_400000_NS6detail17trampoline_kernelINS0_14default_configENS1_35adjacent_difference_config_selectorILb0ElEEZNS1_24adjacent_difference_implIS3_Lb0ELb0EPlS7_ZN2at6native12_GLOBAL__N_124unique_dim_cuda_templateIlEESt5tupleIJNS8_6TensorESD_SD_EERKSD_lbbbEUlllE1_EE10hipError_tPvRmT2_T3_mT4_P12ihipStream_tbEUlT_E_NS1_11comp_targetILNS1_3genE9ELNS1_11target_archE1100ELNS1_3gpuE3ELNS1_3repE0EEENS1_30default_config_static_selectorELNS0_4arch9wavefront6targetE0EEEvT1_,comdat
	.globl	_ZN7rocprim17ROCPRIM_400000_NS6detail17trampoline_kernelINS0_14default_configENS1_35adjacent_difference_config_selectorILb0ElEEZNS1_24adjacent_difference_implIS3_Lb0ELb0EPlS7_ZN2at6native12_GLOBAL__N_124unique_dim_cuda_templateIlEESt5tupleIJNS8_6TensorESD_SD_EERKSD_lbbbEUlllE1_EE10hipError_tPvRmT2_T3_mT4_P12ihipStream_tbEUlT_E_NS1_11comp_targetILNS1_3genE9ELNS1_11target_archE1100ELNS1_3gpuE3ELNS1_3repE0EEENS1_30default_config_static_selectorELNS0_4arch9wavefront6targetE0EEEvT1_ ; -- Begin function _ZN7rocprim17ROCPRIM_400000_NS6detail17trampoline_kernelINS0_14default_configENS1_35adjacent_difference_config_selectorILb0ElEEZNS1_24adjacent_difference_implIS3_Lb0ELb0EPlS7_ZN2at6native12_GLOBAL__N_124unique_dim_cuda_templateIlEESt5tupleIJNS8_6TensorESD_SD_EERKSD_lbbbEUlllE1_EE10hipError_tPvRmT2_T3_mT4_P12ihipStream_tbEUlT_E_NS1_11comp_targetILNS1_3genE9ELNS1_11target_archE1100ELNS1_3gpuE3ELNS1_3repE0EEENS1_30default_config_static_selectorELNS0_4arch9wavefront6targetE0EEEvT1_
	.p2align	8
	.type	_ZN7rocprim17ROCPRIM_400000_NS6detail17trampoline_kernelINS0_14default_configENS1_35adjacent_difference_config_selectorILb0ElEEZNS1_24adjacent_difference_implIS3_Lb0ELb0EPlS7_ZN2at6native12_GLOBAL__N_124unique_dim_cuda_templateIlEESt5tupleIJNS8_6TensorESD_SD_EERKSD_lbbbEUlllE1_EE10hipError_tPvRmT2_T3_mT4_P12ihipStream_tbEUlT_E_NS1_11comp_targetILNS1_3genE9ELNS1_11target_archE1100ELNS1_3gpuE3ELNS1_3repE0EEENS1_30default_config_static_selectorELNS0_4arch9wavefront6targetE0EEEvT1_,@function
_ZN7rocprim17ROCPRIM_400000_NS6detail17trampoline_kernelINS0_14default_configENS1_35adjacent_difference_config_selectorILb0ElEEZNS1_24adjacent_difference_implIS3_Lb0ELb0EPlS7_ZN2at6native12_GLOBAL__N_124unique_dim_cuda_templateIlEESt5tupleIJNS8_6TensorESD_SD_EERKSD_lbbbEUlllE1_EE10hipError_tPvRmT2_T3_mT4_P12ihipStream_tbEUlT_E_NS1_11comp_targetILNS1_3genE9ELNS1_11target_archE1100ELNS1_3gpuE3ELNS1_3repE0EEENS1_30default_config_static_selectorELNS0_4arch9wavefront6targetE0EEEvT1_: ; @_ZN7rocprim17ROCPRIM_400000_NS6detail17trampoline_kernelINS0_14default_configENS1_35adjacent_difference_config_selectorILb0ElEEZNS1_24adjacent_difference_implIS3_Lb0ELb0EPlS7_ZN2at6native12_GLOBAL__N_124unique_dim_cuda_templateIlEESt5tupleIJNS8_6TensorESD_SD_EERKSD_lbbbEUlllE1_EE10hipError_tPvRmT2_T3_mT4_P12ihipStream_tbEUlT_E_NS1_11comp_targetILNS1_3genE9ELNS1_11target_archE1100ELNS1_3gpuE3ELNS1_3repE0EEENS1_30default_config_static_selectorELNS0_4arch9wavefront6targetE0EEEvT1_
; %bb.0:
	s_clause 0x1
	s_load_b256 s[4:11], s[0:1], 0x0
	s_load_b64 s[18:19], s[0:1], 0x38
	s_mov_b32 s17, 0
	s_waitcnt lgkmcnt(0)
	s_lshl_b64 s[12:13], s[6:7], 3
	s_delay_alu instid0(SALU_CYCLE_1)
	s_add_u32 s20, s4, s12
	s_addc_u32 s21, s5, s13
	s_load_b128 s[4:7], s[0:1], 0x20
	s_and_b32 s16, s10, 0x1ff
	s_lshl_b32 s2, s15, 9
	s_lshr_b64 s[22:23], s[10:11], 9
	s_cmp_lg_u64 s[16:17], 0
	s_cselect_b32 s3, -1, 0
	s_delay_alu instid0(SALU_CYCLE_1) | instskip(NEXT) | instid1(VALU_DEP_1)
	v_cndmask_b32_e64 v1, 0, 1, s3
	v_readfirstlane_b32 s3, v1
	s_delay_alu instid0(VALU_DEP_1)
	s_add_u32 s16, s22, s3
	s_addc_u32 s17, s23, 0
	s_add_u32 s18, s18, s15
	s_addc_u32 s19, s19, 0
	s_add_u32 s14, s16, -1
	s_addc_u32 s15, s17, -1
	s_delay_alu instid0(SALU_CYCLE_1) | instskip(NEXT) | instid1(VALU_DEP_1)
	v_cmp_ge_u64_e64 s1, s[18:19], s[14:15]
	s_and_b32 vcc_lo, exec_lo, s1
	s_cbranch_vccz .LBB544_4
; %bb.1:
	s_lshl_b32 s0, s14, 9
                                        ; implicit-def: $vgpr1_vgpr2
	s_delay_alu instid0(SALU_CYCLE_1) | instskip(NEXT) | instid1(SALU_CYCLE_1)
	s_sub_i32 s0, s10, s0
	v_cmp_gt_u32_e32 vcc_lo, s0, v0
	s_and_saveexec_b32 s0, vcc_lo
	s_cbranch_execz .LBB544_3
; %bb.2:
	s_mov_b32 s3, 0
	v_lshlrev_b32_e32 v1, 3, v0
	s_lshl_b64 s[22:23], s[2:3], 3
	s_delay_alu instid0(SALU_CYCLE_1)
	s_add_u32 s22, s20, s22
	s_addc_u32 s23, s21, s23
	global_load_b64 v[1:2], v1, s[22:23]
.LBB544_3:
	s_or_b32 exec_lo, exec_lo, s0
	v_lshlrev_b32_e32 v3, 3, v0
	s_waitcnt vmcnt(0)
	ds_store_b64 v3, v[1:2]
	s_waitcnt lgkmcnt(0)
	s_barrier
	v_lshlrev_b32_e32 v9, 3, v0
	s_branch .LBB544_6
.LBB544_4:
                                        ; implicit-def: $vgpr3
	v_lshlrev_b32_e32 v9, 3, v0
	s_cbranch_execz .LBB544_6
; %bb.5:
	s_mov_b32 s3, 0
	s_delay_alu instid0(VALU_DEP_1) | instskip(SKIP_1) | instid1(SALU_CYCLE_1)
	v_mov_b32_e32 v3, v9
	s_lshl_b64 s[22:23], s[2:3], 3
	s_add_u32 s22, s20, s22
	s_addc_u32 s23, s21, s23
	global_load_b64 v[1:2], v9, s[22:23]
	s_waitcnt vmcnt(0)
	ds_store_b64 v9, v[1:2]
	s_waitcnt lgkmcnt(0)
	s_barrier
.LBB544_6:
	s_waitcnt lgkmcnt(0)
	buffer_gl0_inv
	ds_load_b64 v[1:2], v3
	s_cmp_eq_u64 s[18:19], 0
	s_waitcnt lgkmcnt(0)
	s_barrier
	buffer_gl0_inv
	s_cbranch_scc1 .LBB544_17
; %bb.7:
	s_mov_b32 s3, 0
	s_delay_alu instid0(SALU_CYCLE_1) | instskip(NEXT) | instid1(SALU_CYCLE_1)
	s_lshl_b64 s[22:23], s[2:3], 3
	s_add_u32 s0, s20, s22
	s_addc_u32 s11, s21, s23
	s_add_u32 s20, s0, -8
	s_addc_u32 s21, s11, -1
	s_cmp_lg_u64 s[18:19], s[14:15]
	s_load_b64 s[20:21], s[20:21], 0x0
	s_cbranch_scc0 .LBB544_18
; %bb.8:
	s_waitcnt lgkmcnt(0)
	v_dual_mov_b32 v3, s20 :: v_dual_mov_b32 v4, s21
	s_mov_b32 s0, 0
	s_mov_b32 s3, exec_lo
	ds_store_b64 v9, v[1:2]
	s_waitcnt lgkmcnt(0)
	s_barrier
	buffer_gl0_inv
	v_cmpx_ne_u32_e32 0, v0
	s_cbranch_execz .LBB544_10
; %bb.9:
	v_add_nc_u32_e32 v3, -8, v9
	ds_load_b64 v[3:4], v3
.LBB544_10:
	s_or_b32 exec_lo, exec_lo, s3
	v_cmp_lt_i64_e64 s3, s[4:5], 1
	s_delay_alu instid0(VALU_DEP_1)
	s_and_b32 vcc_lo, exec_lo, s3
	s_cbranch_vccnz .LBB544_21
; %bb.11:
	v_mul_lo_u32 v10, v2, s4
	v_mul_lo_u32 v11, v1, s5
	v_mad_u64_u32 v[5:6], null, v1, s4, 0
	s_waitcnt lgkmcnt(0)
	v_mul_lo_u32 v4, v4, s4
	v_mul_lo_u32 v12, v3, s5
	v_mad_u64_u32 v[7:8], null, v3, s4, 0
	s_mov_b32 s0, -1
	s_mov_b32 s3, exec_lo
	s_delay_alu instid0(VALU_DEP_4) | instskip(NEXT) | instid1(VALU_DEP_2)
	v_add3_u32 v6, v6, v11, v10
	v_add3_u32 v8, v8, v12, v4
	s_delay_alu instid0(VALU_DEP_2) | instskip(NEXT) | instid1(VALU_DEP_2)
	v_lshlrev_b64 v[3:4], 3, v[5:6]
	v_lshlrev_b64 v[7:8], 3, v[7:8]
	s_delay_alu instid0(VALU_DEP_2) | instskip(NEXT) | instid1(VALU_DEP_3)
	v_add_co_u32 v5, vcc_lo, s6, v3
	v_add_co_ci_u32_e32 v6, vcc_lo, s7, v4, vcc_lo
	s_delay_alu instid0(VALU_DEP_3) | instskip(NEXT) | instid1(VALU_DEP_4)
	v_add_co_u32 v3, vcc_lo, s6, v7
	v_add_co_ci_u32_e32 v4, vcc_lo, s7, v8, vcc_lo
	s_clause 0x1
	global_load_b64 v[7:8], v[5:6], off
	global_load_b64 v[10:11], v[3:4], off
	s_waitcnt vmcnt(0)
	v_cmpx_eq_u64_e64 v[7:8], v[10:11]
	s_cbranch_execz .LBB544_20
; %bb.12:
	v_add_co_u32 v3, vcc_lo, v3, 8
	v_add_co_ci_u32_e32 v4, vcc_lo, 0, v4, vcc_lo
	v_add_co_u32 v5, vcc_lo, v5, 8
	v_add_co_ci_u32_e32 v6, vcc_lo, 0, v6, vcc_lo
	s_add_u32 s22, s4, -1
	s_addc_u32 s23, s5, -1
	s_mov_b64 s[24:25], 0
	s_mov_b32 s11, 0
                                        ; implicit-def: $sgpr15
	s_set_inst_prefetch_distance 0x1
	s_branch .LBB544_15
	.p2align	6
.LBB544_13:                             ;   in Loop: Header=BB544_15 Depth=1
	global_load_b64 v[7:8], v[5:6], off
	global_load_b64 v[10:11], v[3:4], off
	v_add_co_u32 v3, vcc_lo, v3, 8
	v_add_co_ci_u32_e32 v4, vcc_lo, 0, v4, vcc_lo
	v_add_co_u32 v5, s0, v5, 8
	s_delay_alu instid0(VALU_DEP_1)
	v_add_co_ci_u32_e64 v6, s0, 0, v6, s0
	s_add_u32 s24, s24, 1
	s_addc_u32 s25, s25, 0
	s_and_not1_b32 s0, s15, exec_lo
	s_waitcnt vmcnt(0)
	v_cmp_ne_u64_e32 vcc_lo, v[7:8], v[10:11]
	s_and_b32 s15, vcc_lo, exec_lo
	s_delay_alu instid0(SALU_CYCLE_1)
	s_or_b32 s15, s0, s15
.LBB544_14:                             ;   in Loop: Header=BB544_15 Depth=1
	v_dual_mov_b32 v7, s24 :: v_dual_mov_b32 v8, s25
	s_and_b32 s0, exec_lo, s15
	s_delay_alu instid0(SALU_CYCLE_1) | instskip(NEXT) | instid1(SALU_CYCLE_1)
	s_or_b32 s11, s0, s11
	s_and_not1_b32 exec_lo, exec_lo, s11
	s_cbranch_execz .LBB544_19
.LBB544_15:                             ; =>This Inner Loop Header: Depth=1
	s_or_b32 s15, s15, exec_lo
	s_cmp_eq_u64 s[22:23], s[24:25]
	s_cbranch_scc0 .LBB544_13
; %bb.16:                               ;   in Loop: Header=BB544_15 Depth=1
	s_mov_b64 s[24:25], s[4:5]
                                        ; implicit-def: $vgpr3_vgpr4
                                        ; implicit-def: $vgpr5_vgpr6
	s_branch .LBB544_14
.LBB544_17:
	s_mov_b32 s3, 0
                                        ; implicit-def: $sgpr0
	s_cbranch_execnz .LBB544_38
	s_branch .LBB544_65
.LBB544_18:
                                        ; implicit-def: $sgpr0
	s_cbranch_execnz .LBB544_22
	s_branch .LBB544_37
.LBB544_19:
	s_set_inst_prefetch_distance 0x2
	s_or_b32 exec_lo, exec_lo, s11
	v_cmp_gt_i64_e32 vcc_lo, s[4:5], v[7:8]
	s_or_not1_b32 s0, vcc_lo, exec_lo
.LBB544_20:
	s_or_b32 exec_lo, exec_lo, s3
.LBB544_21:
	s_mov_b32 s3, -1
	s_branch .LBB544_37
.LBB544_22:
	s_waitcnt lgkmcnt(0)
	v_dual_mov_b32 v3, s20 :: v_dual_mov_b32 v4, s21
	s_mov_b32 s0, exec_lo
	ds_store_b64 v9, v[1:2]
	s_waitcnt lgkmcnt(0)
	s_barrier
	buffer_gl0_inv
	v_cmpx_ne_u32_e32 0, v0
	s_cbranch_execz .LBB544_24
; %bb.23:
	v_add_nc_u32_e32 v3, -8, v9
	ds_load_b64 v[3:4], v3
.LBB544_24:
	s_or_b32 exec_lo, exec_lo, s0
	s_lshl_b32 s0, s18, 9
	s_delay_alu instid0(SALU_CYCLE_1) | instskip(NEXT) | instid1(SALU_CYCLE_1)
	s_sub_i32 s0, s10, s0
	v_cmp_gt_u32_e32 vcc_lo, s0, v0
                                        ; implicit-def: $sgpr0
	s_and_saveexec_b32 s11, vcc_lo
	s_cbranch_execz .LBB544_36
; %bb.25:
	v_cmp_lt_i64_e64 s0, s[4:5], 1
	s_delay_alu instid0(VALU_DEP_1)
	s_and_b32 vcc_lo, exec_lo, s0
	s_cbranch_vccnz .LBB544_32
; %bb.26:
	v_mul_lo_u32 v10, v2, s4
	v_mul_lo_u32 v11, v1, s5
	v_mad_u64_u32 v[5:6], null, v1, s4, 0
	s_waitcnt lgkmcnt(0)
	v_mul_lo_u32 v4, v4, s4
	v_mul_lo_u32 v12, v3, s5
	v_mad_u64_u32 v[7:8], null, v3, s4, 0
	s_mov_b32 s0, -1
	s_mov_b32 s15, exec_lo
	s_delay_alu instid0(VALU_DEP_4) | instskip(NEXT) | instid1(VALU_DEP_2)
	v_add3_u32 v6, v6, v11, v10
	v_add3_u32 v8, v8, v12, v4
	s_delay_alu instid0(VALU_DEP_2) | instskip(NEXT) | instid1(VALU_DEP_2)
	v_lshlrev_b64 v[3:4], 3, v[5:6]
	v_lshlrev_b64 v[7:8], 3, v[7:8]
	s_delay_alu instid0(VALU_DEP_2) | instskip(NEXT) | instid1(VALU_DEP_3)
	v_add_co_u32 v5, vcc_lo, s6, v3
	v_add_co_ci_u32_e32 v6, vcc_lo, s7, v4, vcc_lo
	s_delay_alu instid0(VALU_DEP_3) | instskip(NEXT) | instid1(VALU_DEP_4)
	v_add_co_u32 v3, vcc_lo, s6, v7
	v_add_co_ci_u32_e32 v4, vcc_lo, s7, v8, vcc_lo
	s_clause 0x1
	global_load_b64 v[7:8], v[5:6], off
	global_load_b64 v[10:11], v[3:4], off
	s_waitcnt vmcnt(0)
	v_cmpx_eq_u64_e64 v[7:8], v[10:11]
	s_cbranch_execz .LBB544_34
; %bb.27:
	v_add_co_u32 v3, vcc_lo, v3, 8
	v_add_co_ci_u32_e32 v4, vcc_lo, 0, v4, vcc_lo
	v_add_co_u32 v5, vcc_lo, v5, 8
	v_add_co_ci_u32_e32 v6, vcc_lo, 0, v6, vcc_lo
	s_add_u32 s18, s4, -1
	s_addc_u32 s19, s5, -1
	s_mov_b64 s[20:21], 0
	s_mov_b32 s22, 0
                                        ; implicit-def: $sgpr23
	s_set_inst_prefetch_distance 0x1
	s_branch .LBB544_30
	.p2align	6
.LBB544_28:                             ;   in Loop: Header=BB544_30 Depth=1
	global_load_b64 v[7:8], v[5:6], off
	global_load_b64 v[10:11], v[3:4], off
	v_add_co_u32 v3, vcc_lo, v3, 8
	v_add_co_ci_u32_e32 v4, vcc_lo, 0, v4, vcc_lo
	v_add_co_u32 v5, s0, v5, 8
	s_delay_alu instid0(VALU_DEP_1)
	v_add_co_ci_u32_e64 v6, s0, 0, v6, s0
	s_add_u32 s20, s20, 1
	s_addc_u32 s21, s21, 0
	s_and_not1_b32 s0, s23, exec_lo
	s_waitcnt vmcnt(0)
	v_cmp_ne_u64_e32 vcc_lo, v[7:8], v[10:11]
	s_and_b32 s23, vcc_lo, exec_lo
	s_delay_alu instid0(SALU_CYCLE_1)
	s_or_b32 s23, s0, s23
.LBB544_29:                             ;   in Loop: Header=BB544_30 Depth=1
	v_dual_mov_b32 v7, s20 :: v_dual_mov_b32 v8, s21
	s_and_b32 s0, exec_lo, s23
	s_delay_alu instid0(SALU_CYCLE_1) | instskip(NEXT) | instid1(SALU_CYCLE_1)
	s_or_b32 s22, s0, s22
	s_and_not1_b32 exec_lo, exec_lo, s22
	s_cbranch_execz .LBB544_33
.LBB544_30:                             ; =>This Inner Loop Header: Depth=1
	s_or_b32 s23, s23, exec_lo
	s_cmp_eq_u64 s[18:19], s[20:21]
	s_cbranch_scc0 .LBB544_28
; %bb.31:                               ;   in Loop: Header=BB544_30 Depth=1
	s_mov_b64 s[20:21], s[4:5]
                                        ; implicit-def: $vgpr3_vgpr4
                                        ; implicit-def: $vgpr5_vgpr6
	s_branch .LBB544_29
.LBB544_32:
	s_mov_b32 s0, 0
	s_branch .LBB544_35
.LBB544_33:
	s_set_inst_prefetch_distance 0x2
	s_or_b32 exec_lo, exec_lo, s22
	v_cmp_gt_i64_e32 vcc_lo, s[4:5], v[7:8]
	s_or_not1_b32 s0, vcc_lo, exec_lo
.LBB544_34:
	s_or_b32 exec_lo, exec_lo, s15
.LBB544_35:
	s_delay_alu instid0(SALU_CYCLE_1)
	s_and_b32 s0, s0, exec_lo
	s_or_b32 s3, s3, exec_lo
.LBB544_36:
	s_or_b32 exec_lo, exec_lo, s11
.LBB544_37:
	s_branch .LBB544_65
.LBB544_38:
	s_cmp_lg_u64 s[16:17], 1
	s_cbranch_scc0 .LBB544_47
; %bb.39:
	s_mov_b32 s11, 0
	s_mov_b32 s15, exec_lo
	ds_store_b64 v9, v[1:2]
	s_waitcnt lgkmcnt(0)
	s_barrier
	buffer_gl0_inv
                                        ; implicit-def: $sgpr0
	v_cmpx_ne_u32_e32 0, v0
	s_cbranch_execz .LBB544_48
; %bb.40:
	v_cmp_lt_i64_e64 s0, s[4:5], 1
	s_delay_alu instid0(VALU_DEP_1)
	s_and_b32 vcc_lo, exec_lo, s0
	s_cbranch_vccnz .LBB544_49
; %bb.41:
	v_add_nc_u32_e32 v3, -8, v9
	v_mul_lo_u32 v10, v2, s4
	v_mul_lo_u32 v11, v1, s5
	v_mad_u64_u32 v[5:6], null, v1, s4, 0
	ds_load_b64 v[3:4], v3
	s_mov_b32 s0, -1
	s_mov_b32 s20, exec_lo
	v_add3_u32 v6, v6, v11, v10
	s_waitcnt lgkmcnt(0)
	v_mul_lo_u32 v4, v4, s4
	v_mul_lo_u32 v12, v3, s5
	v_mad_u64_u32 v[7:8], null, v3, s4, 0
	s_delay_alu instid0(VALU_DEP_1) | instskip(SKIP_1) | instid1(VALU_DEP_2)
	v_add3_u32 v8, v8, v12, v4
	v_lshlrev_b64 v[3:4], 3, v[5:6]
	v_lshlrev_b64 v[7:8], 3, v[7:8]
	s_delay_alu instid0(VALU_DEP_2) | instskip(NEXT) | instid1(VALU_DEP_3)
	v_add_co_u32 v5, vcc_lo, s6, v3
	v_add_co_ci_u32_e32 v6, vcc_lo, s7, v4, vcc_lo
	s_delay_alu instid0(VALU_DEP_3) | instskip(NEXT) | instid1(VALU_DEP_4)
	v_add_co_u32 v3, vcc_lo, s6, v7
	v_add_co_ci_u32_e32 v4, vcc_lo, s7, v8, vcc_lo
	s_clause 0x1
	global_load_b64 v[7:8], v[5:6], off
	global_load_b64 v[10:11], v[3:4], off
	s_waitcnt vmcnt(0)
	v_cmpx_eq_u64_e64 v[7:8], v[10:11]
	s_cbranch_execz .LBB544_51
; %bb.42:
	v_add_co_u32 v3, vcc_lo, v3, 8
	v_add_co_ci_u32_e32 v4, vcc_lo, 0, v4, vcc_lo
	v_add_co_u32 v5, vcc_lo, v5, 8
	v_add_co_ci_u32_e32 v6, vcc_lo, 0, v6, vcc_lo
	s_add_u32 s16, s4, -1
	s_addc_u32 s17, s5, -1
	s_mov_b64 s[18:19], 0
	s_mov_b32 s21, 0
                                        ; implicit-def: $sgpr22
	s_set_inst_prefetch_distance 0x1
	s_branch .LBB544_45
	.p2align	6
.LBB544_43:                             ;   in Loop: Header=BB544_45 Depth=1
	global_load_b64 v[7:8], v[5:6], off
	global_load_b64 v[10:11], v[3:4], off
	v_add_co_u32 v3, vcc_lo, v3, 8
	v_add_co_ci_u32_e32 v4, vcc_lo, 0, v4, vcc_lo
	v_add_co_u32 v5, s0, v5, 8
	s_delay_alu instid0(VALU_DEP_1)
	v_add_co_ci_u32_e64 v6, s0, 0, v6, s0
	s_add_u32 s18, s18, 1
	s_addc_u32 s19, s19, 0
	s_and_not1_b32 s0, s22, exec_lo
	s_waitcnt vmcnt(0)
	v_cmp_ne_u64_e32 vcc_lo, v[7:8], v[10:11]
	s_and_b32 s22, vcc_lo, exec_lo
	s_delay_alu instid0(SALU_CYCLE_1)
	s_or_b32 s22, s0, s22
.LBB544_44:                             ;   in Loop: Header=BB544_45 Depth=1
	v_dual_mov_b32 v7, s18 :: v_dual_mov_b32 v8, s19
	s_and_b32 s0, exec_lo, s22
	s_delay_alu instid0(SALU_CYCLE_1) | instskip(NEXT) | instid1(SALU_CYCLE_1)
	s_or_b32 s21, s0, s21
	s_and_not1_b32 exec_lo, exec_lo, s21
	s_cbranch_execz .LBB544_50
.LBB544_45:                             ; =>This Inner Loop Header: Depth=1
	s_or_b32 s22, s22, exec_lo
	s_cmp_eq_u64 s[16:17], s[18:19]
	s_cbranch_scc0 .LBB544_43
; %bb.46:                               ;   in Loop: Header=BB544_45 Depth=1
	s_mov_b64 s[18:19], s[4:5]
                                        ; implicit-def: $vgpr3_vgpr4
                                        ; implicit-def: $vgpr5_vgpr6
	s_branch .LBB544_44
.LBB544_47:
                                        ; implicit-def: $sgpr0
	s_cbranch_execnz .LBB544_53
	s_branch .LBB544_65
.LBB544_48:
	s_or_b32 exec_lo, exec_lo, s15
	s_delay_alu instid0(SALU_CYCLE_1)
	s_and_b32 vcc_lo, exec_lo, s11
	s_cbranch_vccnz .LBB544_53
	s_branch .LBB544_65
.LBB544_49:
	s_mov_b32 s0, 0
	s_branch .LBB544_52
.LBB544_50:
	s_set_inst_prefetch_distance 0x2
	s_or_b32 exec_lo, exec_lo, s21
	v_cmp_gt_i64_e32 vcc_lo, s[4:5], v[7:8]
	s_or_not1_b32 s0, vcc_lo, exec_lo
.LBB544_51:
	s_or_b32 exec_lo, exec_lo, s20
.LBB544_52:
	s_delay_alu instid0(SALU_CYCLE_1) | instskip(SKIP_2) | instid1(SALU_CYCLE_1)
	s_and_b32 s0, s0, exec_lo
	s_or_b32 s3, s3, exec_lo
	s_or_b32 exec_lo, exec_lo, s15
	s_and_b32 vcc_lo, exec_lo, s11
	s_cbranch_vccz .LBB544_65
.LBB544_53:
	v_cmp_ne_u32_e32 vcc_lo, 0, v0
	v_cmp_gt_u32_e64 s0, s10, v0
	s_mov_b32 s16, 0
	ds_store_b64 v9, v[1:2]
	s_waitcnt lgkmcnt(0)
	s_barrier
	s_and_b32 s15, vcc_lo, s0
	buffer_gl0_inv
                                        ; implicit-def: $sgpr0
	s_and_saveexec_b32 s11, s15
	s_cbranch_execz .LBB544_64
; %bb.54:
	v_cmp_lt_i64_e64 s0, s[4:5], 1
	s_delay_alu instid0(VALU_DEP_1)
	s_and_b32 vcc_lo, exec_lo, s0
	s_cbranch_vccnz .LBB544_63
; %bb.55:
	v_add_nc_u32_e32 v3, -8, v9
	v_mul_lo_u32 v7, v2, s4
	v_mul_lo_u32 v8, v1, s5
	v_mad_u64_u32 v[5:6], null, v1, s4, 0
	ds_load_b64 v[3:4], v3
	s_mov_b32 s16, -1
	s_mov_b32 s15, exec_lo
	v_add3_u32 v6, v6, v8, v7
	s_waitcnt lgkmcnt(0)
	v_mul_lo_u32 v4, v4, s4
	v_mul_lo_u32 v10, v3, s5
	v_mad_u64_u32 v[1:2], null, v3, s4, 0
	s_delay_alu instid0(VALU_DEP_1) | instskip(SKIP_1) | instid1(VALU_DEP_2)
	v_add3_u32 v2, v2, v10, v4
	v_lshlrev_b64 v[3:4], 3, v[5:6]
	v_lshlrev_b64 v[1:2], 3, v[1:2]
	s_delay_alu instid0(VALU_DEP_2) | instskip(NEXT) | instid1(VALU_DEP_3)
	v_add_co_u32 v3, vcc_lo, s6, v3
	v_add_co_ci_u32_e32 v4, vcc_lo, s7, v4, vcc_lo
	s_delay_alu instid0(VALU_DEP_3) | instskip(NEXT) | instid1(VALU_DEP_4)
	v_add_co_u32 v1, vcc_lo, s6, v1
	v_add_co_ci_u32_e32 v2, vcc_lo, s7, v2, vcc_lo
	s_clause 0x1
	global_load_b64 v[5:6], v[3:4], off
	global_load_b64 v[7:8], v[1:2], off
	s_waitcnt vmcnt(0)
	v_cmpx_eq_u64_e64 v[5:6], v[7:8]
	s_cbranch_execz .LBB544_62
; %bb.56:
	v_add_co_u32 v1, vcc_lo, v1, 8
	v_add_co_ci_u32_e32 v2, vcc_lo, 0, v2, vcc_lo
	v_add_co_u32 v3, vcc_lo, v3, 8
	v_add_co_ci_u32_e32 v4, vcc_lo, 0, v4, vcc_lo
	s_add_u32 s6, s4, -1
	s_addc_u32 s7, s5, -1
	s_mov_b64 s[16:17], 0
	s_mov_b32 s18, 0
                                        ; implicit-def: $sgpr19
	s_set_inst_prefetch_distance 0x1
	s_branch .LBB544_59
	.p2align	6
.LBB544_57:                             ;   in Loop: Header=BB544_59 Depth=1
	global_load_b64 v[5:6], v[3:4], off
	global_load_b64 v[7:8], v[1:2], off
	v_add_co_u32 v1, vcc_lo, v1, 8
	v_add_co_ci_u32_e32 v2, vcc_lo, 0, v2, vcc_lo
	v_add_co_u32 v3, s0, v3, 8
	s_delay_alu instid0(VALU_DEP_1)
	v_add_co_ci_u32_e64 v4, s0, 0, v4, s0
	s_add_u32 s16, s16, 1
	s_addc_u32 s17, s17, 0
	s_and_not1_b32 s0, s19, exec_lo
	s_waitcnt vmcnt(0)
	v_cmp_ne_u64_e32 vcc_lo, v[5:6], v[7:8]
	s_and_b32 s19, vcc_lo, exec_lo
	s_delay_alu instid0(SALU_CYCLE_1)
	s_or_b32 s19, s0, s19
.LBB544_58:                             ;   in Loop: Header=BB544_59 Depth=1
	v_dual_mov_b32 v5, s16 :: v_dual_mov_b32 v6, s17
	s_and_b32 s0, exec_lo, s19
	s_delay_alu instid0(SALU_CYCLE_1) | instskip(NEXT) | instid1(SALU_CYCLE_1)
	s_or_b32 s18, s0, s18
	s_and_not1_b32 exec_lo, exec_lo, s18
	s_cbranch_execz .LBB544_61
.LBB544_59:                             ; =>This Inner Loop Header: Depth=1
	s_or_b32 s19, s19, exec_lo
	s_cmp_eq_u64 s[6:7], s[16:17]
	s_cbranch_scc0 .LBB544_57
; %bb.60:                               ;   in Loop: Header=BB544_59 Depth=1
	s_mov_b64 s[16:17], s[4:5]
                                        ; implicit-def: $vgpr1_vgpr2
                                        ; implicit-def: $vgpr3_vgpr4
	s_branch .LBB544_58
.LBB544_61:
	s_set_inst_prefetch_distance 0x2
	s_or_b32 exec_lo, exec_lo, s18
	v_cmp_gt_i64_e32 vcc_lo, s[4:5], v[5:6]
	s_or_not1_b32 s16, vcc_lo, exec_lo
.LBB544_62:
	s_or_b32 exec_lo, exec_lo, s15
.LBB544_63:
	s_delay_alu instid0(SALU_CYCLE_1)
	s_and_b32 s0, s16, exec_lo
	s_or_b32 s3, s3, exec_lo
                                        ; implicit-def: $vgpr1_vgpr2
.LBB544_64:
	s_or_b32 exec_lo, exec_lo, s11
.LBB544_65:
	s_and_saveexec_b32 s4, s3
; %bb.66:
	s_mov_b32 s3, 0
	v_cndmask_b32_e64 v1, 0, 1, s0
	v_mov_b32_e32 v2, s3
; %bb.67:
	s_or_b32 exec_lo, exec_lo, s4
	s_add_u32 s0, s8, s12
	s_addc_u32 s4, s9, s13
	s_and_b32 vcc_lo, exec_lo, s1
	s_mov_b32 s1, -1
	s_waitcnt lgkmcnt(0)
	s_barrier
	buffer_gl0_inv
	s_cbranch_vccnz .LBB544_70
; %bb.68:
	s_and_not1_b32 vcc_lo, exec_lo, s1
	s_cbranch_vccz .LBB544_73
.LBB544_69:
	s_nop 0
	s_sendmsg sendmsg(MSG_DEALLOC_VGPRS)
	s_endpgm
.LBB544_70:
	s_lshl_b32 s1, s14, 9
	ds_store_b64 v9, v[1:2]
	s_sub_i32 s1, s10, s1
	s_waitcnt lgkmcnt(0)
	v_cmp_gt_u32_e32 vcc_lo, s1, v0
	s_barrier
	buffer_gl0_inv
	s_and_saveexec_b32 s1, vcc_lo
	s_cbranch_execz .LBB544_72
; %bb.71:
	ds_load_b64 v[3:4], v9
	s_mov_b32 s3, 0
	s_delay_alu instid0(SALU_CYCLE_1) | instskip(NEXT) | instid1(SALU_CYCLE_1)
	s_lshl_b64 s[6:7], s[2:3], 3
	s_add_u32 s6, s0, s6
	s_addc_u32 s7, s4, s7
	s_waitcnt lgkmcnt(0)
	global_store_b64 v9, v[3:4], s[6:7]
.LBB544_72:
	s_or_b32 exec_lo, exec_lo, s1
	s_cbranch_execnz .LBB544_69
.LBB544_73:
	ds_store_b64 v9, v[1:2]
	s_waitcnt lgkmcnt(0)
	s_waitcnt_vscnt null, 0x0
	s_barrier
	buffer_gl0_inv
	ds_load_b64 v[0:1], v9
	s_mov_b32 s3, 0
	s_delay_alu instid0(SALU_CYCLE_1) | instskip(NEXT) | instid1(SALU_CYCLE_1)
	s_lshl_b64 s[2:3], s[2:3], 3
	s_add_u32 s0, s0, s2
	s_addc_u32 s1, s4, s3
	s_waitcnt lgkmcnt(0)
	global_store_b64 v9, v[0:1], s[0:1]
	s_nop 0
	s_sendmsg sendmsg(MSG_DEALLOC_VGPRS)
	s_endpgm
	.section	.rodata,"a",@progbits
	.p2align	6, 0x0
	.amdhsa_kernel _ZN7rocprim17ROCPRIM_400000_NS6detail17trampoline_kernelINS0_14default_configENS1_35adjacent_difference_config_selectorILb0ElEEZNS1_24adjacent_difference_implIS3_Lb0ELb0EPlS7_ZN2at6native12_GLOBAL__N_124unique_dim_cuda_templateIlEESt5tupleIJNS8_6TensorESD_SD_EERKSD_lbbbEUlllE1_EE10hipError_tPvRmT2_T3_mT4_P12ihipStream_tbEUlT_E_NS1_11comp_targetILNS1_3genE9ELNS1_11target_archE1100ELNS1_3gpuE3ELNS1_3repE0EEENS1_30default_config_static_selectorELNS0_4arch9wavefront6targetE0EEEvT1_
		.amdhsa_group_segment_fixed_size 8192
		.amdhsa_private_segment_fixed_size 0
		.amdhsa_kernarg_size 64
		.amdhsa_user_sgpr_count 15
		.amdhsa_user_sgpr_dispatch_ptr 0
		.amdhsa_user_sgpr_queue_ptr 0
		.amdhsa_user_sgpr_kernarg_segment_ptr 1
		.amdhsa_user_sgpr_dispatch_id 0
		.amdhsa_user_sgpr_private_segment_size 0
		.amdhsa_wavefront_size32 1
		.amdhsa_uses_dynamic_stack 0
		.amdhsa_enable_private_segment 0
		.amdhsa_system_sgpr_workgroup_id_x 1
		.amdhsa_system_sgpr_workgroup_id_y 0
		.amdhsa_system_sgpr_workgroup_id_z 0
		.amdhsa_system_sgpr_workgroup_info 0
		.amdhsa_system_vgpr_workitem_id 0
		.amdhsa_next_free_vgpr 13
		.amdhsa_next_free_sgpr 26
		.amdhsa_reserve_vcc 1
		.amdhsa_float_round_mode_32 0
		.amdhsa_float_round_mode_16_64 0
		.amdhsa_float_denorm_mode_32 3
		.amdhsa_float_denorm_mode_16_64 3
		.amdhsa_dx10_clamp 1
		.amdhsa_ieee_mode 1
		.amdhsa_fp16_overflow 0
		.amdhsa_workgroup_processor_mode 1
		.amdhsa_memory_ordered 1
		.amdhsa_forward_progress 0
		.amdhsa_shared_vgpr_count 0
		.amdhsa_exception_fp_ieee_invalid_op 0
		.amdhsa_exception_fp_denorm_src 0
		.amdhsa_exception_fp_ieee_div_zero 0
		.amdhsa_exception_fp_ieee_overflow 0
		.amdhsa_exception_fp_ieee_underflow 0
		.amdhsa_exception_fp_ieee_inexact 0
		.amdhsa_exception_int_div_zero 0
	.end_amdhsa_kernel
	.section	.text._ZN7rocprim17ROCPRIM_400000_NS6detail17trampoline_kernelINS0_14default_configENS1_35adjacent_difference_config_selectorILb0ElEEZNS1_24adjacent_difference_implIS3_Lb0ELb0EPlS7_ZN2at6native12_GLOBAL__N_124unique_dim_cuda_templateIlEESt5tupleIJNS8_6TensorESD_SD_EERKSD_lbbbEUlllE1_EE10hipError_tPvRmT2_T3_mT4_P12ihipStream_tbEUlT_E_NS1_11comp_targetILNS1_3genE9ELNS1_11target_archE1100ELNS1_3gpuE3ELNS1_3repE0EEENS1_30default_config_static_selectorELNS0_4arch9wavefront6targetE0EEEvT1_,"axG",@progbits,_ZN7rocprim17ROCPRIM_400000_NS6detail17trampoline_kernelINS0_14default_configENS1_35adjacent_difference_config_selectorILb0ElEEZNS1_24adjacent_difference_implIS3_Lb0ELb0EPlS7_ZN2at6native12_GLOBAL__N_124unique_dim_cuda_templateIlEESt5tupleIJNS8_6TensorESD_SD_EERKSD_lbbbEUlllE1_EE10hipError_tPvRmT2_T3_mT4_P12ihipStream_tbEUlT_E_NS1_11comp_targetILNS1_3genE9ELNS1_11target_archE1100ELNS1_3gpuE3ELNS1_3repE0EEENS1_30default_config_static_selectorELNS0_4arch9wavefront6targetE0EEEvT1_,comdat
.Lfunc_end544:
	.size	_ZN7rocprim17ROCPRIM_400000_NS6detail17trampoline_kernelINS0_14default_configENS1_35adjacent_difference_config_selectorILb0ElEEZNS1_24adjacent_difference_implIS3_Lb0ELb0EPlS7_ZN2at6native12_GLOBAL__N_124unique_dim_cuda_templateIlEESt5tupleIJNS8_6TensorESD_SD_EERKSD_lbbbEUlllE1_EE10hipError_tPvRmT2_T3_mT4_P12ihipStream_tbEUlT_E_NS1_11comp_targetILNS1_3genE9ELNS1_11target_archE1100ELNS1_3gpuE3ELNS1_3repE0EEENS1_30default_config_static_selectorELNS0_4arch9wavefront6targetE0EEEvT1_, .Lfunc_end544-_ZN7rocprim17ROCPRIM_400000_NS6detail17trampoline_kernelINS0_14default_configENS1_35adjacent_difference_config_selectorILb0ElEEZNS1_24adjacent_difference_implIS3_Lb0ELb0EPlS7_ZN2at6native12_GLOBAL__N_124unique_dim_cuda_templateIlEESt5tupleIJNS8_6TensorESD_SD_EERKSD_lbbbEUlllE1_EE10hipError_tPvRmT2_T3_mT4_P12ihipStream_tbEUlT_E_NS1_11comp_targetILNS1_3genE9ELNS1_11target_archE1100ELNS1_3gpuE3ELNS1_3repE0EEENS1_30default_config_static_selectorELNS0_4arch9wavefront6targetE0EEEvT1_
                                        ; -- End function
	.section	.AMDGPU.csdata,"",@progbits
; Kernel info:
; codeLenInByte = 2572
; NumSgprs: 28
; NumVgprs: 13
; ScratchSize: 0
; MemoryBound: 1
; FloatMode: 240
; IeeeMode: 1
; LDSByteSize: 8192 bytes/workgroup (compile time only)
; SGPRBlocks: 3
; VGPRBlocks: 1
; NumSGPRsForWavesPerEU: 28
; NumVGPRsForWavesPerEU: 13
; Occupancy: 16
; WaveLimiterHint : 0
; COMPUTE_PGM_RSRC2:SCRATCH_EN: 0
; COMPUTE_PGM_RSRC2:USER_SGPR: 15
; COMPUTE_PGM_RSRC2:TRAP_HANDLER: 0
; COMPUTE_PGM_RSRC2:TGID_X_EN: 1
; COMPUTE_PGM_RSRC2:TGID_Y_EN: 0
; COMPUTE_PGM_RSRC2:TGID_Z_EN: 0
; COMPUTE_PGM_RSRC2:TIDIG_COMP_CNT: 0
	.section	.text._ZN7rocprim17ROCPRIM_400000_NS6detail17trampoline_kernelINS0_14default_configENS1_35adjacent_difference_config_selectorILb0ElEEZNS1_24adjacent_difference_implIS3_Lb0ELb0EPlS7_ZN2at6native12_GLOBAL__N_124unique_dim_cuda_templateIlEESt5tupleIJNS8_6TensorESD_SD_EERKSD_lbbbEUlllE1_EE10hipError_tPvRmT2_T3_mT4_P12ihipStream_tbEUlT_E_NS1_11comp_targetILNS1_3genE8ELNS1_11target_archE1030ELNS1_3gpuE2ELNS1_3repE0EEENS1_30default_config_static_selectorELNS0_4arch9wavefront6targetE0EEEvT1_,"axG",@progbits,_ZN7rocprim17ROCPRIM_400000_NS6detail17trampoline_kernelINS0_14default_configENS1_35adjacent_difference_config_selectorILb0ElEEZNS1_24adjacent_difference_implIS3_Lb0ELb0EPlS7_ZN2at6native12_GLOBAL__N_124unique_dim_cuda_templateIlEESt5tupleIJNS8_6TensorESD_SD_EERKSD_lbbbEUlllE1_EE10hipError_tPvRmT2_T3_mT4_P12ihipStream_tbEUlT_E_NS1_11comp_targetILNS1_3genE8ELNS1_11target_archE1030ELNS1_3gpuE2ELNS1_3repE0EEENS1_30default_config_static_selectorELNS0_4arch9wavefront6targetE0EEEvT1_,comdat
	.globl	_ZN7rocprim17ROCPRIM_400000_NS6detail17trampoline_kernelINS0_14default_configENS1_35adjacent_difference_config_selectorILb0ElEEZNS1_24adjacent_difference_implIS3_Lb0ELb0EPlS7_ZN2at6native12_GLOBAL__N_124unique_dim_cuda_templateIlEESt5tupleIJNS8_6TensorESD_SD_EERKSD_lbbbEUlllE1_EE10hipError_tPvRmT2_T3_mT4_P12ihipStream_tbEUlT_E_NS1_11comp_targetILNS1_3genE8ELNS1_11target_archE1030ELNS1_3gpuE2ELNS1_3repE0EEENS1_30default_config_static_selectorELNS0_4arch9wavefront6targetE0EEEvT1_ ; -- Begin function _ZN7rocprim17ROCPRIM_400000_NS6detail17trampoline_kernelINS0_14default_configENS1_35adjacent_difference_config_selectorILb0ElEEZNS1_24adjacent_difference_implIS3_Lb0ELb0EPlS7_ZN2at6native12_GLOBAL__N_124unique_dim_cuda_templateIlEESt5tupleIJNS8_6TensorESD_SD_EERKSD_lbbbEUlllE1_EE10hipError_tPvRmT2_T3_mT4_P12ihipStream_tbEUlT_E_NS1_11comp_targetILNS1_3genE8ELNS1_11target_archE1030ELNS1_3gpuE2ELNS1_3repE0EEENS1_30default_config_static_selectorELNS0_4arch9wavefront6targetE0EEEvT1_
	.p2align	8
	.type	_ZN7rocprim17ROCPRIM_400000_NS6detail17trampoline_kernelINS0_14default_configENS1_35adjacent_difference_config_selectorILb0ElEEZNS1_24adjacent_difference_implIS3_Lb0ELb0EPlS7_ZN2at6native12_GLOBAL__N_124unique_dim_cuda_templateIlEESt5tupleIJNS8_6TensorESD_SD_EERKSD_lbbbEUlllE1_EE10hipError_tPvRmT2_T3_mT4_P12ihipStream_tbEUlT_E_NS1_11comp_targetILNS1_3genE8ELNS1_11target_archE1030ELNS1_3gpuE2ELNS1_3repE0EEENS1_30default_config_static_selectorELNS0_4arch9wavefront6targetE0EEEvT1_,@function
_ZN7rocprim17ROCPRIM_400000_NS6detail17trampoline_kernelINS0_14default_configENS1_35adjacent_difference_config_selectorILb0ElEEZNS1_24adjacent_difference_implIS3_Lb0ELb0EPlS7_ZN2at6native12_GLOBAL__N_124unique_dim_cuda_templateIlEESt5tupleIJNS8_6TensorESD_SD_EERKSD_lbbbEUlllE1_EE10hipError_tPvRmT2_T3_mT4_P12ihipStream_tbEUlT_E_NS1_11comp_targetILNS1_3genE8ELNS1_11target_archE1030ELNS1_3gpuE2ELNS1_3repE0EEENS1_30default_config_static_selectorELNS0_4arch9wavefront6targetE0EEEvT1_: ; @_ZN7rocprim17ROCPRIM_400000_NS6detail17trampoline_kernelINS0_14default_configENS1_35adjacent_difference_config_selectorILb0ElEEZNS1_24adjacent_difference_implIS3_Lb0ELb0EPlS7_ZN2at6native12_GLOBAL__N_124unique_dim_cuda_templateIlEESt5tupleIJNS8_6TensorESD_SD_EERKSD_lbbbEUlllE1_EE10hipError_tPvRmT2_T3_mT4_P12ihipStream_tbEUlT_E_NS1_11comp_targetILNS1_3genE8ELNS1_11target_archE1030ELNS1_3gpuE2ELNS1_3repE0EEENS1_30default_config_static_selectorELNS0_4arch9wavefront6targetE0EEEvT1_
; %bb.0:
	.section	.rodata,"a",@progbits
	.p2align	6, 0x0
	.amdhsa_kernel _ZN7rocprim17ROCPRIM_400000_NS6detail17trampoline_kernelINS0_14default_configENS1_35adjacent_difference_config_selectorILb0ElEEZNS1_24adjacent_difference_implIS3_Lb0ELb0EPlS7_ZN2at6native12_GLOBAL__N_124unique_dim_cuda_templateIlEESt5tupleIJNS8_6TensorESD_SD_EERKSD_lbbbEUlllE1_EE10hipError_tPvRmT2_T3_mT4_P12ihipStream_tbEUlT_E_NS1_11comp_targetILNS1_3genE8ELNS1_11target_archE1030ELNS1_3gpuE2ELNS1_3repE0EEENS1_30default_config_static_selectorELNS0_4arch9wavefront6targetE0EEEvT1_
		.amdhsa_group_segment_fixed_size 0
		.amdhsa_private_segment_fixed_size 0
		.amdhsa_kernarg_size 64
		.amdhsa_user_sgpr_count 15
		.amdhsa_user_sgpr_dispatch_ptr 0
		.amdhsa_user_sgpr_queue_ptr 0
		.amdhsa_user_sgpr_kernarg_segment_ptr 1
		.amdhsa_user_sgpr_dispatch_id 0
		.amdhsa_user_sgpr_private_segment_size 0
		.amdhsa_wavefront_size32 1
		.amdhsa_uses_dynamic_stack 0
		.amdhsa_enable_private_segment 0
		.amdhsa_system_sgpr_workgroup_id_x 1
		.amdhsa_system_sgpr_workgroup_id_y 0
		.amdhsa_system_sgpr_workgroup_id_z 0
		.amdhsa_system_sgpr_workgroup_info 0
		.amdhsa_system_vgpr_workitem_id 0
		.amdhsa_next_free_vgpr 1
		.amdhsa_next_free_sgpr 1
		.amdhsa_reserve_vcc 0
		.amdhsa_float_round_mode_32 0
		.amdhsa_float_round_mode_16_64 0
		.amdhsa_float_denorm_mode_32 3
		.amdhsa_float_denorm_mode_16_64 3
		.amdhsa_dx10_clamp 1
		.amdhsa_ieee_mode 1
		.amdhsa_fp16_overflow 0
		.amdhsa_workgroup_processor_mode 1
		.amdhsa_memory_ordered 1
		.amdhsa_forward_progress 0
		.amdhsa_shared_vgpr_count 0
		.amdhsa_exception_fp_ieee_invalid_op 0
		.amdhsa_exception_fp_denorm_src 0
		.amdhsa_exception_fp_ieee_div_zero 0
		.amdhsa_exception_fp_ieee_overflow 0
		.amdhsa_exception_fp_ieee_underflow 0
		.amdhsa_exception_fp_ieee_inexact 0
		.amdhsa_exception_int_div_zero 0
	.end_amdhsa_kernel
	.section	.text._ZN7rocprim17ROCPRIM_400000_NS6detail17trampoline_kernelINS0_14default_configENS1_35adjacent_difference_config_selectorILb0ElEEZNS1_24adjacent_difference_implIS3_Lb0ELb0EPlS7_ZN2at6native12_GLOBAL__N_124unique_dim_cuda_templateIlEESt5tupleIJNS8_6TensorESD_SD_EERKSD_lbbbEUlllE1_EE10hipError_tPvRmT2_T3_mT4_P12ihipStream_tbEUlT_E_NS1_11comp_targetILNS1_3genE8ELNS1_11target_archE1030ELNS1_3gpuE2ELNS1_3repE0EEENS1_30default_config_static_selectorELNS0_4arch9wavefront6targetE0EEEvT1_,"axG",@progbits,_ZN7rocprim17ROCPRIM_400000_NS6detail17trampoline_kernelINS0_14default_configENS1_35adjacent_difference_config_selectorILb0ElEEZNS1_24adjacent_difference_implIS3_Lb0ELb0EPlS7_ZN2at6native12_GLOBAL__N_124unique_dim_cuda_templateIlEESt5tupleIJNS8_6TensorESD_SD_EERKSD_lbbbEUlllE1_EE10hipError_tPvRmT2_T3_mT4_P12ihipStream_tbEUlT_E_NS1_11comp_targetILNS1_3genE8ELNS1_11target_archE1030ELNS1_3gpuE2ELNS1_3repE0EEENS1_30default_config_static_selectorELNS0_4arch9wavefront6targetE0EEEvT1_,comdat
.Lfunc_end545:
	.size	_ZN7rocprim17ROCPRIM_400000_NS6detail17trampoline_kernelINS0_14default_configENS1_35adjacent_difference_config_selectorILb0ElEEZNS1_24adjacent_difference_implIS3_Lb0ELb0EPlS7_ZN2at6native12_GLOBAL__N_124unique_dim_cuda_templateIlEESt5tupleIJNS8_6TensorESD_SD_EERKSD_lbbbEUlllE1_EE10hipError_tPvRmT2_T3_mT4_P12ihipStream_tbEUlT_E_NS1_11comp_targetILNS1_3genE8ELNS1_11target_archE1030ELNS1_3gpuE2ELNS1_3repE0EEENS1_30default_config_static_selectorELNS0_4arch9wavefront6targetE0EEEvT1_, .Lfunc_end545-_ZN7rocprim17ROCPRIM_400000_NS6detail17trampoline_kernelINS0_14default_configENS1_35adjacent_difference_config_selectorILb0ElEEZNS1_24adjacent_difference_implIS3_Lb0ELb0EPlS7_ZN2at6native12_GLOBAL__N_124unique_dim_cuda_templateIlEESt5tupleIJNS8_6TensorESD_SD_EERKSD_lbbbEUlllE1_EE10hipError_tPvRmT2_T3_mT4_P12ihipStream_tbEUlT_E_NS1_11comp_targetILNS1_3genE8ELNS1_11target_archE1030ELNS1_3gpuE2ELNS1_3repE0EEENS1_30default_config_static_selectorELNS0_4arch9wavefront6targetE0EEEvT1_
                                        ; -- End function
	.section	.AMDGPU.csdata,"",@progbits
; Kernel info:
; codeLenInByte = 0
; NumSgprs: 0
; NumVgprs: 0
; ScratchSize: 0
; MemoryBound: 0
; FloatMode: 240
; IeeeMode: 1
; LDSByteSize: 0 bytes/workgroup (compile time only)
; SGPRBlocks: 0
; VGPRBlocks: 0
; NumSGPRsForWavesPerEU: 1
; NumVGPRsForWavesPerEU: 1
; Occupancy: 16
; WaveLimiterHint : 0
; COMPUTE_PGM_RSRC2:SCRATCH_EN: 0
; COMPUTE_PGM_RSRC2:USER_SGPR: 15
; COMPUTE_PGM_RSRC2:TRAP_HANDLER: 0
; COMPUTE_PGM_RSRC2:TGID_X_EN: 1
; COMPUTE_PGM_RSRC2:TGID_Y_EN: 0
; COMPUTE_PGM_RSRC2:TGID_Z_EN: 0
; COMPUTE_PGM_RSRC2:TIDIG_COMP_CNT: 0
	.section	.text._ZN7rocprim17ROCPRIM_400000_NS6detail17trampoline_kernelINS0_14default_configENS1_25transform_config_selectorIlLb0EEEZNS1_14transform_implILb0ES3_S5_NS0_18transform_iteratorINS0_17counting_iteratorImlEEZNS1_24adjacent_difference_implIS3_Lb1ELb0EPlSB_ZN2at6native12_GLOBAL__N_124unique_dim_cuda_templateIlEESt5tupleIJNSC_6TensorESH_SH_EERKSH_lbbbEUlllE1_EE10hipError_tPvRmT2_T3_mT4_P12ihipStream_tbEUlmE_lEESB_NS0_8identityIvEEEESM_SP_SQ_mSR_ST_bEUlT_E_NS1_11comp_targetILNS1_3genE0ELNS1_11target_archE4294967295ELNS1_3gpuE0ELNS1_3repE0EEENS1_30default_config_static_selectorELNS0_4arch9wavefront6targetE0EEEvT1_,"axG",@progbits,_ZN7rocprim17ROCPRIM_400000_NS6detail17trampoline_kernelINS0_14default_configENS1_25transform_config_selectorIlLb0EEEZNS1_14transform_implILb0ES3_S5_NS0_18transform_iteratorINS0_17counting_iteratorImlEEZNS1_24adjacent_difference_implIS3_Lb1ELb0EPlSB_ZN2at6native12_GLOBAL__N_124unique_dim_cuda_templateIlEESt5tupleIJNSC_6TensorESH_SH_EERKSH_lbbbEUlllE1_EE10hipError_tPvRmT2_T3_mT4_P12ihipStream_tbEUlmE_lEESB_NS0_8identityIvEEEESM_SP_SQ_mSR_ST_bEUlT_E_NS1_11comp_targetILNS1_3genE0ELNS1_11target_archE4294967295ELNS1_3gpuE0ELNS1_3repE0EEENS1_30default_config_static_selectorELNS0_4arch9wavefront6targetE0EEEvT1_,comdat
	.globl	_ZN7rocprim17ROCPRIM_400000_NS6detail17trampoline_kernelINS0_14default_configENS1_25transform_config_selectorIlLb0EEEZNS1_14transform_implILb0ES3_S5_NS0_18transform_iteratorINS0_17counting_iteratorImlEEZNS1_24adjacent_difference_implIS3_Lb1ELb0EPlSB_ZN2at6native12_GLOBAL__N_124unique_dim_cuda_templateIlEESt5tupleIJNSC_6TensorESH_SH_EERKSH_lbbbEUlllE1_EE10hipError_tPvRmT2_T3_mT4_P12ihipStream_tbEUlmE_lEESB_NS0_8identityIvEEEESM_SP_SQ_mSR_ST_bEUlT_E_NS1_11comp_targetILNS1_3genE0ELNS1_11target_archE4294967295ELNS1_3gpuE0ELNS1_3repE0EEENS1_30default_config_static_selectorELNS0_4arch9wavefront6targetE0EEEvT1_ ; -- Begin function _ZN7rocprim17ROCPRIM_400000_NS6detail17trampoline_kernelINS0_14default_configENS1_25transform_config_selectorIlLb0EEEZNS1_14transform_implILb0ES3_S5_NS0_18transform_iteratorINS0_17counting_iteratorImlEEZNS1_24adjacent_difference_implIS3_Lb1ELb0EPlSB_ZN2at6native12_GLOBAL__N_124unique_dim_cuda_templateIlEESt5tupleIJNSC_6TensorESH_SH_EERKSH_lbbbEUlllE1_EE10hipError_tPvRmT2_T3_mT4_P12ihipStream_tbEUlmE_lEESB_NS0_8identityIvEEEESM_SP_SQ_mSR_ST_bEUlT_E_NS1_11comp_targetILNS1_3genE0ELNS1_11target_archE4294967295ELNS1_3gpuE0ELNS1_3repE0EEENS1_30default_config_static_selectorELNS0_4arch9wavefront6targetE0EEEvT1_
	.p2align	8
	.type	_ZN7rocprim17ROCPRIM_400000_NS6detail17trampoline_kernelINS0_14default_configENS1_25transform_config_selectorIlLb0EEEZNS1_14transform_implILb0ES3_S5_NS0_18transform_iteratorINS0_17counting_iteratorImlEEZNS1_24adjacent_difference_implIS3_Lb1ELb0EPlSB_ZN2at6native12_GLOBAL__N_124unique_dim_cuda_templateIlEESt5tupleIJNSC_6TensorESH_SH_EERKSH_lbbbEUlllE1_EE10hipError_tPvRmT2_T3_mT4_P12ihipStream_tbEUlmE_lEESB_NS0_8identityIvEEEESM_SP_SQ_mSR_ST_bEUlT_E_NS1_11comp_targetILNS1_3genE0ELNS1_11target_archE4294967295ELNS1_3gpuE0ELNS1_3repE0EEENS1_30default_config_static_selectorELNS0_4arch9wavefront6targetE0EEEvT1_,@function
_ZN7rocprim17ROCPRIM_400000_NS6detail17trampoline_kernelINS0_14default_configENS1_25transform_config_selectorIlLb0EEEZNS1_14transform_implILb0ES3_S5_NS0_18transform_iteratorINS0_17counting_iteratorImlEEZNS1_24adjacent_difference_implIS3_Lb1ELb0EPlSB_ZN2at6native12_GLOBAL__N_124unique_dim_cuda_templateIlEESt5tupleIJNSC_6TensorESH_SH_EERKSH_lbbbEUlllE1_EE10hipError_tPvRmT2_T3_mT4_P12ihipStream_tbEUlmE_lEESB_NS0_8identityIvEEEESM_SP_SQ_mSR_ST_bEUlT_E_NS1_11comp_targetILNS1_3genE0ELNS1_11target_archE4294967295ELNS1_3gpuE0ELNS1_3repE0EEENS1_30default_config_static_selectorELNS0_4arch9wavefront6targetE0EEEvT1_: ; @_ZN7rocprim17ROCPRIM_400000_NS6detail17trampoline_kernelINS0_14default_configENS1_25transform_config_selectorIlLb0EEEZNS1_14transform_implILb0ES3_S5_NS0_18transform_iteratorINS0_17counting_iteratorImlEEZNS1_24adjacent_difference_implIS3_Lb1ELb0EPlSB_ZN2at6native12_GLOBAL__N_124unique_dim_cuda_templateIlEESt5tupleIJNSC_6TensorESH_SH_EERKSH_lbbbEUlllE1_EE10hipError_tPvRmT2_T3_mT4_P12ihipStream_tbEUlmE_lEESB_NS0_8identityIvEEEESM_SP_SQ_mSR_ST_bEUlT_E_NS1_11comp_targetILNS1_3genE0ELNS1_11target_archE4294967295ELNS1_3gpuE0ELNS1_3repE0EEENS1_30default_config_static_selectorELNS0_4arch9wavefront6targetE0EEEvT1_
; %bb.0:
	.section	.rodata,"a",@progbits
	.p2align	6, 0x0
	.amdhsa_kernel _ZN7rocprim17ROCPRIM_400000_NS6detail17trampoline_kernelINS0_14default_configENS1_25transform_config_selectorIlLb0EEEZNS1_14transform_implILb0ES3_S5_NS0_18transform_iteratorINS0_17counting_iteratorImlEEZNS1_24adjacent_difference_implIS3_Lb1ELb0EPlSB_ZN2at6native12_GLOBAL__N_124unique_dim_cuda_templateIlEESt5tupleIJNSC_6TensorESH_SH_EERKSH_lbbbEUlllE1_EE10hipError_tPvRmT2_T3_mT4_P12ihipStream_tbEUlmE_lEESB_NS0_8identityIvEEEESM_SP_SQ_mSR_ST_bEUlT_E_NS1_11comp_targetILNS1_3genE0ELNS1_11target_archE4294967295ELNS1_3gpuE0ELNS1_3repE0EEENS1_30default_config_static_selectorELNS0_4arch9wavefront6targetE0EEEvT1_
		.amdhsa_group_segment_fixed_size 0
		.amdhsa_private_segment_fixed_size 0
		.amdhsa_kernarg_size 56
		.amdhsa_user_sgpr_count 15
		.amdhsa_user_sgpr_dispatch_ptr 0
		.amdhsa_user_sgpr_queue_ptr 0
		.amdhsa_user_sgpr_kernarg_segment_ptr 1
		.amdhsa_user_sgpr_dispatch_id 0
		.amdhsa_user_sgpr_private_segment_size 0
		.amdhsa_wavefront_size32 1
		.amdhsa_uses_dynamic_stack 0
		.amdhsa_enable_private_segment 0
		.amdhsa_system_sgpr_workgroup_id_x 1
		.amdhsa_system_sgpr_workgroup_id_y 0
		.amdhsa_system_sgpr_workgroup_id_z 0
		.amdhsa_system_sgpr_workgroup_info 0
		.amdhsa_system_vgpr_workitem_id 0
		.amdhsa_next_free_vgpr 1
		.amdhsa_next_free_sgpr 1
		.amdhsa_reserve_vcc 0
		.amdhsa_float_round_mode_32 0
		.amdhsa_float_round_mode_16_64 0
		.amdhsa_float_denorm_mode_32 3
		.amdhsa_float_denorm_mode_16_64 3
		.amdhsa_dx10_clamp 1
		.amdhsa_ieee_mode 1
		.amdhsa_fp16_overflow 0
		.amdhsa_workgroup_processor_mode 1
		.amdhsa_memory_ordered 1
		.amdhsa_forward_progress 0
		.amdhsa_shared_vgpr_count 0
		.amdhsa_exception_fp_ieee_invalid_op 0
		.amdhsa_exception_fp_denorm_src 0
		.amdhsa_exception_fp_ieee_div_zero 0
		.amdhsa_exception_fp_ieee_overflow 0
		.amdhsa_exception_fp_ieee_underflow 0
		.amdhsa_exception_fp_ieee_inexact 0
		.amdhsa_exception_int_div_zero 0
	.end_amdhsa_kernel
	.section	.text._ZN7rocprim17ROCPRIM_400000_NS6detail17trampoline_kernelINS0_14default_configENS1_25transform_config_selectorIlLb0EEEZNS1_14transform_implILb0ES3_S5_NS0_18transform_iteratorINS0_17counting_iteratorImlEEZNS1_24adjacent_difference_implIS3_Lb1ELb0EPlSB_ZN2at6native12_GLOBAL__N_124unique_dim_cuda_templateIlEESt5tupleIJNSC_6TensorESH_SH_EERKSH_lbbbEUlllE1_EE10hipError_tPvRmT2_T3_mT4_P12ihipStream_tbEUlmE_lEESB_NS0_8identityIvEEEESM_SP_SQ_mSR_ST_bEUlT_E_NS1_11comp_targetILNS1_3genE0ELNS1_11target_archE4294967295ELNS1_3gpuE0ELNS1_3repE0EEENS1_30default_config_static_selectorELNS0_4arch9wavefront6targetE0EEEvT1_,"axG",@progbits,_ZN7rocprim17ROCPRIM_400000_NS6detail17trampoline_kernelINS0_14default_configENS1_25transform_config_selectorIlLb0EEEZNS1_14transform_implILb0ES3_S5_NS0_18transform_iteratorINS0_17counting_iteratorImlEEZNS1_24adjacent_difference_implIS3_Lb1ELb0EPlSB_ZN2at6native12_GLOBAL__N_124unique_dim_cuda_templateIlEESt5tupleIJNSC_6TensorESH_SH_EERKSH_lbbbEUlllE1_EE10hipError_tPvRmT2_T3_mT4_P12ihipStream_tbEUlmE_lEESB_NS0_8identityIvEEEESM_SP_SQ_mSR_ST_bEUlT_E_NS1_11comp_targetILNS1_3genE0ELNS1_11target_archE4294967295ELNS1_3gpuE0ELNS1_3repE0EEENS1_30default_config_static_selectorELNS0_4arch9wavefront6targetE0EEEvT1_,comdat
.Lfunc_end546:
	.size	_ZN7rocprim17ROCPRIM_400000_NS6detail17trampoline_kernelINS0_14default_configENS1_25transform_config_selectorIlLb0EEEZNS1_14transform_implILb0ES3_S5_NS0_18transform_iteratorINS0_17counting_iteratorImlEEZNS1_24adjacent_difference_implIS3_Lb1ELb0EPlSB_ZN2at6native12_GLOBAL__N_124unique_dim_cuda_templateIlEESt5tupleIJNSC_6TensorESH_SH_EERKSH_lbbbEUlllE1_EE10hipError_tPvRmT2_T3_mT4_P12ihipStream_tbEUlmE_lEESB_NS0_8identityIvEEEESM_SP_SQ_mSR_ST_bEUlT_E_NS1_11comp_targetILNS1_3genE0ELNS1_11target_archE4294967295ELNS1_3gpuE0ELNS1_3repE0EEENS1_30default_config_static_selectorELNS0_4arch9wavefront6targetE0EEEvT1_, .Lfunc_end546-_ZN7rocprim17ROCPRIM_400000_NS6detail17trampoline_kernelINS0_14default_configENS1_25transform_config_selectorIlLb0EEEZNS1_14transform_implILb0ES3_S5_NS0_18transform_iteratorINS0_17counting_iteratorImlEEZNS1_24adjacent_difference_implIS3_Lb1ELb0EPlSB_ZN2at6native12_GLOBAL__N_124unique_dim_cuda_templateIlEESt5tupleIJNSC_6TensorESH_SH_EERKSH_lbbbEUlllE1_EE10hipError_tPvRmT2_T3_mT4_P12ihipStream_tbEUlmE_lEESB_NS0_8identityIvEEEESM_SP_SQ_mSR_ST_bEUlT_E_NS1_11comp_targetILNS1_3genE0ELNS1_11target_archE4294967295ELNS1_3gpuE0ELNS1_3repE0EEENS1_30default_config_static_selectorELNS0_4arch9wavefront6targetE0EEEvT1_
                                        ; -- End function
	.section	.AMDGPU.csdata,"",@progbits
; Kernel info:
; codeLenInByte = 0
; NumSgprs: 0
; NumVgprs: 0
; ScratchSize: 0
; MemoryBound: 0
; FloatMode: 240
; IeeeMode: 1
; LDSByteSize: 0 bytes/workgroup (compile time only)
; SGPRBlocks: 0
; VGPRBlocks: 0
; NumSGPRsForWavesPerEU: 1
; NumVGPRsForWavesPerEU: 1
; Occupancy: 16
; WaveLimiterHint : 0
; COMPUTE_PGM_RSRC2:SCRATCH_EN: 0
; COMPUTE_PGM_RSRC2:USER_SGPR: 15
; COMPUTE_PGM_RSRC2:TRAP_HANDLER: 0
; COMPUTE_PGM_RSRC2:TGID_X_EN: 1
; COMPUTE_PGM_RSRC2:TGID_Y_EN: 0
; COMPUTE_PGM_RSRC2:TGID_Z_EN: 0
; COMPUTE_PGM_RSRC2:TIDIG_COMP_CNT: 0
	.section	.text._ZN7rocprim17ROCPRIM_400000_NS6detail17trampoline_kernelINS0_14default_configENS1_25transform_config_selectorIlLb0EEEZNS1_14transform_implILb0ES3_S5_NS0_18transform_iteratorINS0_17counting_iteratorImlEEZNS1_24adjacent_difference_implIS3_Lb1ELb0EPlSB_ZN2at6native12_GLOBAL__N_124unique_dim_cuda_templateIlEESt5tupleIJNSC_6TensorESH_SH_EERKSH_lbbbEUlllE1_EE10hipError_tPvRmT2_T3_mT4_P12ihipStream_tbEUlmE_lEESB_NS0_8identityIvEEEESM_SP_SQ_mSR_ST_bEUlT_E_NS1_11comp_targetILNS1_3genE5ELNS1_11target_archE942ELNS1_3gpuE9ELNS1_3repE0EEENS1_30default_config_static_selectorELNS0_4arch9wavefront6targetE0EEEvT1_,"axG",@progbits,_ZN7rocprim17ROCPRIM_400000_NS6detail17trampoline_kernelINS0_14default_configENS1_25transform_config_selectorIlLb0EEEZNS1_14transform_implILb0ES3_S5_NS0_18transform_iteratorINS0_17counting_iteratorImlEEZNS1_24adjacent_difference_implIS3_Lb1ELb0EPlSB_ZN2at6native12_GLOBAL__N_124unique_dim_cuda_templateIlEESt5tupleIJNSC_6TensorESH_SH_EERKSH_lbbbEUlllE1_EE10hipError_tPvRmT2_T3_mT4_P12ihipStream_tbEUlmE_lEESB_NS0_8identityIvEEEESM_SP_SQ_mSR_ST_bEUlT_E_NS1_11comp_targetILNS1_3genE5ELNS1_11target_archE942ELNS1_3gpuE9ELNS1_3repE0EEENS1_30default_config_static_selectorELNS0_4arch9wavefront6targetE0EEEvT1_,comdat
	.globl	_ZN7rocprim17ROCPRIM_400000_NS6detail17trampoline_kernelINS0_14default_configENS1_25transform_config_selectorIlLb0EEEZNS1_14transform_implILb0ES3_S5_NS0_18transform_iteratorINS0_17counting_iteratorImlEEZNS1_24adjacent_difference_implIS3_Lb1ELb0EPlSB_ZN2at6native12_GLOBAL__N_124unique_dim_cuda_templateIlEESt5tupleIJNSC_6TensorESH_SH_EERKSH_lbbbEUlllE1_EE10hipError_tPvRmT2_T3_mT4_P12ihipStream_tbEUlmE_lEESB_NS0_8identityIvEEEESM_SP_SQ_mSR_ST_bEUlT_E_NS1_11comp_targetILNS1_3genE5ELNS1_11target_archE942ELNS1_3gpuE9ELNS1_3repE0EEENS1_30default_config_static_selectorELNS0_4arch9wavefront6targetE0EEEvT1_ ; -- Begin function _ZN7rocprim17ROCPRIM_400000_NS6detail17trampoline_kernelINS0_14default_configENS1_25transform_config_selectorIlLb0EEEZNS1_14transform_implILb0ES3_S5_NS0_18transform_iteratorINS0_17counting_iteratorImlEEZNS1_24adjacent_difference_implIS3_Lb1ELb0EPlSB_ZN2at6native12_GLOBAL__N_124unique_dim_cuda_templateIlEESt5tupleIJNSC_6TensorESH_SH_EERKSH_lbbbEUlllE1_EE10hipError_tPvRmT2_T3_mT4_P12ihipStream_tbEUlmE_lEESB_NS0_8identityIvEEEESM_SP_SQ_mSR_ST_bEUlT_E_NS1_11comp_targetILNS1_3genE5ELNS1_11target_archE942ELNS1_3gpuE9ELNS1_3repE0EEENS1_30default_config_static_selectorELNS0_4arch9wavefront6targetE0EEEvT1_
	.p2align	8
	.type	_ZN7rocprim17ROCPRIM_400000_NS6detail17trampoline_kernelINS0_14default_configENS1_25transform_config_selectorIlLb0EEEZNS1_14transform_implILb0ES3_S5_NS0_18transform_iteratorINS0_17counting_iteratorImlEEZNS1_24adjacent_difference_implIS3_Lb1ELb0EPlSB_ZN2at6native12_GLOBAL__N_124unique_dim_cuda_templateIlEESt5tupleIJNSC_6TensorESH_SH_EERKSH_lbbbEUlllE1_EE10hipError_tPvRmT2_T3_mT4_P12ihipStream_tbEUlmE_lEESB_NS0_8identityIvEEEESM_SP_SQ_mSR_ST_bEUlT_E_NS1_11comp_targetILNS1_3genE5ELNS1_11target_archE942ELNS1_3gpuE9ELNS1_3repE0EEENS1_30default_config_static_selectorELNS0_4arch9wavefront6targetE0EEEvT1_,@function
_ZN7rocprim17ROCPRIM_400000_NS6detail17trampoline_kernelINS0_14default_configENS1_25transform_config_selectorIlLb0EEEZNS1_14transform_implILb0ES3_S5_NS0_18transform_iteratorINS0_17counting_iteratorImlEEZNS1_24adjacent_difference_implIS3_Lb1ELb0EPlSB_ZN2at6native12_GLOBAL__N_124unique_dim_cuda_templateIlEESt5tupleIJNSC_6TensorESH_SH_EERKSH_lbbbEUlllE1_EE10hipError_tPvRmT2_T3_mT4_P12ihipStream_tbEUlmE_lEESB_NS0_8identityIvEEEESM_SP_SQ_mSR_ST_bEUlT_E_NS1_11comp_targetILNS1_3genE5ELNS1_11target_archE942ELNS1_3gpuE9ELNS1_3repE0EEENS1_30default_config_static_selectorELNS0_4arch9wavefront6targetE0EEEvT1_: ; @_ZN7rocprim17ROCPRIM_400000_NS6detail17trampoline_kernelINS0_14default_configENS1_25transform_config_selectorIlLb0EEEZNS1_14transform_implILb0ES3_S5_NS0_18transform_iteratorINS0_17counting_iteratorImlEEZNS1_24adjacent_difference_implIS3_Lb1ELb0EPlSB_ZN2at6native12_GLOBAL__N_124unique_dim_cuda_templateIlEESt5tupleIJNSC_6TensorESH_SH_EERKSH_lbbbEUlllE1_EE10hipError_tPvRmT2_T3_mT4_P12ihipStream_tbEUlmE_lEESB_NS0_8identityIvEEEESM_SP_SQ_mSR_ST_bEUlT_E_NS1_11comp_targetILNS1_3genE5ELNS1_11target_archE942ELNS1_3gpuE9ELNS1_3repE0EEENS1_30default_config_static_selectorELNS0_4arch9wavefront6targetE0EEEvT1_
; %bb.0:
	.section	.rodata,"a",@progbits
	.p2align	6, 0x0
	.amdhsa_kernel _ZN7rocprim17ROCPRIM_400000_NS6detail17trampoline_kernelINS0_14default_configENS1_25transform_config_selectorIlLb0EEEZNS1_14transform_implILb0ES3_S5_NS0_18transform_iteratorINS0_17counting_iteratorImlEEZNS1_24adjacent_difference_implIS3_Lb1ELb0EPlSB_ZN2at6native12_GLOBAL__N_124unique_dim_cuda_templateIlEESt5tupleIJNSC_6TensorESH_SH_EERKSH_lbbbEUlllE1_EE10hipError_tPvRmT2_T3_mT4_P12ihipStream_tbEUlmE_lEESB_NS0_8identityIvEEEESM_SP_SQ_mSR_ST_bEUlT_E_NS1_11comp_targetILNS1_3genE5ELNS1_11target_archE942ELNS1_3gpuE9ELNS1_3repE0EEENS1_30default_config_static_selectorELNS0_4arch9wavefront6targetE0EEEvT1_
		.amdhsa_group_segment_fixed_size 0
		.amdhsa_private_segment_fixed_size 0
		.amdhsa_kernarg_size 56
		.amdhsa_user_sgpr_count 15
		.amdhsa_user_sgpr_dispatch_ptr 0
		.amdhsa_user_sgpr_queue_ptr 0
		.amdhsa_user_sgpr_kernarg_segment_ptr 1
		.amdhsa_user_sgpr_dispatch_id 0
		.amdhsa_user_sgpr_private_segment_size 0
		.amdhsa_wavefront_size32 1
		.amdhsa_uses_dynamic_stack 0
		.amdhsa_enable_private_segment 0
		.amdhsa_system_sgpr_workgroup_id_x 1
		.amdhsa_system_sgpr_workgroup_id_y 0
		.amdhsa_system_sgpr_workgroup_id_z 0
		.amdhsa_system_sgpr_workgroup_info 0
		.amdhsa_system_vgpr_workitem_id 0
		.amdhsa_next_free_vgpr 1
		.amdhsa_next_free_sgpr 1
		.amdhsa_reserve_vcc 0
		.amdhsa_float_round_mode_32 0
		.amdhsa_float_round_mode_16_64 0
		.amdhsa_float_denorm_mode_32 3
		.amdhsa_float_denorm_mode_16_64 3
		.amdhsa_dx10_clamp 1
		.amdhsa_ieee_mode 1
		.amdhsa_fp16_overflow 0
		.amdhsa_workgroup_processor_mode 1
		.amdhsa_memory_ordered 1
		.amdhsa_forward_progress 0
		.amdhsa_shared_vgpr_count 0
		.amdhsa_exception_fp_ieee_invalid_op 0
		.amdhsa_exception_fp_denorm_src 0
		.amdhsa_exception_fp_ieee_div_zero 0
		.amdhsa_exception_fp_ieee_overflow 0
		.amdhsa_exception_fp_ieee_underflow 0
		.amdhsa_exception_fp_ieee_inexact 0
		.amdhsa_exception_int_div_zero 0
	.end_amdhsa_kernel
	.section	.text._ZN7rocprim17ROCPRIM_400000_NS6detail17trampoline_kernelINS0_14default_configENS1_25transform_config_selectorIlLb0EEEZNS1_14transform_implILb0ES3_S5_NS0_18transform_iteratorINS0_17counting_iteratorImlEEZNS1_24adjacent_difference_implIS3_Lb1ELb0EPlSB_ZN2at6native12_GLOBAL__N_124unique_dim_cuda_templateIlEESt5tupleIJNSC_6TensorESH_SH_EERKSH_lbbbEUlllE1_EE10hipError_tPvRmT2_T3_mT4_P12ihipStream_tbEUlmE_lEESB_NS0_8identityIvEEEESM_SP_SQ_mSR_ST_bEUlT_E_NS1_11comp_targetILNS1_3genE5ELNS1_11target_archE942ELNS1_3gpuE9ELNS1_3repE0EEENS1_30default_config_static_selectorELNS0_4arch9wavefront6targetE0EEEvT1_,"axG",@progbits,_ZN7rocprim17ROCPRIM_400000_NS6detail17trampoline_kernelINS0_14default_configENS1_25transform_config_selectorIlLb0EEEZNS1_14transform_implILb0ES3_S5_NS0_18transform_iteratorINS0_17counting_iteratorImlEEZNS1_24adjacent_difference_implIS3_Lb1ELb0EPlSB_ZN2at6native12_GLOBAL__N_124unique_dim_cuda_templateIlEESt5tupleIJNSC_6TensorESH_SH_EERKSH_lbbbEUlllE1_EE10hipError_tPvRmT2_T3_mT4_P12ihipStream_tbEUlmE_lEESB_NS0_8identityIvEEEESM_SP_SQ_mSR_ST_bEUlT_E_NS1_11comp_targetILNS1_3genE5ELNS1_11target_archE942ELNS1_3gpuE9ELNS1_3repE0EEENS1_30default_config_static_selectorELNS0_4arch9wavefront6targetE0EEEvT1_,comdat
.Lfunc_end547:
	.size	_ZN7rocprim17ROCPRIM_400000_NS6detail17trampoline_kernelINS0_14default_configENS1_25transform_config_selectorIlLb0EEEZNS1_14transform_implILb0ES3_S5_NS0_18transform_iteratorINS0_17counting_iteratorImlEEZNS1_24adjacent_difference_implIS3_Lb1ELb0EPlSB_ZN2at6native12_GLOBAL__N_124unique_dim_cuda_templateIlEESt5tupleIJNSC_6TensorESH_SH_EERKSH_lbbbEUlllE1_EE10hipError_tPvRmT2_T3_mT4_P12ihipStream_tbEUlmE_lEESB_NS0_8identityIvEEEESM_SP_SQ_mSR_ST_bEUlT_E_NS1_11comp_targetILNS1_3genE5ELNS1_11target_archE942ELNS1_3gpuE9ELNS1_3repE0EEENS1_30default_config_static_selectorELNS0_4arch9wavefront6targetE0EEEvT1_, .Lfunc_end547-_ZN7rocprim17ROCPRIM_400000_NS6detail17trampoline_kernelINS0_14default_configENS1_25transform_config_selectorIlLb0EEEZNS1_14transform_implILb0ES3_S5_NS0_18transform_iteratorINS0_17counting_iteratorImlEEZNS1_24adjacent_difference_implIS3_Lb1ELb0EPlSB_ZN2at6native12_GLOBAL__N_124unique_dim_cuda_templateIlEESt5tupleIJNSC_6TensorESH_SH_EERKSH_lbbbEUlllE1_EE10hipError_tPvRmT2_T3_mT4_P12ihipStream_tbEUlmE_lEESB_NS0_8identityIvEEEESM_SP_SQ_mSR_ST_bEUlT_E_NS1_11comp_targetILNS1_3genE5ELNS1_11target_archE942ELNS1_3gpuE9ELNS1_3repE0EEENS1_30default_config_static_selectorELNS0_4arch9wavefront6targetE0EEEvT1_
                                        ; -- End function
	.section	.AMDGPU.csdata,"",@progbits
; Kernel info:
; codeLenInByte = 0
; NumSgprs: 0
; NumVgprs: 0
; ScratchSize: 0
; MemoryBound: 0
; FloatMode: 240
; IeeeMode: 1
; LDSByteSize: 0 bytes/workgroup (compile time only)
; SGPRBlocks: 0
; VGPRBlocks: 0
; NumSGPRsForWavesPerEU: 1
; NumVGPRsForWavesPerEU: 1
; Occupancy: 16
; WaveLimiterHint : 0
; COMPUTE_PGM_RSRC2:SCRATCH_EN: 0
; COMPUTE_PGM_RSRC2:USER_SGPR: 15
; COMPUTE_PGM_RSRC2:TRAP_HANDLER: 0
; COMPUTE_PGM_RSRC2:TGID_X_EN: 1
; COMPUTE_PGM_RSRC2:TGID_Y_EN: 0
; COMPUTE_PGM_RSRC2:TGID_Z_EN: 0
; COMPUTE_PGM_RSRC2:TIDIG_COMP_CNT: 0
	.section	.text._ZN7rocprim17ROCPRIM_400000_NS6detail17trampoline_kernelINS0_14default_configENS1_25transform_config_selectorIlLb0EEEZNS1_14transform_implILb0ES3_S5_NS0_18transform_iteratorINS0_17counting_iteratorImlEEZNS1_24adjacent_difference_implIS3_Lb1ELb0EPlSB_ZN2at6native12_GLOBAL__N_124unique_dim_cuda_templateIlEESt5tupleIJNSC_6TensorESH_SH_EERKSH_lbbbEUlllE1_EE10hipError_tPvRmT2_T3_mT4_P12ihipStream_tbEUlmE_lEESB_NS0_8identityIvEEEESM_SP_SQ_mSR_ST_bEUlT_E_NS1_11comp_targetILNS1_3genE4ELNS1_11target_archE910ELNS1_3gpuE8ELNS1_3repE0EEENS1_30default_config_static_selectorELNS0_4arch9wavefront6targetE0EEEvT1_,"axG",@progbits,_ZN7rocprim17ROCPRIM_400000_NS6detail17trampoline_kernelINS0_14default_configENS1_25transform_config_selectorIlLb0EEEZNS1_14transform_implILb0ES3_S5_NS0_18transform_iteratorINS0_17counting_iteratorImlEEZNS1_24adjacent_difference_implIS3_Lb1ELb0EPlSB_ZN2at6native12_GLOBAL__N_124unique_dim_cuda_templateIlEESt5tupleIJNSC_6TensorESH_SH_EERKSH_lbbbEUlllE1_EE10hipError_tPvRmT2_T3_mT4_P12ihipStream_tbEUlmE_lEESB_NS0_8identityIvEEEESM_SP_SQ_mSR_ST_bEUlT_E_NS1_11comp_targetILNS1_3genE4ELNS1_11target_archE910ELNS1_3gpuE8ELNS1_3repE0EEENS1_30default_config_static_selectorELNS0_4arch9wavefront6targetE0EEEvT1_,comdat
	.globl	_ZN7rocprim17ROCPRIM_400000_NS6detail17trampoline_kernelINS0_14default_configENS1_25transform_config_selectorIlLb0EEEZNS1_14transform_implILb0ES3_S5_NS0_18transform_iteratorINS0_17counting_iteratorImlEEZNS1_24adjacent_difference_implIS3_Lb1ELb0EPlSB_ZN2at6native12_GLOBAL__N_124unique_dim_cuda_templateIlEESt5tupleIJNSC_6TensorESH_SH_EERKSH_lbbbEUlllE1_EE10hipError_tPvRmT2_T3_mT4_P12ihipStream_tbEUlmE_lEESB_NS0_8identityIvEEEESM_SP_SQ_mSR_ST_bEUlT_E_NS1_11comp_targetILNS1_3genE4ELNS1_11target_archE910ELNS1_3gpuE8ELNS1_3repE0EEENS1_30default_config_static_selectorELNS0_4arch9wavefront6targetE0EEEvT1_ ; -- Begin function _ZN7rocprim17ROCPRIM_400000_NS6detail17trampoline_kernelINS0_14default_configENS1_25transform_config_selectorIlLb0EEEZNS1_14transform_implILb0ES3_S5_NS0_18transform_iteratorINS0_17counting_iteratorImlEEZNS1_24adjacent_difference_implIS3_Lb1ELb0EPlSB_ZN2at6native12_GLOBAL__N_124unique_dim_cuda_templateIlEESt5tupleIJNSC_6TensorESH_SH_EERKSH_lbbbEUlllE1_EE10hipError_tPvRmT2_T3_mT4_P12ihipStream_tbEUlmE_lEESB_NS0_8identityIvEEEESM_SP_SQ_mSR_ST_bEUlT_E_NS1_11comp_targetILNS1_3genE4ELNS1_11target_archE910ELNS1_3gpuE8ELNS1_3repE0EEENS1_30default_config_static_selectorELNS0_4arch9wavefront6targetE0EEEvT1_
	.p2align	8
	.type	_ZN7rocprim17ROCPRIM_400000_NS6detail17trampoline_kernelINS0_14default_configENS1_25transform_config_selectorIlLb0EEEZNS1_14transform_implILb0ES3_S5_NS0_18transform_iteratorINS0_17counting_iteratorImlEEZNS1_24adjacent_difference_implIS3_Lb1ELb0EPlSB_ZN2at6native12_GLOBAL__N_124unique_dim_cuda_templateIlEESt5tupleIJNSC_6TensorESH_SH_EERKSH_lbbbEUlllE1_EE10hipError_tPvRmT2_T3_mT4_P12ihipStream_tbEUlmE_lEESB_NS0_8identityIvEEEESM_SP_SQ_mSR_ST_bEUlT_E_NS1_11comp_targetILNS1_3genE4ELNS1_11target_archE910ELNS1_3gpuE8ELNS1_3repE0EEENS1_30default_config_static_selectorELNS0_4arch9wavefront6targetE0EEEvT1_,@function
_ZN7rocprim17ROCPRIM_400000_NS6detail17trampoline_kernelINS0_14default_configENS1_25transform_config_selectorIlLb0EEEZNS1_14transform_implILb0ES3_S5_NS0_18transform_iteratorINS0_17counting_iteratorImlEEZNS1_24adjacent_difference_implIS3_Lb1ELb0EPlSB_ZN2at6native12_GLOBAL__N_124unique_dim_cuda_templateIlEESt5tupleIJNSC_6TensorESH_SH_EERKSH_lbbbEUlllE1_EE10hipError_tPvRmT2_T3_mT4_P12ihipStream_tbEUlmE_lEESB_NS0_8identityIvEEEESM_SP_SQ_mSR_ST_bEUlT_E_NS1_11comp_targetILNS1_3genE4ELNS1_11target_archE910ELNS1_3gpuE8ELNS1_3repE0EEENS1_30default_config_static_selectorELNS0_4arch9wavefront6targetE0EEEvT1_: ; @_ZN7rocprim17ROCPRIM_400000_NS6detail17trampoline_kernelINS0_14default_configENS1_25transform_config_selectorIlLb0EEEZNS1_14transform_implILb0ES3_S5_NS0_18transform_iteratorINS0_17counting_iteratorImlEEZNS1_24adjacent_difference_implIS3_Lb1ELb0EPlSB_ZN2at6native12_GLOBAL__N_124unique_dim_cuda_templateIlEESt5tupleIJNSC_6TensorESH_SH_EERKSH_lbbbEUlllE1_EE10hipError_tPvRmT2_T3_mT4_P12ihipStream_tbEUlmE_lEESB_NS0_8identityIvEEEESM_SP_SQ_mSR_ST_bEUlT_E_NS1_11comp_targetILNS1_3genE4ELNS1_11target_archE910ELNS1_3gpuE8ELNS1_3repE0EEENS1_30default_config_static_selectorELNS0_4arch9wavefront6targetE0EEEvT1_
; %bb.0:
	.section	.rodata,"a",@progbits
	.p2align	6, 0x0
	.amdhsa_kernel _ZN7rocprim17ROCPRIM_400000_NS6detail17trampoline_kernelINS0_14default_configENS1_25transform_config_selectorIlLb0EEEZNS1_14transform_implILb0ES3_S5_NS0_18transform_iteratorINS0_17counting_iteratorImlEEZNS1_24adjacent_difference_implIS3_Lb1ELb0EPlSB_ZN2at6native12_GLOBAL__N_124unique_dim_cuda_templateIlEESt5tupleIJNSC_6TensorESH_SH_EERKSH_lbbbEUlllE1_EE10hipError_tPvRmT2_T3_mT4_P12ihipStream_tbEUlmE_lEESB_NS0_8identityIvEEEESM_SP_SQ_mSR_ST_bEUlT_E_NS1_11comp_targetILNS1_3genE4ELNS1_11target_archE910ELNS1_3gpuE8ELNS1_3repE0EEENS1_30default_config_static_selectorELNS0_4arch9wavefront6targetE0EEEvT1_
		.amdhsa_group_segment_fixed_size 0
		.amdhsa_private_segment_fixed_size 0
		.amdhsa_kernarg_size 56
		.amdhsa_user_sgpr_count 15
		.amdhsa_user_sgpr_dispatch_ptr 0
		.amdhsa_user_sgpr_queue_ptr 0
		.amdhsa_user_sgpr_kernarg_segment_ptr 1
		.amdhsa_user_sgpr_dispatch_id 0
		.amdhsa_user_sgpr_private_segment_size 0
		.amdhsa_wavefront_size32 1
		.amdhsa_uses_dynamic_stack 0
		.amdhsa_enable_private_segment 0
		.amdhsa_system_sgpr_workgroup_id_x 1
		.amdhsa_system_sgpr_workgroup_id_y 0
		.amdhsa_system_sgpr_workgroup_id_z 0
		.amdhsa_system_sgpr_workgroup_info 0
		.amdhsa_system_vgpr_workitem_id 0
		.amdhsa_next_free_vgpr 1
		.amdhsa_next_free_sgpr 1
		.amdhsa_reserve_vcc 0
		.amdhsa_float_round_mode_32 0
		.amdhsa_float_round_mode_16_64 0
		.amdhsa_float_denorm_mode_32 3
		.amdhsa_float_denorm_mode_16_64 3
		.amdhsa_dx10_clamp 1
		.amdhsa_ieee_mode 1
		.amdhsa_fp16_overflow 0
		.amdhsa_workgroup_processor_mode 1
		.amdhsa_memory_ordered 1
		.amdhsa_forward_progress 0
		.amdhsa_shared_vgpr_count 0
		.amdhsa_exception_fp_ieee_invalid_op 0
		.amdhsa_exception_fp_denorm_src 0
		.amdhsa_exception_fp_ieee_div_zero 0
		.amdhsa_exception_fp_ieee_overflow 0
		.amdhsa_exception_fp_ieee_underflow 0
		.amdhsa_exception_fp_ieee_inexact 0
		.amdhsa_exception_int_div_zero 0
	.end_amdhsa_kernel
	.section	.text._ZN7rocprim17ROCPRIM_400000_NS6detail17trampoline_kernelINS0_14default_configENS1_25transform_config_selectorIlLb0EEEZNS1_14transform_implILb0ES3_S5_NS0_18transform_iteratorINS0_17counting_iteratorImlEEZNS1_24adjacent_difference_implIS3_Lb1ELb0EPlSB_ZN2at6native12_GLOBAL__N_124unique_dim_cuda_templateIlEESt5tupleIJNSC_6TensorESH_SH_EERKSH_lbbbEUlllE1_EE10hipError_tPvRmT2_T3_mT4_P12ihipStream_tbEUlmE_lEESB_NS0_8identityIvEEEESM_SP_SQ_mSR_ST_bEUlT_E_NS1_11comp_targetILNS1_3genE4ELNS1_11target_archE910ELNS1_3gpuE8ELNS1_3repE0EEENS1_30default_config_static_selectorELNS0_4arch9wavefront6targetE0EEEvT1_,"axG",@progbits,_ZN7rocprim17ROCPRIM_400000_NS6detail17trampoline_kernelINS0_14default_configENS1_25transform_config_selectorIlLb0EEEZNS1_14transform_implILb0ES3_S5_NS0_18transform_iteratorINS0_17counting_iteratorImlEEZNS1_24adjacent_difference_implIS3_Lb1ELb0EPlSB_ZN2at6native12_GLOBAL__N_124unique_dim_cuda_templateIlEESt5tupleIJNSC_6TensorESH_SH_EERKSH_lbbbEUlllE1_EE10hipError_tPvRmT2_T3_mT4_P12ihipStream_tbEUlmE_lEESB_NS0_8identityIvEEEESM_SP_SQ_mSR_ST_bEUlT_E_NS1_11comp_targetILNS1_3genE4ELNS1_11target_archE910ELNS1_3gpuE8ELNS1_3repE0EEENS1_30default_config_static_selectorELNS0_4arch9wavefront6targetE0EEEvT1_,comdat
.Lfunc_end548:
	.size	_ZN7rocprim17ROCPRIM_400000_NS6detail17trampoline_kernelINS0_14default_configENS1_25transform_config_selectorIlLb0EEEZNS1_14transform_implILb0ES3_S5_NS0_18transform_iteratorINS0_17counting_iteratorImlEEZNS1_24adjacent_difference_implIS3_Lb1ELb0EPlSB_ZN2at6native12_GLOBAL__N_124unique_dim_cuda_templateIlEESt5tupleIJNSC_6TensorESH_SH_EERKSH_lbbbEUlllE1_EE10hipError_tPvRmT2_T3_mT4_P12ihipStream_tbEUlmE_lEESB_NS0_8identityIvEEEESM_SP_SQ_mSR_ST_bEUlT_E_NS1_11comp_targetILNS1_3genE4ELNS1_11target_archE910ELNS1_3gpuE8ELNS1_3repE0EEENS1_30default_config_static_selectorELNS0_4arch9wavefront6targetE0EEEvT1_, .Lfunc_end548-_ZN7rocprim17ROCPRIM_400000_NS6detail17trampoline_kernelINS0_14default_configENS1_25transform_config_selectorIlLb0EEEZNS1_14transform_implILb0ES3_S5_NS0_18transform_iteratorINS0_17counting_iteratorImlEEZNS1_24adjacent_difference_implIS3_Lb1ELb0EPlSB_ZN2at6native12_GLOBAL__N_124unique_dim_cuda_templateIlEESt5tupleIJNSC_6TensorESH_SH_EERKSH_lbbbEUlllE1_EE10hipError_tPvRmT2_T3_mT4_P12ihipStream_tbEUlmE_lEESB_NS0_8identityIvEEEESM_SP_SQ_mSR_ST_bEUlT_E_NS1_11comp_targetILNS1_3genE4ELNS1_11target_archE910ELNS1_3gpuE8ELNS1_3repE0EEENS1_30default_config_static_selectorELNS0_4arch9wavefront6targetE0EEEvT1_
                                        ; -- End function
	.section	.AMDGPU.csdata,"",@progbits
; Kernel info:
; codeLenInByte = 0
; NumSgprs: 0
; NumVgprs: 0
; ScratchSize: 0
; MemoryBound: 0
; FloatMode: 240
; IeeeMode: 1
; LDSByteSize: 0 bytes/workgroup (compile time only)
; SGPRBlocks: 0
; VGPRBlocks: 0
; NumSGPRsForWavesPerEU: 1
; NumVGPRsForWavesPerEU: 1
; Occupancy: 16
; WaveLimiterHint : 0
; COMPUTE_PGM_RSRC2:SCRATCH_EN: 0
; COMPUTE_PGM_RSRC2:USER_SGPR: 15
; COMPUTE_PGM_RSRC2:TRAP_HANDLER: 0
; COMPUTE_PGM_RSRC2:TGID_X_EN: 1
; COMPUTE_PGM_RSRC2:TGID_Y_EN: 0
; COMPUTE_PGM_RSRC2:TGID_Z_EN: 0
; COMPUTE_PGM_RSRC2:TIDIG_COMP_CNT: 0
	.section	.text._ZN7rocprim17ROCPRIM_400000_NS6detail17trampoline_kernelINS0_14default_configENS1_25transform_config_selectorIlLb0EEEZNS1_14transform_implILb0ES3_S5_NS0_18transform_iteratorINS0_17counting_iteratorImlEEZNS1_24adjacent_difference_implIS3_Lb1ELb0EPlSB_ZN2at6native12_GLOBAL__N_124unique_dim_cuda_templateIlEESt5tupleIJNSC_6TensorESH_SH_EERKSH_lbbbEUlllE1_EE10hipError_tPvRmT2_T3_mT4_P12ihipStream_tbEUlmE_lEESB_NS0_8identityIvEEEESM_SP_SQ_mSR_ST_bEUlT_E_NS1_11comp_targetILNS1_3genE3ELNS1_11target_archE908ELNS1_3gpuE7ELNS1_3repE0EEENS1_30default_config_static_selectorELNS0_4arch9wavefront6targetE0EEEvT1_,"axG",@progbits,_ZN7rocprim17ROCPRIM_400000_NS6detail17trampoline_kernelINS0_14default_configENS1_25transform_config_selectorIlLb0EEEZNS1_14transform_implILb0ES3_S5_NS0_18transform_iteratorINS0_17counting_iteratorImlEEZNS1_24adjacent_difference_implIS3_Lb1ELb0EPlSB_ZN2at6native12_GLOBAL__N_124unique_dim_cuda_templateIlEESt5tupleIJNSC_6TensorESH_SH_EERKSH_lbbbEUlllE1_EE10hipError_tPvRmT2_T3_mT4_P12ihipStream_tbEUlmE_lEESB_NS0_8identityIvEEEESM_SP_SQ_mSR_ST_bEUlT_E_NS1_11comp_targetILNS1_3genE3ELNS1_11target_archE908ELNS1_3gpuE7ELNS1_3repE0EEENS1_30default_config_static_selectorELNS0_4arch9wavefront6targetE0EEEvT1_,comdat
	.globl	_ZN7rocprim17ROCPRIM_400000_NS6detail17trampoline_kernelINS0_14default_configENS1_25transform_config_selectorIlLb0EEEZNS1_14transform_implILb0ES3_S5_NS0_18transform_iteratorINS0_17counting_iteratorImlEEZNS1_24adjacent_difference_implIS3_Lb1ELb0EPlSB_ZN2at6native12_GLOBAL__N_124unique_dim_cuda_templateIlEESt5tupleIJNSC_6TensorESH_SH_EERKSH_lbbbEUlllE1_EE10hipError_tPvRmT2_T3_mT4_P12ihipStream_tbEUlmE_lEESB_NS0_8identityIvEEEESM_SP_SQ_mSR_ST_bEUlT_E_NS1_11comp_targetILNS1_3genE3ELNS1_11target_archE908ELNS1_3gpuE7ELNS1_3repE0EEENS1_30default_config_static_selectorELNS0_4arch9wavefront6targetE0EEEvT1_ ; -- Begin function _ZN7rocprim17ROCPRIM_400000_NS6detail17trampoline_kernelINS0_14default_configENS1_25transform_config_selectorIlLb0EEEZNS1_14transform_implILb0ES3_S5_NS0_18transform_iteratorINS0_17counting_iteratorImlEEZNS1_24adjacent_difference_implIS3_Lb1ELb0EPlSB_ZN2at6native12_GLOBAL__N_124unique_dim_cuda_templateIlEESt5tupleIJNSC_6TensorESH_SH_EERKSH_lbbbEUlllE1_EE10hipError_tPvRmT2_T3_mT4_P12ihipStream_tbEUlmE_lEESB_NS0_8identityIvEEEESM_SP_SQ_mSR_ST_bEUlT_E_NS1_11comp_targetILNS1_3genE3ELNS1_11target_archE908ELNS1_3gpuE7ELNS1_3repE0EEENS1_30default_config_static_selectorELNS0_4arch9wavefront6targetE0EEEvT1_
	.p2align	8
	.type	_ZN7rocprim17ROCPRIM_400000_NS6detail17trampoline_kernelINS0_14default_configENS1_25transform_config_selectorIlLb0EEEZNS1_14transform_implILb0ES3_S5_NS0_18transform_iteratorINS0_17counting_iteratorImlEEZNS1_24adjacent_difference_implIS3_Lb1ELb0EPlSB_ZN2at6native12_GLOBAL__N_124unique_dim_cuda_templateIlEESt5tupleIJNSC_6TensorESH_SH_EERKSH_lbbbEUlllE1_EE10hipError_tPvRmT2_T3_mT4_P12ihipStream_tbEUlmE_lEESB_NS0_8identityIvEEEESM_SP_SQ_mSR_ST_bEUlT_E_NS1_11comp_targetILNS1_3genE3ELNS1_11target_archE908ELNS1_3gpuE7ELNS1_3repE0EEENS1_30default_config_static_selectorELNS0_4arch9wavefront6targetE0EEEvT1_,@function
_ZN7rocprim17ROCPRIM_400000_NS6detail17trampoline_kernelINS0_14default_configENS1_25transform_config_selectorIlLb0EEEZNS1_14transform_implILb0ES3_S5_NS0_18transform_iteratorINS0_17counting_iteratorImlEEZNS1_24adjacent_difference_implIS3_Lb1ELb0EPlSB_ZN2at6native12_GLOBAL__N_124unique_dim_cuda_templateIlEESt5tupleIJNSC_6TensorESH_SH_EERKSH_lbbbEUlllE1_EE10hipError_tPvRmT2_T3_mT4_P12ihipStream_tbEUlmE_lEESB_NS0_8identityIvEEEESM_SP_SQ_mSR_ST_bEUlT_E_NS1_11comp_targetILNS1_3genE3ELNS1_11target_archE908ELNS1_3gpuE7ELNS1_3repE0EEENS1_30default_config_static_selectorELNS0_4arch9wavefront6targetE0EEEvT1_: ; @_ZN7rocprim17ROCPRIM_400000_NS6detail17trampoline_kernelINS0_14default_configENS1_25transform_config_selectorIlLb0EEEZNS1_14transform_implILb0ES3_S5_NS0_18transform_iteratorINS0_17counting_iteratorImlEEZNS1_24adjacent_difference_implIS3_Lb1ELb0EPlSB_ZN2at6native12_GLOBAL__N_124unique_dim_cuda_templateIlEESt5tupleIJNSC_6TensorESH_SH_EERKSH_lbbbEUlllE1_EE10hipError_tPvRmT2_T3_mT4_P12ihipStream_tbEUlmE_lEESB_NS0_8identityIvEEEESM_SP_SQ_mSR_ST_bEUlT_E_NS1_11comp_targetILNS1_3genE3ELNS1_11target_archE908ELNS1_3gpuE7ELNS1_3repE0EEENS1_30default_config_static_selectorELNS0_4arch9wavefront6targetE0EEEvT1_
; %bb.0:
	.section	.rodata,"a",@progbits
	.p2align	6, 0x0
	.amdhsa_kernel _ZN7rocprim17ROCPRIM_400000_NS6detail17trampoline_kernelINS0_14default_configENS1_25transform_config_selectorIlLb0EEEZNS1_14transform_implILb0ES3_S5_NS0_18transform_iteratorINS0_17counting_iteratorImlEEZNS1_24adjacent_difference_implIS3_Lb1ELb0EPlSB_ZN2at6native12_GLOBAL__N_124unique_dim_cuda_templateIlEESt5tupleIJNSC_6TensorESH_SH_EERKSH_lbbbEUlllE1_EE10hipError_tPvRmT2_T3_mT4_P12ihipStream_tbEUlmE_lEESB_NS0_8identityIvEEEESM_SP_SQ_mSR_ST_bEUlT_E_NS1_11comp_targetILNS1_3genE3ELNS1_11target_archE908ELNS1_3gpuE7ELNS1_3repE0EEENS1_30default_config_static_selectorELNS0_4arch9wavefront6targetE0EEEvT1_
		.amdhsa_group_segment_fixed_size 0
		.amdhsa_private_segment_fixed_size 0
		.amdhsa_kernarg_size 56
		.amdhsa_user_sgpr_count 15
		.amdhsa_user_sgpr_dispatch_ptr 0
		.amdhsa_user_sgpr_queue_ptr 0
		.amdhsa_user_sgpr_kernarg_segment_ptr 1
		.amdhsa_user_sgpr_dispatch_id 0
		.amdhsa_user_sgpr_private_segment_size 0
		.amdhsa_wavefront_size32 1
		.amdhsa_uses_dynamic_stack 0
		.amdhsa_enable_private_segment 0
		.amdhsa_system_sgpr_workgroup_id_x 1
		.amdhsa_system_sgpr_workgroup_id_y 0
		.amdhsa_system_sgpr_workgroup_id_z 0
		.amdhsa_system_sgpr_workgroup_info 0
		.amdhsa_system_vgpr_workitem_id 0
		.amdhsa_next_free_vgpr 1
		.amdhsa_next_free_sgpr 1
		.amdhsa_reserve_vcc 0
		.amdhsa_float_round_mode_32 0
		.amdhsa_float_round_mode_16_64 0
		.amdhsa_float_denorm_mode_32 3
		.amdhsa_float_denorm_mode_16_64 3
		.amdhsa_dx10_clamp 1
		.amdhsa_ieee_mode 1
		.amdhsa_fp16_overflow 0
		.amdhsa_workgroup_processor_mode 1
		.amdhsa_memory_ordered 1
		.amdhsa_forward_progress 0
		.amdhsa_shared_vgpr_count 0
		.amdhsa_exception_fp_ieee_invalid_op 0
		.amdhsa_exception_fp_denorm_src 0
		.amdhsa_exception_fp_ieee_div_zero 0
		.amdhsa_exception_fp_ieee_overflow 0
		.amdhsa_exception_fp_ieee_underflow 0
		.amdhsa_exception_fp_ieee_inexact 0
		.amdhsa_exception_int_div_zero 0
	.end_amdhsa_kernel
	.section	.text._ZN7rocprim17ROCPRIM_400000_NS6detail17trampoline_kernelINS0_14default_configENS1_25transform_config_selectorIlLb0EEEZNS1_14transform_implILb0ES3_S5_NS0_18transform_iteratorINS0_17counting_iteratorImlEEZNS1_24adjacent_difference_implIS3_Lb1ELb0EPlSB_ZN2at6native12_GLOBAL__N_124unique_dim_cuda_templateIlEESt5tupleIJNSC_6TensorESH_SH_EERKSH_lbbbEUlllE1_EE10hipError_tPvRmT2_T3_mT4_P12ihipStream_tbEUlmE_lEESB_NS0_8identityIvEEEESM_SP_SQ_mSR_ST_bEUlT_E_NS1_11comp_targetILNS1_3genE3ELNS1_11target_archE908ELNS1_3gpuE7ELNS1_3repE0EEENS1_30default_config_static_selectorELNS0_4arch9wavefront6targetE0EEEvT1_,"axG",@progbits,_ZN7rocprim17ROCPRIM_400000_NS6detail17trampoline_kernelINS0_14default_configENS1_25transform_config_selectorIlLb0EEEZNS1_14transform_implILb0ES3_S5_NS0_18transform_iteratorINS0_17counting_iteratorImlEEZNS1_24adjacent_difference_implIS3_Lb1ELb0EPlSB_ZN2at6native12_GLOBAL__N_124unique_dim_cuda_templateIlEESt5tupleIJNSC_6TensorESH_SH_EERKSH_lbbbEUlllE1_EE10hipError_tPvRmT2_T3_mT4_P12ihipStream_tbEUlmE_lEESB_NS0_8identityIvEEEESM_SP_SQ_mSR_ST_bEUlT_E_NS1_11comp_targetILNS1_3genE3ELNS1_11target_archE908ELNS1_3gpuE7ELNS1_3repE0EEENS1_30default_config_static_selectorELNS0_4arch9wavefront6targetE0EEEvT1_,comdat
.Lfunc_end549:
	.size	_ZN7rocprim17ROCPRIM_400000_NS6detail17trampoline_kernelINS0_14default_configENS1_25transform_config_selectorIlLb0EEEZNS1_14transform_implILb0ES3_S5_NS0_18transform_iteratorINS0_17counting_iteratorImlEEZNS1_24adjacent_difference_implIS3_Lb1ELb0EPlSB_ZN2at6native12_GLOBAL__N_124unique_dim_cuda_templateIlEESt5tupleIJNSC_6TensorESH_SH_EERKSH_lbbbEUlllE1_EE10hipError_tPvRmT2_T3_mT4_P12ihipStream_tbEUlmE_lEESB_NS0_8identityIvEEEESM_SP_SQ_mSR_ST_bEUlT_E_NS1_11comp_targetILNS1_3genE3ELNS1_11target_archE908ELNS1_3gpuE7ELNS1_3repE0EEENS1_30default_config_static_selectorELNS0_4arch9wavefront6targetE0EEEvT1_, .Lfunc_end549-_ZN7rocprim17ROCPRIM_400000_NS6detail17trampoline_kernelINS0_14default_configENS1_25transform_config_selectorIlLb0EEEZNS1_14transform_implILb0ES3_S5_NS0_18transform_iteratorINS0_17counting_iteratorImlEEZNS1_24adjacent_difference_implIS3_Lb1ELb0EPlSB_ZN2at6native12_GLOBAL__N_124unique_dim_cuda_templateIlEESt5tupleIJNSC_6TensorESH_SH_EERKSH_lbbbEUlllE1_EE10hipError_tPvRmT2_T3_mT4_P12ihipStream_tbEUlmE_lEESB_NS0_8identityIvEEEESM_SP_SQ_mSR_ST_bEUlT_E_NS1_11comp_targetILNS1_3genE3ELNS1_11target_archE908ELNS1_3gpuE7ELNS1_3repE0EEENS1_30default_config_static_selectorELNS0_4arch9wavefront6targetE0EEEvT1_
                                        ; -- End function
	.section	.AMDGPU.csdata,"",@progbits
; Kernel info:
; codeLenInByte = 0
; NumSgprs: 0
; NumVgprs: 0
; ScratchSize: 0
; MemoryBound: 0
; FloatMode: 240
; IeeeMode: 1
; LDSByteSize: 0 bytes/workgroup (compile time only)
; SGPRBlocks: 0
; VGPRBlocks: 0
; NumSGPRsForWavesPerEU: 1
; NumVGPRsForWavesPerEU: 1
; Occupancy: 16
; WaveLimiterHint : 0
; COMPUTE_PGM_RSRC2:SCRATCH_EN: 0
; COMPUTE_PGM_RSRC2:USER_SGPR: 15
; COMPUTE_PGM_RSRC2:TRAP_HANDLER: 0
; COMPUTE_PGM_RSRC2:TGID_X_EN: 1
; COMPUTE_PGM_RSRC2:TGID_Y_EN: 0
; COMPUTE_PGM_RSRC2:TGID_Z_EN: 0
; COMPUTE_PGM_RSRC2:TIDIG_COMP_CNT: 0
	.section	.text._ZN7rocprim17ROCPRIM_400000_NS6detail17trampoline_kernelINS0_14default_configENS1_25transform_config_selectorIlLb0EEEZNS1_14transform_implILb0ES3_S5_NS0_18transform_iteratorINS0_17counting_iteratorImlEEZNS1_24adjacent_difference_implIS3_Lb1ELb0EPlSB_ZN2at6native12_GLOBAL__N_124unique_dim_cuda_templateIlEESt5tupleIJNSC_6TensorESH_SH_EERKSH_lbbbEUlllE1_EE10hipError_tPvRmT2_T3_mT4_P12ihipStream_tbEUlmE_lEESB_NS0_8identityIvEEEESM_SP_SQ_mSR_ST_bEUlT_E_NS1_11comp_targetILNS1_3genE2ELNS1_11target_archE906ELNS1_3gpuE6ELNS1_3repE0EEENS1_30default_config_static_selectorELNS0_4arch9wavefront6targetE0EEEvT1_,"axG",@progbits,_ZN7rocprim17ROCPRIM_400000_NS6detail17trampoline_kernelINS0_14default_configENS1_25transform_config_selectorIlLb0EEEZNS1_14transform_implILb0ES3_S5_NS0_18transform_iteratorINS0_17counting_iteratorImlEEZNS1_24adjacent_difference_implIS3_Lb1ELb0EPlSB_ZN2at6native12_GLOBAL__N_124unique_dim_cuda_templateIlEESt5tupleIJNSC_6TensorESH_SH_EERKSH_lbbbEUlllE1_EE10hipError_tPvRmT2_T3_mT4_P12ihipStream_tbEUlmE_lEESB_NS0_8identityIvEEEESM_SP_SQ_mSR_ST_bEUlT_E_NS1_11comp_targetILNS1_3genE2ELNS1_11target_archE906ELNS1_3gpuE6ELNS1_3repE0EEENS1_30default_config_static_selectorELNS0_4arch9wavefront6targetE0EEEvT1_,comdat
	.globl	_ZN7rocprim17ROCPRIM_400000_NS6detail17trampoline_kernelINS0_14default_configENS1_25transform_config_selectorIlLb0EEEZNS1_14transform_implILb0ES3_S5_NS0_18transform_iteratorINS0_17counting_iteratorImlEEZNS1_24adjacent_difference_implIS3_Lb1ELb0EPlSB_ZN2at6native12_GLOBAL__N_124unique_dim_cuda_templateIlEESt5tupleIJNSC_6TensorESH_SH_EERKSH_lbbbEUlllE1_EE10hipError_tPvRmT2_T3_mT4_P12ihipStream_tbEUlmE_lEESB_NS0_8identityIvEEEESM_SP_SQ_mSR_ST_bEUlT_E_NS1_11comp_targetILNS1_3genE2ELNS1_11target_archE906ELNS1_3gpuE6ELNS1_3repE0EEENS1_30default_config_static_selectorELNS0_4arch9wavefront6targetE0EEEvT1_ ; -- Begin function _ZN7rocprim17ROCPRIM_400000_NS6detail17trampoline_kernelINS0_14default_configENS1_25transform_config_selectorIlLb0EEEZNS1_14transform_implILb0ES3_S5_NS0_18transform_iteratorINS0_17counting_iteratorImlEEZNS1_24adjacent_difference_implIS3_Lb1ELb0EPlSB_ZN2at6native12_GLOBAL__N_124unique_dim_cuda_templateIlEESt5tupleIJNSC_6TensorESH_SH_EERKSH_lbbbEUlllE1_EE10hipError_tPvRmT2_T3_mT4_P12ihipStream_tbEUlmE_lEESB_NS0_8identityIvEEEESM_SP_SQ_mSR_ST_bEUlT_E_NS1_11comp_targetILNS1_3genE2ELNS1_11target_archE906ELNS1_3gpuE6ELNS1_3repE0EEENS1_30default_config_static_selectorELNS0_4arch9wavefront6targetE0EEEvT1_
	.p2align	8
	.type	_ZN7rocprim17ROCPRIM_400000_NS6detail17trampoline_kernelINS0_14default_configENS1_25transform_config_selectorIlLb0EEEZNS1_14transform_implILb0ES3_S5_NS0_18transform_iteratorINS0_17counting_iteratorImlEEZNS1_24adjacent_difference_implIS3_Lb1ELb0EPlSB_ZN2at6native12_GLOBAL__N_124unique_dim_cuda_templateIlEESt5tupleIJNSC_6TensorESH_SH_EERKSH_lbbbEUlllE1_EE10hipError_tPvRmT2_T3_mT4_P12ihipStream_tbEUlmE_lEESB_NS0_8identityIvEEEESM_SP_SQ_mSR_ST_bEUlT_E_NS1_11comp_targetILNS1_3genE2ELNS1_11target_archE906ELNS1_3gpuE6ELNS1_3repE0EEENS1_30default_config_static_selectorELNS0_4arch9wavefront6targetE0EEEvT1_,@function
_ZN7rocprim17ROCPRIM_400000_NS6detail17trampoline_kernelINS0_14default_configENS1_25transform_config_selectorIlLb0EEEZNS1_14transform_implILb0ES3_S5_NS0_18transform_iteratorINS0_17counting_iteratorImlEEZNS1_24adjacent_difference_implIS3_Lb1ELb0EPlSB_ZN2at6native12_GLOBAL__N_124unique_dim_cuda_templateIlEESt5tupleIJNSC_6TensorESH_SH_EERKSH_lbbbEUlllE1_EE10hipError_tPvRmT2_T3_mT4_P12ihipStream_tbEUlmE_lEESB_NS0_8identityIvEEEESM_SP_SQ_mSR_ST_bEUlT_E_NS1_11comp_targetILNS1_3genE2ELNS1_11target_archE906ELNS1_3gpuE6ELNS1_3repE0EEENS1_30default_config_static_selectorELNS0_4arch9wavefront6targetE0EEEvT1_: ; @_ZN7rocprim17ROCPRIM_400000_NS6detail17trampoline_kernelINS0_14default_configENS1_25transform_config_selectorIlLb0EEEZNS1_14transform_implILb0ES3_S5_NS0_18transform_iteratorINS0_17counting_iteratorImlEEZNS1_24adjacent_difference_implIS3_Lb1ELb0EPlSB_ZN2at6native12_GLOBAL__N_124unique_dim_cuda_templateIlEESt5tupleIJNSC_6TensorESH_SH_EERKSH_lbbbEUlllE1_EE10hipError_tPvRmT2_T3_mT4_P12ihipStream_tbEUlmE_lEESB_NS0_8identityIvEEEESM_SP_SQ_mSR_ST_bEUlT_E_NS1_11comp_targetILNS1_3genE2ELNS1_11target_archE906ELNS1_3gpuE6ELNS1_3repE0EEENS1_30default_config_static_selectorELNS0_4arch9wavefront6targetE0EEEvT1_
; %bb.0:
	.section	.rodata,"a",@progbits
	.p2align	6, 0x0
	.amdhsa_kernel _ZN7rocprim17ROCPRIM_400000_NS6detail17trampoline_kernelINS0_14default_configENS1_25transform_config_selectorIlLb0EEEZNS1_14transform_implILb0ES3_S5_NS0_18transform_iteratorINS0_17counting_iteratorImlEEZNS1_24adjacent_difference_implIS3_Lb1ELb0EPlSB_ZN2at6native12_GLOBAL__N_124unique_dim_cuda_templateIlEESt5tupleIJNSC_6TensorESH_SH_EERKSH_lbbbEUlllE1_EE10hipError_tPvRmT2_T3_mT4_P12ihipStream_tbEUlmE_lEESB_NS0_8identityIvEEEESM_SP_SQ_mSR_ST_bEUlT_E_NS1_11comp_targetILNS1_3genE2ELNS1_11target_archE906ELNS1_3gpuE6ELNS1_3repE0EEENS1_30default_config_static_selectorELNS0_4arch9wavefront6targetE0EEEvT1_
		.amdhsa_group_segment_fixed_size 0
		.amdhsa_private_segment_fixed_size 0
		.amdhsa_kernarg_size 56
		.amdhsa_user_sgpr_count 15
		.amdhsa_user_sgpr_dispatch_ptr 0
		.amdhsa_user_sgpr_queue_ptr 0
		.amdhsa_user_sgpr_kernarg_segment_ptr 1
		.amdhsa_user_sgpr_dispatch_id 0
		.amdhsa_user_sgpr_private_segment_size 0
		.amdhsa_wavefront_size32 1
		.amdhsa_uses_dynamic_stack 0
		.amdhsa_enable_private_segment 0
		.amdhsa_system_sgpr_workgroup_id_x 1
		.amdhsa_system_sgpr_workgroup_id_y 0
		.amdhsa_system_sgpr_workgroup_id_z 0
		.amdhsa_system_sgpr_workgroup_info 0
		.amdhsa_system_vgpr_workitem_id 0
		.amdhsa_next_free_vgpr 1
		.amdhsa_next_free_sgpr 1
		.amdhsa_reserve_vcc 0
		.amdhsa_float_round_mode_32 0
		.amdhsa_float_round_mode_16_64 0
		.amdhsa_float_denorm_mode_32 3
		.amdhsa_float_denorm_mode_16_64 3
		.amdhsa_dx10_clamp 1
		.amdhsa_ieee_mode 1
		.amdhsa_fp16_overflow 0
		.amdhsa_workgroup_processor_mode 1
		.amdhsa_memory_ordered 1
		.amdhsa_forward_progress 0
		.amdhsa_shared_vgpr_count 0
		.amdhsa_exception_fp_ieee_invalid_op 0
		.amdhsa_exception_fp_denorm_src 0
		.amdhsa_exception_fp_ieee_div_zero 0
		.amdhsa_exception_fp_ieee_overflow 0
		.amdhsa_exception_fp_ieee_underflow 0
		.amdhsa_exception_fp_ieee_inexact 0
		.amdhsa_exception_int_div_zero 0
	.end_amdhsa_kernel
	.section	.text._ZN7rocprim17ROCPRIM_400000_NS6detail17trampoline_kernelINS0_14default_configENS1_25transform_config_selectorIlLb0EEEZNS1_14transform_implILb0ES3_S5_NS0_18transform_iteratorINS0_17counting_iteratorImlEEZNS1_24adjacent_difference_implIS3_Lb1ELb0EPlSB_ZN2at6native12_GLOBAL__N_124unique_dim_cuda_templateIlEESt5tupleIJNSC_6TensorESH_SH_EERKSH_lbbbEUlllE1_EE10hipError_tPvRmT2_T3_mT4_P12ihipStream_tbEUlmE_lEESB_NS0_8identityIvEEEESM_SP_SQ_mSR_ST_bEUlT_E_NS1_11comp_targetILNS1_3genE2ELNS1_11target_archE906ELNS1_3gpuE6ELNS1_3repE0EEENS1_30default_config_static_selectorELNS0_4arch9wavefront6targetE0EEEvT1_,"axG",@progbits,_ZN7rocprim17ROCPRIM_400000_NS6detail17trampoline_kernelINS0_14default_configENS1_25transform_config_selectorIlLb0EEEZNS1_14transform_implILb0ES3_S5_NS0_18transform_iteratorINS0_17counting_iteratorImlEEZNS1_24adjacent_difference_implIS3_Lb1ELb0EPlSB_ZN2at6native12_GLOBAL__N_124unique_dim_cuda_templateIlEESt5tupleIJNSC_6TensorESH_SH_EERKSH_lbbbEUlllE1_EE10hipError_tPvRmT2_T3_mT4_P12ihipStream_tbEUlmE_lEESB_NS0_8identityIvEEEESM_SP_SQ_mSR_ST_bEUlT_E_NS1_11comp_targetILNS1_3genE2ELNS1_11target_archE906ELNS1_3gpuE6ELNS1_3repE0EEENS1_30default_config_static_selectorELNS0_4arch9wavefront6targetE0EEEvT1_,comdat
.Lfunc_end550:
	.size	_ZN7rocprim17ROCPRIM_400000_NS6detail17trampoline_kernelINS0_14default_configENS1_25transform_config_selectorIlLb0EEEZNS1_14transform_implILb0ES3_S5_NS0_18transform_iteratorINS0_17counting_iteratorImlEEZNS1_24adjacent_difference_implIS3_Lb1ELb0EPlSB_ZN2at6native12_GLOBAL__N_124unique_dim_cuda_templateIlEESt5tupleIJNSC_6TensorESH_SH_EERKSH_lbbbEUlllE1_EE10hipError_tPvRmT2_T3_mT4_P12ihipStream_tbEUlmE_lEESB_NS0_8identityIvEEEESM_SP_SQ_mSR_ST_bEUlT_E_NS1_11comp_targetILNS1_3genE2ELNS1_11target_archE906ELNS1_3gpuE6ELNS1_3repE0EEENS1_30default_config_static_selectorELNS0_4arch9wavefront6targetE0EEEvT1_, .Lfunc_end550-_ZN7rocprim17ROCPRIM_400000_NS6detail17trampoline_kernelINS0_14default_configENS1_25transform_config_selectorIlLb0EEEZNS1_14transform_implILb0ES3_S5_NS0_18transform_iteratorINS0_17counting_iteratorImlEEZNS1_24adjacent_difference_implIS3_Lb1ELb0EPlSB_ZN2at6native12_GLOBAL__N_124unique_dim_cuda_templateIlEESt5tupleIJNSC_6TensorESH_SH_EERKSH_lbbbEUlllE1_EE10hipError_tPvRmT2_T3_mT4_P12ihipStream_tbEUlmE_lEESB_NS0_8identityIvEEEESM_SP_SQ_mSR_ST_bEUlT_E_NS1_11comp_targetILNS1_3genE2ELNS1_11target_archE906ELNS1_3gpuE6ELNS1_3repE0EEENS1_30default_config_static_selectorELNS0_4arch9wavefront6targetE0EEEvT1_
                                        ; -- End function
	.section	.AMDGPU.csdata,"",@progbits
; Kernel info:
; codeLenInByte = 0
; NumSgprs: 0
; NumVgprs: 0
; ScratchSize: 0
; MemoryBound: 0
; FloatMode: 240
; IeeeMode: 1
; LDSByteSize: 0 bytes/workgroup (compile time only)
; SGPRBlocks: 0
; VGPRBlocks: 0
; NumSGPRsForWavesPerEU: 1
; NumVGPRsForWavesPerEU: 1
; Occupancy: 16
; WaveLimiterHint : 0
; COMPUTE_PGM_RSRC2:SCRATCH_EN: 0
; COMPUTE_PGM_RSRC2:USER_SGPR: 15
; COMPUTE_PGM_RSRC2:TRAP_HANDLER: 0
; COMPUTE_PGM_RSRC2:TGID_X_EN: 1
; COMPUTE_PGM_RSRC2:TGID_Y_EN: 0
; COMPUTE_PGM_RSRC2:TGID_Z_EN: 0
; COMPUTE_PGM_RSRC2:TIDIG_COMP_CNT: 0
	.section	.text._ZN7rocprim17ROCPRIM_400000_NS6detail17trampoline_kernelINS0_14default_configENS1_25transform_config_selectorIlLb0EEEZNS1_14transform_implILb0ES3_S5_NS0_18transform_iteratorINS0_17counting_iteratorImlEEZNS1_24adjacent_difference_implIS3_Lb1ELb0EPlSB_ZN2at6native12_GLOBAL__N_124unique_dim_cuda_templateIlEESt5tupleIJNSC_6TensorESH_SH_EERKSH_lbbbEUlllE1_EE10hipError_tPvRmT2_T3_mT4_P12ihipStream_tbEUlmE_lEESB_NS0_8identityIvEEEESM_SP_SQ_mSR_ST_bEUlT_E_NS1_11comp_targetILNS1_3genE10ELNS1_11target_archE1201ELNS1_3gpuE5ELNS1_3repE0EEENS1_30default_config_static_selectorELNS0_4arch9wavefront6targetE0EEEvT1_,"axG",@progbits,_ZN7rocprim17ROCPRIM_400000_NS6detail17trampoline_kernelINS0_14default_configENS1_25transform_config_selectorIlLb0EEEZNS1_14transform_implILb0ES3_S5_NS0_18transform_iteratorINS0_17counting_iteratorImlEEZNS1_24adjacent_difference_implIS3_Lb1ELb0EPlSB_ZN2at6native12_GLOBAL__N_124unique_dim_cuda_templateIlEESt5tupleIJNSC_6TensorESH_SH_EERKSH_lbbbEUlllE1_EE10hipError_tPvRmT2_T3_mT4_P12ihipStream_tbEUlmE_lEESB_NS0_8identityIvEEEESM_SP_SQ_mSR_ST_bEUlT_E_NS1_11comp_targetILNS1_3genE10ELNS1_11target_archE1201ELNS1_3gpuE5ELNS1_3repE0EEENS1_30default_config_static_selectorELNS0_4arch9wavefront6targetE0EEEvT1_,comdat
	.globl	_ZN7rocprim17ROCPRIM_400000_NS6detail17trampoline_kernelINS0_14default_configENS1_25transform_config_selectorIlLb0EEEZNS1_14transform_implILb0ES3_S5_NS0_18transform_iteratorINS0_17counting_iteratorImlEEZNS1_24adjacent_difference_implIS3_Lb1ELb0EPlSB_ZN2at6native12_GLOBAL__N_124unique_dim_cuda_templateIlEESt5tupleIJNSC_6TensorESH_SH_EERKSH_lbbbEUlllE1_EE10hipError_tPvRmT2_T3_mT4_P12ihipStream_tbEUlmE_lEESB_NS0_8identityIvEEEESM_SP_SQ_mSR_ST_bEUlT_E_NS1_11comp_targetILNS1_3genE10ELNS1_11target_archE1201ELNS1_3gpuE5ELNS1_3repE0EEENS1_30default_config_static_selectorELNS0_4arch9wavefront6targetE0EEEvT1_ ; -- Begin function _ZN7rocprim17ROCPRIM_400000_NS6detail17trampoline_kernelINS0_14default_configENS1_25transform_config_selectorIlLb0EEEZNS1_14transform_implILb0ES3_S5_NS0_18transform_iteratorINS0_17counting_iteratorImlEEZNS1_24adjacent_difference_implIS3_Lb1ELb0EPlSB_ZN2at6native12_GLOBAL__N_124unique_dim_cuda_templateIlEESt5tupleIJNSC_6TensorESH_SH_EERKSH_lbbbEUlllE1_EE10hipError_tPvRmT2_T3_mT4_P12ihipStream_tbEUlmE_lEESB_NS0_8identityIvEEEESM_SP_SQ_mSR_ST_bEUlT_E_NS1_11comp_targetILNS1_3genE10ELNS1_11target_archE1201ELNS1_3gpuE5ELNS1_3repE0EEENS1_30default_config_static_selectorELNS0_4arch9wavefront6targetE0EEEvT1_
	.p2align	8
	.type	_ZN7rocprim17ROCPRIM_400000_NS6detail17trampoline_kernelINS0_14default_configENS1_25transform_config_selectorIlLb0EEEZNS1_14transform_implILb0ES3_S5_NS0_18transform_iteratorINS0_17counting_iteratorImlEEZNS1_24adjacent_difference_implIS3_Lb1ELb0EPlSB_ZN2at6native12_GLOBAL__N_124unique_dim_cuda_templateIlEESt5tupleIJNSC_6TensorESH_SH_EERKSH_lbbbEUlllE1_EE10hipError_tPvRmT2_T3_mT4_P12ihipStream_tbEUlmE_lEESB_NS0_8identityIvEEEESM_SP_SQ_mSR_ST_bEUlT_E_NS1_11comp_targetILNS1_3genE10ELNS1_11target_archE1201ELNS1_3gpuE5ELNS1_3repE0EEENS1_30default_config_static_selectorELNS0_4arch9wavefront6targetE0EEEvT1_,@function
_ZN7rocprim17ROCPRIM_400000_NS6detail17trampoline_kernelINS0_14default_configENS1_25transform_config_selectorIlLb0EEEZNS1_14transform_implILb0ES3_S5_NS0_18transform_iteratorINS0_17counting_iteratorImlEEZNS1_24adjacent_difference_implIS3_Lb1ELb0EPlSB_ZN2at6native12_GLOBAL__N_124unique_dim_cuda_templateIlEESt5tupleIJNSC_6TensorESH_SH_EERKSH_lbbbEUlllE1_EE10hipError_tPvRmT2_T3_mT4_P12ihipStream_tbEUlmE_lEESB_NS0_8identityIvEEEESM_SP_SQ_mSR_ST_bEUlT_E_NS1_11comp_targetILNS1_3genE10ELNS1_11target_archE1201ELNS1_3gpuE5ELNS1_3repE0EEENS1_30default_config_static_selectorELNS0_4arch9wavefront6targetE0EEEvT1_: ; @_ZN7rocprim17ROCPRIM_400000_NS6detail17trampoline_kernelINS0_14default_configENS1_25transform_config_selectorIlLb0EEEZNS1_14transform_implILb0ES3_S5_NS0_18transform_iteratorINS0_17counting_iteratorImlEEZNS1_24adjacent_difference_implIS3_Lb1ELb0EPlSB_ZN2at6native12_GLOBAL__N_124unique_dim_cuda_templateIlEESt5tupleIJNSC_6TensorESH_SH_EERKSH_lbbbEUlllE1_EE10hipError_tPvRmT2_T3_mT4_P12ihipStream_tbEUlmE_lEESB_NS0_8identityIvEEEESM_SP_SQ_mSR_ST_bEUlT_E_NS1_11comp_targetILNS1_3genE10ELNS1_11target_archE1201ELNS1_3gpuE5ELNS1_3repE0EEENS1_30default_config_static_selectorELNS0_4arch9wavefront6targetE0EEEvT1_
; %bb.0:
	.section	.rodata,"a",@progbits
	.p2align	6, 0x0
	.amdhsa_kernel _ZN7rocprim17ROCPRIM_400000_NS6detail17trampoline_kernelINS0_14default_configENS1_25transform_config_selectorIlLb0EEEZNS1_14transform_implILb0ES3_S5_NS0_18transform_iteratorINS0_17counting_iteratorImlEEZNS1_24adjacent_difference_implIS3_Lb1ELb0EPlSB_ZN2at6native12_GLOBAL__N_124unique_dim_cuda_templateIlEESt5tupleIJNSC_6TensorESH_SH_EERKSH_lbbbEUlllE1_EE10hipError_tPvRmT2_T3_mT4_P12ihipStream_tbEUlmE_lEESB_NS0_8identityIvEEEESM_SP_SQ_mSR_ST_bEUlT_E_NS1_11comp_targetILNS1_3genE10ELNS1_11target_archE1201ELNS1_3gpuE5ELNS1_3repE0EEENS1_30default_config_static_selectorELNS0_4arch9wavefront6targetE0EEEvT1_
		.amdhsa_group_segment_fixed_size 0
		.amdhsa_private_segment_fixed_size 0
		.amdhsa_kernarg_size 56
		.amdhsa_user_sgpr_count 15
		.amdhsa_user_sgpr_dispatch_ptr 0
		.amdhsa_user_sgpr_queue_ptr 0
		.amdhsa_user_sgpr_kernarg_segment_ptr 1
		.amdhsa_user_sgpr_dispatch_id 0
		.amdhsa_user_sgpr_private_segment_size 0
		.amdhsa_wavefront_size32 1
		.amdhsa_uses_dynamic_stack 0
		.amdhsa_enable_private_segment 0
		.amdhsa_system_sgpr_workgroup_id_x 1
		.amdhsa_system_sgpr_workgroup_id_y 0
		.amdhsa_system_sgpr_workgroup_id_z 0
		.amdhsa_system_sgpr_workgroup_info 0
		.amdhsa_system_vgpr_workitem_id 0
		.amdhsa_next_free_vgpr 1
		.amdhsa_next_free_sgpr 1
		.amdhsa_reserve_vcc 0
		.amdhsa_float_round_mode_32 0
		.amdhsa_float_round_mode_16_64 0
		.amdhsa_float_denorm_mode_32 3
		.amdhsa_float_denorm_mode_16_64 3
		.amdhsa_dx10_clamp 1
		.amdhsa_ieee_mode 1
		.amdhsa_fp16_overflow 0
		.amdhsa_workgroup_processor_mode 1
		.amdhsa_memory_ordered 1
		.amdhsa_forward_progress 0
		.amdhsa_shared_vgpr_count 0
		.amdhsa_exception_fp_ieee_invalid_op 0
		.amdhsa_exception_fp_denorm_src 0
		.amdhsa_exception_fp_ieee_div_zero 0
		.amdhsa_exception_fp_ieee_overflow 0
		.amdhsa_exception_fp_ieee_underflow 0
		.amdhsa_exception_fp_ieee_inexact 0
		.amdhsa_exception_int_div_zero 0
	.end_amdhsa_kernel
	.section	.text._ZN7rocprim17ROCPRIM_400000_NS6detail17trampoline_kernelINS0_14default_configENS1_25transform_config_selectorIlLb0EEEZNS1_14transform_implILb0ES3_S5_NS0_18transform_iteratorINS0_17counting_iteratorImlEEZNS1_24adjacent_difference_implIS3_Lb1ELb0EPlSB_ZN2at6native12_GLOBAL__N_124unique_dim_cuda_templateIlEESt5tupleIJNSC_6TensorESH_SH_EERKSH_lbbbEUlllE1_EE10hipError_tPvRmT2_T3_mT4_P12ihipStream_tbEUlmE_lEESB_NS0_8identityIvEEEESM_SP_SQ_mSR_ST_bEUlT_E_NS1_11comp_targetILNS1_3genE10ELNS1_11target_archE1201ELNS1_3gpuE5ELNS1_3repE0EEENS1_30default_config_static_selectorELNS0_4arch9wavefront6targetE0EEEvT1_,"axG",@progbits,_ZN7rocprim17ROCPRIM_400000_NS6detail17trampoline_kernelINS0_14default_configENS1_25transform_config_selectorIlLb0EEEZNS1_14transform_implILb0ES3_S5_NS0_18transform_iteratorINS0_17counting_iteratorImlEEZNS1_24adjacent_difference_implIS3_Lb1ELb0EPlSB_ZN2at6native12_GLOBAL__N_124unique_dim_cuda_templateIlEESt5tupleIJNSC_6TensorESH_SH_EERKSH_lbbbEUlllE1_EE10hipError_tPvRmT2_T3_mT4_P12ihipStream_tbEUlmE_lEESB_NS0_8identityIvEEEESM_SP_SQ_mSR_ST_bEUlT_E_NS1_11comp_targetILNS1_3genE10ELNS1_11target_archE1201ELNS1_3gpuE5ELNS1_3repE0EEENS1_30default_config_static_selectorELNS0_4arch9wavefront6targetE0EEEvT1_,comdat
.Lfunc_end551:
	.size	_ZN7rocprim17ROCPRIM_400000_NS6detail17trampoline_kernelINS0_14default_configENS1_25transform_config_selectorIlLb0EEEZNS1_14transform_implILb0ES3_S5_NS0_18transform_iteratorINS0_17counting_iteratorImlEEZNS1_24adjacent_difference_implIS3_Lb1ELb0EPlSB_ZN2at6native12_GLOBAL__N_124unique_dim_cuda_templateIlEESt5tupleIJNSC_6TensorESH_SH_EERKSH_lbbbEUlllE1_EE10hipError_tPvRmT2_T3_mT4_P12ihipStream_tbEUlmE_lEESB_NS0_8identityIvEEEESM_SP_SQ_mSR_ST_bEUlT_E_NS1_11comp_targetILNS1_3genE10ELNS1_11target_archE1201ELNS1_3gpuE5ELNS1_3repE0EEENS1_30default_config_static_selectorELNS0_4arch9wavefront6targetE0EEEvT1_, .Lfunc_end551-_ZN7rocprim17ROCPRIM_400000_NS6detail17trampoline_kernelINS0_14default_configENS1_25transform_config_selectorIlLb0EEEZNS1_14transform_implILb0ES3_S5_NS0_18transform_iteratorINS0_17counting_iteratorImlEEZNS1_24adjacent_difference_implIS3_Lb1ELb0EPlSB_ZN2at6native12_GLOBAL__N_124unique_dim_cuda_templateIlEESt5tupleIJNSC_6TensorESH_SH_EERKSH_lbbbEUlllE1_EE10hipError_tPvRmT2_T3_mT4_P12ihipStream_tbEUlmE_lEESB_NS0_8identityIvEEEESM_SP_SQ_mSR_ST_bEUlT_E_NS1_11comp_targetILNS1_3genE10ELNS1_11target_archE1201ELNS1_3gpuE5ELNS1_3repE0EEENS1_30default_config_static_selectorELNS0_4arch9wavefront6targetE0EEEvT1_
                                        ; -- End function
	.section	.AMDGPU.csdata,"",@progbits
; Kernel info:
; codeLenInByte = 0
; NumSgprs: 0
; NumVgprs: 0
; ScratchSize: 0
; MemoryBound: 0
; FloatMode: 240
; IeeeMode: 1
; LDSByteSize: 0 bytes/workgroup (compile time only)
; SGPRBlocks: 0
; VGPRBlocks: 0
; NumSGPRsForWavesPerEU: 1
; NumVGPRsForWavesPerEU: 1
; Occupancy: 16
; WaveLimiterHint : 0
; COMPUTE_PGM_RSRC2:SCRATCH_EN: 0
; COMPUTE_PGM_RSRC2:USER_SGPR: 15
; COMPUTE_PGM_RSRC2:TRAP_HANDLER: 0
; COMPUTE_PGM_RSRC2:TGID_X_EN: 1
; COMPUTE_PGM_RSRC2:TGID_Y_EN: 0
; COMPUTE_PGM_RSRC2:TGID_Z_EN: 0
; COMPUTE_PGM_RSRC2:TIDIG_COMP_CNT: 0
	.section	.text._ZN7rocprim17ROCPRIM_400000_NS6detail17trampoline_kernelINS0_14default_configENS1_25transform_config_selectorIlLb0EEEZNS1_14transform_implILb0ES3_S5_NS0_18transform_iteratorINS0_17counting_iteratorImlEEZNS1_24adjacent_difference_implIS3_Lb1ELb0EPlSB_ZN2at6native12_GLOBAL__N_124unique_dim_cuda_templateIlEESt5tupleIJNSC_6TensorESH_SH_EERKSH_lbbbEUlllE1_EE10hipError_tPvRmT2_T3_mT4_P12ihipStream_tbEUlmE_lEESB_NS0_8identityIvEEEESM_SP_SQ_mSR_ST_bEUlT_E_NS1_11comp_targetILNS1_3genE10ELNS1_11target_archE1200ELNS1_3gpuE4ELNS1_3repE0EEENS1_30default_config_static_selectorELNS0_4arch9wavefront6targetE0EEEvT1_,"axG",@progbits,_ZN7rocprim17ROCPRIM_400000_NS6detail17trampoline_kernelINS0_14default_configENS1_25transform_config_selectorIlLb0EEEZNS1_14transform_implILb0ES3_S5_NS0_18transform_iteratorINS0_17counting_iteratorImlEEZNS1_24adjacent_difference_implIS3_Lb1ELb0EPlSB_ZN2at6native12_GLOBAL__N_124unique_dim_cuda_templateIlEESt5tupleIJNSC_6TensorESH_SH_EERKSH_lbbbEUlllE1_EE10hipError_tPvRmT2_T3_mT4_P12ihipStream_tbEUlmE_lEESB_NS0_8identityIvEEEESM_SP_SQ_mSR_ST_bEUlT_E_NS1_11comp_targetILNS1_3genE10ELNS1_11target_archE1200ELNS1_3gpuE4ELNS1_3repE0EEENS1_30default_config_static_selectorELNS0_4arch9wavefront6targetE0EEEvT1_,comdat
	.globl	_ZN7rocprim17ROCPRIM_400000_NS6detail17trampoline_kernelINS0_14default_configENS1_25transform_config_selectorIlLb0EEEZNS1_14transform_implILb0ES3_S5_NS0_18transform_iteratorINS0_17counting_iteratorImlEEZNS1_24adjacent_difference_implIS3_Lb1ELb0EPlSB_ZN2at6native12_GLOBAL__N_124unique_dim_cuda_templateIlEESt5tupleIJNSC_6TensorESH_SH_EERKSH_lbbbEUlllE1_EE10hipError_tPvRmT2_T3_mT4_P12ihipStream_tbEUlmE_lEESB_NS0_8identityIvEEEESM_SP_SQ_mSR_ST_bEUlT_E_NS1_11comp_targetILNS1_3genE10ELNS1_11target_archE1200ELNS1_3gpuE4ELNS1_3repE0EEENS1_30default_config_static_selectorELNS0_4arch9wavefront6targetE0EEEvT1_ ; -- Begin function _ZN7rocprim17ROCPRIM_400000_NS6detail17trampoline_kernelINS0_14default_configENS1_25transform_config_selectorIlLb0EEEZNS1_14transform_implILb0ES3_S5_NS0_18transform_iteratorINS0_17counting_iteratorImlEEZNS1_24adjacent_difference_implIS3_Lb1ELb0EPlSB_ZN2at6native12_GLOBAL__N_124unique_dim_cuda_templateIlEESt5tupleIJNSC_6TensorESH_SH_EERKSH_lbbbEUlllE1_EE10hipError_tPvRmT2_T3_mT4_P12ihipStream_tbEUlmE_lEESB_NS0_8identityIvEEEESM_SP_SQ_mSR_ST_bEUlT_E_NS1_11comp_targetILNS1_3genE10ELNS1_11target_archE1200ELNS1_3gpuE4ELNS1_3repE0EEENS1_30default_config_static_selectorELNS0_4arch9wavefront6targetE0EEEvT1_
	.p2align	8
	.type	_ZN7rocprim17ROCPRIM_400000_NS6detail17trampoline_kernelINS0_14default_configENS1_25transform_config_selectorIlLb0EEEZNS1_14transform_implILb0ES3_S5_NS0_18transform_iteratorINS0_17counting_iteratorImlEEZNS1_24adjacent_difference_implIS3_Lb1ELb0EPlSB_ZN2at6native12_GLOBAL__N_124unique_dim_cuda_templateIlEESt5tupleIJNSC_6TensorESH_SH_EERKSH_lbbbEUlllE1_EE10hipError_tPvRmT2_T3_mT4_P12ihipStream_tbEUlmE_lEESB_NS0_8identityIvEEEESM_SP_SQ_mSR_ST_bEUlT_E_NS1_11comp_targetILNS1_3genE10ELNS1_11target_archE1200ELNS1_3gpuE4ELNS1_3repE0EEENS1_30default_config_static_selectorELNS0_4arch9wavefront6targetE0EEEvT1_,@function
_ZN7rocprim17ROCPRIM_400000_NS6detail17trampoline_kernelINS0_14default_configENS1_25transform_config_selectorIlLb0EEEZNS1_14transform_implILb0ES3_S5_NS0_18transform_iteratorINS0_17counting_iteratorImlEEZNS1_24adjacent_difference_implIS3_Lb1ELb0EPlSB_ZN2at6native12_GLOBAL__N_124unique_dim_cuda_templateIlEESt5tupleIJNSC_6TensorESH_SH_EERKSH_lbbbEUlllE1_EE10hipError_tPvRmT2_T3_mT4_P12ihipStream_tbEUlmE_lEESB_NS0_8identityIvEEEESM_SP_SQ_mSR_ST_bEUlT_E_NS1_11comp_targetILNS1_3genE10ELNS1_11target_archE1200ELNS1_3gpuE4ELNS1_3repE0EEENS1_30default_config_static_selectorELNS0_4arch9wavefront6targetE0EEEvT1_: ; @_ZN7rocprim17ROCPRIM_400000_NS6detail17trampoline_kernelINS0_14default_configENS1_25transform_config_selectorIlLb0EEEZNS1_14transform_implILb0ES3_S5_NS0_18transform_iteratorINS0_17counting_iteratorImlEEZNS1_24adjacent_difference_implIS3_Lb1ELb0EPlSB_ZN2at6native12_GLOBAL__N_124unique_dim_cuda_templateIlEESt5tupleIJNSC_6TensorESH_SH_EERKSH_lbbbEUlllE1_EE10hipError_tPvRmT2_T3_mT4_P12ihipStream_tbEUlmE_lEESB_NS0_8identityIvEEEESM_SP_SQ_mSR_ST_bEUlT_E_NS1_11comp_targetILNS1_3genE10ELNS1_11target_archE1200ELNS1_3gpuE4ELNS1_3repE0EEENS1_30default_config_static_selectorELNS0_4arch9wavefront6targetE0EEEvT1_
; %bb.0:
	.section	.rodata,"a",@progbits
	.p2align	6, 0x0
	.amdhsa_kernel _ZN7rocprim17ROCPRIM_400000_NS6detail17trampoline_kernelINS0_14default_configENS1_25transform_config_selectorIlLb0EEEZNS1_14transform_implILb0ES3_S5_NS0_18transform_iteratorINS0_17counting_iteratorImlEEZNS1_24adjacent_difference_implIS3_Lb1ELb0EPlSB_ZN2at6native12_GLOBAL__N_124unique_dim_cuda_templateIlEESt5tupleIJNSC_6TensorESH_SH_EERKSH_lbbbEUlllE1_EE10hipError_tPvRmT2_T3_mT4_P12ihipStream_tbEUlmE_lEESB_NS0_8identityIvEEEESM_SP_SQ_mSR_ST_bEUlT_E_NS1_11comp_targetILNS1_3genE10ELNS1_11target_archE1200ELNS1_3gpuE4ELNS1_3repE0EEENS1_30default_config_static_selectorELNS0_4arch9wavefront6targetE0EEEvT1_
		.amdhsa_group_segment_fixed_size 0
		.amdhsa_private_segment_fixed_size 0
		.amdhsa_kernarg_size 56
		.amdhsa_user_sgpr_count 15
		.amdhsa_user_sgpr_dispatch_ptr 0
		.amdhsa_user_sgpr_queue_ptr 0
		.amdhsa_user_sgpr_kernarg_segment_ptr 1
		.amdhsa_user_sgpr_dispatch_id 0
		.amdhsa_user_sgpr_private_segment_size 0
		.amdhsa_wavefront_size32 1
		.amdhsa_uses_dynamic_stack 0
		.amdhsa_enable_private_segment 0
		.amdhsa_system_sgpr_workgroup_id_x 1
		.amdhsa_system_sgpr_workgroup_id_y 0
		.amdhsa_system_sgpr_workgroup_id_z 0
		.amdhsa_system_sgpr_workgroup_info 0
		.amdhsa_system_vgpr_workitem_id 0
		.amdhsa_next_free_vgpr 1
		.amdhsa_next_free_sgpr 1
		.amdhsa_reserve_vcc 0
		.amdhsa_float_round_mode_32 0
		.amdhsa_float_round_mode_16_64 0
		.amdhsa_float_denorm_mode_32 3
		.amdhsa_float_denorm_mode_16_64 3
		.amdhsa_dx10_clamp 1
		.amdhsa_ieee_mode 1
		.amdhsa_fp16_overflow 0
		.amdhsa_workgroup_processor_mode 1
		.amdhsa_memory_ordered 1
		.amdhsa_forward_progress 0
		.amdhsa_shared_vgpr_count 0
		.amdhsa_exception_fp_ieee_invalid_op 0
		.amdhsa_exception_fp_denorm_src 0
		.amdhsa_exception_fp_ieee_div_zero 0
		.amdhsa_exception_fp_ieee_overflow 0
		.amdhsa_exception_fp_ieee_underflow 0
		.amdhsa_exception_fp_ieee_inexact 0
		.amdhsa_exception_int_div_zero 0
	.end_amdhsa_kernel
	.section	.text._ZN7rocprim17ROCPRIM_400000_NS6detail17trampoline_kernelINS0_14default_configENS1_25transform_config_selectorIlLb0EEEZNS1_14transform_implILb0ES3_S5_NS0_18transform_iteratorINS0_17counting_iteratorImlEEZNS1_24adjacent_difference_implIS3_Lb1ELb0EPlSB_ZN2at6native12_GLOBAL__N_124unique_dim_cuda_templateIlEESt5tupleIJNSC_6TensorESH_SH_EERKSH_lbbbEUlllE1_EE10hipError_tPvRmT2_T3_mT4_P12ihipStream_tbEUlmE_lEESB_NS0_8identityIvEEEESM_SP_SQ_mSR_ST_bEUlT_E_NS1_11comp_targetILNS1_3genE10ELNS1_11target_archE1200ELNS1_3gpuE4ELNS1_3repE0EEENS1_30default_config_static_selectorELNS0_4arch9wavefront6targetE0EEEvT1_,"axG",@progbits,_ZN7rocprim17ROCPRIM_400000_NS6detail17trampoline_kernelINS0_14default_configENS1_25transform_config_selectorIlLb0EEEZNS1_14transform_implILb0ES3_S5_NS0_18transform_iteratorINS0_17counting_iteratorImlEEZNS1_24adjacent_difference_implIS3_Lb1ELb0EPlSB_ZN2at6native12_GLOBAL__N_124unique_dim_cuda_templateIlEESt5tupleIJNSC_6TensorESH_SH_EERKSH_lbbbEUlllE1_EE10hipError_tPvRmT2_T3_mT4_P12ihipStream_tbEUlmE_lEESB_NS0_8identityIvEEEESM_SP_SQ_mSR_ST_bEUlT_E_NS1_11comp_targetILNS1_3genE10ELNS1_11target_archE1200ELNS1_3gpuE4ELNS1_3repE0EEENS1_30default_config_static_selectorELNS0_4arch9wavefront6targetE0EEEvT1_,comdat
.Lfunc_end552:
	.size	_ZN7rocprim17ROCPRIM_400000_NS6detail17trampoline_kernelINS0_14default_configENS1_25transform_config_selectorIlLb0EEEZNS1_14transform_implILb0ES3_S5_NS0_18transform_iteratorINS0_17counting_iteratorImlEEZNS1_24adjacent_difference_implIS3_Lb1ELb0EPlSB_ZN2at6native12_GLOBAL__N_124unique_dim_cuda_templateIlEESt5tupleIJNSC_6TensorESH_SH_EERKSH_lbbbEUlllE1_EE10hipError_tPvRmT2_T3_mT4_P12ihipStream_tbEUlmE_lEESB_NS0_8identityIvEEEESM_SP_SQ_mSR_ST_bEUlT_E_NS1_11comp_targetILNS1_3genE10ELNS1_11target_archE1200ELNS1_3gpuE4ELNS1_3repE0EEENS1_30default_config_static_selectorELNS0_4arch9wavefront6targetE0EEEvT1_, .Lfunc_end552-_ZN7rocprim17ROCPRIM_400000_NS6detail17trampoline_kernelINS0_14default_configENS1_25transform_config_selectorIlLb0EEEZNS1_14transform_implILb0ES3_S5_NS0_18transform_iteratorINS0_17counting_iteratorImlEEZNS1_24adjacent_difference_implIS3_Lb1ELb0EPlSB_ZN2at6native12_GLOBAL__N_124unique_dim_cuda_templateIlEESt5tupleIJNSC_6TensorESH_SH_EERKSH_lbbbEUlllE1_EE10hipError_tPvRmT2_T3_mT4_P12ihipStream_tbEUlmE_lEESB_NS0_8identityIvEEEESM_SP_SQ_mSR_ST_bEUlT_E_NS1_11comp_targetILNS1_3genE10ELNS1_11target_archE1200ELNS1_3gpuE4ELNS1_3repE0EEENS1_30default_config_static_selectorELNS0_4arch9wavefront6targetE0EEEvT1_
                                        ; -- End function
	.section	.AMDGPU.csdata,"",@progbits
; Kernel info:
; codeLenInByte = 0
; NumSgprs: 0
; NumVgprs: 0
; ScratchSize: 0
; MemoryBound: 0
; FloatMode: 240
; IeeeMode: 1
; LDSByteSize: 0 bytes/workgroup (compile time only)
; SGPRBlocks: 0
; VGPRBlocks: 0
; NumSGPRsForWavesPerEU: 1
; NumVGPRsForWavesPerEU: 1
; Occupancy: 16
; WaveLimiterHint : 0
; COMPUTE_PGM_RSRC2:SCRATCH_EN: 0
; COMPUTE_PGM_RSRC2:USER_SGPR: 15
; COMPUTE_PGM_RSRC2:TRAP_HANDLER: 0
; COMPUTE_PGM_RSRC2:TGID_X_EN: 1
; COMPUTE_PGM_RSRC2:TGID_Y_EN: 0
; COMPUTE_PGM_RSRC2:TGID_Z_EN: 0
; COMPUTE_PGM_RSRC2:TIDIG_COMP_CNT: 0
	.section	.text._ZN7rocprim17ROCPRIM_400000_NS6detail17trampoline_kernelINS0_14default_configENS1_25transform_config_selectorIlLb0EEEZNS1_14transform_implILb0ES3_S5_NS0_18transform_iteratorINS0_17counting_iteratorImlEEZNS1_24adjacent_difference_implIS3_Lb1ELb0EPlSB_ZN2at6native12_GLOBAL__N_124unique_dim_cuda_templateIlEESt5tupleIJNSC_6TensorESH_SH_EERKSH_lbbbEUlllE1_EE10hipError_tPvRmT2_T3_mT4_P12ihipStream_tbEUlmE_lEESB_NS0_8identityIvEEEESM_SP_SQ_mSR_ST_bEUlT_E_NS1_11comp_targetILNS1_3genE9ELNS1_11target_archE1100ELNS1_3gpuE3ELNS1_3repE0EEENS1_30default_config_static_selectorELNS0_4arch9wavefront6targetE0EEEvT1_,"axG",@progbits,_ZN7rocprim17ROCPRIM_400000_NS6detail17trampoline_kernelINS0_14default_configENS1_25transform_config_selectorIlLb0EEEZNS1_14transform_implILb0ES3_S5_NS0_18transform_iteratorINS0_17counting_iteratorImlEEZNS1_24adjacent_difference_implIS3_Lb1ELb0EPlSB_ZN2at6native12_GLOBAL__N_124unique_dim_cuda_templateIlEESt5tupleIJNSC_6TensorESH_SH_EERKSH_lbbbEUlllE1_EE10hipError_tPvRmT2_T3_mT4_P12ihipStream_tbEUlmE_lEESB_NS0_8identityIvEEEESM_SP_SQ_mSR_ST_bEUlT_E_NS1_11comp_targetILNS1_3genE9ELNS1_11target_archE1100ELNS1_3gpuE3ELNS1_3repE0EEENS1_30default_config_static_selectorELNS0_4arch9wavefront6targetE0EEEvT1_,comdat
	.globl	_ZN7rocprim17ROCPRIM_400000_NS6detail17trampoline_kernelINS0_14default_configENS1_25transform_config_selectorIlLb0EEEZNS1_14transform_implILb0ES3_S5_NS0_18transform_iteratorINS0_17counting_iteratorImlEEZNS1_24adjacent_difference_implIS3_Lb1ELb0EPlSB_ZN2at6native12_GLOBAL__N_124unique_dim_cuda_templateIlEESt5tupleIJNSC_6TensorESH_SH_EERKSH_lbbbEUlllE1_EE10hipError_tPvRmT2_T3_mT4_P12ihipStream_tbEUlmE_lEESB_NS0_8identityIvEEEESM_SP_SQ_mSR_ST_bEUlT_E_NS1_11comp_targetILNS1_3genE9ELNS1_11target_archE1100ELNS1_3gpuE3ELNS1_3repE0EEENS1_30default_config_static_selectorELNS0_4arch9wavefront6targetE0EEEvT1_ ; -- Begin function _ZN7rocprim17ROCPRIM_400000_NS6detail17trampoline_kernelINS0_14default_configENS1_25transform_config_selectorIlLb0EEEZNS1_14transform_implILb0ES3_S5_NS0_18transform_iteratorINS0_17counting_iteratorImlEEZNS1_24adjacent_difference_implIS3_Lb1ELb0EPlSB_ZN2at6native12_GLOBAL__N_124unique_dim_cuda_templateIlEESt5tupleIJNSC_6TensorESH_SH_EERKSH_lbbbEUlllE1_EE10hipError_tPvRmT2_T3_mT4_P12ihipStream_tbEUlmE_lEESB_NS0_8identityIvEEEESM_SP_SQ_mSR_ST_bEUlT_E_NS1_11comp_targetILNS1_3genE9ELNS1_11target_archE1100ELNS1_3gpuE3ELNS1_3repE0EEENS1_30default_config_static_selectorELNS0_4arch9wavefront6targetE0EEEvT1_
	.p2align	8
	.type	_ZN7rocprim17ROCPRIM_400000_NS6detail17trampoline_kernelINS0_14default_configENS1_25transform_config_selectorIlLb0EEEZNS1_14transform_implILb0ES3_S5_NS0_18transform_iteratorINS0_17counting_iteratorImlEEZNS1_24adjacent_difference_implIS3_Lb1ELb0EPlSB_ZN2at6native12_GLOBAL__N_124unique_dim_cuda_templateIlEESt5tupleIJNSC_6TensorESH_SH_EERKSH_lbbbEUlllE1_EE10hipError_tPvRmT2_T3_mT4_P12ihipStream_tbEUlmE_lEESB_NS0_8identityIvEEEESM_SP_SQ_mSR_ST_bEUlT_E_NS1_11comp_targetILNS1_3genE9ELNS1_11target_archE1100ELNS1_3gpuE3ELNS1_3repE0EEENS1_30default_config_static_selectorELNS0_4arch9wavefront6targetE0EEEvT1_,@function
_ZN7rocprim17ROCPRIM_400000_NS6detail17trampoline_kernelINS0_14default_configENS1_25transform_config_selectorIlLb0EEEZNS1_14transform_implILb0ES3_S5_NS0_18transform_iteratorINS0_17counting_iteratorImlEEZNS1_24adjacent_difference_implIS3_Lb1ELb0EPlSB_ZN2at6native12_GLOBAL__N_124unique_dim_cuda_templateIlEESt5tupleIJNSC_6TensorESH_SH_EERKSH_lbbbEUlllE1_EE10hipError_tPvRmT2_T3_mT4_P12ihipStream_tbEUlmE_lEESB_NS0_8identityIvEEEESM_SP_SQ_mSR_ST_bEUlT_E_NS1_11comp_targetILNS1_3genE9ELNS1_11target_archE1100ELNS1_3gpuE3ELNS1_3repE0EEENS1_30default_config_static_selectorELNS0_4arch9wavefront6targetE0EEEvT1_: ; @_ZN7rocprim17ROCPRIM_400000_NS6detail17trampoline_kernelINS0_14default_configENS1_25transform_config_selectorIlLb0EEEZNS1_14transform_implILb0ES3_S5_NS0_18transform_iteratorINS0_17counting_iteratorImlEEZNS1_24adjacent_difference_implIS3_Lb1ELb0EPlSB_ZN2at6native12_GLOBAL__N_124unique_dim_cuda_templateIlEESt5tupleIJNSC_6TensorESH_SH_EERKSH_lbbbEUlllE1_EE10hipError_tPvRmT2_T3_mT4_P12ihipStream_tbEUlmE_lEESB_NS0_8identityIvEEEESM_SP_SQ_mSR_ST_bEUlT_E_NS1_11comp_targetILNS1_3genE9ELNS1_11target_archE1100ELNS1_3gpuE3ELNS1_3repE0EEENS1_30default_config_static_selectorELNS0_4arch9wavefront6targetE0EEEvT1_
; %bb.0:
	s_clause 0x4
	s_load_b128 s[4:7], s[0:1], 0x0
	s_load_b64 s[2:3], s[0:1], 0x18
	s_load_b64 s[12:13], s[0:1], 0x28
	s_load_b32 s11, s[0:1], 0x38
	s_load_b32 s8, s[0:1], 0x10
	s_waitcnt lgkmcnt(0)
	s_add_u32 s9, s2, s4
	s_addc_u32 s10, s3, s5
	s_lshl_b64 s[2:3], s[2:3], 3
	s_delay_alu instid0(SALU_CYCLE_1)
	s_add_u32 s4, s12, s2
	s_addc_u32 s5, s13, s3
	s_add_i32 s11, s11, -1
	s_lshl_b32 s2, s15, 9
	s_mov_b32 s3, 0
	s_cmp_lg_u32 s15, s11
	s_mov_b32 s11, -1
	s_cbranch_scc0 .LBB553_2
; %bb.1:
	s_add_u32 s11, s9, s2
	s_addc_u32 s12, s10, 0
	v_add_co_u32 v3, s11, s11, v0
	s_delay_alu instid0(VALU_DEP_1) | instskip(SKIP_1) | instid1(VALU_DEP_2)
	v_add_co_ci_u32_e64 v5, null, s12, 0, s11
	s_lshl_b64 s[12:13], s[2:3], 3
	v_mad_u64_u32 v[1:2], null, v3, s8, 0
	s_add_u32 s12, s4, s12
	s_addc_u32 s13, s5, s13
	s_mov_b32 s11, s3
	s_delay_alu instid0(VALU_DEP_1) | instskip(NEXT) | instid1(VALU_DEP_1)
	v_mad_u64_u32 v[3:4], null, v5, s8, v[2:3]
	v_dual_mov_b32 v2, v3 :: v_dual_lshlrev_b32 v3, 3, v0
	s_delay_alu instid0(VALU_DEP_1) | instskip(NEXT) | instid1(VALU_DEP_1)
	v_lshlrev_b64 v[1:2], 3, v[1:2]
	v_add_co_u32 v1, vcc_lo, s6, v1
	s_delay_alu instid0(VALU_DEP_2)
	v_add_co_ci_u32_e32 v2, vcc_lo, s7, v2, vcc_lo
	global_load_b64 v[1:2], v[1:2], off
	s_waitcnt vmcnt(0)
	global_store_b64 v3, v[1:2], s[12:13]
.LBB553_2:
	s_and_not1_b32 vcc_lo, exec_lo, s11
	s_cbranch_vccnz .LBB553_7
; %bb.3:
	s_load_b32 s0, s[0:1], 0x20
                                        ; implicit-def: $vgpr1_vgpr2
	s_waitcnt lgkmcnt(0)
	s_sub_i32 s0, s0, s2
	s_delay_alu instid0(SALU_CYCLE_1)
	v_cmp_gt_u32_e32 vcc_lo, s0, v0
	s_and_saveexec_b32 s1, vcc_lo
	s_cbranch_execz .LBB553_5
; %bb.4:
	s_add_u32 s0, s9, s2
	s_addc_u32 s9, s10, 0
	v_add_co_u32 v3, s0, s0, v0
	s_delay_alu instid0(VALU_DEP_1) | instskip(NEXT) | instid1(VALU_DEP_2)
	v_add_co_ci_u32_e64 v5, null, s9, 0, s0
	v_mad_u64_u32 v[1:2], null, v3, s8, 0
	s_delay_alu instid0(VALU_DEP_1) | instskip(NEXT) | instid1(VALU_DEP_1)
	v_mad_u64_u32 v[3:4], null, v5, s8, v[2:3]
	v_mov_b32_e32 v2, v3
	s_delay_alu instid0(VALU_DEP_1) | instskip(NEXT) | instid1(VALU_DEP_1)
	v_lshlrev_b64 v[1:2], 3, v[1:2]
	v_add_co_u32 v1, s0, s6, v1
	s_delay_alu instid0(VALU_DEP_1)
	v_add_co_ci_u32_e64 v2, s0, s7, v2, s0
	global_load_b64 v[1:2], v[1:2], off
.LBB553_5:
	s_or_b32 exec_lo, exec_lo, s1
	s_and_saveexec_b32 s0, vcc_lo
	s_cbranch_execz .LBB553_7
; %bb.6:
	s_lshl_b64 s[0:1], s[2:3], 3
	v_lshlrev_b32_e32 v0, 3, v0
	s_add_u32 s0, s4, s0
	s_addc_u32 s1, s5, s1
	s_waitcnt vmcnt(0)
	global_store_b64 v0, v[1:2], s[0:1]
.LBB553_7:
	s_nop 0
	s_sendmsg sendmsg(MSG_DEALLOC_VGPRS)
	s_endpgm
	.section	.rodata,"a",@progbits
	.p2align	6, 0x0
	.amdhsa_kernel _ZN7rocprim17ROCPRIM_400000_NS6detail17trampoline_kernelINS0_14default_configENS1_25transform_config_selectorIlLb0EEEZNS1_14transform_implILb0ES3_S5_NS0_18transform_iteratorINS0_17counting_iteratorImlEEZNS1_24adjacent_difference_implIS3_Lb1ELb0EPlSB_ZN2at6native12_GLOBAL__N_124unique_dim_cuda_templateIlEESt5tupleIJNSC_6TensorESH_SH_EERKSH_lbbbEUlllE1_EE10hipError_tPvRmT2_T3_mT4_P12ihipStream_tbEUlmE_lEESB_NS0_8identityIvEEEESM_SP_SQ_mSR_ST_bEUlT_E_NS1_11comp_targetILNS1_3genE9ELNS1_11target_archE1100ELNS1_3gpuE3ELNS1_3repE0EEENS1_30default_config_static_selectorELNS0_4arch9wavefront6targetE0EEEvT1_
		.amdhsa_group_segment_fixed_size 0
		.amdhsa_private_segment_fixed_size 0
		.amdhsa_kernarg_size 312
		.amdhsa_user_sgpr_count 15
		.amdhsa_user_sgpr_dispatch_ptr 0
		.amdhsa_user_sgpr_queue_ptr 0
		.amdhsa_user_sgpr_kernarg_segment_ptr 1
		.amdhsa_user_sgpr_dispatch_id 0
		.amdhsa_user_sgpr_private_segment_size 0
		.amdhsa_wavefront_size32 1
		.amdhsa_uses_dynamic_stack 0
		.amdhsa_enable_private_segment 0
		.amdhsa_system_sgpr_workgroup_id_x 1
		.amdhsa_system_sgpr_workgroup_id_y 0
		.amdhsa_system_sgpr_workgroup_id_z 0
		.amdhsa_system_sgpr_workgroup_info 0
		.amdhsa_system_vgpr_workitem_id 0
		.amdhsa_next_free_vgpr 6
		.amdhsa_next_free_sgpr 16
		.amdhsa_reserve_vcc 1
		.amdhsa_float_round_mode_32 0
		.amdhsa_float_round_mode_16_64 0
		.amdhsa_float_denorm_mode_32 3
		.amdhsa_float_denorm_mode_16_64 3
		.amdhsa_dx10_clamp 1
		.amdhsa_ieee_mode 1
		.amdhsa_fp16_overflow 0
		.amdhsa_workgroup_processor_mode 1
		.amdhsa_memory_ordered 1
		.amdhsa_forward_progress 0
		.amdhsa_shared_vgpr_count 0
		.amdhsa_exception_fp_ieee_invalid_op 0
		.amdhsa_exception_fp_denorm_src 0
		.amdhsa_exception_fp_ieee_div_zero 0
		.amdhsa_exception_fp_ieee_overflow 0
		.amdhsa_exception_fp_ieee_underflow 0
		.amdhsa_exception_fp_ieee_inexact 0
		.amdhsa_exception_int_div_zero 0
	.end_amdhsa_kernel
	.section	.text._ZN7rocprim17ROCPRIM_400000_NS6detail17trampoline_kernelINS0_14default_configENS1_25transform_config_selectorIlLb0EEEZNS1_14transform_implILb0ES3_S5_NS0_18transform_iteratorINS0_17counting_iteratorImlEEZNS1_24adjacent_difference_implIS3_Lb1ELb0EPlSB_ZN2at6native12_GLOBAL__N_124unique_dim_cuda_templateIlEESt5tupleIJNSC_6TensorESH_SH_EERKSH_lbbbEUlllE1_EE10hipError_tPvRmT2_T3_mT4_P12ihipStream_tbEUlmE_lEESB_NS0_8identityIvEEEESM_SP_SQ_mSR_ST_bEUlT_E_NS1_11comp_targetILNS1_3genE9ELNS1_11target_archE1100ELNS1_3gpuE3ELNS1_3repE0EEENS1_30default_config_static_selectorELNS0_4arch9wavefront6targetE0EEEvT1_,"axG",@progbits,_ZN7rocprim17ROCPRIM_400000_NS6detail17trampoline_kernelINS0_14default_configENS1_25transform_config_selectorIlLb0EEEZNS1_14transform_implILb0ES3_S5_NS0_18transform_iteratorINS0_17counting_iteratorImlEEZNS1_24adjacent_difference_implIS3_Lb1ELb0EPlSB_ZN2at6native12_GLOBAL__N_124unique_dim_cuda_templateIlEESt5tupleIJNSC_6TensorESH_SH_EERKSH_lbbbEUlllE1_EE10hipError_tPvRmT2_T3_mT4_P12ihipStream_tbEUlmE_lEESB_NS0_8identityIvEEEESM_SP_SQ_mSR_ST_bEUlT_E_NS1_11comp_targetILNS1_3genE9ELNS1_11target_archE1100ELNS1_3gpuE3ELNS1_3repE0EEENS1_30default_config_static_selectorELNS0_4arch9wavefront6targetE0EEEvT1_,comdat
.Lfunc_end553:
	.size	_ZN7rocprim17ROCPRIM_400000_NS6detail17trampoline_kernelINS0_14default_configENS1_25transform_config_selectorIlLb0EEEZNS1_14transform_implILb0ES3_S5_NS0_18transform_iteratorINS0_17counting_iteratorImlEEZNS1_24adjacent_difference_implIS3_Lb1ELb0EPlSB_ZN2at6native12_GLOBAL__N_124unique_dim_cuda_templateIlEESt5tupleIJNSC_6TensorESH_SH_EERKSH_lbbbEUlllE1_EE10hipError_tPvRmT2_T3_mT4_P12ihipStream_tbEUlmE_lEESB_NS0_8identityIvEEEESM_SP_SQ_mSR_ST_bEUlT_E_NS1_11comp_targetILNS1_3genE9ELNS1_11target_archE1100ELNS1_3gpuE3ELNS1_3repE0EEENS1_30default_config_static_selectorELNS0_4arch9wavefront6targetE0EEEvT1_, .Lfunc_end553-_ZN7rocprim17ROCPRIM_400000_NS6detail17trampoline_kernelINS0_14default_configENS1_25transform_config_selectorIlLb0EEEZNS1_14transform_implILb0ES3_S5_NS0_18transform_iteratorINS0_17counting_iteratorImlEEZNS1_24adjacent_difference_implIS3_Lb1ELb0EPlSB_ZN2at6native12_GLOBAL__N_124unique_dim_cuda_templateIlEESt5tupleIJNSC_6TensorESH_SH_EERKSH_lbbbEUlllE1_EE10hipError_tPvRmT2_T3_mT4_P12ihipStream_tbEUlmE_lEESB_NS0_8identityIvEEEESM_SP_SQ_mSR_ST_bEUlT_E_NS1_11comp_targetILNS1_3genE9ELNS1_11target_archE1100ELNS1_3gpuE3ELNS1_3repE0EEENS1_30default_config_static_selectorELNS0_4arch9wavefront6targetE0EEEvT1_
                                        ; -- End function
	.section	.AMDGPU.csdata,"",@progbits
; Kernel info:
; codeLenInByte = 400
; NumSgprs: 18
; NumVgprs: 6
; ScratchSize: 0
; MemoryBound: 0
; FloatMode: 240
; IeeeMode: 1
; LDSByteSize: 0 bytes/workgroup (compile time only)
; SGPRBlocks: 2
; VGPRBlocks: 0
; NumSGPRsForWavesPerEU: 18
; NumVGPRsForWavesPerEU: 6
; Occupancy: 16
; WaveLimiterHint : 0
; COMPUTE_PGM_RSRC2:SCRATCH_EN: 0
; COMPUTE_PGM_RSRC2:USER_SGPR: 15
; COMPUTE_PGM_RSRC2:TRAP_HANDLER: 0
; COMPUTE_PGM_RSRC2:TGID_X_EN: 1
; COMPUTE_PGM_RSRC2:TGID_Y_EN: 0
; COMPUTE_PGM_RSRC2:TGID_Z_EN: 0
; COMPUTE_PGM_RSRC2:TIDIG_COMP_CNT: 0
	.section	.text._ZN7rocprim17ROCPRIM_400000_NS6detail17trampoline_kernelINS0_14default_configENS1_25transform_config_selectorIlLb0EEEZNS1_14transform_implILb0ES3_S5_NS0_18transform_iteratorINS0_17counting_iteratorImlEEZNS1_24adjacent_difference_implIS3_Lb1ELb0EPlSB_ZN2at6native12_GLOBAL__N_124unique_dim_cuda_templateIlEESt5tupleIJNSC_6TensorESH_SH_EERKSH_lbbbEUlllE1_EE10hipError_tPvRmT2_T3_mT4_P12ihipStream_tbEUlmE_lEESB_NS0_8identityIvEEEESM_SP_SQ_mSR_ST_bEUlT_E_NS1_11comp_targetILNS1_3genE8ELNS1_11target_archE1030ELNS1_3gpuE2ELNS1_3repE0EEENS1_30default_config_static_selectorELNS0_4arch9wavefront6targetE0EEEvT1_,"axG",@progbits,_ZN7rocprim17ROCPRIM_400000_NS6detail17trampoline_kernelINS0_14default_configENS1_25transform_config_selectorIlLb0EEEZNS1_14transform_implILb0ES3_S5_NS0_18transform_iteratorINS0_17counting_iteratorImlEEZNS1_24adjacent_difference_implIS3_Lb1ELb0EPlSB_ZN2at6native12_GLOBAL__N_124unique_dim_cuda_templateIlEESt5tupleIJNSC_6TensorESH_SH_EERKSH_lbbbEUlllE1_EE10hipError_tPvRmT2_T3_mT4_P12ihipStream_tbEUlmE_lEESB_NS0_8identityIvEEEESM_SP_SQ_mSR_ST_bEUlT_E_NS1_11comp_targetILNS1_3genE8ELNS1_11target_archE1030ELNS1_3gpuE2ELNS1_3repE0EEENS1_30default_config_static_selectorELNS0_4arch9wavefront6targetE0EEEvT1_,comdat
	.globl	_ZN7rocprim17ROCPRIM_400000_NS6detail17trampoline_kernelINS0_14default_configENS1_25transform_config_selectorIlLb0EEEZNS1_14transform_implILb0ES3_S5_NS0_18transform_iteratorINS0_17counting_iteratorImlEEZNS1_24adjacent_difference_implIS3_Lb1ELb0EPlSB_ZN2at6native12_GLOBAL__N_124unique_dim_cuda_templateIlEESt5tupleIJNSC_6TensorESH_SH_EERKSH_lbbbEUlllE1_EE10hipError_tPvRmT2_T3_mT4_P12ihipStream_tbEUlmE_lEESB_NS0_8identityIvEEEESM_SP_SQ_mSR_ST_bEUlT_E_NS1_11comp_targetILNS1_3genE8ELNS1_11target_archE1030ELNS1_3gpuE2ELNS1_3repE0EEENS1_30default_config_static_selectorELNS0_4arch9wavefront6targetE0EEEvT1_ ; -- Begin function _ZN7rocprim17ROCPRIM_400000_NS6detail17trampoline_kernelINS0_14default_configENS1_25transform_config_selectorIlLb0EEEZNS1_14transform_implILb0ES3_S5_NS0_18transform_iteratorINS0_17counting_iteratorImlEEZNS1_24adjacent_difference_implIS3_Lb1ELb0EPlSB_ZN2at6native12_GLOBAL__N_124unique_dim_cuda_templateIlEESt5tupleIJNSC_6TensorESH_SH_EERKSH_lbbbEUlllE1_EE10hipError_tPvRmT2_T3_mT4_P12ihipStream_tbEUlmE_lEESB_NS0_8identityIvEEEESM_SP_SQ_mSR_ST_bEUlT_E_NS1_11comp_targetILNS1_3genE8ELNS1_11target_archE1030ELNS1_3gpuE2ELNS1_3repE0EEENS1_30default_config_static_selectorELNS0_4arch9wavefront6targetE0EEEvT1_
	.p2align	8
	.type	_ZN7rocprim17ROCPRIM_400000_NS6detail17trampoline_kernelINS0_14default_configENS1_25transform_config_selectorIlLb0EEEZNS1_14transform_implILb0ES3_S5_NS0_18transform_iteratorINS0_17counting_iteratorImlEEZNS1_24adjacent_difference_implIS3_Lb1ELb0EPlSB_ZN2at6native12_GLOBAL__N_124unique_dim_cuda_templateIlEESt5tupleIJNSC_6TensorESH_SH_EERKSH_lbbbEUlllE1_EE10hipError_tPvRmT2_T3_mT4_P12ihipStream_tbEUlmE_lEESB_NS0_8identityIvEEEESM_SP_SQ_mSR_ST_bEUlT_E_NS1_11comp_targetILNS1_3genE8ELNS1_11target_archE1030ELNS1_3gpuE2ELNS1_3repE0EEENS1_30default_config_static_selectorELNS0_4arch9wavefront6targetE0EEEvT1_,@function
_ZN7rocprim17ROCPRIM_400000_NS6detail17trampoline_kernelINS0_14default_configENS1_25transform_config_selectorIlLb0EEEZNS1_14transform_implILb0ES3_S5_NS0_18transform_iteratorINS0_17counting_iteratorImlEEZNS1_24adjacent_difference_implIS3_Lb1ELb0EPlSB_ZN2at6native12_GLOBAL__N_124unique_dim_cuda_templateIlEESt5tupleIJNSC_6TensorESH_SH_EERKSH_lbbbEUlllE1_EE10hipError_tPvRmT2_T3_mT4_P12ihipStream_tbEUlmE_lEESB_NS0_8identityIvEEEESM_SP_SQ_mSR_ST_bEUlT_E_NS1_11comp_targetILNS1_3genE8ELNS1_11target_archE1030ELNS1_3gpuE2ELNS1_3repE0EEENS1_30default_config_static_selectorELNS0_4arch9wavefront6targetE0EEEvT1_: ; @_ZN7rocprim17ROCPRIM_400000_NS6detail17trampoline_kernelINS0_14default_configENS1_25transform_config_selectorIlLb0EEEZNS1_14transform_implILb0ES3_S5_NS0_18transform_iteratorINS0_17counting_iteratorImlEEZNS1_24adjacent_difference_implIS3_Lb1ELb0EPlSB_ZN2at6native12_GLOBAL__N_124unique_dim_cuda_templateIlEESt5tupleIJNSC_6TensorESH_SH_EERKSH_lbbbEUlllE1_EE10hipError_tPvRmT2_T3_mT4_P12ihipStream_tbEUlmE_lEESB_NS0_8identityIvEEEESM_SP_SQ_mSR_ST_bEUlT_E_NS1_11comp_targetILNS1_3genE8ELNS1_11target_archE1030ELNS1_3gpuE2ELNS1_3repE0EEENS1_30default_config_static_selectorELNS0_4arch9wavefront6targetE0EEEvT1_
; %bb.0:
	.section	.rodata,"a",@progbits
	.p2align	6, 0x0
	.amdhsa_kernel _ZN7rocprim17ROCPRIM_400000_NS6detail17trampoline_kernelINS0_14default_configENS1_25transform_config_selectorIlLb0EEEZNS1_14transform_implILb0ES3_S5_NS0_18transform_iteratorINS0_17counting_iteratorImlEEZNS1_24adjacent_difference_implIS3_Lb1ELb0EPlSB_ZN2at6native12_GLOBAL__N_124unique_dim_cuda_templateIlEESt5tupleIJNSC_6TensorESH_SH_EERKSH_lbbbEUlllE1_EE10hipError_tPvRmT2_T3_mT4_P12ihipStream_tbEUlmE_lEESB_NS0_8identityIvEEEESM_SP_SQ_mSR_ST_bEUlT_E_NS1_11comp_targetILNS1_3genE8ELNS1_11target_archE1030ELNS1_3gpuE2ELNS1_3repE0EEENS1_30default_config_static_selectorELNS0_4arch9wavefront6targetE0EEEvT1_
		.amdhsa_group_segment_fixed_size 0
		.amdhsa_private_segment_fixed_size 0
		.amdhsa_kernarg_size 56
		.amdhsa_user_sgpr_count 15
		.amdhsa_user_sgpr_dispatch_ptr 0
		.amdhsa_user_sgpr_queue_ptr 0
		.amdhsa_user_sgpr_kernarg_segment_ptr 1
		.amdhsa_user_sgpr_dispatch_id 0
		.amdhsa_user_sgpr_private_segment_size 0
		.amdhsa_wavefront_size32 1
		.amdhsa_uses_dynamic_stack 0
		.amdhsa_enable_private_segment 0
		.amdhsa_system_sgpr_workgroup_id_x 1
		.amdhsa_system_sgpr_workgroup_id_y 0
		.amdhsa_system_sgpr_workgroup_id_z 0
		.amdhsa_system_sgpr_workgroup_info 0
		.amdhsa_system_vgpr_workitem_id 0
		.amdhsa_next_free_vgpr 1
		.amdhsa_next_free_sgpr 1
		.amdhsa_reserve_vcc 0
		.amdhsa_float_round_mode_32 0
		.amdhsa_float_round_mode_16_64 0
		.amdhsa_float_denorm_mode_32 3
		.amdhsa_float_denorm_mode_16_64 3
		.amdhsa_dx10_clamp 1
		.amdhsa_ieee_mode 1
		.amdhsa_fp16_overflow 0
		.amdhsa_workgroup_processor_mode 1
		.amdhsa_memory_ordered 1
		.amdhsa_forward_progress 0
		.amdhsa_shared_vgpr_count 0
		.amdhsa_exception_fp_ieee_invalid_op 0
		.amdhsa_exception_fp_denorm_src 0
		.amdhsa_exception_fp_ieee_div_zero 0
		.amdhsa_exception_fp_ieee_overflow 0
		.amdhsa_exception_fp_ieee_underflow 0
		.amdhsa_exception_fp_ieee_inexact 0
		.amdhsa_exception_int_div_zero 0
	.end_amdhsa_kernel
	.section	.text._ZN7rocprim17ROCPRIM_400000_NS6detail17trampoline_kernelINS0_14default_configENS1_25transform_config_selectorIlLb0EEEZNS1_14transform_implILb0ES3_S5_NS0_18transform_iteratorINS0_17counting_iteratorImlEEZNS1_24adjacent_difference_implIS3_Lb1ELb0EPlSB_ZN2at6native12_GLOBAL__N_124unique_dim_cuda_templateIlEESt5tupleIJNSC_6TensorESH_SH_EERKSH_lbbbEUlllE1_EE10hipError_tPvRmT2_T3_mT4_P12ihipStream_tbEUlmE_lEESB_NS0_8identityIvEEEESM_SP_SQ_mSR_ST_bEUlT_E_NS1_11comp_targetILNS1_3genE8ELNS1_11target_archE1030ELNS1_3gpuE2ELNS1_3repE0EEENS1_30default_config_static_selectorELNS0_4arch9wavefront6targetE0EEEvT1_,"axG",@progbits,_ZN7rocprim17ROCPRIM_400000_NS6detail17trampoline_kernelINS0_14default_configENS1_25transform_config_selectorIlLb0EEEZNS1_14transform_implILb0ES3_S5_NS0_18transform_iteratorINS0_17counting_iteratorImlEEZNS1_24adjacent_difference_implIS3_Lb1ELb0EPlSB_ZN2at6native12_GLOBAL__N_124unique_dim_cuda_templateIlEESt5tupleIJNSC_6TensorESH_SH_EERKSH_lbbbEUlllE1_EE10hipError_tPvRmT2_T3_mT4_P12ihipStream_tbEUlmE_lEESB_NS0_8identityIvEEEESM_SP_SQ_mSR_ST_bEUlT_E_NS1_11comp_targetILNS1_3genE8ELNS1_11target_archE1030ELNS1_3gpuE2ELNS1_3repE0EEENS1_30default_config_static_selectorELNS0_4arch9wavefront6targetE0EEEvT1_,comdat
.Lfunc_end554:
	.size	_ZN7rocprim17ROCPRIM_400000_NS6detail17trampoline_kernelINS0_14default_configENS1_25transform_config_selectorIlLb0EEEZNS1_14transform_implILb0ES3_S5_NS0_18transform_iteratorINS0_17counting_iteratorImlEEZNS1_24adjacent_difference_implIS3_Lb1ELb0EPlSB_ZN2at6native12_GLOBAL__N_124unique_dim_cuda_templateIlEESt5tupleIJNSC_6TensorESH_SH_EERKSH_lbbbEUlllE1_EE10hipError_tPvRmT2_T3_mT4_P12ihipStream_tbEUlmE_lEESB_NS0_8identityIvEEEESM_SP_SQ_mSR_ST_bEUlT_E_NS1_11comp_targetILNS1_3genE8ELNS1_11target_archE1030ELNS1_3gpuE2ELNS1_3repE0EEENS1_30default_config_static_selectorELNS0_4arch9wavefront6targetE0EEEvT1_, .Lfunc_end554-_ZN7rocprim17ROCPRIM_400000_NS6detail17trampoline_kernelINS0_14default_configENS1_25transform_config_selectorIlLb0EEEZNS1_14transform_implILb0ES3_S5_NS0_18transform_iteratorINS0_17counting_iteratorImlEEZNS1_24adjacent_difference_implIS3_Lb1ELb0EPlSB_ZN2at6native12_GLOBAL__N_124unique_dim_cuda_templateIlEESt5tupleIJNSC_6TensorESH_SH_EERKSH_lbbbEUlllE1_EE10hipError_tPvRmT2_T3_mT4_P12ihipStream_tbEUlmE_lEESB_NS0_8identityIvEEEESM_SP_SQ_mSR_ST_bEUlT_E_NS1_11comp_targetILNS1_3genE8ELNS1_11target_archE1030ELNS1_3gpuE2ELNS1_3repE0EEENS1_30default_config_static_selectorELNS0_4arch9wavefront6targetE0EEEvT1_
                                        ; -- End function
	.section	.AMDGPU.csdata,"",@progbits
; Kernel info:
; codeLenInByte = 0
; NumSgprs: 0
; NumVgprs: 0
; ScratchSize: 0
; MemoryBound: 0
; FloatMode: 240
; IeeeMode: 1
; LDSByteSize: 0 bytes/workgroup (compile time only)
; SGPRBlocks: 0
; VGPRBlocks: 0
; NumSGPRsForWavesPerEU: 1
; NumVGPRsForWavesPerEU: 1
; Occupancy: 16
; WaveLimiterHint : 0
; COMPUTE_PGM_RSRC2:SCRATCH_EN: 0
; COMPUTE_PGM_RSRC2:USER_SGPR: 15
; COMPUTE_PGM_RSRC2:TRAP_HANDLER: 0
; COMPUTE_PGM_RSRC2:TGID_X_EN: 1
; COMPUTE_PGM_RSRC2:TGID_Y_EN: 0
; COMPUTE_PGM_RSRC2:TGID_Z_EN: 0
; COMPUTE_PGM_RSRC2:TIDIG_COMP_CNT: 0
	.section	.text._ZN7rocprim17ROCPRIM_400000_NS6detail17trampoline_kernelINS0_14default_configENS1_35adjacent_difference_config_selectorILb1ElEEZNS1_24adjacent_difference_implIS3_Lb1ELb0EPlS7_ZN2at6native12_GLOBAL__N_124unique_dim_cuda_templateIlEESt5tupleIJNS8_6TensorESD_SD_EERKSD_lbbbEUlllE1_EE10hipError_tPvRmT2_T3_mT4_P12ihipStream_tbEUlT_E_NS1_11comp_targetILNS1_3genE0ELNS1_11target_archE4294967295ELNS1_3gpuE0ELNS1_3repE0EEENS1_30default_config_static_selectorELNS0_4arch9wavefront6targetE0EEEvT1_,"axG",@progbits,_ZN7rocprim17ROCPRIM_400000_NS6detail17trampoline_kernelINS0_14default_configENS1_35adjacent_difference_config_selectorILb1ElEEZNS1_24adjacent_difference_implIS3_Lb1ELb0EPlS7_ZN2at6native12_GLOBAL__N_124unique_dim_cuda_templateIlEESt5tupleIJNS8_6TensorESD_SD_EERKSD_lbbbEUlllE1_EE10hipError_tPvRmT2_T3_mT4_P12ihipStream_tbEUlT_E_NS1_11comp_targetILNS1_3genE0ELNS1_11target_archE4294967295ELNS1_3gpuE0ELNS1_3repE0EEENS1_30default_config_static_selectorELNS0_4arch9wavefront6targetE0EEEvT1_,comdat
	.globl	_ZN7rocprim17ROCPRIM_400000_NS6detail17trampoline_kernelINS0_14default_configENS1_35adjacent_difference_config_selectorILb1ElEEZNS1_24adjacent_difference_implIS3_Lb1ELb0EPlS7_ZN2at6native12_GLOBAL__N_124unique_dim_cuda_templateIlEESt5tupleIJNS8_6TensorESD_SD_EERKSD_lbbbEUlllE1_EE10hipError_tPvRmT2_T3_mT4_P12ihipStream_tbEUlT_E_NS1_11comp_targetILNS1_3genE0ELNS1_11target_archE4294967295ELNS1_3gpuE0ELNS1_3repE0EEENS1_30default_config_static_selectorELNS0_4arch9wavefront6targetE0EEEvT1_ ; -- Begin function _ZN7rocprim17ROCPRIM_400000_NS6detail17trampoline_kernelINS0_14default_configENS1_35adjacent_difference_config_selectorILb1ElEEZNS1_24adjacent_difference_implIS3_Lb1ELb0EPlS7_ZN2at6native12_GLOBAL__N_124unique_dim_cuda_templateIlEESt5tupleIJNS8_6TensorESD_SD_EERKSD_lbbbEUlllE1_EE10hipError_tPvRmT2_T3_mT4_P12ihipStream_tbEUlT_E_NS1_11comp_targetILNS1_3genE0ELNS1_11target_archE4294967295ELNS1_3gpuE0ELNS1_3repE0EEENS1_30default_config_static_selectorELNS0_4arch9wavefront6targetE0EEEvT1_
	.p2align	8
	.type	_ZN7rocprim17ROCPRIM_400000_NS6detail17trampoline_kernelINS0_14default_configENS1_35adjacent_difference_config_selectorILb1ElEEZNS1_24adjacent_difference_implIS3_Lb1ELb0EPlS7_ZN2at6native12_GLOBAL__N_124unique_dim_cuda_templateIlEESt5tupleIJNS8_6TensorESD_SD_EERKSD_lbbbEUlllE1_EE10hipError_tPvRmT2_T3_mT4_P12ihipStream_tbEUlT_E_NS1_11comp_targetILNS1_3genE0ELNS1_11target_archE4294967295ELNS1_3gpuE0ELNS1_3repE0EEENS1_30default_config_static_selectorELNS0_4arch9wavefront6targetE0EEEvT1_,@function
_ZN7rocprim17ROCPRIM_400000_NS6detail17trampoline_kernelINS0_14default_configENS1_35adjacent_difference_config_selectorILb1ElEEZNS1_24adjacent_difference_implIS3_Lb1ELb0EPlS7_ZN2at6native12_GLOBAL__N_124unique_dim_cuda_templateIlEESt5tupleIJNS8_6TensorESD_SD_EERKSD_lbbbEUlllE1_EE10hipError_tPvRmT2_T3_mT4_P12ihipStream_tbEUlT_E_NS1_11comp_targetILNS1_3genE0ELNS1_11target_archE4294967295ELNS1_3gpuE0ELNS1_3repE0EEENS1_30default_config_static_selectorELNS0_4arch9wavefront6targetE0EEEvT1_: ; @_ZN7rocprim17ROCPRIM_400000_NS6detail17trampoline_kernelINS0_14default_configENS1_35adjacent_difference_config_selectorILb1ElEEZNS1_24adjacent_difference_implIS3_Lb1ELb0EPlS7_ZN2at6native12_GLOBAL__N_124unique_dim_cuda_templateIlEESt5tupleIJNS8_6TensorESD_SD_EERKSD_lbbbEUlllE1_EE10hipError_tPvRmT2_T3_mT4_P12ihipStream_tbEUlT_E_NS1_11comp_targetILNS1_3genE0ELNS1_11target_archE4294967295ELNS1_3gpuE0ELNS1_3repE0EEENS1_30default_config_static_selectorELNS0_4arch9wavefront6targetE0EEEvT1_
; %bb.0:
	.section	.rodata,"a",@progbits
	.p2align	6, 0x0
	.amdhsa_kernel _ZN7rocprim17ROCPRIM_400000_NS6detail17trampoline_kernelINS0_14default_configENS1_35adjacent_difference_config_selectorILb1ElEEZNS1_24adjacent_difference_implIS3_Lb1ELb0EPlS7_ZN2at6native12_GLOBAL__N_124unique_dim_cuda_templateIlEESt5tupleIJNS8_6TensorESD_SD_EERKSD_lbbbEUlllE1_EE10hipError_tPvRmT2_T3_mT4_P12ihipStream_tbEUlT_E_NS1_11comp_targetILNS1_3genE0ELNS1_11target_archE4294967295ELNS1_3gpuE0ELNS1_3repE0EEENS1_30default_config_static_selectorELNS0_4arch9wavefront6targetE0EEEvT1_
		.amdhsa_group_segment_fixed_size 0
		.amdhsa_private_segment_fixed_size 0
		.amdhsa_kernarg_size 64
		.amdhsa_user_sgpr_count 15
		.amdhsa_user_sgpr_dispatch_ptr 0
		.amdhsa_user_sgpr_queue_ptr 0
		.amdhsa_user_sgpr_kernarg_segment_ptr 1
		.amdhsa_user_sgpr_dispatch_id 0
		.amdhsa_user_sgpr_private_segment_size 0
		.amdhsa_wavefront_size32 1
		.amdhsa_uses_dynamic_stack 0
		.amdhsa_enable_private_segment 0
		.amdhsa_system_sgpr_workgroup_id_x 1
		.amdhsa_system_sgpr_workgroup_id_y 0
		.amdhsa_system_sgpr_workgroup_id_z 0
		.amdhsa_system_sgpr_workgroup_info 0
		.amdhsa_system_vgpr_workitem_id 0
		.amdhsa_next_free_vgpr 1
		.amdhsa_next_free_sgpr 1
		.amdhsa_reserve_vcc 0
		.amdhsa_float_round_mode_32 0
		.amdhsa_float_round_mode_16_64 0
		.amdhsa_float_denorm_mode_32 3
		.amdhsa_float_denorm_mode_16_64 3
		.amdhsa_dx10_clamp 1
		.amdhsa_ieee_mode 1
		.amdhsa_fp16_overflow 0
		.amdhsa_workgroup_processor_mode 1
		.amdhsa_memory_ordered 1
		.amdhsa_forward_progress 0
		.amdhsa_shared_vgpr_count 0
		.amdhsa_exception_fp_ieee_invalid_op 0
		.amdhsa_exception_fp_denorm_src 0
		.amdhsa_exception_fp_ieee_div_zero 0
		.amdhsa_exception_fp_ieee_overflow 0
		.amdhsa_exception_fp_ieee_underflow 0
		.amdhsa_exception_fp_ieee_inexact 0
		.amdhsa_exception_int_div_zero 0
	.end_amdhsa_kernel
	.section	.text._ZN7rocprim17ROCPRIM_400000_NS6detail17trampoline_kernelINS0_14default_configENS1_35adjacent_difference_config_selectorILb1ElEEZNS1_24adjacent_difference_implIS3_Lb1ELb0EPlS7_ZN2at6native12_GLOBAL__N_124unique_dim_cuda_templateIlEESt5tupleIJNS8_6TensorESD_SD_EERKSD_lbbbEUlllE1_EE10hipError_tPvRmT2_T3_mT4_P12ihipStream_tbEUlT_E_NS1_11comp_targetILNS1_3genE0ELNS1_11target_archE4294967295ELNS1_3gpuE0ELNS1_3repE0EEENS1_30default_config_static_selectorELNS0_4arch9wavefront6targetE0EEEvT1_,"axG",@progbits,_ZN7rocprim17ROCPRIM_400000_NS6detail17trampoline_kernelINS0_14default_configENS1_35adjacent_difference_config_selectorILb1ElEEZNS1_24adjacent_difference_implIS3_Lb1ELb0EPlS7_ZN2at6native12_GLOBAL__N_124unique_dim_cuda_templateIlEESt5tupleIJNS8_6TensorESD_SD_EERKSD_lbbbEUlllE1_EE10hipError_tPvRmT2_T3_mT4_P12ihipStream_tbEUlT_E_NS1_11comp_targetILNS1_3genE0ELNS1_11target_archE4294967295ELNS1_3gpuE0ELNS1_3repE0EEENS1_30default_config_static_selectorELNS0_4arch9wavefront6targetE0EEEvT1_,comdat
.Lfunc_end555:
	.size	_ZN7rocprim17ROCPRIM_400000_NS6detail17trampoline_kernelINS0_14default_configENS1_35adjacent_difference_config_selectorILb1ElEEZNS1_24adjacent_difference_implIS3_Lb1ELb0EPlS7_ZN2at6native12_GLOBAL__N_124unique_dim_cuda_templateIlEESt5tupleIJNS8_6TensorESD_SD_EERKSD_lbbbEUlllE1_EE10hipError_tPvRmT2_T3_mT4_P12ihipStream_tbEUlT_E_NS1_11comp_targetILNS1_3genE0ELNS1_11target_archE4294967295ELNS1_3gpuE0ELNS1_3repE0EEENS1_30default_config_static_selectorELNS0_4arch9wavefront6targetE0EEEvT1_, .Lfunc_end555-_ZN7rocprim17ROCPRIM_400000_NS6detail17trampoline_kernelINS0_14default_configENS1_35adjacent_difference_config_selectorILb1ElEEZNS1_24adjacent_difference_implIS3_Lb1ELb0EPlS7_ZN2at6native12_GLOBAL__N_124unique_dim_cuda_templateIlEESt5tupleIJNS8_6TensorESD_SD_EERKSD_lbbbEUlllE1_EE10hipError_tPvRmT2_T3_mT4_P12ihipStream_tbEUlT_E_NS1_11comp_targetILNS1_3genE0ELNS1_11target_archE4294967295ELNS1_3gpuE0ELNS1_3repE0EEENS1_30default_config_static_selectorELNS0_4arch9wavefront6targetE0EEEvT1_
                                        ; -- End function
	.section	.AMDGPU.csdata,"",@progbits
; Kernel info:
; codeLenInByte = 0
; NumSgprs: 0
; NumVgprs: 0
; ScratchSize: 0
; MemoryBound: 0
; FloatMode: 240
; IeeeMode: 1
; LDSByteSize: 0 bytes/workgroup (compile time only)
; SGPRBlocks: 0
; VGPRBlocks: 0
; NumSGPRsForWavesPerEU: 1
; NumVGPRsForWavesPerEU: 1
; Occupancy: 16
; WaveLimiterHint : 0
; COMPUTE_PGM_RSRC2:SCRATCH_EN: 0
; COMPUTE_PGM_RSRC2:USER_SGPR: 15
; COMPUTE_PGM_RSRC2:TRAP_HANDLER: 0
; COMPUTE_PGM_RSRC2:TGID_X_EN: 1
; COMPUTE_PGM_RSRC2:TGID_Y_EN: 0
; COMPUTE_PGM_RSRC2:TGID_Z_EN: 0
; COMPUTE_PGM_RSRC2:TIDIG_COMP_CNT: 0
	.section	.text._ZN7rocprim17ROCPRIM_400000_NS6detail17trampoline_kernelINS0_14default_configENS1_35adjacent_difference_config_selectorILb1ElEEZNS1_24adjacent_difference_implIS3_Lb1ELb0EPlS7_ZN2at6native12_GLOBAL__N_124unique_dim_cuda_templateIlEESt5tupleIJNS8_6TensorESD_SD_EERKSD_lbbbEUlllE1_EE10hipError_tPvRmT2_T3_mT4_P12ihipStream_tbEUlT_E_NS1_11comp_targetILNS1_3genE10ELNS1_11target_archE1201ELNS1_3gpuE5ELNS1_3repE0EEENS1_30default_config_static_selectorELNS0_4arch9wavefront6targetE0EEEvT1_,"axG",@progbits,_ZN7rocprim17ROCPRIM_400000_NS6detail17trampoline_kernelINS0_14default_configENS1_35adjacent_difference_config_selectorILb1ElEEZNS1_24adjacent_difference_implIS3_Lb1ELb0EPlS7_ZN2at6native12_GLOBAL__N_124unique_dim_cuda_templateIlEESt5tupleIJNS8_6TensorESD_SD_EERKSD_lbbbEUlllE1_EE10hipError_tPvRmT2_T3_mT4_P12ihipStream_tbEUlT_E_NS1_11comp_targetILNS1_3genE10ELNS1_11target_archE1201ELNS1_3gpuE5ELNS1_3repE0EEENS1_30default_config_static_selectorELNS0_4arch9wavefront6targetE0EEEvT1_,comdat
	.globl	_ZN7rocprim17ROCPRIM_400000_NS6detail17trampoline_kernelINS0_14default_configENS1_35adjacent_difference_config_selectorILb1ElEEZNS1_24adjacent_difference_implIS3_Lb1ELb0EPlS7_ZN2at6native12_GLOBAL__N_124unique_dim_cuda_templateIlEESt5tupleIJNS8_6TensorESD_SD_EERKSD_lbbbEUlllE1_EE10hipError_tPvRmT2_T3_mT4_P12ihipStream_tbEUlT_E_NS1_11comp_targetILNS1_3genE10ELNS1_11target_archE1201ELNS1_3gpuE5ELNS1_3repE0EEENS1_30default_config_static_selectorELNS0_4arch9wavefront6targetE0EEEvT1_ ; -- Begin function _ZN7rocprim17ROCPRIM_400000_NS6detail17trampoline_kernelINS0_14default_configENS1_35adjacent_difference_config_selectorILb1ElEEZNS1_24adjacent_difference_implIS3_Lb1ELb0EPlS7_ZN2at6native12_GLOBAL__N_124unique_dim_cuda_templateIlEESt5tupleIJNS8_6TensorESD_SD_EERKSD_lbbbEUlllE1_EE10hipError_tPvRmT2_T3_mT4_P12ihipStream_tbEUlT_E_NS1_11comp_targetILNS1_3genE10ELNS1_11target_archE1201ELNS1_3gpuE5ELNS1_3repE0EEENS1_30default_config_static_selectorELNS0_4arch9wavefront6targetE0EEEvT1_
	.p2align	8
	.type	_ZN7rocprim17ROCPRIM_400000_NS6detail17trampoline_kernelINS0_14default_configENS1_35adjacent_difference_config_selectorILb1ElEEZNS1_24adjacent_difference_implIS3_Lb1ELb0EPlS7_ZN2at6native12_GLOBAL__N_124unique_dim_cuda_templateIlEESt5tupleIJNS8_6TensorESD_SD_EERKSD_lbbbEUlllE1_EE10hipError_tPvRmT2_T3_mT4_P12ihipStream_tbEUlT_E_NS1_11comp_targetILNS1_3genE10ELNS1_11target_archE1201ELNS1_3gpuE5ELNS1_3repE0EEENS1_30default_config_static_selectorELNS0_4arch9wavefront6targetE0EEEvT1_,@function
_ZN7rocprim17ROCPRIM_400000_NS6detail17trampoline_kernelINS0_14default_configENS1_35adjacent_difference_config_selectorILb1ElEEZNS1_24adjacent_difference_implIS3_Lb1ELb0EPlS7_ZN2at6native12_GLOBAL__N_124unique_dim_cuda_templateIlEESt5tupleIJNS8_6TensorESD_SD_EERKSD_lbbbEUlllE1_EE10hipError_tPvRmT2_T3_mT4_P12ihipStream_tbEUlT_E_NS1_11comp_targetILNS1_3genE10ELNS1_11target_archE1201ELNS1_3gpuE5ELNS1_3repE0EEENS1_30default_config_static_selectorELNS0_4arch9wavefront6targetE0EEEvT1_: ; @_ZN7rocprim17ROCPRIM_400000_NS6detail17trampoline_kernelINS0_14default_configENS1_35adjacent_difference_config_selectorILb1ElEEZNS1_24adjacent_difference_implIS3_Lb1ELb0EPlS7_ZN2at6native12_GLOBAL__N_124unique_dim_cuda_templateIlEESt5tupleIJNS8_6TensorESD_SD_EERKSD_lbbbEUlllE1_EE10hipError_tPvRmT2_T3_mT4_P12ihipStream_tbEUlT_E_NS1_11comp_targetILNS1_3genE10ELNS1_11target_archE1201ELNS1_3gpuE5ELNS1_3repE0EEENS1_30default_config_static_selectorELNS0_4arch9wavefront6targetE0EEEvT1_
; %bb.0:
	.section	.rodata,"a",@progbits
	.p2align	6, 0x0
	.amdhsa_kernel _ZN7rocprim17ROCPRIM_400000_NS6detail17trampoline_kernelINS0_14default_configENS1_35adjacent_difference_config_selectorILb1ElEEZNS1_24adjacent_difference_implIS3_Lb1ELb0EPlS7_ZN2at6native12_GLOBAL__N_124unique_dim_cuda_templateIlEESt5tupleIJNS8_6TensorESD_SD_EERKSD_lbbbEUlllE1_EE10hipError_tPvRmT2_T3_mT4_P12ihipStream_tbEUlT_E_NS1_11comp_targetILNS1_3genE10ELNS1_11target_archE1201ELNS1_3gpuE5ELNS1_3repE0EEENS1_30default_config_static_selectorELNS0_4arch9wavefront6targetE0EEEvT1_
		.amdhsa_group_segment_fixed_size 0
		.amdhsa_private_segment_fixed_size 0
		.amdhsa_kernarg_size 64
		.amdhsa_user_sgpr_count 15
		.amdhsa_user_sgpr_dispatch_ptr 0
		.amdhsa_user_sgpr_queue_ptr 0
		.amdhsa_user_sgpr_kernarg_segment_ptr 1
		.amdhsa_user_sgpr_dispatch_id 0
		.amdhsa_user_sgpr_private_segment_size 0
		.amdhsa_wavefront_size32 1
		.amdhsa_uses_dynamic_stack 0
		.amdhsa_enable_private_segment 0
		.amdhsa_system_sgpr_workgroup_id_x 1
		.amdhsa_system_sgpr_workgroup_id_y 0
		.amdhsa_system_sgpr_workgroup_id_z 0
		.amdhsa_system_sgpr_workgroup_info 0
		.amdhsa_system_vgpr_workitem_id 0
		.amdhsa_next_free_vgpr 1
		.amdhsa_next_free_sgpr 1
		.amdhsa_reserve_vcc 0
		.amdhsa_float_round_mode_32 0
		.amdhsa_float_round_mode_16_64 0
		.amdhsa_float_denorm_mode_32 3
		.amdhsa_float_denorm_mode_16_64 3
		.amdhsa_dx10_clamp 1
		.amdhsa_ieee_mode 1
		.amdhsa_fp16_overflow 0
		.amdhsa_workgroup_processor_mode 1
		.amdhsa_memory_ordered 1
		.amdhsa_forward_progress 0
		.amdhsa_shared_vgpr_count 0
		.amdhsa_exception_fp_ieee_invalid_op 0
		.amdhsa_exception_fp_denorm_src 0
		.amdhsa_exception_fp_ieee_div_zero 0
		.amdhsa_exception_fp_ieee_overflow 0
		.amdhsa_exception_fp_ieee_underflow 0
		.amdhsa_exception_fp_ieee_inexact 0
		.amdhsa_exception_int_div_zero 0
	.end_amdhsa_kernel
	.section	.text._ZN7rocprim17ROCPRIM_400000_NS6detail17trampoline_kernelINS0_14default_configENS1_35adjacent_difference_config_selectorILb1ElEEZNS1_24adjacent_difference_implIS3_Lb1ELb0EPlS7_ZN2at6native12_GLOBAL__N_124unique_dim_cuda_templateIlEESt5tupleIJNS8_6TensorESD_SD_EERKSD_lbbbEUlllE1_EE10hipError_tPvRmT2_T3_mT4_P12ihipStream_tbEUlT_E_NS1_11comp_targetILNS1_3genE10ELNS1_11target_archE1201ELNS1_3gpuE5ELNS1_3repE0EEENS1_30default_config_static_selectorELNS0_4arch9wavefront6targetE0EEEvT1_,"axG",@progbits,_ZN7rocprim17ROCPRIM_400000_NS6detail17trampoline_kernelINS0_14default_configENS1_35adjacent_difference_config_selectorILb1ElEEZNS1_24adjacent_difference_implIS3_Lb1ELb0EPlS7_ZN2at6native12_GLOBAL__N_124unique_dim_cuda_templateIlEESt5tupleIJNS8_6TensorESD_SD_EERKSD_lbbbEUlllE1_EE10hipError_tPvRmT2_T3_mT4_P12ihipStream_tbEUlT_E_NS1_11comp_targetILNS1_3genE10ELNS1_11target_archE1201ELNS1_3gpuE5ELNS1_3repE0EEENS1_30default_config_static_selectorELNS0_4arch9wavefront6targetE0EEEvT1_,comdat
.Lfunc_end556:
	.size	_ZN7rocprim17ROCPRIM_400000_NS6detail17trampoline_kernelINS0_14default_configENS1_35adjacent_difference_config_selectorILb1ElEEZNS1_24adjacent_difference_implIS3_Lb1ELb0EPlS7_ZN2at6native12_GLOBAL__N_124unique_dim_cuda_templateIlEESt5tupleIJNS8_6TensorESD_SD_EERKSD_lbbbEUlllE1_EE10hipError_tPvRmT2_T3_mT4_P12ihipStream_tbEUlT_E_NS1_11comp_targetILNS1_3genE10ELNS1_11target_archE1201ELNS1_3gpuE5ELNS1_3repE0EEENS1_30default_config_static_selectorELNS0_4arch9wavefront6targetE0EEEvT1_, .Lfunc_end556-_ZN7rocprim17ROCPRIM_400000_NS6detail17trampoline_kernelINS0_14default_configENS1_35adjacent_difference_config_selectorILb1ElEEZNS1_24adjacent_difference_implIS3_Lb1ELb0EPlS7_ZN2at6native12_GLOBAL__N_124unique_dim_cuda_templateIlEESt5tupleIJNS8_6TensorESD_SD_EERKSD_lbbbEUlllE1_EE10hipError_tPvRmT2_T3_mT4_P12ihipStream_tbEUlT_E_NS1_11comp_targetILNS1_3genE10ELNS1_11target_archE1201ELNS1_3gpuE5ELNS1_3repE0EEENS1_30default_config_static_selectorELNS0_4arch9wavefront6targetE0EEEvT1_
                                        ; -- End function
	.section	.AMDGPU.csdata,"",@progbits
; Kernel info:
; codeLenInByte = 0
; NumSgprs: 0
; NumVgprs: 0
; ScratchSize: 0
; MemoryBound: 0
; FloatMode: 240
; IeeeMode: 1
; LDSByteSize: 0 bytes/workgroup (compile time only)
; SGPRBlocks: 0
; VGPRBlocks: 0
; NumSGPRsForWavesPerEU: 1
; NumVGPRsForWavesPerEU: 1
; Occupancy: 16
; WaveLimiterHint : 0
; COMPUTE_PGM_RSRC2:SCRATCH_EN: 0
; COMPUTE_PGM_RSRC2:USER_SGPR: 15
; COMPUTE_PGM_RSRC2:TRAP_HANDLER: 0
; COMPUTE_PGM_RSRC2:TGID_X_EN: 1
; COMPUTE_PGM_RSRC2:TGID_Y_EN: 0
; COMPUTE_PGM_RSRC2:TGID_Z_EN: 0
; COMPUTE_PGM_RSRC2:TIDIG_COMP_CNT: 0
	.section	.text._ZN7rocprim17ROCPRIM_400000_NS6detail17trampoline_kernelINS0_14default_configENS1_35adjacent_difference_config_selectorILb1ElEEZNS1_24adjacent_difference_implIS3_Lb1ELb0EPlS7_ZN2at6native12_GLOBAL__N_124unique_dim_cuda_templateIlEESt5tupleIJNS8_6TensorESD_SD_EERKSD_lbbbEUlllE1_EE10hipError_tPvRmT2_T3_mT4_P12ihipStream_tbEUlT_E_NS1_11comp_targetILNS1_3genE5ELNS1_11target_archE942ELNS1_3gpuE9ELNS1_3repE0EEENS1_30default_config_static_selectorELNS0_4arch9wavefront6targetE0EEEvT1_,"axG",@progbits,_ZN7rocprim17ROCPRIM_400000_NS6detail17trampoline_kernelINS0_14default_configENS1_35adjacent_difference_config_selectorILb1ElEEZNS1_24adjacent_difference_implIS3_Lb1ELb0EPlS7_ZN2at6native12_GLOBAL__N_124unique_dim_cuda_templateIlEESt5tupleIJNS8_6TensorESD_SD_EERKSD_lbbbEUlllE1_EE10hipError_tPvRmT2_T3_mT4_P12ihipStream_tbEUlT_E_NS1_11comp_targetILNS1_3genE5ELNS1_11target_archE942ELNS1_3gpuE9ELNS1_3repE0EEENS1_30default_config_static_selectorELNS0_4arch9wavefront6targetE0EEEvT1_,comdat
	.globl	_ZN7rocprim17ROCPRIM_400000_NS6detail17trampoline_kernelINS0_14default_configENS1_35adjacent_difference_config_selectorILb1ElEEZNS1_24adjacent_difference_implIS3_Lb1ELb0EPlS7_ZN2at6native12_GLOBAL__N_124unique_dim_cuda_templateIlEESt5tupleIJNS8_6TensorESD_SD_EERKSD_lbbbEUlllE1_EE10hipError_tPvRmT2_T3_mT4_P12ihipStream_tbEUlT_E_NS1_11comp_targetILNS1_3genE5ELNS1_11target_archE942ELNS1_3gpuE9ELNS1_3repE0EEENS1_30default_config_static_selectorELNS0_4arch9wavefront6targetE0EEEvT1_ ; -- Begin function _ZN7rocprim17ROCPRIM_400000_NS6detail17trampoline_kernelINS0_14default_configENS1_35adjacent_difference_config_selectorILb1ElEEZNS1_24adjacent_difference_implIS3_Lb1ELb0EPlS7_ZN2at6native12_GLOBAL__N_124unique_dim_cuda_templateIlEESt5tupleIJNS8_6TensorESD_SD_EERKSD_lbbbEUlllE1_EE10hipError_tPvRmT2_T3_mT4_P12ihipStream_tbEUlT_E_NS1_11comp_targetILNS1_3genE5ELNS1_11target_archE942ELNS1_3gpuE9ELNS1_3repE0EEENS1_30default_config_static_selectorELNS0_4arch9wavefront6targetE0EEEvT1_
	.p2align	8
	.type	_ZN7rocprim17ROCPRIM_400000_NS6detail17trampoline_kernelINS0_14default_configENS1_35adjacent_difference_config_selectorILb1ElEEZNS1_24adjacent_difference_implIS3_Lb1ELb0EPlS7_ZN2at6native12_GLOBAL__N_124unique_dim_cuda_templateIlEESt5tupleIJNS8_6TensorESD_SD_EERKSD_lbbbEUlllE1_EE10hipError_tPvRmT2_T3_mT4_P12ihipStream_tbEUlT_E_NS1_11comp_targetILNS1_3genE5ELNS1_11target_archE942ELNS1_3gpuE9ELNS1_3repE0EEENS1_30default_config_static_selectorELNS0_4arch9wavefront6targetE0EEEvT1_,@function
_ZN7rocprim17ROCPRIM_400000_NS6detail17trampoline_kernelINS0_14default_configENS1_35adjacent_difference_config_selectorILb1ElEEZNS1_24adjacent_difference_implIS3_Lb1ELb0EPlS7_ZN2at6native12_GLOBAL__N_124unique_dim_cuda_templateIlEESt5tupleIJNS8_6TensorESD_SD_EERKSD_lbbbEUlllE1_EE10hipError_tPvRmT2_T3_mT4_P12ihipStream_tbEUlT_E_NS1_11comp_targetILNS1_3genE5ELNS1_11target_archE942ELNS1_3gpuE9ELNS1_3repE0EEENS1_30default_config_static_selectorELNS0_4arch9wavefront6targetE0EEEvT1_: ; @_ZN7rocprim17ROCPRIM_400000_NS6detail17trampoline_kernelINS0_14default_configENS1_35adjacent_difference_config_selectorILb1ElEEZNS1_24adjacent_difference_implIS3_Lb1ELb0EPlS7_ZN2at6native12_GLOBAL__N_124unique_dim_cuda_templateIlEESt5tupleIJNS8_6TensorESD_SD_EERKSD_lbbbEUlllE1_EE10hipError_tPvRmT2_T3_mT4_P12ihipStream_tbEUlT_E_NS1_11comp_targetILNS1_3genE5ELNS1_11target_archE942ELNS1_3gpuE9ELNS1_3repE0EEENS1_30default_config_static_selectorELNS0_4arch9wavefront6targetE0EEEvT1_
; %bb.0:
	.section	.rodata,"a",@progbits
	.p2align	6, 0x0
	.amdhsa_kernel _ZN7rocprim17ROCPRIM_400000_NS6detail17trampoline_kernelINS0_14default_configENS1_35adjacent_difference_config_selectorILb1ElEEZNS1_24adjacent_difference_implIS3_Lb1ELb0EPlS7_ZN2at6native12_GLOBAL__N_124unique_dim_cuda_templateIlEESt5tupleIJNS8_6TensorESD_SD_EERKSD_lbbbEUlllE1_EE10hipError_tPvRmT2_T3_mT4_P12ihipStream_tbEUlT_E_NS1_11comp_targetILNS1_3genE5ELNS1_11target_archE942ELNS1_3gpuE9ELNS1_3repE0EEENS1_30default_config_static_selectorELNS0_4arch9wavefront6targetE0EEEvT1_
		.amdhsa_group_segment_fixed_size 0
		.amdhsa_private_segment_fixed_size 0
		.amdhsa_kernarg_size 64
		.amdhsa_user_sgpr_count 15
		.amdhsa_user_sgpr_dispatch_ptr 0
		.amdhsa_user_sgpr_queue_ptr 0
		.amdhsa_user_sgpr_kernarg_segment_ptr 1
		.amdhsa_user_sgpr_dispatch_id 0
		.amdhsa_user_sgpr_private_segment_size 0
		.amdhsa_wavefront_size32 1
		.amdhsa_uses_dynamic_stack 0
		.amdhsa_enable_private_segment 0
		.amdhsa_system_sgpr_workgroup_id_x 1
		.amdhsa_system_sgpr_workgroup_id_y 0
		.amdhsa_system_sgpr_workgroup_id_z 0
		.amdhsa_system_sgpr_workgroup_info 0
		.amdhsa_system_vgpr_workitem_id 0
		.amdhsa_next_free_vgpr 1
		.amdhsa_next_free_sgpr 1
		.amdhsa_reserve_vcc 0
		.amdhsa_float_round_mode_32 0
		.amdhsa_float_round_mode_16_64 0
		.amdhsa_float_denorm_mode_32 3
		.amdhsa_float_denorm_mode_16_64 3
		.amdhsa_dx10_clamp 1
		.amdhsa_ieee_mode 1
		.amdhsa_fp16_overflow 0
		.amdhsa_workgroup_processor_mode 1
		.amdhsa_memory_ordered 1
		.amdhsa_forward_progress 0
		.amdhsa_shared_vgpr_count 0
		.amdhsa_exception_fp_ieee_invalid_op 0
		.amdhsa_exception_fp_denorm_src 0
		.amdhsa_exception_fp_ieee_div_zero 0
		.amdhsa_exception_fp_ieee_overflow 0
		.amdhsa_exception_fp_ieee_underflow 0
		.amdhsa_exception_fp_ieee_inexact 0
		.amdhsa_exception_int_div_zero 0
	.end_amdhsa_kernel
	.section	.text._ZN7rocprim17ROCPRIM_400000_NS6detail17trampoline_kernelINS0_14default_configENS1_35adjacent_difference_config_selectorILb1ElEEZNS1_24adjacent_difference_implIS3_Lb1ELb0EPlS7_ZN2at6native12_GLOBAL__N_124unique_dim_cuda_templateIlEESt5tupleIJNS8_6TensorESD_SD_EERKSD_lbbbEUlllE1_EE10hipError_tPvRmT2_T3_mT4_P12ihipStream_tbEUlT_E_NS1_11comp_targetILNS1_3genE5ELNS1_11target_archE942ELNS1_3gpuE9ELNS1_3repE0EEENS1_30default_config_static_selectorELNS0_4arch9wavefront6targetE0EEEvT1_,"axG",@progbits,_ZN7rocprim17ROCPRIM_400000_NS6detail17trampoline_kernelINS0_14default_configENS1_35adjacent_difference_config_selectorILb1ElEEZNS1_24adjacent_difference_implIS3_Lb1ELb0EPlS7_ZN2at6native12_GLOBAL__N_124unique_dim_cuda_templateIlEESt5tupleIJNS8_6TensorESD_SD_EERKSD_lbbbEUlllE1_EE10hipError_tPvRmT2_T3_mT4_P12ihipStream_tbEUlT_E_NS1_11comp_targetILNS1_3genE5ELNS1_11target_archE942ELNS1_3gpuE9ELNS1_3repE0EEENS1_30default_config_static_selectorELNS0_4arch9wavefront6targetE0EEEvT1_,comdat
.Lfunc_end557:
	.size	_ZN7rocprim17ROCPRIM_400000_NS6detail17trampoline_kernelINS0_14default_configENS1_35adjacent_difference_config_selectorILb1ElEEZNS1_24adjacent_difference_implIS3_Lb1ELb0EPlS7_ZN2at6native12_GLOBAL__N_124unique_dim_cuda_templateIlEESt5tupleIJNS8_6TensorESD_SD_EERKSD_lbbbEUlllE1_EE10hipError_tPvRmT2_T3_mT4_P12ihipStream_tbEUlT_E_NS1_11comp_targetILNS1_3genE5ELNS1_11target_archE942ELNS1_3gpuE9ELNS1_3repE0EEENS1_30default_config_static_selectorELNS0_4arch9wavefront6targetE0EEEvT1_, .Lfunc_end557-_ZN7rocprim17ROCPRIM_400000_NS6detail17trampoline_kernelINS0_14default_configENS1_35adjacent_difference_config_selectorILb1ElEEZNS1_24adjacent_difference_implIS3_Lb1ELb0EPlS7_ZN2at6native12_GLOBAL__N_124unique_dim_cuda_templateIlEESt5tupleIJNS8_6TensorESD_SD_EERKSD_lbbbEUlllE1_EE10hipError_tPvRmT2_T3_mT4_P12ihipStream_tbEUlT_E_NS1_11comp_targetILNS1_3genE5ELNS1_11target_archE942ELNS1_3gpuE9ELNS1_3repE0EEENS1_30default_config_static_selectorELNS0_4arch9wavefront6targetE0EEEvT1_
                                        ; -- End function
	.section	.AMDGPU.csdata,"",@progbits
; Kernel info:
; codeLenInByte = 0
; NumSgprs: 0
; NumVgprs: 0
; ScratchSize: 0
; MemoryBound: 0
; FloatMode: 240
; IeeeMode: 1
; LDSByteSize: 0 bytes/workgroup (compile time only)
; SGPRBlocks: 0
; VGPRBlocks: 0
; NumSGPRsForWavesPerEU: 1
; NumVGPRsForWavesPerEU: 1
; Occupancy: 16
; WaveLimiterHint : 0
; COMPUTE_PGM_RSRC2:SCRATCH_EN: 0
; COMPUTE_PGM_RSRC2:USER_SGPR: 15
; COMPUTE_PGM_RSRC2:TRAP_HANDLER: 0
; COMPUTE_PGM_RSRC2:TGID_X_EN: 1
; COMPUTE_PGM_RSRC2:TGID_Y_EN: 0
; COMPUTE_PGM_RSRC2:TGID_Z_EN: 0
; COMPUTE_PGM_RSRC2:TIDIG_COMP_CNT: 0
	.section	.text._ZN7rocprim17ROCPRIM_400000_NS6detail17trampoline_kernelINS0_14default_configENS1_35adjacent_difference_config_selectorILb1ElEEZNS1_24adjacent_difference_implIS3_Lb1ELb0EPlS7_ZN2at6native12_GLOBAL__N_124unique_dim_cuda_templateIlEESt5tupleIJNS8_6TensorESD_SD_EERKSD_lbbbEUlllE1_EE10hipError_tPvRmT2_T3_mT4_P12ihipStream_tbEUlT_E_NS1_11comp_targetILNS1_3genE4ELNS1_11target_archE910ELNS1_3gpuE8ELNS1_3repE0EEENS1_30default_config_static_selectorELNS0_4arch9wavefront6targetE0EEEvT1_,"axG",@progbits,_ZN7rocprim17ROCPRIM_400000_NS6detail17trampoline_kernelINS0_14default_configENS1_35adjacent_difference_config_selectorILb1ElEEZNS1_24adjacent_difference_implIS3_Lb1ELb0EPlS7_ZN2at6native12_GLOBAL__N_124unique_dim_cuda_templateIlEESt5tupleIJNS8_6TensorESD_SD_EERKSD_lbbbEUlllE1_EE10hipError_tPvRmT2_T3_mT4_P12ihipStream_tbEUlT_E_NS1_11comp_targetILNS1_3genE4ELNS1_11target_archE910ELNS1_3gpuE8ELNS1_3repE0EEENS1_30default_config_static_selectorELNS0_4arch9wavefront6targetE0EEEvT1_,comdat
	.globl	_ZN7rocprim17ROCPRIM_400000_NS6detail17trampoline_kernelINS0_14default_configENS1_35adjacent_difference_config_selectorILb1ElEEZNS1_24adjacent_difference_implIS3_Lb1ELb0EPlS7_ZN2at6native12_GLOBAL__N_124unique_dim_cuda_templateIlEESt5tupleIJNS8_6TensorESD_SD_EERKSD_lbbbEUlllE1_EE10hipError_tPvRmT2_T3_mT4_P12ihipStream_tbEUlT_E_NS1_11comp_targetILNS1_3genE4ELNS1_11target_archE910ELNS1_3gpuE8ELNS1_3repE0EEENS1_30default_config_static_selectorELNS0_4arch9wavefront6targetE0EEEvT1_ ; -- Begin function _ZN7rocprim17ROCPRIM_400000_NS6detail17trampoline_kernelINS0_14default_configENS1_35adjacent_difference_config_selectorILb1ElEEZNS1_24adjacent_difference_implIS3_Lb1ELb0EPlS7_ZN2at6native12_GLOBAL__N_124unique_dim_cuda_templateIlEESt5tupleIJNS8_6TensorESD_SD_EERKSD_lbbbEUlllE1_EE10hipError_tPvRmT2_T3_mT4_P12ihipStream_tbEUlT_E_NS1_11comp_targetILNS1_3genE4ELNS1_11target_archE910ELNS1_3gpuE8ELNS1_3repE0EEENS1_30default_config_static_selectorELNS0_4arch9wavefront6targetE0EEEvT1_
	.p2align	8
	.type	_ZN7rocprim17ROCPRIM_400000_NS6detail17trampoline_kernelINS0_14default_configENS1_35adjacent_difference_config_selectorILb1ElEEZNS1_24adjacent_difference_implIS3_Lb1ELb0EPlS7_ZN2at6native12_GLOBAL__N_124unique_dim_cuda_templateIlEESt5tupleIJNS8_6TensorESD_SD_EERKSD_lbbbEUlllE1_EE10hipError_tPvRmT2_T3_mT4_P12ihipStream_tbEUlT_E_NS1_11comp_targetILNS1_3genE4ELNS1_11target_archE910ELNS1_3gpuE8ELNS1_3repE0EEENS1_30default_config_static_selectorELNS0_4arch9wavefront6targetE0EEEvT1_,@function
_ZN7rocprim17ROCPRIM_400000_NS6detail17trampoline_kernelINS0_14default_configENS1_35adjacent_difference_config_selectorILb1ElEEZNS1_24adjacent_difference_implIS3_Lb1ELb0EPlS7_ZN2at6native12_GLOBAL__N_124unique_dim_cuda_templateIlEESt5tupleIJNS8_6TensorESD_SD_EERKSD_lbbbEUlllE1_EE10hipError_tPvRmT2_T3_mT4_P12ihipStream_tbEUlT_E_NS1_11comp_targetILNS1_3genE4ELNS1_11target_archE910ELNS1_3gpuE8ELNS1_3repE0EEENS1_30default_config_static_selectorELNS0_4arch9wavefront6targetE0EEEvT1_: ; @_ZN7rocprim17ROCPRIM_400000_NS6detail17trampoline_kernelINS0_14default_configENS1_35adjacent_difference_config_selectorILb1ElEEZNS1_24adjacent_difference_implIS3_Lb1ELb0EPlS7_ZN2at6native12_GLOBAL__N_124unique_dim_cuda_templateIlEESt5tupleIJNS8_6TensorESD_SD_EERKSD_lbbbEUlllE1_EE10hipError_tPvRmT2_T3_mT4_P12ihipStream_tbEUlT_E_NS1_11comp_targetILNS1_3genE4ELNS1_11target_archE910ELNS1_3gpuE8ELNS1_3repE0EEENS1_30default_config_static_selectorELNS0_4arch9wavefront6targetE0EEEvT1_
; %bb.0:
	.section	.rodata,"a",@progbits
	.p2align	6, 0x0
	.amdhsa_kernel _ZN7rocprim17ROCPRIM_400000_NS6detail17trampoline_kernelINS0_14default_configENS1_35adjacent_difference_config_selectorILb1ElEEZNS1_24adjacent_difference_implIS3_Lb1ELb0EPlS7_ZN2at6native12_GLOBAL__N_124unique_dim_cuda_templateIlEESt5tupleIJNS8_6TensorESD_SD_EERKSD_lbbbEUlllE1_EE10hipError_tPvRmT2_T3_mT4_P12ihipStream_tbEUlT_E_NS1_11comp_targetILNS1_3genE4ELNS1_11target_archE910ELNS1_3gpuE8ELNS1_3repE0EEENS1_30default_config_static_selectorELNS0_4arch9wavefront6targetE0EEEvT1_
		.amdhsa_group_segment_fixed_size 0
		.amdhsa_private_segment_fixed_size 0
		.amdhsa_kernarg_size 64
		.amdhsa_user_sgpr_count 15
		.amdhsa_user_sgpr_dispatch_ptr 0
		.amdhsa_user_sgpr_queue_ptr 0
		.amdhsa_user_sgpr_kernarg_segment_ptr 1
		.amdhsa_user_sgpr_dispatch_id 0
		.amdhsa_user_sgpr_private_segment_size 0
		.amdhsa_wavefront_size32 1
		.amdhsa_uses_dynamic_stack 0
		.amdhsa_enable_private_segment 0
		.amdhsa_system_sgpr_workgroup_id_x 1
		.amdhsa_system_sgpr_workgroup_id_y 0
		.amdhsa_system_sgpr_workgroup_id_z 0
		.amdhsa_system_sgpr_workgroup_info 0
		.amdhsa_system_vgpr_workitem_id 0
		.amdhsa_next_free_vgpr 1
		.amdhsa_next_free_sgpr 1
		.amdhsa_reserve_vcc 0
		.amdhsa_float_round_mode_32 0
		.amdhsa_float_round_mode_16_64 0
		.amdhsa_float_denorm_mode_32 3
		.amdhsa_float_denorm_mode_16_64 3
		.amdhsa_dx10_clamp 1
		.amdhsa_ieee_mode 1
		.amdhsa_fp16_overflow 0
		.amdhsa_workgroup_processor_mode 1
		.amdhsa_memory_ordered 1
		.amdhsa_forward_progress 0
		.amdhsa_shared_vgpr_count 0
		.amdhsa_exception_fp_ieee_invalid_op 0
		.amdhsa_exception_fp_denorm_src 0
		.amdhsa_exception_fp_ieee_div_zero 0
		.amdhsa_exception_fp_ieee_overflow 0
		.amdhsa_exception_fp_ieee_underflow 0
		.amdhsa_exception_fp_ieee_inexact 0
		.amdhsa_exception_int_div_zero 0
	.end_amdhsa_kernel
	.section	.text._ZN7rocprim17ROCPRIM_400000_NS6detail17trampoline_kernelINS0_14default_configENS1_35adjacent_difference_config_selectorILb1ElEEZNS1_24adjacent_difference_implIS3_Lb1ELb0EPlS7_ZN2at6native12_GLOBAL__N_124unique_dim_cuda_templateIlEESt5tupleIJNS8_6TensorESD_SD_EERKSD_lbbbEUlllE1_EE10hipError_tPvRmT2_T3_mT4_P12ihipStream_tbEUlT_E_NS1_11comp_targetILNS1_3genE4ELNS1_11target_archE910ELNS1_3gpuE8ELNS1_3repE0EEENS1_30default_config_static_selectorELNS0_4arch9wavefront6targetE0EEEvT1_,"axG",@progbits,_ZN7rocprim17ROCPRIM_400000_NS6detail17trampoline_kernelINS0_14default_configENS1_35adjacent_difference_config_selectorILb1ElEEZNS1_24adjacent_difference_implIS3_Lb1ELb0EPlS7_ZN2at6native12_GLOBAL__N_124unique_dim_cuda_templateIlEESt5tupleIJNS8_6TensorESD_SD_EERKSD_lbbbEUlllE1_EE10hipError_tPvRmT2_T3_mT4_P12ihipStream_tbEUlT_E_NS1_11comp_targetILNS1_3genE4ELNS1_11target_archE910ELNS1_3gpuE8ELNS1_3repE0EEENS1_30default_config_static_selectorELNS0_4arch9wavefront6targetE0EEEvT1_,comdat
.Lfunc_end558:
	.size	_ZN7rocprim17ROCPRIM_400000_NS6detail17trampoline_kernelINS0_14default_configENS1_35adjacent_difference_config_selectorILb1ElEEZNS1_24adjacent_difference_implIS3_Lb1ELb0EPlS7_ZN2at6native12_GLOBAL__N_124unique_dim_cuda_templateIlEESt5tupleIJNS8_6TensorESD_SD_EERKSD_lbbbEUlllE1_EE10hipError_tPvRmT2_T3_mT4_P12ihipStream_tbEUlT_E_NS1_11comp_targetILNS1_3genE4ELNS1_11target_archE910ELNS1_3gpuE8ELNS1_3repE0EEENS1_30default_config_static_selectorELNS0_4arch9wavefront6targetE0EEEvT1_, .Lfunc_end558-_ZN7rocprim17ROCPRIM_400000_NS6detail17trampoline_kernelINS0_14default_configENS1_35adjacent_difference_config_selectorILb1ElEEZNS1_24adjacent_difference_implIS3_Lb1ELb0EPlS7_ZN2at6native12_GLOBAL__N_124unique_dim_cuda_templateIlEESt5tupleIJNS8_6TensorESD_SD_EERKSD_lbbbEUlllE1_EE10hipError_tPvRmT2_T3_mT4_P12ihipStream_tbEUlT_E_NS1_11comp_targetILNS1_3genE4ELNS1_11target_archE910ELNS1_3gpuE8ELNS1_3repE0EEENS1_30default_config_static_selectorELNS0_4arch9wavefront6targetE0EEEvT1_
                                        ; -- End function
	.section	.AMDGPU.csdata,"",@progbits
; Kernel info:
; codeLenInByte = 0
; NumSgprs: 0
; NumVgprs: 0
; ScratchSize: 0
; MemoryBound: 0
; FloatMode: 240
; IeeeMode: 1
; LDSByteSize: 0 bytes/workgroup (compile time only)
; SGPRBlocks: 0
; VGPRBlocks: 0
; NumSGPRsForWavesPerEU: 1
; NumVGPRsForWavesPerEU: 1
; Occupancy: 16
; WaveLimiterHint : 0
; COMPUTE_PGM_RSRC2:SCRATCH_EN: 0
; COMPUTE_PGM_RSRC2:USER_SGPR: 15
; COMPUTE_PGM_RSRC2:TRAP_HANDLER: 0
; COMPUTE_PGM_RSRC2:TGID_X_EN: 1
; COMPUTE_PGM_RSRC2:TGID_Y_EN: 0
; COMPUTE_PGM_RSRC2:TGID_Z_EN: 0
; COMPUTE_PGM_RSRC2:TIDIG_COMP_CNT: 0
	.section	.text._ZN7rocprim17ROCPRIM_400000_NS6detail17trampoline_kernelINS0_14default_configENS1_35adjacent_difference_config_selectorILb1ElEEZNS1_24adjacent_difference_implIS3_Lb1ELb0EPlS7_ZN2at6native12_GLOBAL__N_124unique_dim_cuda_templateIlEESt5tupleIJNS8_6TensorESD_SD_EERKSD_lbbbEUlllE1_EE10hipError_tPvRmT2_T3_mT4_P12ihipStream_tbEUlT_E_NS1_11comp_targetILNS1_3genE3ELNS1_11target_archE908ELNS1_3gpuE7ELNS1_3repE0EEENS1_30default_config_static_selectorELNS0_4arch9wavefront6targetE0EEEvT1_,"axG",@progbits,_ZN7rocprim17ROCPRIM_400000_NS6detail17trampoline_kernelINS0_14default_configENS1_35adjacent_difference_config_selectorILb1ElEEZNS1_24adjacent_difference_implIS3_Lb1ELb0EPlS7_ZN2at6native12_GLOBAL__N_124unique_dim_cuda_templateIlEESt5tupleIJNS8_6TensorESD_SD_EERKSD_lbbbEUlllE1_EE10hipError_tPvRmT2_T3_mT4_P12ihipStream_tbEUlT_E_NS1_11comp_targetILNS1_3genE3ELNS1_11target_archE908ELNS1_3gpuE7ELNS1_3repE0EEENS1_30default_config_static_selectorELNS0_4arch9wavefront6targetE0EEEvT1_,comdat
	.globl	_ZN7rocprim17ROCPRIM_400000_NS6detail17trampoline_kernelINS0_14default_configENS1_35adjacent_difference_config_selectorILb1ElEEZNS1_24adjacent_difference_implIS3_Lb1ELb0EPlS7_ZN2at6native12_GLOBAL__N_124unique_dim_cuda_templateIlEESt5tupleIJNS8_6TensorESD_SD_EERKSD_lbbbEUlllE1_EE10hipError_tPvRmT2_T3_mT4_P12ihipStream_tbEUlT_E_NS1_11comp_targetILNS1_3genE3ELNS1_11target_archE908ELNS1_3gpuE7ELNS1_3repE0EEENS1_30default_config_static_selectorELNS0_4arch9wavefront6targetE0EEEvT1_ ; -- Begin function _ZN7rocprim17ROCPRIM_400000_NS6detail17trampoline_kernelINS0_14default_configENS1_35adjacent_difference_config_selectorILb1ElEEZNS1_24adjacent_difference_implIS3_Lb1ELb0EPlS7_ZN2at6native12_GLOBAL__N_124unique_dim_cuda_templateIlEESt5tupleIJNS8_6TensorESD_SD_EERKSD_lbbbEUlllE1_EE10hipError_tPvRmT2_T3_mT4_P12ihipStream_tbEUlT_E_NS1_11comp_targetILNS1_3genE3ELNS1_11target_archE908ELNS1_3gpuE7ELNS1_3repE0EEENS1_30default_config_static_selectorELNS0_4arch9wavefront6targetE0EEEvT1_
	.p2align	8
	.type	_ZN7rocprim17ROCPRIM_400000_NS6detail17trampoline_kernelINS0_14default_configENS1_35adjacent_difference_config_selectorILb1ElEEZNS1_24adjacent_difference_implIS3_Lb1ELb0EPlS7_ZN2at6native12_GLOBAL__N_124unique_dim_cuda_templateIlEESt5tupleIJNS8_6TensorESD_SD_EERKSD_lbbbEUlllE1_EE10hipError_tPvRmT2_T3_mT4_P12ihipStream_tbEUlT_E_NS1_11comp_targetILNS1_3genE3ELNS1_11target_archE908ELNS1_3gpuE7ELNS1_3repE0EEENS1_30default_config_static_selectorELNS0_4arch9wavefront6targetE0EEEvT1_,@function
_ZN7rocprim17ROCPRIM_400000_NS6detail17trampoline_kernelINS0_14default_configENS1_35adjacent_difference_config_selectorILb1ElEEZNS1_24adjacent_difference_implIS3_Lb1ELb0EPlS7_ZN2at6native12_GLOBAL__N_124unique_dim_cuda_templateIlEESt5tupleIJNS8_6TensorESD_SD_EERKSD_lbbbEUlllE1_EE10hipError_tPvRmT2_T3_mT4_P12ihipStream_tbEUlT_E_NS1_11comp_targetILNS1_3genE3ELNS1_11target_archE908ELNS1_3gpuE7ELNS1_3repE0EEENS1_30default_config_static_selectorELNS0_4arch9wavefront6targetE0EEEvT1_: ; @_ZN7rocprim17ROCPRIM_400000_NS6detail17trampoline_kernelINS0_14default_configENS1_35adjacent_difference_config_selectorILb1ElEEZNS1_24adjacent_difference_implIS3_Lb1ELb0EPlS7_ZN2at6native12_GLOBAL__N_124unique_dim_cuda_templateIlEESt5tupleIJNS8_6TensorESD_SD_EERKSD_lbbbEUlllE1_EE10hipError_tPvRmT2_T3_mT4_P12ihipStream_tbEUlT_E_NS1_11comp_targetILNS1_3genE3ELNS1_11target_archE908ELNS1_3gpuE7ELNS1_3repE0EEENS1_30default_config_static_selectorELNS0_4arch9wavefront6targetE0EEEvT1_
; %bb.0:
	.section	.rodata,"a",@progbits
	.p2align	6, 0x0
	.amdhsa_kernel _ZN7rocprim17ROCPRIM_400000_NS6detail17trampoline_kernelINS0_14default_configENS1_35adjacent_difference_config_selectorILb1ElEEZNS1_24adjacent_difference_implIS3_Lb1ELb0EPlS7_ZN2at6native12_GLOBAL__N_124unique_dim_cuda_templateIlEESt5tupleIJNS8_6TensorESD_SD_EERKSD_lbbbEUlllE1_EE10hipError_tPvRmT2_T3_mT4_P12ihipStream_tbEUlT_E_NS1_11comp_targetILNS1_3genE3ELNS1_11target_archE908ELNS1_3gpuE7ELNS1_3repE0EEENS1_30default_config_static_selectorELNS0_4arch9wavefront6targetE0EEEvT1_
		.amdhsa_group_segment_fixed_size 0
		.amdhsa_private_segment_fixed_size 0
		.amdhsa_kernarg_size 64
		.amdhsa_user_sgpr_count 15
		.amdhsa_user_sgpr_dispatch_ptr 0
		.amdhsa_user_sgpr_queue_ptr 0
		.amdhsa_user_sgpr_kernarg_segment_ptr 1
		.amdhsa_user_sgpr_dispatch_id 0
		.amdhsa_user_sgpr_private_segment_size 0
		.amdhsa_wavefront_size32 1
		.amdhsa_uses_dynamic_stack 0
		.amdhsa_enable_private_segment 0
		.amdhsa_system_sgpr_workgroup_id_x 1
		.amdhsa_system_sgpr_workgroup_id_y 0
		.amdhsa_system_sgpr_workgroup_id_z 0
		.amdhsa_system_sgpr_workgroup_info 0
		.amdhsa_system_vgpr_workitem_id 0
		.amdhsa_next_free_vgpr 1
		.amdhsa_next_free_sgpr 1
		.amdhsa_reserve_vcc 0
		.amdhsa_float_round_mode_32 0
		.amdhsa_float_round_mode_16_64 0
		.amdhsa_float_denorm_mode_32 3
		.amdhsa_float_denorm_mode_16_64 3
		.amdhsa_dx10_clamp 1
		.amdhsa_ieee_mode 1
		.amdhsa_fp16_overflow 0
		.amdhsa_workgroup_processor_mode 1
		.amdhsa_memory_ordered 1
		.amdhsa_forward_progress 0
		.amdhsa_shared_vgpr_count 0
		.amdhsa_exception_fp_ieee_invalid_op 0
		.amdhsa_exception_fp_denorm_src 0
		.amdhsa_exception_fp_ieee_div_zero 0
		.amdhsa_exception_fp_ieee_overflow 0
		.amdhsa_exception_fp_ieee_underflow 0
		.amdhsa_exception_fp_ieee_inexact 0
		.amdhsa_exception_int_div_zero 0
	.end_amdhsa_kernel
	.section	.text._ZN7rocprim17ROCPRIM_400000_NS6detail17trampoline_kernelINS0_14default_configENS1_35adjacent_difference_config_selectorILb1ElEEZNS1_24adjacent_difference_implIS3_Lb1ELb0EPlS7_ZN2at6native12_GLOBAL__N_124unique_dim_cuda_templateIlEESt5tupleIJNS8_6TensorESD_SD_EERKSD_lbbbEUlllE1_EE10hipError_tPvRmT2_T3_mT4_P12ihipStream_tbEUlT_E_NS1_11comp_targetILNS1_3genE3ELNS1_11target_archE908ELNS1_3gpuE7ELNS1_3repE0EEENS1_30default_config_static_selectorELNS0_4arch9wavefront6targetE0EEEvT1_,"axG",@progbits,_ZN7rocprim17ROCPRIM_400000_NS6detail17trampoline_kernelINS0_14default_configENS1_35adjacent_difference_config_selectorILb1ElEEZNS1_24adjacent_difference_implIS3_Lb1ELb0EPlS7_ZN2at6native12_GLOBAL__N_124unique_dim_cuda_templateIlEESt5tupleIJNS8_6TensorESD_SD_EERKSD_lbbbEUlllE1_EE10hipError_tPvRmT2_T3_mT4_P12ihipStream_tbEUlT_E_NS1_11comp_targetILNS1_3genE3ELNS1_11target_archE908ELNS1_3gpuE7ELNS1_3repE0EEENS1_30default_config_static_selectorELNS0_4arch9wavefront6targetE0EEEvT1_,comdat
.Lfunc_end559:
	.size	_ZN7rocprim17ROCPRIM_400000_NS6detail17trampoline_kernelINS0_14default_configENS1_35adjacent_difference_config_selectorILb1ElEEZNS1_24adjacent_difference_implIS3_Lb1ELb0EPlS7_ZN2at6native12_GLOBAL__N_124unique_dim_cuda_templateIlEESt5tupleIJNS8_6TensorESD_SD_EERKSD_lbbbEUlllE1_EE10hipError_tPvRmT2_T3_mT4_P12ihipStream_tbEUlT_E_NS1_11comp_targetILNS1_3genE3ELNS1_11target_archE908ELNS1_3gpuE7ELNS1_3repE0EEENS1_30default_config_static_selectorELNS0_4arch9wavefront6targetE0EEEvT1_, .Lfunc_end559-_ZN7rocprim17ROCPRIM_400000_NS6detail17trampoline_kernelINS0_14default_configENS1_35adjacent_difference_config_selectorILb1ElEEZNS1_24adjacent_difference_implIS3_Lb1ELb0EPlS7_ZN2at6native12_GLOBAL__N_124unique_dim_cuda_templateIlEESt5tupleIJNS8_6TensorESD_SD_EERKSD_lbbbEUlllE1_EE10hipError_tPvRmT2_T3_mT4_P12ihipStream_tbEUlT_E_NS1_11comp_targetILNS1_3genE3ELNS1_11target_archE908ELNS1_3gpuE7ELNS1_3repE0EEENS1_30default_config_static_selectorELNS0_4arch9wavefront6targetE0EEEvT1_
                                        ; -- End function
	.section	.AMDGPU.csdata,"",@progbits
; Kernel info:
; codeLenInByte = 0
; NumSgprs: 0
; NumVgprs: 0
; ScratchSize: 0
; MemoryBound: 0
; FloatMode: 240
; IeeeMode: 1
; LDSByteSize: 0 bytes/workgroup (compile time only)
; SGPRBlocks: 0
; VGPRBlocks: 0
; NumSGPRsForWavesPerEU: 1
; NumVGPRsForWavesPerEU: 1
; Occupancy: 16
; WaveLimiterHint : 0
; COMPUTE_PGM_RSRC2:SCRATCH_EN: 0
; COMPUTE_PGM_RSRC2:USER_SGPR: 15
; COMPUTE_PGM_RSRC2:TRAP_HANDLER: 0
; COMPUTE_PGM_RSRC2:TGID_X_EN: 1
; COMPUTE_PGM_RSRC2:TGID_Y_EN: 0
; COMPUTE_PGM_RSRC2:TGID_Z_EN: 0
; COMPUTE_PGM_RSRC2:TIDIG_COMP_CNT: 0
	.section	.text._ZN7rocprim17ROCPRIM_400000_NS6detail17trampoline_kernelINS0_14default_configENS1_35adjacent_difference_config_selectorILb1ElEEZNS1_24adjacent_difference_implIS3_Lb1ELb0EPlS7_ZN2at6native12_GLOBAL__N_124unique_dim_cuda_templateIlEESt5tupleIJNS8_6TensorESD_SD_EERKSD_lbbbEUlllE1_EE10hipError_tPvRmT2_T3_mT4_P12ihipStream_tbEUlT_E_NS1_11comp_targetILNS1_3genE2ELNS1_11target_archE906ELNS1_3gpuE6ELNS1_3repE0EEENS1_30default_config_static_selectorELNS0_4arch9wavefront6targetE0EEEvT1_,"axG",@progbits,_ZN7rocprim17ROCPRIM_400000_NS6detail17trampoline_kernelINS0_14default_configENS1_35adjacent_difference_config_selectorILb1ElEEZNS1_24adjacent_difference_implIS3_Lb1ELb0EPlS7_ZN2at6native12_GLOBAL__N_124unique_dim_cuda_templateIlEESt5tupleIJNS8_6TensorESD_SD_EERKSD_lbbbEUlllE1_EE10hipError_tPvRmT2_T3_mT4_P12ihipStream_tbEUlT_E_NS1_11comp_targetILNS1_3genE2ELNS1_11target_archE906ELNS1_3gpuE6ELNS1_3repE0EEENS1_30default_config_static_selectorELNS0_4arch9wavefront6targetE0EEEvT1_,comdat
	.globl	_ZN7rocprim17ROCPRIM_400000_NS6detail17trampoline_kernelINS0_14default_configENS1_35adjacent_difference_config_selectorILb1ElEEZNS1_24adjacent_difference_implIS3_Lb1ELb0EPlS7_ZN2at6native12_GLOBAL__N_124unique_dim_cuda_templateIlEESt5tupleIJNS8_6TensorESD_SD_EERKSD_lbbbEUlllE1_EE10hipError_tPvRmT2_T3_mT4_P12ihipStream_tbEUlT_E_NS1_11comp_targetILNS1_3genE2ELNS1_11target_archE906ELNS1_3gpuE6ELNS1_3repE0EEENS1_30default_config_static_selectorELNS0_4arch9wavefront6targetE0EEEvT1_ ; -- Begin function _ZN7rocprim17ROCPRIM_400000_NS6detail17trampoline_kernelINS0_14default_configENS1_35adjacent_difference_config_selectorILb1ElEEZNS1_24adjacent_difference_implIS3_Lb1ELb0EPlS7_ZN2at6native12_GLOBAL__N_124unique_dim_cuda_templateIlEESt5tupleIJNS8_6TensorESD_SD_EERKSD_lbbbEUlllE1_EE10hipError_tPvRmT2_T3_mT4_P12ihipStream_tbEUlT_E_NS1_11comp_targetILNS1_3genE2ELNS1_11target_archE906ELNS1_3gpuE6ELNS1_3repE0EEENS1_30default_config_static_selectorELNS0_4arch9wavefront6targetE0EEEvT1_
	.p2align	8
	.type	_ZN7rocprim17ROCPRIM_400000_NS6detail17trampoline_kernelINS0_14default_configENS1_35adjacent_difference_config_selectorILb1ElEEZNS1_24adjacent_difference_implIS3_Lb1ELb0EPlS7_ZN2at6native12_GLOBAL__N_124unique_dim_cuda_templateIlEESt5tupleIJNS8_6TensorESD_SD_EERKSD_lbbbEUlllE1_EE10hipError_tPvRmT2_T3_mT4_P12ihipStream_tbEUlT_E_NS1_11comp_targetILNS1_3genE2ELNS1_11target_archE906ELNS1_3gpuE6ELNS1_3repE0EEENS1_30default_config_static_selectorELNS0_4arch9wavefront6targetE0EEEvT1_,@function
_ZN7rocprim17ROCPRIM_400000_NS6detail17trampoline_kernelINS0_14default_configENS1_35adjacent_difference_config_selectorILb1ElEEZNS1_24adjacent_difference_implIS3_Lb1ELb0EPlS7_ZN2at6native12_GLOBAL__N_124unique_dim_cuda_templateIlEESt5tupleIJNS8_6TensorESD_SD_EERKSD_lbbbEUlllE1_EE10hipError_tPvRmT2_T3_mT4_P12ihipStream_tbEUlT_E_NS1_11comp_targetILNS1_3genE2ELNS1_11target_archE906ELNS1_3gpuE6ELNS1_3repE0EEENS1_30default_config_static_selectorELNS0_4arch9wavefront6targetE0EEEvT1_: ; @_ZN7rocprim17ROCPRIM_400000_NS6detail17trampoline_kernelINS0_14default_configENS1_35adjacent_difference_config_selectorILb1ElEEZNS1_24adjacent_difference_implIS3_Lb1ELb0EPlS7_ZN2at6native12_GLOBAL__N_124unique_dim_cuda_templateIlEESt5tupleIJNS8_6TensorESD_SD_EERKSD_lbbbEUlllE1_EE10hipError_tPvRmT2_T3_mT4_P12ihipStream_tbEUlT_E_NS1_11comp_targetILNS1_3genE2ELNS1_11target_archE906ELNS1_3gpuE6ELNS1_3repE0EEENS1_30default_config_static_selectorELNS0_4arch9wavefront6targetE0EEEvT1_
; %bb.0:
	.section	.rodata,"a",@progbits
	.p2align	6, 0x0
	.amdhsa_kernel _ZN7rocprim17ROCPRIM_400000_NS6detail17trampoline_kernelINS0_14default_configENS1_35adjacent_difference_config_selectorILb1ElEEZNS1_24adjacent_difference_implIS3_Lb1ELb0EPlS7_ZN2at6native12_GLOBAL__N_124unique_dim_cuda_templateIlEESt5tupleIJNS8_6TensorESD_SD_EERKSD_lbbbEUlllE1_EE10hipError_tPvRmT2_T3_mT4_P12ihipStream_tbEUlT_E_NS1_11comp_targetILNS1_3genE2ELNS1_11target_archE906ELNS1_3gpuE6ELNS1_3repE0EEENS1_30default_config_static_selectorELNS0_4arch9wavefront6targetE0EEEvT1_
		.amdhsa_group_segment_fixed_size 0
		.amdhsa_private_segment_fixed_size 0
		.amdhsa_kernarg_size 64
		.amdhsa_user_sgpr_count 15
		.amdhsa_user_sgpr_dispatch_ptr 0
		.amdhsa_user_sgpr_queue_ptr 0
		.amdhsa_user_sgpr_kernarg_segment_ptr 1
		.amdhsa_user_sgpr_dispatch_id 0
		.amdhsa_user_sgpr_private_segment_size 0
		.amdhsa_wavefront_size32 1
		.amdhsa_uses_dynamic_stack 0
		.amdhsa_enable_private_segment 0
		.amdhsa_system_sgpr_workgroup_id_x 1
		.amdhsa_system_sgpr_workgroup_id_y 0
		.amdhsa_system_sgpr_workgroup_id_z 0
		.amdhsa_system_sgpr_workgroup_info 0
		.amdhsa_system_vgpr_workitem_id 0
		.amdhsa_next_free_vgpr 1
		.amdhsa_next_free_sgpr 1
		.amdhsa_reserve_vcc 0
		.amdhsa_float_round_mode_32 0
		.amdhsa_float_round_mode_16_64 0
		.amdhsa_float_denorm_mode_32 3
		.amdhsa_float_denorm_mode_16_64 3
		.amdhsa_dx10_clamp 1
		.amdhsa_ieee_mode 1
		.amdhsa_fp16_overflow 0
		.amdhsa_workgroup_processor_mode 1
		.amdhsa_memory_ordered 1
		.amdhsa_forward_progress 0
		.amdhsa_shared_vgpr_count 0
		.amdhsa_exception_fp_ieee_invalid_op 0
		.amdhsa_exception_fp_denorm_src 0
		.amdhsa_exception_fp_ieee_div_zero 0
		.amdhsa_exception_fp_ieee_overflow 0
		.amdhsa_exception_fp_ieee_underflow 0
		.amdhsa_exception_fp_ieee_inexact 0
		.amdhsa_exception_int_div_zero 0
	.end_amdhsa_kernel
	.section	.text._ZN7rocprim17ROCPRIM_400000_NS6detail17trampoline_kernelINS0_14default_configENS1_35adjacent_difference_config_selectorILb1ElEEZNS1_24adjacent_difference_implIS3_Lb1ELb0EPlS7_ZN2at6native12_GLOBAL__N_124unique_dim_cuda_templateIlEESt5tupleIJNS8_6TensorESD_SD_EERKSD_lbbbEUlllE1_EE10hipError_tPvRmT2_T3_mT4_P12ihipStream_tbEUlT_E_NS1_11comp_targetILNS1_3genE2ELNS1_11target_archE906ELNS1_3gpuE6ELNS1_3repE0EEENS1_30default_config_static_selectorELNS0_4arch9wavefront6targetE0EEEvT1_,"axG",@progbits,_ZN7rocprim17ROCPRIM_400000_NS6detail17trampoline_kernelINS0_14default_configENS1_35adjacent_difference_config_selectorILb1ElEEZNS1_24adjacent_difference_implIS3_Lb1ELb0EPlS7_ZN2at6native12_GLOBAL__N_124unique_dim_cuda_templateIlEESt5tupleIJNS8_6TensorESD_SD_EERKSD_lbbbEUlllE1_EE10hipError_tPvRmT2_T3_mT4_P12ihipStream_tbEUlT_E_NS1_11comp_targetILNS1_3genE2ELNS1_11target_archE906ELNS1_3gpuE6ELNS1_3repE0EEENS1_30default_config_static_selectorELNS0_4arch9wavefront6targetE0EEEvT1_,comdat
.Lfunc_end560:
	.size	_ZN7rocprim17ROCPRIM_400000_NS6detail17trampoline_kernelINS0_14default_configENS1_35adjacent_difference_config_selectorILb1ElEEZNS1_24adjacent_difference_implIS3_Lb1ELb0EPlS7_ZN2at6native12_GLOBAL__N_124unique_dim_cuda_templateIlEESt5tupleIJNS8_6TensorESD_SD_EERKSD_lbbbEUlllE1_EE10hipError_tPvRmT2_T3_mT4_P12ihipStream_tbEUlT_E_NS1_11comp_targetILNS1_3genE2ELNS1_11target_archE906ELNS1_3gpuE6ELNS1_3repE0EEENS1_30default_config_static_selectorELNS0_4arch9wavefront6targetE0EEEvT1_, .Lfunc_end560-_ZN7rocprim17ROCPRIM_400000_NS6detail17trampoline_kernelINS0_14default_configENS1_35adjacent_difference_config_selectorILb1ElEEZNS1_24adjacent_difference_implIS3_Lb1ELb0EPlS7_ZN2at6native12_GLOBAL__N_124unique_dim_cuda_templateIlEESt5tupleIJNS8_6TensorESD_SD_EERKSD_lbbbEUlllE1_EE10hipError_tPvRmT2_T3_mT4_P12ihipStream_tbEUlT_E_NS1_11comp_targetILNS1_3genE2ELNS1_11target_archE906ELNS1_3gpuE6ELNS1_3repE0EEENS1_30default_config_static_selectorELNS0_4arch9wavefront6targetE0EEEvT1_
                                        ; -- End function
	.section	.AMDGPU.csdata,"",@progbits
; Kernel info:
; codeLenInByte = 0
; NumSgprs: 0
; NumVgprs: 0
; ScratchSize: 0
; MemoryBound: 0
; FloatMode: 240
; IeeeMode: 1
; LDSByteSize: 0 bytes/workgroup (compile time only)
; SGPRBlocks: 0
; VGPRBlocks: 0
; NumSGPRsForWavesPerEU: 1
; NumVGPRsForWavesPerEU: 1
; Occupancy: 16
; WaveLimiterHint : 0
; COMPUTE_PGM_RSRC2:SCRATCH_EN: 0
; COMPUTE_PGM_RSRC2:USER_SGPR: 15
; COMPUTE_PGM_RSRC2:TRAP_HANDLER: 0
; COMPUTE_PGM_RSRC2:TGID_X_EN: 1
; COMPUTE_PGM_RSRC2:TGID_Y_EN: 0
; COMPUTE_PGM_RSRC2:TGID_Z_EN: 0
; COMPUTE_PGM_RSRC2:TIDIG_COMP_CNT: 0
	.section	.text._ZN7rocprim17ROCPRIM_400000_NS6detail17trampoline_kernelINS0_14default_configENS1_35adjacent_difference_config_selectorILb1ElEEZNS1_24adjacent_difference_implIS3_Lb1ELb0EPlS7_ZN2at6native12_GLOBAL__N_124unique_dim_cuda_templateIlEESt5tupleIJNS8_6TensorESD_SD_EERKSD_lbbbEUlllE1_EE10hipError_tPvRmT2_T3_mT4_P12ihipStream_tbEUlT_E_NS1_11comp_targetILNS1_3genE9ELNS1_11target_archE1100ELNS1_3gpuE3ELNS1_3repE0EEENS1_30default_config_static_selectorELNS0_4arch9wavefront6targetE0EEEvT1_,"axG",@progbits,_ZN7rocprim17ROCPRIM_400000_NS6detail17trampoline_kernelINS0_14default_configENS1_35adjacent_difference_config_selectorILb1ElEEZNS1_24adjacent_difference_implIS3_Lb1ELb0EPlS7_ZN2at6native12_GLOBAL__N_124unique_dim_cuda_templateIlEESt5tupleIJNS8_6TensorESD_SD_EERKSD_lbbbEUlllE1_EE10hipError_tPvRmT2_T3_mT4_P12ihipStream_tbEUlT_E_NS1_11comp_targetILNS1_3genE9ELNS1_11target_archE1100ELNS1_3gpuE3ELNS1_3repE0EEENS1_30default_config_static_selectorELNS0_4arch9wavefront6targetE0EEEvT1_,comdat
	.globl	_ZN7rocprim17ROCPRIM_400000_NS6detail17trampoline_kernelINS0_14default_configENS1_35adjacent_difference_config_selectorILb1ElEEZNS1_24adjacent_difference_implIS3_Lb1ELb0EPlS7_ZN2at6native12_GLOBAL__N_124unique_dim_cuda_templateIlEESt5tupleIJNS8_6TensorESD_SD_EERKSD_lbbbEUlllE1_EE10hipError_tPvRmT2_T3_mT4_P12ihipStream_tbEUlT_E_NS1_11comp_targetILNS1_3genE9ELNS1_11target_archE1100ELNS1_3gpuE3ELNS1_3repE0EEENS1_30default_config_static_selectorELNS0_4arch9wavefront6targetE0EEEvT1_ ; -- Begin function _ZN7rocprim17ROCPRIM_400000_NS6detail17trampoline_kernelINS0_14default_configENS1_35adjacent_difference_config_selectorILb1ElEEZNS1_24adjacent_difference_implIS3_Lb1ELb0EPlS7_ZN2at6native12_GLOBAL__N_124unique_dim_cuda_templateIlEESt5tupleIJNS8_6TensorESD_SD_EERKSD_lbbbEUlllE1_EE10hipError_tPvRmT2_T3_mT4_P12ihipStream_tbEUlT_E_NS1_11comp_targetILNS1_3genE9ELNS1_11target_archE1100ELNS1_3gpuE3ELNS1_3repE0EEENS1_30default_config_static_selectorELNS0_4arch9wavefront6targetE0EEEvT1_
	.p2align	8
	.type	_ZN7rocprim17ROCPRIM_400000_NS6detail17trampoline_kernelINS0_14default_configENS1_35adjacent_difference_config_selectorILb1ElEEZNS1_24adjacent_difference_implIS3_Lb1ELb0EPlS7_ZN2at6native12_GLOBAL__N_124unique_dim_cuda_templateIlEESt5tupleIJNS8_6TensorESD_SD_EERKSD_lbbbEUlllE1_EE10hipError_tPvRmT2_T3_mT4_P12ihipStream_tbEUlT_E_NS1_11comp_targetILNS1_3genE9ELNS1_11target_archE1100ELNS1_3gpuE3ELNS1_3repE0EEENS1_30default_config_static_selectorELNS0_4arch9wavefront6targetE0EEEvT1_,@function
_ZN7rocprim17ROCPRIM_400000_NS6detail17trampoline_kernelINS0_14default_configENS1_35adjacent_difference_config_selectorILb1ElEEZNS1_24adjacent_difference_implIS3_Lb1ELb0EPlS7_ZN2at6native12_GLOBAL__N_124unique_dim_cuda_templateIlEESt5tupleIJNS8_6TensorESD_SD_EERKSD_lbbbEUlllE1_EE10hipError_tPvRmT2_T3_mT4_P12ihipStream_tbEUlT_E_NS1_11comp_targetILNS1_3genE9ELNS1_11target_archE1100ELNS1_3gpuE3ELNS1_3repE0EEENS1_30default_config_static_selectorELNS0_4arch9wavefront6targetE0EEEvT1_: ; @_ZN7rocprim17ROCPRIM_400000_NS6detail17trampoline_kernelINS0_14default_configENS1_35adjacent_difference_config_selectorILb1ElEEZNS1_24adjacent_difference_implIS3_Lb1ELb0EPlS7_ZN2at6native12_GLOBAL__N_124unique_dim_cuda_templateIlEESt5tupleIJNS8_6TensorESD_SD_EERKSD_lbbbEUlllE1_EE10hipError_tPvRmT2_T3_mT4_P12ihipStream_tbEUlT_E_NS1_11comp_targetILNS1_3genE9ELNS1_11target_archE1100ELNS1_3gpuE3ELNS1_3repE0EEENS1_30default_config_static_selectorELNS0_4arch9wavefront6targetE0EEEvT1_
; %bb.0:
	s_mov_b32 s22, s15
	s_load_b512 s[0:15], s[0:1], 0x0
	s_waitcnt lgkmcnt(0)
	s_lshl_b64 s[16:17], s[2:3], 3
	s_mov_b32 s2, 0x411a7a30
	s_add_u32 s27, s0, s16
	s_addc_u32 s28, s1, s17
	s_add_u32 s0, 0x76, s2
	s_addc_u32 s1, 0, 0
	v_add_co_u32 v1, s0, 0x20000000, s0
	s_delay_alu instid0(VALU_DEP_1) | instskip(SKIP_1) | instid1(VALU_DEP_1)
	s_cmp_lg_u32 s0, 0
	s_addc_u32 s1, s1, 0x11a7b9
	v_readfirstlane_b32 s0, v1
	s_mul_i32 s2, s1, 0xfffff180
	s_delay_alu instid0(VALU_DEP_1)
	s_mul_hi_u32 s3, s0, 0xfffff180
	s_mul_i32 s18, s0, 0xfffff180
	s_sub_i32 s3, s3, s0
	s_mul_hi_u32 s19, s0, s18
	s_add_i32 s3, s3, s2
	s_mul_hi_u32 s20, s1, s18
	s_mul_i32 s2, s1, s18
	s_mul_hi_u32 s18, s0, s3
	s_mul_i32 s0, s0, s3
	s_mul_hi_u32 s21, s1, s3
	s_add_u32 s0, s19, s0
	s_addc_u32 s18, 0, s18
	s_add_u32 s0, s0, s2
	s_mul_i32 s3, s1, s3
	s_addc_u32 s0, s18, s20
	s_addc_u32 s2, s21, 0
	s_add_u32 s0, s0, s3
	s_addc_u32 s2, 0, s2
	v_add_co_u32 v1, s0, v1, s0
	s_delay_alu instid0(VALU_DEP_1) | instskip(SKIP_1) | instid1(VALU_DEP_1)
	s_cmp_lg_u32 s0, 0
	s_addc_u32 s0, s1, s2
	v_readfirstlane_b32 s1, v1
	s_mul_i32 s3, s6, s0
	s_mul_hi_u32 s2, s6, s0
	s_mul_hi_u32 s18, s7, s0
	s_mul_i32 s0, s7, s0
	s_mul_hi_u32 s19, s6, s1
	s_mul_hi_u32 s20, s7, s1
	s_mul_i32 s1, s7, s1
	s_add_u32 s3, s19, s3
	s_addc_u32 s2, 0, s2
	s_add_u32 s1, s3, s1
	s_addc_u32 s1, s2, s20
	s_addc_u32 s2, s18, 0
	s_add_u32 s0, s1, s0
	s_addc_u32 s1, 0, s2
	s_mul_i32 s3, s0, 0xe80
	s_add_u32 s2, s0, 1
	v_sub_co_u32 v1, s3, s6, s3
	s_mul_hi_u32 s18, s0, 0xe80
	s_addc_u32 s19, s1, 0
	s_mul_i32 s20, s1, 0xe80
	s_delay_alu instid0(VALU_DEP_1)
	v_subrev_co_u32 v2, s21, 0xe80, v1
	s_add_u32 s23, s0, 2
	s_addc_u32 s24, s1, 0
	s_add_i32 s18, s18, s20
	s_cmp_lg_u32 s3, 0
	v_readfirstlane_b32 s3, v2
	s_subb_u32 s18, s7, s18
	s_cmp_lg_u32 s21, 0
	s_subb_u32 s20, s18, 0
	s_delay_alu instid0(VALU_DEP_1) | instskip(SKIP_4) | instid1(SALU_CYCLE_1)
	s_cmpk_gt_u32 s3, 0xe7f
	s_cselect_b32 s3, -1, 0
	s_cmp_eq_u32 s20, 0
	v_readfirstlane_b32 s20, v1
	s_cselect_b32 s3, s3, -1
	s_cmp_lg_u32 s3, 0
	s_cselect_b32 s2, s23, s2
	s_cselect_b32 s3, s24, s19
	s_cmpk_gt_u32 s20, 0xe7f
	s_mov_b32 s23, 0
	s_cselect_b32 s19, -1, 0
	s_cmp_eq_u32 s18, 0
	s_cselect_b32 s18, s19, -1
	s_delay_alu instid0(SALU_CYCLE_1)
	s_cmp_lg_u32 s18, 0
	s_cselect_b32 s3, s3, s1
	s_cselect_b32 s2, s2, s0
	s_mul_i32 s0, s3, 0xe80
	s_mul_hi_u32 s1, s2, 0xe80
	s_mul_i32 s18, s2, 0xe80
	s_add_i32 s1, s1, s0
	s_sub_u32 s0, s6, s18
	s_subb_u32 s1, s7, s1
	s_delay_alu instid0(SALU_CYCLE_1) | instskip(SKIP_1) | instid1(SALU_CYCLE_1)
	s_cmp_lg_u64 s[0:1], 0
	s_cselect_b32 s0, -1, 0
	v_cndmask_b32_e64 v1, 0, 1, s0
	s_delay_alu instid0(VALU_DEP_1) | instskip(NEXT) | instid1(VALU_DEP_1)
	v_readfirstlane_b32 s0, v1
	s_add_u32 s18, s2, s0
	s_addc_u32 s19, s3, 0
	s_add_u32 s20, s14, s22
	s_addc_u32 s21, s15, 0
	s_add_u32 s0, s18, -1
	s_addc_u32 s1, s19, -1
	s_mul_i32 s2, s22, 0xe80
	v_cmp_ge_u64_e64 s26, s[20:21], s[0:1]
	s_mov_b32 s3, -1
	s_mul_i32 s7, s0, 0xfffff180
	s_delay_alu instid0(VALU_DEP_1)
	s_and_b32 vcc_lo, exec_lo, s26
	s_cbranch_vccz .LBB561_60
; %bb.1:
	s_mov_b32 s3, s23
	s_add_i32 s29, s7, s6
	s_lshl_b64 s[24:25], s[2:3], 3
	s_mov_b32 s3, exec_lo
	s_add_u32 s24, s27, s24
	s_addc_u32 s25, s28, s25
                                        ; implicit-def: $vgpr1_vgpr2
	v_cmpx_gt_u32_e64 s29, v0
	s_cbranch_execz .LBB561_3
; %bb.2:
	v_lshlrev_b32_e32 v1, 3, v0
	global_load_b64 v[1:2], v1, s[24:25]
.LBB561_3:
	s_or_b32 exec_lo, exec_lo, s3
	v_or_b32_e32 v3, 0x80, v0
	s_delay_alu instid0(VALU_DEP_1)
	v_cmp_gt_u32_e32 vcc_lo, s29, v3
                                        ; implicit-def: $vgpr3_vgpr4
	s_and_saveexec_b32 s3, vcc_lo
	s_cbranch_execz .LBB561_5
; %bb.4:
	v_lshlrev_b32_e32 v3, 3, v0
	global_load_b64 v[3:4], v3, s[24:25] offset:1024
.LBB561_5:
	s_or_b32 exec_lo, exec_lo, s3
	v_or_b32_e32 v5, 0x100, v0
	s_delay_alu instid0(VALU_DEP_1)
	v_cmp_gt_u32_e32 vcc_lo, s29, v5
                                        ; implicit-def: $vgpr5_vgpr6
	s_and_saveexec_b32 s3, vcc_lo
	s_cbranch_execz .LBB561_7
; %bb.6:
	v_lshlrev_b32_e32 v5, 3, v0
	global_load_b64 v[5:6], v5, s[24:25] offset:2048
.LBB561_7:
	s_or_b32 exec_lo, exec_lo, s3
	v_or_b32_e32 v7, 0x180, v0
	s_delay_alu instid0(VALU_DEP_1)
	v_cmp_gt_u32_e32 vcc_lo, s29, v7
                                        ; implicit-def: $vgpr7_vgpr8
	s_and_saveexec_b32 s3, vcc_lo
	s_cbranch_execz .LBB561_9
; %bb.8:
	v_lshlrev_b32_e32 v7, 3, v0
	global_load_b64 v[7:8], v7, s[24:25] offset:3072
.LBB561_9:
	s_or_b32 exec_lo, exec_lo, s3
	v_or_b32_e32 v11, 0x200, v0
	s_mov_b32 s3, exec_lo
                                        ; implicit-def: $vgpr9_vgpr10
	s_delay_alu instid0(VALU_DEP_1)
	v_cmpx_gt_u32_e64 s29, v11
	s_cbranch_execz .LBB561_11
; %bb.10:
	v_lshlrev_b32_e32 v9, 3, v11
	global_load_b64 v[9:10], v9, s[24:25]
.LBB561_11:
	s_or_b32 exec_lo, exec_lo, s3
	v_or_b32_e32 v13, 0x280, v0
	s_mov_b32 s3, exec_lo
                                        ; implicit-def: $vgpr11_vgpr12
	s_delay_alu instid0(VALU_DEP_1)
	v_cmpx_gt_u32_e64 s29, v13
	s_cbranch_execz .LBB561_13
; %bb.12:
	v_lshlrev_b32_e32 v11, 3, v13
	global_load_b64 v[11:12], v11, s[24:25]
.LBB561_13:
	s_or_b32 exec_lo, exec_lo, s3
	v_or_b32_e32 v15, 0x300, v0
	s_mov_b32 s3, exec_lo
                                        ; implicit-def: $vgpr13_vgpr14
	s_delay_alu instid0(VALU_DEP_1)
	v_cmpx_gt_u32_e64 s29, v15
	s_cbranch_execz .LBB561_15
; %bb.14:
	v_lshlrev_b32_e32 v13, 3, v15
	global_load_b64 v[13:14], v13, s[24:25]
.LBB561_15:
	s_or_b32 exec_lo, exec_lo, s3
	v_or_b32_e32 v17, 0x380, v0
	s_mov_b32 s3, exec_lo
                                        ; implicit-def: $vgpr15_vgpr16
	s_delay_alu instid0(VALU_DEP_1)
	v_cmpx_gt_u32_e64 s29, v17
	s_cbranch_execz .LBB561_17
; %bb.16:
	v_lshlrev_b32_e32 v15, 3, v17
	global_load_b64 v[15:16], v15, s[24:25]
.LBB561_17:
	s_or_b32 exec_lo, exec_lo, s3
	v_or_b32_e32 v19, 0x400, v0
	s_mov_b32 s3, exec_lo
                                        ; implicit-def: $vgpr17_vgpr18
	s_delay_alu instid0(VALU_DEP_1)
	v_cmpx_gt_u32_e64 s29, v19
	s_cbranch_execz .LBB561_19
; %bb.18:
	v_lshlrev_b32_e32 v17, 3, v19
	global_load_b64 v[17:18], v17, s[24:25]
.LBB561_19:
	s_or_b32 exec_lo, exec_lo, s3
	v_or_b32_e32 v21, 0x480, v0
	s_mov_b32 s3, exec_lo
                                        ; implicit-def: $vgpr19_vgpr20
	s_delay_alu instid0(VALU_DEP_1)
	v_cmpx_gt_u32_e64 s29, v21
	s_cbranch_execz .LBB561_21
; %bb.20:
	v_lshlrev_b32_e32 v19, 3, v21
	global_load_b64 v[19:20], v19, s[24:25]
.LBB561_21:
	s_or_b32 exec_lo, exec_lo, s3
	v_or_b32_e32 v23, 0x500, v0
	s_mov_b32 s3, exec_lo
                                        ; implicit-def: $vgpr21_vgpr22
	s_delay_alu instid0(VALU_DEP_1)
	v_cmpx_gt_u32_e64 s29, v23
	s_cbranch_execz .LBB561_23
; %bb.22:
	v_lshlrev_b32_e32 v21, 3, v23
	global_load_b64 v[21:22], v21, s[24:25]
.LBB561_23:
	s_or_b32 exec_lo, exec_lo, s3
	v_or_b32_e32 v25, 0x580, v0
	s_mov_b32 s3, exec_lo
                                        ; implicit-def: $vgpr23_vgpr24
	s_delay_alu instid0(VALU_DEP_1)
	v_cmpx_gt_u32_e64 s29, v25
	s_cbranch_execz .LBB561_25
; %bb.24:
	v_lshlrev_b32_e32 v23, 3, v25
	global_load_b64 v[23:24], v23, s[24:25]
.LBB561_25:
	s_or_b32 exec_lo, exec_lo, s3
	v_or_b32_e32 v27, 0x600, v0
	s_mov_b32 s3, exec_lo
                                        ; implicit-def: $vgpr25_vgpr26
	s_delay_alu instid0(VALU_DEP_1)
	v_cmpx_gt_u32_e64 s29, v27
	s_cbranch_execz .LBB561_27
; %bb.26:
	v_lshlrev_b32_e32 v25, 3, v27
	global_load_b64 v[25:26], v25, s[24:25]
.LBB561_27:
	s_or_b32 exec_lo, exec_lo, s3
	v_or_b32_e32 v29, 0x680, v0
	s_mov_b32 s3, exec_lo
                                        ; implicit-def: $vgpr27_vgpr28
	s_delay_alu instid0(VALU_DEP_1)
	v_cmpx_gt_u32_e64 s29, v29
	s_cbranch_execz .LBB561_29
; %bb.28:
	v_lshlrev_b32_e32 v27, 3, v29
	global_load_b64 v[27:28], v27, s[24:25]
.LBB561_29:
	s_or_b32 exec_lo, exec_lo, s3
	v_or_b32_e32 v31, 0x700, v0
	s_mov_b32 s3, exec_lo
                                        ; implicit-def: $vgpr29_vgpr30
	s_delay_alu instid0(VALU_DEP_1)
	v_cmpx_gt_u32_e64 s29, v31
	s_cbranch_execz .LBB561_31
; %bb.30:
	v_lshlrev_b32_e32 v29, 3, v31
	global_load_b64 v[29:30], v29, s[24:25]
.LBB561_31:
	s_or_b32 exec_lo, exec_lo, s3
	v_or_b32_e32 v33, 0x780, v0
	s_mov_b32 s3, exec_lo
                                        ; implicit-def: $vgpr31_vgpr32
	s_delay_alu instid0(VALU_DEP_1)
	v_cmpx_gt_u32_e64 s29, v33
	s_cbranch_execz .LBB561_33
; %bb.32:
	v_lshlrev_b32_e32 v31, 3, v33
	global_load_b64 v[31:32], v31, s[24:25]
.LBB561_33:
	s_or_b32 exec_lo, exec_lo, s3
	v_or_b32_e32 v35, 0x800, v0
	s_mov_b32 s3, exec_lo
                                        ; implicit-def: $vgpr33_vgpr34
	s_delay_alu instid0(VALU_DEP_1)
	v_cmpx_gt_u32_e64 s29, v35
	s_cbranch_execz .LBB561_35
; %bb.34:
	v_lshlrev_b32_e32 v33, 3, v35
	global_load_b64 v[33:34], v33, s[24:25]
.LBB561_35:
	s_or_b32 exec_lo, exec_lo, s3
	v_or_b32_e32 v37, 0x880, v0
	s_mov_b32 s3, exec_lo
                                        ; implicit-def: $vgpr35_vgpr36
	s_delay_alu instid0(VALU_DEP_1)
	v_cmpx_gt_u32_e64 s29, v37
	s_cbranch_execz .LBB561_37
; %bb.36:
	v_lshlrev_b32_e32 v35, 3, v37
	global_load_b64 v[35:36], v35, s[24:25]
.LBB561_37:
	s_or_b32 exec_lo, exec_lo, s3
	v_or_b32_e32 v39, 0x900, v0
	s_mov_b32 s3, exec_lo
                                        ; implicit-def: $vgpr37_vgpr38
	s_delay_alu instid0(VALU_DEP_1)
	v_cmpx_gt_u32_e64 s29, v39
	s_cbranch_execz .LBB561_39
; %bb.38:
	v_lshlrev_b32_e32 v37, 3, v39
	global_load_b64 v[37:38], v37, s[24:25]
.LBB561_39:
	s_or_b32 exec_lo, exec_lo, s3
	v_or_b32_e32 v41, 0x980, v0
	s_mov_b32 s3, exec_lo
                                        ; implicit-def: $vgpr39_vgpr40
	s_delay_alu instid0(VALU_DEP_1)
	v_cmpx_gt_u32_e64 s29, v41
	s_cbranch_execz .LBB561_41
; %bb.40:
	v_lshlrev_b32_e32 v39, 3, v41
	global_load_b64 v[39:40], v39, s[24:25]
.LBB561_41:
	s_or_b32 exec_lo, exec_lo, s3
	v_or_b32_e32 v43, 0xa00, v0
	s_mov_b32 s3, exec_lo
                                        ; implicit-def: $vgpr41_vgpr42
	s_delay_alu instid0(VALU_DEP_1)
	v_cmpx_gt_u32_e64 s29, v43
	s_cbranch_execz .LBB561_43
; %bb.42:
	v_lshlrev_b32_e32 v41, 3, v43
	global_load_b64 v[41:42], v41, s[24:25]
.LBB561_43:
	s_or_b32 exec_lo, exec_lo, s3
	v_or_b32_e32 v45, 0xa80, v0
	s_mov_b32 s3, exec_lo
                                        ; implicit-def: $vgpr43_vgpr44
	s_delay_alu instid0(VALU_DEP_1)
	v_cmpx_gt_u32_e64 s29, v45
	s_cbranch_execz .LBB561_45
; %bb.44:
	v_lshlrev_b32_e32 v43, 3, v45
	global_load_b64 v[43:44], v43, s[24:25]
.LBB561_45:
	s_or_b32 exec_lo, exec_lo, s3
	v_or_b32_e32 v47, 0xb00, v0
	s_mov_b32 s3, exec_lo
                                        ; implicit-def: $vgpr45_vgpr46
	s_delay_alu instid0(VALU_DEP_1)
	v_cmpx_gt_u32_e64 s29, v47
	s_cbranch_execz .LBB561_47
; %bb.46:
	v_lshlrev_b32_e32 v45, 3, v47
	global_load_b64 v[45:46], v45, s[24:25]
.LBB561_47:
	s_or_b32 exec_lo, exec_lo, s3
	v_or_b32_e32 v49, 0xb80, v0
	s_mov_b32 s3, exec_lo
                                        ; implicit-def: $vgpr47_vgpr48
	s_delay_alu instid0(VALU_DEP_1)
	v_cmpx_gt_u32_e64 s29, v49
	s_cbranch_execz .LBB561_49
; %bb.48:
	v_lshlrev_b32_e32 v47, 3, v49
	global_load_b64 v[47:48], v47, s[24:25]
.LBB561_49:
	s_or_b32 exec_lo, exec_lo, s3
	v_or_b32_e32 v51, 0xc00, v0
	s_mov_b32 s3, exec_lo
                                        ; implicit-def: $vgpr49_vgpr50
	s_delay_alu instid0(VALU_DEP_1)
	v_cmpx_gt_u32_e64 s29, v51
	s_cbranch_execz .LBB561_51
; %bb.50:
	v_lshlrev_b32_e32 v49, 3, v51
	global_load_b64 v[49:50], v49, s[24:25]
.LBB561_51:
	s_or_b32 exec_lo, exec_lo, s3
	v_or_b32_e32 v53, 0xc80, v0
	s_mov_b32 s3, exec_lo
                                        ; implicit-def: $vgpr51_vgpr52
	s_delay_alu instid0(VALU_DEP_1)
	v_cmpx_gt_u32_e64 s29, v53
	s_cbranch_execz .LBB561_53
; %bb.52:
	v_lshlrev_b32_e32 v51, 3, v53
	global_load_b64 v[51:52], v51, s[24:25]
.LBB561_53:
	s_or_b32 exec_lo, exec_lo, s3
	v_or_b32_e32 v55, 0xd00, v0
	s_mov_b32 s3, exec_lo
                                        ; implicit-def: $vgpr53_vgpr54
	s_delay_alu instid0(VALU_DEP_1)
	v_cmpx_gt_u32_e64 s29, v55
	s_cbranch_execz .LBB561_55
; %bb.54:
	v_lshlrev_b32_e32 v53, 3, v55
	global_load_b64 v[53:54], v53, s[24:25]
.LBB561_55:
	s_or_b32 exec_lo, exec_lo, s3
	v_or_b32_e32 v57, 0xd80, v0
	s_mov_b32 s3, exec_lo
                                        ; implicit-def: $vgpr55_vgpr56
	s_delay_alu instid0(VALU_DEP_1)
	v_cmpx_gt_u32_e64 s29, v57
	s_cbranch_execz .LBB561_57
; %bb.56:
	v_lshlrev_b32_e32 v55, 3, v57
	global_load_b64 v[55:56], v55, s[24:25]
.LBB561_57:
	s_or_b32 exec_lo, exec_lo, s3
	v_or_b32_e32 v59, 0xe00, v0
	s_mov_b32 s3, exec_lo
                                        ; implicit-def: $vgpr57_vgpr58
	s_delay_alu instid0(VALU_DEP_1)
	v_cmpx_gt_u32_e64 s29, v59
	s_cbranch_execz .LBB561_59
; %bb.58:
	v_lshlrev_b32_e32 v57, 3, v59
	global_load_b64 v[57:58], v57, s[24:25]
.LBB561_59:
	s_or_b32 exec_lo, exec_lo, s3
	v_lshlrev_b32_e32 v59, 3, v0
	s_mov_b32 s3, 0
	s_waitcnt vmcnt(0)
	ds_store_2addr_stride64_b64 v59, v[1:2], v[3:4] offset1:2
	ds_store_2addr_stride64_b64 v59, v[5:6], v[7:8] offset0:4 offset1:6
	ds_store_2addr_stride64_b64 v59, v[9:10], v[11:12] offset0:8 offset1:10
	;; [unrolled: 1-line block ×13, first 2 shown]
	ds_store_b64 v59, v[57:58] offset:28672
	s_waitcnt lgkmcnt(0)
	s_barrier
.LBB561_60:
	v_lshlrev_b32_e32 v195, 3, v0
	s_and_b32 vcc_lo, exec_lo, s3
	s_cbranch_vccz .LBB561_62
; %bb.61:
	s_mov_b32 s3, 0
	s_delay_alu instid0(SALU_CYCLE_1) | instskip(NEXT) | instid1(SALU_CYCLE_1)
	s_lshl_b64 s[24:25], s[2:3], 3
	s_add_u32 s24, s27, s24
	s_addc_u32 s25, s28, s25
	v_add_co_u32 v49, s3, s24, v195
	s_delay_alu instid0(VALU_DEP_1)
	v_add_co_ci_u32_e64 v50, null, s25, 0, s3
	s_clause 0x3
	global_load_b64 v[1:2], v195, s[24:25]
	global_load_b64 v[3:4], v195, s[24:25] offset:1024
	global_load_b64 v[5:6], v195, s[24:25] offset:2048
	;; [unrolled: 1-line block ×3, first 2 shown]
	v_add_co_u32 v9, vcc_lo, 0x1000, v49
	v_add_co_ci_u32_e32 v10, vcc_lo, 0, v50, vcc_lo
	v_add_co_u32 v11, vcc_lo, v49, 0x2000
	v_add_co_ci_u32_e32 v12, vcc_lo, 0, v50, vcc_lo
	v_add_co_u32 v13, vcc_lo, 0x2000, v49
	v_add_co_ci_u32_e32 v14, vcc_lo, 0, v50, vcc_lo
	v_add_co_u32 v23, vcc_lo, 0x3000, v49
	v_add_co_ci_u32_e32 v24, vcc_lo, 0, v50, vcc_lo
	v_add_co_u32 v25, vcc_lo, v49, 0x4000
	v_add_co_ci_u32_e32 v26, vcc_lo, 0, v50, vcc_lo
	v_add_co_u32 v27, vcc_lo, 0x4000, v49
	v_add_co_ci_u32_e32 v28, vcc_lo, 0, v50, vcc_lo
	v_add_co_u32 v39, vcc_lo, v49, 0x6000
	v_add_co_ci_u32_e32 v40, vcc_lo, 0, v50, vcc_lo
	v_add_co_u32 v41, vcc_lo, 0x5000, v49
	v_add_co_ci_u32_e32 v42, vcc_lo, 0, v50, vcc_lo
	v_add_co_u32 v47, vcc_lo, 0x6000, v49
	v_add_co_ci_u32_e32 v48, vcc_lo, 0, v50, vcc_lo
	v_add_co_u32 v49, vcc_lo, 0x7000, v49
	v_add_co_ci_u32_e32 v50, vcc_lo, 0, v50, vcc_lo
	s_clause 0x18
	global_load_b64 v[15:16], v[11:12], off offset:-4096
	global_load_b64 v[17:18], v[9:10], off offset:1024
	global_load_b64 v[19:20], v[9:10], off offset:2048
	;; [unrolled: 1-line block ×12, first 2 shown]
	global_load_b64 v[11:12], v[11:12], off
	global_load_b64 v[43:44], v[25:26], off offset:-4096
	global_load_b64 v[25:26], v[25:26], off
	global_load_b64 v[45:46], v[39:40], off offset:-4096
	global_load_b64 v[39:40], v[39:40], off
	global_load_b64 v[51:52], v[41:42], off offset:1024
	global_load_b64 v[53:54], v[41:42], off offset:2048
	;; [unrolled: 1-line block ×6, first 2 shown]
	global_load_b64 v[49:50], v[49:50], off
	s_waitcnt vmcnt(27)
	ds_store_2addr_stride64_b64 v195, v[1:2], v[3:4] offset1:2
	s_waitcnt vmcnt(25)
	ds_store_2addr_stride64_b64 v195, v[5:6], v[7:8] offset0:4 offset1:6
	s_waitcnt vmcnt(23)
	ds_store_2addr_stride64_b64 v195, v[15:16], v[17:18] offset0:8 offset1:10
	;; [unrolled: 2-line block ×4, first 2 shown]
	ds_store_2addr_stride64_b64 v195, v[29:30], v[13:14] offset0:20 offset1:22
	s_waitcnt vmcnt(10)
	ds_store_2addr_stride64_b64 v195, v[43:44], v[31:32] offset0:24 offset1:26
	ds_store_2addr_stride64_b64 v195, v[33:34], v[23:24] offset0:28 offset1:30
	s_waitcnt vmcnt(9)
	ds_store_2addr_stride64_b64 v195, v[25:26], v[35:36] offset0:32 offset1:34
	;; [unrolled: 3-line block ×3, first 2 shown]
	s_waitcnt vmcnt(4)
	ds_store_2addr_stride64_b64 v195, v[53:54], v[41:42] offset0:44 offset1:46
	s_waitcnt vmcnt(3)
	ds_store_2addr_stride64_b64 v195, v[39:40], v[55:56] offset0:48 offset1:50
	;; [unrolled: 2-line block ×3, first 2 shown]
	s_waitcnt vmcnt(0)
	ds_store_b64 v195, v[49:50] offset:28672
	s_waitcnt lgkmcnt(0)
	s_barrier
.LBB561_62:
	v_mul_u32_u24_e32 v1, 29, v0
	buffer_gl0_inv
	s_cmp_eq_u64 s[20:21], 0
	v_lshlrev_b32_e32 v53, 3, v1
	ds_load_b64 v[109:110], v53 offset:224
	ds_load_2addr_b64 v[5:8], v53 offset0:26 offset1:27
	ds_load_2addr_b64 v[9:12], v53 offset0:24 offset1:25
	ds_load_2addr_b64 v[1:4], v53 offset1:1
	ds_load_2addr_b64 v[13:16], v53 offset0:2 offset1:3
	ds_load_2addr_b64 v[17:20], v53 offset0:4 offset1:5
	;; [unrolled: 1-line block ×11, first 2 shown]
	s_waitcnt lgkmcnt(0)
	s_barrier
	buffer_gl0_inv
	s_cbranch_scc1 .LBB561_71
; %bb.63:
	s_lshl_b64 s[14:15], s[14:15], 3
	s_delay_alu instid0(SALU_CYCLE_1) | instskip(SKIP_2) | instid1(SALU_CYCLE_1)
	s_add_u32 s3, s12, s14
	s_addc_u32 s14, s13, s15
	s_lshl_b64 s[12:13], s[22:23], 3
	s_add_u32 s3, s3, s12
	s_addc_u32 s13, s14, s13
	s_add_u32 s12, s3, -8
	s_addc_u32 s13, s13, -1
	s_cmp_lg_u64 s[20:21], s[0:1]
	s_load_b64 s[12:13], s[12:13], 0x0
	s_cbranch_scc0 .LBB561_72
; %bb.64:
	v_mul_lo_u32 v59, v8, s8
	v_mul_lo_u32 v60, v7, s9
	v_mad_u64_u32 v[57:58], null, v7, s8, 0
	v_mov_b32_e32 v113, 0
	v_mov_b32_e32 v114, 0
	v_cmp_lt_i64_e64 s0, s[8:9], 1
	v_cmp_gt_i64_e64 s1, s[8:9], 0
	s_delay_alu instid0(VALU_DEP_4) | instskip(SKIP_4) | instid1(VALU_DEP_1)
	v_mov_b32_e32 v111, v113
	ds_store_b64 v195, v[109:110]
	v_mov_b32_e32 v112, v114
	v_add3_u32 v58, v58, v60, v59
	s_and_b32 vcc_lo, exec_lo, s0
	v_lshlrev_b64 v[57:58], 3, v[57:58]
	s_cbranch_vccnz .LBB561_76
; %bb.65:
	v_mul_lo_u32 v61, v110, s8
	v_mul_lo_u32 v62, v109, s9
	v_mad_u64_u32 v[59:60], null, v109, s8, 0
	v_mov_b32_e32 v111, 1
	v_mov_b32_e32 v112, 0
	s_mov_b32 s3, exec_lo
	s_delay_alu instid0(VALU_DEP_3) | instskip(NEXT) | instid1(VALU_DEP_1)
	v_add3_u32 v60, v60, v62, v61
	v_lshlrev_b64 v[59:60], 3, v[59:60]
	s_delay_alu instid0(VALU_DEP_1) | instskip(NEXT) | instid1(VALU_DEP_2)
	v_add_co_u32 v61, vcc_lo, s10, v59
	v_add_co_ci_u32_e32 v62, vcc_lo, s11, v60, vcc_lo
	v_add_co_u32 v59, vcc_lo, s10, v57
	v_add_co_ci_u32_e32 v60, vcc_lo, s11, v58, vcc_lo
	s_clause 0x1
	global_load_b64 v[63:64], v[61:62], off
	global_load_b64 v[65:66], v[59:60], off
	s_waitcnt vmcnt(0)
	v_cmpx_eq_u64_e64 v[63:64], v[65:66]
	s_cbranch_execz .LBB561_75
; %bb.66:
	v_add_co_u32 v59, vcc_lo, v59, 8
	v_add_co_ci_u32_e32 v60, vcc_lo, 0, v60, vcc_lo
	v_add_co_u32 v61, vcc_lo, v61, 8
	v_add_co_ci_u32_e32 v62, vcc_lo, 0, v62, vcc_lo
	s_add_u32 s14, s8, -1
	s_addc_u32 s15, s9, -1
	s_mov_b64 s[22:23], 0
	s_mov_b32 s21, 0
                                        ; implicit-def: $sgpr24
	s_set_inst_prefetch_distance 0x1
	s_branch .LBB561_69
	.p2align	6
.LBB561_67:                             ;   in Loop: Header=BB561_69 Depth=1
	global_load_b64 v[63:64], v[61:62], off
	global_load_b64 v[65:66], v[59:60], off
	v_add_co_u32 v59, vcc_lo, v59, 8
	v_add_co_ci_u32_e32 v60, vcc_lo, 0, v60, vcc_lo
	v_add_co_u32 v61, s0, v61, 8
	s_delay_alu instid0(VALU_DEP_1)
	v_add_co_ci_u32_e64 v62, s0, 0, v62, s0
	s_add_u32 s22, s22, 1
	s_addc_u32 s23, s23, 0
	s_and_not1_b32 s0, s24, exec_lo
	s_waitcnt vmcnt(0)
	v_cmp_ne_u64_e32 vcc_lo, v[63:64], v[65:66]
	s_and_b32 s24, vcc_lo, exec_lo
	s_delay_alu instid0(SALU_CYCLE_1)
	s_or_b32 s24, s0, s24
.LBB561_68:                             ;   in Loop: Header=BB561_69 Depth=1
	v_dual_mov_b32 v64, s23 :: v_dual_mov_b32 v63, s22
	s_and_b32 s0, exec_lo, s24
	s_delay_alu instid0(SALU_CYCLE_1) | instskip(NEXT) | instid1(SALU_CYCLE_1)
	s_or_b32 s21, s0, s21
	s_and_not1_b32 exec_lo, exec_lo, s21
	s_cbranch_execz .LBB561_74
.LBB561_69:                             ; =>This Inner Loop Header: Depth=1
	s_or_b32 s24, s24, exec_lo
	s_cmp_eq_u64 s[14:15], s[22:23]
	s_cbranch_scc0 .LBB561_67
; %bb.70:                               ;   in Loop: Header=BB561_69 Depth=1
	s_mov_b64 s[22:23], s[8:9]
                                        ; implicit-def: $vgpr59_vgpr60
                                        ; implicit-def: $vgpr61_vgpr62
	s_branch .LBB561_68
.LBB561_71:
	s_mov_b32 s1, 0
                                        ; implicit-def: $sgpr0
                                        ; implicit-def: $vgpr165_vgpr166
                                        ; implicit-def: $vgpr163_vgpr164
                                        ; implicit-def: $vgpr161_vgpr162
                                        ; implicit-def: $vgpr159_vgpr160
                                        ; implicit-def: $vgpr157_vgpr158
                                        ; implicit-def: $vgpr155_vgpr156
                                        ; implicit-def: $vgpr153_vgpr154
                                        ; implicit-def: $vgpr151_vgpr152
                                        ; implicit-def: $vgpr149_vgpr150
                                        ; implicit-def: $vgpr147_vgpr148
                                        ; implicit-def: $vgpr145_vgpr146
                                        ; implicit-def: $vgpr143_vgpr144
                                        ; implicit-def: $vgpr141_vgpr142
                                        ; implicit-def: $vgpr139_vgpr140
                                        ; implicit-def: $vgpr137_vgpr138
                                        ; implicit-def: $vgpr135_vgpr136
                                        ; implicit-def: $vgpr133_vgpr134
                                        ; implicit-def: $vgpr131_vgpr132
                                        ; implicit-def: $vgpr129_vgpr130
                                        ; implicit-def: $vgpr127_vgpr128
                                        ; implicit-def: $vgpr125_vgpr126
                                        ; implicit-def: $vgpr123_vgpr124
                                        ; implicit-def: $vgpr121_vgpr122
                                        ; implicit-def: $vgpr119_vgpr120
                                        ; implicit-def: $vgpr117_vgpr118
                                        ; implicit-def: $vgpr113_vgpr114
                                        ; implicit-def: $vgpr115_vgpr116
                                        ; implicit-def: $vgpr111_vgpr112
                                        ; implicit-def: $vgpr181_vgpr182
                                        ; implicit-def: $vgpr167_vgpr168
                                        ; implicit-def: $vgpr169_vgpr170
                                        ; implicit-def: $vgpr171_vgpr172
                                        ; implicit-def: $vgpr173_vgpr174
                                        ; implicit-def: $vgpr175_vgpr176
                                        ; implicit-def: $vgpr177_vgpr178
                                        ; implicit-def: $vgpr179_vgpr180
                                        ; implicit-def: $vgpr183_vgpr184
                                        ; implicit-def: $vgpr185_vgpr186
                                        ; implicit-def: $vgpr187_vgpr188
                                        ; implicit-def: $vgpr189_vgpr190
                                        ; implicit-def: $vgpr191_vgpr192
                                        ; implicit-def: $vgpr193_vgpr194
                                        ; implicit-def: $vgpr57_vgpr58_vgpr59_vgpr60
                                        ; implicit-def: $vgpr61_vgpr62_vgpr63_vgpr64
                                        ; implicit-def: $vgpr65_vgpr66_vgpr67_vgpr68
                                        ; implicit-def: $vgpr69_vgpr70_vgpr71_vgpr72
                                        ; implicit-def: $vgpr73_vgpr74_vgpr75_vgpr76
                                        ; implicit-def: $vgpr77_vgpr78_vgpr79_vgpr80
                                        ; implicit-def: $vgpr81_vgpr82_vgpr83_vgpr84
                                        ; implicit-def: $vgpr85_vgpr86_vgpr87_vgpr88
                                        ; implicit-def: $vgpr89_vgpr90_vgpr91_vgpr92
                                        ; implicit-def: $vgpr93_vgpr94_vgpr95_vgpr96
                                        ; implicit-def: $vgpr97_vgpr98_vgpr99_vgpr100
                                        ; implicit-def: $vgpr101_vgpr102_vgpr103_vgpr104
                                        ; implicit-def: $vgpr105_vgpr106_vgpr107_vgpr108
	s_cbranch_execnz .LBB561_655
	s_branch .LBB561_1243
.LBB561_72:
	s_mov_b32 s1, 0
                                        ; implicit-def: $sgpr0
                                        ; implicit-def: $vgpr165_vgpr166
                                        ; implicit-def: $vgpr163_vgpr164
                                        ; implicit-def: $vgpr161_vgpr162
                                        ; implicit-def: $vgpr159_vgpr160
                                        ; implicit-def: $vgpr157_vgpr158
                                        ; implicit-def: $vgpr155_vgpr156
                                        ; implicit-def: $vgpr153_vgpr154
                                        ; implicit-def: $vgpr151_vgpr152
                                        ; implicit-def: $vgpr149_vgpr150
                                        ; implicit-def: $vgpr147_vgpr148
                                        ; implicit-def: $vgpr145_vgpr146
                                        ; implicit-def: $vgpr143_vgpr144
                                        ; implicit-def: $vgpr141_vgpr142
                                        ; implicit-def: $vgpr139_vgpr140
                                        ; implicit-def: $vgpr137_vgpr138
                                        ; implicit-def: $vgpr135_vgpr136
                                        ; implicit-def: $vgpr133_vgpr134
                                        ; implicit-def: $vgpr131_vgpr132
                                        ; implicit-def: $vgpr129_vgpr130
                                        ; implicit-def: $vgpr127_vgpr128
                                        ; implicit-def: $vgpr125_vgpr126
                                        ; implicit-def: $vgpr123_vgpr124
                                        ; implicit-def: $vgpr121_vgpr122
                                        ; implicit-def: $vgpr119_vgpr120
                                        ; implicit-def: $vgpr117_vgpr118
                                        ; implicit-def: $vgpr113_vgpr114
                                        ; implicit-def: $vgpr115_vgpr116
                                        ; implicit-def: $vgpr111_vgpr112
	s_cbranch_execnz .LBB561_332
.LBB561_73:
                                        ; implicit-def: $vgpr181_vgpr182
                                        ; implicit-def: $vgpr167_vgpr168
                                        ; implicit-def: $vgpr169_vgpr170
                                        ; implicit-def: $vgpr171_vgpr172
                                        ; implicit-def: $vgpr173_vgpr174
                                        ; implicit-def: $vgpr175_vgpr176
                                        ; implicit-def: $vgpr177_vgpr178
                                        ; implicit-def: $vgpr179_vgpr180
                                        ; implicit-def: $vgpr183_vgpr184
                                        ; implicit-def: $vgpr185_vgpr186
                                        ; implicit-def: $vgpr187_vgpr188
                                        ; implicit-def: $vgpr189_vgpr190
                                        ; implicit-def: $vgpr191_vgpr192
                                        ; implicit-def: $vgpr193_vgpr194
                                        ; implicit-def: $vgpr57_vgpr58_vgpr59_vgpr60
                                        ; implicit-def: $vgpr61_vgpr62_vgpr63_vgpr64
                                        ; implicit-def: $vgpr65_vgpr66_vgpr67_vgpr68
                                        ; implicit-def: $vgpr69_vgpr70_vgpr71_vgpr72
                                        ; implicit-def: $vgpr73_vgpr74_vgpr75_vgpr76
                                        ; implicit-def: $vgpr77_vgpr78_vgpr79_vgpr80
                                        ; implicit-def: $vgpr81_vgpr82_vgpr83_vgpr84
                                        ; implicit-def: $vgpr85_vgpr86_vgpr87_vgpr88
                                        ; implicit-def: $vgpr89_vgpr90_vgpr91_vgpr92
                                        ; implicit-def: $vgpr93_vgpr94_vgpr95_vgpr96
                                        ; implicit-def: $vgpr97_vgpr98_vgpr99_vgpr100
                                        ; implicit-def: $vgpr101_vgpr102_vgpr103_vgpr104
                                        ; implicit-def: $vgpr105_vgpr106_vgpr107_vgpr108
	s_branch .LBB561_1243
.LBB561_74:
	s_set_inst_prefetch_distance 0x2
	s_or_b32 exec_lo, exec_lo, s21
	v_cmp_gt_i64_e32 vcc_lo, s[8:9], v[63:64]
	s_mov_b32 s0, 0
	s_delay_alu instid0(SALU_CYCLE_1)
	v_mov_b32_e32 v112, s0
	v_cndmask_b32_e64 v111, 0, 1, vcc_lo
.LBB561_75:
	s_or_b32 exec_lo, exec_lo, s3
.LBB561_76:
	v_mul_lo_u32 v61, v6, s8
	v_mul_lo_u32 v62, v5, s9
	v_mad_u64_u32 v[59:60], null, v5, s8, 0
	v_cndmask_b32_e64 v65, 0, 1, s1
	v_dual_mov_b32 v116, v114 :: v_dual_mov_b32 v115, v113
	s_and_not1_b32 vcc_lo, exec_lo, s1
	s_delay_alu instid0(VALU_DEP_3) | instskip(NEXT) | instid1(VALU_DEP_1)
	v_add3_u32 v60, v60, v62, v61
	v_lshlrev_b64 v[59:60], 3, v[59:60]
	s_cbranch_vccnz .LBB561_85
; %bb.77:
	v_add_co_u32 v61, vcc_lo, s10, v57
	v_add_co_ci_u32_e32 v62, vcc_lo, s11, v58, vcc_lo
	s_delay_alu instid0(VALU_DEP_3) | instskip(NEXT) | instid1(VALU_DEP_4)
	v_add_co_u32 v57, vcc_lo, s10, v59
	v_add_co_ci_u32_e32 v58, vcc_lo, s11, v60, vcc_lo
	v_mov_b32_e32 v115, 1
	s_clause 0x1
	global_load_b64 v[63:64], v[61:62], off
	global_load_b64 v[66:67], v[57:58], off
	v_mov_b32_e32 v116, 0
	s_mov_b32 s1, exec_lo
	s_waitcnt vmcnt(0)
	v_cmpx_eq_u64_e64 v[63:64], v[66:67]
	s_cbranch_execz .LBB561_84
; %bb.78:
	v_add_co_u32 v57, vcc_lo, v57, 8
	v_add_co_ci_u32_e32 v58, vcc_lo, 0, v58, vcc_lo
	v_add_co_u32 v61, vcc_lo, v61, 8
	v_add_co_ci_u32_e32 v62, vcc_lo, 0, v62, vcc_lo
	s_add_u32 s14, s8, -1
	s_addc_u32 s15, s9, -1
	s_mov_b64 s[22:23], 0
	s_mov_b32 s3, 0
                                        ; implicit-def: $sgpr21
	s_set_inst_prefetch_distance 0x1
	s_branch .LBB561_81
	.p2align	6
.LBB561_79:                             ;   in Loop: Header=BB561_81 Depth=1
	global_load_b64 v[63:64], v[61:62], off
	global_load_b64 v[66:67], v[57:58], off
	v_add_co_u32 v57, vcc_lo, v57, 8
	v_add_co_ci_u32_e32 v58, vcc_lo, 0, v58, vcc_lo
	v_add_co_u32 v61, s0, v61, 8
	s_delay_alu instid0(VALU_DEP_1)
	v_add_co_ci_u32_e64 v62, s0, 0, v62, s0
	s_add_u32 s22, s22, 1
	s_addc_u32 s23, s23, 0
	s_and_not1_b32 s0, s21, exec_lo
	s_waitcnt vmcnt(0)
	v_cmp_ne_u64_e32 vcc_lo, v[63:64], v[66:67]
	s_and_b32 s21, vcc_lo, exec_lo
	s_delay_alu instid0(SALU_CYCLE_1)
	s_or_b32 s21, s0, s21
.LBB561_80:                             ;   in Loop: Header=BB561_81 Depth=1
	v_dual_mov_b32 v64, s23 :: v_dual_mov_b32 v63, s22
	s_and_b32 s0, exec_lo, s21
	s_delay_alu instid0(SALU_CYCLE_1) | instskip(NEXT) | instid1(SALU_CYCLE_1)
	s_or_b32 s3, s0, s3
	s_and_not1_b32 exec_lo, exec_lo, s3
	s_cbranch_execz .LBB561_83
.LBB561_81:                             ; =>This Inner Loop Header: Depth=1
	s_or_b32 s21, s21, exec_lo
	s_cmp_eq_u64 s[14:15], s[22:23]
	s_cbranch_scc0 .LBB561_79
; %bb.82:                               ;   in Loop: Header=BB561_81 Depth=1
	s_mov_b64 s[22:23], s[8:9]
                                        ; implicit-def: $vgpr57_vgpr58
                                        ; implicit-def: $vgpr61_vgpr62
	s_branch .LBB561_80
.LBB561_83:
	s_set_inst_prefetch_distance 0x2
	s_or_b32 exec_lo, exec_lo, s3
	v_cmp_gt_i64_e32 vcc_lo, s[8:9], v[63:64]
	s_mov_b32 s0, 0
	s_delay_alu instid0(SALU_CYCLE_1)
	v_mov_b32_e32 v116, s0
	v_cndmask_b32_e64 v115, 0, 1, vcc_lo
.LBB561_84:
	s_or_b32 exec_lo, exec_lo, s1
.LBB561_85:
	v_mul_lo_u32 v61, v12, s8
	v_mul_lo_u32 v62, v11, s9
	v_mad_u64_u32 v[57:58], null, v11, s8, 0
	v_cmp_ne_u32_e32 vcc_lo, 1, v65
	s_delay_alu instid0(VALU_DEP_2) | instskip(NEXT) | instid1(VALU_DEP_1)
	v_add3_u32 v58, v58, v62, v61
	v_lshlrev_b64 v[57:58], 3, v[57:58]
	s_cbranch_vccnz .LBB561_94
; %bb.86:
	v_add_co_u32 v61, vcc_lo, s10, v59
	v_add_co_ci_u32_e32 v62, vcc_lo, s11, v60, vcc_lo
	s_delay_alu instid0(VALU_DEP_3) | instskip(NEXT) | instid1(VALU_DEP_4)
	v_add_co_u32 v59, vcc_lo, s10, v57
	v_add_co_ci_u32_e32 v60, vcc_lo, s11, v58, vcc_lo
	v_mov_b32_e32 v113, 1
	s_clause 0x1
	global_load_b64 v[63:64], v[61:62], off
	global_load_b64 v[66:67], v[59:60], off
	v_mov_b32_e32 v114, 0
	s_mov_b32 s1, exec_lo
	s_waitcnt vmcnt(0)
	v_cmpx_eq_u64_e64 v[63:64], v[66:67]
	s_cbranch_execz .LBB561_93
; %bb.87:
	v_add_co_u32 v59, vcc_lo, v59, 8
	v_add_co_ci_u32_e32 v60, vcc_lo, 0, v60, vcc_lo
	v_add_co_u32 v61, vcc_lo, v61, 8
	v_add_co_ci_u32_e32 v62, vcc_lo, 0, v62, vcc_lo
	s_add_u32 s14, s8, -1
	s_addc_u32 s15, s9, -1
	s_mov_b64 s[22:23], 0
	s_mov_b32 s3, 0
                                        ; implicit-def: $sgpr21
	s_set_inst_prefetch_distance 0x1
	s_branch .LBB561_90
	.p2align	6
.LBB561_88:                             ;   in Loop: Header=BB561_90 Depth=1
	global_load_b64 v[63:64], v[61:62], off
	global_load_b64 v[66:67], v[59:60], off
	v_add_co_u32 v59, vcc_lo, v59, 8
	v_add_co_ci_u32_e32 v60, vcc_lo, 0, v60, vcc_lo
	v_add_co_u32 v61, s0, v61, 8
	s_delay_alu instid0(VALU_DEP_1)
	v_add_co_ci_u32_e64 v62, s0, 0, v62, s0
	s_add_u32 s22, s22, 1
	s_addc_u32 s23, s23, 0
	s_and_not1_b32 s0, s21, exec_lo
	s_waitcnt vmcnt(0)
	v_cmp_ne_u64_e32 vcc_lo, v[63:64], v[66:67]
	s_and_b32 s21, vcc_lo, exec_lo
	s_delay_alu instid0(SALU_CYCLE_1)
	s_or_b32 s21, s0, s21
.LBB561_89:                             ;   in Loop: Header=BB561_90 Depth=1
	v_dual_mov_b32 v64, s23 :: v_dual_mov_b32 v63, s22
	s_and_b32 s0, exec_lo, s21
	s_delay_alu instid0(SALU_CYCLE_1) | instskip(NEXT) | instid1(SALU_CYCLE_1)
	s_or_b32 s3, s0, s3
	s_and_not1_b32 exec_lo, exec_lo, s3
	s_cbranch_execz .LBB561_92
.LBB561_90:                             ; =>This Inner Loop Header: Depth=1
	s_or_b32 s21, s21, exec_lo
	s_cmp_eq_u64 s[14:15], s[22:23]
	s_cbranch_scc0 .LBB561_88
; %bb.91:                               ;   in Loop: Header=BB561_90 Depth=1
	s_mov_b64 s[22:23], s[8:9]
                                        ; implicit-def: $vgpr59_vgpr60
                                        ; implicit-def: $vgpr61_vgpr62
	s_branch .LBB561_89
.LBB561_92:
	s_set_inst_prefetch_distance 0x2
	s_or_b32 exec_lo, exec_lo, s3
	v_cmp_gt_i64_e32 vcc_lo, s[8:9], v[63:64]
	s_mov_b32 s0, 0
	s_delay_alu instid0(SALU_CYCLE_1)
	v_mov_b32_e32 v114, s0
	v_cndmask_b32_e64 v113, 0, 1, vcc_lo
.LBB561_93:
	s_or_b32 exec_lo, exec_lo, s1
.LBB561_94:
	v_mul_lo_u32 v61, v10, s8
	v_mul_lo_u32 v62, v9, s9
	v_mad_u64_u32 v[59:60], null, v9, s8, 0
	v_mov_b32_e32 v119, 0
	v_mov_b32_e32 v120, 0
	v_cmp_ne_u32_e32 vcc_lo, 1, v65
	s_delay_alu instid0(VALU_DEP_2) | instskip(SKIP_1) | instid1(VALU_DEP_1)
	v_dual_mov_b32 v117, v119 :: v_dual_mov_b32 v118, v120
	v_add3_u32 v60, v60, v62, v61
	v_lshlrev_b64 v[59:60], 3, v[59:60]
	s_cbranch_vccnz .LBB561_103
; %bb.95:
	v_add_co_u32 v61, vcc_lo, s10, v57
	v_add_co_ci_u32_e32 v62, vcc_lo, s11, v58, vcc_lo
	s_delay_alu instid0(VALU_DEP_3) | instskip(NEXT) | instid1(VALU_DEP_4)
	v_add_co_u32 v57, vcc_lo, s10, v59
	v_add_co_ci_u32_e32 v58, vcc_lo, s11, v60, vcc_lo
	v_mov_b32_e32 v117, 1
	s_clause 0x1
	global_load_b64 v[63:64], v[61:62], off
	global_load_b64 v[66:67], v[57:58], off
	v_mov_b32_e32 v118, 0
	s_mov_b32 s1, exec_lo
	s_waitcnt vmcnt(0)
	v_cmpx_eq_u64_e64 v[63:64], v[66:67]
	s_cbranch_execz .LBB561_102
; %bb.96:
	v_add_co_u32 v57, vcc_lo, v57, 8
	v_add_co_ci_u32_e32 v58, vcc_lo, 0, v58, vcc_lo
	v_add_co_u32 v61, vcc_lo, v61, 8
	v_add_co_ci_u32_e32 v62, vcc_lo, 0, v62, vcc_lo
	s_add_u32 s14, s8, -1
	s_addc_u32 s15, s9, -1
	s_mov_b64 s[22:23], 0
	s_mov_b32 s3, 0
                                        ; implicit-def: $sgpr21
	s_set_inst_prefetch_distance 0x1
	s_branch .LBB561_99
	.p2align	6
.LBB561_97:                             ;   in Loop: Header=BB561_99 Depth=1
	global_load_b64 v[63:64], v[61:62], off
	global_load_b64 v[66:67], v[57:58], off
	v_add_co_u32 v57, vcc_lo, v57, 8
	v_add_co_ci_u32_e32 v58, vcc_lo, 0, v58, vcc_lo
	v_add_co_u32 v61, s0, v61, 8
	s_delay_alu instid0(VALU_DEP_1)
	v_add_co_ci_u32_e64 v62, s0, 0, v62, s0
	s_add_u32 s22, s22, 1
	s_addc_u32 s23, s23, 0
	s_and_not1_b32 s0, s21, exec_lo
	s_waitcnt vmcnt(0)
	v_cmp_ne_u64_e32 vcc_lo, v[63:64], v[66:67]
	s_and_b32 s21, vcc_lo, exec_lo
	s_delay_alu instid0(SALU_CYCLE_1)
	s_or_b32 s21, s0, s21
.LBB561_98:                             ;   in Loop: Header=BB561_99 Depth=1
	v_dual_mov_b32 v64, s23 :: v_dual_mov_b32 v63, s22
	s_and_b32 s0, exec_lo, s21
	s_delay_alu instid0(SALU_CYCLE_1) | instskip(NEXT) | instid1(SALU_CYCLE_1)
	s_or_b32 s3, s0, s3
	s_and_not1_b32 exec_lo, exec_lo, s3
	s_cbranch_execz .LBB561_101
.LBB561_99:                             ; =>This Inner Loop Header: Depth=1
	s_or_b32 s21, s21, exec_lo
	s_cmp_eq_u64 s[14:15], s[22:23]
	s_cbranch_scc0 .LBB561_97
; %bb.100:                              ;   in Loop: Header=BB561_99 Depth=1
	s_mov_b64 s[22:23], s[8:9]
                                        ; implicit-def: $vgpr57_vgpr58
                                        ; implicit-def: $vgpr61_vgpr62
	s_branch .LBB561_98
.LBB561_101:
	s_set_inst_prefetch_distance 0x2
	s_or_b32 exec_lo, exec_lo, s3
	v_cmp_gt_i64_e32 vcc_lo, s[8:9], v[63:64]
	s_mov_b32 s0, 0
	s_delay_alu instid0(SALU_CYCLE_1)
	v_mov_b32_e32 v118, s0
	v_cndmask_b32_e64 v117, 0, 1, vcc_lo
.LBB561_102:
	s_or_b32 exec_lo, exec_lo, s1
.LBB561_103:
	v_mul_lo_u32 v61, v56, s8
	v_mul_lo_u32 v62, v55, s9
	v_mad_u64_u32 v[57:58], null, v55, s8, 0
	v_cmp_ne_u32_e32 vcc_lo, 1, v65
	s_delay_alu instid0(VALU_DEP_2) | instskip(NEXT) | instid1(VALU_DEP_1)
	v_add3_u32 v58, v58, v62, v61
	v_lshlrev_b64 v[57:58], 3, v[57:58]
	s_cbranch_vccnz .LBB561_112
; %bb.104:
	v_add_co_u32 v61, vcc_lo, s10, v59
	v_add_co_ci_u32_e32 v62, vcc_lo, s11, v60, vcc_lo
	s_delay_alu instid0(VALU_DEP_3) | instskip(NEXT) | instid1(VALU_DEP_4)
	v_add_co_u32 v59, vcc_lo, s10, v57
	v_add_co_ci_u32_e32 v60, vcc_lo, s11, v58, vcc_lo
	v_mov_b32_e32 v119, 1
	s_clause 0x1
	global_load_b64 v[63:64], v[61:62], off
	global_load_b64 v[66:67], v[59:60], off
	v_mov_b32_e32 v120, 0
	s_mov_b32 s1, exec_lo
	s_waitcnt vmcnt(0)
	v_cmpx_eq_u64_e64 v[63:64], v[66:67]
	s_cbranch_execz .LBB561_111
; %bb.105:
	v_add_co_u32 v59, vcc_lo, v59, 8
	v_add_co_ci_u32_e32 v60, vcc_lo, 0, v60, vcc_lo
	v_add_co_u32 v61, vcc_lo, v61, 8
	v_add_co_ci_u32_e32 v62, vcc_lo, 0, v62, vcc_lo
	s_add_u32 s14, s8, -1
	s_addc_u32 s15, s9, -1
	s_mov_b64 s[22:23], 0
	s_mov_b32 s3, 0
                                        ; implicit-def: $sgpr21
	s_set_inst_prefetch_distance 0x1
	s_branch .LBB561_108
	.p2align	6
.LBB561_106:                            ;   in Loop: Header=BB561_108 Depth=1
	global_load_b64 v[63:64], v[61:62], off
	global_load_b64 v[66:67], v[59:60], off
	v_add_co_u32 v59, vcc_lo, v59, 8
	v_add_co_ci_u32_e32 v60, vcc_lo, 0, v60, vcc_lo
	v_add_co_u32 v61, s0, v61, 8
	s_delay_alu instid0(VALU_DEP_1)
	v_add_co_ci_u32_e64 v62, s0, 0, v62, s0
	s_add_u32 s22, s22, 1
	s_addc_u32 s23, s23, 0
	s_and_not1_b32 s0, s21, exec_lo
	s_waitcnt vmcnt(0)
	v_cmp_ne_u64_e32 vcc_lo, v[63:64], v[66:67]
	s_and_b32 s21, vcc_lo, exec_lo
	s_delay_alu instid0(SALU_CYCLE_1)
	s_or_b32 s21, s0, s21
.LBB561_107:                            ;   in Loop: Header=BB561_108 Depth=1
	v_dual_mov_b32 v64, s23 :: v_dual_mov_b32 v63, s22
	s_and_b32 s0, exec_lo, s21
	s_delay_alu instid0(SALU_CYCLE_1) | instskip(NEXT) | instid1(SALU_CYCLE_1)
	s_or_b32 s3, s0, s3
	s_and_not1_b32 exec_lo, exec_lo, s3
	s_cbranch_execz .LBB561_110
.LBB561_108:                            ; =>This Inner Loop Header: Depth=1
	s_or_b32 s21, s21, exec_lo
	s_cmp_eq_u64 s[14:15], s[22:23]
	s_cbranch_scc0 .LBB561_106
; %bb.109:                              ;   in Loop: Header=BB561_108 Depth=1
	s_mov_b64 s[22:23], s[8:9]
                                        ; implicit-def: $vgpr59_vgpr60
                                        ; implicit-def: $vgpr61_vgpr62
	s_branch .LBB561_107
.LBB561_110:
	s_set_inst_prefetch_distance 0x2
	s_or_b32 exec_lo, exec_lo, s3
	v_cmp_gt_i64_e32 vcc_lo, s[8:9], v[63:64]
	s_mov_b32 s0, 0
	s_delay_alu instid0(SALU_CYCLE_1)
	v_mov_b32_e32 v120, s0
	v_cndmask_b32_e64 v119, 0, 1, vcc_lo
.LBB561_111:
	s_or_b32 exec_lo, exec_lo, s1
.LBB561_112:
	v_mul_lo_u32 v61, v54, s8
	v_mul_lo_u32 v62, v53, s9
	v_mad_u64_u32 v[59:60], null, v53, s8, 0
	v_mov_b32_e32 v123, 0
	v_mov_b32_e32 v124, 0
	v_cmp_ne_u32_e32 vcc_lo, 1, v65
	s_delay_alu instid0(VALU_DEP_2) | instskip(SKIP_1) | instid1(VALU_DEP_1)
	v_dual_mov_b32 v121, v123 :: v_dual_mov_b32 v122, v124
	v_add3_u32 v60, v60, v62, v61
	v_lshlrev_b64 v[59:60], 3, v[59:60]
	s_cbranch_vccnz .LBB561_121
; %bb.113:
	v_add_co_u32 v61, vcc_lo, s10, v57
	v_add_co_ci_u32_e32 v62, vcc_lo, s11, v58, vcc_lo
	s_delay_alu instid0(VALU_DEP_3) | instskip(NEXT) | instid1(VALU_DEP_4)
	v_add_co_u32 v57, vcc_lo, s10, v59
	v_add_co_ci_u32_e32 v58, vcc_lo, s11, v60, vcc_lo
	v_mov_b32_e32 v121, 1
	s_clause 0x1
	global_load_b64 v[63:64], v[61:62], off
	global_load_b64 v[66:67], v[57:58], off
	v_mov_b32_e32 v122, 0
	s_mov_b32 s1, exec_lo
	s_waitcnt vmcnt(0)
	v_cmpx_eq_u64_e64 v[63:64], v[66:67]
	s_cbranch_execz .LBB561_120
; %bb.114:
	v_add_co_u32 v57, vcc_lo, v57, 8
	v_add_co_ci_u32_e32 v58, vcc_lo, 0, v58, vcc_lo
	v_add_co_u32 v61, vcc_lo, v61, 8
	v_add_co_ci_u32_e32 v62, vcc_lo, 0, v62, vcc_lo
	s_add_u32 s14, s8, -1
	s_addc_u32 s15, s9, -1
	s_mov_b64 s[22:23], 0
	s_mov_b32 s3, 0
                                        ; implicit-def: $sgpr21
	s_set_inst_prefetch_distance 0x1
	s_branch .LBB561_117
	.p2align	6
.LBB561_115:                            ;   in Loop: Header=BB561_117 Depth=1
	global_load_b64 v[63:64], v[61:62], off
	global_load_b64 v[66:67], v[57:58], off
	v_add_co_u32 v57, vcc_lo, v57, 8
	v_add_co_ci_u32_e32 v58, vcc_lo, 0, v58, vcc_lo
	v_add_co_u32 v61, s0, v61, 8
	s_delay_alu instid0(VALU_DEP_1)
	v_add_co_ci_u32_e64 v62, s0, 0, v62, s0
	s_add_u32 s22, s22, 1
	s_addc_u32 s23, s23, 0
	s_and_not1_b32 s0, s21, exec_lo
	s_waitcnt vmcnt(0)
	v_cmp_ne_u64_e32 vcc_lo, v[63:64], v[66:67]
	s_and_b32 s21, vcc_lo, exec_lo
	s_delay_alu instid0(SALU_CYCLE_1)
	s_or_b32 s21, s0, s21
.LBB561_116:                            ;   in Loop: Header=BB561_117 Depth=1
	v_dual_mov_b32 v64, s23 :: v_dual_mov_b32 v63, s22
	s_and_b32 s0, exec_lo, s21
	s_delay_alu instid0(SALU_CYCLE_1) | instskip(NEXT) | instid1(SALU_CYCLE_1)
	s_or_b32 s3, s0, s3
	s_and_not1_b32 exec_lo, exec_lo, s3
	s_cbranch_execz .LBB561_119
.LBB561_117:                            ; =>This Inner Loop Header: Depth=1
	s_or_b32 s21, s21, exec_lo
	s_cmp_eq_u64 s[14:15], s[22:23]
	s_cbranch_scc0 .LBB561_115
; %bb.118:                              ;   in Loop: Header=BB561_117 Depth=1
	s_mov_b64 s[22:23], s[8:9]
                                        ; implicit-def: $vgpr57_vgpr58
                                        ; implicit-def: $vgpr61_vgpr62
	s_branch .LBB561_116
.LBB561_119:
	s_set_inst_prefetch_distance 0x2
	s_or_b32 exec_lo, exec_lo, s3
	v_cmp_gt_i64_e32 vcc_lo, s[8:9], v[63:64]
	s_mov_b32 s0, 0
	s_delay_alu instid0(SALU_CYCLE_1)
	v_mov_b32_e32 v122, s0
	v_cndmask_b32_e64 v121, 0, 1, vcc_lo
.LBB561_120:
	s_or_b32 exec_lo, exec_lo, s1
.LBB561_121:
	v_mul_lo_u32 v61, v52, s8
	v_mul_lo_u32 v62, v51, s9
	v_mad_u64_u32 v[57:58], null, v51, s8, 0
	v_cmp_ne_u32_e32 vcc_lo, 1, v65
	s_delay_alu instid0(VALU_DEP_2) | instskip(NEXT) | instid1(VALU_DEP_1)
	v_add3_u32 v58, v58, v62, v61
	v_lshlrev_b64 v[57:58], 3, v[57:58]
	s_cbranch_vccnz .LBB561_130
; %bb.122:
	v_add_co_u32 v61, vcc_lo, s10, v59
	v_add_co_ci_u32_e32 v62, vcc_lo, s11, v60, vcc_lo
	s_delay_alu instid0(VALU_DEP_3) | instskip(NEXT) | instid1(VALU_DEP_4)
	v_add_co_u32 v59, vcc_lo, s10, v57
	v_add_co_ci_u32_e32 v60, vcc_lo, s11, v58, vcc_lo
	v_mov_b32_e32 v123, 1
	s_clause 0x1
	global_load_b64 v[63:64], v[61:62], off
	global_load_b64 v[66:67], v[59:60], off
	v_mov_b32_e32 v124, 0
	s_mov_b32 s1, exec_lo
	s_waitcnt vmcnt(0)
	v_cmpx_eq_u64_e64 v[63:64], v[66:67]
	s_cbranch_execz .LBB561_129
; %bb.123:
	v_add_co_u32 v59, vcc_lo, v59, 8
	v_add_co_ci_u32_e32 v60, vcc_lo, 0, v60, vcc_lo
	v_add_co_u32 v61, vcc_lo, v61, 8
	v_add_co_ci_u32_e32 v62, vcc_lo, 0, v62, vcc_lo
	s_add_u32 s14, s8, -1
	s_addc_u32 s15, s9, -1
	s_mov_b64 s[22:23], 0
	s_mov_b32 s3, 0
                                        ; implicit-def: $sgpr21
	s_set_inst_prefetch_distance 0x1
	s_branch .LBB561_126
	.p2align	6
.LBB561_124:                            ;   in Loop: Header=BB561_126 Depth=1
	global_load_b64 v[63:64], v[61:62], off
	global_load_b64 v[66:67], v[59:60], off
	v_add_co_u32 v59, vcc_lo, v59, 8
	v_add_co_ci_u32_e32 v60, vcc_lo, 0, v60, vcc_lo
	v_add_co_u32 v61, s0, v61, 8
	s_delay_alu instid0(VALU_DEP_1)
	v_add_co_ci_u32_e64 v62, s0, 0, v62, s0
	s_add_u32 s22, s22, 1
	s_addc_u32 s23, s23, 0
	s_and_not1_b32 s0, s21, exec_lo
	s_waitcnt vmcnt(0)
	v_cmp_ne_u64_e32 vcc_lo, v[63:64], v[66:67]
	s_and_b32 s21, vcc_lo, exec_lo
	s_delay_alu instid0(SALU_CYCLE_1)
	s_or_b32 s21, s0, s21
.LBB561_125:                            ;   in Loop: Header=BB561_126 Depth=1
	v_dual_mov_b32 v64, s23 :: v_dual_mov_b32 v63, s22
	s_and_b32 s0, exec_lo, s21
	s_delay_alu instid0(SALU_CYCLE_1) | instskip(NEXT) | instid1(SALU_CYCLE_1)
	s_or_b32 s3, s0, s3
	s_and_not1_b32 exec_lo, exec_lo, s3
	s_cbranch_execz .LBB561_128
.LBB561_126:                            ; =>This Inner Loop Header: Depth=1
	s_or_b32 s21, s21, exec_lo
	s_cmp_eq_u64 s[14:15], s[22:23]
	s_cbranch_scc0 .LBB561_124
; %bb.127:                              ;   in Loop: Header=BB561_126 Depth=1
	s_mov_b64 s[22:23], s[8:9]
                                        ; implicit-def: $vgpr59_vgpr60
                                        ; implicit-def: $vgpr61_vgpr62
	s_branch .LBB561_125
.LBB561_128:
	s_set_inst_prefetch_distance 0x2
	s_or_b32 exec_lo, exec_lo, s3
	v_cmp_gt_i64_e32 vcc_lo, s[8:9], v[63:64]
	s_mov_b32 s0, 0
	s_delay_alu instid0(SALU_CYCLE_1)
	v_mov_b32_e32 v124, s0
	v_cndmask_b32_e64 v123, 0, 1, vcc_lo
.LBB561_129:
	s_or_b32 exec_lo, exec_lo, s1
.LBB561_130:
	v_mul_lo_u32 v61, v50, s8
	v_mul_lo_u32 v62, v49, s9
	v_mad_u64_u32 v[59:60], null, v49, s8, 0
	v_mov_b32_e32 v127, 0
	v_mov_b32_e32 v128, 0
	v_cmp_ne_u32_e32 vcc_lo, 1, v65
	s_delay_alu instid0(VALU_DEP_2) | instskip(SKIP_1) | instid1(VALU_DEP_1)
	v_dual_mov_b32 v125, v127 :: v_dual_mov_b32 v126, v128
	v_add3_u32 v60, v60, v62, v61
	v_lshlrev_b64 v[59:60], 3, v[59:60]
	s_cbranch_vccnz .LBB561_139
; %bb.131:
	v_add_co_u32 v61, vcc_lo, s10, v57
	v_add_co_ci_u32_e32 v62, vcc_lo, s11, v58, vcc_lo
	s_delay_alu instid0(VALU_DEP_3) | instskip(NEXT) | instid1(VALU_DEP_4)
	v_add_co_u32 v57, vcc_lo, s10, v59
	v_add_co_ci_u32_e32 v58, vcc_lo, s11, v60, vcc_lo
	v_mov_b32_e32 v125, 1
	s_clause 0x1
	global_load_b64 v[63:64], v[61:62], off
	global_load_b64 v[66:67], v[57:58], off
	v_mov_b32_e32 v126, 0
	s_mov_b32 s1, exec_lo
	s_waitcnt vmcnt(0)
	v_cmpx_eq_u64_e64 v[63:64], v[66:67]
	s_cbranch_execz .LBB561_138
; %bb.132:
	v_add_co_u32 v57, vcc_lo, v57, 8
	v_add_co_ci_u32_e32 v58, vcc_lo, 0, v58, vcc_lo
	v_add_co_u32 v61, vcc_lo, v61, 8
	v_add_co_ci_u32_e32 v62, vcc_lo, 0, v62, vcc_lo
	s_add_u32 s14, s8, -1
	s_addc_u32 s15, s9, -1
	s_mov_b64 s[22:23], 0
	s_mov_b32 s3, 0
                                        ; implicit-def: $sgpr21
	s_set_inst_prefetch_distance 0x1
	s_branch .LBB561_135
	.p2align	6
.LBB561_133:                            ;   in Loop: Header=BB561_135 Depth=1
	global_load_b64 v[63:64], v[61:62], off
	global_load_b64 v[66:67], v[57:58], off
	v_add_co_u32 v57, vcc_lo, v57, 8
	v_add_co_ci_u32_e32 v58, vcc_lo, 0, v58, vcc_lo
	v_add_co_u32 v61, s0, v61, 8
	s_delay_alu instid0(VALU_DEP_1)
	v_add_co_ci_u32_e64 v62, s0, 0, v62, s0
	s_add_u32 s22, s22, 1
	s_addc_u32 s23, s23, 0
	s_and_not1_b32 s0, s21, exec_lo
	s_waitcnt vmcnt(0)
	v_cmp_ne_u64_e32 vcc_lo, v[63:64], v[66:67]
	s_and_b32 s21, vcc_lo, exec_lo
	s_delay_alu instid0(SALU_CYCLE_1)
	s_or_b32 s21, s0, s21
.LBB561_134:                            ;   in Loop: Header=BB561_135 Depth=1
	v_dual_mov_b32 v64, s23 :: v_dual_mov_b32 v63, s22
	s_and_b32 s0, exec_lo, s21
	s_delay_alu instid0(SALU_CYCLE_1) | instskip(NEXT) | instid1(SALU_CYCLE_1)
	s_or_b32 s3, s0, s3
	s_and_not1_b32 exec_lo, exec_lo, s3
	s_cbranch_execz .LBB561_137
.LBB561_135:                            ; =>This Inner Loop Header: Depth=1
	s_or_b32 s21, s21, exec_lo
	s_cmp_eq_u64 s[14:15], s[22:23]
	s_cbranch_scc0 .LBB561_133
; %bb.136:                              ;   in Loop: Header=BB561_135 Depth=1
	s_mov_b64 s[22:23], s[8:9]
                                        ; implicit-def: $vgpr57_vgpr58
                                        ; implicit-def: $vgpr61_vgpr62
	s_branch .LBB561_134
.LBB561_137:
	s_set_inst_prefetch_distance 0x2
	s_or_b32 exec_lo, exec_lo, s3
	v_cmp_gt_i64_e32 vcc_lo, s[8:9], v[63:64]
	s_mov_b32 s0, 0
	s_delay_alu instid0(SALU_CYCLE_1)
	v_mov_b32_e32 v126, s0
	v_cndmask_b32_e64 v125, 0, 1, vcc_lo
.LBB561_138:
	s_or_b32 exec_lo, exec_lo, s1
.LBB561_139:
	v_mul_lo_u32 v61, v48, s8
	v_mul_lo_u32 v62, v47, s9
	v_mad_u64_u32 v[57:58], null, v47, s8, 0
	v_cmp_ne_u32_e32 vcc_lo, 1, v65
	s_delay_alu instid0(VALU_DEP_2) | instskip(NEXT) | instid1(VALU_DEP_1)
	v_add3_u32 v58, v58, v62, v61
	v_lshlrev_b64 v[57:58], 3, v[57:58]
	s_cbranch_vccnz .LBB561_148
; %bb.140:
	v_add_co_u32 v61, vcc_lo, s10, v59
	v_add_co_ci_u32_e32 v62, vcc_lo, s11, v60, vcc_lo
	s_delay_alu instid0(VALU_DEP_3) | instskip(NEXT) | instid1(VALU_DEP_4)
	v_add_co_u32 v59, vcc_lo, s10, v57
	v_add_co_ci_u32_e32 v60, vcc_lo, s11, v58, vcc_lo
	v_mov_b32_e32 v127, 1
	s_clause 0x1
	global_load_b64 v[63:64], v[61:62], off
	global_load_b64 v[66:67], v[59:60], off
	v_mov_b32_e32 v128, 0
	s_mov_b32 s1, exec_lo
	s_waitcnt vmcnt(0)
	v_cmpx_eq_u64_e64 v[63:64], v[66:67]
	s_cbranch_execz .LBB561_147
; %bb.141:
	v_add_co_u32 v59, vcc_lo, v59, 8
	v_add_co_ci_u32_e32 v60, vcc_lo, 0, v60, vcc_lo
	v_add_co_u32 v61, vcc_lo, v61, 8
	v_add_co_ci_u32_e32 v62, vcc_lo, 0, v62, vcc_lo
	s_add_u32 s14, s8, -1
	s_addc_u32 s15, s9, -1
	s_mov_b64 s[22:23], 0
	s_mov_b32 s3, 0
                                        ; implicit-def: $sgpr21
	s_set_inst_prefetch_distance 0x1
	s_branch .LBB561_144
	.p2align	6
.LBB561_142:                            ;   in Loop: Header=BB561_144 Depth=1
	global_load_b64 v[63:64], v[61:62], off
	global_load_b64 v[66:67], v[59:60], off
	v_add_co_u32 v59, vcc_lo, v59, 8
	v_add_co_ci_u32_e32 v60, vcc_lo, 0, v60, vcc_lo
	v_add_co_u32 v61, s0, v61, 8
	s_delay_alu instid0(VALU_DEP_1)
	v_add_co_ci_u32_e64 v62, s0, 0, v62, s0
	s_add_u32 s22, s22, 1
	s_addc_u32 s23, s23, 0
	s_and_not1_b32 s0, s21, exec_lo
	s_waitcnt vmcnt(0)
	v_cmp_ne_u64_e32 vcc_lo, v[63:64], v[66:67]
	s_and_b32 s21, vcc_lo, exec_lo
	s_delay_alu instid0(SALU_CYCLE_1)
	s_or_b32 s21, s0, s21
.LBB561_143:                            ;   in Loop: Header=BB561_144 Depth=1
	v_dual_mov_b32 v64, s23 :: v_dual_mov_b32 v63, s22
	s_and_b32 s0, exec_lo, s21
	s_delay_alu instid0(SALU_CYCLE_1) | instskip(NEXT) | instid1(SALU_CYCLE_1)
	s_or_b32 s3, s0, s3
	s_and_not1_b32 exec_lo, exec_lo, s3
	s_cbranch_execz .LBB561_146
.LBB561_144:                            ; =>This Inner Loop Header: Depth=1
	s_or_b32 s21, s21, exec_lo
	s_cmp_eq_u64 s[14:15], s[22:23]
	s_cbranch_scc0 .LBB561_142
; %bb.145:                              ;   in Loop: Header=BB561_144 Depth=1
	s_mov_b64 s[22:23], s[8:9]
                                        ; implicit-def: $vgpr59_vgpr60
                                        ; implicit-def: $vgpr61_vgpr62
	s_branch .LBB561_143
.LBB561_146:
	s_set_inst_prefetch_distance 0x2
	s_or_b32 exec_lo, exec_lo, s3
	v_cmp_gt_i64_e32 vcc_lo, s[8:9], v[63:64]
	s_mov_b32 s0, 0
	s_delay_alu instid0(SALU_CYCLE_1)
	v_mov_b32_e32 v128, s0
	v_cndmask_b32_e64 v127, 0, 1, vcc_lo
.LBB561_147:
	s_or_b32 exec_lo, exec_lo, s1
.LBB561_148:
	v_mul_lo_u32 v61, v46, s8
	v_mul_lo_u32 v62, v45, s9
	v_mad_u64_u32 v[59:60], null, v45, s8, 0
	v_mov_b32_e32 v131, 0
	v_mov_b32_e32 v132, 0
	v_cmp_ne_u32_e32 vcc_lo, 1, v65
	s_delay_alu instid0(VALU_DEP_2) | instskip(SKIP_1) | instid1(VALU_DEP_1)
	v_dual_mov_b32 v129, v131 :: v_dual_mov_b32 v130, v132
	v_add3_u32 v60, v60, v62, v61
	v_lshlrev_b64 v[59:60], 3, v[59:60]
	s_cbranch_vccnz .LBB561_157
; %bb.149:
	v_add_co_u32 v61, vcc_lo, s10, v57
	v_add_co_ci_u32_e32 v62, vcc_lo, s11, v58, vcc_lo
	s_delay_alu instid0(VALU_DEP_3) | instskip(NEXT) | instid1(VALU_DEP_4)
	v_add_co_u32 v57, vcc_lo, s10, v59
	v_add_co_ci_u32_e32 v58, vcc_lo, s11, v60, vcc_lo
	v_mov_b32_e32 v129, 1
	s_clause 0x1
	global_load_b64 v[63:64], v[61:62], off
	global_load_b64 v[66:67], v[57:58], off
	v_mov_b32_e32 v130, 0
	s_mov_b32 s1, exec_lo
	s_waitcnt vmcnt(0)
	v_cmpx_eq_u64_e64 v[63:64], v[66:67]
	s_cbranch_execz .LBB561_156
; %bb.150:
	v_add_co_u32 v57, vcc_lo, v57, 8
	v_add_co_ci_u32_e32 v58, vcc_lo, 0, v58, vcc_lo
	v_add_co_u32 v61, vcc_lo, v61, 8
	v_add_co_ci_u32_e32 v62, vcc_lo, 0, v62, vcc_lo
	s_add_u32 s14, s8, -1
	s_addc_u32 s15, s9, -1
	s_mov_b64 s[22:23], 0
	s_mov_b32 s3, 0
                                        ; implicit-def: $sgpr21
	s_set_inst_prefetch_distance 0x1
	s_branch .LBB561_153
	.p2align	6
.LBB561_151:                            ;   in Loop: Header=BB561_153 Depth=1
	global_load_b64 v[63:64], v[61:62], off
	global_load_b64 v[66:67], v[57:58], off
	v_add_co_u32 v57, vcc_lo, v57, 8
	v_add_co_ci_u32_e32 v58, vcc_lo, 0, v58, vcc_lo
	v_add_co_u32 v61, s0, v61, 8
	s_delay_alu instid0(VALU_DEP_1)
	v_add_co_ci_u32_e64 v62, s0, 0, v62, s0
	s_add_u32 s22, s22, 1
	s_addc_u32 s23, s23, 0
	s_and_not1_b32 s0, s21, exec_lo
	s_waitcnt vmcnt(0)
	v_cmp_ne_u64_e32 vcc_lo, v[63:64], v[66:67]
	s_and_b32 s21, vcc_lo, exec_lo
	s_delay_alu instid0(SALU_CYCLE_1)
	s_or_b32 s21, s0, s21
.LBB561_152:                            ;   in Loop: Header=BB561_153 Depth=1
	v_dual_mov_b32 v64, s23 :: v_dual_mov_b32 v63, s22
	s_and_b32 s0, exec_lo, s21
	s_delay_alu instid0(SALU_CYCLE_1) | instskip(NEXT) | instid1(SALU_CYCLE_1)
	s_or_b32 s3, s0, s3
	s_and_not1_b32 exec_lo, exec_lo, s3
	s_cbranch_execz .LBB561_155
.LBB561_153:                            ; =>This Inner Loop Header: Depth=1
	s_or_b32 s21, s21, exec_lo
	s_cmp_eq_u64 s[14:15], s[22:23]
	s_cbranch_scc0 .LBB561_151
; %bb.154:                              ;   in Loop: Header=BB561_153 Depth=1
	s_mov_b64 s[22:23], s[8:9]
                                        ; implicit-def: $vgpr57_vgpr58
                                        ; implicit-def: $vgpr61_vgpr62
	s_branch .LBB561_152
.LBB561_155:
	s_set_inst_prefetch_distance 0x2
	s_or_b32 exec_lo, exec_lo, s3
	v_cmp_gt_i64_e32 vcc_lo, s[8:9], v[63:64]
	s_mov_b32 s0, 0
	s_delay_alu instid0(SALU_CYCLE_1)
	v_mov_b32_e32 v130, s0
	v_cndmask_b32_e64 v129, 0, 1, vcc_lo
.LBB561_156:
	s_or_b32 exec_lo, exec_lo, s1
.LBB561_157:
	v_mul_lo_u32 v61, v44, s8
	v_mul_lo_u32 v62, v43, s9
	v_mad_u64_u32 v[57:58], null, v43, s8, 0
	v_cmp_ne_u32_e32 vcc_lo, 1, v65
	s_delay_alu instid0(VALU_DEP_2) | instskip(NEXT) | instid1(VALU_DEP_1)
	v_add3_u32 v58, v58, v62, v61
	v_lshlrev_b64 v[57:58], 3, v[57:58]
	s_cbranch_vccnz .LBB561_166
; %bb.158:
	v_add_co_u32 v61, vcc_lo, s10, v59
	v_add_co_ci_u32_e32 v62, vcc_lo, s11, v60, vcc_lo
	s_delay_alu instid0(VALU_DEP_3) | instskip(NEXT) | instid1(VALU_DEP_4)
	v_add_co_u32 v59, vcc_lo, s10, v57
	v_add_co_ci_u32_e32 v60, vcc_lo, s11, v58, vcc_lo
	v_mov_b32_e32 v131, 1
	s_clause 0x1
	global_load_b64 v[63:64], v[61:62], off
	global_load_b64 v[66:67], v[59:60], off
	v_mov_b32_e32 v132, 0
	s_mov_b32 s1, exec_lo
	s_waitcnt vmcnt(0)
	v_cmpx_eq_u64_e64 v[63:64], v[66:67]
	s_cbranch_execz .LBB561_165
; %bb.159:
	v_add_co_u32 v59, vcc_lo, v59, 8
	v_add_co_ci_u32_e32 v60, vcc_lo, 0, v60, vcc_lo
	v_add_co_u32 v61, vcc_lo, v61, 8
	v_add_co_ci_u32_e32 v62, vcc_lo, 0, v62, vcc_lo
	s_add_u32 s14, s8, -1
	s_addc_u32 s15, s9, -1
	s_mov_b64 s[22:23], 0
	s_mov_b32 s3, 0
                                        ; implicit-def: $sgpr21
	s_set_inst_prefetch_distance 0x1
	s_branch .LBB561_162
	.p2align	6
.LBB561_160:                            ;   in Loop: Header=BB561_162 Depth=1
	global_load_b64 v[63:64], v[61:62], off
	global_load_b64 v[66:67], v[59:60], off
	v_add_co_u32 v59, vcc_lo, v59, 8
	v_add_co_ci_u32_e32 v60, vcc_lo, 0, v60, vcc_lo
	v_add_co_u32 v61, s0, v61, 8
	s_delay_alu instid0(VALU_DEP_1)
	v_add_co_ci_u32_e64 v62, s0, 0, v62, s0
	s_add_u32 s22, s22, 1
	s_addc_u32 s23, s23, 0
	s_and_not1_b32 s0, s21, exec_lo
	s_waitcnt vmcnt(0)
	v_cmp_ne_u64_e32 vcc_lo, v[63:64], v[66:67]
	s_and_b32 s21, vcc_lo, exec_lo
	s_delay_alu instid0(SALU_CYCLE_1)
	s_or_b32 s21, s0, s21
.LBB561_161:                            ;   in Loop: Header=BB561_162 Depth=1
	v_dual_mov_b32 v64, s23 :: v_dual_mov_b32 v63, s22
	s_and_b32 s0, exec_lo, s21
	s_delay_alu instid0(SALU_CYCLE_1) | instskip(NEXT) | instid1(SALU_CYCLE_1)
	s_or_b32 s3, s0, s3
	s_and_not1_b32 exec_lo, exec_lo, s3
	s_cbranch_execz .LBB561_164
.LBB561_162:                            ; =>This Inner Loop Header: Depth=1
	s_or_b32 s21, s21, exec_lo
	s_cmp_eq_u64 s[14:15], s[22:23]
	s_cbranch_scc0 .LBB561_160
; %bb.163:                              ;   in Loop: Header=BB561_162 Depth=1
	s_mov_b64 s[22:23], s[8:9]
                                        ; implicit-def: $vgpr59_vgpr60
                                        ; implicit-def: $vgpr61_vgpr62
	s_branch .LBB561_161
.LBB561_164:
	s_set_inst_prefetch_distance 0x2
	s_or_b32 exec_lo, exec_lo, s3
	v_cmp_gt_i64_e32 vcc_lo, s[8:9], v[63:64]
	s_mov_b32 s0, 0
	s_delay_alu instid0(SALU_CYCLE_1)
	v_mov_b32_e32 v132, s0
	v_cndmask_b32_e64 v131, 0, 1, vcc_lo
.LBB561_165:
	s_or_b32 exec_lo, exec_lo, s1
.LBB561_166:
	v_mul_lo_u32 v61, v42, s8
	v_mul_lo_u32 v62, v41, s9
	v_mad_u64_u32 v[59:60], null, v41, s8, 0
	v_mov_b32_e32 v135, 0
	v_mov_b32_e32 v136, 0
	v_cmp_ne_u32_e32 vcc_lo, 1, v65
	s_delay_alu instid0(VALU_DEP_2) | instskip(SKIP_1) | instid1(VALU_DEP_1)
	v_dual_mov_b32 v133, v135 :: v_dual_mov_b32 v134, v136
	v_add3_u32 v60, v60, v62, v61
	v_lshlrev_b64 v[59:60], 3, v[59:60]
	s_cbranch_vccnz .LBB561_175
; %bb.167:
	v_add_co_u32 v61, vcc_lo, s10, v57
	v_add_co_ci_u32_e32 v62, vcc_lo, s11, v58, vcc_lo
	s_delay_alu instid0(VALU_DEP_3) | instskip(NEXT) | instid1(VALU_DEP_4)
	v_add_co_u32 v57, vcc_lo, s10, v59
	v_add_co_ci_u32_e32 v58, vcc_lo, s11, v60, vcc_lo
	v_mov_b32_e32 v133, 1
	s_clause 0x1
	global_load_b64 v[63:64], v[61:62], off
	global_load_b64 v[66:67], v[57:58], off
	v_mov_b32_e32 v134, 0
	s_mov_b32 s1, exec_lo
	s_waitcnt vmcnt(0)
	v_cmpx_eq_u64_e64 v[63:64], v[66:67]
	s_cbranch_execz .LBB561_174
; %bb.168:
	v_add_co_u32 v57, vcc_lo, v57, 8
	v_add_co_ci_u32_e32 v58, vcc_lo, 0, v58, vcc_lo
	v_add_co_u32 v61, vcc_lo, v61, 8
	v_add_co_ci_u32_e32 v62, vcc_lo, 0, v62, vcc_lo
	s_add_u32 s14, s8, -1
	s_addc_u32 s15, s9, -1
	s_mov_b64 s[22:23], 0
	s_mov_b32 s3, 0
                                        ; implicit-def: $sgpr21
	s_set_inst_prefetch_distance 0x1
	s_branch .LBB561_171
	.p2align	6
.LBB561_169:                            ;   in Loop: Header=BB561_171 Depth=1
	global_load_b64 v[63:64], v[61:62], off
	global_load_b64 v[66:67], v[57:58], off
	v_add_co_u32 v57, vcc_lo, v57, 8
	v_add_co_ci_u32_e32 v58, vcc_lo, 0, v58, vcc_lo
	v_add_co_u32 v61, s0, v61, 8
	s_delay_alu instid0(VALU_DEP_1)
	v_add_co_ci_u32_e64 v62, s0, 0, v62, s0
	s_add_u32 s22, s22, 1
	s_addc_u32 s23, s23, 0
	s_and_not1_b32 s0, s21, exec_lo
	s_waitcnt vmcnt(0)
	v_cmp_ne_u64_e32 vcc_lo, v[63:64], v[66:67]
	s_and_b32 s21, vcc_lo, exec_lo
	s_delay_alu instid0(SALU_CYCLE_1)
	s_or_b32 s21, s0, s21
.LBB561_170:                            ;   in Loop: Header=BB561_171 Depth=1
	v_dual_mov_b32 v64, s23 :: v_dual_mov_b32 v63, s22
	s_and_b32 s0, exec_lo, s21
	s_delay_alu instid0(SALU_CYCLE_1) | instskip(NEXT) | instid1(SALU_CYCLE_1)
	s_or_b32 s3, s0, s3
	s_and_not1_b32 exec_lo, exec_lo, s3
	s_cbranch_execz .LBB561_173
.LBB561_171:                            ; =>This Inner Loop Header: Depth=1
	s_or_b32 s21, s21, exec_lo
	s_cmp_eq_u64 s[14:15], s[22:23]
	s_cbranch_scc0 .LBB561_169
; %bb.172:                              ;   in Loop: Header=BB561_171 Depth=1
	s_mov_b64 s[22:23], s[8:9]
                                        ; implicit-def: $vgpr57_vgpr58
                                        ; implicit-def: $vgpr61_vgpr62
	s_branch .LBB561_170
.LBB561_173:
	s_set_inst_prefetch_distance 0x2
	s_or_b32 exec_lo, exec_lo, s3
	v_cmp_gt_i64_e32 vcc_lo, s[8:9], v[63:64]
	s_mov_b32 s0, 0
	s_delay_alu instid0(SALU_CYCLE_1)
	v_mov_b32_e32 v134, s0
	v_cndmask_b32_e64 v133, 0, 1, vcc_lo
.LBB561_174:
	s_or_b32 exec_lo, exec_lo, s1
.LBB561_175:
	v_mul_lo_u32 v61, v40, s8
	v_mul_lo_u32 v62, v39, s9
	v_mad_u64_u32 v[57:58], null, v39, s8, 0
	v_cmp_ne_u32_e32 vcc_lo, 1, v65
	s_delay_alu instid0(VALU_DEP_2) | instskip(NEXT) | instid1(VALU_DEP_1)
	v_add3_u32 v58, v58, v62, v61
	v_lshlrev_b64 v[57:58], 3, v[57:58]
	s_cbranch_vccnz .LBB561_184
; %bb.176:
	v_add_co_u32 v61, vcc_lo, s10, v59
	v_add_co_ci_u32_e32 v62, vcc_lo, s11, v60, vcc_lo
	s_delay_alu instid0(VALU_DEP_3) | instskip(NEXT) | instid1(VALU_DEP_4)
	v_add_co_u32 v59, vcc_lo, s10, v57
	v_add_co_ci_u32_e32 v60, vcc_lo, s11, v58, vcc_lo
	v_mov_b32_e32 v135, 1
	s_clause 0x1
	global_load_b64 v[63:64], v[61:62], off
	global_load_b64 v[66:67], v[59:60], off
	v_mov_b32_e32 v136, 0
	s_mov_b32 s1, exec_lo
	s_waitcnt vmcnt(0)
	v_cmpx_eq_u64_e64 v[63:64], v[66:67]
	s_cbranch_execz .LBB561_183
; %bb.177:
	v_add_co_u32 v59, vcc_lo, v59, 8
	v_add_co_ci_u32_e32 v60, vcc_lo, 0, v60, vcc_lo
	v_add_co_u32 v61, vcc_lo, v61, 8
	v_add_co_ci_u32_e32 v62, vcc_lo, 0, v62, vcc_lo
	s_add_u32 s14, s8, -1
	s_addc_u32 s15, s9, -1
	s_mov_b64 s[22:23], 0
	s_mov_b32 s3, 0
                                        ; implicit-def: $sgpr21
	s_set_inst_prefetch_distance 0x1
	s_branch .LBB561_180
	.p2align	6
.LBB561_178:                            ;   in Loop: Header=BB561_180 Depth=1
	global_load_b64 v[63:64], v[61:62], off
	global_load_b64 v[66:67], v[59:60], off
	v_add_co_u32 v59, vcc_lo, v59, 8
	v_add_co_ci_u32_e32 v60, vcc_lo, 0, v60, vcc_lo
	v_add_co_u32 v61, s0, v61, 8
	s_delay_alu instid0(VALU_DEP_1)
	v_add_co_ci_u32_e64 v62, s0, 0, v62, s0
	s_add_u32 s22, s22, 1
	s_addc_u32 s23, s23, 0
	s_and_not1_b32 s0, s21, exec_lo
	s_waitcnt vmcnt(0)
	v_cmp_ne_u64_e32 vcc_lo, v[63:64], v[66:67]
	s_and_b32 s21, vcc_lo, exec_lo
	s_delay_alu instid0(SALU_CYCLE_1)
	s_or_b32 s21, s0, s21
.LBB561_179:                            ;   in Loop: Header=BB561_180 Depth=1
	v_dual_mov_b32 v64, s23 :: v_dual_mov_b32 v63, s22
	s_and_b32 s0, exec_lo, s21
	s_delay_alu instid0(SALU_CYCLE_1) | instskip(NEXT) | instid1(SALU_CYCLE_1)
	s_or_b32 s3, s0, s3
	s_and_not1_b32 exec_lo, exec_lo, s3
	s_cbranch_execz .LBB561_182
.LBB561_180:                            ; =>This Inner Loop Header: Depth=1
	s_or_b32 s21, s21, exec_lo
	s_cmp_eq_u64 s[14:15], s[22:23]
	s_cbranch_scc0 .LBB561_178
; %bb.181:                              ;   in Loop: Header=BB561_180 Depth=1
	s_mov_b64 s[22:23], s[8:9]
                                        ; implicit-def: $vgpr59_vgpr60
                                        ; implicit-def: $vgpr61_vgpr62
	s_branch .LBB561_179
.LBB561_182:
	s_set_inst_prefetch_distance 0x2
	s_or_b32 exec_lo, exec_lo, s3
	v_cmp_gt_i64_e32 vcc_lo, s[8:9], v[63:64]
	s_mov_b32 s0, 0
	s_delay_alu instid0(SALU_CYCLE_1)
	v_mov_b32_e32 v136, s0
	v_cndmask_b32_e64 v135, 0, 1, vcc_lo
.LBB561_183:
	s_or_b32 exec_lo, exec_lo, s1
.LBB561_184:
	v_mul_lo_u32 v61, v38, s8
	v_mul_lo_u32 v62, v37, s9
	v_mad_u64_u32 v[59:60], null, v37, s8, 0
	v_mov_b32_e32 v139, 0
	v_mov_b32_e32 v140, 0
	v_cmp_ne_u32_e32 vcc_lo, 1, v65
	s_delay_alu instid0(VALU_DEP_2) | instskip(SKIP_1) | instid1(VALU_DEP_1)
	v_dual_mov_b32 v137, v139 :: v_dual_mov_b32 v138, v140
	v_add3_u32 v60, v60, v62, v61
	v_lshlrev_b64 v[59:60], 3, v[59:60]
	s_cbranch_vccnz .LBB561_193
; %bb.185:
	v_add_co_u32 v61, vcc_lo, s10, v57
	v_add_co_ci_u32_e32 v62, vcc_lo, s11, v58, vcc_lo
	s_delay_alu instid0(VALU_DEP_3) | instskip(NEXT) | instid1(VALU_DEP_4)
	v_add_co_u32 v57, vcc_lo, s10, v59
	v_add_co_ci_u32_e32 v58, vcc_lo, s11, v60, vcc_lo
	v_mov_b32_e32 v137, 1
	s_clause 0x1
	global_load_b64 v[63:64], v[61:62], off
	global_load_b64 v[66:67], v[57:58], off
	v_mov_b32_e32 v138, 0
	s_mov_b32 s1, exec_lo
	s_waitcnt vmcnt(0)
	v_cmpx_eq_u64_e64 v[63:64], v[66:67]
	s_cbranch_execz .LBB561_192
; %bb.186:
	v_add_co_u32 v57, vcc_lo, v57, 8
	v_add_co_ci_u32_e32 v58, vcc_lo, 0, v58, vcc_lo
	v_add_co_u32 v61, vcc_lo, v61, 8
	v_add_co_ci_u32_e32 v62, vcc_lo, 0, v62, vcc_lo
	s_add_u32 s14, s8, -1
	s_addc_u32 s15, s9, -1
	s_mov_b64 s[22:23], 0
	s_mov_b32 s3, 0
                                        ; implicit-def: $sgpr21
	s_set_inst_prefetch_distance 0x1
	s_branch .LBB561_189
	.p2align	6
.LBB561_187:                            ;   in Loop: Header=BB561_189 Depth=1
	global_load_b64 v[63:64], v[61:62], off
	global_load_b64 v[66:67], v[57:58], off
	v_add_co_u32 v57, vcc_lo, v57, 8
	v_add_co_ci_u32_e32 v58, vcc_lo, 0, v58, vcc_lo
	v_add_co_u32 v61, s0, v61, 8
	s_delay_alu instid0(VALU_DEP_1)
	v_add_co_ci_u32_e64 v62, s0, 0, v62, s0
	s_add_u32 s22, s22, 1
	s_addc_u32 s23, s23, 0
	s_and_not1_b32 s0, s21, exec_lo
	s_waitcnt vmcnt(0)
	v_cmp_ne_u64_e32 vcc_lo, v[63:64], v[66:67]
	s_and_b32 s21, vcc_lo, exec_lo
	s_delay_alu instid0(SALU_CYCLE_1)
	s_or_b32 s21, s0, s21
.LBB561_188:                            ;   in Loop: Header=BB561_189 Depth=1
	v_dual_mov_b32 v64, s23 :: v_dual_mov_b32 v63, s22
	s_and_b32 s0, exec_lo, s21
	s_delay_alu instid0(SALU_CYCLE_1) | instskip(NEXT) | instid1(SALU_CYCLE_1)
	s_or_b32 s3, s0, s3
	s_and_not1_b32 exec_lo, exec_lo, s3
	s_cbranch_execz .LBB561_191
.LBB561_189:                            ; =>This Inner Loop Header: Depth=1
	s_or_b32 s21, s21, exec_lo
	s_cmp_eq_u64 s[14:15], s[22:23]
	s_cbranch_scc0 .LBB561_187
; %bb.190:                              ;   in Loop: Header=BB561_189 Depth=1
	s_mov_b64 s[22:23], s[8:9]
                                        ; implicit-def: $vgpr57_vgpr58
                                        ; implicit-def: $vgpr61_vgpr62
	s_branch .LBB561_188
.LBB561_191:
	s_set_inst_prefetch_distance 0x2
	s_or_b32 exec_lo, exec_lo, s3
	v_cmp_gt_i64_e32 vcc_lo, s[8:9], v[63:64]
	s_mov_b32 s0, 0
	s_delay_alu instid0(SALU_CYCLE_1)
	v_mov_b32_e32 v138, s0
	v_cndmask_b32_e64 v137, 0, 1, vcc_lo
.LBB561_192:
	s_or_b32 exec_lo, exec_lo, s1
.LBB561_193:
	v_mul_lo_u32 v61, v36, s8
	v_mul_lo_u32 v62, v35, s9
	v_mad_u64_u32 v[57:58], null, v35, s8, 0
	v_cmp_ne_u32_e32 vcc_lo, 1, v65
	s_delay_alu instid0(VALU_DEP_2) | instskip(NEXT) | instid1(VALU_DEP_1)
	v_add3_u32 v58, v58, v62, v61
	v_lshlrev_b64 v[57:58], 3, v[57:58]
	s_cbranch_vccnz .LBB561_202
; %bb.194:
	v_add_co_u32 v61, vcc_lo, s10, v59
	v_add_co_ci_u32_e32 v62, vcc_lo, s11, v60, vcc_lo
	s_delay_alu instid0(VALU_DEP_3) | instskip(NEXT) | instid1(VALU_DEP_4)
	v_add_co_u32 v59, vcc_lo, s10, v57
	v_add_co_ci_u32_e32 v60, vcc_lo, s11, v58, vcc_lo
	v_mov_b32_e32 v139, 1
	s_clause 0x1
	global_load_b64 v[63:64], v[61:62], off
	global_load_b64 v[66:67], v[59:60], off
	v_mov_b32_e32 v140, 0
	s_mov_b32 s1, exec_lo
	s_waitcnt vmcnt(0)
	v_cmpx_eq_u64_e64 v[63:64], v[66:67]
	s_cbranch_execz .LBB561_201
; %bb.195:
	v_add_co_u32 v59, vcc_lo, v59, 8
	v_add_co_ci_u32_e32 v60, vcc_lo, 0, v60, vcc_lo
	v_add_co_u32 v61, vcc_lo, v61, 8
	v_add_co_ci_u32_e32 v62, vcc_lo, 0, v62, vcc_lo
	s_add_u32 s14, s8, -1
	s_addc_u32 s15, s9, -1
	s_mov_b64 s[22:23], 0
	s_mov_b32 s3, 0
                                        ; implicit-def: $sgpr21
	s_set_inst_prefetch_distance 0x1
	s_branch .LBB561_198
	.p2align	6
.LBB561_196:                            ;   in Loop: Header=BB561_198 Depth=1
	global_load_b64 v[63:64], v[61:62], off
	global_load_b64 v[66:67], v[59:60], off
	v_add_co_u32 v59, vcc_lo, v59, 8
	v_add_co_ci_u32_e32 v60, vcc_lo, 0, v60, vcc_lo
	v_add_co_u32 v61, s0, v61, 8
	s_delay_alu instid0(VALU_DEP_1)
	v_add_co_ci_u32_e64 v62, s0, 0, v62, s0
	s_add_u32 s22, s22, 1
	s_addc_u32 s23, s23, 0
	s_and_not1_b32 s0, s21, exec_lo
	s_waitcnt vmcnt(0)
	v_cmp_ne_u64_e32 vcc_lo, v[63:64], v[66:67]
	s_and_b32 s21, vcc_lo, exec_lo
	s_delay_alu instid0(SALU_CYCLE_1)
	s_or_b32 s21, s0, s21
.LBB561_197:                            ;   in Loop: Header=BB561_198 Depth=1
	v_dual_mov_b32 v64, s23 :: v_dual_mov_b32 v63, s22
	s_and_b32 s0, exec_lo, s21
	s_delay_alu instid0(SALU_CYCLE_1) | instskip(NEXT) | instid1(SALU_CYCLE_1)
	s_or_b32 s3, s0, s3
	s_and_not1_b32 exec_lo, exec_lo, s3
	s_cbranch_execz .LBB561_200
.LBB561_198:                            ; =>This Inner Loop Header: Depth=1
	s_or_b32 s21, s21, exec_lo
	s_cmp_eq_u64 s[14:15], s[22:23]
	s_cbranch_scc0 .LBB561_196
; %bb.199:                              ;   in Loop: Header=BB561_198 Depth=1
	s_mov_b64 s[22:23], s[8:9]
                                        ; implicit-def: $vgpr59_vgpr60
                                        ; implicit-def: $vgpr61_vgpr62
	s_branch .LBB561_197
.LBB561_200:
	s_set_inst_prefetch_distance 0x2
	s_or_b32 exec_lo, exec_lo, s3
	v_cmp_gt_i64_e32 vcc_lo, s[8:9], v[63:64]
	s_mov_b32 s0, 0
	s_delay_alu instid0(SALU_CYCLE_1)
	v_mov_b32_e32 v140, s0
	v_cndmask_b32_e64 v139, 0, 1, vcc_lo
.LBB561_201:
	s_or_b32 exec_lo, exec_lo, s1
.LBB561_202:
	v_mul_lo_u32 v61, v34, s8
	v_mul_lo_u32 v62, v33, s9
	v_mad_u64_u32 v[59:60], null, v33, s8, 0
	v_mov_b32_e32 v143, 0
	v_mov_b32_e32 v144, 0
	v_cmp_ne_u32_e32 vcc_lo, 1, v65
	s_delay_alu instid0(VALU_DEP_2) | instskip(SKIP_1) | instid1(VALU_DEP_1)
	v_dual_mov_b32 v141, v143 :: v_dual_mov_b32 v142, v144
	v_add3_u32 v60, v60, v62, v61
	v_lshlrev_b64 v[59:60], 3, v[59:60]
	s_cbranch_vccnz .LBB561_211
; %bb.203:
	v_add_co_u32 v61, vcc_lo, s10, v57
	v_add_co_ci_u32_e32 v62, vcc_lo, s11, v58, vcc_lo
	s_delay_alu instid0(VALU_DEP_3) | instskip(NEXT) | instid1(VALU_DEP_4)
	v_add_co_u32 v57, vcc_lo, s10, v59
	v_add_co_ci_u32_e32 v58, vcc_lo, s11, v60, vcc_lo
	v_mov_b32_e32 v141, 1
	s_clause 0x1
	global_load_b64 v[63:64], v[61:62], off
	global_load_b64 v[66:67], v[57:58], off
	v_mov_b32_e32 v142, 0
	s_mov_b32 s1, exec_lo
	s_waitcnt vmcnt(0)
	v_cmpx_eq_u64_e64 v[63:64], v[66:67]
	s_cbranch_execz .LBB561_210
; %bb.204:
	v_add_co_u32 v57, vcc_lo, v57, 8
	v_add_co_ci_u32_e32 v58, vcc_lo, 0, v58, vcc_lo
	v_add_co_u32 v61, vcc_lo, v61, 8
	v_add_co_ci_u32_e32 v62, vcc_lo, 0, v62, vcc_lo
	s_add_u32 s14, s8, -1
	s_addc_u32 s15, s9, -1
	s_mov_b64 s[22:23], 0
	s_mov_b32 s3, 0
                                        ; implicit-def: $sgpr21
	s_set_inst_prefetch_distance 0x1
	s_branch .LBB561_207
	.p2align	6
.LBB561_205:                            ;   in Loop: Header=BB561_207 Depth=1
	global_load_b64 v[63:64], v[61:62], off
	global_load_b64 v[66:67], v[57:58], off
	v_add_co_u32 v57, vcc_lo, v57, 8
	v_add_co_ci_u32_e32 v58, vcc_lo, 0, v58, vcc_lo
	v_add_co_u32 v61, s0, v61, 8
	s_delay_alu instid0(VALU_DEP_1)
	v_add_co_ci_u32_e64 v62, s0, 0, v62, s0
	s_add_u32 s22, s22, 1
	s_addc_u32 s23, s23, 0
	s_and_not1_b32 s0, s21, exec_lo
	s_waitcnt vmcnt(0)
	v_cmp_ne_u64_e32 vcc_lo, v[63:64], v[66:67]
	s_and_b32 s21, vcc_lo, exec_lo
	s_delay_alu instid0(SALU_CYCLE_1)
	s_or_b32 s21, s0, s21
.LBB561_206:                            ;   in Loop: Header=BB561_207 Depth=1
	v_dual_mov_b32 v64, s23 :: v_dual_mov_b32 v63, s22
	s_and_b32 s0, exec_lo, s21
	s_delay_alu instid0(SALU_CYCLE_1) | instskip(NEXT) | instid1(SALU_CYCLE_1)
	s_or_b32 s3, s0, s3
	s_and_not1_b32 exec_lo, exec_lo, s3
	s_cbranch_execz .LBB561_209
.LBB561_207:                            ; =>This Inner Loop Header: Depth=1
	s_or_b32 s21, s21, exec_lo
	s_cmp_eq_u64 s[14:15], s[22:23]
	s_cbranch_scc0 .LBB561_205
; %bb.208:                              ;   in Loop: Header=BB561_207 Depth=1
	s_mov_b64 s[22:23], s[8:9]
                                        ; implicit-def: $vgpr57_vgpr58
                                        ; implicit-def: $vgpr61_vgpr62
	s_branch .LBB561_206
.LBB561_209:
	s_set_inst_prefetch_distance 0x2
	s_or_b32 exec_lo, exec_lo, s3
	v_cmp_gt_i64_e32 vcc_lo, s[8:9], v[63:64]
	s_mov_b32 s0, 0
	s_delay_alu instid0(SALU_CYCLE_1)
	v_mov_b32_e32 v142, s0
	v_cndmask_b32_e64 v141, 0, 1, vcc_lo
.LBB561_210:
	s_or_b32 exec_lo, exec_lo, s1
.LBB561_211:
	v_mul_lo_u32 v61, v32, s8
	v_mul_lo_u32 v62, v31, s9
	v_mad_u64_u32 v[57:58], null, v31, s8, 0
	v_cmp_ne_u32_e32 vcc_lo, 1, v65
	s_delay_alu instid0(VALU_DEP_2) | instskip(NEXT) | instid1(VALU_DEP_1)
	v_add3_u32 v58, v58, v62, v61
	v_lshlrev_b64 v[57:58], 3, v[57:58]
	s_cbranch_vccnz .LBB561_220
; %bb.212:
	v_add_co_u32 v61, vcc_lo, s10, v59
	v_add_co_ci_u32_e32 v62, vcc_lo, s11, v60, vcc_lo
	s_delay_alu instid0(VALU_DEP_3) | instskip(NEXT) | instid1(VALU_DEP_4)
	v_add_co_u32 v59, vcc_lo, s10, v57
	v_add_co_ci_u32_e32 v60, vcc_lo, s11, v58, vcc_lo
	v_mov_b32_e32 v143, 1
	s_clause 0x1
	global_load_b64 v[63:64], v[61:62], off
	global_load_b64 v[66:67], v[59:60], off
	v_mov_b32_e32 v144, 0
	s_mov_b32 s1, exec_lo
	s_waitcnt vmcnt(0)
	v_cmpx_eq_u64_e64 v[63:64], v[66:67]
	s_cbranch_execz .LBB561_219
; %bb.213:
	v_add_co_u32 v59, vcc_lo, v59, 8
	v_add_co_ci_u32_e32 v60, vcc_lo, 0, v60, vcc_lo
	v_add_co_u32 v61, vcc_lo, v61, 8
	v_add_co_ci_u32_e32 v62, vcc_lo, 0, v62, vcc_lo
	s_add_u32 s14, s8, -1
	s_addc_u32 s15, s9, -1
	s_mov_b64 s[22:23], 0
	s_mov_b32 s3, 0
                                        ; implicit-def: $sgpr21
	s_set_inst_prefetch_distance 0x1
	s_branch .LBB561_216
	.p2align	6
.LBB561_214:                            ;   in Loop: Header=BB561_216 Depth=1
	global_load_b64 v[63:64], v[61:62], off
	global_load_b64 v[66:67], v[59:60], off
	v_add_co_u32 v59, vcc_lo, v59, 8
	v_add_co_ci_u32_e32 v60, vcc_lo, 0, v60, vcc_lo
	v_add_co_u32 v61, s0, v61, 8
	s_delay_alu instid0(VALU_DEP_1)
	v_add_co_ci_u32_e64 v62, s0, 0, v62, s0
	s_add_u32 s22, s22, 1
	s_addc_u32 s23, s23, 0
	s_and_not1_b32 s0, s21, exec_lo
	s_waitcnt vmcnt(0)
	v_cmp_ne_u64_e32 vcc_lo, v[63:64], v[66:67]
	s_and_b32 s21, vcc_lo, exec_lo
	s_delay_alu instid0(SALU_CYCLE_1)
	s_or_b32 s21, s0, s21
.LBB561_215:                            ;   in Loop: Header=BB561_216 Depth=1
	v_dual_mov_b32 v64, s23 :: v_dual_mov_b32 v63, s22
	s_and_b32 s0, exec_lo, s21
	s_delay_alu instid0(SALU_CYCLE_1) | instskip(NEXT) | instid1(SALU_CYCLE_1)
	s_or_b32 s3, s0, s3
	s_and_not1_b32 exec_lo, exec_lo, s3
	s_cbranch_execz .LBB561_218
.LBB561_216:                            ; =>This Inner Loop Header: Depth=1
	s_or_b32 s21, s21, exec_lo
	s_cmp_eq_u64 s[14:15], s[22:23]
	s_cbranch_scc0 .LBB561_214
; %bb.217:                              ;   in Loop: Header=BB561_216 Depth=1
	s_mov_b64 s[22:23], s[8:9]
                                        ; implicit-def: $vgpr59_vgpr60
                                        ; implicit-def: $vgpr61_vgpr62
	s_branch .LBB561_215
.LBB561_218:
	s_set_inst_prefetch_distance 0x2
	s_or_b32 exec_lo, exec_lo, s3
	v_cmp_gt_i64_e32 vcc_lo, s[8:9], v[63:64]
	s_mov_b32 s0, 0
	s_delay_alu instid0(SALU_CYCLE_1)
	v_mov_b32_e32 v144, s0
	v_cndmask_b32_e64 v143, 0, 1, vcc_lo
.LBB561_219:
	s_or_b32 exec_lo, exec_lo, s1
.LBB561_220:
	v_mul_lo_u32 v61, v30, s8
	v_mul_lo_u32 v62, v29, s9
	v_mad_u64_u32 v[59:60], null, v29, s8, 0
	v_mov_b32_e32 v147, 0
	v_mov_b32_e32 v148, 0
	v_cmp_ne_u32_e32 vcc_lo, 1, v65
	s_delay_alu instid0(VALU_DEP_2) | instskip(SKIP_1) | instid1(VALU_DEP_1)
	v_dual_mov_b32 v145, v147 :: v_dual_mov_b32 v146, v148
	v_add3_u32 v60, v60, v62, v61
	v_lshlrev_b64 v[59:60], 3, v[59:60]
	s_cbranch_vccnz .LBB561_229
; %bb.221:
	v_add_co_u32 v61, vcc_lo, s10, v57
	v_add_co_ci_u32_e32 v62, vcc_lo, s11, v58, vcc_lo
	s_delay_alu instid0(VALU_DEP_3) | instskip(NEXT) | instid1(VALU_DEP_4)
	v_add_co_u32 v57, vcc_lo, s10, v59
	v_add_co_ci_u32_e32 v58, vcc_lo, s11, v60, vcc_lo
	v_mov_b32_e32 v145, 1
	s_clause 0x1
	global_load_b64 v[63:64], v[61:62], off
	global_load_b64 v[66:67], v[57:58], off
	v_mov_b32_e32 v146, 0
	s_mov_b32 s1, exec_lo
	s_waitcnt vmcnt(0)
	v_cmpx_eq_u64_e64 v[63:64], v[66:67]
	s_cbranch_execz .LBB561_228
; %bb.222:
	v_add_co_u32 v57, vcc_lo, v57, 8
	v_add_co_ci_u32_e32 v58, vcc_lo, 0, v58, vcc_lo
	v_add_co_u32 v61, vcc_lo, v61, 8
	v_add_co_ci_u32_e32 v62, vcc_lo, 0, v62, vcc_lo
	s_add_u32 s14, s8, -1
	s_addc_u32 s15, s9, -1
	s_mov_b64 s[22:23], 0
	s_mov_b32 s3, 0
                                        ; implicit-def: $sgpr21
	s_set_inst_prefetch_distance 0x1
	s_branch .LBB561_225
	.p2align	6
.LBB561_223:                            ;   in Loop: Header=BB561_225 Depth=1
	global_load_b64 v[63:64], v[61:62], off
	global_load_b64 v[66:67], v[57:58], off
	v_add_co_u32 v57, vcc_lo, v57, 8
	v_add_co_ci_u32_e32 v58, vcc_lo, 0, v58, vcc_lo
	v_add_co_u32 v61, s0, v61, 8
	s_delay_alu instid0(VALU_DEP_1)
	v_add_co_ci_u32_e64 v62, s0, 0, v62, s0
	s_add_u32 s22, s22, 1
	s_addc_u32 s23, s23, 0
	s_and_not1_b32 s0, s21, exec_lo
	s_waitcnt vmcnt(0)
	v_cmp_ne_u64_e32 vcc_lo, v[63:64], v[66:67]
	s_and_b32 s21, vcc_lo, exec_lo
	s_delay_alu instid0(SALU_CYCLE_1)
	s_or_b32 s21, s0, s21
.LBB561_224:                            ;   in Loop: Header=BB561_225 Depth=1
	v_dual_mov_b32 v64, s23 :: v_dual_mov_b32 v63, s22
	s_and_b32 s0, exec_lo, s21
	s_delay_alu instid0(SALU_CYCLE_1) | instskip(NEXT) | instid1(SALU_CYCLE_1)
	s_or_b32 s3, s0, s3
	s_and_not1_b32 exec_lo, exec_lo, s3
	s_cbranch_execz .LBB561_227
.LBB561_225:                            ; =>This Inner Loop Header: Depth=1
	s_or_b32 s21, s21, exec_lo
	s_cmp_eq_u64 s[14:15], s[22:23]
	s_cbranch_scc0 .LBB561_223
; %bb.226:                              ;   in Loop: Header=BB561_225 Depth=1
	s_mov_b64 s[22:23], s[8:9]
                                        ; implicit-def: $vgpr57_vgpr58
                                        ; implicit-def: $vgpr61_vgpr62
	s_branch .LBB561_224
.LBB561_227:
	s_set_inst_prefetch_distance 0x2
	s_or_b32 exec_lo, exec_lo, s3
	v_cmp_gt_i64_e32 vcc_lo, s[8:9], v[63:64]
	s_mov_b32 s0, 0
	s_delay_alu instid0(SALU_CYCLE_1)
	v_mov_b32_e32 v146, s0
	v_cndmask_b32_e64 v145, 0, 1, vcc_lo
.LBB561_228:
	s_or_b32 exec_lo, exec_lo, s1
.LBB561_229:
	v_mul_lo_u32 v61, v28, s8
	v_mul_lo_u32 v62, v27, s9
	v_mad_u64_u32 v[57:58], null, v27, s8, 0
	v_cmp_ne_u32_e32 vcc_lo, 1, v65
	s_delay_alu instid0(VALU_DEP_2) | instskip(NEXT) | instid1(VALU_DEP_1)
	v_add3_u32 v58, v58, v62, v61
	v_lshlrev_b64 v[57:58], 3, v[57:58]
	s_cbranch_vccnz .LBB561_238
; %bb.230:
	v_add_co_u32 v61, vcc_lo, s10, v59
	v_add_co_ci_u32_e32 v62, vcc_lo, s11, v60, vcc_lo
	s_delay_alu instid0(VALU_DEP_3) | instskip(NEXT) | instid1(VALU_DEP_4)
	v_add_co_u32 v59, vcc_lo, s10, v57
	v_add_co_ci_u32_e32 v60, vcc_lo, s11, v58, vcc_lo
	v_mov_b32_e32 v147, 1
	s_clause 0x1
	global_load_b64 v[63:64], v[61:62], off
	global_load_b64 v[66:67], v[59:60], off
	v_mov_b32_e32 v148, 0
	s_mov_b32 s1, exec_lo
	s_waitcnt vmcnt(0)
	v_cmpx_eq_u64_e64 v[63:64], v[66:67]
	s_cbranch_execz .LBB561_237
; %bb.231:
	v_add_co_u32 v59, vcc_lo, v59, 8
	v_add_co_ci_u32_e32 v60, vcc_lo, 0, v60, vcc_lo
	v_add_co_u32 v61, vcc_lo, v61, 8
	v_add_co_ci_u32_e32 v62, vcc_lo, 0, v62, vcc_lo
	s_add_u32 s14, s8, -1
	s_addc_u32 s15, s9, -1
	s_mov_b64 s[22:23], 0
	s_mov_b32 s3, 0
                                        ; implicit-def: $sgpr21
	s_set_inst_prefetch_distance 0x1
	s_branch .LBB561_234
	.p2align	6
.LBB561_232:                            ;   in Loop: Header=BB561_234 Depth=1
	global_load_b64 v[63:64], v[61:62], off
	global_load_b64 v[66:67], v[59:60], off
	v_add_co_u32 v59, vcc_lo, v59, 8
	v_add_co_ci_u32_e32 v60, vcc_lo, 0, v60, vcc_lo
	v_add_co_u32 v61, s0, v61, 8
	s_delay_alu instid0(VALU_DEP_1)
	v_add_co_ci_u32_e64 v62, s0, 0, v62, s0
	s_add_u32 s22, s22, 1
	s_addc_u32 s23, s23, 0
	s_and_not1_b32 s0, s21, exec_lo
	s_waitcnt vmcnt(0)
	v_cmp_ne_u64_e32 vcc_lo, v[63:64], v[66:67]
	s_and_b32 s21, vcc_lo, exec_lo
	s_delay_alu instid0(SALU_CYCLE_1)
	s_or_b32 s21, s0, s21
.LBB561_233:                            ;   in Loop: Header=BB561_234 Depth=1
	v_dual_mov_b32 v64, s23 :: v_dual_mov_b32 v63, s22
	s_and_b32 s0, exec_lo, s21
	s_delay_alu instid0(SALU_CYCLE_1) | instskip(NEXT) | instid1(SALU_CYCLE_1)
	s_or_b32 s3, s0, s3
	s_and_not1_b32 exec_lo, exec_lo, s3
	s_cbranch_execz .LBB561_236
.LBB561_234:                            ; =>This Inner Loop Header: Depth=1
	s_or_b32 s21, s21, exec_lo
	s_cmp_eq_u64 s[14:15], s[22:23]
	s_cbranch_scc0 .LBB561_232
; %bb.235:                              ;   in Loop: Header=BB561_234 Depth=1
	s_mov_b64 s[22:23], s[8:9]
                                        ; implicit-def: $vgpr59_vgpr60
                                        ; implicit-def: $vgpr61_vgpr62
	s_branch .LBB561_233
.LBB561_236:
	s_set_inst_prefetch_distance 0x2
	s_or_b32 exec_lo, exec_lo, s3
	v_cmp_gt_i64_e32 vcc_lo, s[8:9], v[63:64]
	s_mov_b32 s0, 0
	s_delay_alu instid0(SALU_CYCLE_1)
	v_mov_b32_e32 v148, s0
	v_cndmask_b32_e64 v147, 0, 1, vcc_lo
.LBB561_237:
	s_or_b32 exec_lo, exec_lo, s1
.LBB561_238:
	v_mul_lo_u32 v61, v26, s8
	v_mul_lo_u32 v62, v25, s9
	v_mad_u64_u32 v[59:60], null, v25, s8, 0
	v_mov_b32_e32 v151, 0
	v_mov_b32_e32 v152, 0
	v_cmp_ne_u32_e32 vcc_lo, 1, v65
	s_delay_alu instid0(VALU_DEP_2) | instskip(SKIP_1) | instid1(VALU_DEP_1)
	v_dual_mov_b32 v149, v151 :: v_dual_mov_b32 v150, v152
	v_add3_u32 v60, v60, v62, v61
	v_lshlrev_b64 v[59:60], 3, v[59:60]
	s_cbranch_vccnz .LBB561_247
; %bb.239:
	v_add_co_u32 v61, vcc_lo, s10, v57
	v_add_co_ci_u32_e32 v62, vcc_lo, s11, v58, vcc_lo
	s_delay_alu instid0(VALU_DEP_3) | instskip(NEXT) | instid1(VALU_DEP_4)
	v_add_co_u32 v57, vcc_lo, s10, v59
	v_add_co_ci_u32_e32 v58, vcc_lo, s11, v60, vcc_lo
	v_mov_b32_e32 v149, 1
	s_clause 0x1
	global_load_b64 v[63:64], v[61:62], off
	global_load_b64 v[66:67], v[57:58], off
	v_mov_b32_e32 v150, 0
	s_mov_b32 s1, exec_lo
	s_waitcnt vmcnt(0)
	v_cmpx_eq_u64_e64 v[63:64], v[66:67]
	s_cbranch_execz .LBB561_246
; %bb.240:
	v_add_co_u32 v57, vcc_lo, v57, 8
	v_add_co_ci_u32_e32 v58, vcc_lo, 0, v58, vcc_lo
	v_add_co_u32 v61, vcc_lo, v61, 8
	v_add_co_ci_u32_e32 v62, vcc_lo, 0, v62, vcc_lo
	s_add_u32 s14, s8, -1
	s_addc_u32 s15, s9, -1
	s_mov_b64 s[22:23], 0
	s_mov_b32 s3, 0
                                        ; implicit-def: $sgpr21
	s_set_inst_prefetch_distance 0x1
	s_branch .LBB561_243
	.p2align	6
.LBB561_241:                            ;   in Loop: Header=BB561_243 Depth=1
	global_load_b64 v[63:64], v[61:62], off
	global_load_b64 v[66:67], v[57:58], off
	v_add_co_u32 v57, vcc_lo, v57, 8
	v_add_co_ci_u32_e32 v58, vcc_lo, 0, v58, vcc_lo
	v_add_co_u32 v61, s0, v61, 8
	s_delay_alu instid0(VALU_DEP_1)
	v_add_co_ci_u32_e64 v62, s0, 0, v62, s0
	s_add_u32 s22, s22, 1
	s_addc_u32 s23, s23, 0
	s_and_not1_b32 s0, s21, exec_lo
	s_waitcnt vmcnt(0)
	v_cmp_ne_u64_e32 vcc_lo, v[63:64], v[66:67]
	s_and_b32 s21, vcc_lo, exec_lo
	s_delay_alu instid0(SALU_CYCLE_1)
	s_or_b32 s21, s0, s21
.LBB561_242:                            ;   in Loop: Header=BB561_243 Depth=1
	v_dual_mov_b32 v64, s23 :: v_dual_mov_b32 v63, s22
	s_and_b32 s0, exec_lo, s21
	s_delay_alu instid0(SALU_CYCLE_1) | instskip(NEXT) | instid1(SALU_CYCLE_1)
	s_or_b32 s3, s0, s3
	s_and_not1_b32 exec_lo, exec_lo, s3
	s_cbranch_execz .LBB561_245
.LBB561_243:                            ; =>This Inner Loop Header: Depth=1
	s_or_b32 s21, s21, exec_lo
	s_cmp_eq_u64 s[14:15], s[22:23]
	s_cbranch_scc0 .LBB561_241
; %bb.244:                              ;   in Loop: Header=BB561_243 Depth=1
	s_mov_b64 s[22:23], s[8:9]
                                        ; implicit-def: $vgpr57_vgpr58
                                        ; implicit-def: $vgpr61_vgpr62
	s_branch .LBB561_242
.LBB561_245:
	s_set_inst_prefetch_distance 0x2
	s_or_b32 exec_lo, exec_lo, s3
	v_cmp_gt_i64_e32 vcc_lo, s[8:9], v[63:64]
	s_mov_b32 s0, 0
	s_delay_alu instid0(SALU_CYCLE_1)
	v_mov_b32_e32 v150, s0
	v_cndmask_b32_e64 v149, 0, 1, vcc_lo
.LBB561_246:
	s_or_b32 exec_lo, exec_lo, s1
.LBB561_247:
	v_mul_lo_u32 v61, v24, s8
	v_mul_lo_u32 v62, v23, s9
	v_mad_u64_u32 v[57:58], null, v23, s8, 0
	v_cmp_ne_u32_e32 vcc_lo, 1, v65
	s_delay_alu instid0(VALU_DEP_2) | instskip(NEXT) | instid1(VALU_DEP_1)
	v_add3_u32 v58, v58, v62, v61
	v_lshlrev_b64 v[57:58], 3, v[57:58]
	s_cbranch_vccnz .LBB561_256
; %bb.248:
	v_add_co_u32 v61, vcc_lo, s10, v59
	v_add_co_ci_u32_e32 v62, vcc_lo, s11, v60, vcc_lo
	s_delay_alu instid0(VALU_DEP_3) | instskip(NEXT) | instid1(VALU_DEP_4)
	v_add_co_u32 v59, vcc_lo, s10, v57
	v_add_co_ci_u32_e32 v60, vcc_lo, s11, v58, vcc_lo
	v_mov_b32_e32 v151, 1
	s_clause 0x1
	global_load_b64 v[63:64], v[61:62], off
	global_load_b64 v[66:67], v[59:60], off
	v_mov_b32_e32 v152, 0
	s_mov_b32 s1, exec_lo
	s_waitcnt vmcnt(0)
	v_cmpx_eq_u64_e64 v[63:64], v[66:67]
	s_cbranch_execz .LBB561_255
; %bb.249:
	v_add_co_u32 v59, vcc_lo, v59, 8
	v_add_co_ci_u32_e32 v60, vcc_lo, 0, v60, vcc_lo
	v_add_co_u32 v61, vcc_lo, v61, 8
	v_add_co_ci_u32_e32 v62, vcc_lo, 0, v62, vcc_lo
	s_add_u32 s14, s8, -1
	s_addc_u32 s15, s9, -1
	s_mov_b64 s[22:23], 0
	s_mov_b32 s3, 0
                                        ; implicit-def: $sgpr21
	s_set_inst_prefetch_distance 0x1
	s_branch .LBB561_252
	.p2align	6
.LBB561_250:                            ;   in Loop: Header=BB561_252 Depth=1
	global_load_b64 v[63:64], v[61:62], off
	global_load_b64 v[66:67], v[59:60], off
	v_add_co_u32 v59, vcc_lo, v59, 8
	v_add_co_ci_u32_e32 v60, vcc_lo, 0, v60, vcc_lo
	v_add_co_u32 v61, s0, v61, 8
	s_delay_alu instid0(VALU_DEP_1)
	v_add_co_ci_u32_e64 v62, s0, 0, v62, s0
	s_add_u32 s22, s22, 1
	s_addc_u32 s23, s23, 0
	s_and_not1_b32 s0, s21, exec_lo
	s_waitcnt vmcnt(0)
	v_cmp_ne_u64_e32 vcc_lo, v[63:64], v[66:67]
	s_and_b32 s21, vcc_lo, exec_lo
	s_delay_alu instid0(SALU_CYCLE_1)
	s_or_b32 s21, s0, s21
.LBB561_251:                            ;   in Loop: Header=BB561_252 Depth=1
	v_dual_mov_b32 v64, s23 :: v_dual_mov_b32 v63, s22
	s_and_b32 s0, exec_lo, s21
	s_delay_alu instid0(SALU_CYCLE_1) | instskip(NEXT) | instid1(SALU_CYCLE_1)
	s_or_b32 s3, s0, s3
	s_and_not1_b32 exec_lo, exec_lo, s3
	s_cbranch_execz .LBB561_254
.LBB561_252:                            ; =>This Inner Loop Header: Depth=1
	s_or_b32 s21, s21, exec_lo
	s_cmp_eq_u64 s[14:15], s[22:23]
	s_cbranch_scc0 .LBB561_250
; %bb.253:                              ;   in Loop: Header=BB561_252 Depth=1
	s_mov_b64 s[22:23], s[8:9]
                                        ; implicit-def: $vgpr59_vgpr60
                                        ; implicit-def: $vgpr61_vgpr62
	s_branch .LBB561_251
.LBB561_254:
	s_set_inst_prefetch_distance 0x2
	s_or_b32 exec_lo, exec_lo, s3
	v_cmp_gt_i64_e32 vcc_lo, s[8:9], v[63:64]
	s_mov_b32 s0, 0
	s_delay_alu instid0(SALU_CYCLE_1)
	v_mov_b32_e32 v152, s0
	v_cndmask_b32_e64 v151, 0, 1, vcc_lo
.LBB561_255:
	s_or_b32 exec_lo, exec_lo, s1
.LBB561_256:
	v_mul_lo_u32 v61, v22, s8
	v_mul_lo_u32 v62, v21, s9
	v_mad_u64_u32 v[59:60], null, v21, s8, 0
	v_mov_b32_e32 v155, 0
	v_mov_b32_e32 v156, 0
	v_cmp_ne_u32_e32 vcc_lo, 1, v65
	s_delay_alu instid0(VALU_DEP_2) | instskip(SKIP_1) | instid1(VALU_DEP_1)
	v_dual_mov_b32 v153, v155 :: v_dual_mov_b32 v154, v156
	v_add3_u32 v60, v60, v62, v61
	v_lshlrev_b64 v[59:60], 3, v[59:60]
	s_cbranch_vccnz .LBB561_265
; %bb.257:
	v_add_co_u32 v61, vcc_lo, s10, v57
	v_add_co_ci_u32_e32 v62, vcc_lo, s11, v58, vcc_lo
	s_delay_alu instid0(VALU_DEP_3) | instskip(NEXT) | instid1(VALU_DEP_4)
	v_add_co_u32 v57, vcc_lo, s10, v59
	v_add_co_ci_u32_e32 v58, vcc_lo, s11, v60, vcc_lo
	v_mov_b32_e32 v153, 1
	s_clause 0x1
	global_load_b64 v[63:64], v[61:62], off
	global_load_b64 v[66:67], v[57:58], off
	v_mov_b32_e32 v154, 0
	s_mov_b32 s1, exec_lo
	s_waitcnt vmcnt(0)
	v_cmpx_eq_u64_e64 v[63:64], v[66:67]
	s_cbranch_execz .LBB561_264
; %bb.258:
	v_add_co_u32 v57, vcc_lo, v57, 8
	v_add_co_ci_u32_e32 v58, vcc_lo, 0, v58, vcc_lo
	v_add_co_u32 v61, vcc_lo, v61, 8
	v_add_co_ci_u32_e32 v62, vcc_lo, 0, v62, vcc_lo
	s_add_u32 s14, s8, -1
	s_addc_u32 s15, s9, -1
	s_mov_b64 s[22:23], 0
	s_mov_b32 s3, 0
                                        ; implicit-def: $sgpr21
	s_set_inst_prefetch_distance 0x1
	s_branch .LBB561_261
	.p2align	6
.LBB561_259:                            ;   in Loop: Header=BB561_261 Depth=1
	global_load_b64 v[63:64], v[61:62], off
	global_load_b64 v[66:67], v[57:58], off
	v_add_co_u32 v57, vcc_lo, v57, 8
	v_add_co_ci_u32_e32 v58, vcc_lo, 0, v58, vcc_lo
	v_add_co_u32 v61, s0, v61, 8
	s_delay_alu instid0(VALU_DEP_1)
	v_add_co_ci_u32_e64 v62, s0, 0, v62, s0
	s_add_u32 s22, s22, 1
	s_addc_u32 s23, s23, 0
	s_and_not1_b32 s0, s21, exec_lo
	s_waitcnt vmcnt(0)
	v_cmp_ne_u64_e32 vcc_lo, v[63:64], v[66:67]
	s_and_b32 s21, vcc_lo, exec_lo
	s_delay_alu instid0(SALU_CYCLE_1)
	s_or_b32 s21, s0, s21
.LBB561_260:                            ;   in Loop: Header=BB561_261 Depth=1
	v_dual_mov_b32 v64, s23 :: v_dual_mov_b32 v63, s22
	s_and_b32 s0, exec_lo, s21
	s_delay_alu instid0(SALU_CYCLE_1) | instskip(NEXT) | instid1(SALU_CYCLE_1)
	s_or_b32 s3, s0, s3
	s_and_not1_b32 exec_lo, exec_lo, s3
	s_cbranch_execz .LBB561_263
.LBB561_261:                            ; =>This Inner Loop Header: Depth=1
	s_or_b32 s21, s21, exec_lo
	s_cmp_eq_u64 s[14:15], s[22:23]
	s_cbranch_scc0 .LBB561_259
; %bb.262:                              ;   in Loop: Header=BB561_261 Depth=1
	s_mov_b64 s[22:23], s[8:9]
                                        ; implicit-def: $vgpr57_vgpr58
                                        ; implicit-def: $vgpr61_vgpr62
	s_branch .LBB561_260
.LBB561_263:
	s_set_inst_prefetch_distance 0x2
	s_or_b32 exec_lo, exec_lo, s3
	v_cmp_gt_i64_e32 vcc_lo, s[8:9], v[63:64]
	s_mov_b32 s0, 0
	s_delay_alu instid0(SALU_CYCLE_1)
	v_mov_b32_e32 v154, s0
	v_cndmask_b32_e64 v153, 0, 1, vcc_lo
.LBB561_264:
	s_or_b32 exec_lo, exec_lo, s1
.LBB561_265:
	v_mul_lo_u32 v61, v20, s8
	v_mul_lo_u32 v62, v19, s9
	v_mad_u64_u32 v[57:58], null, v19, s8, 0
	v_cmp_ne_u32_e32 vcc_lo, 1, v65
	s_delay_alu instid0(VALU_DEP_2) | instskip(NEXT) | instid1(VALU_DEP_1)
	v_add3_u32 v58, v58, v62, v61
	v_lshlrev_b64 v[57:58], 3, v[57:58]
	s_cbranch_vccnz .LBB561_274
; %bb.266:
	v_add_co_u32 v61, vcc_lo, s10, v59
	v_add_co_ci_u32_e32 v62, vcc_lo, s11, v60, vcc_lo
	s_delay_alu instid0(VALU_DEP_3) | instskip(NEXT) | instid1(VALU_DEP_4)
	v_add_co_u32 v59, vcc_lo, s10, v57
	v_add_co_ci_u32_e32 v60, vcc_lo, s11, v58, vcc_lo
	v_mov_b32_e32 v155, 1
	s_clause 0x1
	global_load_b64 v[63:64], v[61:62], off
	global_load_b64 v[66:67], v[59:60], off
	v_mov_b32_e32 v156, 0
	s_mov_b32 s1, exec_lo
	s_waitcnt vmcnt(0)
	v_cmpx_eq_u64_e64 v[63:64], v[66:67]
	s_cbranch_execz .LBB561_273
; %bb.267:
	v_add_co_u32 v59, vcc_lo, v59, 8
	v_add_co_ci_u32_e32 v60, vcc_lo, 0, v60, vcc_lo
	v_add_co_u32 v61, vcc_lo, v61, 8
	v_add_co_ci_u32_e32 v62, vcc_lo, 0, v62, vcc_lo
	s_add_u32 s14, s8, -1
	s_addc_u32 s15, s9, -1
	s_mov_b64 s[22:23], 0
	s_mov_b32 s3, 0
                                        ; implicit-def: $sgpr21
	s_set_inst_prefetch_distance 0x1
	s_branch .LBB561_270
	.p2align	6
.LBB561_268:                            ;   in Loop: Header=BB561_270 Depth=1
	global_load_b64 v[63:64], v[61:62], off
	global_load_b64 v[66:67], v[59:60], off
	v_add_co_u32 v59, vcc_lo, v59, 8
	v_add_co_ci_u32_e32 v60, vcc_lo, 0, v60, vcc_lo
	v_add_co_u32 v61, s0, v61, 8
	s_delay_alu instid0(VALU_DEP_1)
	v_add_co_ci_u32_e64 v62, s0, 0, v62, s0
	s_add_u32 s22, s22, 1
	s_addc_u32 s23, s23, 0
	s_and_not1_b32 s0, s21, exec_lo
	s_waitcnt vmcnt(0)
	v_cmp_ne_u64_e32 vcc_lo, v[63:64], v[66:67]
	s_and_b32 s21, vcc_lo, exec_lo
	s_delay_alu instid0(SALU_CYCLE_1)
	s_or_b32 s21, s0, s21
.LBB561_269:                            ;   in Loop: Header=BB561_270 Depth=1
	v_dual_mov_b32 v64, s23 :: v_dual_mov_b32 v63, s22
	s_and_b32 s0, exec_lo, s21
	s_delay_alu instid0(SALU_CYCLE_1) | instskip(NEXT) | instid1(SALU_CYCLE_1)
	s_or_b32 s3, s0, s3
	s_and_not1_b32 exec_lo, exec_lo, s3
	s_cbranch_execz .LBB561_272
.LBB561_270:                            ; =>This Inner Loop Header: Depth=1
	s_or_b32 s21, s21, exec_lo
	s_cmp_eq_u64 s[14:15], s[22:23]
	s_cbranch_scc0 .LBB561_268
; %bb.271:                              ;   in Loop: Header=BB561_270 Depth=1
	s_mov_b64 s[22:23], s[8:9]
                                        ; implicit-def: $vgpr59_vgpr60
                                        ; implicit-def: $vgpr61_vgpr62
	s_branch .LBB561_269
.LBB561_272:
	s_set_inst_prefetch_distance 0x2
	s_or_b32 exec_lo, exec_lo, s3
	v_cmp_gt_i64_e32 vcc_lo, s[8:9], v[63:64]
	s_mov_b32 s0, 0
	s_delay_alu instid0(SALU_CYCLE_1)
	v_mov_b32_e32 v156, s0
	v_cndmask_b32_e64 v155, 0, 1, vcc_lo
.LBB561_273:
	s_or_b32 exec_lo, exec_lo, s1
.LBB561_274:
	v_mul_lo_u32 v61, v18, s8
	v_mul_lo_u32 v62, v17, s9
	v_mad_u64_u32 v[59:60], null, v17, s8, 0
	v_mov_b32_e32 v159, 0
	v_mov_b32_e32 v160, 0
	v_cmp_ne_u32_e32 vcc_lo, 1, v65
	s_delay_alu instid0(VALU_DEP_2) | instskip(SKIP_1) | instid1(VALU_DEP_1)
	v_dual_mov_b32 v157, v159 :: v_dual_mov_b32 v158, v160
	v_add3_u32 v60, v60, v62, v61
	v_lshlrev_b64 v[59:60], 3, v[59:60]
	s_cbranch_vccnz .LBB561_283
; %bb.275:
	v_add_co_u32 v61, vcc_lo, s10, v57
	v_add_co_ci_u32_e32 v62, vcc_lo, s11, v58, vcc_lo
	s_delay_alu instid0(VALU_DEP_3) | instskip(NEXT) | instid1(VALU_DEP_4)
	v_add_co_u32 v57, vcc_lo, s10, v59
	v_add_co_ci_u32_e32 v58, vcc_lo, s11, v60, vcc_lo
	v_mov_b32_e32 v157, 1
	s_clause 0x1
	global_load_b64 v[63:64], v[61:62], off
	global_load_b64 v[66:67], v[57:58], off
	v_mov_b32_e32 v158, 0
	s_mov_b32 s1, exec_lo
	s_waitcnt vmcnt(0)
	v_cmpx_eq_u64_e64 v[63:64], v[66:67]
	s_cbranch_execz .LBB561_282
; %bb.276:
	v_add_co_u32 v57, vcc_lo, v57, 8
	v_add_co_ci_u32_e32 v58, vcc_lo, 0, v58, vcc_lo
	v_add_co_u32 v61, vcc_lo, v61, 8
	v_add_co_ci_u32_e32 v62, vcc_lo, 0, v62, vcc_lo
	s_add_u32 s14, s8, -1
	s_addc_u32 s15, s9, -1
	s_mov_b64 s[22:23], 0
	s_mov_b32 s3, 0
                                        ; implicit-def: $sgpr21
	s_set_inst_prefetch_distance 0x1
	s_branch .LBB561_279
	.p2align	6
.LBB561_277:                            ;   in Loop: Header=BB561_279 Depth=1
	global_load_b64 v[63:64], v[61:62], off
	global_load_b64 v[66:67], v[57:58], off
	v_add_co_u32 v57, vcc_lo, v57, 8
	v_add_co_ci_u32_e32 v58, vcc_lo, 0, v58, vcc_lo
	v_add_co_u32 v61, s0, v61, 8
	s_delay_alu instid0(VALU_DEP_1)
	v_add_co_ci_u32_e64 v62, s0, 0, v62, s0
	s_add_u32 s22, s22, 1
	s_addc_u32 s23, s23, 0
	s_and_not1_b32 s0, s21, exec_lo
	s_waitcnt vmcnt(0)
	v_cmp_ne_u64_e32 vcc_lo, v[63:64], v[66:67]
	s_and_b32 s21, vcc_lo, exec_lo
	s_delay_alu instid0(SALU_CYCLE_1)
	s_or_b32 s21, s0, s21
.LBB561_278:                            ;   in Loop: Header=BB561_279 Depth=1
	v_dual_mov_b32 v64, s23 :: v_dual_mov_b32 v63, s22
	s_and_b32 s0, exec_lo, s21
	s_delay_alu instid0(SALU_CYCLE_1) | instskip(NEXT) | instid1(SALU_CYCLE_1)
	s_or_b32 s3, s0, s3
	s_and_not1_b32 exec_lo, exec_lo, s3
	s_cbranch_execz .LBB561_281
.LBB561_279:                            ; =>This Inner Loop Header: Depth=1
	s_or_b32 s21, s21, exec_lo
	s_cmp_eq_u64 s[14:15], s[22:23]
	s_cbranch_scc0 .LBB561_277
; %bb.280:                              ;   in Loop: Header=BB561_279 Depth=1
	s_mov_b64 s[22:23], s[8:9]
                                        ; implicit-def: $vgpr57_vgpr58
                                        ; implicit-def: $vgpr61_vgpr62
	s_branch .LBB561_278
.LBB561_281:
	s_set_inst_prefetch_distance 0x2
	s_or_b32 exec_lo, exec_lo, s3
	v_cmp_gt_i64_e32 vcc_lo, s[8:9], v[63:64]
	s_mov_b32 s0, 0
	s_delay_alu instid0(SALU_CYCLE_1)
	v_mov_b32_e32 v158, s0
	v_cndmask_b32_e64 v157, 0, 1, vcc_lo
.LBB561_282:
	s_or_b32 exec_lo, exec_lo, s1
.LBB561_283:
	v_mul_lo_u32 v61, v16, s8
	v_mul_lo_u32 v62, v15, s9
	v_mad_u64_u32 v[57:58], null, v15, s8, 0
	v_cmp_ne_u32_e32 vcc_lo, 1, v65
	s_delay_alu instid0(VALU_DEP_2) | instskip(NEXT) | instid1(VALU_DEP_1)
	v_add3_u32 v58, v58, v62, v61
	v_lshlrev_b64 v[57:58], 3, v[57:58]
	s_cbranch_vccnz .LBB561_292
; %bb.284:
	v_add_co_u32 v61, vcc_lo, s10, v59
	v_add_co_ci_u32_e32 v62, vcc_lo, s11, v60, vcc_lo
	s_delay_alu instid0(VALU_DEP_3) | instskip(NEXT) | instid1(VALU_DEP_4)
	v_add_co_u32 v59, vcc_lo, s10, v57
	v_add_co_ci_u32_e32 v60, vcc_lo, s11, v58, vcc_lo
	v_mov_b32_e32 v159, 1
	s_clause 0x1
	global_load_b64 v[63:64], v[61:62], off
	global_load_b64 v[66:67], v[59:60], off
	v_mov_b32_e32 v160, 0
	s_mov_b32 s1, exec_lo
	s_waitcnt vmcnt(0)
	v_cmpx_eq_u64_e64 v[63:64], v[66:67]
	s_cbranch_execz .LBB561_291
; %bb.285:
	v_add_co_u32 v59, vcc_lo, v59, 8
	v_add_co_ci_u32_e32 v60, vcc_lo, 0, v60, vcc_lo
	v_add_co_u32 v61, vcc_lo, v61, 8
	v_add_co_ci_u32_e32 v62, vcc_lo, 0, v62, vcc_lo
	s_add_u32 s14, s8, -1
	s_addc_u32 s15, s9, -1
	s_mov_b64 s[22:23], 0
	s_mov_b32 s3, 0
                                        ; implicit-def: $sgpr21
	s_set_inst_prefetch_distance 0x1
	s_branch .LBB561_288
	.p2align	6
.LBB561_286:                            ;   in Loop: Header=BB561_288 Depth=1
	global_load_b64 v[63:64], v[61:62], off
	global_load_b64 v[66:67], v[59:60], off
	v_add_co_u32 v59, vcc_lo, v59, 8
	v_add_co_ci_u32_e32 v60, vcc_lo, 0, v60, vcc_lo
	v_add_co_u32 v61, s0, v61, 8
	s_delay_alu instid0(VALU_DEP_1)
	v_add_co_ci_u32_e64 v62, s0, 0, v62, s0
	s_add_u32 s22, s22, 1
	s_addc_u32 s23, s23, 0
	s_and_not1_b32 s0, s21, exec_lo
	s_waitcnt vmcnt(0)
	v_cmp_ne_u64_e32 vcc_lo, v[63:64], v[66:67]
	s_and_b32 s21, vcc_lo, exec_lo
	s_delay_alu instid0(SALU_CYCLE_1)
	s_or_b32 s21, s0, s21
.LBB561_287:                            ;   in Loop: Header=BB561_288 Depth=1
	v_dual_mov_b32 v64, s23 :: v_dual_mov_b32 v63, s22
	s_and_b32 s0, exec_lo, s21
	s_delay_alu instid0(SALU_CYCLE_1) | instskip(NEXT) | instid1(SALU_CYCLE_1)
	s_or_b32 s3, s0, s3
	s_and_not1_b32 exec_lo, exec_lo, s3
	s_cbranch_execz .LBB561_290
.LBB561_288:                            ; =>This Inner Loop Header: Depth=1
	s_or_b32 s21, s21, exec_lo
	s_cmp_eq_u64 s[14:15], s[22:23]
	s_cbranch_scc0 .LBB561_286
; %bb.289:                              ;   in Loop: Header=BB561_288 Depth=1
	s_mov_b64 s[22:23], s[8:9]
                                        ; implicit-def: $vgpr59_vgpr60
                                        ; implicit-def: $vgpr61_vgpr62
	s_branch .LBB561_287
.LBB561_290:
	s_set_inst_prefetch_distance 0x2
	s_or_b32 exec_lo, exec_lo, s3
	v_cmp_gt_i64_e32 vcc_lo, s[8:9], v[63:64]
	s_mov_b32 s0, 0
	s_delay_alu instid0(SALU_CYCLE_1)
	v_mov_b32_e32 v160, s0
	v_cndmask_b32_e64 v159, 0, 1, vcc_lo
.LBB561_291:
	s_or_b32 exec_lo, exec_lo, s1
.LBB561_292:
	v_mul_lo_u32 v61, v14, s8
	v_mul_lo_u32 v62, v13, s9
	v_mad_u64_u32 v[59:60], null, v13, s8, 0
	v_mov_b32_e32 v163, 0
	v_mov_b32_e32 v164, 0
	v_cmp_ne_u32_e32 vcc_lo, 1, v65
	s_delay_alu instid0(VALU_DEP_2) | instskip(SKIP_1) | instid1(VALU_DEP_1)
	v_dual_mov_b32 v161, v163 :: v_dual_mov_b32 v162, v164
	v_add3_u32 v60, v60, v62, v61
	v_lshlrev_b64 v[59:60], 3, v[59:60]
	s_cbranch_vccnz .LBB561_301
; %bb.293:
	v_add_co_u32 v61, vcc_lo, s10, v57
	v_add_co_ci_u32_e32 v62, vcc_lo, s11, v58, vcc_lo
	s_delay_alu instid0(VALU_DEP_3) | instskip(NEXT) | instid1(VALU_DEP_4)
	v_add_co_u32 v57, vcc_lo, s10, v59
	v_add_co_ci_u32_e32 v58, vcc_lo, s11, v60, vcc_lo
	v_mov_b32_e32 v161, 1
	s_clause 0x1
	global_load_b64 v[63:64], v[61:62], off
	global_load_b64 v[66:67], v[57:58], off
	v_mov_b32_e32 v162, 0
	s_mov_b32 s1, exec_lo
	s_waitcnt vmcnt(0)
	v_cmpx_eq_u64_e64 v[63:64], v[66:67]
	s_cbranch_execz .LBB561_300
; %bb.294:
	v_add_co_u32 v57, vcc_lo, v57, 8
	v_add_co_ci_u32_e32 v58, vcc_lo, 0, v58, vcc_lo
	v_add_co_u32 v61, vcc_lo, v61, 8
	v_add_co_ci_u32_e32 v62, vcc_lo, 0, v62, vcc_lo
	s_add_u32 s14, s8, -1
	s_addc_u32 s15, s9, -1
	s_mov_b64 s[22:23], 0
	s_mov_b32 s3, 0
                                        ; implicit-def: $sgpr21
	s_set_inst_prefetch_distance 0x1
	s_branch .LBB561_297
	.p2align	6
.LBB561_295:                            ;   in Loop: Header=BB561_297 Depth=1
	global_load_b64 v[63:64], v[61:62], off
	global_load_b64 v[66:67], v[57:58], off
	v_add_co_u32 v57, vcc_lo, v57, 8
	v_add_co_ci_u32_e32 v58, vcc_lo, 0, v58, vcc_lo
	v_add_co_u32 v61, s0, v61, 8
	s_delay_alu instid0(VALU_DEP_1)
	v_add_co_ci_u32_e64 v62, s0, 0, v62, s0
	s_add_u32 s22, s22, 1
	s_addc_u32 s23, s23, 0
	s_and_not1_b32 s0, s21, exec_lo
	s_waitcnt vmcnt(0)
	v_cmp_ne_u64_e32 vcc_lo, v[63:64], v[66:67]
	s_and_b32 s21, vcc_lo, exec_lo
	s_delay_alu instid0(SALU_CYCLE_1)
	s_or_b32 s21, s0, s21
.LBB561_296:                            ;   in Loop: Header=BB561_297 Depth=1
	v_dual_mov_b32 v64, s23 :: v_dual_mov_b32 v63, s22
	s_and_b32 s0, exec_lo, s21
	s_delay_alu instid0(SALU_CYCLE_1) | instskip(NEXT) | instid1(SALU_CYCLE_1)
	s_or_b32 s3, s0, s3
	s_and_not1_b32 exec_lo, exec_lo, s3
	s_cbranch_execz .LBB561_299
.LBB561_297:                            ; =>This Inner Loop Header: Depth=1
	s_or_b32 s21, s21, exec_lo
	s_cmp_eq_u64 s[14:15], s[22:23]
	s_cbranch_scc0 .LBB561_295
; %bb.298:                              ;   in Loop: Header=BB561_297 Depth=1
	s_mov_b64 s[22:23], s[8:9]
                                        ; implicit-def: $vgpr57_vgpr58
                                        ; implicit-def: $vgpr61_vgpr62
	s_branch .LBB561_296
.LBB561_299:
	s_set_inst_prefetch_distance 0x2
	s_or_b32 exec_lo, exec_lo, s3
	v_cmp_gt_i64_e32 vcc_lo, s[8:9], v[63:64]
	s_mov_b32 s0, 0
	s_delay_alu instid0(SALU_CYCLE_1)
	v_mov_b32_e32 v162, s0
	v_cndmask_b32_e64 v161, 0, 1, vcc_lo
.LBB561_300:
	s_or_b32 exec_lo, exec_lo, s1
.LBB561_301:
	v_mul_lo_u32 v61, v4, s8
	v_mul_lo_u32 v62, v3, s9
	v_mad_u64_u32 v[57:58], null, v3, s8, 0
	v_cmp_ne_u32_e32 vcc_lo, 1, v65
	s_delay_alu instid0(VALU_DEP_2) | instskip(NEXT) | instid1(VALU_DEP_1)
	v_add3_u32 v58, v58, v62, v61
	v_lshlrev_b64 v[57:58], 3, v[57:58]
	s_cbranch_vccnz .LBB561_310
; %bb.302:
	v_add_co_u32 v61, vcc_lo, s10, v59
	v_add_co_ci_u32_e32 v62, vcc_lo, s11, v60, vcc_lo
	s_delay_alu instid0(VALU_DEP_3) | instskip(NEXT) | instid1(VALU_DEP_4)
	v_add_co_u32 v59, vcc_lo, s10, v57
	v_add_co_ci_u32_e32 v60, vcc_lo, s11, v58, vcc_lo
	v_mov_b32_e32 v163, 1
	s_clause 0x1
	global_load_b64 v[63:64], v[61:62], off
	global_load_b64 v[66:67], v[59:60], off
	v_mov_b32_e32 v164, 0
	s_mov_b32 s1, exec_lo
	s_waitcnt vmcnt(0)
	v_cmpx_eq_u64_e64 v[63:64], v[66:67]
	s_cbranch_execz .LBB561_309
; %bb.303:
	v_add_co_u32 v59, vcc_lo, v59, 8
	v_add_co_ci_u32_e32 v60, vcc_lo, 0, v60, vcc_lo
	v_add_co_u32 v61, vcc_lo, v61, 8
	v_add_co_ci_u32_e32 v62, vcc_lo, 0, v62, vcc_lo
	s_add_u32 s14, s8, -1
	s_addc_u32 s15, s9, -1
	s_mov_b64 s[22:23], 0
	s_mov_b32 s3, 0
                                        ; implicit-def: $sgpr21
	s_set_inst_prefetch_distance 0x1
	s_branch .LBB561_306
	.p2align	6
.LBB561_304:                            ;   in Loop: Header=BB561_306 Depth=1
	global_load_b64 v[63:64], v[61:62], off
	global_load_b64 v[66:67], v[59:60], off
	v_add_co_u32 v59, vcc_lo, v59, 8
	v_add_co_ci_u32_e32 v60, vcc_lo, 0, v60, vcc_lo
	v_add_co_u32 v61, s0, v61, 8
	s_delay_alu instid0(VALU_DEP_1)
	v_add_co_ci_u32_e64 v62, s0, 0, v62, s0
	s_add_u32 s22, s22, 1
	s_addc_u32 s23, s23, 0
	s_and_not1_b32 s0, s21, exec_lo
	s_waitcnt vmcnt(0)
	v_cmp_ne_u64_e32 vcc_lo, v[63:64], v[66:67]
	s_and_b32 s21, vcc_lo, exec_lo
	s_delay_alu instid0(SALU_CYCLE_1)
	s_or_b32 s21, s0, s21
.LBB561_305:                            ;   in Loop: Header=BB561_306 Depth=1
	v_dual_mov_b32 v64, s23 :: v_dual_mov_b32 v63, s22
	s_and_b32 s0, exec_lo, s21
	s_delay_alu instid0(SALU_CYCLE_1) | instskip(NEXT) | instid1(SALU_CYCLE_1)
	s_or_b32 s3, s0, s3
	s_and_not1_b32 exec_lo, exec_lo, s3
	s_cbranch_execz .LBB561_308
.LBB561_306:                            ; =>This Inner Loop Header: Depth=1
	s_or_b32 s21, s21, exec_lo
	s_cmp_eq_u64 s[14:15], s[22:23]
	s_cbranch_scc0 .LBB561_304
; %bb.307:                              ;   in Loop: Header=BB561_306 Depth=1
	s_mov_b64 s[22:23], s[8:9]
                                        ; implicit-def: $vgpr59_vgpr60
                                        ; implicit-def: $vgpr61_vgpr62
	s_branch .LBB561_305
.LBB561_308:
	s_set_inst_prefetch_distance 0x2
	s_or_b32 exec_lo, exec_lo, s3
	v_cmp_gt_i64_e32 vcc_lo, s[8:9], v[63:64]
	s_mov_b32 s0, 0
	s_delay_alu instid0(SALU_CYCLE_1)
	v_mov_b32_e32 v164, s0
	v_cndmask_b32_e64 v163, 0, 1, vcc_lo
.LBB561_309:
	s_or_b32 exec_lo, exec_lo, s1
.LBB561_310:
	v_cmp_ne_u32_e32 vcc_lo, 1, v65
	s_cbranch_vccnz .LBB561_317
; %bb.311:
	v_mul_lo_u32 v61, v2, s8
	v_mul_lo_u32 v62, v1, s9
	v_mad_u64_u32 v[59:60], null, v1, s8, 0
	v_mov_b32_e32 v165, 1
	v_mov_b32_e32 v166, 0
	s_mov_b32 s1, exec_lo
	s_delay_alu instid0(VALU_DEP_3) | instskip(NEXT) | instid1(VALU_DEP_1)
	v_add3_u32 v60, v60, v62, v61
	v_lshlrev_b64 v[61:62], 3, v[59:60]
	v_add_co_u32 v59, vcc_lo, s10, v57
	v_add_co_ci_u32_e32 v60, vcc_lo, s11, v58, vcc_lo
	s_delay_alu instid0(VALU_DEP_3) | instskip(NEXT) | instid1(VALU_DEP_4)
	v_add_co_u32 v57, vcc_lo, s10, v61
	v_add_co_ci_u32_e32 v58, vcc_lo, s11, v62, vcc_lo
	s_clause 0x1
	global_load_b64 v[61:62], v[59:60], off
	global_load_b64 v[63:64], v[57:58], off
	s_waitcnt vmcnt(0)
	v_cmpx_eq_u64_e64 v[61:62], v[63:64]
	s_cbranch_execz .LBB561_319
; %bb.312:
	v_add_co_u32 v57, vcc_lo, v57, 8
	v_add_co_ci_u32_e32 v58, vcc_lo, 0, v58, vcc_lo
	v_add_co_u32 v59, vcc_lo, v59, 8
	v_add_co_ci_u32_e32 v60, vcc_lo, 0, v60, vcc_lo
	s_add_u32 s14, s8, -1
	s_addc_u32 s15, s9, -1
	s_mov_b64 s[22:23], 0
	s_mov_b32 s3, 0
                                        ; implicit-def: $sgpr21
	s_set_inst_prefetch_distance 0x1
	s_branch .LBB561_315
	.p2align	6
.LBB561_313:                            ;   in Loop: Header=BB561_315 Depth=1
	global_load_b64 v[61:62], v[59:60], off
	global_load_b64 v[63:64], v[57:58], off
	v_add_co_u32 v57, vcc_lo, v57, 8
	v_add_co_ci_u32_e32 v58, vcc_lo, 0, v58, vcc_lo
	v_add_co_u32 v59, s0, v59, 8
	s_delay_alu instid0(VALU_DEP_1)
	v_add_co_ci_u32_e64 v60, s0, 0, v60, s0
	s_add_u32 s22, s22, 1
	s_addc_u32 s23, s23, 0
	s_and_not1_b32 s0, s21, exec_lo
	s_waitcnt vmcnt(0)
	v_cmp_ne_u64_e32 vcc_lo, v[61:62], v[63:64]
	s_and_b32 s21, vcc_lo, exec_lo
	s_delay_alu instid0(SALU_CYCLE_1)
	s_or_b32 s21, s0, s21
.LBB561_314:                            ;   in Loop: Header=BB561_315 Depth=1
	v_dual_mov_b32 v62, s23 :: v_dual_mov_b32 v61, s22
	s_and_b32 s0, exec_lo, s21
	s_delay_alu instid0(SALU_CYCLE_1) | instskip(NEXT) | instid1(SALU_CYCLE_1)
	s_or_b32 s3, s0, s3
	s_and_not1_b32 exec_lo, exec_lo, s3
	s_cbranch_execz .LBB561_318
.LBB561_315:                            ; =>This Inner Loop Header: Depth=1
	s_or_b32 s21, s21, exec_lo
	s_cmp_eq_u64 s[14:15], s[22:23]
	s_cbranch_scc0 .LBB561_313
; %bb.316:                              ;   in Loop: Header=BB561_315 Depth=1
	s_mov_b64 s[22:23], s[8:9]
                                        ; implicit-def: $vgpr57_vgpr58
                                        ; implicit-def: $vgpr59_vgpr60
	s_branch .LBB561_314
.LBB561_317:
	v_mov_b32_e32 v165, 0
	v_mov_b32_e32 v166, 0
	s_branch .LBB561_320
.LBB561_318:
	s_set_inst_prefetch_distance 0x2
	s_or_b32 exec_lo, exec_lo, s3
	v_cmp_gt_i64_e32 vcc_lo, s[8:9], v[61:62]
	s_mov_b32 s0, 0
	s_delay_alu instid0(SALU_CYCLE_1)
	v_mov_b32_e32 v166, s0
	v_cndmask_b32_e64 v165, 0, 1, vcc_lo
.LBB561_319:
	s_or_b32 exec_lo, exec_lo, s1
.LBB561_320:
	s_waitcnt lgkmcnt(0)
	v_dual_mov_b32 v58, s13 :: v_dual_mov_b32 v57, s12
	s_mov_b32 s0, 0
	s_mov_b32 s1, exec_lo
	s_barrier
	buffer_gl0_inv
	v_cmpx_ne_u32_e32 0, v0
	s_cbranch_execz .LBB561_322
; %bb.321:
	v_add_nc_u32_e32 v57, -8, v195
	ds_load_b64 v[57:58], v57
.LBB561_322:
	s_or_b32 exec_lo, exec_lo, s1
	v_cmp_ne_u32_e32 vcc_lo, 1, v65
	s_cbranch_vccnz .LBB561_331
; %bb.323:
	v_mul_lo_u32 v63, v2, s8
	v_mul_lo_u32 v64, v1, s9
	v_mad_u64_u32 v[59:60], null, v1, s8, 0
	s_waitcnt lgkmcnt(0)
	v_mul_lo_u32 v58, v58, s8
	v_mul_lo_u32 v65, v57, s9
	v_mad_u64_u32 v[61:62], null, v57, s8, 0
	s_mov_b32 s0, -1
	s_mov_b32 s1, exec_lo
	s_delay_alu instid0(VALU_DEP_4) | instskip(NEXT) | instid1(VALU_DEP_2)
	v_add3_u32 v60, v60, v64, v63
	v_add3_u32 v62, v62, v65, v58
	s_delay_alu instid0(VALU_DEP_2) | instskip(NEXT) | instid1(VALU_DEP_2)
	v_lshlrev_b64 v[57:58], 3, v[59:60]
	v_lshlrev_b64 v[61:62], 3, v[61:62]
	s_delay_alu instid0(VALU_DEP_2) | instskip(NEXT) | instid1(VALU_DEP_3)
	v_add_co_u32 v59, vcc_lo, s10, v57
	v_add_co_ci_u32_e32 v60, vcc_lo, s11, v58, vcc_lo
	s_delay_alu instid0(VALU_DEP_3) | instskip(NEXT) | instid1(VALU_DEP_4)
	v_add_co_u32 v57, vcc_lo, s10, v61
	v_add_co_ci_u32_e32 v58, vcc_lo, s11, v62, vcc_lo
	s_clause 0x1
	global_load_b64 v[61:62], v[59:60], off
	global_load_b64 v[63:64], v[57:58], off
	s_waitcnt vmcnt(0)
	v_cmpx_eq_u64_e64 v[61:62], v[63:64]
	s_cbranch_execz .LBB561_330
; %bb.324:
	v_add_co_u32 v57, vcc_lo, v57, 8
	v_add_co_ci_u32_e32 v58, vcc_lo, 0, v58, vcc_lo
	v_add_co_u32 v59, vcc_lo, v59, 8
	v_add_co_ci_u32_e32 v60, vcc_lo, 0, v60, vcc_lo
	s_add_u32 s14, s8, -1
	s_addc_u32 s15, s9, -1
	s_mov_b64 s[22:23], 0
	s_mov_b32 s3, 0
                                        ; implicit-def: $sgpr21
	s_set_inst_prefetch_distance 0x1
	s_branch .LBB561_327
	.p2align	6
.LBB561_325:                            ;   in Loop: Header=BB561_327 Depth=1
	global_load_b64 v[61:62], v[59:60], off
	global_load_b64 v[63:64], v[57:58], off
	v_add_co_u32 v57, vcc_lo, v57, 8
	v_add_co_ci_u32_e32 v58, vcc_lo, 0, v58, vcc_lo
	v_add_co_u32 v59, s0, v59, 8
	s_delay_alu instid0(VALU_DEP_1)
	v_add_co_ci_u32_e64 v60, s0, 0, v60, s0
	s_add_u32 s22, s22, 1
	s_addc_u32 s23, s23, 0
	s_and_not1_b32 s0, s21, exec_lo
	s_waitcnt vmcnt(0)
	v_cmp_ne_u64_e32 vcc_lo, v[61:62], v[63:64]
	s_and_b32 s21, vcc_lo, exec_lo
	s_delay_alu instid0(SALU_CYCLE_1)
	s_or_b32 s21, s0, s21
.LBB561_326:                            ;   in Loop: Header=BB561_327 Depth=1
	v_dual_mov_b32 v62, s23 :: v_dual_mov_b32 v61, s22
	s_and_b32 s0, exec_lo, s21
	s_delay_alu instid0(SALU_CYCLE_1) | instskip(NEXT) | instid1(SALU_CYCLE_1)
	s_or_b32 s3, s0, s3
	s_and_not1_b32 exec_lo, exec_lo, s3
	s_cbranch_execz .LBB561_329
.LBB561_327:                            ; =>This Inner Loop Header: Depth=1
	s_or_b32 s21, s21, exec_lo
	s_cmp_eq_u64 s[14:15], s[22:23]
	s_cbranch_scc0 .LBB561_325
; %bb.328:                              ;   in Loop: Header=BB561_327 Depth=1
	s_mov_b64 s[22:23], s[8:9]
                                        ; implicit-def: $vgpr57_vgpr58
                                        ; implicit-def: $vgpr59_vgpr60
	s_branch .LBB561_326
.LBB561_329:
	s_set_inst_prefetch_distance 0x2
	s_or_b32 exec_lo, exec_lo, s3
	v_cmp_gt_i64_e32 vcc_lo, s[8:9], v[61:62]
	s_or_not1_b32 s0, vcc_lo, exec_lo
.LBB561_330:
	s_or_b32 exec_lo, exec_lo, s1
.LBB561_331:
	s_mov_b32 s1, -1
	s_branch .LBB561_73
.LBB561_332:
	v_cmp_gt_i64_e64 s0, s[8:9], 0
	s_waitcnt lgkmcnt(0)
	v_mad_u32_u24 v57, v0, 29, 28
	v_mul_u32_u24_e32 v64, 29, v0
	v_dual_mov_b32 v112, v110 :: v_dual_mov_b32 v111, v109
	s_mul_i32 s3, s20, 0xfffff180
	v_cndmask_b32_e64 v63, 0, 1, s0
	s_add_i32 s3, s3, s6
	s_mov_b32 s22, exec_lo
	ds_store_b64 v195, v[109:110]
	v_cmpx_gt_u32_e64 s3, v57
	s_cbranch_execz .LBB561_343
; %bb.333:
	s_and_not1_b32 vcc_lo, exec_lo, s0
	s_cbranch_vccnz .LBB561_340
; %bb.334:
	v_mul_lo_u32 v61, v110, s8
	v_mul_lo_u32 v62, v109, s9
	v_mad_u64_u32 v[57:58], null, v109, s8, 0
	v_mul_lo_u32 v65, v8, s8
	v_mul_lo_u32 v66, v7, s9
	v_mad_u64_u32 v[59:60], null, v7, s8, 0
	v_mov_b32_e32 v111, 1
	v_mov_b32_e32 v112, 0
	v_add3_u32 v58, v58, v62, v61
	s_mov_b32 s23, exec_lo
	s_delay_alu instid0(VALU_DEP_4) | instskip(NEXT) | instid1(VALU_DEP_2)
	v_add3_u32 v60, v60, v66, v65
	v_lshlrev_b64 v[57:58], 3, v[57:58]
	s_delay_alu instid0(VALU_DEP_2) | instskip(NEXT) | instid1(VALU_DEP_2)
	v_lshlrev_b64 v[61:62], 3, v[59:60]
	v_add_co_u32 v59, vcc_lo, s10, v57
	s_delay_alu instid0(VALU_DEP_3) | instskip(NEXT) | instid1(VALU_DEP_3)
	v_add_co_ci_u32_e32 v60, vcc_lo, s11, v58, vcc_lo
	v_add_co_u32 v57, vcc_lo, s10, v61
	s_delay_alu instid0(VALU_DEP_4)
	v_add_co_ci_u32_e32 v58, vcc_lo, s11, v62, vcc_lo
	s_clause 0x1
	global_load_b64 v[61:62], v[59:60], off
	global_load_b64 v[65:66], v[57:58], off
	s_waitcnt vmcnt(0)
	v_cmpx_eq_u64_e64 v[61:62], v[65:66]
	s_cbranch_execz .LBB561_342
; %bb.335:
	v_add_co_u32 v57, vcc_lo, v57, 8
	v_add_co_ci_u32_e32 v58, vcc_lo, 0, v58, vcc_lo
	v_add_co_u32 v59, vcc_lo, v59, 8
	v_add_co_ci_u32_e32 v60, vcc_lo, 0, v60, vcc_lo
	s_add_u32 s14, s8, -1
	s_addc_u32 s15, s9, -1
	s_mov_b64 s[20:21], 0
	s_mov_b32 s24, 0
                                        ; implicit-def: $sgpr25
	s_set_inst_prefetch_distance 0x1
	s_branch .LBB561_338
	.p2align	6
.LBB561_336:                            ;   in Loop: Header=BB561_338 Depth=1
	global_load_b64 v[61:62], v[59:60], off
	global_load_b64 v[65:66], v[57:58], off
	v_add_co_u32 v57, vcc_lo, v57, 8
	v_add_co_ci_u32_e32 v58, vcc_lo, 0, v58, vcc_lo
	v_add_co_u32 v59, s0, v59, 8
	s_delay_alu instid0(VALU_DEP_1)
	v_add_co_ci_u32_e64 v60, s0, 0, v60, s0
	s_add_u32 s20, s20, 1
	s_addc_u32 s21, s21, 0
	s_and_not1_b32 s0, s25, exec_lo
	s_waitcnt vmcnt(0)
	v_cmp_ne_u64_e32 vcc_lo, v[61:62], v[65:66]
	s_and_b32 s25, vcc_lo, exec_lo
	s_delay_alu instid0(SALU_CYCLE_1)
	s_or_b32 s25, s0, s25
.LBB561_337:                            ;   in Loop: Header=BB561_338 Depth=1
	v_dual_mov_b32 v62, s21 :: v_dual_mov_b32 v61, s20
	s_and_b32 s0, exec_lo, s25
	s_delay_alu instid0(SALU_CYCLE_1) | instskip(NEXT) | instid1(SALU_CYCLE_1)
	s_or_b32 s24, s0, s24
	s_and_not1_b32 exec_lo, exec_lo, s24
	s_cbranch_execz .LBB561_341
.LBB561_338:                            ; =>This Inner Loop Header: Depth=1
	s_or_b32 s25, s25, exec_lo
	s_cmp_eq_u64 s[14:15], s[20:21]
	s_cbranch_scc0 .LBB561_336
; %bb.339:                              ;   in Loop: Header=BB561_338 Depth=1
	s_mov_b64 s[20:21], s[8:9]
                                        ; implicit-def: $vgpr57_vgpr58
                                        ; implicit-def: $vgpr59_vgpr60
	s_branch .LBB561_337
.LBB561_340:
	v_mov_b32_e32 v111, 0
	v_mov_b32_e32 v112, 0
	s_branch .LBB561_343
.LBB561_341:
	s_set_inst_prefetch_distance 0x2
	s_or_b32 exec_lo, exec_lo, s24
	v_cmp_gt_i64_e32 vcc_lo, s[8:9], v[61:62]
	s_mov_b32 s0, 0
	s_delay_alu instid0(SALU_CYCLE_1)
	v_mov_b32_e32 v112, s0
	v_cndmask_b32_e64 v111, 0, 1, vcc_lo
.LBB561_342:
	s_or_b32 exec_lo, exec_lo, s23
.LBB561_343:
	s_delay_alu instid0(SALU_CYCLE_1) | instskip(SKIP_3) | instid1(VALU_DEP_2)
	s_or_b32 exec_lo, exec_lo, s22
	v_dual_mov_b32 v116, v8 :: v_dual_add_nc_u32 v57, 27, v64
	v_mov_b32_e32 v115, v7
	s_mov_b32 s22, exec_lo
	v_cmpx_gt_u32_e64 s3, v57
	s_cbranch_execz .LBB561_354
; %bb.344:
	v_cmp_ne_u32_e32 vcc_lo, 1, v63
	s_cbranch_vccnz .LBB561_351
; %bb.345:
	v_mul_lo_u32 v61, v8, s8
	v_mul_lo_u32 v62, v7, s9
	v_mad_u64_u32 v[57:58], null, v7, s8, 0
	v_mul_lo_u32 v65, v6, s8
	v_mul_lo_u32 v66, v5, s9
	v_mad_u64_u32 v[59:60], null, v5, s8, 0
	v_mov_b32_e32 v115, 1
	v_mov_b32_e32 v116, 0
	v_add3_u32 v58, v58, v62, v61
	s_mov_b32 s23, exec_lo
	s_delay_alu instid0(VALU_DEP_4) | instskip(NEXT) | instid1(VALU_DEP_2)
	v_add3_u32 v60, v60, v66, v65
	v_lshlrev_b64 v[57:58], 3, v[57:58]
	s_delay_alu instid0(VALU_DEP_2) | instskip(NEXT) | instid1(VALU_DEP_2)
	v_lshlrev_b64 v[61:62], 3, v[59:60]
	v_add_co_u32 v59, vcc_lo, s10, v57
	s_delay_alu instid0(VALU_DEP_3) | instskip(NEXT) | instid1(VALU_DEP_3)
	v_add_co_ci_u32_e32 v60, vcc_lo, s11, v58, vcc_lo
	v_add_co_u32 v57, vcc_lo, s10, v61
	s_delay_alu instid0(VALU_DEP_4)
	v_add_co_ci_u32_e32 v58, vcc_lo, s11, v62, vcc_lo
	s_clause 0x1
	global_load_b64 v[61:62], v[59:60], off
	global_load_b64 v[65:66], v[57:58], off
	s_waitcnt vmcnt(0)
	v_cmpx_eq_u64_e64 v[61:62], v[65:66]
	s_cbranch_execz .LBB561_353
; %bb.346:
	v_add_co_u32 v57, vcc_lo, v57, 8
	v_add_co_ci_u32_e32 v58, vcc_lo, 0, v58, vcc_lo
	v_add_co_u32 v59, vcc_lo, v59, 8
	v_add_co_ci_u32_e32 v60, vcc_lo, 0, v60, vcc_lo
	s_add_u32 s14, s8, -1
	s_addc_u32 s15, s9, -1
	s_mov_b64 s[20:21], 0
	s_mov_b32 s24, 0
                                        ; implicit-def: $sgpr25
	s_set_inst_prefetch_distance 0x1
	s_branch .LBB561_349
	.p2align	6
.LBB561_347:                            ;   in Loop: Header=BB561_349 Depth=1
	global_load_b64 v[61:62], v[59:60], off
	global_load_b64 v[65:66], v[57:58], off
	v_add_co_u32 v57, vcc_lo, v57, 8
	v_add_co_ci_u32_e32 v58, vcc_lo, 0, v58, vcc_lo
	v_add_co_u32 v59, s0, v59, 8
	s_delay_alu instid0(VALU_DEP_1)
	v_add_co_ci_u32_e64 v60, s0, 0, v60, s0
	s_add_u32 s20, s20, 1
	s_addc_u32 s21, s21, 0
	s_and_not1_b32 s0, s25, exec_lo
	s_waitcnt vmcnt(0)
	v_cmp_ne_u64_e32 vcc_lo, v[61:62], v[65:66]
	s_and_b32 s25, vcc_lo, exec_lo
	s_delay_alu instid0(SALU_CYCLE_1)
	s_or_b32 s25, s0, s25
.LBB561_348:                            ;   in Loop: Header=BB561_349 Depth=1
	v_dual_mov_b32 v62, s21 :: v_dual_mov_b32 v61, s20
	s_and_b32 s0, exec_lo, s25
	s_delay_alu instid0(SALU_CYCLE_1) | instskip(NEXT) | instid1(SALU_CYCLE_1)
	s_or_b32 s24, s0, s24
	s_and_not1_b32 exec_lo, exec_lo, s24
	s_cbranch_execz .LBB561_352
.LBB561_349:                            ; =>This Inner Loop Header: Depth=1
	s_or_b32 s25, s25, exec_lo
	s_cmp_eq_u64 s[14:15], s[20:21]
	s_cbranch_scc0 .LBB561_347
; %bb.350:                              ;   in Loop: Header=BB561_349 Depth=1
	s_mov_b64 s[20:21], s[8:9]
                                        ; implicit-def: $vgpr57_vgpr58
                                        ; implicit-def: $vgpr59_vgpr60
	s_branch .LBB561_348
.LBB561_351:
	v_mov_b32_e32 v115, 0
	v_mov_b32_e32 v116, 0
	s_branch .LBB561_354
.LBB561_352:
	s_set_inst_prefetch_distance 0x2
	s_or_b32 exec_lo, exec_lo, s24
	v_cmp_gt_i64_e32 vcc_lo, s[8:9], v[61:62]
	s_mov_b32 s0, 0
	s_delay_alu instid0(SALU_CYCLE_1)
	v_mov_b32_e32 v116, s0
	v_cndmask_b32_e64 v115, 0, 1, vcc_lo
.LBB561_353:
	s_or_b32 exec_lo, exec_lo, s23
.LBB561_354:
	s_delay_alu instid0(SALU_CYCLE_1) | instskip(SKIP_3) | instid1(VALU_DEP_2)
	s_or_b32 exec_lo, exec_lo, s22
	v_dual_mov_b32 v114, v6 :: v_dual_add_nc_u32 v57, 26, v64
	v_mov_b32_e32 v113, v5
	s_mov_b32 s22, exec_lo
	v_cmpx_gt_u32_e64 s3, v57
	s_cbranch_execz .LBB561_365
; %bb.355:
	v_cmp_ne_u32_e32 vcc_lo, 1, v63
	s_cbranch_vccnz .LBB561_362
; %bb.356:
	v_mul_lo_u32 v61, v6, s8
	v_mul_lo_u32 v62, v5, s9
	v_mad_u64_u32 v[57:58], null, v5, s8, 0
	v_mul_lo_u32 v65, v12, s8
	v_mul_lo_u32 v66, v11, s9
	v_mad_u64_u32 v[59:60], null, v11, s8, 0
	v_mov_b32_e32 v113, 1
	v_mov_b32_e32 v114, 0
	v_add3_u32 v58, v58, v62, v61
	s_mov_b32 s23, exec_lo
	s_delay_alu instid0(VALU_DEP_4) | instskip(NEXT) | instid1(VALU_DEP_2)
	v_add3_u32 v60, v60, v66, v65
	v_lshlrev_b64 v[57:58], 3, v[57:58]
	s_delay_alu instid0(VALU_DEP_2) | instskip(NEXT) | instid1(VALU_DEP_2)
	v_lshlrev_b64 v[61:62], 3, v[59:60]
	v_add_co_u32 v59, vcc_lo, s10, v57
	s_delay_alu instid0(VALU_DEP_3) | instskip(NEXT) | instid1(VALU_DEP_3)
	v_add_co_ci_u32_e32 v60, vcc_lo, s11, v58, vcc_lo
	v_add_co_u32 v57, vcc_lo, s10, v61
	s_delay_alu instid0(VALU_DEP_4)
	v_add_co_ci_u32_e32 v58, vcc_lo, s11, v62, vcc_lo
	s_clause 0x1
	global_load_b64 v[61:62], v[59:60], off
	global_load_b64 v[65:66], v[57:58], off
	s_waitcnt vmcnt(0)
	v_cmpx_eq_u64_e64 v[61:62], v[65:66]
	s_cbranch_execz .LBB561_364
; %bb.357:
	v_add_co_u32 v57, vcc_lo, v57, 8
	v_add_co_ci_u32_e32 v58, vcc_lo, 0, v58, vcc_lo
	v_add_co_u32 v59, vcc_lo, v59, 8
	v_add_co_ci_u32_e32 v60, vcc_lo, 0, v60, vcc_lo
	s_add_u32 s14, s8, -1
	s_addc_u32 s15, s9, -1
	s_mov_b64 s[20:21], 0
	s_mov_b32 s24, 0
                                        ; implicit-def: $sgpr25
	s_set_inst_prefetch_distance 0x1
	s_branch .LBB561_360
	.p2align	6
.LBB561_358:                            ;   in Loop: Header=BB561_360 Depth=1
	global_load_b64 v[61:62], v[59:60], off
	global_load_b64 v[65:66], v[57:58], off
	v_add_co_u32 v57, vcc_lo, v57, 8
	v_add_co_ci_u32_e32 v58, vcc_lo, 0, v58, vcc_lo
	v_add_co_u32 v59, s0, v59, 8
	s_delay_alu instid0(VALU_DEP_1)
	v_add_co_ci_u32_e64 v60, s0, 0, v60, s0
	s_add_u32 s20, s20, 1
	s_addc_u32 s21, s21, 0
	s_and_not1_b32 s0, s25, exec_lo
	s_waitcnt vmcnt(0)
	v_cmp_ne_u64_e32 vcc_lo, v[61:62], v[65:66]
	s_and_b32 s25, vcc_lo, exec_lo
	s_delay_alu instid0(SALU_CYCLE_1)
	s_or_b32 s25, s0, s25
.LBB561_359:                            ;   in Loop: Header=BB561_360 Depth=1
	v_dual_mov_b32 v62, s21 :: v_dual_mov_b32 v61, s20
	s_and_b32 s0, exec_lo, s25
	s_delay_alu instid0(SALU_CYCLE_1) | instskip(NEXT) | instid1(SALU_CYCLE_1)
	s_or_b32 s24, s0, s24
	s_and_not1_b32 exec_lo, exec_lo, s24
	s_cbranch_execz .LBB561_363
.LBB561_360:                            ; =>This Inner Loop Header: Depth=1
	s_or_b32 s25, s25, exec_lo
	s_cmp_eq_u64 s[14:15], s[20:21]
	s_cbranch_scc0 .LBB561_358
; %bb.361:                              ;   in Loop: Header=BB561_360 Depth=1
	s_mov_b64 s[20:21], s[8:9]
                                        ; implicit-def: $vgpr57_vgpr58
                                        ; implicit-def: $vgpr59_vgpr60
	s_branch .LBB561_359
.LBB561_362:
	v_mov_b32_e32 v113, 0
	v_mov_b32_e32 v114, 0
	s_branch .LBB561_365
.LBB561_363:
	s_set_inst_prefetch_distance 0x2
	s_or_b32 exec_lo, exec_lo, s24
	v_cmp_gt_i64_e32 vcc_lo, s[8:9], v[61:62]
	s_mov_b32 s0, 0
	s_delay_alu instid0(SALU_CYCLE_1)
	v_mov_b32_e32 v114, s0
	v_cndmask_b32_e64 v113, 0, 1, vcc_lo
.LBB561_364:
	s_or_b32 exec_lo, exec_lo, s23
.LBB561_365:
	s_delay_alu instid0(SALU_CYCLE_1) | instskip(SKIP_3) | instid1(VALU_DEP_2)
	s_or_b32 exec_lo, exec_lo, s22
	v_dual_mov_b32 v118, v12 :: v_dual_add_nc_u32 v57, 25, v64
	v_mov_b32_e32 v117, v11
	s_mov_b32 s22, exec_lo
	v_cmpx_gt_u32_e64 s3, v57
	s_cbranch_execz .LBB561_376
; %bb.366:
	v_cmp_ne_u32_e32 vcc_lo, 1, v63
	s_cbranch_vccnz .LBB561_373
; %bb.367:
	v_mul_lo_u32 v61, v12, s8
	v_mul_lo_u32 v62, v11, s9
	v_mad_u64_u32 v[57:58], null, v11, s8, 0
	v_mul_lo_u32 v65, v10, s8
	v_mul_lo_u32 v66, v9, s9
	v_mad_u64_u32 v[59:60], null, v9, s8, 0
	v_mov_b32_e32 v117, 1
	v_mov_b32_e32 v118, 0
	v_add3_u32 v58, v58, v62, v61
	s_mov_b32 s23, exec_lo
	s_delay_alu instid0(VALU_DEP_4) | instskip(NEXT) | instid1(VALU_DEP_2)
	v_add3_u32 v60, v60, v66, v65
	v_lshlrev_b64 v[57:58], 3, v[57:58]
	s_delay_alu instid0(VALU_DEP_2) | instskip(NEXT) | instid1(VALU_DEP_2)
	v_lshlrev_b64 v[61:62], 3, v[59:60]
	v_add_co_u32 v59, vcc_lo, s10, v57
	s_delay_alu instid0(VALU_DEP_3) | instskip(NEXT) | instid1(VALU_DEP_3)
	v_add_co_ci_u32_e32 v60, vcc_lo, s11, v58, vcc_lo
	v_add_co_u32 v57, vcc_lo, s10, v61
	s_delay_alu instid0(VALU_DEP_4)
	v_add_co_ci_u32_e32 v58, vcc_lo, s11, v62, vcc_lo
	s_clause 0x1
	global_load_b64 v[61:62], v[59:60], off
	global_load_b64 v[65:66], v[57:58], off
	s_waitcnt vmcnt(0)
	v_cmpx_eq_u64_e64 v[61:62], v[65:66]
	s_cbranch_execz .LBB561_375
; %bb.368:
	v_add_co_u32 v57, vcc_lo, v57, 8
	v_add_co_ci_u32_e32 v58, vcc_lo, 0, v58, vcc_lo
	v_add_co_u32 v59, vcc_lo, v59, 8
	v_add_co_ci_u32_e32 v60, vcc_lo, 0, v60, vcc_lo
	s_add_u32 s14, s8, -1
	s_addc_u32 s15, s9, -1
	s_mov_b64 s[20:21], 0
	s_mov_b32 s24, 0
                                        ; implicit-def: $sgpr25
	s_set_inst_prefetch_distance 0x1
	s_branch .LBB561_371
	.p2align	6
.LBB561_369:                            ;   in Loop: Header=BB561_371 Depth=1
	global_load_b64 v[61:62], v[59:60], off
	global_load_b64 v[65:66], v[57:58], off
	v_add_co_u32 v57, vcc_lo, v57, 8
	v_add_co_ci_u32_e32 v58, vcc_lo, 0, v58, vcc_lo
	v_add_co_u32 v59, s0, v59, 8
	s_delay_alu instid0(VALU_DEP_1)
	v_add_co_ci_u32_e64 v60, s0, 0, v60, s0
	s_add_u32 s20, s20, 1
	s_addc_u32 s21, s21, 0
	s_and_not1_b32 s0, s25, exec_lo
	s_waitcnt vmcnt(0)
	v_cmp_ne_u64_e32 vcc_lo, v[61:62], v[65:66]
	s_and_b32 s25, vcc_lo, exec_lo
	s_delay_alu instid0(SALU_CYCLE_1)
	s_or_b32 s25, s0, s25
.LBB561_370:                            ;   in Loop: Header=BB561_371 Depth=1
	v_dual_mov_b32 v62, s21 :: v_dual_mov_b32 v61, s20
	s_and_b32 s0, exec_lo, s25
	s_delay_alu instid0(SALU_CYCLE_1) | instskip(NEXT) | instid1(SALU_CYCLE_1)
	s_or_b32 s24, s0, s24
	s_and_not1_b32 exec_lo, exec_lo, s24
	s_cbranch_execz .LBB561_374
.LBB561_371:                            ; =>This Inner Loop Header: Depth=1
	s_or_b32 s25, s25, exec_lo
	s_cmp_eq_u64 s[14:15], s[20:21]
	s_cbranch_scc0 .LBB561_369
; %bb.372:                              ;   in Loop: Header=BB561_371 Depth=1
	s_mov_b64 s[20:21], s[8:9]
                                        ; implicit-def: $vgpr57_vgpr58
                                        ; implicit-def: $vgpr59_vgpr60
	s_branch .LBB561_370
.LBB561_373:
	v_mov_b32_e32 v117, 0
	v_mov_b32_e32 v118, 0
	s_branch .LBB561_376
.LBB561_374:
	s_set_inst_prefetch_distance 0x2
	s_or_b32 exec_lo, exec_lo, s24
	v_cmp_gt_i64_e32 vcc_lo, s[8:9], v[61:62]
	s_mov_b32 s0, 0
	s_delay_alu instid0(SALU_CYCLE_1)
	v_mov_b32_e32 v118, s0
	v_cndmask_b32_e64 v117, 0, 1, vcc_lo
.LBB561_375:
	s_or_b32 exec_lo, exec_lo, s23
.LBB561_376:
	s_delay_alu instid0(SALU_CYCLE_1) | instskip(SKIP_3) | instid1(VALU_DEP_2)
	s_or_b32 exec_lo, exec_lo, s22
	v_dual_mov_b32 v120, v10 :: v_dual_add_nc_u32 v57, 24, v64
	v_mov_b32_e32 v119, v9
	s_mov_b32 s22, exec_lo
	v_cmpx_gt_u32_e64 s3, v57
	s_cbranch_execz .LBB561_387
; %bb.377:
	v_cmp_ne_u32_e32 vcc_lo, 1, v63
	s_cbranch_vccnz .LBB561_384
; %bb.378:
	v_mul_lo_u32 v61, v10, s8
	v_mul_lo_u32 v62, v9, s9
	v_mad_u64_u32 v[57:58], null, v9, s8, 0
	v_mul_lo_u32 v65, v56, s8
	v_mul_lo_u32 v66, v55, s9
	v_mad_u64_u32 v[59:60], null, v55, s8, 0
	v_mov_b32_e32 v119, 1
	v_mov_b32_e32 v120, 0
	v_add3_u32 v58, v58, v62, v61
	s_mov_b32 s23, exec_lo
	s_delay_alu instid0(VALU_DEP_4) | instskip(NEXT) | instid1(VALU_DEP_2)
	v_add3_u32 v60, v60, v66, v65
	v_lshlrev_b64 v[57:58], 3, v[57:58]
	s_delay_alu instid0(VALU_DEP_2) | instskip(NEXT) | instid1(VALU_DEP_2)
	v_lshlrev_b64 v[61:62], 3, v[59:60]
	v_add_co_u32 v59, vcc_lo, s10, v57
	s_delay_alu instid0(VALU_DEP_3) | instskip(NEXT) | instid1(VALU_DEP_3)
	v_add_co_ci_u32_e32 v60, vcc_lo, s11, v58, vcc_lo
	v_add_co_u32 v57, vcc_lo, s10, v61
	s_delay_alu instid0(VALU_DEP_4)
	v_add_co_ci_u32_e32 v58, vcc_lo, s11, v62, vcc_lo
	s_clause 0x1
	global_load_b64 v[61:62], v[59:60], off
	global_load_b64 v[65:66], v[57:58], off
	s_waitcnt vmcnt(0)
	v_cmpx_eq_u64_e64 v[61:62], v[65:66]
	s_cbranch_execz .LBB561_386
; %bb.379:
	v_add_co_u32 v57, vcc_lo, v57, 8
	v_add_co_ci_u32_e32 v58, vcc_lo, 0, v58, vcc_lo
	v_add_co_u32 v59, vcc_lo, v59, 8
	v_add_co_ci_u32_e32 v60, vcc_lo, 0, v60, vcc_lo
	s_add_u32 s14, s8, -1
	s_addc_u32 s15, s9, -1
	s_mov_b64 s[20:21], 0
	s_mov_b32 s24, 0
                                        ; implicit-def: $sgpr25
	s_set_inst_prefetch_distance 0x1
	s_branch .LBB561_382
	.p2align	6
.LBB561_380:                            ;   in Loop: Header=BB561_382 Depth=1
	global_load_b64 v[61:62], v[59:60], off
	global_load_b64 v[65:66], v[57:58], off
	v_add_co_u32 v57, vcc_lo, v57, 8
	v_add_co_ci_u32_e32 v58, vcc_lo, 0, v58, vcc_lo
	v_add_co_u32 v59, s0, v59, 8
	s_delay_alu instid0(VALU_DEP_1)
	v_add_co_ci_u32_e64 v60, s0, 0, v60, s0
	s_add_u32 s20, s20, 1
	s_addc_u32 s21, s21, 0
	s_and_not1_b32 s0, s25, exec_lo
	s_waitcnt vmcnt(0)
	v_cmp_ne_u64_e32 vcc_lo, v[61:62], v[65:66]
	s_and_b32 s25, vcc_lo, exec_lo
	s_delay_alu instid0(SALU_CYCLE_1)
	s_or_b32 s25, s0, s25
.LBB561_381:                            ;   in Loop: Header=BB561_382 Depth=1
	v_dual_mov_b32 v62, s21 :: v_dual_mov_b32 v61, s20
	s_and_b32 s0, exec_lo, s25
	s_delay_alu instid0(SALU_CYCLE_1) | instskip(NEXT) | instid1(SALU_CYCLE_1)
	s_or_b32 s24, s0, s24
	s_and_not1_b32 exec_lo, exec_lo, s24
	s_cbranch_execz .LBB561_385
.LBB561_382:                            ; =>This Inner Loop Header: Depth=1
	s_or_b32 s25, s25, exec_lo
	s_cmp_eq_u64 s[14:15], s[20:21]
	s_cbranch_scc0 .LBB561_380
; %bb.383:                              ;   in Loop: Header=BB561_382 Depth=1
	s_mov_b64 s[20:21], s[8:9]
                                        ; implicit-def: $vgpr57_vgpr58
                                        ; implicit-def: $vgpr59_vgpr60
	s_branch .LBB561_381
.LBB561_384:
	v_mov_b32_e32 v119, 0
	v_mov_b32_e32 v120, 0
	s_branch .LBB561_387
.LBB561_385:
	s_set_inst_prefetch_distance 0x2
	s_or_b32 exec_lo, exec_lo, s24
	v_cmp_gt_i64_e32 vcc_lo, s[8:9], v[61:62]
	s_mov_b32 s0, 0
	s_delay_alu instid0(SALU_CYCLE_1)
	v_mov_b32_e32 v120, s0
	v_cndmask_b32_e64 v119, 0, 1, vcc_lo
.LBB561_386:
	s_or_b32 exec_lo, exec_lo, s23
.LBB561_387:
	s_delay_alu instid0(SALU_CYCLE_1) | instskip(SKIP_3) | instid1(VALU_DEP_2)
	s_or_b32 exec_lo, exec_lo, s22
	v_dual_mov_b32 v122, v56 :: v_dual_add_nc_u32 v57, 23, v64
	v_mov_b32_e32 v121, v55
	s_mov_b32 s22, exec_lo
	v_cmpx_gt_u32_e64 s3, v57
	s_cbranch_execz .LBB561_398
; %bb.388:
	v_cmp_ne_u32_e32 vcc_lo, 1, v63
	s_cbranch_vccnz .LBB561_395
; %bb.389:
	v_mul_lo_u32 v61, v56, s8
	v_mul_lo_u32 v62, v55, s9
	v_mad_u64_u32 v[57:58], null, v55, s8, 0
	v_mul_lo_u32 v65, v54, s8
	v_mul_lo_u32 v66, v53, s9
	v_mad_u64_u32 v[59:60], null, v53, s8, 0
	v_mov_b32_e32 v121, 1
	v_mov_b32_e32 v122, 0
	v_add3_u32 v58, v58, v62, v61
	s_mov_b32 s23, exec_lo
	s_delay_alu instid0(VALU_DEP_4) | instskip(NEXT) | instid1(VALU_DEP_2)
	v_add3_u32 v60, v60, v66, v65
	v_lshlrev_b64 v[57:58], 3, v[57:58]
	s_delay_alu instid0(VALU_DEP_2) | instskip(NEXT) | instid1(VALU_DEP_2)
	v_lshlrev_b64 v[61:62], 3, v[59:60]
	v_add_co_u32 v59, vcc_lo, s10, v57
	s_delay_alu instid0(VALU_DEP_3) | instskip(NEXT) | instid1(VALU_DEP_3)
	v_add_co_ci_u32_e32 v60, vcc_lo, s11, v58, vcc_lo
	v_add_co_u32 v57, vcc_lo, s10, v61
	s_delay_alu instid0(VALU_DEP_4)
	v_add_co_ci_u32_e32 v58, vcc_lo, s11, v62, vcc_lo
	s_clause 0x1
	global_load_b64 v[61:62], v[59:60], off
	global_load_b64 v[65:66], v[57:58], off
	s_waitcnt vmcnt(0)
	v_cmpx_eq_u64_e64 v[61:62], v[65:66]
	s_cbranch_execz .LBB561_397
; %bb.390:
	v_add_co_u32 v57, vcc_lo, v57, 8
	v_add_co_ci_u32_e32 v58, vcc_lo, 0, v58, vcc_lo
	v_add_co_u32 v59, vcc_lo, v59, 8
	v_add_co_ci_u32_e32 v60, vcc_lo, 0, v60, vcc_lo
	s_add_u32 s14, s8, -1
	s_addc_u32 s15, s9, -1
	s_mov_b64 s[20:21], 0
	s_mov_b32 s24, 0
                                        ; implicit-def: $sgpr25
	s_set_inst_prefetch_distance 0x1
	s_branch .LBB561_393
	.p2align	6
.LBB561_391:                            ;   in Loop: Header=BB561_393 Depth=1
	global_load_b64 v[61:62], v[59:60], off
	global_load_b64 v[65:66], v[57:58], off
	v_add_co_u32 v57, vcc_lo, v57, 8
	v_add_co_ci_u32_e32 v58, vcc_lo, 0, v58, vcc_lo
	v_add_co_u32 v59, s0, v59, 8
	s_delay_alu instid0(VALU_DEP_1)
	v_add_co_ci_u32_e64 v60, s0, 0, v60, s0
	s_add_u32 s20, s20, 1
	s_addc_u32 s21, s21, 0
	s_and_not1_b32 s0, s25, exec_lo
	s_waitcnt vmcnt(0)
	v_cmp_ne_u64_e32 vcc_lo, v[61:62], v[65:66]
	s_and_b32 s25, vcc_lo, exec_lo
	s_delay_alu instid0(SALU_CYCLE_1)
	s_or_b32 s25, s0, s25
.LBB561_392:                            ;   in Loop: Header=BB561_393 Depth=1
	v_dual_mov_b32 v62, s21 :: v_dual_mov_b32 v61, s20
	s_and_b32 s0, exec_lo, s25
	s_delay_alu instid0(SALU_CYCLE_1) | instskip(NEXT) | instid1(SALU_CYCLE_1)
	s_or_b32 s24, s0, s24
	s_and_not1_b32 exec_lo, exec_lo, s24
	s_cbranch_execz .LBB561_396
.LBB561_393:                            ; =>This Inner Loop Header: Depth=1
	s_or_b32 s25, s25, exec_lo
	s_cmp_eq_u64 s[14:15], s[20:21]
	s_cbranch_scc0 .LBB561_391
; %bb.394:                              ;   in Loop: Header=BB561_393 Depth=1
	s_mov_b64 s[20:21], s[8:9]
                                        ; implicit-def: $vgpr57_vgpr58
                                        ; implicit-def: $vgpr59_vgpr60
	s_branch .LBB561_392
.LBB561_395:
	v_mov_b32_e32 v121, 0
	v_mov_b32_e32 v122, 0
	s_branch .LBB561_398
.LBB561_396:
	s_set_inst_prefetch_distance 0x2
	s_or_b32 exec_lo, exec_lo, s24
	v_cmp_gt_i64_e32 vcc_lo, s[8:9], v[61:62]
	s_mov_b32 s0, 0
	s_delay_alu instid0(SALU_CYCLE_1)
	v_mov_b32_e32 v122, s0
	v_cndmask_b32_e64 v121, 0, 1, vcc_lo
.LBB561_397:
	s_or_b32 exec_lo, exec_lo, s23
.LBB561_398:
	s_delay_alu instid0(SALU_CYCLE_1) | instskip(SKIP_3) | instid1(VALU_DEP_2)
	s_or_b32 exec_lo, exec_lo, s22
	v_dual_mov_b32 v124, v54 :: v_dual_add_nc_u32 v57, 22, v64
	v_mov_b32_e32 v123, v53
	s_mov_b32 s22, exec_lo
	v_cmpx_gt_u32_e64 s3, v57
	s_cbranch_execz .LBB561_409
; %bb.399:
	v_cmp_ne_u32_e32 vcc_lo, 1, v63
	s_cbranch_vccnz .LBB561_406
; %bb.400:
	v_mul_lo_u32 v61, v54, s8
	v_mul_lo_u32 v62, v53, s9
	v_mad_u64_u32 v[57:58], null, v53, s8, 0
	v_mul_lo_u32 v65, v52, s8
	v_mul_lo_u32 v66, v51, s9
	v_mad_u64_u32 v[59:60], null, v51, s8, 0
	v_mov_b32_e32 v123, 1
	v_mov_b32_e32 v124, 0
	v_add3_u32 v58, v58, v62, v61
	s_mov_b32 s23, exec_lo
	s_delay_alu instid0(VALU_DEP_4) | instskip(NEXT) | instid1(VALU_DEP_2)
	v_add3_u32 v60, v60, v66, v65
	v_lshlrev_b64 v[57:58], 3, v[57:58]
	s_delay_alu instid0(VALU_DEP_2) | instskip(NEXT) | instid1(VALU_DEP_2)
	v_lshlrev_b64 v[61:62], 3, v[59:60]
	v_add_co_u32 v59, vcc_lo, s10, v57
	s_delay_alu instid0(VALU_DEP_3) | instskip(NEXT) | instid1(VALU_DEP_3)
	v_add_co_ci_u32_e32 v60, vcc_lo, s11, v58, vcc_lo
	v_add_co_u32 v57, vcc_lo, s10, v61
	s_delay_alu instid0(VALU_DEP_4)
	v_add_co_ci_u32_e32 v58, vcc_lo, s11, v62, vcc_lo
	s_clause 0x1
	global_load_b64 v[61:62], v[59:60], off
	global_load_b64 v[65:66], v[57:58], off
	s_waitcnt vmcnt(0)
	v_cmpx_eq_u64_e64 v[61:62], v[65:66]
	s_cbranch_execz .LBB561_408
; %bb.401:
	v_add_co_u32 v57, vcc_lo, v57, 8
	v_add_co_ci_u32_e32 v58, vcc_lo, 0, v58, vcc_lo
	v_add_co_u32 v59, vcc_lo, v59, 8
	v_add_co_ci_u32_e32 v60, vcc_lo, 0, v60, vcc_lo
	s_add_u32 s14, s8, -1
	s_addc_u32 s15, s9, -1
	s_mov_b64 s[20:21], 0
	s_mov_b32 s24, 0
                                        ; implicit-def: $sgpr25
	s_set_inst_prefetch_distance 0x1
	s_branch .LBB561_404
	.p2align	6
.LBB561_402:                            ;   in Loop: Header=BB561_404 Depth=1
	global_load_b64 v[61:62], v[59:60], off
	global_load_b64 v[65:66], v[57:58], off
	v_add_co_u32 v57, vcc_lo, v57, 8
	v_add_co_ci_u32_e32 v58, vcc_lo, 0, v58, vcc_lo
	v_add_co_u32 v59, s0, v59, 8
	s_delay_alu instid0(VALU_DEP_1)
	v_add_co_ci_u32_e64 v60, s0, 0, v60, s0
	s_add_u32 s20, s20, 1
	s_addc_u32 s21, s21, 0
	s_and_not1_b32 s0, s25, exec_lo
	s_waitcnt vmcnt(0)
	v_cmp_ne_u64_e32 vcc_lo, v[61:62], v[65:66]
	s_and_b32 s25, vcc_lo, exec_lo
	s_delay_alu instid0(SALU_CYCLE_1)
	s_or_b32 s25, s0, s25
.LBB561_403:                            ;   in Loop: Header=BB561_404 Depth=1
	v_dual_mov_b32 v62, s21 :: v_dual_mov_b32 v61, s20
	s_and_b32 s0, exec_lo, s25
	s_delay_alu instid0(SALU_CYCLE_1) | instskip(NEXT) | instid1(SALU_CYCLE_1)
	s_or_b32 s24, s0, s24
	s_and_not1_b32 exec_lo, exec_lo, s24
	s_cbranch_execz .LBB561_407
.LBB561_404:                            ; =>This Inner Loop Header: Depth=1
	s_or_b32 s25, s25, exec_lo
	s_cmp_eq_u64 s[14:15], s[20:21]
	s_cbranch_scc0 .LBB561_402
; %bb.405:                              ;   in Loop: Header=BB561_404 Depth=1
	s_mov_b64 s[20:21], s[8:9]
                                        ; implicit-def: $vgpr57_vgpr58
                                        ; implicit-def: $vgpr59_vgpr60
	s_branch .LBB561_403
.LBB561_406:
	v_mov_b32_e32 v123, 0
	v_mov_b32_e32 v124, 0
	s_branch .LBB561_409
.LBB561_407:
	s_set_inst_prefetch_distance 0x2
	s_or_b32 exec_lo, exec_lo, s24
	v_cmp_gt_i64_e32 vcc_lo, s[8:9], v[61:62]
	s_mov_b32 s0, 0
	s_delay_alu instid0(SALU_CYCLE_1)
	v_mov_b32_e32 v124, s0
	v_cndmask_b32_e64 v123, 0, 1, vcc_lo
.LBB561_408:
	s_or_b32 exec_lo, exec_lo, s23
.LBB561_409:
	s_delay_alu instid0(SALU_CYCLE_1) | instskip(SKIP_3) | instid1(VALU_DEP_2)
	s_or_b32 exec_lo, exec_lo, s22
	v_dual_mov_b32 v126, v52 :: v_dual_add_nc_u32 v57, 21, v64
	v_mov_b32_e32 v125, v51
	s_mov_b32 s22, exec_lo
	v_cmpx_gt_u32_e64 s3, v57
	s_cbranch_execz .LBB561_420
; %bb.410:
	v_cmp_ne_u32_e32 vcc_lo, 1, v63
	s_cbranch_vccnz .LBB561_417
; %bb.411:
	v_mul_lo_u32 v61, v52, s8
	v_mul_lo_u32 v62, v51, s9
	v_mad_u64_u32 v[57:58], null, v51, s8, 0
	v_mul_lo_u32 v65, v50, s8
	v_mul_lo_u32 v66, v49, s9
	v_mad_u64_u32 v[59:60], null, v49, s8, 0
	v_mov_b32_e32 v125, 1
	v_mov_b32_e32 v126, 0
	v_add3_u32 v58, v58, v62, v61
	s_mov_b32 s23, exec_lo
	s_delay_alu instid0(VALU_DEP_4) | instskip(NEXT) | instid1(VALU_DEP_2)
	v_add3_u32 v60, v60, v66, v65
	v_lshlrev_b64 v[57:58], 3, v[57:58]
	s_delay_alu instid0(VALU_DEP_2) | instskip(NEXT) | instid1(VALU_DEP_2)
	v_lshlrev_b64 v[61:62], 3, v[59:60]
	v_add_co_u32 v59, vcc_lo, s10, v57
	s_delay_alu instid0(VALU_DEP_3) | instskip(NEXT) | instid1(VALU_DEP_3)
	v_add_co_ci_u32_e32 v60, vcc_lo, s11, v58, vcc_lo
	v_add_co_u32 v57, vcc_lo, s10, v61
	s_delay_alu instid0(VALU_DEP_4)
	v_add_co_ci_u32_e32 v58, vcc_lo, s11, v62, vcc_lo
	s_clause 0x1
	global_load_b64 v[61:62], v[59:60], off
	global_load_b64 v[65:66], v[57:58], off
	s_waitcnt vmcnt(0)
	v_cmpx_eq_u64_e64 v[61:62], v[65:66]
	s_cbranch_execz .LBB561_419
; %bb.412:
	v_add_co_u32 v57, vcc_lo, v57, 8
	v_add_co_ci_u32_e32 v58, vcc_lo, 0, v58, vcc_lo
	v_add_co_u32 v59, vcc_lo, v59, 8
	v_add_co_ci_u32_e32 v60, vcc_lo, 0, v60, vcc_lo
	s_add_u32 s14, s8, -1
	s_addc_u32 s15, s9, -1
	s_mov_b64 s[20:21], 0
	s_mov_b32 s24, 0
                                        ; implicit-def: $sgpr25
	s_set_inst_prefetch_distance 0x1
	s_branch .LBB561_415
	.p2align	6
.LBB561_413:                            ;   in Loop: Header=BB561_415 Depth=1
	global_load_b64 v[61:62], v[59:60], off
	global_load_b64 v[65:66], v[57:58], off
	v_add_co_u32 v57, vcc_lo, v57, 8
	v_add_co_ci_u32_e32 v58, vcc_lo, 0, v58, vcc_lo
	v_add_co_u32 v59, s0, v59, 8
	s_delay_alu instid0(VALU_DEP_1)
	v_add_co_ci_u32_e64 v60, s0, 0, v60, s0
	s_add_u32 s20, s20, 1
	s_addc_u32 s21, s21, 0
	s_and_not1_b32 s0, s25, exec_lo
	s_waitcnt vmcnt(0)
	v_cmp_ne_u64_e32 vcc_lo, v[61:62], v[65:66]
	s_and_b32 s25, vcc_lo, exec_lo
	s_delay_alu instid0(SALU_CYCLE_1)
	s_or_b32 s25, s0, s25
.LBB561_414:                            ;   in Loop: Header=BB561_415 Depth=1
	v_dual_mov_b32 v62, s21 :: v_dual_mov_b32 v61, s20
	s_and_b32 s0, exec_lo, s25
	s_delay_alu instid0(SALU_CYCLE_1) | instskip(NEXT) | instid1(SALU_CYCLE_1)
	s_or_b32 s24, s0, s24
	s_and_not1_b32 exec_lo, exec_lo, s24
	s_cbranch_execz .LBB561_418
.LBB561_415:                            ; =>This Inner Loop Header: Depth=1
	s_or_b32 s25, s25, exec_lo
	s_cmp_eq_u64 s[14:15], s[20:21]
	s_cbranch_scc0 .LBB561_413
; %bb.416:                              ;   in Loop: Header=BB561_415 Depth=1
	s_mov_b64 s[20:21], s[8:9]
                                        ; implicit-def: $vgpr57_vgpr58
                                        ; implicit-def: $vgpr59_vgpr60
	s_branch .LBB561_414
.LBB561_417:
	v_mov_b32_e32 v125, 0
	v_mov_b32_e32 v126, 0
	s_branch .LBB561_420
.LBB561_418:
	s_set_inst_prefetch_distance 0x2
	s_or_b32 exec_lo, exec_lo, s24
	v_cmp_gt_i64_e32 vcc_lo, s[8:9], v[61:62]
	s_mov_b32 s0, 0
	s_delay_alu instid0(SALU_CYCLE_1)
	v_mov_b32_e32 v126, s0
	v_cndmask_b32_e64 v125, 0, 1, vcc_lo
.LBB561_419:
	s_or_b32 exec_lo, exec_lo, s23
.LBB561_420:
	s_delay_alu instid0(SALU_CYCLE_1) | instskip(SKIP_3) | instid1(VALU_DEP_2)
	s_or_b32 exec_lo, exec_lo, s22
	v_dual_mov_b32 v128, v50 :: v_dual_add_nc_u32 v57, 20, v64
	v_mov_b32_e32 v127, v49
	s_mov_b32 s22, exec_lo
	v_cmpx_gt_u32_e64 s3, v57
	s_cbranch_execz .LBB561_431
; %bb.421:
	v_cmp_ne_u32_e32 vcc_lo, 1, v63
	s_cbranch_vccnz .LBB561_428
; %bb.422:
	v_mul_lo_u32 v61, v50, s8
	v_mul_lo_u32 v62, v49, s9
	v_mad_u64_u32 v[57:58], null, v49, s8, 0
	v_mul_lo_u32 v65, v48, s8
	v_mul_lo_u32 v66, v47, s9
	v_mad_u64_u32 v[59:60], null, v47, s8, 0
	v_mov_b32_e32 v127, 1
	v_mov_b32_e32 v128, 0
	v_add3_u32 v58, v58, v62, v61
	s_mov_b32 s23, exec_lo
	s_delay_alu instid0(VALU_DEP_4) | instskip(NEXT) | instid1(VALU_DEP_2)
	v_add3_u32 v60, v60, v66, v65
	v_lshlrev_b64 v[57:58], 3, v[57:58]
	s_delay_alu instid0(VALU_DEP_2) | instskip(NEXT) | instid1(VALU_DEP_2)
	v_lshlrev_b64 v[61:62], 3, v[59:60]
	v_add_co_u32 v59, vcc_lo, s10, v57
	s_delay_alu instid0(VALU_DEP_3) | instskip(NEXT) | instid1(VALU_DEP_3)
	v_add_co_ci_u32_e32 v60, vcc_lo, s11, v58, vcc_lo
	v_add_co_u32 v57, vcc_lo, s10, v61
	s_delay_alu instid0(VALU_DEP_4)
	v_add_co_ci_u32_e32 v58, vcc_lo, s11, v62, vcc_lo
	s_clause 0x1
	global_load_b64 v[61:62], v[59:60], off
	global_load_b64 v[65:66], v[57:58], off
	s_waitcnt vmcnt(0)
	v_cmpx_eq_u64_e64 v[61:62], v[65:66]
	s_cbranch_execz .LBB561_430
; %bb.423:
	v_add_co_u32 v57, vcc_lo, v57, 8
	v_add_co_ci_u32_e32 v58, vcc_lo, 0, v58, vcc_lo
	v_add_co_u32 v59, vcc_lo, v59, 8
	v_add_co_ci_u32_e32 v60, vcc_lo, 0, v60, vcc_lo
	s_add_u32 s14, s8, -1
	s_addc_u32 s15, s9, -1
	s_mov_b64 s[20:21], 0
	s_mov_b32 s24, 0
                                        ; implicit-def: $sgpr25
	s_set_inst_prefetch_distance 0x1
	s_branch .LBB561_426
	.p2align	6
.LBB561_424:                            ;   in Loop: Header=BB561_426 Depth=1
	global_load_b64 v[61:62], v[59:60], off
	global_load_b64 v[65:66], v[57:58], off
	v_add_co_u32 v57, vcc_lo, v57, 8
	v_add_co_ci_u32_e32 v58, vcc_lo, 0, v58, vcc_lo
	v_add_co_u32 v59, s0, v59, 8
	s_delay_alu instid0(VALU_DEP_1)
	v_add_co_ci_u32_e64 v60, s0, 0, v60, s0
	s_add_u32 s20, s20, 1
	s_addc_u32 s21, s21, 0
	s_and_not1_b32 s0, s25, exec_lo
	s_waitcnt vmcnt(0)
	v_cmp_ne_u64_e32 vcc_lo, v[61:62], v[65:66]
	s_and_b32 s25, vcc_lo, exec_lo
	s_delay_alu instid0(SALU_CYCLE_1)
	s_or_b32 s25, s0, s25
.LBB561_425:                            ;   in Loop: Header=BB561_426 Depth=1
	v_dual_mov_b32 v62, s21 :: v_dual_mov_b32 v61, s20
	s_and_b32 s0, exec_lo, s25
	s_delay_alu instid0(SALU_CYCLE_1) | instskip(NEXT) | instid1(SALU_CYCLE_1)
	s_or_b32 s24, s0, s24
	s_and_not1_b32 exec_lo, exec_lo, s24
	s_cbranch_execz .LBB561_429
.LBB561_426:                            ; =>This Inner Loop Header: Depth=1
	s_or_b32 s25, s25, exec_lo
	s_cmp_eq_u64 s[14:15], s[20:21]
	s_cbranch_scc0 .LBB561_424
; %bb.427:                              ;   in Loop: Header=BB561_426 Depth=1
	s_mov_b64 s[20:21], s[8:9]
                                        ; implicit-def: $vgpr57_vgpr58
                                        ; implicit-def: $vgpr59_vgpr60
	s_branch .LBB561_425
.LBB561_428:
	v_mov_b32_e32 v127, 0
	v_mov_b32_e32 v128, 0
	s_branch .LBB561_431
.LBB561_429:
	s_set_inst_prefetch_distance 0x2
	s_or_b32 exec_lo, exec_lo, s24
	v_cmp_gt_i64_e32 vcc_lo, s[8:9], v[61:62]
	s_mov_b32 s0, 0
	s_delay_alu instid0(SALU_CYCLE_1)
	v_mov_b32_e32 v128, s0
	v_cndmask_b32_e64 v127, 0, 1, vcc_lo
.LBB561_430:
	s_or_b32 exec_lo, exec_lo, s23
.LBB561_431:
	s_delay_alu instid0(SALU_CYCLE_1) | instskip(SKIP_3) | instid1(VALU_DEP_2)
	s_or_b32 exec_lo, exec_lo, s22
	v_dual_mov_b32 v130, v48 :: v_dual_add_nc_u32 v57, 19, v64
	v_mov_b32_e32 v129, v47
	s_mov_b32 s22, exec_lo
	v_cmpx_gt_u32_e64 s3, v57
	s_cbranch_execz .LBB561_442
; %bb.432:
	v_cmp_ne_u32_e32 vcc_lo, 1, v63
	s_cbranch_vccnz .LBB561_439
; %bb.433:
	v_mul_lo_u32 v61, v48, s8
	v_mul_lo_u32 v62, v47, s9
	v_mad_u64_u32 v[57:58], null, v47, s8, 0
	v_mul_lo_u32 v65, v46, s8
	v_mul_lo_u32 v66, v45, s9
	v_mad_u64_u32 v[59:60], null, v45, s8, 0
	v_mov_b32_e32 v129, 1
	v_mov_b32_e32 v130, 0
	v_add3_u32 v58, v58, v62, v61
	s_mov_b32 s23, exec_lo
	s_delay_alu instid0(VALU_DEP_4) | instskip(NEXT) | instid1(VALU_DEP_2)
	v_add3_u32 v60, v60, v66, v65
	v_lshlrev_b64 v[57:58], 3, v[57:58]
	s_delay_alu instid0(VALU_DEP_2) | instskip(NEXT) | instid1(VALU_DEP_2)
	v_lshlrev_b64 v[61:62], 3, v[59:60]
	v_add_co_u32 v59, vcc_lo, s10, v57
	s_delay_alu instid0(VALU_DEP_3) | instskip(NEXT) | instid1(VALU_DEP_3)
	v_add_co_ci_u32_e32 v60, vcc_lo, s11, v58, vcc_lo
	v_add_co_u32 v57, vcc_lo, s10, v61
	s_delay_alu instid0(VALU_DEP_4)
	v_add_co_ci_u32_e32 v58, vcc_lo, s11, v62, vcc_lo
	s_clause 0x1
	global_load_b64 v[61:62], v[59:60], off
	global_load_b64 v[65:66], v[57:58], off
	s_waitcnt vmcnt(0)
	v_cmpx_eq_u64_e64 v[61:62], v[65:66]
	s_cbranch_execz .LBB561_441
; %bb.434:
	v_add_co_u32 v57, vcc_lo, v57, 8
	v_add_co_ci_u32_e32 v58, vcc_lo, 0, v58, vcc_lo
	v_add_co_u32 v59, vcc_lo, v59, 8
	v_add_co_ci_u32_e32 v60, vcc_lo, 0, v60, vcc_lo
	s_add_u32 s14, s8, -1
	s_addc_u32 s15, s9, -1
	s_mov_b64 s[20:21], 0
	s_mov_b32 s24, 0
                                        ; implicit-def: $sgpr25
	s_set_inst_prefetch_distance 0x1
	s_branch .LBB561_437
	.p2align	6
.LBB561_435:                            ;   in Loop: Header=BB561_437 Depth=1
	global_load_b64 v[61:62], v[59:60], off
	global_load_b64 v[65:66], v[57:58], off
	v_add_co_u32 v57, vcc_lo, v57, 8
	v_add_co_ci_u32_e32 v58, vcc_lo, 0, v58, vcc_lo
	v_add_co_u32 v59, s0, v59, 8
	s_delay_alu instid0(VALU_DEP_1)
	v_add_co_ci_u32_e64 v60, s0, 0, v60, s0
	s_add_u32 s20, s20, 1
	s_addc_u32 s21, s21, 0
	s_and_not1_b32 s0, s25, exec_lo
	s_waitcnt vmcnt(0)
	v_cmp_ne_u64_e32 vcc_lo, v[61:62], v[65:66]
	s_and_b32 s25, vcc_lo, exec_lo
	s_delay_alu instid0(SALU_CYCLE_1)
	s_or_b32 s25, s0, s25
.LBB561_436:                            ;   in Loop: Header=BB561_437 Depth=1
	v_dual_mov_b32 v62, s21 :: v_dual_mov_b32 v61, s20
	s_and_b32 s0, exec_lo, s25
	s_delay_alu instid0(SALU_CYCLE_1) | instskip(NEXT) | instid1(SALU_CYCLE_1)
	s_or_b32 s24, s0, s24
	s_and_not1_b32 exec_lo, exec_lo, s24
	s_cbranch_execz .LBB561_440
.LBB561_437:                            ; =>This Inner Loop Header: Depth=1
	s_or_b32 s25, s25, exec_lo
	s_cmp_eq_u64 s[14:15], s[20:21]
	s_cbranch_scc0 .LBB561_435
; %bb.438:                              ;   in Loop: Header=BB561_437 Depth=1
	s_mov_b64 s[20:21], s[8:9]
                                        ; implicit-def: $vgpr57_vgpr58
                                        ; implicit-def: $vgpr59_vgpr60
	s_branch .LBB561_436
.LBB561_439:
	v_mov_b32_e32 v129, 0
	v_mov_b32_e32 v130, 0
	s_branch .LBB561_442
.LBB561_440:
	s_set_inst_prefetch_distance 0x2
	s_or_b32 exec_lo, exec_lo, s24
	v_cmp_gt_i64_e32 vcc_lo, s[8:9], v[61:62]
	s_mov_b32 s0, 0
	s_delay_alu instid0(SALU_CYCLE_1)
	v_mov_b32_e32 v130, s0
	v_cndmask_b32_e64 v129, 0, 1, vcc_lo
.LBB561_441:
	s_or_b32 exec_lo, exec_lo, s23
.LBB561_442:
	s_delay_alu instid0(SALU_CYCLE_1) | instskip(SKIP_3) | instid1(VALU_DEP_2)
	s_or_b32 exec_lo, exec_lo, s22
	v_dual_mov_b32 v132, v46 :: v_dual_add_nc_u32 v57, 18, v64
	v_mov_b32_e32 v131, v45
	s_mov_b32 s22, exec_lo
	v_cmpx_gt_u32_e64 s3, v57
	s_cbranch_execz .LBB561_453
; %bb.443:
	v_cmp_ne_u32_e32 vcc_lo, 1, v63
	s_cbranch_vccnz .LBB561_450
; %bb.444:
	v_mul_lo_u32 v61, v46, s8
	v_mul_lo_u32 v62, v45, s9
	v_mad_u64_u32 v[57:58], null, v45, s8, 0
	v_mul_lo_u32 v65, v44, s8
	v_mul_lo_u32 v66, v43, s9
	v_mad_u64_u32 v[59:60], null, v43, s8, 0
	v_mov_b32_e32 v131, 1
	v_mov_b32_e32 v132, 0
	v_add3_u32 v58, v58, v62, v61
	s_mov_b32 s23, exec_lo
	s_delay_alu instid0(VALU_DEP_4) | instskip(NEXT) | instid1(VALU_DEP_2)
	v_add3_u32 v60, v60, v66, v65
	v_lshlrev_b64 v[57:58], 3, v[57:58]
	s_delay_alu instid0(VALU_DEP_2) | instskip(NEXT) | instid1(VALU_DEP_2)
	v_lshlrev_b64 v[61:62], 3, v[59:60]
	v_add_co_u32 v59, vcc_lo, s10, v57
	s_delay_alu instid0(VALU_DEP_3) | instskip(NEXT) | instid1(VALU_DEP_3)
	v_add_co_ci_u32_e32 v60, vcc_lo, s11, v58, vcc_lo
	v_add_co_u32 v57, vcc_lo, s10, v61
	s_delay_alu instid0(VALU_DEP_4)
	v_add_co_ci_u32_e32 v58, vcc_lo, s11, v62, vcc_lo
	s_clause 0x1
	global_load_b64 v[61:62], v[59:60], off
	global_load_b64 v[65:66], v[57:58], off
	s_waitcnt vmcnt(0)
	v_cmpx_eq_u64_e64 v[61:62], v[65:66]
	s_cbranch_execz .LBB561_452
; %bb.445:
	v_add_co_u32 v57, vcc_lo, v57, 8
	v_add_co_ci_u32_e32 v58, vcc_lo, 0, v58, vcc_lo
	v_add_co_u32 v59, vcc_lo, v59, 8
	v_add_co_ci_u32_e32 v60, vcc_lo, 0, v60, vcc_lo
	s_add_u32 s14, s8, -1
	s_addc_u32 s15, s9, -1
	s_mov_b64 s[20:21], 0
	s_mov_b32 s24, 0
                                        ; implicit-def: $sgpr25
	s_set_inst_prefetch_distance 0x1
	s_branch .LBB561_448
	.p2align	6
.LBB561_446:                            ;   in Loop: Header=BB561_448 Depth=1
	global_load_b64 v[61:62], v[59:60], off
	global_load_b64 v[65:66], v[57:58], off
	v_add_co_u32 v57, vcc_lo, v57, 8
	v_add_co_ci_u32_e32 v58, vcc_lo, 0, v58, vcc_lo
	v_add_co_u32 v59, s0, v59, 8
	s_delay_alu instid0(VALU_DEP_1)
	v_add_co_ci_u32_e64 v60, s0, 0, v60, s0
	s_add_u32 s20, s20, 1
	s_addc_u32 s21, s21, 0
	s_and_not1_b32 s0, s25, exec_lo
	s_waitcnt vmcnt(0)
	v_cmp_ne_u64_e32 vcc_lo, v[61:62], v[65:66]
	s_and_b32 s25, vcc_lo, exec_lo
	s_delay_alu instid0(SALU_CYCLE_1)
	s_or_b32 s25, s0, s25
.LBB561_447:                            ;   in Loop: Header=BB561_448 Depth=1
	v_dual_mov_b32 v62, s21 :: v_dual_mov_b32 v61, s20
	s_and_b32 s0, exec_lo, s25
	s_delay_alu instid0(SALU_CYCLE_1) | instskip(NEXT) | instid1(SALU_CYCLE_1)
	s_or_b32 s24, s0, s24
	s_and_not1_b32 exec_lo, exec_lo, s24
	s_cbranch_execz .LBB561_451
.LBB561_448:                            ; =>This Inner Loop Header: Depth=1
	s_or_b32 s25, s25, exec_lo
	s_cmp_eq_u64 s[14:15], s[20:21]
	s_cbranch_scc0 .LBB561_446
; %bb.449:                              ;   in Loop: Header=BB561_448 Depth=1
	s_mov_b64 s[20:21], s[8:9]
                                        ; implicit-def: $vgpr57_vgpr58
                                        ; implicit-def: $vgpr59_vgpr60
	s_branch .LBB561_447
.LBB561_450:
	v_mov_b32_e32 v131, 0
	v_mov_b32_e32 v132, 0
	s_branch .LBB561_453
.LBB561_451:
	s_set_inst_prefetch_distance 0x2
	s_or_b32 exec_lo, exec_lo, s24
	v_cmp_gt_i64_e32 vcc_lo, s[8:9], v[61:62]
	s_mov_b32 s0, 0
	s_delay_alu instid0(SALU_CYCLE_1)
	v_mov_b32_e32 v132, s0
	v_cndmask_b32_e64 v131, 0, 1, vcc_lo
.LBB561_452:
	s_or_b32 exec_lo, exec_lo, s23
.LBB561_453:
	s_delay_alu instid0(SALU_CYCLE_1) | instskip(SKIP_3) | instid1(VALU_DEP_2)
	s_or_b32 exec_lo, exec_lo, s22
	v_dual_mov_b32 v134, v44 :: v_dual_add_nc_u32 v57, 17, v64
	v_mov_b32_e32 v133, v43
	s_mov_b32 s22, exec_lo
	v_cmpx_gt_u32_e64 s3, v57
	s_cbranch_execz .LBB561_464
; %bb.454:
	v_cmp_ne_u32_e32 vcc_lo, 1, v63
	s_cbranch_vccnz .LBB561_461
; %bb.455:
	v_mul_lo_u32 v61, v44, s8
	v_mul_lo_u32 v62, v43, s9
	v_mad_u64_u32 v[57:58], null, v43, s8, 0
	v_mul_lo_u32 v65, v42, s8
	v_mul_lo_u32 v66, v41, s9
	v_mad_u64_u32 v[59:60], null, v41, s8, 0
	v_mov_b32_e32 v133, 1
	v_mov_b32_e32 v134, 0
	v_add3_u32 v58, v58, v62, v61
	s_mov_b32 s23, exec_lo
	s_delay_alu instid0(VALU_DEP_4) | instskip(NEXT) | instid1(VALU_DEP_2)
	v_add3_u32 v60, v60, v66, v65
	v_lshlrev_b64 v[57:58], 3, v[57:58]
	s_delay_alu instid0(VALU_DEP_2) | instskip(NEXT) | instid1(VALU_DEP_2)
	v_lshlrev_b64 v[61:62], 3, v[59:60]
	v_add_co_u32 v59, vcc_lo, s10, v57
	s_delay_alu instid0(VALU_DEP_3) | instskip(NEXT) | instid1(VALU_DEP_3)
	v_add_co_ci_u32_e32 v60, vcc_lo, s11, v58, vcc_lo
	v_add_co_u32 v57, vcc_lo, s10, v61
	s_delay_alu instid0(VALU_DEP_4)
	v_add_co_ci_u32_e32 v58, vcc_lo, s11, v62, vcc_lo
	s_clause 0x1
	global_load_b64 v[61:62], v[59:60], off
	global_load_b64 v[65:66], v[57:58], off
	s_waitcnt vmcnt(0)
	v_cmpx_eq_u64_e64 v[61:62], v[65:66]
	s_cbranch_execz .LBB561_463
; %bb.456:
	v_add_co_u32 v57, vcc_lo, v57, 8
	v_add_co_ci_u32_e32 v58, vcc_lo, 0, v58, vcc_lo
	v_add_co_u32 v59, vcc_lo, v59, 8
	v_add_co_ci_u32_e32 v60, vcc_lo, 0, v60, vcc_lo
	s_add_u32 s14, s8, -1
	s_addc_u32 s15, s9, -1
	s_mov_b64 s[20:21], 0
	s_mov_b32 s24, 0
                                        ; implicit-def: $sgpr25
	s_set_inst_prefetch_distance 0x1
	s_branch .LBB561_459
	.p2align	6
.LBB561_457:                            ;   in Loop: Header=BB561_459 Depth=1
	global_load_b64 v[61:62], v[59:60], off
	global_load_b64 v[65:66], v[57:58], off
	v_add_co_u32 v57, vcc_lo, v57, 8
	v_add_co_ci_u32_e32 v58, vcc_lo, 0, v58, vcc_lo
	v_add_co_u32 v59, s0, v59, 8
	s_delay_alu instid0(VALU_DEP_1)
	v_add_co_ci_u32_e64 v60, s0, 0, v60, s0
	s_add_u32 s20, s20, 1
	s_addc_u32 s21, s21, 0
	s_and_not1_b32 s0, s25, exec_lo
	s_waitcnt vmcnt(0)
	v_cmp_ne_u64_e32 vcc_lo, v[61:62], v[65:66]
	s_and_b32 s25, vcc_lo, exec_lo
	s_delay_alu instid0(SALU_CYCLE_1)
	s_or_b32 s25, s0, s25
.LBB561_458:                            ;   in Loop: Header=BB561_459 Depth=1
	v_dual_mov_b32 v62, s21 :: v_dual_mov_b32 v61, s20
	s_and_b32 s0, exec_lo, s25
	s_delay_alu instid0(SALU_CYCLE_1) | instskip(NEXT) | instid1(SALU_CYCLE_1)
	s_or_b32 s24, s0, s24
	s_and_not1_b32 exec_lo, exec_lo, s24
	s_cbranch_execz .LBB561_462
.LBB561_459:                            ; =>This Inner Loop Header: Depth=1
	s_or_b32 s25, s25, exec_lo
	s_cmp_eq_u64 s[14:15], s[20:21]
	s_cbranch_scc0 .LBB561_457
; %bb.460:                              ;   in Loop: Header=BB561_459 Depth=1
	s_mov_b64 s[20:21], s[8:9]
                                        ; implicit-def: $vgpr57_vgpr58
                                        ; implicit-def: $vgpr59_vgpr60
	s_branch .LBB561_458
.LBB561_461:
	v_mov_b32_e32 v133, 0
	v_mov_b32_e32 v134, 0
	s_branch .LBB561_464
.LBB561_462:
	s_set_inst_prefetch_distance 0x2
	s_or_b32 exec_lo, exec_lo, s24
	v_cmp_gt_i64_e32 vcc_lo, s[8:9], v[61:62]
	s_mov_b32 s0, 0
	s_delay_alu instid0(SALU_CYCLE_1)
	v_mov_b32_e32 v134, s0
	v_cndmask_b32_e64 v133, 0, 1, vcc_lo
.LBB561_463:
	s_or_b32 exec_lo, exec_lo, s23
.LBB561_464:
	s_delay_alu instid0(SALU_CYCLE_1) | instskip(SKIP_3) | instid1(VALU_DEP_2)
	s_or_b32 exec_lo, exec_lo, s22
	v_dual_mov_b32 v136, v42 :: v_dual_add_nc_u32 v57, 16, v64
	v_mov_b32_e32 v135, v41
	s_mov_b32 s22, exec_lo
	v_cmpx_gt_u32_e64 s3, v57
	s_cbranch_execz .LBB561_475
; %bb.465:
	v_cmp_ne_u32_e32 vcc_lo, 1, v63
	s_cbranch_vccnz .LBB561_472
; %bb.466:
	v_mul_lo_u32 v61, v42, s8
	v_mul_lo_u32 v62, v41, s9
	v_mad_u64_u32 v[57:58], null, v41, s8, 0
	v_mul_lo_u32 v65, v40, s8
	v_mul_lo_u32 v66, v39, s9
	v_mad_u64_u32 v[59:60], null, v39, s8, 0
	v_mov_b32_e32 v135, 1
	v_mov_b32_e32 v136, 0
	v_add3_u32 v58, v58, v62, v61
	s_mov_b32 s23, exec_lo
	s_delay_alu instid0(VALU_DEP_4) | instskip(NEXT) | instid1(VALU_DEP_2)
	v_add3_u32 v60, v60, v66, v65
	v_lshlrev_b64 v[57:58], 3, v[57:58]
	s_delay_alu instid0(VALU_DEP_2) | instskip(NEXT) | instid1(VALU_DEP_2)
	v_lshlrev_b64 v[61:62], 3, v[59:60]
	v_add_co_u32 v59, vcc_lo, s10, v57
	s_delay_alu instid0(VALU_DEP_3) | instskip(NEXT) | instid1(VALU_DEP_3)
	v_add_co_ci_u32_e32 v60, vcc_lo, s11, v58, vcc_lo
	v_add_co_u32 v57, vcc_lo, s10, v61
	s_delay_alu instid0(VALU_DEP_4)
	v_add_co_ci_u32_e32 v58, vcc_lo, s11, v62, vcc_lo
	s_clause 0x1
	global_load_b64 v[61:62], v[59:60], off
	global_load_b64 v[65:66], v[57:58], off
	s_waitcnt vmcnt(0)
	v_cmpx_eq_u64_e64 v[61:62], v[65:66]
	s_cbranch_execz .LBB561_474
; %bb.467:
	v_add_co_u32 v57, vcc_lo, v57, 8
	v_add_co_ci_u32_e32 v58, vcc_lo, 0, v58, vcc_lo
	v_add_co_u32 v59, vcc_lo, v59, 8
	v_add_co_ci_u32_e32 v60, vcc_lo, 0, v60, vcc_lo
	s_add_u32 s14, s8, -1
	s_addc_u32 s15, s9, -1
	s_mov_b64 s[20:21], 0
	s_mov_b32 s24, 0
                                        ; implicit-def: $sgpr25
	s_set_inst_prefetch_distance 0x1
	s_branch .LBB561_470
	.p2align	6
.LBB561_468:                            ;   in Loop: Header=BB561_470 Depth=1
	global_load_b64 v[61:62], v[59:60], off
	global_load_b64 v[65:66], v[57:58], off
	v_add_co_u32 v57, vcc_lo, v57, 8
	v_add_co_ci_u32_e32 v58, vcc_lo, 0, v58, vcc_lo
	v_add_co_u32 v59, s0, v59, 8
	s_delay_alu instid0(VALU_DEP_1)
	v_add_co_ci_u32_e64 v60, s0, 0, v60, s0
	s_add_u32 s20, s20, 1
	s_addc_u32 s21, s21, 0
	s_and_not1_b32 s0, s25, exec_lo
	s_waitcnt vmcnt(0)
	v_cmp_ne_u64_e32 vcc_lo, v[61:62], v[65:66]
	s_and_b32 s25, vcc_lo, exec_lo
	s_delay_alu instid0(SALU_CYCLE_1)
	s_or_b32 s25, s0, s25
.LBB561_469:                            ;   in Loop: Header=BB561_470 Depth=1
	v_dual_mov_b32 v62, s21 :: v_dual_mov_b32 v61, s20
	s_and_b32 s0, exec_lo, s25
	s_delay_alu instid0(SALU_CYCLE_1) | instskip(NEXT) | instid1(SALU_CYCLE_1)
	s_or_b32 s24, s0, s24
	s_and_not1_b32 exec_lo, exec_lo, s24
	s_cbranch_execz .LBB561_473
.LBB561_470:                            ; =>This Inner Loop Header: Depth=1
	s_or_b32 s25, s25, exec_lo
	s_cmp_eq_u64 s[14:15], s[20:21]
	s_cbranch_scc0 .LBB561_468
; %bb.471:                              ;   in Loop: Header=BB561_470 Depth=1
	s_mov_b64 s[20:21], s[8:9]
                                        ; implicit-def: $vgpr57_vgpr58
                                        ; implicit-def: $vgpr59_vgpr60
	s_branch .LBB561_469
.LBB561_472:
	v_mov_b32_e32 v135, 0
	v_mov_b32_e32 v136, 0
	s_branch .LBB561_475
.LBB561_473:
	s_set_inst_prefetch_distance 0x2
	s_or_b32 exec_lo, exec_lo, s24
	v_cmp_gt_i64_e32 vcc_lo, s[8:9], v[61:62]
	s_mov_b32 s0, 0
	s_delay_alu instid0(SALU_CYCLE_1)
	v_mov_b32_e32 v136, s0
	v_cndmask_b32_e64 v135, 0, 1, vcc_lo
.LBB561_474:
	s_or_b32 exec_lo, exec_lo, s23
.LBB561_475:
	s_delay_alu instid0(SALU_CYCLE_1) | instskip(SKIP_3) | instid1(VALU_DEP_2)
	s_or_b32 exec_lo, exec_lo, s22
	v_dual_mov_b32 v138, v40 :: v_dual_add_nc_u32 v57, 15, v64
	v_mov_b32_e32 v137, v39
	s_mov_b32 s22, exec_lo
	v_cmpx_gt_u32_e64 s3, v57
	s_cbranch_execz .LBB561_486
; %bb.476:
	v_cmp_ne_u32_e32 vcc_lo, 1, v63
	s_cbranch_vccnz .LBB561_483
; %bb.477:
	v_mul_lo_u32 v61, v40, s8
	v_mul_lo_u32 v62, v39, s9
	v_mad_u64_u32 v[57:58], null, v39, s8, 0
	v_mul_lo_u32 v65, v38, s8
	v_mul_lo_u32 v66, v37, s9
	v_mad_u64_u32 v[59:60], null, v37, s8, 0
	v_mov_b32_e32 v137, 1
	v_mov_b32_e32 v138, 0
	v_add3_u32 v58, v58, v62, v61
	s_mov_b32 s23, exec_lo
	s_delay_alu instid0(VALU_DEP_4) | instskip(NEXT) | instid1(VALU_DEP_2)
	v_add3_u32 v60, v60, v66, v65
	v_lshlrev_b64 v[57:58], 3, v[57:58]
	s_delay_alu instid0(VALU_DEP_2) | instskip(NEXT) | instid1(VALU_DEP_2)
	v_lshlrev_b64 v[61:62], 3, v[59:60]
	v_add_co_u32 v59, vcc_lo, s10, v57
	s_delay_alu instid0(VALU_DEP_3) | instskip(NEXT) | instid1(VALU_DEP_3)
	v_add_co_ci_u32_e32 v60, vcc_lo, s11, v58, vcc_lo
	v_add_co_u32 v57, vcc_lo, s10, v61
	s_delay_alu instid0(VALU_DEP_4)
	v_add_co_ci_u32_e32 v58, vcc_lo, s11, v62, vcc_lo
	s_clause 0x1
	global_load_b64 v[61:62], v[59:60], off
	global_load_b64 v[65:66], v[57:58], off
	s_waitcnt vmcnt(0)
	v_cmpx_eq_u64_e64 v[61:62], v[65:66]
	s_cbranch_execz .LBB561_485
; %bb.478:
	v_add_co_u32 v57, vcc_lo, v57, 8
	v_add_co_ci_u32_e32 v58, vcc_lo, 0, v58, vcc_lo
	v_add_co_u32 v59, vcc_lo, v59, 8
	v_add_co_ci_u32_e32 v60, vcc_lo, 0, v60, vcc_lo
	s_add_u32 s14, s8, -1
	s_addc_u32 s15, s9, -1
	s_mov_b64 s[20:21], 0
	s_mov_b32 s24, 0
                                        ; implicit-def: $sgpr25
	s_set_inst_prefetch_distance 0x1
	s_branch .LBB561_481
	.p2align	6
.LBB561_479:                            ;   in Loop: Header=BB561_481 Depth=1
	global_load_b64 v[61:62], v[59:60], off
	global_load_b64 v[65:66], v[57:58], off
	v_add_co_u32 v57, vcc_lo, v57, 8
	v_add_co_ci_u32_e32 v58, vcc_lo, 0, v58, vcc_lo
	v_add_co_u32 v59, s0, v59, 8
	s_delay_alu instid0(VALU_DEP_1)
	v_add_co_ci_u32_e64 v60, s0, 0, v60, s0
	s_add_u32 s20, s20, 1
	s_addc_u32 s21, s21, 0
	s_and_not1_b32 s0, s25, exec_lo
	s_waitcnt vmcnt(0)
	v_cmp_ne_u64_e32 vcc_lo, v[61:62], v[65:66]
	s_and_b32 s25, vcc_lo, exec_lo
	s_delay_alu instid0(SALU_CYCLE_1)
	s_or_b32 s25, s0, s25
.LBB561_480:                            ;   in Loop: Header=BB561_481 Depth=1
	v_dual_mov_b32 v62, s21 :: v_dual_mov_b32 v61, s20
	s_and_b32 s0, exec_lo, s25
	s_delay_alu instid0(SALU_CYCLE_1) | instskip(NEXT) | instid1(SALU_CYCLE_1)
	s_or_b32 s24, s0, s24
	s_and_not1_b32 exec_lo, exec_lo, s24
	s_cbranch_execz .LBB561_484
.LBB561_481:                            ; =>This Inner Loop Header: Depth=1
	s_or_b32 s25, s25, exec_lo
	s_cmp_eq_u64 s[14:15], s[20:21]
	s_cbranch_scc0 .LBB561_479
; %bb.482:                              ;   in Loop: Header=BB561_481 Depth=1
	s_mov_b64 s[20:21], s[8:9]
                                        ; implicit-def: $vgpr57_vgpr58
                                        ; implicit-def: $vgpr59_vgpr60
	s_branch .LBB561_480
.LBB561_483:
	v_mov_b32_e32 v137, 0
	v_mov_b32_e32 v138, 0
	s_branch .LBB561_486
.LBB561_484:
	s_set_inst_prefetch_distance 0x2
	s_or_b32 exec_lo, exec_lo, s24
	v_cmp_gt_i64_e32 vcc_lo, s[8:9], v[61:62]
	s_mov_b32 s0, 0
	s_delay_alu instid0(SALU_CYCLE_1)
	v_mov_b32_e32 v138, s0
	v_cndmask_b32_e64 v137, 0, 1, vcc_lo
.LBB561_485:
	s_or_b32 exec_lo, exec_lo, s23
.LBB561_486:
	s_delay_alu instid0(SALU_CYCLE_1) | instskip(SKIP_3) | instid1(VALU_DEP_2)
	s_or_b32 exec_lo, exec_lo, s22
	v_dual_mov_b32 v140, v38 :: v_dual_add_nc_u32 v57, 14, v64
	v_mov_b32_e32 v139, v37
	s_mov_b32 s22, exec_lo
	v_cmpx_gt_u32_e64 s3, v57
	s_cbranch_execz .LBB561_497
; %bb.487:
	v_cmp_ne_u32_e32 vcc_lo, 1, v63
	s_cbranch_vccnz .LBB561_494
; %bb.488:
	v_mul_lo_u32 v61, v38, s8
	v_mul_lo_u32 v62, v37, s9
	v_mad_u64_u32 v[57:58], null, v37, s8, 0
	v_mul_lo_u32 v65, v36, s8
	v_mul_lo_u32 v66, v35, s9
	v_mad_u64_u32 v[59:60], null, v35, s8, 0
	v_mov_b32_e32 v139, 1
	v_mov_b32_e32 v140, 0
	v_add3_u32 v58, v58, v62, v61
	s_mov_b32 s23, exec_lo
	s_delay_alu instid0(VALU_DEP_4) | instskip(NEXT) | instid1(VALU_DEP_2)
	v_add3_u32 v60, v60, v66, v65
	v_lshlrev_b64 v[57:58], 3, v[57:58]
	s_delay_alu instid0(VALU_DEP_2) | instskip(NEXT) | instid1(VALU_DEP_2)
	v_lshlrev_b64 v[61:62], 3, v[59:60]
	v_add_co_u32 v59, vcc_lo, s10, v57
	s_delay_alu instid0(VALU_DEP_3) | instskip(NEXT) | instid1(VALU_DEP_3)
	v_add_co_ci_u32_e32 v60, vcc_lo, s11, v58, vcc_lo
	v_add_co_u32 v57, vcc_lo, s10, v61
	s_delay_alu instid0(VALU_DEP_4)
	v_add_co_ci_u32_e32 v58, vcc_lo, s11, v62, vcc_lo
	s_clause 0x1
	global_load_b64 v[61:62], v[59:60], off
	global_load_b64 v[65:66], v[57:58], off
	s_waitcnt vmcnt(0)
	v_cmpx_eq_u64_e64 v[61:62], v[65:66]
	s_cbranch_execz .LBB561_496
; %bb.489:
	v_add_co_u32 v57, vcc_lo, v57, 8
	v_add_co_ci_u32_e32 v58, vcc_lo, 0, v58, vcc_lo
	v_add_co_u32 v59, vcc_lo, v59, 8
	v_add_co_ci_u32_e32 v60, vcc_lo, 0, v60, vcc_lo
	s_add_u32 s14, s8, -1
	s_addc_u32 s15, s9, -1
	s_mov_b64 s[20:21], 0
	s_mov_b32 s24, 0
                                        ; implicit-def: $sgpr25
	s_set_inst_prefetch_distance 0x1
	s_branch .LBB561_492
	.p2align	6
.LBB561_490:                            ;   in Loop: Header=BB561_492 Depth=1
	global_load_b64 v[61:62], v[59:60], off
	global_load_b64 v[65:66], v[57:58], off
	v_add_co_u32 v57, vcc_lo, v57, 8
	v_add_co_ci_u32_e32 v58, vcc_lo, 0, v58, vcc_lo
	v_add_co_u32 v59, s0, v59, 8
	s_delay_alu instid0(VALU_DEP_1)
	v_add_co_ci_u32_e64 v60, s0, 0, v60, s0
	s_add_u32 s20, s20, 1
	s_addc_u32 s21, s21, 0
	s_and_not1_b32 s0, s25, exec_lo
	s_waitcnt vmcnt(0)
	v_cmp_ne_u64_e32 vcc_lo, v[61:62], v[65:66]
	s_and_b32 s25, vcc_lo, exec_lo
	s_delay_alu instid0(SALU_CYCLE_1)
	s_or_b32 s25, s0, s25
.LBB561_491:                            ;   in Loop: Header=BB561_492 Depth=1
	v_dual_mov_b32 v62, s21 :: v_dual_mov_b32 v61, s20
	s_and_b32 s0, exec_lo, s25
	s_delay_alu instid0(SALU_CYCLE_1) | instskip(NEXT) | instid1(SALU_CYCLE_1)
	s_or_b32 s24, s0, s24
	s_and_not1_b32 exec_lo, exec_lo, s24
	s_cbranch_execz .LBB561_495
.LBB561_492:                            ; =>This Inner Loop Header: Depth=1
	s_or_b32 s25, s25, exec_lo
	s_cmp_eq_u64 s[14:15], s[20:21]
	s_cbranch_scc0 .LBB561_490
; %bb.493:                              ;   in Loop: Header=BB561_492 Depth=1
	s_mov_b64 s[20:21], s[8:9]
                                        ; implicit-def: $vgpr57_vgpr58
                                        ; implicit-def: $vgpr59_vgpr60
	s_branch .LBB561_491
.LBB561_494:
	v_mov_b32_e32 v139, 0
	v_mov_b32_e32 v140, 0
	s_branch .LBB561_497
.LBB561_495:
	s_set_inst_prefetch_distance 0x2
	s_or_b32 exec_lo, exec_lo, s24
	v_cmp_gt_i64_e32 vcc_lo, s[8:9], v[61:62]
	s_mov_b32 s0, 0
	s_delay_alu instid0(SALU_CYCLE_1)
	v_mov_b32_e32 v140, s0
	v_cndmask_b32_e64 v139, 0, 1, vcc_lo
.LBB561_496:
	s_or_b32 exec_lo, exec_lo, s23
.LBB561_497:
	s_delay_alu instid0(SALU_CYCLE_1) | instskip(SKIP_3) | instid1(VALU_DEP_2)
	s_or_b32 exec_lo, exec_lo, s22
	v_dual_mov_b32 v142, v36 :: v_dual_add_nc_u32 v57, 13, v64
	v_mov_b32_e32 v141, v35
	s_mov_b32 s22, exec_lo
	v_cmpx_gt_u32_e64 s3, v57
	s_cbranch_execz .LBB561_508
; %bb.498:
	v_cmp_ne_u32_e32 vcc_lo, 1, v63
	s_cbranch_vccnz .LBB561_505
; %bb.499:
	v_mul_lo_u32 v61, v36, s8
	v_mul_lo_u32 v62, v35, s9
	v_mad_u64_u32 v[57:58], null, v35, s8, 0
	v_mul_lo_u32 v65, v34, s8
	v_mul_lo_u32 v66, v33, s9
	v_mad_u64_u32 v[59:60], null, v33, s8, 0
	v_mov_b32_e32 v141, 1
	v_mov_b32_e32 v142, 0
	v_add3_u32 v58, v58, v62, v61
	s_mov_b32 s23, exec_lo
	s_delay_alu instid0(VALU_DEP_4) | instskip(NEXT) | instid1(VALU_DEP_2)
	v_add3_u32 v60, v60, v66, v65
	v_lshlrev_b64 v[57:58], 3, v[57:58]
	s_delay_alu instid0(VALU_DEP_2) | instskip(NEXT) | instid1(VALU_DEP_2)
	v_lshlrev_b64 v[61:62], 3, v[59:60]
	v_add_co_u32 v59, vcc_lo, s10, v57
	s_delay_alu instid0(VALU_DEP_3) | instskip(NEXT) | instid1(VALU_DEP_3)
	v_add_co_ci_u32_e32 v60, vcc_lo, s11, v58, vcc_lo
	v_add_co_u32 v57, vcc_lo, s10, v61
	s_delay_alu instid0(VALU_DEP_4)
	v_add_co_ci_u32_e32 v58, vcc_lo, s11, v62, vcc_lo
	s_clause 0x1
	global_load_b64 v[61:62], v[59:60], off
	global_load_b64 v[65:66], v[57:58], off
	s_waitcnt vmcnt(0)
	v_cmpx_eq_u64_e64 v[61:62], v[65:66]
	s_cbranch_execz .LBB561_507
; %bb.500:
	v_add_co_u32 v57, vcc_lo, v57, 8
	v_add_co_ci_u32_e32 v58, vcc_lo, 0, v58, vcc_lo
	v_add_co_u32 v59, vcc_lo, v59, 8
	v_add_co_ci_u32_e32 v60, vcc_lo, 0, v60, vcc_lo
	s_add_u32 s14, s8, -1
	s_addc_u32 s15, s9, -1
	s_mov_b64 s[20:21], 0
	s_mov_b32 s24, 0
                                        ; implicit-def: $sgpr25
	s_set_inst_prefetch_distance 0x1
	s_branch .LBB561_503
	.p2align	6
.LBB561_501:                            ;   in Loop: Header=BB561_503 Depth=1
	global_load_b64 v[61:62], v[59:60], off
	global_load_b64 v[65:66], v[57:58], off
	v_add_co_u32 v57, vcc_lo, v57, 8
	v_add_co_ci_u32_e32 v58, vcc_lo, 0, v58, vcc_lo
	v_add_co_u32 v59, s0, v59, 8
	s_delay_alu instid0(VALU_DEP_1)
	v_add_co_ci_u32_e64 v60, s0, 0, v60, s0
	s_add_u32 s20, s20, 1
	s_addc_u32 s21, s21, 0
	s_and_not1_b32 s0, s25, exec_lo
	s_waitcnt vmcnt(0)
	v_cmp_ne_u64_e32 vcc_lo, v[61:62], v[65:66]
	s_and_b32 s25, vcc_lo, exec_lo
	s_delay_alu instid0(SALU_CYCLE_1)
	s_or_b32 s25, s0, s25
.LBB561_502:                            ;   in Loop: Header=BB561_503 Depth=1
	v_dual_mov_b32 v62, s21 :: v_dual_mov_b32 v61, s20
	s_and_b32 s0, exec_lo, s25
	s_delay_alu instid0(SALU_CYCLE_1) | instskip(NEXT) | instid1(SALU_CYCLE_1)
	s_or_b32 s24, s0, s24
	s_and_not1_b32 exec_lo, exec_lo, s24
	s_cbranch_execz .LBB561_506
.LBB561_503:                            ; =>This Inner Loop Header: Depth=1
	s_or_b32 s25, s25, exec_lo
	s_cmp_eq_u64 s[14:15], s[20:21]
	s_cbranch_scc0 .LBB561_501
; %bb.504:                              ;   in Loop: Header=BB561_503 Depth=1
	s_mov_b64 s[20:21], s[8:9]
                                        ; implicit-def: $vgpr57_vgpr58
                                        ; implicit-def: $vgpr59_vgpr60
	s_branch .LBB561_502
.LBB561_505:
	v_mov_b32_e32 v141, 0
	v_mov_b32_e32 v142, 0
	s_branch .LBB561_508
.LBB561_506:
	s_set_inst_prefetch_distance 0x2
	s_or_b32 exec_lo, exec_lo, s24
	v_cmp_gt_i64_e32 vcc_lo, s[8:9], v[61:62]
	s_mov_b32 s0, 0
	s_delay_alu instid0(SALU_CYCLE_1)
	v_mov_b32_e32 v142, s0
	v_cndmask_b32_e64 v141, 0, 1, vcc_lo
.LBB561_507:
	s_or_b32 exec_lo, exec_lo, s23
.LBB561_508:
	s_delay_alu instid0(SALU_CYCLE_1) | instskip(SKIP_3) | instid1(VALU_DEP_2)
	s_or_b32 exec_lo, exec_lo, s22
	v_dual_mov_b32 v144, v34 :: v_dual_add_nc_u32 v57, 12, v64
	v_mov_b32_e32 v143, v33
	s_mov_b32 s22, exec_lo
	v_cmpx_gt_u32_e64 s3, v57
	s_cbranch_execz .LBB561_519
; %bb.509:
	v_cmp_ne_u32_e32 vcc_lo, 1, v63
	s_cbranch_vccnz .LBB561_516
; %bb.510:
	v_mul_lo_u32 v61, v34, s8
	v_mul_lo_u32 v62, v33, s9
	v_mad_u64_u32 v[57:58], null, v33, s8, 0
	v_mul_lo_u32 v65, v32, s8
	v_mul_lo_u32 v66, v31, s9
	v_mad_u64_u32 v[59:60], null, v31, s8, 0
	v_mov_b32_e32 v143, 1
	v_mov_b32_e32 v144, 0
	v_add3_u32 v58, v58, v62, v61
	s_mov_b32 s23, exec_lo
	s_delay_alu instid0(VALU_DEP_4) | instskip(NEXT) | instid1(VALU_DEP_2)
	v_add3_u32 v60, v60, v66, v65
	v_lshlrev_b64 v[57:58], 3, v[57:58]
	s_delay_alu instid0(VALU_DEP_2) | instskip(NEXT) | instid1(VALU_DEP_2)
	v_lshlrev_b64 v[61:62], 3, v[59:60]
	v_add_co_u32 v59, vcc_lo, s10, v57
	s_delay_alu instid0(VALU_DEP_3) | instskip(NEXT) | instid1(VALU_DEP_3)
	v_add_co_ci_u32_e32 v60, vcc_lo, s11, v58, vcc_lo
	v_add_co_u32 v57, vcc_lo, s10, v61
	s_delay_alu instid0(VALU_DEP_4)
	v_add_co_ci_u32_e32 v58, vcc_lo, s11, v62, vcc_lo
	s_clause 0x1
	global_load_b64 v[61:62], v[59:60], off
	global_load_b64 v[65:66], v[57:58], off
	s_waitcnt vmcnt(0)
	v_cmpx_eq_u64_e64 v[61:62], v[65:66]
	s_cbranch_execz .LBB561_518
; %bb.511:
	v_add_co_u32 v57, vcc_lo, v57, 8
	v_add_co_ci_u32_e32 v58, vcc_lo, 0, v58, vcc_lo
	v_add_co_u32 v59, vcc_lo, v59, 8
	v_add_co_ci_u32_e32 v60, vcc_lo, 0, v60, vcc_lo
	s_add_u32 s14, s8, -1
	s_addc_u32 s15, s9, -1
	s_mov_b64 s[20:21], 0
	s_mov_b32 s24, 0
                                        ; implicit-def: $sgpr25
	s_set_inst_prefetch_distance 0x1
	s_branch .LBB561_514
	.p2align	6
.LBB561_512:                            ;   in Loop: Header=BB561_514 Depth=1
	global_load_b64 v[61:62], v[59:60], off
	global_load_b64 v[65:66], v[57:58], off
	v_add_co_u32 v57, vcc_lo, v57, 8
	v_add_co_ci_u32_e32 v58, vcc_lo, 0, v58, vcc_lo
	v_add_co_u32 v59, s0, v59, 8
	s_delay_alu instid0(VALU_DEP_1)
	v_add_co_ci_u32_e64 v60, s0, 0, v60, s0
	s_add_u32 s20, s20, 1
	s_addc_u32 s21, s21, 0
	s_and_not1_b32 s0, s25, exec_lo
	s_waitcnt vmcnt(0)
	v_cmp_ne_u64_e32 vcc_lo, v[61:62], v[65:66]
	s_and_b32 s25, vcc_lo, exec_lo
	s_delay_alu instid0(SALU_CYCLE_1)
	s_or_b32 s25, s0, s25
.LBB561_513:                            ;   in Loop: Header=BB561_514 Depth=1
	v_dual_mov_b32 v62, s21 :: v_dual_mov_b32 v61, s20
	s_and_b32 s0, exec_lo, s25
	s_delay_alu instid0(SALU_CYCLE_1) | instskip(NEXT) | instid1(SALU_CYCLE_1)
	s_or_b32 s24, s0, s24
	s_and_not1_b32 exec_lo, exec_lo, s24
	s_cbranch_execz .LBB561_517
.LBB561_514:                            ; =>This Inner Loop Header: Depth=1
	s_or_b32 s25, s25, exec_lo
	s_cmp_eq_u64 s[14:15], s[20:21]
	s_cbranch_scc0 .LBB561_512
; %bb.515:                              ;   in Loop: Header=BB561_514 Depth=1
	s_mov_b64 s[20:21], s[8:9]
                                        ; implicit-def: $vgpr57_vgpr58
                                        ; implicit-def: $vgpr59_vgpr60
	s_branch .LBB561_513
.LBB561_516:
	v_mov_b32_e32 v143, 0
	v_mov_b32_e32 v144, 0
	s_branch .LBB561_519
.LBB561_517:
	s_set_inst_prefetch_distance 0x2
	s_or_b32 exec_lo, exec_lo, s24
	v_cmp_gt_i64_e32 vcc_lo, s[8:9], v[61:62]
	s_mov_b32 s0, 0
	s_delay_alu instid0(SALU_CYCLE_1)
	v_mov_b32_e32 v144, s0
	v_cndmask_b32_e64 v143, 0, 1, vcc_lo
.LBB561_518:
	s_or_b32 exec_lo, exec_lo, s23
.LBB561_519:
	s_delay_alu instid0(SALU_CYCLE_1) | instskip(SKIP_3) | instid1(VALU_DEP_2)
	s_or_b32 exec_lo, exec_lo, s22
	v_dual_mov_b32 v146, v32 :: v_dual_add_nc_u32 v57, 11, v64
	v_mov_b32_e32 v145, v31
	s_mov_b32 s22, exec_lo
	v_cmpx_gt_u32_e64 s3, v57
	s_cbranch_execz .LBB561_530
; %bb.520:
	v_cmp_ne_u32_e32 vcc_lo, 1, v63
	s_cbranch_vccnz .LBB561_527
; %bb.521:
	v_mul_lo_u32 v61, v32, s8
	v_mul_lo_u32 v62, v31, s9
	v_mad_u64_u32 v[57:58], null, v31, s8, 0
	v_mul_lo_u32 v65, v30, s8
	v_mul_lo_u32 v66, v29, s9
	v_mad_u64_u32 v[59:60], null, v29, s8, 0
	v_mov_b32_e32 v145, 1
	v_mov_b32_e32 v146, 0
	v_add3_u32 v58, v58, v62, v61
	s_mov_b32 s23, exec_lo
	s_delay_alu instid0(VALU_DEP_4) | instskip(NEXT) | instid1(VALU_DEP_2)
	v_add3_u32 v60, v60, v66, v65
	v_lshlrev_b64 v[57:58], 3, v[57:58]
	s_delay_alu instid0(VALU_DEP_2) | instskip(NEXT) | instid1(VALU_DEP_2)
	v_lshlrev_b64 v[61:62], 3, v[59:60]
	v_add_co_u32 v59, vcc_lo, s10, v57
	s_delay_alu instid0(VALU_DEP_3) | instskip(NEXT) | instid1(VALU_DEP_3)
	v_add_co_ci_u32_e32 v60, vcc_lo, s11, v58, vcc_lo
	v_add_co_u32 v57, vcc_lo, s10, v61
	s_delay_alu instid0(VALU_DEP_4)
	v_add_co_ci_u32_e32 v58, vcc_lo, s11, v62, vcc_lo
	s_clause 0x1
	global_load_b64 v[61:62], v[59:60], off
	global_load_b64 v[65:66], v[57:58], off
	s_waitcnt vmcnt(0)
	v_cmpx_eq_u64_e64 v[61:62], v[65:66]
	s_cbranch_execz .LBB561_529
; %bb.522:
	v_add_co_u32 v57, vcc_lo, v57, 8
	v_add_co_ci_u32_e32 v58, vcc_lo, 0, v58, vcc_lo
	v_add_co_u32 v59, vcc_lo, v59, 8
	v_add_co_ci_u32_e32 v60, vcc_lo, 0, v60, vcc_lo
	s_add_u32 s14, s8, -1
	s_addc_u32 s15, s9, -1
	s_mov_b64 s[20:21], 0
	s_mov_b32 s24, 0
                                        ; implicit-def: $sgpr25
	s_set_inst_prefetch_distance 0x1
	s_branch .LBB561_525
	.p2align	6
.LBB561_523:                            ;   in Loop: Header=BB561_525 Depth=1
	global_load_b64 v[61:62], v[59:60], off
	global_load_b64 v[65:66], v[57:58], off
	v_add_co_u32 v57, vcc_lo, v57, 8
	v_add_co_ci_u32_e32 v58, vcc_lo, 0, v58, vcc_lo
	v_add_co_u32 v59, s0, v59, 8
	s_delay_alu instid0(VALU_DEP_1)
	v_add_co_ci_u32_e64 v60, s0, 0, v60, s0
	s_add_u32 s20, s20, 1
	s_addc_u32 s21, s21, 0
	s_and_not1_b32 s0, s25, exec_lo
	s_waitcnt vmcnt(0)
	v_cmp_ne_u64_e32 vcc_lo, v[61:62], v[65:66]
	s_and_b32 s25, vcc_lo, exec_lo
	s_delay_alu instid0(SALU_CYCLE_1)
	s_or_b32 s25, s0, s25
.LBB561_524:                            ;   in Loop: Header=BB561_525 Depth=1
	v_dual_mov_b32 v62, s21 :: v_dual_mov_b32 v61, s20
	s_and_b32 s0, exec_lo, s25
	s_delay_alu instid0(SALU_CYCLE_1) | instskip(NEXT) | instid1(SALU_CYCLE_1)
	s_or_b32 s24, s0, s24
	s_and_not1_b32 exec_lo, exec_lo, s24
	s_cbranch_execz .LBB561_528
.LBB561_525:                            ; =>This Inner Loop Header: Depth=1
	s_or_b32 s25, s25, exec_lo
	s_cmp_eq_u64 s[14:15], s[20:21]
	s_cbranch_scc0 .LBB561_523
; %bb.526:                              ;   in Loop: Header=BB561_525 Depth=1
	s_mov_b64 s[20:21], s[8:9]
                                        ; implicit-def: $vgpr57_vgpr58
                                        ; implicit-def: $vgpr59_vgpr60
	s_branch .LBB561_524
.LBB561_527:
	v_mov_b32_e32 v145, 0
	v_mov_b32_e32 v146, 0
	s_branch .LBB561_530
.LBB561_528:
	s_set_inst_prefetch_distance 0x2
	s_or_b32 exec_lo, exec_lo, s24
	v_cmp_gt_i64_e32 vcc_lo, s[8:9], v[61:62]
	s_mov_b32 s0, 0
	s_delay_alu instid0(SALU_CYCLE_1)
	v_mov_b32_e32 v146, s0
	v_cndmask_b32_e64 v145, 0, 1, vcc_lo
.LBB561_529:
	s_or_b32 exec_lo, exec_lo, s23
.LBB561_530:
	s_delay_alu instid0(SALU_CYCLE_1) | instskip(SKIP_3) | instid1(VALU_DEP_2)
	s_or_b32 exec_lo, exec_lo, s22
	v_dual_mov_b32 v148, v30 :: v_dual_add_nc_u32 v57, 10, v64
	v_mov_b32_e32 v147, v29
	s_mov_b32 s22, exec_lo
	v_cmpx_gt_u32_e64 s3, v57
	s_cbranch_execz .LBB561_541
; %bb.531:
	v_cmp_ne_u32_e32 vcc_lo, 1, v63
	s_cbranch_vccnz .LBB561_538
; %bb.532:
	v_mul_lo_u32 v61, v30, s8
	v_mul_lo_u32 v62, v29, s9
	v_mad_u64_u32 v[57:58], null, v29, s8, 0
	v_mul_lo_u32 v65, v28, s8
	v_mul_lo_u32 v66, v27, s9
	v_mad_u64_u32 v[59:60], null, v27, s8, 0
	v_mov_b32_e32 v147, 1
	v_mov_b32_e32 v148, 0
	v_add3_u32 v58, v58, v62, v61
	s_mov_b32 s23, exec_lo
	s_delay_alu instid0(VALU_DEP_4) | instskip(NEXT) | instid1(VALU_DEP_2)
	v_add3_u32 v60, v60, v66, v65
	v_lshlrev_b64 v[57:58], 3, v[57:58]
	s_delay_alu instid0(VALU_DEP_2) | instskip(NEXT) | instid1(VALU_DEP_2)
	v_lshlrev_b64 v[61:62], 3, v[59:60]
	v_add_co_u32 v59, vcc_lo, s10, v57
	s_delay_alu instid0(VALU_DEP_3) | instskip(NEXT) | instid1(VALU_DEP_3)
	v_add_co_ci_u32_e32 v60, vcc_lo, s11, v58, vcc_lo
	v_add_co_u32 v57, vcc_lo, s10, v61
	s_delay_alu instid0(VALU_DEP_4)
	v_add_co_ci_u32_e32 v58, vcc_lo, s11, v62, vcc_lo
	s_clause 0x1
	global_load_b64 v[61:62], v[59:60], off
	global_load_b64 v[65:66], v[57:58], off
	s_waitcnt vmcnt(0)
	v_cmpx_eq_u64_e64 v[61:62], v[65:66]
	s_cbranch_execz .LBB561_540
; %bb.533:
	v_add_co_u32 v57, vcc_lo, v57, 8
	v_add_co_ci_u32_e32 v58, vcc_lo, 0, v58, vcc_lo
	v_add_co_u32 v59, vcc_lo, v59, 8
	v_add_co_ci_u32_e32 v60, vcc_lo, 0, v60, vcc_lo
	s_add_u32 s14, s8, -1
	s_addc_u32 s15, s9, -1
	s_mov_b64 s[20:21], 0
	s_mov_b32 s24, 0
                                        ; implicit-def: $sgpr25
	s_set_inst_prefetch_distance 0x1
	s_branch .LBB561_536
	.p2align	6
.LBB561_534:                            ;   in Loop: Header=BB561_536 Depth=1
	global_load_b64 v[61:62], v[59:60], off
	global_load_b64 v[65:66], v[57:58], off
	v_add_co_u32 v57, vcc_lo, v57, 8
	v_add_co_ci_u32_e32 v58, vcc_lo, 0, v58, vcc_lo
	v_add_co_u32 v59, s0, v59, 8
	s_delay_alu instid0(VALU_DEP_1)
	v_add_co_ci_u32_e64 v60, s0, 0, v60, s0
	s_add_u32 s20, s20, 1
	s_addc_u32 s21, s21, 0
	s_and_not1_b32 s0, s25, exec_lo
	s_waitcnt vmcnt(0)
	v_cmp_ne_u64_e32 vcc_lo, v[61:62], v[65:66]
	s_and_b32 s25, vcc_lo, exec_lo
	s_delay_alu instid0(SALU_CYCLE_1)
	s_or_b32 s25, s0, s25
.LBB561_535:                            ;   in Loop: Header=BB561_536 Depth=1
	v_dual_mov_b32 v62, s21 :: v_dual_mov_b32 v61, s20
	s_and_b32 s0, exec_lo, s25
	s_delay_alu instid0(SALU_CYCLE_1) | instskip(NEXT) | instid1(SALU_CYCLE_1)
	s_or_b32 s24, s0, s24
	s_and_not1_b32 exec_lo, exec_lo, s24
	s_cbranch_execz .LBB561_539
.LBB561_536:                            ; =>This Inner Loop Header: Depth=1
	s_or_b32 s25, s25, exec_lo
	s_cmp_eq_u64 s[14:15], s[20:21]
	s_cbranch_scc0 .LBB561_534
; %bb.537:                              ;   in Loop: Header=BB561_536 Depth=1
	s_mov_b64 s[20:21], s[8:9]
                                        ; implicit-def: $vgpr57_vgpr58
                                        ; implicit-def: $vgpr59_vgpr60
	s_branch .LBB561_535
.LBB561_538:
	v_mov_b32_e32 v147, 0
	v_mov_b32_e32 v148, 0
	s_branch .LBB561_541
.LBB561_539:
	s_set_inst_prefetch_distance 0x2
	s_or_b32 exec_lo, exec_lo, s24
	v_cmp_gt_i64_e32 vcc_lo, s[8:9], v[61:62]
	s_mov_b32 s0, 0
	s_delay_alu instid0(SALU_CYCLE_1)
	v_mov_b32_e32 v148, s0
	v_cndmask_b32_e64 v147, 0, 1, vcc_lo
.LBB561_540:
	s_or_b32 exec_lo, exec_lo, s23
.LBB561_541:
	s_delay_alu instid0(SALU_CYCLE_1) | instskip(SKIP_3) | instid1(VALU_DEP_2)
	s_or_b32 exec_lo, exec_lo, s22
	v_dual_mov_b32 v150, v28 :: v_dual_add_nc_u32 v57, 9, v64
	v_mov_b32_e32 v149, v27
	s_mov_b32 s22, exec_lo
	v_cmpx_gt_u32_e64 s3, v57
	s_cbranch_execz .LBB561_552
; %bb.542:
	v_cmp_ne_u32_e32 vcc_lo, 1, v63
	s_cbranch_vccnz .LBB561_549
; %bb.543:
	v_mul_lo_u32 v61, v28, s8
	v_mul_lo_u32 v62, v27, s9
	v_mad_u64_u32 v[57:58], null, v27, s8, 0
	v_mul_lo_u32 v65, v26, s8
	v_mul_lo_u32 v66, v25, s9
	v_mad_u64_u32 v[59:60], null, v25, s8, 0
	v_mov_b32_e32 v149, 1
	v_mov_b32_e32 v150, 0
	v_add3_u32 v58, v58, v62, v61
	s_mov_b32 s23, exec_lo
	s_delay_alu instid0(VALU_DEP_4) | instskip(NEXT) | instid1(VALU_DEP_2)
	v_add3_u32 v60, v60, v66, v65
	v_lshlrev_b64 v[57:58], 3, v[57:58]
	s_delay_alu instid0(VALU_DEP_2) | instskip(NEXT) | instid1(VALU_DEP_2)
	v_lshlrev_b64 v[61:62], 3, v[59:60]
	v_add_co_u32 v59, vcc_lo, s10, v57
	s_delay_alu instid0(VALU_DEP_3) | instskip(NEXT) | instid1(VALU_DEP_3)
	v_add_co_ci_u32_e32 v60, vcc_lo, s11, v58, vcc_lo
	v_add_co_u32 v57, vcc_lo, s10, v61
	s_delay_alu instid0(VALU_DEP_4)
	v_add_co_ci_u32_e32 v58, vcc_lo, s11, v62, vcc_lo
	s_clause 0x1
	global_load_b64 v[61:62], v[59:60], off
	global_load_b64 v[65:66], v[57:58], off
	s_waitcnt vmcnt(0)
	v_cmpx_eq_u64_e64 v[61:62], v[65:66]
	s_cbranch_execz .LBB561_551
; %bb.544:
	v_add_co_u32 v57, vcc_lo, v57, 8
	v_add_co_ci_u32_e32 v58, vcc_lo, 0, v58, vcc_lo
	v_add_co_u32 v59, vcc_lo, v59, 8
	v_add_co_ci_u32_e32 v60, vcc_lo, 0, v60, vcc_lo
	s_add_u32 s14, s8, -1
	s_addc_u32 s15, s9, -1
	s_mov_b64 s[20:21], 0
	s_mov_b32 s24, 0
                                        ; implicit-def: $sgpr25
	s_set_inst_prefetch_distance 0x1
	s_branch .LBB561_547
	.p2align	6
.LBB561_545:                            ;   in Loop: Header=BB561_547 Depth=1
	global_load_b64 v[61:62], v[59:60], off
	global_load_b64 v[65:66], v[57:58], off
	v_add_co_u32 v57, vcc_lo, v57, 8
	v_add_co_ci_u32_e32 v58, vcc_lo, 0, v58, vcc_lo
	v_add_co_u32 v59, s0, v59, 8
	s_delay_alu instid0(VALU_DEP_1)
	v_add_co_ci_u32_e64 v60, s0, 0, v60, s0
	s_add_u32 s20, s20, 1
	s_addc_u32 s21, s21, 0
	s_and_not1_b32 s0, s25, exec_lo
	s_waitcnt vmcnt(0)
	v_cmp_ne_u64_e32 vcc_lo, v[61:62], v[65:66]
	s_and_b32 s25, vcc_lo, exec_lo
	s_delay_alu instid0(SALU_CYCLE_1)
	s_or_b32 s25, s0, s25
.LBB561_546:                            ;   in Loop: Header=BB561_547 Depth=1
	v_dual_mov_b32 v62, s21 :: v_dual_mov_b32 v61, s20
	s_and_b32 s0, exec_lo, s25
	s_delay_alu instid0(SALU_CYCLE_1) | instskip(NEXT) | instid1(SALU_CYCLE_1)
	s_or_b32 s24, s0, s24
	s_and_not1_b32 exec_lo, exec_lo, s24
	s_cbranch_execz .LBB561_550
.LBB561_547:                            ; =>This Inner Loop Header: Depth=1
	s_or_b32 s25, s25, exec_lo
	s_cmp_eq_u64 s[14:15], s[20:21]
	s_cbranch_scc0 .LBB561_545
; %bb.548:                              ;   in Loop: Header=BB561_547 Depth=1
	s_mov_b64 s[20:21], s[8:9]
                                        ; implicit-def: $vgpr57_vgpr58
                                        ; implicit-def: $vgpr59_vgpr60
	s_branch .LBB561_546
.LBB561_549:
	v_mov_b32_e32 v149, 0
	v_mov_b32_e32 v150, 0
	s_branch .LBB561_552
.LBB561_550:
	s_set_inst_prefetch_distance 0x2
	s_or_b32 exec_lo, exec_lo, s24
	v_cmp_gt_i64_e32 vcc_lo, s[8:9], v[61:62]
	s_mov_b32 s0, 0
	s_delay_alu instid0(SALU_CYCLE_1)
	v_mov_b32_e32 v150, s0
	v_cndmask_b32_e64 v149, 0, 1, vcc_lo
.LBB561_551:
	s_or_b32 exec_lo, exec_lo, s23
.LBB561_552:
	s_delay_alu instid0(SALU_CYCLE_1) | instskip(SKIP_3) | instid1(VALU_DEP_2)
	s_or_b32 exec_lo, exec_lo, s22
	v_dual_mov_b32 v152, v26 :: v_dual_add_nc_u32 v57, 8, v64
	v_mov_b32_e32 v151, v25
	s_mov_b32 s22, exec_lo
	v_cmpx_gt_u32_e64 s3, v57
	s_cbranch_execz .LBB561_563
; %bb.553:
	v_cmp_ne_u32_e32 vcc_lo, 1, v63
	s_cbranch_vccnz .LBB561_560
; %bb.554:
	v_mul_lo_u32 v61, v26, s8
	v_mul_lo_u32 v62, v25, s9
	v_mad_u64_u32 v[57:58], null, v25, s8, 0
	v_mul_lo_u32 v65, v24, s8
	v_mul_lo_u32 v66, v23, s9
	v_mad_u64_u32 v[59:60], null, v23, s8, 0
	v_mov_b32_e32 v151, 1
	v_mov_b32_e32 v152, 0
	v_add3_u32 v58, v58, v62, v61
	s_mov_b32 s23, exec_lo
	s_delay_alu instid0(VALU_DEP_4) | instskip(NEXT) | instid1(VALU_DEP_2)
	v_add3_u32 v60, v60, v66, v65
	v_lshlrev_b64 v[57:58], 3, v[57:58]
	s_delay_alu instid0(VALU_DEP_2) | instskip(NEXT) | instid1(VALU_DEP_2)
	v_lshlrev_b64 v[61:62], 3, v[59:60]
	v_add_co_u32 v59, vcc_lo, s10, v57
	s_delay_alu instid0(VALU_DEP_3) | instskip(NEXT) | instid1(VALU_DEP_3)
	v_add_co_ci_u32_e32 v60, vcc_lo, s11, v58, vcc_lo
	v_add_co_u32 v57, vcc_lo, s10, v61
	s_delay_alu instid0(VALU_DEP_4)
	v_add_co_ci_u32_e32 v58, vcc_lo, s11, v62, vcc_lo
	s_clause 0x1
	global_load_b64 v[61:62], v[59:60], off
	global_load_b64 v[65:66], v[57:58], off
	s_waitcnt vmcnt(0)
	v_cmpx_eq_u64_e64 v[61:62], v[65:66]
	s_cbranch_execz .LBB561_562
; %bb.555:
	v_add_co_u32 v57, vcc_lo, v57, 8
	v_add_co_ci_u32_e32 v58, vcc_lo, 0, v58, vcc_lo
	v_add_co_u32 v59, vcc_lo, v59, 8
	v_add_co_ci_u32_e32 v60, vcc_lo, 0, v60, vcc_lo
	s_add_u32 s14, s8, -1
	s_addc_u32 s15, s9, -1
	s_mov_b64 s[20:21], 0
	s_mov_b32 s24, 0
                                        ; implicit-def: $sgpr25
	s_set_inst_prefetch_distance 0x1
	s_branch .LBB561_558
	.p2align	6
.LBB561_556:                            ;   in Loop: Header=BB561_558 Depth=1
	global_load_b64 v[61:62], v[59:60], off
	global_load_b64 v[65:66], v[57:58], off
	v_add_co_u32 v57, vcc_lo, v57, 8
	v_add_co_ci_u32_e32 v58, vcc_lo, 0, v58, vcc_lo
	v_add_co_u32 v59, s0, v59, 8
	s_delay_alu instid0(VALU_DEP_1)
	v_add_co_ci_u32_e64 v60, s0, 0, v60, s0
	s_add_u32 s20, s20, 1
	s_addc_u32 s21, s21, 0
	s_and_not1_b32 s0, s25, exec_lo
	s_waitcnt vmcnt(0)
	v_cmp_ne_u64_e32 vcc_lo, v[61:62], v[65:66]
	s_and_b32 s25, vcc_lo, exec_lo
	s_delay_alu instid0(SALU_CYCLE_1)
	s_or_b32 s25, s0, s25
.LBB561_557:                            ;   in Loop: Header=BB561_558 Depth=1
	v_dual_mov_b32 v62, s21 :: v_dual_mov_b32 v61, s20
	s_and_b32 s0, exec_lo, s25
	s_delay_alu instid0(SALU_CYCLE_1) | instskip(NEXT) | instid1(SALU_CYCLE_1)
	s_or_b32 s24, s0, s24
	s_and_not1_b32 exec_lo, exec_lo, s24
	s_cbranch_execz .LBB561_561
.LBB561_558:                            ; =>This Inner Loop Header: Depth=1
	s_or_b32 s25, s25, exec_lo
	s_cmp_eq_u64 s[14:15], s[20:21]
	s_cbranch_scc0 .LBB561_556
; %bb.559:                              ;   in Loop: Header=BB561_558 Depth=1
	s_mov_b64 s[20:21], s[8:9]
                                        ; implicit-def: $vgpr57_vgpr58
                                        ; implicit-def: $vgpr59_vgpr60
	s_branch .LBB561_557
.LBB561_560:
	v_mov_b32_e32 v151, 0
	v_mov_b32_e32 v152, 0
	s_branch .LBB561_563
.LBB561_561:
	s_set_inst_prefetch_distance 0x2
	s_or_b32 exec_lo, exec_lo, s24
	v_cmp_gt_i64_e32 vcc_lo, s[8:9], v[61:62]
	s_mov_b32 s0, 0
	s_delay_alu instid0(SALU_CYCLE_1)
	v_mov_b32_e32 v152, s0
	v_cndmask_b32_e64 v151, 0, 1, vcc_lo
.LBB561_562:
	s_or_b32 exec_lo, exec_lo, s23
.LBB561_563:
	s_delay_alu instid0(SALU_CYCLE_1) | instskip(SKIP_3) | instid1(VALU_DEP_2)
	s_or_b32 exec_lo, exec_lo, s22
	v_dual_mov_b32 v154, v24 :: v_dual_add_nc_u32 v57, 7, v64
	v_mov_b32_e32 v153, v23
	s_mov_b32 s22, exec_lo
	v_cmpx_gt_u32_e64 s3, v57
	s_cbranch_execz .LBB561_574
; %bb.564:
	v_cmp_ne_u32_e32 vcc_lo, 1, v63
	s_cbranch_vccnz .LBB561_571
; %bb.565:
	v_mul_lo_u32 v61, v24, s8
	v_mul_lo_u32 v62, v23, s9
	v_mad_u64_u32 v[57:58], null, v23, s8, 0
	v_mul_lo_u32 v65, v22, s8
	v_mul_lo_u32 v66, v21, s9
	v_mad_u64_u32 v[59:60], null, v21, s8, 0
	v_mov_b32_e32 v153, 1
	v_mov_b32_e32 v154, 0
	v_add3_u32 v58, v58, v62, v61
	s_mov_b32 s23, exec_lo
	s_delay_alu instid0(VALU_DEP_4) | instskip(NEXT) | instid1(VALU_DEP_2)
	v_add3_u32 v60, v60, v66, v65
	v_lshlrev_b64 v[57:58], 3, v[57:58]
	s_delay_alu instid0(VALU_DEP_2) | instskip(NEXT) | instid1(VALU_DEP_2)
	v_lshlrev_b64 v[61:62], 3, v[59:60]
	v_add_co_u32 v59, vcc_lo, s10, v57
	s_delay_alu instid0(VALU_DEP_3) | instskip(NEXT) | instid1(VALU_DEP_3)
	v_add_co_ci_u32_e32 v60, vcc_lo, s11, v58, vcc_lo
	v_add_co_u32 v57, vcc_lo, s10, v61
	s_delay_alu instid0(VALU_DEP_4)
	v_add_co_ci_u32_e32 v58, vcc_lo, s11, v62, vcc_lo
	s_clause 0x1
	global_load_b64 v[61:62], v[59:60], off
	global_load_b64 v[65:66], v[57:58], off
	s_waitcnt vmcnt(0)
	v_cmpx_eq_u64_e64 v[61:62], v[65:66]
	s_cbranch_execz .LBB561_573
; %bb.566:
	v_add_co_u32 v57, vcc_lo, v57, 8
	v_add_co_ci_u32_e32 v58, vcc_lo, 0, v58, vcc_lo
	v_add_co_u32 v59, vcc_lo, v59, 8
	v_add_co_ci_u32_e32 v60, vcc_lo, 0, v60, vcc_lo
	s_add_u32 s14, s8, -1
	s_addc_u32 s15, s9, -1
	s_mov_b64 s[20:21], 0
	s_mov_b32 s24, 0
                                        ; implicit-def: $sgpr25
	s_set_inst_prefetch_distance 0x1
	s_branch .LBB561_569
	.p2align	6
.LBB561_567:                            ;   in Loop: Header=BB561_569 Depth=1
	global_load_b64 v[61:62], v[59:60], off
	global_load_b64 v[65:66], v[57:58], off
	v_add_co_u32 v57, vcc_lo, v57, 8
	v_add_co_ci_u32_e32 v58, vcc_lo, 0, v58, vcc_lo
	v_add_co_u32 v59, s0, v59, 8
	s_delay_alu instid0(VALU_DEP_1)
	v_add_co_ci_u32_e64 v60, s0, 0, v60, s0
	s_add_u32 s20, s20, 1
	s_addc_u32 s21, s21, 0
	s_and_not1_b32 s0, s25, exec_lo
	s_waitcnt vmcnt(0)
	v_cmp_ne_u64_e32 vcc_lo, v[61:62], v[65:66]
	s_and_b32 s25, vcc_lo, exec_lo
	s_delay_alu instid0(SALU_CYCLE_1)
	s_or_b32 s25, s0, s25
.LBB561_568:                            ;   in Loop: Header=BB561_569 Depth=1
	v_dual_mov_b32 v62, s21 :: v_dual_mov_b32 v61, s20
	s_and_b32 s0, exec_lo, s25
	s_delay_alu instid0(SALU_CYCLE_1) | instskip(NEXT) | instid1(SALU_CYCLE_1)
	s_or_b32 s24, s0, s24
	s_and_not1_b32 exec_lo, exec_lo, s24
	s_cbranch_execz .LBB561_572
.LBB561_569:                            ; =>This Inner Loop Header: Depth=1
	s_or_b32 s25, s25, exec_lo
	s_cmp_eq_u64 s[14:15], s[20:21]
	s_cbranch_scc0 .LBB561_567
; %bb.570:                              ;   in Loop: Header=BB561_569 Depth=1
	s_mov_b64 s[20:21], s[8:9]
                                        ; implicit-def: $vgpr57_vgpr58
                                        ; implicit-def: $vgpr59_vgpr60
	s_branch .LBB561_568
.LBB561_571:
	v_mov_b32_e32 v153, 0
	v_mov_b32_e32 v154, 0
	s_branch .LBB561_574
.LBB561_572:
	s_set_inst_prefetch_distance 0x2
	s_or_b32 exec_lo, exec_lo, s24
	v_cmp_gt_i64_e32 vcc_lo, s[8:9], v[61:62]
	s_mov_b32 s0, 0
	s_delay_alu instid0(SALU_CYCLE_1)
	v_mov_b32_e32 v154, s0
	v_cndmask_b32_e64 v153, 0, 1, vcc_lo
.LBB561_573:
	s_or_b32 exec_lo, exec_lo, s23
.LBB561_574:
	s_delay_alu instid0(SALU_CYCLE_1) | instskip(SKIP_3) | instid1(VALU_DEP_2)
	s_or_b32 exec_lo, exec_lo, s22
	v_dual_mov_b32 v156, v22 :: v_dual_add_nc_u32 v57, 6, v64
	v_mov_b32_e32 v155, v21
	s_mov_b32 s22, exec_lo
	v_cmpx_gt_u32_e64 s3, v57
	s_cbranch_execz .LBB561_585
; %bb.575:
	v_cmp_ne_u32_e32 vcc_lo, 1, v63
	s_cbranch_vccnz .LBB561_582
; %bb.576:
	v_mul_lo_u32 v61, v22, s8
	v_mul_lo_u32 v62, v21, s9
	v_mad_u64_u32 v[57:58], null, v21, s8, 0
	v_mul_lo_u32 v65, v20, s8
	v_mul_lo_u32 v66, v19, s9
	v_mad_u64_u32 v[59:60], null, v19, s8, 0
	v_mov_b32_e32 v155, 1
	v_mov_b32_e32 v156, 0
	v_add3_u32 v58, v58, v62, v61
	s_mov_b32 s23, exec_lo
	s_delay_alu instid0(VALU_DEP_4) | instskip(NEXT) | instid1(VALU_DEP_2)
	v_add3_u32 v60, v60, v66, v65
	v_lshlrev_b64 v[57:58], 3, v[57:58]
	s_delay_alu instid0(VALU_DEP_2) | instskip(NEXT) | instid1(VALU_DEP_2)
	v_lshlrev_b64 v[61:62], 3, v[59:60]
	v_add_co_u32 v59, vcc_lo, s10, v57
	s_delay_alu instid0(VALU_DEP_3) | instskip(NEXT) | instid1(VALU_DEP_3)
	v_add_co_ci_u32_e32 v60, vcc_lo, s11, v58, vcc_lo
	v_add_co_u32 v57, vcc_lo, s10, v61
	s_delay_alu instid0(VALU_DEP_4)
	v_add_co_ci_u32_e32 v58, vcc_lo, s11, v62, vcc_lo
	s_clause 0x1
	global_load_b64 v[61:62], v[59:60], off
	global_load_b64 v[65:66], v[57:58], off
	s_waitcnt vmcnt(0)
	v_cmpx_eq_u64_e64 v[61:62], v[65:66]
	s_cbranch_execz .LBB561_584
; %bb.577:
	v_add_co_u32 v57, vcc_lo, v57, 8
	v_add_co_ci_u32_e32 v58, vcc_lo, 0, v58, vcc_lo
	v_add_co_u32 v59, vcc_lo, v59, 8
	v_add_co_ci_u32_e32 v60, vcc_lo, 0, v60, vcc_lo
	s_add_u32 s14, s8, -1
	s_addc_u32 s15, s9, -1
	s_mov_b64 s[20:21], 0
	s_mov_b32 s24, 0
                                        ; implicit-def: $sgpr25
	s_set_inst_prefetch_distance 0x1
	s_branch .LBB561_580
	.p2align	6
.LBB561_578:                            ;   in Loop: Header=BB561_580 Depth=1
	global_load_b64 v[61:62], v[59:60], off
	global_load_b64 v[65:66], v[57:58], off
	v_add_co_u32 v57, vcc_lo, v57, 8
	v_add_co_ci_u32_e32 v58, vcc_lo, 0, v58, vcc_lo
	v_add_co_u32 v59, s0, v59, 8
	s_delay_alu instid0(VALU_DEP_1)
	v_add_co_ci_u32_e64 v60, s0, 0, v60, s0
	s_add_u32 s20, s20, 1
	s_addc_u32 s21, s21, 0
	s_and_not1_b32 s0, s25, exec_lo
	s_waitcnt vmcnt(0)
	v_cmp_ne_u64_e32 vcc_lo, v[61:62], v[65:66]
	s_and_b32 s25, vcc_lo, exec_lo
	s_delay_alu instid0(SALU_CYCLE_1)
	s_or_b32 s25, s0, s25
.LBB561_579:                            ;   in Loop: Header=BB561_580 Depth=1
	v_dual_mov_b32 v62, s21 :: v_dual_mov_b32 v61, s20
	s_and_b32 s0, exec_lo, s25
	s_delay_alu instid0(SALU_CYCLE_1) | instskip(NEXT) | instid1(SALU_CYCLE_1)
	s_or_b32 s24, s0, s24
	s_and_not1_b32 exec_lo, exec_lo, s24
	s_cbranch_execz .LBB561_583
.LBB561_580:                            ; =>This Inner Loop Header: Depth=1
	s_or_b32 s25, s25, exec_lo
	s_cmp_eq_u64 s[14:15], s[20:21]
	s_cbranch_scc0 .LBB561_578
; %bb.581:                              ;   in Loop: Header=BB561_580 Depth=1
	s_mov_b64 s[20:21], s[8:9]
                                        ; implicit-def: $vgpr57_vgpr58
                                        ; implicit-def: $vgpr59_vgpr60
	s_branch .LBB561_579
.LBB561_582:
	v_mov_b32_e32 v155, 0
	v_mov_b32_e32 v156, 0
	s_branch .LBB561_585
.LBB561_583:
	s_set_inst_prefetch_distance 0x2
	s_or_b32 exec_lo, exec_lo, s24
	v_cmp_gt_i64_e32 vcc_lo, s[8:9], v[61:62]
	s_mov_b32 s0, 0
	s_delay_alu instid0(SALU_CYCLE_1)
	v_mov_b32_e32 v156, s0
	v_cndmask_b32_e64 v155, 0, 1, vcc_lo
.LBB561_584:
	s_or_b32 exec_lo, exec_lo, s23
.LBB561_585:
	s_delay_alu instid0(SALU_CYCLE_1) | instskip(SKIP_3) | instid1(VALU_DEP_2)
	s_or_b32 exec_lo, exec_lo, s22
	v_dual_mov_b32 v158, v20 :: v_dual_add_nc_u32 v57, 5, v64
	v_mov_b32_e32 v157, v19
	s_mov_b32 s22, exec_lo
	v_cmpx_gt_u32_e64 s3, v57
	s_cbranch_execz .LBB561_596
; %bb.586:
	v_cmp_ne_u32_e32 vcc_lo, 1, v63
	s_cbranch_vccnz .LBB561_593
; %bb.587:
	v_mul_lo_u32 v61, v20, s8
	v_mul_lo_u32 v62, v19, s9
	v_mad_u64_u32 v[57:58], null, v19, s8, 0
	v_mul_lo_u32 v65, v18, s8
	v_mul_lo_u32 v66, v17, s9
	v_mad_u64_u32 v[59:60], null, v17, s8, 0
	v_mov_b32_e32 v157, 1
	v_mov_b32_e32 v158, 0
	v_add3_u32 v58, v58, v62, v61
	s_mov_b32 s23, exec_lo
	s_delay_alu instid0(VALU_DEP_4) | instskip(NEXT) | instid1(VALU_DEP_2)
	v_add3_u32 v60, v60, v66, v65
	v_lshlrev_b64 v[57:58], 3, v[57:58]
	s_delay_alu instid0(VALU_DEP_2) | instskip(NEXT) | instid1(VALU_DEP_2)
	v_lshlrev_b64 v[61:62], 3, v[59:60]
	v_add_co_u32 v59, vcc_lo, s10, v57
	s_delay_alu instid0(VALU_DEP_3) | instskip(NEXT) | instid1(VALU_DEP_3)
	v_add_co_ci_u32_e32 v60, vcc_lo, s11, v58, vcc_lo
	v_add_co_u32 v57, vcc_lo, s10, v61
	s_delay_alu instid0(VALU_DEP_4)
	v_add_co_ci_u32_e32 v58, vcc_lo, s11, v62, vcc_lo
	s_clause 0x1
	global_load_b64 v[61:62], v[59:60], off
	global_load_b64 v[65:66], v[57:58], off
	s_waitcnt vmcnt(0)
	v_cmpx_eq_u64_e64 v[61:62], v[65:66]
	s_cbranch_execz .LBB561_595
; %bb.588:
	v_add_co_u32 v57, vcc_lo, v57, 8
	v_add_co_ci_u32_e32 v58, vcc_lo, 0, v58, vcc_lo
	v_add_co_u32 v59, vcc_lo, v59, 8
	v_add_co_ci_u32_e32 v60, vcc_lo, 0, v60, vcc_lo
	s_add_u32 s14, s8, -1
	s_addc_u32 s15, s9, -1
	s_mov_b64 s[20:21], 0
	s_mov_b32 s24, 0
                                        ; implicit-def: $sgpr25
	s_set_inst_prefetch_distance 0x1
	s_branch .LBB561_591
	.p2align	6
.LBB561_589:                            ;   in Loop: Header=BB561_591 Depth=1
	global_load_b64 v[61:62], v[59:60], off
	global_load_b64 v[65:66], v[57:58], off
	v_add_co_u32 v57, vcc_lo, v57, 8
	v_add_co_ci_u32_e32 v58, vcc_lo, 0, v58, vcc_lo
	v_add_co_u32 v59, s0, v59, 8
	s_delay_alu instid0(VALU_DEP_1)
	v_add_co_ci_u32_e64 v60, s0, 0, v60, s0
	s_add_u32 s20, s20, 1
	s_addc_u32 s21, s21, 0
	s_and_not1_b32 s0, s25, exec_lo
	s_waitcnt vmcnt(0)
	v_cmp_ne_u64_e32 vcc_lo, v[61:62], v[65:66]
	s_and_b32 s25, vcc_lo, exec_lo
	s_delay_alu instid0(SALU_CYCLE_1)
	s_or_b32 s25, s0, s25
.LBB561_590:                            ;   in Loop: Header=BB561_591 Depth=1
	v_dual_mov_b32 v62, s21 :: v_dual_mov_b32 v61, s20
	s_and_b32 s0, exec_lo, s25
	s_delay_alu instid0(SALU_CYCLE_1) | instskip(NEXT) | instid1(SALU_CYCLE_1)
	s_or_b32 s24, s0, s24
	s_and_not1_b32 exec_lo, exec_lo, s24
	s_cbranch_execz .LBB561_594
.LBB561_591:                            ; =>This Inner Loop Header: Depth=1
	s_or_b32 s25, s25, exec_lo
	s_cmp_eq_u64 s[14:15], s[20:21]
	s_cbranch_scc0 .LBB561_589
; %bb.592:                              ;   in Loop: Header=BB561_591 Depth=1
	s_mov_b64 s[20:21], s[8:9]
                                        ; implicit-def: $vgpr57_vgpr58
                                        ; implicit-def: $vgpr59_vgpr60
	s_branch .LBB561_590
.LBB561_593:
	v_mov_b32_e32 v157, 0
	v_mov_b32_e32 v158, 0
	s_branch .LBB561_596
.LBB561_594:
	s_set_inst_prefetch_distance 0x2
	s_or_b32 exec_lo, exec_lo, s24
	v_cmp_gt_i64_e32 vcc_lo, s[8:9], v[61:62]
	s_mov_b32 s0, 0
	s_delay_alu instid0(SALU_CYCLE_1)
	v_mov_b32_e32 v158, s0
	v_cndmask_b32_e64 v157, 0, 1, vcc_lo
.LBB561_595:
	s_or_b32 exec_lo, exec_lo, s23
.LBB561_596:
	s_delay_alu instid0(SALU_CYCLE_1) | instskip(SKIP_3) | instid1(VALU_DEP_2)
	s_or_b32 exec_lo, exec_lo, s22
	v_dual_mov_b32 v160, v18 :: v_dual_add_nc_u32 v57, 4, v64
	v_mov_b32_e32 v159, v17
	s_mov_b32 s22, exec_lo
	v_cmpx_gt_u32_e64 s3, v57
	s_cbranch_execz .LBB561_607
; %bb.597:
	v_cmp_ne_u32_e32 vcc_lo, 1, v63
	s_cbranch_vccnz .LBB561_604
; %bb.598:
	v_mul_lo_u32 v61, v18, s8
	v_mul_lo_u32 v62, v17, s9
	v_mad_u64_u32 v[57:58], null, v17, s8, 0
	v_mul_lo_u32 v65, v16, s8
	v_mul_lo_u32 v66, v15, s9
	v_mad_u64_u32 v[59:60], null, v15, s8, 0
	v_mov_b32_e32 v159, 1
	v_mov_b32_e32 v160, 0
	v_add3_u32 v58, v58, v62, v61
	s_mov_b32 s23, exec_lo
	s_delay_alu instid0(VALU_DEP_4) | instskip(NEXT) | instid1(VALU_DEP_2)
	v_add3_u32 v60, v60, v66, v65
	v_lshlrev_b64 v[57:58], 3, v[57:58]
	s_delay_alu instid0(VALU_DEP_2) | instskip(NEXT) | instid1(VALU_DEP_2)
	v_lshlrev_b64 v[61:62], 3, v[59:60]
	v_add_co_u32 v59, vcc_lo, s10, v57
	s_delay_alu instid0(VALU_DEP_3) | instskip(NEXT) | instid1(VALU_DEP_3)
	v_add_co_ci_u32_e32 v60, vcc_lo, s11, v58, vcc_lo
	v_add_co_u32 v57, vcc_lo, s10, v61
	s_delay_alu instid0(VALU_DEP_4)
	v_add_co_ci_u32_e32 v58, vcc_lo, s11, v62, vcc_lo
	s_clause 0x1
	global_load_b64 v[61:62], v[59:60], off
	global_load_b64 v[65:66], v[57:58], off
	s_waitcnt vmcnt(0)
	v_cmpx_eq_u64_e64 v[61:62], v[65:66]
	s_cbranch_execz .LBB561_606
; %bb.599:
	v_add_co_u32 v57, vcc_lo, v57, 8
	v_add_co_ci_u32_e32 v58, vcc_lo, 0, v58, vcc_lo
	v_add_co_u32 v59, vcc_lo, v59, 8
	v_add_co_ci_u32_e32 v60, vcc_lo, 0, v60, vcc_lo
	s_add_u32 s14, s8, -1
	s_addc_u32 s15, s9, -1
	s_mov_b64 s[20:21], 0
	s_mov_b32 s24, 0
                                        ; implicit-def: $sgpr25
	s_set_inst_prefetch_distance 0x1
	s_branch .LBB561_602
	.p2align	6
.LBB561_600:                            ;   in Loop: Header=BB561_602 Depth=1
	global_load_b64 v[61:62], v[59:60], off
	global_load_b64 v[65:66], v[57:58], off
	v_add_co_u32 v57, vcc_lo, v57, 8
	v_add_co_ci_u32_e32 v58, vcc_lo, 0, v58, vcc_lo
	v_add_co_u32 v59, s0, v59, 8
	s_delay_alu instid0(VALU_DEP_1)
	v_add_co_ci_u32_e64 v60, s0, 0, v60, s0
	s_add_u32 s20, s20, 1
	s_addc_u32 s21, s21, 0
	s_and_not1_b32 s0, s25, exec_lo
	s_waitcnt vmcnt(0)
	v_cmp_ne_u64_e32 vcc_lo, v[61:62], v[65:66]
	s_and_b32 s25, vcc_lo, exec_lo
	s_delay_alu instid0(SALU_CYCLE_1)
	s_or_b32 s25, s0, s25
.LBB561_601:                            ;   in Loop: Header=BB561_602 Depth=1
	v_dual_mov_b32 v62, s21 :: v_dual_mov_b32 v61, s20
	s_and_b32 s0, exec_lo, s25
	s_delay_alu instid0(SALU_CYCLE_1) | instskip(NEXT) | instid1(SALU_CYCLE_1)
	s_or_b32 s24, s0, s24
	s_and_not1_b32 exec_lo, exec_lo, s24
	s_cbranch_execz .LBB561_605
.LBB561_602:                            ; =>This Inner Loop Header: Depth=1
	s_or_b32 s25, s25, exec_lo
	s_cmp_eq_u64 s[14:15], s[20:21]
	s_cbranch_scc0 .LBB561_600
; %bb.603:                              ;   in Loop: Header=BB561_602 Depth=1
	s_mov_b64 s[20:21], s[8:9]
                                        ; implicit-def: $vgpr57_vgpr58
                                        ; implicit-def: $vgpr59_vgpr60
	s_branch .LBB561_601
.LBB561_604:
	v_mov_b32_e32 v159, 0
	v_mov_b32_e32 v160, 0
	s_branch .LBB561_607
.LBB561_605:
	s_set_inst_prefetch_distance 0x2
	s_or_b32 exec_lo, exec_lo, s24
	v_cmp_gt_i64_e32 vcc_lo, s[8:9], v[61:62]
	s_mov_b32 s0, 0
	s_delay_alu instid0(SALU_CYCLE_1)
	v_mov_b32_e32 v160, s0
	v_cndmask_b32_e64 v159, 0, 1, vcc_lo
.LBB561_606:
	s_or_b32 exec_lo, exec_lo, s23
.LBB561_607:
	s_delay_alu instid0(SALU_CYCLE_1) | instskip(SKIP_3) | instid1(VALU_DEP_2)
	s_or_b32 exec_lo, exec_lo, s22
	v_dual_mov_b32 v162, v16 :: v_dual_add_nc_u32 v57, 3, v64
	v_mov_b32_e32 v161, v15
	s_mov_b32 s22, exec_lo
	v_cmpx_gt_u32_e64 s3, v57
	s_cbranch_execz .LBB561_618
; %bb.608:
	v_cmp_ne_u32_e32 vcc_lo, 1, v63
	s_cbranch_vccnz .LBB561_615
; %bb.609:
	v_mul_lo_u32 v61, v16, s8
	v_mul_lo_u32 v62, v15, s9
	v_mad_u64_u32 v[57:58], null, v15, s8, 0
	v_mul_lo_u32 v65, v14, s8
	v_mul_lo_u32 v66, v13, s9
	v_mad_u64_u32 v[59:60], null, v13, s8, 0
	v_mov_b32_e32 v161, 1
	v_mov_b32_e32 v162, 0
	v_add3_u32 v58, v58, v62, v61
	s_mov_b32 s23, exec_lo
	s_delay_alu instid0(VALU_DEP_4) | instskip(NEXT) | instid1(VALU_DEP_2)
	v_add3_u32 v60, v60, v66, v65
	v_lshlrev_b64 v[57:58], 3, v[57:58]
	s_delay_alu instid0(VALU_DEP_2) | instskip(NEXT) | instid1(VALU_DEP_2)
	v_lshlrev_b64 v[61:62], 3, v[59:60]
	v_add_co_u32 v59, vcc_lo, s10, v57
	s_delay_alu instid0(VALU_DEP_3) | instskip(NEXT) | instid1(VALU_DEP_3)
	v_add_co_ci_u32_e32 v60, vcc_lo, s11, v58, vcc_lo
	v_add_co_u32 v57, vcc_lo, s10, v61
	s_delay_alu instid0(VALU_DEP_4)
	v_add_co_ci_u32_e32 v58, vcc_lo, s11, v62, vcc_lo
	s_clause 0x1
	global_load_b64 v[61:62], v[59:60], off
	global_load_b64 v[65:66], v[57:58], off
	s_waitcnt vmcnt(0)
	v_cmpx_eq_u64_e64 v[61:62], v[65:66]
	s_cbranch_execz .LBB561_617
; %bb.610:
	v_add_co_u32 v57, vcc_lo, v57, 8
	v_add_co_ci_u32_e32 v58, vcc_lo, 0, v58, vcc_lo
	v_add_co_u32 v59, vcc_lo, v59, 8
	v_add_co_ci_u32_e32 v60, vcc_lo, 0, v60, vcc_lo
	s_add_u32 s14, s8, -1
	s_addc_u32 s15, s9, -1
	s_mov_b64 s[20:21], 0
	s_mov_b32 s24, 0
                                        ; implicit-def: $sgpr25
	s_set_inst_prefetch_distance 0x1
	s_branch .LBB561_613
	.p2align	6
.LBB561_611:                            ;   in Loop: Header=BB561_613 Depth=1
	global_load_b64 v[61:62], v[59:60], off
	global_load_b64 v[65:66], v[57:58], off
	v_add_co_u32 v57, vcc_lo, v57, 8
	v_add_co_ci_u32_e32 v58, vcc_lo, 0, v58, vcc_lo
	v_add_co_u32 v59, s0, v59, 8
	s_delay_alu instid0(VALU_DEP_1)
	v_add_co_ci_u32_e64 v60, s0, 0, v60, s0
	s_add_u32 s20, s20, 1
	s_addc_u32 s21, s21, 0
	s_and_not1_b32 s0, s25, exec_lo
	s_waitcnt vmcnt(0)
	v_cmp_ne_u64_e32 vcc_lo, v[61:62], v[65:66]
	s_and_b32 s25, vcc_lo, exec_lo
	s_delay_alu instid0(SALU_CYCLE_1)
	s_or_b32 s25, s0, s25
.LBB561_612:                            ;   in Loop: Header=BB561_613 Depth=1
	v_dual_mov_b32 v62, s21 :: v_dual_mov_b32 v61, s20
	s_and_b32 s0, exec_lo, s25
	s_delay_alu instid0(SALU_CYCLE_1) | instskip(NEXT) | instid1(SALU_CYCLE_1)
	s_or_b32 s24, s0, s24
	s_and_not1_b32 exec_lo, exec_lo, s24
	s_cbranch_execz .LBB561_616
.LBB561_613:                            ; =>This Inner Loop Header: Depth=1
	s_or_b32 s25, s25, exec_lo
	s_cmp_eq_u64 s[14:15], s[20:21]
	s_cbranch_scc0 .LBB561_611
; %bb.614:                              ;   in Loop: Header=BB561_613 Depth=1
	s_mov_b64 s[20:21], s[8:9]
                                        ; implicit-def: $vgpr57_vgpr58
                                        ; implicit-def: $vgpr59_vgpr60
	s_branch .LBB561_612
.LBB561_615:
	v_mov_b32_e32 v161, 0
	v_mov_b32_e32 v162, 0
	s_branch .LBB561_618
.LBB561_616:
	s_set_inst_prefetch_distance 0x2
	s_or_b32 exec_lo, exec_lo, s24
	v_cmp_gt_i64_e32 vcc_lo, s[8:9], v[61:62]
	s_mov_b32 s0, 0
	s_delay_alu instid0(SALU_CYCLE_1)
	v_mov_b32_e32 v162, s0
	v_cndmask_b32_e64 v161, 0, 1, vcc_lo
.LBB561_617:
	s_or_b32 exec_lo, exec_lo, s23
.LBB561_618:
	s_delay_alu instid0(SALU_CYCLE_1) | instskip(SKIP_3) | instid1(VALU_DEP_2)
	s_or_b32 exec_lo, exec_lo, s22
	v_dual_mov_b32 v164, v14 :: v_dual_add_nc_u32 v57, 2, v64
	v_mov_b32_e32 v163, v13
	s_mov_b32 s22, exec_lo
	v_cmpx_gt_u32_e64 s3, v57
	s_cbranch_execz .LBB561_629
; %bb.619:
	v_cmp_ne_u32_e32 vcc_lo, 1, v63
	s_cbranch_vccnz .LBB561_626
; %bb.620:
	v_mul_lo_u32 v61, v14, s8
	v_mul_lo_u32 v62, v13, s9
	v_mad_u64_u32 v[57:58], null, v13, s8, 0
	v_mul_lo_u32 v65, v4, s8
	v_mul_lo_u32 v66, v3, s9
	v_mad_u64_u32 v[59:60], null, v3, s8, 0
	v_mov_b32_e32 v163, 1
	v_mov_b32_e32 v164, 0
	v_add3_u32 v58, v58, v62, v61
	s_mov_b32 s23, exec_lo
	s_delay_alu instid0(VALU_DEP_4) | instskip(NEXT) | instid1(VALU_DEP_2)
	v_add3_u32 v60, v60, v66, v65
	v_lshlrev_b64 v[57:58], 3, v[57:58]
	s_delay_alu instid0(VALU_DEP_2) | instskip(NEXT) | instid1(VALU_DEP_2)
	v_lshlrev_b64 v[61:62], 3, v[59:60]
	v_add_co_u32 v59, vcc_lo, s10, v57
	s_delay_alu instid0(VALU_DEP_3) | instskip(NEXT) | instid1(VALU_DEP_3)
	v_add_co_ci_u32_e32 v60, vcc_lo, s11, v58, vcc_lo
	v_add_co_u32 v57, vcc_lo, s10, v61
	s_delay_alu instid0(VALU_DEP_4)
	v_add_co_ci_u32_e32 v58, vcc_lo, s11, v62, vcc_lo
	s_clause 0x1
	global_load_b64 v[61:62], v[59:60], off
	global_load_b64 v[65:66], v[57:58], off
	s_waitcnt vmcnt(0)
	v_cmpx_eq_u64_e64 v[61:62], v[65:66]
	s_cbranch_execz .LBB561_628
; %bb.621:
	v_add_co_u32 v57, vcc_lo, v57, 8
	v_add_co_ci_u32_e32 v58, vcc_lo, 0, v58, vcc_lo
	v_add_co_u32 v59, vcc_lo, v59, 8
	v_add_co_ci_u32_e32 v60, vcc_lo, 0, v60, vcc_lo
	s_add_u32 s14, s8, -1
	s_addc_u32 s15, s9, -1
	s_mov_b64 s[20:21], 0
	s_mov_b32 s24, 0
                                        ; implicit-def: $sgpr25
	s_set_inst_prefetch_distance 0x1
	s_branch .LBB561_624
	.p2align	6
.LBB561_622:                            ;   in Loop: Header=BB561_624 Depth=1
	global_load_b64 v[61:62], v[59:60], off
	global_load_b64 v[65:66], v[57:58], off
	v_add_co_u32 v57, vcc_lo, v57, 8
	v_add_co_ci_u32_e32 v58, vcc_lo, 0, v58, vcc_lo
	v_add_co_u32 v59, s0, v59, 8
	s_delay_alu instid0(VALU_DEP_1)
	v_add_co_ci_u32_e64 v60, s0, 0, v60, s0
	s_add_u32 s20, s20, 1
	s_addc_u32 s21, s21, 0
	s_and_not1_b32 s0, s25, exec_lo
	s_waitcnt vmcnt(0)
	v_cmp_ne_u64_e32 vcc_lo, v[61:62], v[65:66]
	s_and_b32 s25, vcc_lo, exec_lo
	s_delay_alu instid0(SALU_CYCLE_1)
	s_or_b32 s25, s0, s25
.LBB561_623:                            ;   in Loop: Header=BB561_624 Depth=1
	v_dual_mov_b32 v62, s21 :: v_dual_mov_b32 v61, s20
	s_and_b32 s0, exec_lo, s25
	s_delay_alu instid0(SALU_CYCLE_1) | instskip(NEXT) | instid1(SALU_CYCLE_1)
	s_or_b32 s24, s0, s24
	s_and_not1_b32 exec_lo, exec_lo, s24
	s_cbranch_execz .LBB561_627
.LBB561_624:                            ; =>This Inner Loop Header: Depth=1
	s_or_b32 s25, s25, exec_lo
	s_cmp_eq_u64 s[14:15], s[20:21]
	s_cbranch_scc0 .LBB561_622
; %bb.625:                              ;   in Loop: Header=BB561_624 Depth=1
	s_mov_b64 s[20:21], s[8:9]
                                        ; implicit-def: $vgpr57_vgpr58
                                        ; implicit-def: $vgpr59_vgpr60
	s_branch .LBB561_623
.LBB561_626:
	v_mov_b32_e32 v163, 0
	v_mov_b32_e32 v164, 0
	s_branch .LBB561_629
.LBB561_627:
	s_set_inst_prefetch_distance 0x2
	s_or_b32 exec_lo, exec_lo, s24
	v_cmp_gt_i64_e32 vcc_lo, s[8:9], v[61:62]
	s_mov_b32 s0, 0
	s_delay_alu instid0(SALU_CYCLE_1)
	v_mov_b32_e32 v164, s0
	v_cndmask_b32_e64 v163, 0, 1, vcc_lo
.LBB561_628:
	s_or_b32 exec_lo, exec_lo, s23
.LBB561_629:
	s_delay_alu instid0(SALU_CYCLE_1) | instskip(SKIP_3) | instid1(VALU_DEP_2)
	s_or_b32 exec_lo, exec_lo, s22
	v_dual_mov_b32 v166, v4 :: v_dual_add_nc_u32 v57, 1, v64
	v_mov_b32_e32 v165, v3
	s_mov_b32 s22, exec_lo
	v_cmpx_gt_u32_e64 s3, v57
	s_cbranch_execz .LBB561_640
; %bb.630:
	v_cmp_ne_u32_e32 vcc_lo, 1, v63
	s_cbranch_vccnz .LBB561_637
; %bb.631:
	v_mul_lo_u32 v61, v4, s8
	v_mul_lo_u32 v62, v3, s9
	v_mad_u64_u32 v[57:58], null, v3, s8, 0
	v_mul_lo_u32 v65, v2, s8
	v_mul_lo_u32 v66, v1, s9
	v_mad_u64_u32 v[59:60], null, v1, s8, 0
	v_mov_b32_e32 v165, 1
	v_mov_b32_e32 v166, 0
	v_add3_u32 v58, v58, v62, v61
	s_mov_b32 s23, exec_lo
	s_delay_alu instid0(VALU_DEP_4) | instskip(NEXT) | instid1(VALU_DEP_2)
	v_add3_u32 v60, v60, v66, v65
	v_lshlrev_b64 v[57:58], 3, v[57:58]
	s_delay_alu instid0(VALU_DEP_2) | instskip(NEXT) | instid1(VALU_DEP_2)
	v_lshlrev_b64 v[61:62], 3, v[59:60]
	v_add_co_u32 v59, vcc_lo, s10, v57
	s_delay_alu instid0(VALU_DEP_3) | instskip(NEXT) | instid1(VALU_DEP_3)
	v_add_co_ci_u32_e32 v60, vcc_lo, s11, v58, vcc_lo
	v_add_co_u32 v57, vcc_lo, s10, v61
	s_delay_alu instid0(VALU_DEP_4)
	v_add_co_ci_u32_e32 v58, vcc_lo, s11, v62, vcc_lo
	s_clause 0x1
	global_load_b64 v[61:62], v[59:60], off
	global_load_b64 v[65:66], v[57:58], off
	s_waitcnt vmcnt(0)
	v_cmpx_eq_u64_e64 v[61:62], v[65:66]
	s_cbranch_execz .LBB561_639
; %bb.632:
	v_add_co_u32 v57, vcc_lo, v57, 8
	v_add_co_ci_u32_e32 v58, vcc_lo, 0, v58, vcc_lo
	v_add_co_u32 v59, vcc_lo, v59, 8
	v_add_co_ci_u32_e32 v60, vcc_lo, 0, v60, vcc_lo
	s_add_u32 s14, s8, -1
	s_addc_u32 s15, s9, -1
	s_mov_b64 s[20:21], 0
	s_mov_b32 s24, 0
                                        ; implicit-def: $sgpr25
	s_set_inst_prefetch_distance 0x1
	s_branch .LBB561_635
	.p2align	6
.LBB561_633:                            ;   in Loop: Header=BB561_635 Depth=1
	global_load_b64 v[61:62], v[59:60], off
	global_load_b64 v[65:66], v[57:58], off
	v_add_co_u32 v57, vcc_lo, v57, 8
	v_add_co_ci_u32_e32 v58, vcc_lo, 0, v58, vcc_lo
	v_add_co_u32 v59, s0, v59, 8
	s_delay_alu instid0(VALU_DEP_1)
	v_add_co_ci_u32_e64 v60, s0, 0, v60, s0
	s_add_u32 s20, s20, 1
	s_addc_u32 s21, s21, 0
	s_and_not1_b32 s0, s25, exec_lo
	s_waitcnt vmcnt(0)
	v_cmp_ne_u64_e32 vcc_lo, v[61:62], v[65:66]
	s_and_b32 s25, vcc_lo, exec_lo
	s_delay_alu instid0(SALU_CYCLE_1)
	s_or_b32 s25, s0, s25
.LBB561_634:                            ;   in Loop: Header=BB561_635 Depth=1
	v_dual_mov_b32 v62, s21 :: v_dual_mov_b32 v61, s20
	s_and_b32 s0, exec_lo, s25
	s_delay_alu instid0(SALU_CYCLE_1) | instskip(NEXT) | instid1(SALU_CYCLE_1)
	s_or_b32 s24, s0, s24
	s_and_not1_b32 exec_lo, exec_lo, s24
	s_cbranch_execz .LBB561_638
.LBB561_635:                            ; =>This Inner Loop Header: Depth=1
	s_or_b32 s25, s25, exec_lo
	s_cmp_eq_u64 s[14:15], s[20:21]
	s_cbranch_scc0 .LBB561_633
; %bb.636:                              ;   in Loop: Header=BB561_635 Depth=1
	s_mov_b64 s[20:21], s[8:9]
                                        ; implicit-def: $vgpr57_vgpr58
                                        ; implicit-def: $vgpr59_vgpr60
	s_branch .LBB561_634
.LBB561_637:
	v_mov_b32_e32 v165, 0
	v_mov_b32_e32 v166, 0
	s_branch .LBB561_640
.LBB561_638:
	s_set_inst_prefetch_distance 0x2
	s_or_b32 exec_lo, exec_lo, s24
	v_cmp_gt_i64_e32 vcc_lo, s[8:9], v[61:62]
	s_mov_b32 s0, 0
	s_delay_alu instid0(SALU_CYCLE_1)
	v_mov_b32_e32 v166, s0
	v_cndmask_b32_e64 v165, 0, 1, vcc_lo
.LBB561_639:
	s_or_b32 exec_lo, exec_lo, s23
.LBB561_640:
	s_delay_alu instid0(SALU_CYCLE_1)
	s_or_b32 exec_lo, exec_lo, s22
	v_dual_mov_b32 v58, s13 :: v_dual_mov_b32 v57, s12
	s_mov_b32 s0, exec_lo
	s_waitcnt lgkmcnt(0)
	s_barrier
	buffer_gl0_inv
	v_cmpx_ne_u32_e32 0, v0
	s_cbranch_execz .LBB561_642
; %bb.641:
	v_add_nc_u32_e32 v57, -8, v195
	ds_load_b64 v[57:58], v57
.LBB561_642:
	s_or_b32 exec_lo, exec_lo, s0
	v_cmp_gt_u32_e32 vcc_lo, s3, v64
                                        ; implicit-def: $sgpr0
	s_and_saveexec_b32 s3, vcc_lo
	s_cbranch_execz .LBB561_654
; %bb.643:
	v_cmp_ne_u32_e32 vcc_lo, 1, v63
	s_cbranch_vccnz .LBB561_650
; %bb.644:
	v_mul_lo_u32 v63, v2, s8
	v_mul_lo_u32 v64, v1, s9
	v_mad_u64_u32 v[59:60], null, v1, s8, 0
	s_waitcnt lgkmcnt(0)
	v_mul_lo_u32 v58, v58, s8
	v_mul_lo_u32 v65, v57, s9
	v_mad_u64_u32 v[61:62], null, v57, s8, 0
	s_mov_b32 s0, -1
	s_mov_b32 s20, exec_lo
	s_delay_alu instid0(VALU_DEP_4) | instskip(NEXT) | instid1(VALU_DEP_2)
	v_add3_u32 v60, v60, v64, v63
	v_add3_u32 v62, v62, v65, v58
	s_delay_alu instid0(VALU_DEP_2) | instskip(NEXT) | instid1(VALU_DEP_2)
	v_lshlrev_b64 v[57:58], 3, v[59:60]
	v_lshlrev_b64 v[61:62], 3, v[61:62]
	s_delay_alu instid0(VALU_DEP_2) | instskip(NEXT) | instid1(VALU_DEP_3)
	v_add_co_u32 v59, vcc_lo, s10, v57
	v_add_co_ci_u32_e32 v60, vcc_lo, s11, v58, vcc_lo
	s_delay_alu instid0(VALU_DEP_3) | instskip(NEXT) | instid1(VALU_DEP_4)
	v_add_co_u32 v57, vcc_lo, s10, v61
	v_add_co_ci_u32_e32 v58, vcc_lo, s11, v62, vcc_lo
	s_clause 0x1
	global_load_b64 v[61:62], v[59:60], off
	global_load_b64 v[63:64], v[57:58], off
	s_waitcnt vmcnt(0)
	v_cmpx_eq_u64_e64 v[61:62], v[63:64]
	s_cbranch_execz .LBB561_652
; %bb.645:
	v_add_co_u32 v57, vcc_lo, v57, 8
	v_add_co_ci_u32_e32 v58, vcc_lo, 0, v58, vcc_lo
	v_add_co_u32 v59, vcc_lo, v59, 8
	v_add_co_ci_u32_e32 v60, vcc_lo, 0, v60, vcc_lo
	s_add_u32 s12, s8, -1
	s_addc_u32 s13, s9, -1
	s_mov_b64 s[14:15], 0
	s_mov_b32 s21, 0
                                        ; implicit-def: $sgpr22
	s_set_inst_prefetch_distance 0x1
	s_branch .LBB561_648
	.p2align	6
.LBB561_646:                            ;   in Loop: Header=BB561_648 Depth=1
	global_load_b64 v[61:62], v[59:60], off
	global_load_b64 v[63:64], v[57:58], off
	v_add_co_u32 v57, vcc_lo, v57, 8
	v_add_co_ci_u32_e32 v58, vcc_lo, 0, v58, vcc_lo
	v_add_co_u32 v59, s0, v59, 8
	s_delay_alu instid0(VALU_DEP_1)
	v_add_co_ci_u32_e64 v60, s0, 0, v60, s0
	s_add_u32 s14, s14, 1
	s_addc_u32 s15, s15, 0
	s_and_not1_b32 s0, s22, exec_lo
	s_waitcnt vmcnt(0)
	v_cmp_ne_u64_e32 vcc_lo, v[61:62], v[63:64]
	s_and_b32 s22, vcc_lo, exec_lo
	s_delay_alu instid0(SALU_CYCLE_1)
	s_or_b32 s22, s0, s22
.LBB561_647:                            ;   in Loop: Header=BB561_648 Depth=1
	v_dual_mov_b32 v62, s15 :: v_dual_mov_b32 v61, s14
	s_and_b32 s0, exec_lo, s22
	s_delay_alu instid0(SALU_CYCLE_1) | instskip(NEXT) | instid1(SALU_CYCLE_1)
	s_or_b32 s21, s0, s21
	s_and_not1_b32 exec_lo, exec_lo, s21
	s_cbranch_execz .LBB561_651
.LBB561_648:                            ; =>This Inner Loop Header: Depth=1
	s_or_b32 s22, s22, exec_lo
	s_cmp_eq_u64 s[12:13], s[14:15]
	s_cbranch_scc0 .LBB561_646
; %bb.649:                              ;   in Loop: Header=BB561_648 Depth=1
	s_mov_b64 s[14:15], s[8:9]
                                        ; implicit-def: $vgpr57_vgpr58
                                        ; implicit-def: $vgpr59_vgpr60
	s_branch .LBB561_647
.LBB561_650:
	s_mov_b32 s0, 0
	s_branch .LBB561_653
.LBB561_651:
	s_set_inst_prefetch_distance 0x2
	s_or_b32 exec_lo, exec_lo, s21
	v_cmp_gt_i64_e32 vcc_lo, s[8:9], v[61:62]
	s_or_not1_b32 s0, vcc_lo, exec_lo
.LBB561_652:
	s_or_b32 exec_lo, exec_lo, s20
.LBB561_653:
	s_delay_alu instid0(SALU_CYCLE_1)
	s_and_b32 s0, s0, exec_lo
	s_or_b32 s1, s1, exec_lo
.LBB561_654:
	s_or_b32 exec_lo, exec_lo, s3
	v_dual_mov_b32 v182, v166 :: v_dual_mov_b32 v181, v165
	v_dual_mov_b32 v168, v164 :: v_dual_mov_b32 v167, v163
	;; [unrolled: 1-line block ×27, first 2 shown]
	s_branch .LBB561_1243
.LBB561_655:
	s_cmp_lg_u64 s[18:19], 1
	s_cbranch_scc0 .LBB561_663
; %bb.656:
	v_mul_lo_u32 v59, v8, s8
	v_mul_lo_u32 v60, v7, s9
	s_waitcnt lgkmcnt(0)
	v_mad_u64_u32 v[57:58], null, v7, s8, 0
	v_mov_b32_e32 v113, 0
	v_mov_b32_e32 v114, 0
	v_cmp_lt_i64_e64 s0, s[8:9], 1
	v_cmp_gt_i64_e64 s3, s[8:9], 0
	s_delay_alu instid0(VALU_DEP_4) | instskip(SKIP_4) | instid1(VALU_DEP_1)
	v_mov_b32_e32 v111, v113
	ds_store_b64 v195, v[109:110]
	v_mov_b32_e32 v112, v114
	v_add3_u32 v58, v58, v60, v59
	s_and_b32 vcc_lo, exec_lo, s0
	v_lshlrev_b64 v[57:58], 3, v[57:58]
	s_cbranch_vccnz .LBB561_666
; %bb.657:
	v_mul_lo_u32 v61, v110, s8
	v_mul_lo_u32 v62, v109, s9
	v_mad_u64_u32 v[59:60], null, v109, s8, 0
	v_mov_b32_e32 v111, 1
	v_mov_b32_e32 v112, 0
	s_mov_b32 s18, exec_lo
	s_delay_alu instid0(VALU_DEP_3) | instskip(NEXT) | instid1(VALU_DEP_1)
	v_add3_u32 v60, v60, v62, v61
	v_lshlrev_b64 v[59:60], 3, v[59:60]
	s_delay_alu instid0(VALU_DEP_1) | instskip(NEXT) | instid1(VALU_DEP_2)
	v_add_co_u32 v61, vcc_lo, s10, v59
	v_add_co_ci_u32_e32 v62, vcc_lo, s11, v60, vcc_lo
	v_add_co_u32 v59, vcc_lo, s10, v57
	v_add_co_ci_u32_e32 v60, vcc_lo, s11, v58, vcc_lo
	s_clause 0x1
	global_load_b64 v[63:64], v[61:62], off
	global_load_b64 v[65:66], v[59:60], off
	s_waitcnt vmcnt(0)
	v_cmpx_eq_u64_e64 v[63:64], v[65:66]
	s_cbranch_execz .LBB561_665
; %bb.658:
	v_add_co_u32 v59, vcc_lo, v59, 8
	v_add_co_ci_u32_e32 v60, vcc_lo, 0, v60, vcc_lo
	v_add_co_u32 v61, vcc_lo, v61, 8
	v_add_co_ci_u32_e32 v62, vcc_lo, 0, v62, vcc_lo
	s_add_u32 s12, s8, -1
	s_addc_u32 s13, s9, -1
	s_mov_b64 s[14:15], 0
	s_mov_b32 s19, 0
                                        ; implicit-def: $sgpr20
	s_set_inst_prefetch_distance 0x1
	s_branch .LBB561_661
	.p2align	6
.LBB561_659:                            ;   in Loop: Header=BB561_661 Depth=1
	global_load_b64 v[63:64], v[61:62], off
	global_load_b64 v[65:66], v[59:60], off
	v_add_co_u32 v59, vcc_lo, v59, 8
	v_add_co_ci_u32_e32 v60, vcc_lo, 0, v60, vcc_lo
	v_add_co_u32 v61, s0, v61, 8
	s_delay_alu instid0(VALU_DEP_1)
	v_add_co_ci_u32_e64 v62, s0, 0, v62, s0
	s_add_u32 s14, s14, 1
	s_addc_u32 s15, s15, 0
	s_and_not1_b32 s0, s20, exec_lo
	s_waitcnt vmcnt(0)
	v_cmp_ne_u64_e32 vcc_lo, v[63:64], v[65:66]
	s_and_b32 s20, vcc_lo, exec_lo
	s_delay_alu instid0(SALU_CYCLE_1)
	s_or_b32 s20, s0, s20
.LBB561_660:                            ;   in Loop: Header=BB561_661 Depth=1
	v_dual_mov_b32 v64, s15 :: v_dual_mov_b32 v63, s14
	s_and_b32 s0, exec_lo, s20
	s_delay_alu instid0(SALU_CYCLE_1) | instskip(NEXT) | instid1(SALU_CYCLE_1)
	s_or_b32 s19, s0, s19
	s_and_not1_b32 exec_lo, exec_lo, s19
	s_cbranch_execz .LBB561_664
.LBB561_661:                            ; =>This Inner Loop Header: Depth=1
	s_or_b32 s20, s20, exec_lo
	s_cmp_eq_u64 s[12:13], s[14:15]
	s_cbranch_scc0 .LBB561_659
; %bb.662:                              ;   in Loop: Header=BB561_661 Depth=1
	s_mov_b64 s[14:15], s[8:9]
                                        ; implicit-def: $vgpr59_vgpr60
                                        ; implicit-def: $vgpr61_vgpr62
	s_branch .LBB561_660
.LBB561_663:
                                        ; implicit-def: $sgpr0
                                        ; implicit-def: $vgpr165_vgpr166
                                        ; implicit-def: $vgpr163_vgpr164
                                        ; implicit-def: $vgpr161_vgpr162
                                        ; implicit-def: $vgpr159_vgpr160
                                        ; implicit-def: $vgpr157_vgpr158
                                        ; implicit-def: $vgpr155_vgpr156
                                        ; implicit-def: $vgpr153_vgpr154
                                        ; implicit-def: $vgpr151_vgpr152
                                        ; implicit-def: $vgpr149_vgpr150
                                        ; implicit-def: $vgpr147_vgpr148
                                        ; implicit-def: $vgpr145_vgpr146
                                        ; implicit-def: $vgpr143_vgpr144
                                        ; implicit-def: $vgpr141_vgpr142
                                        ; implicit-def: $vgpr139_vgpr140
                                        ; implicit-def: $vgpr137_vgpr138
                                        ; implicit-def: $vgpr135_vgpr136
                                        ; implicit-def: $vgpr133_vgpr134
                                        ; implicit-def: $vgpr131_vgpr132
                                        ; implicit-def: $vgpr129_vgpr130
                                        ; implicit-def: $vgpr127_vgpr128
                                        ; implicit-def: $vgpr125_vgpr126
                                        ; implicit-def: $vgpr123_vgpr124
                                        ; implicit-def: $vgpr121_vgpr122
                                        ; implicit-def: $vgpr119_vgpr120
                                        ; implicit-def: $vgpr117_vgpr118
                                        ; implicit-def: $vgpr113_vgpr114
                                        ; implicit-def: $vgpr115_vgpr116
                                        ; implicit-def: $vgpr111_vgpr112
                                        ; implicit-def: $vgpr181_vgpr182
                                        ; implicit-def: $vgpr167_vgpr168
                                        ; implicit-def: $vgpr169_vgpr170
                                        ; implicit-def: $vgpr171_vgpr172
                                        ; implicit-def: $vgpr173_vgpr174
                                        ; implicit-def: $vgpr175_vgpr176
                                        ; implicit-def: $vgpr177_vgpr178
                                        ; implicit-def: $vgpr179_vgpr180
                                        ; implicit-def: $vgpr183_vgpr184
                                        ; implicit-def: $vgpr185_vgpr186
                                        ; implicit-def: $vgpr187_vgpr188
                                        ; implicit-def: $vgpr189_vgpr190
                                        ; implicit-def: $vgpr191_vgpr192
                                        ; implicit-def: $vgpr193_vgpr194
                                        ; implicit-def: $vgpr57_vgpr58_vgpr59_vgpr60
                                        ; implicit-def: $vgpr61_vgpr62_vgpr63_vgpr64
                                        ; implicit-def: $vgpr65_vgpr66_vgpr67_vgpr68
                                        ; implicit-def: $vgpr69_vgpr70_vgpr71_vgpr72
                                        ; implicit-def: $vgpr73_vgpr74_vgpr75_vgpr76
                                        ; implicit-def: $vgpr77_vgpr78_vgpr79_vgpr80
                                        ; implicit-def: $vgpr81_vgpr82_vgpr83_vgpr84
                                        ; implicit-def: $vgpr85_vgpr86_vgpr87_vgpr88
                                        ; implicit-def: $vgpr89_vgpr90_vgpr91_vgpr92
                                        ; implicit-def: $vgpr93_vgpr94_vgpr95_vgpr96
                                        ; implicit-def: $vgpr97_vgpr98_vgpr99_vgpr100
                                        ; implicit-def: $vgpr101_vgpr102_vgpr103_vgpr104
                                        ; implicit-def: $vgpr105_vgpr106_vgpr107_vgpr108
	s_cbranch_execnz .LBB561_923
	s_branch .LBB561_1243
.LBB561_664:
	s_set_inst_prefetch_distance 0x2
	s_or_b32 exec_lo, exec_lo, s19
	v_cmp_gt_i64_e32 vcc_lo, s[8:9], v[63:64]
	s_mov_b32 s0, 0
	s_delay_alu instid0(SALU_CYCLE_1)
	v_mov_b32_e32 v112, s0
	v_cndmask_b32_e64 v111, 0, 1, vcc_lo
.LBB561_665:
	s_or_b32 exec_lo, exec_lo, s18
.LBB561_666:
	v_mul_lo_u32 v61, v6, s8
	v_mul_lo_u32 v62, v5, s9
	v_mad_u64_u32 v[59:60], null, v5, s8, 0
	v_cndmask_b32_e64 v65, 0, 1, s3
	v_dual_mov_b32 v116, v114 :: v_dual_mov_b32 v115, v113
	s_and_not1_b32 vcc_lo, exec_lo, s3
	s_delay_alu instid0(VALU_DEP_3) | instskip(NEXT) | instid1(VALU_DEP_1)
	v_add3_u32 v60, v60, v62, v61
	v_lshlrev_b64 v[59:60], 3, v[59:60]
	s_cbranch_vccnz .LBB561_675
; %bb.667:
	v_add_co_u32 v61, vcc_lo, s10, v57
	v_add_co_ci_u32_e32 v62, vcc_lo, s11, v58, vcc_lo
	s_delay_alu instid0(VALU_DEP_3) | instskip(NEXT) | instid1(VALU_DEP_4)
	v_add_co_u32 v57, vcc_lo, s10, v59
	v_add_co_ci_u32_e32 v58, vcc_lo, s11, v60, vcc_lo
	v_mov_b32_e32 v115, 1
	s_clause 0x1
	global_load_b64 v[63:64], v[61:62], off
	global_load_b64 v[66:67], v[57:58], off
	v_mov_b32_e32 v116, 0
	s_mov_b32 s3, exec_lo
	s_waitcnt vmcnt(0)
	v_cmpx_eq_u64_e64 v[63:64], v[66:67]
	s_cbranch_execz .LBB561_674
; %bb.668:
	v_add_co_u32 v57, vcc_lo, v57, 8
	v_add_co_ci_u32_e32 v58, vcc_lo, 0, v58, vcc_lo
	v_add_co_u32 v61, vcc_lo, v61, 8
	v_add_co_ci_u32_e32 v62, vcc_lo, 0, v62, vcc_lo
	s_add_u32 s12, s8, -1
	s_addc_u32 s13, s9, -1
	s_mov_b64 s[14:15], 0
	s_mov_b32 s18, 0
                                        ; implicit-def: $sgpr19
	s_set_inst_prefetch_distance 0x1
	s_branch .LBB561_671
	.p2align	6
.LBB561_669:                            ;   in Loop: Header=BB561_671 Depth=1
	global_load_b64 v[63:64], v[61:62], off
	global_load_b64 v[66:67], v[57:58], off
	v_add_co_u32 v57, vcc_lo, v57, 8
	v_add_co_ci_u32_e32 v58, vcc_lo, 0, v58, vcc_lo
	v_add_co_u32 v61, s0, v61, 8
	s_delay_alu instid0(VALU_DEP_1)
	v_add_co_ci_u32_e64 v62, s0, 0, v62, s0
	s_add_u32 s14, s14, 1
	s_addc_u32 s15, s15, 0
	s_and_not1_b32 s0, s19, exec_lo
	s_waitcnt vmcnt(0)
	v_cmp_ne_u64_e32 vcc_lo, v[63:64], v[66:67]
	s_and_b32 s19, vcc_lo, exec_lo
	s_delay_alu instid0(SALU_CYCLE_1)
	s_or_b32 s19, s0, s19
.LBB561_670:                            ;   in Loop: Header=BB561_671 Depth=1
	v_dual_mov_b32 v64, s15 :: v_dual_mov_b32 v63, s14
	s_and_b32 s0, exec_lo, s19
	s_delay_alu instid0(SALU_CYCLE_1) | instskip(NEXT) | instid1(SALU_CYCLE_1)
	s_or_b32 s18, s0, s18
	s_and_not1_b32 exec_lo, exec_lo, s18
	s_cbranch_execz .LBB561_673
.LBB561_671:                            ; =>This Inner Loop Header: Depth=1
	s_or_b32 s19, s19, exec_lo
	s_cmp_eq_u64 s[12:13], s[14:15]
	s_cbranch_scc0 .LBB561_669
; %bb.672:                              ;   in Loop: Header=BB561_671 Depth=1
	s_mov_b64 s[14:15], s[8:9]
                                        ; implicit-def: $vgpr57_vgpr58
                                        ; implicit-def: $vgpr61_vgpr62
	s_branch .LBB561_670
.LBB561_673:
	s_set_inst_prefetch_distance 0x2
	s_or_b32 exec_lo, exec_lo, s18
	v_cmp_gt_i64_e32 vcc_lo, s[8:9], v[63:64]
	s_mov_b32 s0, 0
	s_delay_alu instid0(SALU_CYCLE_1)
	v_mov_b32_e32 v116, s0
	v_cndmask_b32_e64 v115, 0, 1, vcc_lo
.LBB561_674:
	s_or_b32 exec_lo, exec_lo, s3
.LBB561_675:
	v_mul_lo_u32 v61, v12, s8
	v_mul_lo_u32 v62, v11, s9
	v_mad_u64_u32 v[57:58], null, v11, s8, 0
	v_cmp_ne_u32_e32 vcc_lo, 1, v65
	s_delay_alu instid0(VALU_DEP_2) | instskip(NEXT) | instid1(VALU_DEP_1)
	v_add3_u32 v58, v58, v62, v61
	v_lshlrev_b64 v[57:58], 3, v[57:58]
	s_cbranch_vccnz .LBB561_684
; %bb.676:
	v_add_co_u32 v61, vcc_lo, s10, v59
	v_add_co_ci_u32_e32 v62, vcc_lo, s11, v60, vcc_lo
	s_delay_alu instid0(VALU_DEP_3) | instskip(NEXT) | instid1(VALU_DEP_4)
	v_add_co_u32 v59, vcc_lo, s10, v57
	v_add_co_ci_u32_e32 v60, vcc_lo, s11, v58, vcc_lo
	v_mov_b32_e32 v113, 1
	s_clause 0x1
	global_load_b64 v[63:64], v[61:62], off
	global_load_b64 v[66:67], v[59:60], off
	v_mov_b32_e32 v114, 0
	s_mov_b32 s3, exec_lo
	s_waitcnt vmcnt(0)
	v_cmpx_eq_u64_e64 v[63:64], v[66:67]
	s_cbranch_execz .LBB561_683
; %bb.677:
	v_add_co_u32 v59, vcc_lo, v59, 8
	v_add_co_ci_u32_e32 v60, vcc_lo, 0, v60, vcc_lo
	v_add_co_u32 v61, vcc_lo, v61, 8
	v_add_co_ci_u32_e32 v62, vcc_lo, 0, v62, vcc_lo
	s_add_u32 s12, s8, -1
	s_addc_u32 s13, s9, -1
	s_mov_b64 s[14:15], 0
	s_mov_b32 s18, 0
                                        ; implicit-def: $sgpr19
	s_set_inst_prefetch_distance 0x1
	s_branch .LBB561_680
	.p2align	6
.LBB561_678:                            ;   in Loop: Header=BB561_680 Depth=1
	global_load_b64 v[63:64], v[61:62], off
	global_load_b64 v[66:67], v[59:60], off
	v_add_co_u32 v59, vcc_lo, v59, 8
	v_add_co_ci_u32_e32 v60, vcc_lo, 0, v60, vcc_lo
	v_add_co_u32 v61, s0, v61, 8
	s_delay_alu instid0(VALU_DEP_1)
	v_add_co_ci_u32_e64 v62, s0, 0, v62, s0
	s_add_u32 s14, s14, 1
	s_addc_u32 s15, s15, 0
	s_and_not1_b32 s0, s19, exec_lo
	s_waitcnt vmcnt(0)
	v_cmp_ne_u64_e32 vcc_lo, v[63:64], v[66:67]
	s_and_b32 s19, vcc_lo, exec_lo
	s_delay_alu instid0(SALU_CYCLE_1)
	s_or_b32 s19, s0, s19
.LBB561_679:                            ;   in Loop: Header=BB561_680 Depth=1
	v_dual_mov_b32 v64, s15 :: v_dual_mov_b32 v63, s14
	s_and_b32 s0, exec_lo, s19
	s_delay_alu instid0(SALU_CYCLE_1) | instskip(NEXT) | instid1(SALU_CYCLE_1)
	s_or_b32 s18, s0, s18
	s_and_not1_b32 exec_lo, exec_lo, s18
	s_cbranch_execz .LBB561_682
.LBB561_680:                            ; =>This Inner Loop Header: Depth=1
	s_or_b32 s19, s19, exec_lo
	s_cmp_eq_u64 s[12:13], s[14:15]
	s_cbranch_scc0 .LBB561_678
; %bb.681:                              ;   in Loop: Header=BB561_680 Depth=1
	s_mov_b64 s[14:15], s[8:9]
                                        ; implicit-def: $vgpr59_vgpr60
                                        ; implicit-def: $vgpr61_vgpr62
	s_branch .LBB561_679
.LBB561_682:
	s_set_inst_prefetch_distance 0x2
	s_or_b32 exec_lo, exec_lo, s18
	v_cmp_gt_i64_e32 vcc_lo, s[8:9], v[63:64]
	s_mov_b32 s0, 0
	s_delay_alu instid0(SALU_CYCLE_1)
	v_mov_b32_e32 v114, s0
	v_cndmask_b32_e64 v113, 0, 1, vcc_lo
.LBB561_683:
	s_or_b32 exec_lo, exec_lo, s3
.LBB561_684:
	v_mul_lo_u32 v61, v10, s8
	v_mul_lo_u32 v62, v9, s9
	v_mad_u64_u32 v[59:60], null, v9, s8, 0
	v_mov_b32_e32 v119, 0
	v_mov_b32_e32 v120, 0
	v_cmp_ne_u32_e32 vcc_lo, 1, v65
	s_delay_alu instid0(VALU_DEP_2) | instskip(SKIP_1) | instid1(VALU_DEP_1)
	v_dual_mov_b32 v117, v119 :: v_dual_mov_b32 v118, v120
	v_add3_u32 v60, v60, v62, v61
	v_lshlrev_b64 v[59:60], 3, v[59:60]
	s_cbranch_vccnz .LBB561_693
; %bb.685:
	v_add_co_u32 v61, vcc_lo, s10, v57
	v_add_co_ci_u32_e32 v62, vcc_lo, s11, v58, vcc_lo
	s_delay_alu instid0(VALU_DEP_3) | instskip(NEXT) | instid1(VALU_DEP_4)
	v_add_co_u32 v57, vcc_lo, s10, v59
	v_add_co_ci_u32_e32 v58, vcc_lo, s11, v60, vcc_lo
	v_mov_b32_e32 v117, 1
	s_clause 0x1
	global_load_b64 v[63:64], v[61:62], off
	global_load_b64 v[66:67], v[57:58], off
	v_mov_b32_e32 v118, 0
	s_mov_b32 s3, exec_lo
	s_waitcnt vmcnt(0)
	v_cmpx_eq_u64_e64 v[63:64], v[66:67]
	s_cbranch_execz .LBB561_692
; %bb.686:
	v_add_co_u32 v57, vcc_lo, v57, 8
	v_add_co_ci_u32_e32 v58, vcc_lo, 0, v58, vcc_lo
	v_add_co_u32 v61, vcc_lo, v61, 8
	v_add_co_ci_u32_e32 v62, vcc_lo, 0, v62, vcc_lo
	s_add_u32 s12, s8, -1
	s_addc_u32 s13, s9, -1
	s_mov_b64 s[14:15], 0
	s_mov_b32 s18, 0
                                        ; implicit-def: $sgpr19
	s_set_inst_prefetch_distance 0x1
	s_branch .LBB561_689
	.p2align	6
.LBB561_687:                            ;   in Loop: Header=BB561_689 Depth=1
	global_load_b64 v[63:64], v[61:62], off
	global_load_b64 v[66:67], v[57:58], off
	v_add_co_u32 v57, vcc_lo, v57, 8
	v_add_co_ci_u32_e32 v58, vcc_lo, 0, v58, vcc_lo
	v_add_co_u32 v61, s0, v61, 8
	s_delay_alu instid0(VALU_DEP_1)
	v_add_co_ci_u32_e64 v62, s0, 0, v62, s0
	s_add_u32 s14, s14, 1
	s_addc_u32 s15, s15, 0
	s_and_not1_b32 s0, s19, exec_lo
	s_waitcnt vmcnt(0)
	v_cmp_ne_u64_e32 vcc_lo, v[63:64], v[66:67]
	s_and_b32 s19, vcc_lo, exec_lo
	s_delay_alu instid0(SALU_CYCLE_1)
	s_or_b32 s19, s0, s19
.LBB561_688:                            ;   in Loop: Header=BB561_689 Depth=1
	v_dual_mov_b32 v64, s15 :: v_dual_mov_b32 v63, s14
	s_and_b32 s0, exec_lo, s19
	s_delay_alu instid0(SALU_CYCLE_1) | instskip(NEXT) | instid1(SALU_CYCLE_1)
	s_or_b32 s18, s0, s18
	s_and_not1_b32 exec_lo, exec_lo, s18
	s_cbranch_execz .LBB561_691
.LBB561_689:                            ; =>This Inner Loop Header: Depth=1
	s_or_b32 s19, s19, exec_lo
	s_cmp_eq_u64 s[12:13], s[14:15]
	s_cbranch_scc0 .LBB561_687
; %bb.690:                              ;   in Loop: Header=BB561_689 Depth=1
	s_mov_b64 s[14:15], s[8:9]
                                        ; implicit-def: $vgpr57_vgpr58
                                        ; implicit-def: $vgpr61_vgpr62
	s_branch .LBB561_688
.LBB561_691:
	s_set_inst_prefetch_distance 0x2
	s_or_b32 exec_lo, exec_lo, s18
	v_cmp_gt_i64_e32 vcc_lo, s[8:9], v[63:64]
	s_mov_b32 s0, 0
	s_delay_alu instid0(SALU_CYCLE_1)
	v_mov_b32_e32 v118, s0
	v_cndmask_b32_e64 v117, 0, 1, vcc_lo
.LBB561_692:
	s_or_b32 exec_lo, exec_lo, s3
.LBB561_693:
	v_mul_lo_u32 v61, v56, s8
	v_mul_lo_u32 v62, v55, s9
	v_mad_u64_u32 v[57:58], null, v55, s8, 0
	v_cmp_ne_u32_e32 vcc_lo, 1, v65
	s_delay_alu instid0(VALU_DEP_2) | instskip(NEXT) | instid1(VALU_DEP_1)
	v_add3_u32 v58, v58, v62, v61
	v_lshlrev_b64 v[57:58], 3, v[57:58]
	s_cbranch_vccnz .LBB561_702
; %bb.694:
	v_add_co_u32 v61, vcc_lo, s10, v59
	v_add_co_ci_u32_e32 v62, vcc_lo, s11, v60, vcc_lo
	s_delay_alu instid0(VALU_DEP_3) | instskip(NEXT) | instid1(VALU_DEP_4)
	v_add_co_u32 v59, vcc_lo, s10, v57
	v_add_co_ci_u32_e32 v60, vcc_lo, s11, v58, vcc_lo
	v_mov_b32_e32 v119, 1
	s_clause 0x1
	global_load_b64 v[63:64], v[61:62], off
	global_load_b64 v[66:67], v[59:60], off
	v_mov_b32_e32 v120, 0
	s_mov_b32 s3, exec_lo
	s_waitcnt vmcnt(0)
	v_cmpx_eq_u64_e64 v[63:64], v[66:67]
	s_cbranch_execz .LBB561_701
; %bb.695:
	v_add_co_u32 v59, vcc_lo, v59, 8
	v_add_co_ci_u32_e32 v60, vcc_lo, 0, v60, vcc_lo
	v_add_co_u32 v61, vcc_lo, v61, 8
	v_add_co_ci_u32_e32 v62, vcc_lo, 0, v62, vcc_lo
	s_add_u32 s12, s8, -1
	s_addc_u32 s13, s9, -1
	s_mov_b64 s[14:15], 0
	s_mov_b32 s18, 0
                                        ; implicit-def: $sgpr19
	s_set_inst_prefetch_distance 0x1
	s_branch .LBB561_698
	.p2align	6
.LBB561_696:                            ;   in Loop: Header=BB561_698 Depth=1
	global_load_b64 v[63:64], v[61:62], off
	global_load_b64 v[66:67], v[59:60], off
	v_add_co_u32 v59, vcc_lo, v59, 8
	v_add_co_ci_u32_e32 v60, vcc_lo, 0, v60, vcc_lo
	v_add_co_u32 v61, s0, v61, 8
	s_delay_alu instid0(VALU_DEP_1)
	v_add_co_ci_u32_e64 v62, s0, 0, v62, s0
	s_add_u32 s14, s14, 1
	s_addc_u32 s15, s15, 0
	s_and_not1_b32 s0, s19, exec_lo
	s_waitcnt vmcnt(0)
	v_cmp_ne_u64_e32 vcc_lo, v[63:64], v[66:67]
	s_and_b32 s19, vcc_lo, exec_lo
	s_delay_alu instid0(SALU_CYCLE_1)
	s_or_b32 s19, s0, s19
.LBB561_697:                            ;   in Loop: Header=BB561_698 Depth=1
	v_dual_mov_b32 v64, s15 :: v_dual_mov_b32 v63, s14
	s_and_b32 s0, exec_lo, s19
	s_delay_alu instid0(SALU_CYCLE_1) | instskip(NEXT) | instid1(SALU_CYCLE_1)
	s_or_b32 s18, s0, s18
	s_and_not1_b32 exec_lo, exec_lo, s18
	s_cbranch_execz .LBB561_700
.LBB561_698:                            ; =>This Inner Loop Header: Depth=1
	s_or_b32 s19, s19, exec_lo
	s_cmp_eq_u64 s[12:13], s[14:15]
	s_cbranch_scc0 .LBB561_696
; %bb.699:                              ;   in Loop: Header=BB561_698 Depth=1
	s_mov_b64 s[14:15], s[8:9]
                                        ; implicit-def: $vgpr59_vgpr60
                                        ; implicit-def: $vgpr61_vgpr62
	s_branch .LBB561_697
.LBB561_700:
	s_set_inst_prefetch_distance 0x2
	s_or_b32 exec_lo, exec_lo, s18
	v_cmp_gt_i64_e32 vcc_lo, s[8:9], v[63:64]
	s_mov_b32 s0, 0
	s_delay_alu instid0(SALU_CYCLE_1)
	v_mov_b32_e32 v120, s0
	v_cndmask_b32_e64 v119, 0, 1, vcc_lo
.LBB561_701:
	s_or_b32 exec_lo, exec_lo, s3
.LBB561_702:
	v_mul_lo_u32 v61, v54, s8
	v_mul_lo_u32 v62, v53, s9
	v_mad_u64_u32 v[59:60], null, v53, s8, 0
	v_mov_b32_e32 v123, 0
	v_mov_b32_e32 v124, 0
	v_cmp_ne_u32_e32 vcc_lo, 1, v65
	s_delay_alu instid0(VALU_DEP_2) | instskip(SKIP_1) | instid1(VALU_DEP_1)
	v_dual_mov_b32 v121, v123 :: v_dual_mov_b32 v122, v124
	v_add3_u32 v60, v60, v62, v61
	v_lshlrev_b64 v[59:60], 3, v[59:60]
	s_cbranch_vccnz .LBB561_711
; %bb.703:
	v_add_co_u32 v61, vcc_lo, s10, v57
	v_add_co_ci_u32_e32 v62, vcc_lo, s11, v58, vcc_lo
	s_delay_alu instid0(VALU_DEP_3) | instskip(NEXT) | instid1(VALU_DEP_4)
	v_add_co_u32 v57, vcc_lo, s10, v59
	v_add_co_ci_u32_e32 v58, vcc_lo, s11, v60, vcc_lo
	v_mov_b32_e32 v121, 1
	s_clause 0x1
	global_load_b64 v[63:64], v[61:62], off
	global_load_b64 v[66:67], v[57:58], off
	v_mov_b32_e32 v122, 0
	s_mov_b32 s3, exec_lo
	s_waitcnt vmcnt(0)
	v_cmpx_eq_u64_e64 v[63:64], v[66:67]
	s_cbranch_execz .LBB561_710
; %bb.704:
	v_add_co_u32 v57, vcc_lo, v57, 8
	v_add_co_ci_u32_e32 v58, vcc_lo, 0, v58, vcc_lo
	v_add_co_u32 v61, vcc_lo, v61, 8
	v_add_co_ci_u32_e32 v62, vcc_lo, 0, v62, vcc_lo
	s_add_u32 s12, s8, -1
	s_addc_u32 s13, s9, -1
	s_mov_b64 s[14:15], 0
	s_mov_b32 s18, 0
                                        ; implicit-def: $sgpr19
	s_set_inst_prefetch_distance 0x1
	s_branch .LBB561_707
	.p2align	6
.LBB561_705:                            ;   in Loop: Header=BB561_707 Depth=1
	global_load_b64 v[63:64], v[61:62], off
	global_load_b64 v[66:67], v[57:58], off
	v_add_co_u32 v57, vcc_lo, v57, 8
	v_add_co_ci_u32_e32 v58, vcc_lo, 0, v58, vcc_lo
	v_add_co_u32 v61, s0, v61, 8
	s_delay_alu instid0(VALU_DEP_1)
	v_add_co_ci_u32_e64 v62, s0, 0, v62, s0
	s_add_u32 s14, s14, 1
	s_addc_u32 s15, s15, 0
	s_and_not1_b32 s0, s19, exec_lo
	s_waitcnt vmcnt(0)
	v_cmp_ne_u64_e32 vcc_lo, v[63:64], v[66:67]
	s_and_b32 s19, vcc_lo, exec_lo
	s_delay_alu instid0(SALU_CYCLE_1)
	s_or_b32 s19, s0, s19
.LBB561_706:                            ;   in Loop: Header=BB561_707 Depth=1
	v_dual_mov_b32 v64, s15 :: v_dual_mov_b32 v63, s14
	s_and_b32 s0, exec_lo, s19
	s_delay_alu instid0(SALU_CYCLE_1) | instskip(NEXT) | instid1(SALU_CYCLE_1)
	s_or_b32 s18, s0, s18
	s_and_not1_b32 exec_lo, exec_lo, s18
	s_cbranch_execz .LBB561_709
.LBB561_707:                            ; =>This Inner Loop Header: Depth=1
	s_or_b32 s19, s19, exec_lo
	s_cmp_eq_u64 s[12:13], s[14:15]
	s_cbranch_scc0 .LBB561_705
; %bb.708:                              ;   in Loop: Header=BB561_707 Depth=1
	s_mov_b64 s[14:15], s[8:9]
                                        ; implicit-def: $vgpr57_vgpr58
                                        ; implicit-def: $vgpr61_vgpr62
	s_branch .LBB561_706
.LBB561_709:
	s_set_inst_prefetch_distance 0x2
	s_or_b32 exec_lo, exec_lo, s18
	v_cmp_gt_i64_e32 vcc_lo, s[8:9], v[63:64]
	s_mov_b32 s0, 0
	s_delay_alu instid0(SALU_CYCLE_1)
	v_mov_b32_e32 v122, s0
	v_cndmask_b32_e64 v121, 0, 1, vcc_lo
.LBB561_710:
	s_or_b32 exec_lo, exec_lo, s3
.LBB561_711:
	v_mul_lo_u32 v61, v52, s8
	v_mul_lo_u32 v62, v51, s9
	v_mad_u64_u32 v[57:58], null, v51, s8, 0
	v_cmp_ne_u32_e32 vcc_lo, 1, v65
	s_delay_alu instid0(VALU_DEP_2) | instskip(NEXT) | instid1(VALU_DEP_1)
	v_add3_u32 v58, v58, v62, v61
	v_lshlrev_b64 v[57:58], 3, v[57:58]
	s_cbranch_vccnz .LBB561_720
; %bb.712:
	v_add_co_u32 v61, vcc_lo, s10, v59
	v_add_co_ci_u32_e32 v62, vcc_lo, s11, v60, vcc_lo
	s_delay_alu instid0(VALU_DEP_3) | instskip(NEXT) | instid1(VALU_DEP_4)
	v_add_co_u32 v59, vcc_lo, s10, v57
	v_add_co_ci_u32_e32 v60, vcc_lo, s11, v58, vcc_lo
	v_mov_b32_e32 v123, 1
	s_clause 0x1
	global_load_b64 v[63:64], v[61:62], off
	global_load_b64 v[66:67], v[59:60], off
	v_mov_b32_e32 v124, 0
	s_mov_b32 s3, exec_lo
	s_waitcnt vmcnt(0)
	v_cmpx_eq_u64_e64 v[63:64], v[66:67]
	s_cbranch_execz .LBB561_719
; %bb.713:
	v_add_co_u32 v59, vcc_lo, v59, 8
	v_add_co_ci_u32_e32 v60, vcc_lo, 0, v60, vcc_lo
	v_add_co_u32 v61, vcc_lo, v61, 8
	v_add_co_ci_u32_e32 v62, vcc_lo, 0, v62, vcc_lo
	s_add_u32 s12, s8, -1
	s_addc_u32 s13, s9, -1
	s_mov_b64 s[14:15], 0
	s_mov_b32 s18, 0
                                        ; implicit-def: $sgpr19
	s_set_inst_prefetch_distance 0x1
	s_branch .LBB561_716
	.p2align	6
.LBB561_714:                            ;   in Loop: Header=BB561_716 Depth=1
	global_load_b64 v[63:64], v[61:62], off
	global_load_b64 v[66:67], v[59:60], off
	v_add_co_u32 v59, vcc_lo, v59, 8
	v_add_co_ci_u32_e32 v60, vcc_lo, 0, v60, vcc_lo
	v_add_co_u32 v61, s0, v61, 8
	s_delay_alu instid0(VALU_DEP_1)
	v_add_co_ci_u32_e64 v62, s0, 0, v62, s0
	s_add_u32 s14, s14, 1
	s_addc_u32 s15, s15, 0
	s_and_not1_b32 s0, s19, exec_lo
	s_waitcnt vmcnt(0)
	v_cmp_ne_u64_e32 vcc_lo, v[63:64], v[66:67]
	s_and_b32 s19, vcc_lo, exec_lo
	s_delay_alu instid0(SALU_CYCLE_1)
	s_or_b32 s19, s0, s19
.LBB561_715:                            ;   in Loop: Header=BB561_716 Depth=1
	v_dual_mov_b32 v64, s15 :: v_dual_mov_b32 v63, s14
	s_and_b32 s0, exec_lo, s19
	s_delay_alu instid0(SALU_CYCLE_1) | instskip(NEXT) | instid1(SALU_CYCLE_1)
	s_or_b32 s18, s0, s18
	s_and_not1_b32 exec_lo, exec_lo, s18
	s_cbranch_execz .LBB561_718
.LBB561_716:                            ; =>This Inner Loop Header: Depth=1
	s_or_b32 s19, s19, exec_lo
	s_cmp_eq_u64 s[12:13], s[14:15]
	s_cbranch_scc0 .LBB561_714
; %bb.717:                              ;   in Loop: Header=BB561_716 Depth=1
	s_mov_b64 s[14:15], s[8:9]
                                        ; implicit-def: $vgpr59_vgpr60
                                        ; implicit-def: $vgpr61_vgpr62
	s_branch .LBB561_715
.LBB561_718:
	s_set_inst_prefetch_distance 0x2
	s_or_b32 exec_lo, exec_lo, s18
	v_cmp_gt_i64_e32 vcc_lo, s[8:9], v[63:64]
	s_mov_b32 s0, 0
	s_delay_alu instid0(SALU_CYCLE_1)
	v_mov_b32_e32 v124, s0
	v_cndmask_b32_e64 v123, 0, 1, vcc_lo
.LBB561_719:
	s_or_b32 exec_lo, exec_lo, s3
.LBB561_720:
	v_mul_lo_u32 v61, v50, s8
	v_mul_lo_u32 v62, v49, s9
	v_mad_u64_u32 v[59:60], null, v49, s8, 0
	v_mov_b32_e32 v127, 0
	v_mov_b32_e32 v128, 0
	v_cmp_ne_u32_e32 vcc_lo, 1, v65
	s_delay_alu instid0(VALU_DEP_2) | instskip(SKIP_1) | instid1(VALU_DEP_1)
	v_dual_mov_b32 v125, v127 :: v_dual_mov_b32 v126, v128
	v_add3_u32 v60, v60, v62, v61
	v_lshlrev_b64 v[59:60], 3, v[59:60]
	s_cbranch_vccnz .LBB561_729
; %bb.721:
	v_add_co_u32 v61, vcc_lo, s10, v57
	v_add_co_ci_u32_e32 v62, vcc_lo, s11, v58, vcc_lo
	s_delay_alu instid0(VALU_DEP_3) | instskip(NEXT) | instid1(VALU_DEP_4)
	v_add_co_u32 v57, vcc_lo, s10, v59
	v_add_co_ci_u32_e32 v58, vcc_lo, s11, v60, vcc_lo
	v_mov_b32_e32 v125, 1
	s_clause 0x1
	global_load_b64 v[63:64], v[61:62], off
	global_load_b64 v[66:67], v[57:58], off
	v_mov_b32_e32 v126, 0
	s_mov_b32 s3, exec_lo
	s_waitcnt vmcnt(0)
	v_cmpx_eq_u64_e64 v[63:64], v[66:67]
	s_cbranch_execz .LBB561_728
; %bb.722:
	v_add_co_u32 v57, vcc_lo, v57, 8
	v_add_co_ci_u32_e32 v58, vcc_lo, 0, v58, vcc_lo
	v_add_co_u32 v61, vcc_lo, v61, 8
	v_add_co_ci_u32_e32 v62, vcc_lo, 0, v62, vcc_lo
	s_add_u32 s12, s8, -1
	s_addc_u32 s13, s9, -1
	s_mov_b64 s[14:15], 0
	s_mov_b32 s18, 0
                                        ; implicit-def: $sgpr19
	s_set_inst_prefetch_distance 0x1
	s_branch .LBB561_725
	.p2align	6
.LBB561_723:                            ;   in Loop: Header=BB561_725 Depth=1
	global_load_b64 v[63:64], v[61:62], off
	global_load_b64 v[66:67], v[57:58], off
	v_add_co_u32 v57, vcc_lo, v57, 8
	v_add_co_ci_u32_e32 v58, vcc_lo, 0, v58, vcc_lo
	v_add_co_u32 v61, s0, v61, 8
	s_delay_alu instid0(VALU_DEP_1)
	v_add_co_ci_u32_e64 v62, s0, 0, v62, s0
	s_add_u32 s14, s14, 1
	s_addc_u32 s15, s15, 0
	s_and_not1_b32 s0, s19, exec_lo
	s_waitcnt vmcnt(0)
	v_cmp_ne_u64_e32 vcc_lo, v[63:64], v[66:67]
	s_and_b32 s19, vcc_lo, exec_lo
	s_delay_alu instid0(SALU_CYCLE_1)
	s_or_b32 s19, s0, s19
.LBB561_724:                            ;   in Loop: Header=BB561_725 Depth=1
	v_dual_mov_b32 v64, s15 :: v_dual_mov_b32 v63, s14
	s_and_b32 s0, exec_lo, s19
	s_delay_alu instid0(SALU_CYCLE_1) | instskip(NEXT) | instid1(SALU_CYCLE_1)
	s_or_b32 s18, s0, s18
	s_and_not1_b32 exec_lo, exec_lo, s18
	s_cbranch_execz .LBB561_727
.LBB561_725:                            ; =>This Inner Loop Header: Depth=1
	s_or_b32 s19, s19, exec_lo
	s_cmp_eq_u64 s[12:13], s[14:15]
	s_cbranch_scc0 .LBB561_723
; %bb.726:                              ;   in Loop: Header=BB561_725 Depth=1
	s_mov_b64 s[14:15], s[8:9]
                                        ; implicit-def: $vgpr57_vgpr58
                                        ; implicit-def: $vgpr61_vgpr62
	s_branch .LBB561_724
.LBB561_727:
	s_set_inst_prefetch_distance 0x2
	s_or_b32 exec_lo, exec_lo, s18
	v_cmp_gt_i64_e32 vcc_lo, s[8:9], v[63:64]
	s_mov_b32 s0, 0
	s_delay_alu instid0(SALU_CYCLE_1)
	v_mov_b32_e32 v126, s0
	v_cndmask_b32_e64 v125, 0, 1, vcc_lo
.LBB561_728:
	s_or_b32 exec_lo, exec_lo, s3
.LBB561_729:
	v_mul_lo_u32 v61, v48, s8
	v_mul_lo_u32 v62, v47, s9
	v_mad_u64_u32 v[57:58], null, v47, s8, 0
	v_cmp_ne_u32_e32 vcc_lo, 1, v65
	s_delay_alu instid0(VALU_DEP_2) | instskip(NEXT) | instid1(VALU_DEP_1)
	v_add3_u32 v58, v58, v62, v61
	v_lshlrev_b64 v[57:58], 3, v[57:58]
	s_cbranch_vccnz .LBB561_738
; %bb.730:
	v_add_co_u32 v61, vcc_lo, s10, v59
	v_add_co_ci_u32_e32 v62, vcc_lo, s11, v60, vcc_lo
	s_delay_alu instid0(VALU_DEP_3) | instskip(NEXT) | instid1(VALU_DEP_4)
	v_add_co_u32 v59, vcc_lo, s10, v57
	v_add_co_ci_u32_e32 v60, vcc_lo, s11, v58, vcc_lo
	v_mov_b32_e32 v127, 1
	s_clause 0x1
	global_load_b64 v[63:64], v[61:62], off
	global_load_b64 v[66:67], v[59:60], off
	v_mov_b32_e32 v128, 0
	s_mov_b32 s3, exec_lo
	s_waitcnt vmcnt(0)
	v_cmpx_eq_u64_e64 v[63:64], v[66:67]
	s_cbranch_execz .LBB561_737
; %bb.731:
	v_add_co_u32 v59, vcc_lo, v59, 8
	v_add_co_ci_u32_e32 v60, vcc_lo, 0, v60, vcc_lo
	v_add_co_u32 v61, vcc_lo, v61, 8
	v_add_co_ci_u32_e32 v62, vcc_lo, 0, v62, vcc_lo
	s_add_u32 s12, s8, -1
	s_addc_u32 s13, s9, -1
	s_mov_b64 s[14:15], 0
	s_mov_b32 s18, 0
                                        ; implicit-def: $sgpr19
	s_set_inst_prefetch_distance 0x1
	s_branch .LBB561_734
	.p2align	6
.LBB561_732:                            ;   in Loop: Header=BB561_734 Depth=1
	global_load_b64 v[63:64], v[61:62], off
	global_load_b64 v[66:67], v[59:60], off
	v_add_co_u32 v59, vcc_lo, v59, 8
	v_add_co_ci_u32_e32 v60, vcc_lo, 0, v60, vcc_lo
	v_add_co_u32 v61, s0, v61, 8
	s_delay_alu instid0(VALU_DEP_1)
	v_add_co_ci_u32_e64 v62, s0, 0, v62, s0
	s_add_u32 s14, s14, 1
	s_addc_u32 s15, s15, 0
	s_and_not1_b32 s0, s19, exec_lo
	s_waitcnt vmcnt(0)
	v_cmp_ne_u64_e32 vcc_lo, v[63:64], v[66:67]
	s_and_b32 s19, vcc_lo, exec_lo
	s_delay_alu instid0(SALU_CYCLE_1)
	s_or_b32 s19, s0, s19
.LBB561_733:                            ;   in Loop: Header=BB561_734 Depth=1
	v_dual_mov_b32 v64, s15 :: v_dual_mov_b32 v63, s14
	s_and_b32 s0, exec_lo, s19
	s_delay_alu instid0(SALU_CYCLE_1) | instskip(NEXT) | instid1(SALU_CYCLE_1)
	s_or_b32 s18, s0, s18
	s_and_not1_b32 exec_lo, exec_lo, s18
	s_cbranch_execz .LBB561_736
.LBB561_734:                            ; =>This Inner Loop Header: Depth=1
	s_or_b32 s19, s19, exec_lo
	s_cmp_eq_u64 s[12:13], s[14:15]
	s_cbranch_scc0 .LBB561_732
; %bb.735:                              ;   in Loop: Header=BB561_734 Depth=1
	s_mov_b64 s[14:15], s[8:9]
                                        ; implicit-def: $vgpr59_vgpr60
                                        ; implicit-def: $vgpr61_vgpr62
	s_branch .LBB561_733
.LBB561_736:
	s_set_inst_prefetch_distance 0x2
	s_or_b32 exec_lo, exec_lo, s18
	v_cmp_gt_i64_e32 vcc_lo, s[8:9], v[63:64]
	s_mov_b32 s0, 0
	s_delay_alu instid0(SALU_CYCLE_1)
	v_mov_b32_e32 v128, s0
	v_cndmask_b32_e64 v127, 0, 1, vcc_lo
.LBB561_737:
	s_or_b32 exec_lo, exec_lo, s3
.LBB561_738:
	v_mul_lo_u32 v61, v46, s8
	v_mul_lo_u32 v62, v45, s9
	v_mad_u64_u32 v[59:60], null, v45, s8, 0
	v_mov_b32_e32 v131, 0
	v_mov_b32_e32 v132, 0
	v_cmp_ne_u32_e32 vcc_lo, 1, v65
	s_delay_alu instid0(VALU_DEP_2) | instskip(SKIP_1) | instid1(VALU_DEP_1)
	v_dual_mov_b32 v129, v131 :: v_dual_mov_b32 v130, v132
	v_add3_u32 v60, v60, v62, v61
	v_lshlrev_b64 v[59:60], 3, v[59:60]
	s_cbranch_vccnz .LBB561_747
; %bb.739:
	v_add_co_u32 v61, vcc_lo, s10, v57
	v_add_co_ci_u32_e32 v62, vcc_lo, s11, v58, vcc_lo
	s_delay_alu instid0(VALU_DEP_3) | instskip(NEXT) | instid1(VALU_DEP_4)
	v_add_co_u32 v57, vcc_lo, s10, v59
	v_add_co_ci_u32_e32 v58, vcc_lo, s11, v60, vcc_lo
	v_mov_b32_e32 v129, 1
	s_clause 0x1
	global_load_b64 v[63:64], v[61:62], off
	global_load_b64 v[66:67], v[57:58], off
	v_mov_b32_e32 v130, 0
	s_mov_b32 s3, exec_lo
	s_waitcnt vmcnt(0)
	v_cmpx_eq_u64_e64 v[63:64], v[66:67]
	s_cbranch_execz .LBB561_746
; %bb.740:
	v_add_co_u32 v57, vcc_lo, v57, 8
	v_add_co_ci_u32_e32 v58, vcc_lo, 0, v58, vcc_lo
	v_add_co_u32 v61, vcc_lo, v61, 8
	v_add_co_ci_u32_e32 v62, vcc_lo, 0, v62, vcc_lo
	s_add_u32 s12, s8, -1
	s_addc_u32 s13, s9, -1
	s_mov_b64 s[14:15], 0
	s_mov_b32 s18, 0
                                        ; implicit-def: $sgpr19
	s_set_inst_prefetch_distance 0x1
	s_branch .LBB561_743
	.p2align	6
.LBB561_741:                            ;   in Loop: Header=BB561_743 Depth=1
	global_load_b64 v[63:64], v[61:62], off
	global_load_b64 v[66:67], v[57:58], off
	v_add_co_u32 v57, vcc_lo, v57, 8
	v_add_co_ci_u32_e32 v58, vcc_lo, 0, v58, vcc_lo
	v_add_co_u32 v61, s0, v61, 8
	s_delay_alu instid0(VALU_DEP_1)
	v_add_co_ci_u32_e64 v62, s0, 0, v62, s0
	s_add_u32 s14, s14, 1
	s_addc_u32 s15, s15, 0
	s_and_not1_b32 s0, s19, exec_lo
	s_waitcnt vmcnt(0)
	v_cmp_ne_u64_e32 vcc_lo, v[63:64], v[66:67]
	s_and_b32 s19, vcc_lo, exec_lo
	s_delay_alu instid0(SALU_CYCLE_1)
	s_or_b32 s19, s0, s19
.LBB561_742:                            ;   in Loop: Header=BB561_743 Depth=1
	v_dual_mov_b32 v64, s15 :: v_dual_mov_b32 v63, s14
	s_and_b32 s0, exec_lo, s19
	s_delay_alu instid0(SALU_CYCLE_1) | instskip(NEXT) | instid1(SALU_CYCLE_1)
	s_or_b32 s18, s0, s18
	s_and_not1_b32 exec_lo, exec_lo, s18
	s_cbranch_execz .LBB561_745
.LBB561_743:                            ; =>This Inner Loop Header: Depth=1
	s_or_b32 s19, s19, exec_lo
	s_cmp_eq_u64 s[12:13], s[14:15]
	s_cbranch_scc0 .LBB561_741
; %bb.744:                              ;   in Loop: Header=BB561_743 Depth=1
	s_mov_b64 s[14:15], s[8:9]
                                        ; implicit-def: $vgpr57_vgpr58
                                        ; implicit-def: $vgpr61_vgpr62
	s_branch .LBB561_742
.LBB561_745:
	s_set_inst_prefetch_distance 0x2
	s_or_b32 exec_lo, exec_lo, s18
	v_cmp_gt_i64_e32 vcc_lo, s[8:9], v[63:64]
	s_mov_b32 s0, 0
	s_delay_alu instid0(SALU_CYCLE_1)
	v_mov_b32_e32 v130, s0
	v_cndmask_b32_e64 v129, 0, 1, vcc_lo
.LBB561_746:
	s_or_b32 exec_lo, exec_lo, s3
.LBB561_747:
	v_mul_lo_u32 v61, v44, s8
	v_mul_lo_u32 v62, v43, s9
	v_mad_u64_u32 v[57:58], null, v43, s8, 0
	v_cmp_ne_u32_e32 vcc_lo, 1, v65
	s_delay_alu instid0(VALU_DEP_2) | instskip(NEXT) | instid1(VALU_DEP_1)
	v_add3_u32 v58, v58, v62, v61
	v_lshlrev_b64 v[57:58], 3, v[57:58]
	s_cbranch_vccnz .LBB561_756
; %bb.748:
	v_add_co_u32 v61, vcc_lo, s10, v59
	v_add_co_ci_u32_e32 v62, vcc_lo, s11, v60, vcc_lo
	s_delay_alu instid0(VALU_DEP_3) | instskip(NEXT) | instid1(VALU_DEP_4)
	v_add_co_u32 v59, vcc_lo, s10, v57
	v_add_co_ci_u32_e32 v60, vcc_lo, s11, v58, vcc_lo
	v_mov_b32_e32 v131, 1
	s_clause 0x1
	global_load_b64 v[63:64], v[61:62], off
	global_load_b64 v[66:67], v[59:60], off
	v_mov_b32_e32 v132, 0
	s_mov_b32 s3, exec_lo
	s_waitcnt vmcnt(0)
	v_cmpx_eq_u64_e64 v[63:64], v[66:67]
	s_cbranch_execz .LBB561_755
; %bb.749:
	v_add_co_u32 v59, vcc_lo, v59, 8
	v_add_co_ci_u32_e32 v60, vcc_lo, 0, v60, vcc_lo
	v_add_co_u32 v61, vcc_lo, v61, 8
	v_add_co_ci_u32_e32 v62, vcc_lo, 0, v62, vcc_lo
	s_add_u32 s12, s8, -1
	s_addc_u32 s13, s9, -1
	s_mov_b64 s[14:15], 0
	s_mov_b32 s18, 0
                                        ; implicit-def: $sgpr19
	s_set_inst_prefetch_distance 0x1
	s_branch .LBB561_752
	.p2align	6
.LBB561_750:                            ;   in Loop: Header=BB561_752 Depth=1
	global_load_b64 v[63:64], v[61:62], off
	global_load_b64 v[66:67], v[59:60], off
	v_add_co_u32 v59, vcc_lo, v59, 8
	v_add_co_ci_u32_e32 v60, vcc_lo, 0, v60, vcc_lo
	v_add_co_u32 v61, s0, v61, 8
	s_delay_alu instid0(VALU_DEP_1)
	v_add_co_ci_u32_e64 v62, s0, 0, v62, s0
	s_add_u32 s14, s14, 1
	s_addc_u32 s15, s15, 0
	s_and_not1_b32 s0, s19, exec_lo
	s_waitcnt vmcnt(0)
	v_cmp_ne_u64_e32 vcc_lo, v[63:64], v[66:67]
	s_and_b32 s19, vcc_lo, exec_lo
	s_delay_alu instid0(SALU_CYCLE_1)
	s_or_b32 s19, s0, s19
.LBB561_751:                            ;   in Loop: Header=BB561_752 Depth=1
	v_dual_mov_b32 v64, s15 :: v_dual_mov_b32 v63, s14
	s_and_b32 s0, exec_lo, s19
	s_delay_alu instid0(SALU_CYCLE_1) | instskip(NEXT) | instid1(SALU_CYCLE_1)
	s_or_b32 s18, s0, s18
	s_and_not1_b32 exec_lo, exec_lo, s18
	s_cbranch_execz .LBB561_754
.LBB561_752:                            ; =>This Inner Loop Header: Depth=1
	s_or_b32 s19, s19, exec_lo
	s_cmp_eq_u64 s[12:13], s[14:15]
	s_cbranch_scc0 .LBB561_750
; %bb.753:                              ;   in Loop: Header=BB561_752 Depth=1
	s_mov_b64 s[14:15], s[8:9]
                                        ; implicit-def: $vgpr59_vgpr60
                                        ; implicit-def: $vgpr61_vgpr62
	s_branch .LBB561_751
.LBB561_754:
	s_set_inst_prefetch_distance 0x2
	s_or_b32 exec_lo, exec_lo, s18
	v_cmp_gt_i64_e32 vcc_lo, s[8:9], v[63:64]
	s_mov_b32 s0, 0
	s_delay_alu instid0(SALU_CYCLE_1)
	v_mov_b32_e32 v132, s0
	v_cndmask_b32_e64 v131, 0, 1, vcc_lo
.LBB561_755:
	s_or_b32 exec_lo, exec_lo, s3
.LBB561_756:
	v_mul_lo_u32 v61, v42, s8
	v_mul_lo_u32 v62, v41, s9
	v_mad_u64_u32 v[59:60], null, v41, s8, 0
	v_mov_b32_e32 v135, 0
	v_mov_b32_e32 v136, 0
	v_cmp_ne_u32_e32 vcc_lo, 1, v65
	s_delay_alu instid0(VALU_DEP_2) | instskip(SKIP_1) | instid1(VALU_DEP_1)
	v_dual_mov_b32 v133, v135 :: v_dual_mov_b32 v134, v136
	v_add3_u32 v60, v60, v62, v61
	v_lshlrev_b64 v[59:60], 3, v[59:60]
	s_cbranch_vccnz .LBB561_765
; %bb.757:
	v_add_co_u32 v61, vcc_lo, s10, v57
	v_add_co_ci_u32_e32 v62, vcc_lo, s11, v58, vcc_lo
	s_delay_alu instid0(VALU_DEP_3) | instskip(NEXT) | instid1(VALU_DEP_4)
	v_add_co_u32 v57, vcc_lo, s10, v59
	v_add_co_ci_u32_e32 v58, vcc_lo, s11, v60, vcc_lo
	v_mov_b32_e32 v133, 1
	s_clause 0x1
	global_load_b64 v[63:64], v[61:62], off
	global_load_b64 v[66:67], v[57:58], off
	v_mov_b32_e32 v134, 0
	s_mov_b32 s3, exec_lo
	s_waitcnt vmcnt(0)
	v_cmpx_eq_u64_e64 v[63:64], v[66:67]
	s_cbranch_execz .LBB561_764
; %bb.758:
	v_add_co_u32 v57, vcc_lo, v57, 8
	v_add_co_ci_u32_e32 v58, vcc_lo, 0, v58, vcc_lo
	v_add_co_u32 v61, vcc_lo, v61, 8
	v_add_co_ci_u32_e32 v62, vcc_lo, 0, v62, vcc_lo
	s_add_u32 s12, s8, -1
	s_addc_u32 s13, s9, -1
	s_mov_b64 s[14:15], 0
	s_mov_b32 s18, 0
                                        ; implicit-def: $sgpr19
	s_set_inst_prefetch_distance 0x1
	s_branch .LBB561_761
	.p2align	6
.LBB561_759:                            ;   in Loop: Header=BB561_761 Depth=1
	global_load_b64 v[63:64], v[61:62], off
	global_load_b64 v[66:67], v[57:58], off
	v_add_co_u32 v57, vcc_lo, v57, 8
	v_add_co_ci_u32_e32 v58, vcc_lo, 0, v58, vcc_lo
	v_add_co_u32 v61, s0, v61, 8
	s_delay_alu instid0(VALU_DEP_1)
	v_add_co_ci_u32_e64 v62, s0, 0, v62, s0
	s_add_u32 s14, s14, 1
	s_addc_u32 s15, s15, 0
	s_and_not1_b32 s0, s19, exec_lo
	s_waitcnt vmcnt(0)
	v_cmp_ne_u64_e32 vcc_lo, v[63:64], v[66:67]
	s_and_b32 s19, vcc_lo, exec_lo
	s_delay_alu instid0(SALU_CYCLE_1)
	s_or_b32 s19, s0, s19
.LBB561_760:                            ;   in Loop: Header=BB561_761 Depth=1
	v_dual_mov_b32 v64, s15 :: v_dual_mov_b32 v63, s14
	s_and_b32 s0, exec_lo, s19
	s_delay_alu instid0(SALU_CYCLE_1) | instskip(NEXT) | instid1(SALU_CYCLE_1)
	s_or_b32 s18, s0, s18
	s_and_not1_b32 exec_lo, exec_lo, s18
	s_cbranch_execz .LBB561_763
.LBB561_761:                            ; =>This Inner Loop Header: Depth=1
	s_or_b32 s19, s19, exec_lo
	s_cmp_eq_u64 s[12:13], s[14:15]
	s_cbranch_scc0 .LBB561_759
; %bb.762:                              ;   in Loop: Header=BB561_761 Depth=1
	s_mov_b64 s[14:15], s[8:9]
                                        ; implicit-def: $vgpr57_vgpr58
                                        ; implicit-def: $vgpr61_vgpr62
	s_branch .LBB561_760
.LBB561_763:
	s_set_inst_prefetch_distance 0x2
	s_or_b32 exec_lo, exec_lo, s18
	v_cmp_gt_i64_e32 vcc_lo, s[8:9], v[63:64]
	s_mov_b32 s0, 0
	s_delay_alu instid0(SALU_CYCLE_1)
	v_mov_b32_e32 v134, s0
	v_cndmask_b32_e64 v133, 0, 1, vcc_lo
.LBB561_764:
	s_or_b32 exec_lo, exec_lo, s3
.LBB561_765:
	v_mul_lo_u32 v61, v40, s8
	v_mul_lo_u32 v62, v39, s9
	v_mad_u64_u32 v[57:58], null, v39, s8, 0
	v_cmp_ne_u32_e32 vcc_lo, 1, v65
	s_delay_alu instid0(VALU_DEP_2) | instskip(NEXT) | instid1(VALU_DEP_1)
	v_add3_u32 v58, v58, v62, v61
	v_lshlrev_b64 v[57:58], 3, v[57:58]
	s_cbranch_vccnz .LBB561_774
; %bb.766:
	v_add_co_u32 v61, vcc_lo, s10, v59
	v_add_co_ci_u32_e32 v62, vcc_lo, s11, v60, vcc_lo
	s_delay_alu instid0(VALU_DEP_3) | instskip(NEXT) | instid1(VALU_DEP_4)
	v_add_co_u32 v59, vcc_lo, s10, v57
	v_add_co_ci_u32_e32 v60, vcc_lo, s11, v58, vcc_lo
	v_mov_b32_e32 v135, 1
	s_clause 0x1
	global_load_b64 v[63:64], v[61:62], off
	global_load_b64 v[66:67], v[59:60], off
	v_mov_b32_e32 v136, 0
	s_mov_b32 s3, exec_lo
	s_waitcnt vmcnt(0)
	v_cmpx_eq_u64_e64 v[63:64], v[66:67]
	s_cbranch_execz .LBB561_773
; %bb.767:
	v_add_co_u32 v59, vcc_lo, v59, 8
	v_add_co_ci_u32_e32 v60, vcc_lo, 0, v60, vcc_lo
	v_add_co_u32 v61, vcc_lo, v61, 8
	v_add_co_ci_u32_e32 v62, vcc_lo, 0, v62, vcc_lo
	s_add_u32 s12, s8, -1
	s_addc_u32 s13, s9, -1
	s_mov_b64 s[14:15], 0
	s_mov_b32 s18, 0
                                        ; implicit-def: $sgpr19
	s_set_inst_prefetch_distance 0x1
	s_branch .LBB561_770
	.p2align	6
.LBB561_768:                            ;   in Loop: Header=BB561_770 Depth=1
	global_load_b64 v[63:64], v[61:62], off
	global_load_b64 v[66:67], v[59:60], off
	v_add_co_u32 v59, vcc_lo, v59, 8
	v_add_co_ci_u32_e32 v60, vcc_lo, 0, v60, vcc_lo
	v_add_co_u32 v61, s0, v61, 8
	s_delay_alu instid0(VALU_DEP_1)
	v_add_co_ci_u32_e64 v62, s0, 0, v62, s0
	s_add_u32 s14, s14, 1
	s_addc_u32 s15, s15, 0
	s_and_not1_b32 s0, s19, exec_lo
	s_waitcnt vmcnt(0)
	v_cmp_ne_u64_e32 vcc_lo, v[63:64], v[66:67]
	s_and_b32 s19, vcc_lo, exec_lo
	s_delay_alu instid0(SALU_CYCLE_1)
	s_or_b32 s19, s0, s19
.LBB561_769:                            ;   in Loop: Header=BB561_770 Depth=1
	v_dual_mov_b32 v64, s15 :: v_dual_mov_b32 v63, s14
	s_and_b32 s0, exec_lo, s19
	s_delay_alu instid0(SALU_CYCLE_1) | instskip(NEXT) | instid1(SALU_CYCLE_1)
	s_or_b32 s18, s0, s18
	s_and_not1_b32 exec_lo, exec_lo, s18
	s_cbranch_execz .LBB561_772
.LBB561_770:                            ; =>This Inner Loop Header: Depth=1
	s_or_b32 s19, s19, exec_lo
	s_cmp_eq_u64 s[12:13], s[14:15]
	s_cbranch_scc0 .LBB561_768
; %bb.771:                              ;   in Loop: Header=BB561_770 Depth=1
	s_mov_b64 s[14:15], s[8:9]
                                        ; implicit-def: $vgpr59_vgpr60
                                        ; implicit-def: $vgpr61_vgpr62
	s_branch .LBB561_769
.LBB561_772:
	s_set_inst_prefetch_distance 0x2
	s_or_b32 exec_lo, exec_lo, s18
	v_cmp_gt_i64_e32 vcc_lo, s[8:9], v[63:64]
	s_mov_b32 s0, 0
	s_delay_alu instid0(SALU_CYCLE_1)
	v_mov_b32_e32 v136, s0
	v_cndmask_b32_e64 v135, 0, 1, vcc_lo
.LBB561_773:
	s_or_b32 exec_lo, exec_lo, s3
.LBB561_774:
	v_mul_lo_u32 v61, v38, s8
	v_mul_lo_u32 v62, v37, s9
	v_mad_u64_u32 v[59:60], null, v37, s8, 0
	v_mov_b32_e32 v139, 0
	v_mov_b32_e32 v140, 0
	v_cmp_ne_u32_e32 vcc_lo, 1, v65
	s_delay_alu instid0(VALU_DEP_2) | instskip(SKIP_1) | instid1(VALU_DEP_1)
	v_dual_mov_b32 v137, v139 :: v_dual_mov_b32 v138, v140
	v_add3_u32 v60, v60, v62, v61
	v_lshlrev_b64 v[59:60], 3, v[59:60]
	s_cbranch_vccnz .LBB561_783
; %bb.775:
	v_add_co_u32 v61, vcc_lo, s10, v57
	v_add_co_ci_u32_e32 v62, vcc_lo, s11, v58, vcc_lo
	s_delay_alu instid0(VALU_DEP_3) | instskip(NEXT) | instid1(VALU_DEP_4)
	v_add_co_u32 v57, vcc_lo, s10, v59
	v_add_co_ci_u32_e32 v58, vcc_lo, s11, v60, vcc_lo
	v_mov_b32_e32 v137, 1
	s_clause 0x1
	global_load_b64 v[63:64], v[61:62], off
	global_load_b64 v[66:67], v[57:58], off
	v_mov_b32_e32 v138, 0
	s_mov_b32 s3, exec_lo
	s_waitcnt vmcnt(0)
	v_cmpx_eq_u64_e64 v[63:64], v[66:67]
	s_cbranch_execz .LBB561_782
; %bb.776:
	v_add_co_u32 v57, vcc_lo, v57, 8
	v_add_co_ci_u32_e32 v58, vcc_lo, 0, v58, vcc_lo
	v_add_co_u32 v61, vcc_lo, v61, 8
	v_add_co_ci_u32_e32 v62, vcc_lo, 0, v62, vcc_lo
	s_add_u32 s12, s8, -1
	s_addc_u32 s13, s9, -1
	s_mov_b64 s[14:15], 0
	s_mov_b32 s18, 0
                                        ; implicit-def: $sgpr19
	s_set_inst_prefetch_distance 0x1
	s_branch .LBB561_779
	.p2align	6
.LBB561_777:                            ;   in Loop: Header=BB561_779 Depth=1
	global_load_b64 v[63:64], v[61:62], off
	global_load_b64 v[66:67], v[57:58], off
	v_add_co_u32 v57, vcc_lo, v57, 8
	v_add_co_ci_u32_e32 v58, vcc_lo, 0, v58, vcc_lo
	v_add_co_u32 v61, s0, v61, 8
	s_delay_alu instid0(VALU_DEP_1)
	v_add_co_ci_u32_e64 v62, s0, 0, v62, s0
	s_add_u32 s14, s14, 1
	s_addc_u32 s15, s15, 0
	s_and_not1_b32 s0, s19, exec_lo
	s_waitcnt vmcnt(0)
	v_cmp_ne_u64_e32 vcc_lo, v[63:64], v[66:67]
	s_and_b32 s19, vcc_lo, exec_lo
	s_delay_alu instid0(SALU_CYCLE_1)
	s_or_b32 s19, s0, s19
.LBB561_778:                            ;   in Loop: Header=BB561_779 Depth=1
	v_dual_mov_b32 v64, s15 :: v_dual_mov_b32 v63, s14
	s_and_b32 s0, exec_lo, s19
	s_delay_alu instid0(SALU_CYCLE_1) | instskip(NEXT) | instid1(SALU_CYCLE_1)
	s_or_b32 s18, s0, s18
	s_and_not1_b32 exec_lo, exec_lo, s18
	s_cbranch_execz .LBB561_781
.LBB561_779:                            ; =>This Inner Loop Header: Depth=1
	s_or_b32 s19, s19, exec_lo
	s_cmp_eq_u64 s[12:13], s[14:15]
	s_cbranch_scc0 .LBB561_777
; %bb.780:                              ;   in Loop: Header=BB561_779 Depth=1
	s_mov_b64 s[14:15], s[8:9]
                                        ; implicit-def: $vgpr57_vgpr58
                                        ; implicit-def: $vgpr61_vgpr62
	s_branch .LBB561_778
.LBB561_781:
	s_set_inst_prefetch_distance 0x2
	s_or_b32 exec_lo, exec_lo, s18
	v_cmp_gt_i64_e32 vcc_lo, s[8:9], v[63:64]
	s_mov_b32 s0, 0
	s_delay_alu instid0(SALU_CYCLE_1)
	v_mov_b32_e32 v138, s0
	v_cndmask_b32_e64 v137, 0, 1, vcc_lo
.LBB561_782:
	s_or_b32 exec_lo, exec_lo, s3
.LBB561_783:
	v_mul_lo_u32 v61, v36, s8
	v_mul_lo_u32 v62, v35, s9
	v_mad_u64_u32 v[57:58], null, v35, s8, 0
	v_cmp_ne_u32_e32 vcc_lo, 1, v65
	s_delay_alu instid0(VALU_DEP_2) | instskip(NEXT) | instid1(VALU_DEP_1)
	v_add3_u32 v58, v58, v62, v61
	v_lshlrev_b64 v[57:58], 3, v[57:58]
	s_cbranch_vccnz .LBB561_792
; %bb.784:
	v_add_co_u32 v61, vcc_lo, s10, v59
	v_add_co_ci_u32_e32 v62, vcc_lo, s11, v60, vcc_lo
	s_delay_alu instid0(VALU_DEP_3) | instskip(NEXT) | instid1(VALU_DEP_4)
	v_add_co_u32 v59, vcc_lo, s10, v57
	v_add_co_ci_u32_e32 v60, vcc_lo, s11, v58, vcc_lo
	v_mov_b32_e32 v139, 1
	s_clause 0x1
	global_load_b64 v[63:64], v[61:62], off
	global_load_b64 v[66:67], v[59:60], off
	v_mov_b32_e32 v140, 0
	s_mov_b32 s3, exec_lo
	s_waitcnt vmcnt(0)
	v_cmpx_eq_u64_e64 v[63:64], v[66:67]
	s_cbranch_execz .LBB561_791
; %bb.785:
	v_add_co_u32 v59, vcc_lo, v59, 8
	v_add_co_ci_u32_e32 v60, vcc_lo, 0, v60, vcc_lo
	v_add_co_u32 v61, vcc_lo, v61, 8
	v_add_co_ci_u32_e32 v62, vcc_lo, 0, v62, vcc_lo
	s_add_u32 s12, s8, -1
	s_addc_u32 s13, s9, -1
	s_mov_b64 s[14:15], 0
	s_mov_b32 s18, 0
                                        ; implicit-def: $sgpr19
	s_set_inst_prefetch_distance 0x1
	s_branch .LBB561_788
	.p2align	6
.LBB561_786:                            ;   in Loop: Header=BB561_788 Depth=1
	global_load_b64 v[63:64], v[61:62], off
	global_load_b64 v[66:67], v[59:60], off
	v_add_co_u32 v59, vcc_lo, v59, 8
	v_add_co_ci_u32_e32 v60, vcc_lo, 0, v60, vcc_lo
	v_add_co_u32 v61, s0, v61, 8
	s_delay_alu instid0(VALU_DEP_1)
	v_add_co_ci_u32_e64 v62, s0, 0, v62, s0
	s_add_u32 s14, s14, 1
	s_addc_u32 s15, s15, 0
	s_and_not1_b32 s0, s19, exec_lo
	s_waitcnt vmcnt(0)
	v_cmp_ne_u64_e32 vcc_lo, v[63:64], v[66:67]
	s_and_b32 s19, vcc_lo, exec_lo
	s_delay_alu instid0(SALU_CYCLE_1)
	s_or_b32 s19, s0, s19
.LBB561_787:                            ;   in Loop: Header=BB561_788 Depth=1
	v_dual_mov_b32 v64, s15 :: v_dual_mov_b32 v63, s14
	s_and_b32 s0, exec_lo, s19
	s_delay_alu instid0(SALU_CYCLE_1) | instskip(NEXT) | instid1(SALU_CYCLE_1)
	s_or_b32 s18, s0, s18
	s_and_not1_b32 exec_lo, exec_lo, s18
	s_cbranch_execz .LBB561_790
.LBB561_788:                            ; =>This Inner Loop Header: Depth=1
	s_or_b32 s19, s19, exec_lo
	s_cmp_eq_u64 s[12:13], s[14:15]
	s_cbranch_scc0 .LBB561_786
; %bb.789:                              ;   in Loop: Header=BB561_788 Depth=1
	s_mov_b64 s[14:15], s[8:9]
                                        ; implicit-def: $vgpr59_vgpr60
                                        ; implicit-def: $vgpr61_vgpr62
	s_branch .LBB561_787
.LBB561_790:
	s_set_inst_prefetch_distance 0x2
	s_or_b32 exec_lo, exec_lo, s18
	v_cmp_gt_i64_e32 vcc_lo, s[8:9], v[63:64]
	s_mov_b32 s0, 0
	s_delay_alu instid0(SALU_CYCLE_1)
	v_mov_b32_e32 v140, s0
	v_cndmask_b32_e64 v139, 0, 1, vcc_lo
.LBB561_791:
	s_or_b32 exec_lo, exec_lo, s3
.LBB561_792:
	v_mul_lo_u32 v61, v34, s8
	v_mul_lo_u32 v62, v33, s9
	v_mad_u64_u32 v[59:60], null, v33, s8, 0
	v_mov_b32_e32 v143, 0
	v_mov_b32_e32 v144, 0
	v_cmp_ne_u32_e32 vcc_lo, 1, v65
	s_delay_alu instid0(VALU_DEP_2) | instskip(SKIP_1) | instid1(VALU_DEP_1)
	v_dual_mov_b32 v141, v143 :: v_dual_mov_b32 v142, v144
	v_add3_u32 v60, v60, v62, v61
	v_lshlrev_b64 v[59:60], 3, v[59:60]
	s_cbranch_vccnz .LBB561_801
; %bb.793:
	v_add_co_u32 v61, vcc_lo, s10, v57
	v_add_co_ci_u32_e32 v62, vcc_lo, s11, v58, vcc_lo
	s_delay_alu instid0(VALU_DEP_3) | instskip(NEXT) | instid1(VALU_DEP_4)
	v_add_co_u32 v57, vcc_lo, s10, v59
	v_add_co_ci_u32_e32 v58, vcc_lo, s11, v60, vcc_lo
	v_mov_b32_e32 v141, 1
	s_clause 0x1
	global_load_b64 v[63:64], v[61:62], off
	global_load_b64 v[66:67], v[57:58], off
	v_mov_b32_e32 v142, 0
	s_mov_b32 s3, exec_lo
	s_waitcnt vmcnt(0)
	v_cmpx_eq_u64_e64 v[63:64], v[66:67]
	s_cbranch_execz .LBB561_800
; %bb.794:
	v_add_co_u32 v57, vcc_lo, v57, 8
	v_add_co_ci_u32_e32 v58, vcc_lo, 0, v58, vcc_lo
	v_add_co_u32 v61, vcc_lo, v61, 8
	v_add_co_ci_u32_e32 v62, vcc_lo, 0, v62, vcc_lo
	s_add_u32 s12, s8, -1
	s_addc_u32 s13, s9, -1
	s_mov_b64 s[14:15], 0
	s_mov_b32 s18, 0
                                        ; implicit-def: $sgpr19
	s_set_inst_prefetch_distance 0x1
	s_branch .LBB561_797
	.p2align	6
.LBB561_795:                            ;   in Loop: Header=BB561_797 Depth=1
	global_load_b64 v[63:64], v[61:62], off
	global_load_b64 v[66:67], v[57:58], off
	v_add_co_u32 v57, vcc_lo, v57, 8
	v_add_co_ci_u32_e32 v58, vcc_lo, 0, v58, vcc_lo
	v_add_co_u32 v61, s0, v61, 8
	s_delay_alu instid0(VALU_DEP_1)
	v_add_co_ci_u32_e64 v62, s0, 0, v62, s0
	s_add_u32 s14, s14, 1
	s_addc_u32 s15, s15, 0
	s_and_not1_b32 s0, s19, exec_lo
	s_waitcnt vmcnt(0)
	v_cmp_ne_u64_e32 vcc_lo, v[63:64], v[66:67]
	s_and_b32 s19, vcc_lo, exec_lo
	s_delay_alu instid0(SALU_CYCLE_1)
	s_or_b32 s19, s0, s19
.LBB561_796:                            ;   in Loop: Header=BB561_797 Depth=1
	v_dual_mov_b32 v64, s15 :: v_dual_mov_b32 v63, s14
	s_and_b32 s0, exec_lo, s19
	s_delay_alu instid0(SALU_CYCLE_1) | instskip(NEXT) | instid1(SALU_CYCLE_1)
	s_or_b32 s18, s0, s18
	s_and_not1_b32 exec_lo, exec_lo, s18
	s_cbranch_execz .LBB561_799
.LBB561_797:                            ; =>This Inner Loop Header: Depth=1
	s_or_b32 s19, s19, exec_lo
	s_cmp_eq_u64 s[12:13], s[14:15]
	s_cbranch_scc0 .LBB561_795
; %bb.798:                              ;   in Loop: Header=BB561_797 Depth=1
	s_mov_b64 s[14:15], s[8:9]
                                        ; implicit-def: $vgpr57_vgpr58
                                        ; implicit-def: $vgpr61_vgpr62
	s_branch .LBB561_796
.LBB561_799:
	s_set_inst_prefetch_distance 0x2
	s_or_b32 exec_lo, exec_lo, s18
	v_cmp_gt_i64_e32 vcc_lo, s[8:9], v[63:64]
	s_mov_b32 s0, 0
	s_delay_alu instid0(SALU_CYCLE_1)
	v_mov_b32_e32 v142, s0
	v_cndmask_b32_e64 v141, 0, 1, vcc_lo
.LBB561_800:
	s_or_b32 exec_lo, exec_lo, s3
.LBB561_801:
	v_mul_lo_u32 v61, v32, s8
	v_mul_lo_u32 v62, v31, s9
	v_mad_u64_u32 v[57:58], null, v31, s8, 0
	v_cmp_ne_u32_e32 vcc_lo, 1, v65
	s_delay_alu instid0(VALU_DEP_2) | instskip(NEXT) | instid1(VALU_DEP_1)
	v_add3_u32 v58, v58, v62, v61
	v_lshlrev_b64 v[57:58], 3, v[57:58]
	s_cbranch_vccnz .LBB561_810
; %bb.802:
	v_add_co_u32 v61, vcc_lo, s10, v59
	v_add_co_ci_u32_e32 v62, vcc_lo, s11, v60, vcc_lo
	s_delay_alu instid0(VALU_DEP_3) | instskip(NEXT) | instid1(VALU_DEP_4)
	v_add_co_u32 v59, vcc_lo, s10, v57
	v_add_co_ci_u32_e32 v60, vcc_lo, s11, v58, vcc_lo
	v_mov_b32_e32 v143, 1
	s_clause 0x1
	global_load_b64 v[63:64], v[61:62], off
	global_load_b64 v[66:67], v[59:60], off
	v_mov_b32_e32 v144, 0
	s_mov_b32 s3, exec_lo
	s_waitcnt vmcnt(0)
	v_cmpx_eq_u64_e64 v[63:64], v[66:67]
	s_cbranch_execz .LBB561_809
; %bb.803:
	v_add_co_u32 v59, vcc_lo, v59, 8
	v_add_co_ci_u32_e32 v60, vcc_lo, 0, v60, vcc_lo
	v_add_co_u32 v61, vcc_lo, v61, 8
	v_add_co_ci_u32_e32 v62, vcc_lo, 0, v62, vcc_lo
	s_add_u32 s12, s8, -1
	s_addc_u32 s13, s9, -1
	s_mov_b64 s[14:15], 0
	s_mov_b32 s18, 0
                                        ; implicit-def: $sgpr19
	s_set_inst_prefetch_distance 0x1
	s_branch .LBB561_806
	.p2align	6
.LBB561_804:                            ;   in Loop: Header=BB561_806 Depth=1
	global_load_b64 v[63:64], v[61:62], off
	global_load_b64 v[66:67], v[59:60], off
	v_add_co_u32 v59, vcc_lo, v59, 8
	v_add_co_ci_u32_e32 v60, vcc_lo, 0, v60, vcc_lo
	v_add_co_u32 v61, s0, v61, 8
	s_delay_alu instid0(VALU_DEP_1)
	v_add_co_ci_u32_e64 v62, s0, 0, v62, s0
	s_add_u32 s14, s14, 1
	s_addc_u32 s15, s15, 0
	s_and_not1_b32 s0, s19, exec_lo
	s_waitcnt vmcnt(0)
	v_cmp_ne_u64_e32 vcc_lo, v[63:64], v[66:67]
	s_and_b32 s19, vcc_lo, exec_lo
	s_delay_alu instid0(SALU_CYCLE_1)
	s_or_b32 s19, s0, s19
.LBB561_805:                            ;   in Loop: Header=BB561_806 Depth=1
	v_dual_mov_b32 v64, s15 :: v_dual_mov_b32 v63, s14
	s_and_b32 s0, exec_lo, s19
	s_delay_alu instid0(SALU_CYCLE_1) | instskip(NEXT) | instid1(SALU_CYCLE_1)
	s_or_b32 s18, s0, s18
	s_and_not1_b32 exec_lo, exec_lo, s18
	s_cbranch_execz .LBB561_808
.LBB561_806:                            ; =>This Inner Loop Header: Depth=1
	s_or_b32 s19, s19, exec_lo
	s_cmp_eq_u64 s[12:13], s[14:15]
	s_cbranch_scc0 .LBB561_804
; %bb.807:                              ;   in Loop: Header=BB561_806 Depth=1
	s_mov_b64 s[14:15], s[8:9]
                                        ; implicit-def: $vgpr59_vgpr60
                                        ; implicit-def: $vgpr61_vgpr62
	s_branch .LBB561_805
.LBB561_808:
	s_set_inst_prefetch_distance 0x2
	s_or_b32 exec_lo, exec_lo, s18
	v_cmp_gt_i64_e32 vcc_lo, s[8:9], v[63:64]
	s_mov_b32 s0, 0
	s_delay_alu instid0(SALU_CYCLE_1)
	v_mov_b32_e32 v144, s0
	v_cndmask_b32_e64 v143, 0, 1, vcc_lo
.LBB561_809:
	s_or_b32 exec_lo, exec_lo, s3
.LBB561_810:
	v_mul_lo_u32 v61, v30, s8
	v_mul_lo_u32 v62, v29, s9
	v_mad_u64_u32 v[59:60], null, v29, s8, 0
	v_mov_b32_e32 v147, 0
	v_mov_b32_e32 v148, 0
	v_cmp_ne_u32_e32 vcc_lo, 1, v65
	s_delay_alu instid0(VALU_DEP_2) | instskip(SKIP_1) | instid1(VALU_DEP_1)
	v_dual_mov_b32 v145, v147 :: v_dual_mov_b32 v146, v148
	v_add3_u32 v60, v60, v62, v61
	v_lshlrev_b64 v[59:60], 3, v[59:60]
	s_cbranch_vccnz .LBB561_819
; %bb.811:
	v_add_co_u32 v61, vcc_lo, s10, v57
	v_add_co_ci_u32_e32 v62, vcc_lo, s11, v58, vcc_lo
	s_delay_alu instid0(VALU_DEP_3) | instskip(NEXT) | instid1(VALU_DEP_4)
	v_add_co_u32 v57, vcc_lo, s10, v59
	v_add_co_ci_u32_e32 v58, vcc_lo, s11, v60, vcc_lo
	v_mov_b32_e32 v145, 1
	s_clause 0x1
	global_load_b64 v[63:64], v[61:62], off
	global_load_b64 v[66:67], v[57:58], off
	v_mov_b32_e32 v146, 0
	s_mov_b32 s3, exec_lo
	s_waitcnt vmcnt(0)
	v_cmpx_eq_u64_e64 v[63:64], v[66:67]
	s_cbranch_execz .LBB561_818
; %bb.812:
	v_add_co_u32 v57, vcc_lo, v57, 8
	v_add_co_ci_u32_e32 v58, vcc_lo, 0, v58, vcc_lo
	v_add_co_u32 v61, vcc_lo, v61, 8
	v_add_co_ci_u32_e32 v62, vcc_lo, 0, v62, vcc_lo
	s_add_u32 s12, s8, -1
	s_addc_u32 s13, s9, -1
	s_mov_b64 s[14:15], 0
	s_mov_b32 s18, 0
                                        ; implicit-def: $sgpr19
	s_set_inst_prefetch_distance 0x1
	s_branch .LBB561_815
	.p2align	6
.LBB561_813:                            ;   in Loop: Header=BB561_815 Depth=1
	global_load_b64 v[63:64], v[61:62], off
	global_load_b64 v[66:67], v[57:58], off
	v_add_co_u32 v57, vcc_lo, v57, 8
	v_add_co_ci_u32_e32 v58, vcc_lo, 0, v58, vcc_lo
	v_add_co_u32 v61, s0, v61, 8
	s_delay_alu instid0(VALU_DEP_1)
	v_add_co_ci_u32_e64 v62, s0, 0, v62, s0
	s_add_u32 s14, s14, 1
	s_addc_u32 s15, s15, 0
	s_and_not1_b32 s0, s19, exec_lo
	s_waitcnt vmcnt(0)
	v_cmp_ne_u64_e32 vcc_lo, v[63:64], v[66:67]
	s_and_b32 s19, vcc_lo, exec_lo
	s_delay_alu instid0(SALU_CYCLE_1)
	s_or_b32 s19, s0, s19
.LBB561_814:                            ;   in Loop: Header=BB561_815 Depth=1
	v_dual_mov_b32 v64, s15 :: v_dual_mov_b32 v63, s14
	s_and_b32 s0, exec_lo, s19
	s_delay_alu instid0(SALU_CYCLE_1) | instskip(NEXT) | instid1(SALU_CYCLE_1)
	s_or_b32 s18, s0, s18
	s_and_not1_b32 exec_lo, exec_lo, s18
	s_cbranch_execz .LBB561_817
.LBB561_815:                            ; =>This Inner Loop Header: Depth=1
	s_or_b32 s19, s19, exec_lo
	s_cmp_eq_u64 s[12:13], s[14:15]
	s_cbranch_scc0 .LBB561_813
; %bb.816:                              ;   in Loop: Header=BB561_815 Depth=1
	s_mov_b64 s[14:15], s[8:9]
                                        ; implicit-def: $vgpr57_vgpr58
                                        ; implicit-def: $vgpr61_vgpr62
	s_branch .LBB561_814
.LBB561_817:
	s_set_inst_prefetch_distance 0x2
	s_or_b32 exec_lo, exec_lo, s18
	v_cmp_gt_i64_e32 vcc_lo, s[8:9], v[63:64]
	s_mov_b32 s0, 0
	s_delay_alu instid0(SALU_CYCLE_1)
	v_mov_b32_e32 v146, s0
	v_cndmask_b32_e64 v145, 0, 1, vcc_lo
.LBB561_818:
	s_or_b32 exec_lo, exec_lo, s3
.LBB561_819:
	v_mul_lo_u32 v61, v28, s8
	v_mul_lo_u32 v62, v27, s9
	v_mad_u64_u32 v[57:58], null, v27, s8, 0
	v_cmp_ne_u32_e32 vcc_lo, 1, v65
	s_delay_alu instid0(VALU_DEP_2) | instskip(NEXT) | instid1(VALU_DEP_1)
	v_add3_u32 v58, v58, v62, v61
	v_lshlrev_b64 v[57:58], 3, v[57:58]
	s_cbranch_vccnz .LBB561_828
; %bb.820:
	v_add_co_u32 v61, vcc_lo, s10, v59
	v_add_co_ci_u32_e32 v62, vcc_lo, s11, v60, vcc_lo
	s_delay_alu instid0(VALU_DEP_3) | instskip(NEXT) | instid1(VALU_DEP_4)
	v_add_co_u32 v59, vcc_lo, s10, v57
	v_add_co_ci_u32_e32 v60, vcc_lo, s11, v58, vcc_lo
	v_mov_b32_e32 v147, 1
	s_clause 0x1
	global_load_b64 v[63:64], v[61:62], off
	global_load_b64 v[66:67], v[59:60], off
	v_mov_b32_e32 v148, 0
	s_mov_b32 s3, exec_lo
	s_waitcnt vmcnt(0)
	v_cmpx_eq_u64_e64 v[63:64], v[66:67]
	s_cbranch_execz .LBB561_827
; %bb.821:
	v_add_co_u32 v59, vcc_lo, v59, 8
	v_add_co_ci_u32_e32 v60, vcc_lo, 0, v60, vcc_lo
	v_add_co_u32 v61, vcc_lo, v61, 8
	v_add_co_ci_u32_e32 v62, vcc_lo, 0, v62, vcc_lo
	s_add_u32 s12, s8, -1
	s_addc_u32 s13, s9, -1
	s_mov_b64 s[14:15], 0
	s_mov_b32 s18, 0
                                        ; implicit-def: $sgpr19
	s_set_inst_prefetch_distance 0x1
	s_branch .LBB561_824
	.p2align	6
.LBB561_822:                            ;   in Loop: Header=BB561_824 Depth=1
	global_load_b64 v[63:64], v[61:62], off
	global_load_b64 v[66:67], v[59:60], off
	v_add_co_u32 v59, vcc_lo, v59, 8
	v_add_co_ci_u32_e32 v60, vcc_lo, 0, v60, vcc_lo
	v_add_co_u32 v61, s0, v61, 8
	s_delay_alu instid0(VALU_DEP_1)
	v_add_co_ci_u32_e64 v62, s0, 0, v62, s0
	s_add_u32 s14, s14, 1
	s_addc_u32 s15, s15, 0
	s_and_not1_b32 s0, s19, exec_lo
	s_waitcnt vmcnt(0)
	v_cmp_ne_u64_e32 vcc_lo, v[63:64], v[66:67]
	s_and_b32 s19, vcc_lo, exec_lo
	s_delay_alu instid0(SALU_CYCLE_1)
	s_or_b32 s19, s0, s19
.LBB561_823:                            ;   in Loop: Header=BB561_824 Depth=1
	v_dual_mov_b32 v64, s15 :: v_dual_mov_b32 v63, s14
	s_and_b32 s0, exec_lo, s19
	s_delay_alu instid0(SALU_CYCLE_1) | instskip(NEXT) | instid1(SALU_CYCLE_1)
	s_or_b32 s18, s0, s18
	s_and_not1_b32 exec_lo, exec_lo, s18
	s_cbranch_execz .LBB561_826
.LBB561_824:                            ; =>This Inner Loop Header: Depth=1
	s_or_b32 s19, s19, exec_lo
	s_cmp_eq_u64 s[12:13], s[14:15]
	s_cbranch_scc0 .LBB561_822
; %bb.825:                              ;   in Loop: Header=BB561_824 Depth=1
	s_mov_b64 s[14:15], s[8:9]
                                        ; implicit-def: $vgpr59_vgpr60
                                        ; implicit-def: $vgpr61_vgpr62
	s_branch .LBB561_823
.LBB561_826:
	s_set_inst_prefetch_distance 0x2
	s_or_b32 exec_lo, exec_lo, s18
	v_cmp_gt_i64_e32 vcc_lo, s[8:9], v[63:64]
	s_mov_b32 s0, 0
	s_delay_alu instid0(SALU_CYCLE_1)
	v_mov_b32_e32 v148, s0
	v_cndmask_b32_e64 v147, 0, 1, vcc_lo
.LBB561_827:
	s_or_b32 exec_lo, exec_lo, s3
.LBB561_828:
	v_mul_lo_u32 v61, v26, s8
	v_mul_lo_u32 v62, v25, s9
	v_mad_u64_u32 v[59:60], null, v25, s8, 0
	v_mov_b32_e32 v151, 0
	v_mov_b32_e32 v152, 0
	v_cmp_ne_u32_e32 vcc_lo, 1, v65
	s_delay_alu instid0(VALU_DEP_2) | instskip(SKIP_1) | instid1(VALU_DEP_1)
	v_dual_mov_b32 v149, v151 :: v_dual_mov_b32 v150, v152
	v_add3_u32 v60, v60, v62, v61
	v_lshlrev_b64 v[59:60], 3, v[59:60]
	s_cbranch_vccnz .LBB561_837
; %bb.829:
	v_add_co_u32 v61, vcc_lo, s10, v57
	v_add_co_ci_u32_e32 v62, vcc_lo, s11, v58, vcc_lo
	s_delay_alu instid0(VALU_DEP_3) | instskip(NEXT) | instid1(VALU_DEP_4)
	v_add_co_u32 v57, vcc_lo, s10, v59
	v_add_co_ci_u32_e32 v58, vcc_lo, s11, v60, vcc_lo
	v_mov_b32_e32 v149, 1
	s_clause 0x1
	global_load_b64 v[63:64], v[61:62], off
	global_load_b64 v[66:67], v[57:58], off
	v_mov_b32_e32 v150, 0
	s_mov_b32 s3, exec_lo
	s_waitcnt vmcnt(0)
	v_cmpx_eq_u64_e64 v[63:64], v[66:67]
	s_cbranch_execz .LBB561_836
; %bb.830:
	v_add_co_u32 v57, vcc_lo, v57, 8
	v_add_co_ci_u32_e32 v58, vcc_lo, 0, v58, vcc_lo
	v_add_co_u32 v61, vcc_lo, v61, 8
	v_add_co_ci_u32_e32 v62, vcc_lo, 0, v62, vcc_lo
	s_add_u32 s12, s8, -1
	s_addc_u32 s13, s9, -1
	s_mov_b64 s[14:15], 0
	s_mov_b32 s18, 0
                                        ; implicit-def: $sgpr19
	s_set_inst_prefetch_distance 0x1
	s_branch .LBB561_833
	.p2align	6
.LBB561_831:                            ;   in Loop: Header=BB561_833 Depth=1
	global_load_b64 v[63:64], v[61:62], off
	global_load_b64 v[66:67], v[57:58], off
	v_add_co_u32 v57, vcc_lo, v57, 8
	v_add_co_ci_u32_e32 v58, vcc_lo, 0, v58, vcc_lo
	v_add_co_u32 v61, s0, v61, 8
	s_delay_alu instid0(VALU_DEP_1)
	v_add_co_ci_u32_e64 v62, s0, 0, v62, s0
	s_add_u32 s14, s14, 1
	s_addc_u32 s15, s15, 0
	s_and_not1_b32 s0, s19, exec_lo
	s_waitcnt vmcnt(0)
	v_cmp_ne_u64_e32 vcc_lo, v[63:64], v[66:67]
	s_and_b32 s19, vcc_lo, exec_lo
	s_delay_alu instid0(SALU_CYCLE_1)
	s_or_b32 s19, s0, s19
.LBB561_832:                            ;   in Loop: Header=BB561_833 Depth=1
	v_dual_mov_b32 v64, s15 :: v_dual_mov_b32 v63, s14
	s_and_b32 s0, exec_lo, s19
	s_delay_alu instid0(SALU_CYCLE_1) | instskip(NEXT) | instid1(SALU_CYCLE_1)
	s_or_b32 s18, s0, s18
	s_and_not1_b32 exec_lo, exec_lo, s18
	s_cbranch_execz .LBB561_835
.LBB561_833:                            ; =>This Inner Loop Header: Depth=1
	s_or_b32 s19, s19, exec_lo
	s_cmp_eq_u64 s[12:13], s[14:15]
	s_cbranch_scc0 .LBB561_831
; %bb.834:                              ;   in Loop: Header=BB561_833 Depth=1
	s_mov_b64 s[14:15], s[8:9]
                                        ; implicit-def: $vgpr57_vgpr58
                                        ; implicit-def: $vgpr61_vgpr62
	s_branch .LBB561_832
.LBB561_835:
	s_set_inst_prefetch_distance 0x2
	s_or_b32 exec_lo, exec_lo, s18
	v_cmp_gt_i64_e32 vcc_lo, s[8:9], v[63:64]
	s_mov_b32 s0, 0
	s_delay_alu instid0(SALU_CYCLE_1)
	v_mov_b32_e32 v150, s0
	v_cndmask_b32_e64 v149, 0, 1, vcc_lo
.LBB561_836:
	s_or_b32 exec_lo, exec_lo, s3
.LBB561_837:
	v_mul_lo_u32 v61, v24, s8
	v_mul_lo_u32 v62, v23, s9
	v_mad_u64_u32 v[57:58], null, v23, s8, 0
	v_cmp_ne_u32_e32 vcc_lo, 1, v65
	s_delay_alu instid0(VALU_DEP_2) | instskip(NEXT) | instid1(VALU_DEP_1)
	v_add3_u32 v58, v58, v62, v61
	v_lshlrev_b64 v[57:58], 3, v[57:58]
	s_cbranch_vccnz .LBB561_846
; %bb.838:
	v_add_co_u32 v61, vcc_lo, s10, v59
	v_add_co_ci_u32_e32 v62, vcc_lo, s11, v60, vcc_lo
	s_delay_alu instid0(VALU_DEP_3) | instskip(NEXT) | instid1(VALU_DEP_4)
	v_add_co_u32 v59, vcc_lo, s10, v57
	v_add_co_ci_u32_e32 v60, vcc_lo, s11, v58, vcc_lo
	v_mov_b32_e32 v151, 1
	s_clause 0x1
	global_load_b64 v[63:64], v[61:62], off
	global_load_b64 v[66:67], v[59:60], off
	v_mov_b32_e32 v152, 0
	s_mov_b32 s3, exec_lo
	s_waitcnt vmcnt(0)
	v_cmpx_eq_u64_e64 v[63:64], v[66:67]
	s_cbranch_execz .LBB561_845
; %bb.839:
	v_add_co_u32 v59, vcc_lo, v59, 8
	v_add_co_ci_u32_e32 v60, vcc_lo, 0, v60, vcc_lo
	v_add_co_u32 v61, vcc_lo, v61, 8
	v_add_co_ci_u32_e32 v62, vcc_lo, 0, v62, vcc_lo
	s_add_u32 s12, s8, -1
	s_addc_u32 s13, s9, -1
	s_mov_b64 s[14:15], 0
	s_mov_b32 s18, 0
                                        ; implicit-def: $sgpr19
	s_set_inst_prefetch_distance 0x1
	s_branch .LBB561_842
	.p2align	6
.LBB561_840:                            ;   in Loop: Header=BB561_842 Depth=1
	global_load_b64 v[63:64], v[61:62], off
	global_load_b64 v[66:67], v[59:60], off
	v_add_co_u32 v59, vcc_lo, v59, 8
	v_add_co_ci_u32_e32 v60, vcc_lo, 0, v60, vcc_lo
	v_add_co_u32 v61, s0, v61, 8
	s_delay_alu instid0(VALU_DEP_1)
	v_add_co_ci_u32_e64 v62, s0, 0, v62, s0
	s_add_u32 s14, s14, 1
	s_addc_u32 s15, s15, 0
	s_and_not1_b32 s0, s19, exec_lo
	s_waitcnt vmcnt(0)
	v_cmp_ne_u64_e32 vcc_lo, v[63:64], v[66:67]
	s_and_b32 s19, vcc_lo, exec_lo
	s_delay_alu instid0(SALU_CYCLE_1)
	s_or_b32 s19, s0, s19
.LBB561_841:                            ;   in Loop: Header=BB561_842 Depth=1
	v_dual_mov_b32 v64, s15 :: v_dual_mov_b32 v63, s14
	s_and_b32 s0, exec_lo, s19
	s_delay_alu instid0(SALU_CYCLE_1) | instskip(NEXT) | instid1(SALU_CYCLE_1)
	s_or_b32 s18, s0, s18
	s_and_not1_b32 exec_lo, exec_lo, s18
	s_cbranch_execz .LBB561_844
.LBB561_842:                            ; =>This Inner Loop Header: Depth=1
	s_or_b32 s19, s19, exec_lo
	s_cmp_eq_u64 s[12:13], s[14:15]
	s_cbranch_scc0 .LBB561_840
; %bb.843:                              ;   in Loop: Header=BB561_842 Depth=1
	s_mov_b64 s[14:15], s[8:9]
                                        ; implicit-def: $vgpr59_vgpr60
                                        ; implicit-def: $vgpr61_vgpr62
	s_branch .LBB561_841
.LBB561_844:
	s_set_inst_prefetch_distance 0x2
	s_or_b32 exec_lo, exec_lo, s18
	v_cmp_gt_i64_e32 vcc_lo, s[8:9], v[63:64]
	s_mov_b32 s0, 0
	s_delay_alu instid0(SALU_CYCLE_1)
	v_mov_b32_e32 v152, s0
	v_cndmask_b32_e64 v151, 0, 1, vcc_lo
.LBB561_845:
	s_or_b32 exec_lo, exec_lo, s3
.LBB561_846:
	v_mul_lo_u32 v61, v22, s8
	v_mul_lo_u32 v62, v21, s9
	v_mad_u64_u32 v[59:60], null, v21, s8, 0
	v_mov_b32_e32 v155, 0
	v_mov_b32_e32 v156, 0
	v_cmp_ne_u32_e32 vcc_lo, 1, v65
	s_delay_alu instid0(VALU_DEP_2) | instskip(SKIP_1) | instid1(VALU_DEP_1)
	v_dual_mov_b32 v153, v155 :: v_dual_mov_b32 v154, v156
	v_add3_u32 v60, v60, v62, v61
	v_lshlrev_b64 v[59:60], 3, v[59:60]
	s_cbranch_vccnz .LBB561_855
; %bb.847:
	v_add_co_u32 v61, vcc_lo, s10, v57
	v_add_co_ci_u32_e32 v62, vcc_lo, s11, v58, vcc_lo
	s_delay_alu instid0(VALU_DEP_3) | instskip(NEXT) | instid1(VALU_DEP_4)
	v_add_co_u32 v57, vcc_lo, s10, v59
	v_add_co_ci_u32_e32 v58, vcc_lo, s11, v60, vcc_lo
	v_mov_b32_e32 v153, 1
	s_clause 0x1
	global_load_b64 v[63:64], v[61:62], off
	global_load_b64 v[66:67], v[57:58], off
	v_mov_b32_e32 v154, 0
	s_mov_b32 s3, exec_lo
	s_waitcnt vmcnt(0)
	v_cmpx_eq_u64_e64 v[63:64], v[66:67]
	s_cbranch_execz .LBB561_854
; %bb.848:
	v_add_co_u32 v57, vcc_lo, v57, 8
	v_add_co_ci_u32_e32 v58, vcc_lo, 0, v58, vcc_lo
	v_add_co_u32 v61, vcc_lo, v61, 8
	v_add_co_ci_u32_e32 v62, vcc_lo, 0, v62, vcc_lo
	s_add_u32 s12, s8, -1
	s_addc_u32 s13, s9, -1
	s_mov_b64 s[14:15], 0
	s_mov_b32 s18, 0
                                        ; implicit-def: $sgpr19
	s_set_inst_prefetch_distance 0x1
	s_branch .LBB561_851
	.p2align	6
.LBB561_849:                            ;   in Loop: Header=BB561_851 Depth=1
	global_load_b64 v[63:64], v[61:62], off
	global_load_b64 v[66:67], v[57:58], off
	v_add_co_u32 v57, vcc_lo, v57, 8
	v_add_co_ci_u32_e32 v58, vcc_lo, 0, v58, vcc_lo
	v_add_co_u32 v61, s0, v61, 8
	s_delay_alu instid0(VALU_DEP_1)
	v_add_co_ci_u32_e64 v62, s0, 0, v62, s0
	s_add_u32 s14, s14, 1
	s_addc_u32 s15, s15, 0
	s_and_not1_b32 s0, s19, exec_lo
	s_waitcnt vmcnt(0)
	v_cmp_ne_u64_e32 vcc_lo, v[63:64], v[66:67]
	s_and_b32 s19, vcc_lo, exec_lo
	s_delay_alu instid0(SALU_CYCLE_1)
	s_or_b32 s19, s0, s19
.LBB561_850:                            ;   in Loop: Header=BB561_851 Depth=1
	v_dual_mov_b32 v64, s15 :: v_dual_mov_b32 v63, s14
	s_and_b32 s0, exec_lo, s19
	s_delay_alu instid0(SALU_CYCLE_1) | instskip(NEXT) | instid1(SALU_CYCLE_1)
	s_or_b32 s18, s0, s18
	s_and_not1_b32 exec_lo, exec_lo, s18
	s_cbranch_execz .LBB561_853
.LBB561_851:                            ; =>This Inner Loop Header: Depth=1
	s_or_b32 s19, s19, exec_lo
	s_cmp_eq_u64 s[12:13], s[14:15]
	s_cbranch_scc0 .LBB561_849
; %bb.852:                              ;   in Loop: Header=BB561_851 Depth=1
	s_mov_b64 s[14:15], s[8:9]
                                        ; implicit-def: $vgpr57_vgpr58
                                        ; implicit-def: $vgpr61_vgpr62
	s_branch .LBB561_850
.LBB561_853:
	s_set_inst_prefetch_distance 0x2
	s_or_b32 exec_lo, exec_lo, s18
	v_cmp_gt_i64_e32 vcc_lo, s[8:9], v[63:64]
	s_mov_b32 s0, 0
	s_delay_alu instid0(SALU_CYCLE_1)
	v_mov_b32_e32 v154, s0
	v_cndmask_b32_e64 v153, 0, 1, vcc_lo
.LBB561_854:
	s_or_b32 exec_lo, exec_lo, s3
.LBB561_855:
	v_mul_lo_u32 v61, v20, s8
	v_mul_lo_u32 v62, v19, s9
	v_mad_u64_u32 v[57:58], null, v19, s8, 0
	v_cmp_ne_u32_e32 vcc_lo, 1, v65
	s_delay_alu instid0(VALU_DEP_2) | instskip(NEXT) | instid1(VALU_DEP_1)
	v_add3_u32 v58, v58, v62, v61
	v_lshlrev_b64 v[57:58], 3, v[57:58]
	s_cbranch_vccnz .LBB561_864
; %bb.856:
	v_add_co_u32 v61, vcc_lo, s10, v59
	v_add_co_ci_u32_e32 v62, vcc_lo, s11, v60, vcc_lo
	s_delay_alu instid0(VALU_DEP_3) | instskip(NEXT) | instid1(VALU_DEP_4)
	v_add_co_u32 v59, vcc_lo, s10, v57
	v_add_co_ci_u32_e32 v60, vcc_lo, s11, v58, vcc_lo
	v_mov_b32_e32 v155, 1
	s_clause 0x1
	global_load_b64 v[63:64], v[61:62], off
	global_load_b64 v[66:67], v[59:60], off
	v_mov_b32_e32 v156, 0
	s_mov_b32 s3, exec_lo
	s_waitcnt vmcnt(0)
	v_cmpx_eq_u64_e64 v[63:64], v[66:67]
	s_cbranch_execz .LBB561_863
; %bb.857:
	v_add_co_u32 v59, vcc_lo, v59, 8
	v_add_co_ci_u32_e32 v60, vcc_lo, 0, v60, vcc_lo
	v_add_co_u32 v61, vcc_lo, v61, 8
	v_add_co_ci_u32_e32 v62, vcc_lo, 0, v62, vcc_lo
	s_add_u32 s12, s8, -1
	s_addc_u32 s13, s9, -1
	s_mov_b64 s[14:15], 0
	s_mov_b32 s18, 0
                                        ; implicit-def: $sgpr19
	s_set_inst_prefetch_distance 0x1
	s_branch .LBB561_860
	.p2align	6
.LBB561_858:                            ;   in Loop: Header=BB561_860 Depth=1
	global_load_b64 v[63:64], v[61:62], off
	global_load_b64 v[66:67], v[59:60], off
	v_add_co_u32 v59, vcc_lo, v59, 8
	v_add_co_ci_u32_e32 v60, vcc_lo, 0, v60, vcc_lo
	v_add_co_u32 v61, s0, v61, 8
	s_delay_alu instid0(VALU_DEP_1)
	v_add_co_ci_u32_e64 v62, s0, 0, v62, s0
	s_add_u32 s14, s14, 1
	s_addc_u32 s15, s15, 0
	s_and_not1_b32 s0, s19, exec_lo
	s_waitcnt vmcnt(0)
	v_cmp_ne_u64_e32 vcc_lo, v[63:64], v[66:67]
	s_and_b32 s19, vcc_lo, exec_lo
	s_delay_alu instid0(SALU_CYCLE_1)
	s_or_b32 s19, s0, s19
.LBB561_859:                            ;   in Loop: Header=BB561_860 Depth=1
	v_dual_mov_b32 v64, s15 :: v_dual_mov_b32 v63, s14
	s_and_b32 s0, exec_lo, s19
	s_delay_alu instid0(SALU_CYCLE_1) | instskip(NEXT) | instid1(SALU_CYCLE_1)
	s_or_b32 s18, s0, s18
	s_and_not1_b32 exec_lo, exec_lo, s18
	s_cbranch_execz .LBB561_862
.LBB561_860:                            ; =>This Inner Loop Header: Depth=1
	s_or_b32 s19, s19, exec_lo
	s_cmp_eq_u64 s[12:13], s[14:15]
	s_cbranch_scc0 .LBB561_858
; %bb.861:                              ;   in Loop: Header=BB561_860 Depth=1
	s_mov_b64 s[14:15], s[8:9]
                                        ; implicit-def: $vgpr59_vgpr60
                                        ; implicit-def: $vgpr61_vgpr62
	s_branch .LBB561_859
.LBB561_862:
	s_set_inst_prefetch_distance 0x2
	s_or_b32 exec_lo, exec_lo, s18
	v_cmp_gt_i64_e32 vcc_lo, s[8:9], v[63:64]
	s_mov_b32 s0, 0
	s_delay_alu instid0(SALU_CYCLE_1)
	v_mov_b32_e32 v156, s0
	v_cndmask_b32_e64 v155, 0, 1, vcc_lo
.LBB561_863:
	s_or_b32 exec_lo, exec_lo, s3
.LBB561_864:
	v_mul_lo_u32 v61, v18, s8
	v_mul_lo_u32 v62, v17, s9
	v_mad_u64_u32 v[59:60], null, v17, s8, 0
	v_mov_b32_e32 v159, 0
	v_mov_b32_e32 v160, 0
	v_cmp_ne_u32_e32 vcc_lo, 1, v65
	s_delay_alu instid0(VALU_DEP_2) | instskip(SKIP_1) | instid1(VALU_DEP_1)
	v_dual_mov_b32 v157, v159 :: v_dual_mov_b32 v158, v160
	v_add3_u32 v60, v60, v62, v61
	v_lshlrev_b64 v[59:60], 3, v[59:60]
	s_cbranch_vccnz .LBB561_873
; %bb.865:
	v_add_co_u32 v61, vcc_lo, s10, v57
	v_add_co_ci_u32_e32 v62, vcc_lo, s11, v58, vcc_lo
	s_delay_alu instid0(VALU_DEP_3) | instskip(NEXT) | instid1(VALU_DEP_4)
	v_add_co_u32 v57, vcc_lo, s10, v59
	v_add_co_ci_u32_e32 v58, vcc_lo, s11, v60, vcc_lo
	v_mov_b32_e32 v157, 1
	s_clause 0x1
	global_load_b64 v[63:64], v[61:62], off
	global_load_b64 v[66:67], v[57:58], off
	v_mov_b32_e32 v158, 0
	s_mov_b32 s3, exec_lo
	s_waitcnt vmcnt(0)
	v_cmpx_eq_u64_e64 v[63:64], v[66:67]
	s_cbranch_execz .LBB561_872
; %bb.866:
	v_add_co_u32 v57, vcc_lo, v57, 8
	v_add_co_ci_u32_e32 v58, vcc_lo, 0, v58, vcc_lo
	v_add_co_u32 v61, vcc_lo, v61, 8
	v_add_co_ci_u32_e32 v62, vcc_lo, 0, v62, vcc_lo
	s_add_u32 s12, s8, -1
	s_addc_u32 s13, s9, -1
	s_mov_b64 s[14:15], 0
	s_mov_b32 s18, 0
                                        ; implicit-def: $sgpr19
	s_set_inst_prefetch_distance 0x1
	s_branch .LBB561_869
	.p2align	6
.LBB561_867:                            ;   in Loop: Header=BB561_869 Depth=1
	global_load_b64 v[63:64], v[61:62], off
	global_load_b64 v[66:67], v[57:58], off
	v_add_co_u32 v57, vcc_lo, v57, 8
	v_add_co_ci_u32_e32 v58, vcc_lo, 0, v58, vcc_lo
	v_add_co_u32 v61, s0, v61, 8
	s_delay_alu instid0(VALU_DEP_1)
	v_add_co_ci_u32_e64 v62, s0, 0, v62, s0
	s_add_u32 s14, s14, 1
	s_addc_u32 s15, s15, 0
	s_and_not1_b32 s0, s19, exec_lo
	s_waitcnt vmcnt(0)
	v_cmp_ne_u64_e32 vcc_lo, v[63:64], v[66:67]
	s_and_b32 s19, vcc_lo, exec_lo
	s_delay_alu instid0(SALU_CYCLE_1)
	s_or_b32 s19, s0, s19
.LBB561_868:                            ;   in Loop: Header=BB561_869 Depth=1
	v_dual_mov_b32 v64, s15 :: v_dual_mov_b32 v63, s14
	s_and_b32 s0, exec_lo, s19
	s_delay_alu instid0(SALU_CYCLE_1) | instskip(NEXT) | instid1(SALU_CYCLE_1)
	s_or_b32 s18, s0, s18
	s_and_not1_b32 exec_lo, exec_lo, s18
	s_cbranch_execz .LBB561_871
.LBB561_869:                            ; =>This Inner Loop Header: Depth=1
	s_or_b32 s19, s19, exec_lo
	s_cmp_eq_u64 s[12:13], s[14:15]
	s_cbranch_scc0 .LBB561_867
; %bb.870:                              ;   in Loop: Header=BB561_869 Depth=1
	s_mov_b64 s[14:15], s[8:9]
                                        ; implicit-def: $vgpr57_vgpr58
                                        ; implicit-def: $vgpr61_vgpr62
	s_branch .LBB561_868
.LBB561_871:
	s_set_inst_prefetch_distance 0x2
	s_or_b32 exec_lo, exec_lo, s18
	v_cmp_gt_i64_e32 vcc_lo, s[8:9], v[63:64]
	s_mov_b32 s0, 0
	s_delay_alu instid0(SALU_CYCLE_1)
	v_mov_b32_e32 v158, s0
	v_cndmask_b32_e64 v157, 0, 1, vcc_lo
.LBB561_872:
	s_or_b32 exec_lo, exec_lo, s3
.LBB561_873:
	v_mul_lo_u32 v61, v16, s8
	v_mul_lo_u32 v62, v15, s9
	v_mad_u64_u32 v[57:58], null, v15, s8, 0
	v_cmp_ne_u32_e32 vcc_lo, 1, v65
	s_delay_alu instid0(VALU_DEP_2) | instskip(NEXT) | instid1(VALU_DEP_1)
	v_add3_u32 v58, v58, v62, v61
	v_lshlrev_b64 v[57:58], 3, v[57:58]
	s_cbranch_vccnz .LBB561_882
; %bb.874:
	v_add_co_u32 v61, vcc_lo, s10, v59
	v_add_co_ci_u32_e32 v62, vcc_lo, s11, v60, vcc_lo
	s_delay_alu instid0(VALU_DEP_3) | instskip(NEXT) | instid1(VALU_DEP_4)
	v_add_co_u32 v59, vcc_lo, s10, v57
	v_add_co_ci_u32_e32 v60, vcc_lo, s11, v58, vcc_lo
	v_mov_b32_e32 v159, 1
	s_clause 0x1
	global_load_b64 v[63:64], v[61:62], off
	global_load_b64 v[66:67], v[59:60], off
	v_mov_b32_e32 v160, 0
	s_mov_b32 s3, exec_lo
	s_waitcnt vmcnt(0)
	v_cmpx_eq_u64_e64 v[63:64], v[66:67]
	s_cbranch_execz .LBB561_881
; %bb.875:
	v_add_co_u32 v59, vcc_lo, v59, 8
	v_add_co_ci_u32_e32 v60, vcc_lo, 0, v60, vcc_lo
	v_add_co_u32 v61, vcc_lo, v61, 8
	v_add_co_ci_u32_e32 v62, vcc_lo, 0, v62, vcc_lo
	s_add_u32 s12, s8, -1
	s_addc_u32 s13, s9, -1
	s_mov_b64 s[14:15], 0
	s_mov_b32 s18, 0
                                        ; implicit-def: $sgpr19
	s_set_inst_prefetch_distance 0x1
	s_branch .LBB561_878
	.p2align	6
.LBB561_876:                            ;   in Loop: Header=BB561_878 Depth=1
	global_load_b64 v[63:64], v[61:62], off
	global_load_b64 v[66:67], v[59:60], off
	v_add_co_u32 v59, vcc_lo, v59, 8
	v_add_co_ci_u32_e32 v60, vcc_lo, 0, v60, vcc_lo
	v_add_co_u32 v61, s0, v61, 8
	s_delay_alu instid0(VALU_DEP_1)
	v_add_co_ci_u32_e64 v62, s0, 0, v62, s0
	s_add_u32 s14, s14, 1
	s_addc_u32 s15, s15, 0
	s_and_not1_b32 s0, s19, exec_lo
	s_waitcnt vmcnt(0)
	v_cmp_ne_u64_e32 vcc_lo, v[63:64], v[66:67]
	s_and_b32 s19, vcc_lo, exec_lo
	s_delay_alu instid0(SALU_CYCLE_1)
	s_or_b32 s19, s0, s19
.LBB561_877:                            ;   in Loop: Header=BB561_878 Depth=1
	v_dual_mov_b32 v64, s15 :: v_dual_mov_b32 v63, s14
	s_and_b32 s0, exec_lo, s19
	s_delay_alu instid0(SALU_CYCLE_1) | instskip(NEXT) | instid1(SALU_CYCLE_1)
	s_or_b32 s18, s0, s18
	s_and_not1_b32 exec_lo, exec_lo, s18
	s_cbranch_execz .LBB561_880
.LBB561_878:                            ; =>This Inner Loop Header: Depth=1
	s_or_b32 s19, s19, exec_lo
	s_cmp_eq_u64 s[12:13], s[14:15]
	s_cbranch_scc0 .LBB561_876
; %bb.879:                              ;   in Loop: Header=BB561_878 Depth=1
	s_mov_b64 s[14:15], s[8:9]
                                        ; implicit-def: $vgpr59_vgpr60
                                        ; implicit-def: $vgpr61_vgpr62
	s_branch .LBB561_877
.LBB561_880:
	s_set_inst_prefetch_distance 0x2
	s_or_b32 exec_lo, exec_lo, s18
	v_cmp_gt_i64_e32 vcc_lo, s[8:9], v[63:64]
	s_mov_b32 s0, 0
	s_delay_alu instid0(SALU_CYCLE_1)
	v_mov_b32_e32 v160, s0
	v_cndmask_b32_e64 v159, 0, 1, vcc_lo
.LBB561_881:
	s_or_b32 exec_lo, exec_lo, s3
.LBB561_882:
	v_mul_lo_u32 v61, v14, s8
	v_mul_lo_u32 v62, v13, s9
	v_mad_u64_u32 v[59:60], null, v13, s8, 0
	v_mov_b32_e32 v163, 0
	v_mov_b32_e32 v164, 0
	v_cmp_ne_u32_e32 vcc_lo, 1, v65
	s_delay_alu instid0(VALU_DEP_2) | instskip(SKIP_1) | instid1(VALU_DEP_1)
	v_dual_mov_b32 v161, v163 :: v_dual_mov_b32 v162, v164
	v_add3_u32 v60, v60, v62, v61
	v_lshlrev_b64 v[59:60], 3, v[59:60]
	s_cbranch_vccnz .LBB561_891
; %bb.883:
	v_add_co_u32 v61, vcc_lo, s10, v57
	v_add_co_ci_u32_e32 v62, vcc_lo, s11, v58, vcc_lo
	s_delay_alu instid0(VALU_DEP_3) | instskip(NEXT) | instid1(VALU_DEP_4)
	v_add_co_u32 v57, vcc_lo, s10, v59
	v_add_co_ci_u32_e32 v58, vcc_lo, s11, v60, vcc_lo
	v_mov_b32_e32 v161, 1
	s_clause 0x1
	global_load_b64 v[63:64], v[61:62], off
	global_load_b64 v[66:67], v[57:58], off
	v_mov_b32_e32 v162, 0
	s_mov_b32 s3, exec_lo
	s_waitcnt vmcnt(0)
	v_cmpx_eq_u64_e64 v[63:64], v[66:67]
	s_cbranch_execz .LBB561_890
; %bb.884:
	v_add_co_u32 v57, vcc_lo, v57, 8
	v_add_co_ci_u32_e32 v58, vcc_lo, 0, v58, vcc_lo
	v_add_co_u32 v61, vcc_lo, v61, 8
	v_add_co_ci_u32_e32 v62, vcc_lo, 0, v62, vcc_lo
	s_add_u32 s12, s8, -1
	s_addc_u32 s13, s9, -1
	s_mov_b64 s[14:15], 0
	s_mov_b32 s18, 0
                                        ; implicit-def: $sgpr19
	s_set_inst_prefetch_distance 0x1
	s_branch .LBB561_887
	.p2align	6
.LBB561_885:                            ;   in Loop: Header=BB561_887 Depth=1
	global_load_b64 v[63:64], v[61:62], off
	global_load_b64 v[66:67], v[57:58], off
	v_add_co_u32 v57, vcc_lo, v57, 8
	v_add_co_ci_u32_e32 v58, vcc_lo, 0, v58, vcc_lo
	v_add_co_u32 v61, s0, v61, 8
	s_delay_alu instid0(VALU_DEP_1)
	v_add_co_ci_u32_e64 v62, s0, 0, v62, s0
	s_add_u32 s14, s14, 1
	s_addc_u32 s15, s15, 0
	s_and_not1_b32 s0, s19, exec_lo
	s_waitcnt vmcnt(0)
	v_cmp_ne_u64_e32 vcc_lo, v[63:64], v[66:67]
	s_and_b32 s19, vcc_lo, exec_lo
	s_delay_alu instid0(SALU_CYCLE_1)
	s_or_b32 s19, s0, s19
.LBB561_886:                            ;   in Loop: Header=BB561_887 Depth=1
	v_dual_mov_b32 v64, s15 :: v_dual_mov_b32 v63, s14
	s_and_b32 s0, exec_lo, s19
	s_delay_alu instid0(SALU_CYCLE_1) | instskip(NEXT) | instid1(SALU_CYCLE_1)
	s_or_b32 s18, s0, s18
	s_and_not1_b32 exec_lo, exec_lo, s18
	s_cbranch_execz .LBB561_889
.LBB561_887:                            ; =>This Inner Loop Header: Depth=1
	s_or_b32 s19, s19, exec_lo
	s_cmp_eq_u64 s[12:13], s[14:15]
	s_cbranch_scc0 .LBB561_885
; %bb.888:                              ;   in Loop: Header=BB561_887 Depth=1
	s_mov_b64 s[14:15], s[8:9]
                                        ; implicit-def: $vgpr57_vgpr58
                                        ; implicit-def: $vgpr61_vgpr62
	s_branch .LBB561_886
.LBB561_889:
	s_set_inst_prefetch_distance 0x2
	s_or_b32 exec_lo, exec_lo, s18
	v_cmp_gt_i64_e32 vcc_lo, s[8:9], v[63:64]
	s_mov_b32 s0, 0
	s_delay_alu instid0(SALU_CYCLE_1)
	v_mov_b32_e32 v162, s0
	v_cndmask_b32_e64 v161, 0, 1, vcc_lo
.LBB561_890:
	s_or_b32 exec_lo, exec_lo, s3
.LBB561_891:
	v_mul_lo_u32 v61, v4, s8
	v_mul_lo_u32 v62, v3, s9
	v_mad_u64_u32 v[57:58], null, v3, s8, 0
	v_cmp_ne_u32_e32 vcc_lo, 1, v65
	s_delay_alu instid0(VALU_DEP_2) | instskip(NEXT) | instid1(VALU_DEP_1)
	v_add3_u32 v58, v58, v62, v61
	v_lshlrev_b64 v[57:58], 3, v[57:58]
	s_cbranch_vccnz .LBB561_900
; %bb.892:
	v_add_co_u32 v61, vcc_lo, s10, v59
	v_add_co_ci_u32_e32 v62, vcc_lo, s11, v60, vcc_lo
	s_delay_alu instid0(VALU_DEP_3) | instskip(NEXT) | instid1(VALU_DEP_4)
	v_add_co_u32 v59, vcc_lo, s10, v57
	v_add_co_ci_u32_e32 v60, vcc_lo, s11, v58, vcc_lo
	v_mov_b32_e32 v163, 1
	s_clause 0x1
	global_load_b64 v[63:64], v[61:62], off
	global_load_b64 v[66:67], v[59:60], off
	v_mov_b32_e32 v164, 0
	s_mov_b32 s3, exec_lo
	s_waitcnt vmcnt(0)
	v_cmpx_eq_u64_e64 v[63:64], v[66:67]
	s_cbranch_execz .LBB561_899
; %bb.893:
	v_add_co_u32 v59, vcc_lo, v59, 8
	v_add_co_ci_u32_e32 v60, vcc_lo, 0, v60, vcc_lo
	v_add_co_u32 v61, vcc_lo, v61, 8
	v_add_co_ci_u32_e32 v62, vcc_lo, 0, v62, vcc_lo
	s_add_u32 s12, s8, -1
	s_addc_u32 s13, s9, -1
	s_mov_b64 s[14:15], 0
	s_mov_b32 s18, 0
                                        ; implicit-def: $sgpr19
	s_set_inst_prefetch_distance 0x1
	s_branch .LBB561_896
	.p2align	6
.LBB561_894:                            ;   in Loop: Header=BB561_896 Depth=1
	global_load_b64 v[63:64], v[61:62], off
	global_load_b64 v[66:67], v[59:60], off
	v_add_co_u32 v59, vcc_lo, v59, 8
	v_add_co_ci_u32_e32 v60, vcc_lo, 0, v60, vcc_lo
	v_add_co_u32 v61, s0, v61, 8
	s_delay_alu instid0(VALU_DEP_1)
	v_add_co_ci_u32_e64 v62, s0, 0, v62, s0
	s_add_u32 s14, s14, 1
	s_addc_u32 s15, s15, 0
	s_and_not1_b32 s0, s19, exec_lo
	s_waitcnt vmcnt(0)
	v_cmp_ne_u64_e32 vcc_lo, v[63:64], v[66:67]
	s_and_b32 s19, vcc_lo, exec_lo
	s_delay_alu instid0(SALU_CYCLE_1)
	s_or_b32 s19, s0, s19
.LBB561_895:                            ;   in Loop: Header=BB561_896 Depth=1
	v_dual_mov_b32 v64, s15 :: v_dual_mov_b32 v63, s14
	s_and_b32 s0, exec_lo, s19
	s_delay_alu instid0(SALU_CYCLE_1) | instskip(NEXT) | instid1(SALU_CYCLE_1)
	s_or_b32 s18, s0, s18
	s_and_not1_b32 exec_lo, exec_lo, s18
	s_cbranch_execz .LBB561_898
.LBB561_896:                            ; =>This Inner Loop Header: Depth=1
	s_or_b32 s19, s19, exec_lo
	s_cmp_eq_u64 s[12:13], s[14:15]
	s_cbranch_scc0 .LBB561_894
; %bb.897:                              ;   in Loop: Header=BB561_896 Depth=1
	s_mov_b64 s[14:15], s[8:9]
                                        ; implicit-def: $vgpr59_vgpr60
                                        ; implicit-def: $vgpr61_vgpr62
	s_branch .LBB561_895
.LBB561_898:
	s_set_inst_prefetch_distance 0x2
	s_or_b32 exec_lo, exec_lo, s18
	v_cmp_gt_i64_e32 vcc_lo, s[8:9], v[63:64]
	s_mov_b32 s0, 0
	s_delay_alu instid0(SALU_CYCLE_1)
	v_mov_b32_e32 v164, s0
	v_cndmask_b32_e64 v163, 0, 1, vcc_lo
.LBB561_899:
	s_or_b32 exec_lo, exec_lo, s3
.LBB561_900:
	v_cmp_ne_u32_e32 vcc_lo, 1, v65
	s_cbranch_vccnz .LBB561_907
; %bb.901:
	v_mul_lo_u32 v61, v2, s8
	v_mul_lo_u32 v62, v1, s9
	v_mad_u64_u32 v[59:60], null, v1, s8, 0
	v_mov_b32_e32 v165, 1
	v_mov_b32_e32 v166, 0
	s_mov_b32 s3, exec_lo
	s_delay_alu instid0(VALU_DEP_3) | instskip(NEXT) | instid1(VALU_DEP_1)
	v_add3_u32 v60, v60, v62, v61
	v_lshlrev_b64 v[61:62], 3, v[59:60]
	v_add_co_u32 v59, vcc_lo, s10, v57
	v_add_co_ci_u32_e32 v60, vcc_lo, s11, v58, vcc_lo
	s_delay_alu instid0(VALU_DEP_3) | instskip(NEXT) | instid1(VALU_DEP_4)
	v_add_co_u32 v57, vcc_lo, s10, v61
	v_add_co_ci_u32_e32 v58, vcc_lo, s11, v62, vcc_lo
	s_clause 0x1
	global_load_b64 v[61:62], v[59:60], off
	global_load_b64 v[63:64], v[57:58], off
	s_waitcnt vmcnt(0)
	v_cmpx_eq_u64_e64 v[61:62], v[63:64]
	s_cbranch_execz .LBB561_909
; %bb.902:
	v_add_co_u32 v57, vcc_lo, v57, 8
	v_add_co_ci_u32_e32 v58, vcc_lo, 0, v58, vcc_lo
	v_add_co_u32 v59, vcc_lo, v59, 8
	v_add_co_ci_u32_e32 v60, vcc_lo, 0, v60, vcc_lo
	s_add_u32 s12, s8, -1
	s_addc_u32 s13, s9, -1
	s_mov_b64 s[14:15], 0
	s_mov_b32 s18, 0
                                        ; implicit-def: $sgpr19
	s_set_inst_prefetch_distance 0x1
	s_branch .LBB561_905
	.p2align	6
.LBB561_903:                            ;   in Loop: Header=BB561_905 Depth=1
	global_load_b64 v[61:62], v[59:60], off
	global_load_b64 v[63:64], v[57:58], off
	v_add_co_u32 v57, vcc_lo, v57, 8
	v_add_co_ci_u32_e32 v58, vcc_lo, 0, v58, vcc_lo
	v_add_co_u32 v59, s0, v59, 8
	s_delay_alu instid0(VALU_DEP_1)
	v_add_co_ci_u32_e64 v60, s0, 0, v60, s0
	s_add_u32 s14, s14, 1
	s_addc_u32 s15, s15, 0
	s_and_not1_b32 s0, s19, exec_lo
	s_waitcnt vmcnt(0)
	v_cmp_ne_u64_e32 vcc_lo, v[61:62], v[63:64]
	s_and_b32 s19, vcc_lo, exec_lo
	s_delay_alu instid0(SALU_CYCLE_1)
	s_or_b32 s19, s0, s19
.LBB561_904:                            ;   in Loop: Header=BB561_905 Depth=1
	v_dual_mov_b32 v62, s15 :: v_dual_mov_b32 v61, s14
	s_and_b32 s0, exec_lo, s19
	s_delay_alu instid0(SALU_CYCLE_1) | instskip(NEXT) | instid1(SALU_CYCLE_1)
	s_or_b32 s18, s0, s18
	s_and_not1_b32 exec_lo, exec_lo, s18
	s_cbranch_execz .LBB561_908
.LBB561_905:                            ; =>This Inner Loop Header: Depth=1
	s_or_b32 s19, s19, exec_lo
	s_cmp_eq_u64 s[12:13], s[14:15]
	s_cbranch_scc0 .LBB561_903
; %bb.906:                              ;   in Loop: Header=BB561_905 Depth=1
	s_mov_b64 s[14:15], s[8:9]
                                        ; implicit-def: $vgpr57_vgpr58
                                        ; implicit-def: $vgpr59_vgpr60
	s_branch .LBB561_904
.LBB561_907:
	v_mov_b32_e32 v165, 0
	v_mov_b32_e32 v166, 0
	s_branch .LBB561_910
.LBB561_908:
	s_set_inst_prefetch_distance 0x2
	s_or_b32 exec_lo, exec_lo, s18
	v_cmp_gt_i64_e32 vcc_lo, s[8:9], v[61:62]
	s_mov_b32 s0, 0
	s_delay_alu instid0(SALU_CYCLE_1)
	v_mov_b32_e32 v166, s0
	v_cndmask_b32_e64 v165, 0, 1, vcc_lo
.LBB561_909:
	s_or_b32 exec_lo, exec_lo, s3
.LBB561_910:
	s_mov_b32 s3, 0
	s_mov_b32 s18, exec_lo
	s_waitcnt lgkmcnt(0)
	s_barrier
	buffer_gl0_inv
                                        ; implicit-def: $sgpr0
	v_cmpx_ne_u32_e32 0, v0
	s_cbranch_execz .LBB561_922
; %bb.911:
	v_cmp_ne_u32_e32 vcc_lo, 1, v65
	s_cbranch_vccnz .LBB561_918
; %bb.912:
	v_add_nc_u32_e32 v57, -8, v195
	v_mul_lo_u32 v63, v2, s8
	v_mul_lo_u32 v64, v1, s9
	v_mad_u64_u32 v[59:60], null, v1, s8, 0
	ds_load_b64 v[57:58], v57
	s_mov_b32 s0, -1
	s_mov_b32 s19, exec_lo
	v_add3_u32 v60, v60, v64, v63
	s_waitcnt lgkmcnt(0)
	v_mul_lo_u32 v58, v58, s8
	v_mul_lo_u32 v65, v57, s9
	v_mad_u64_u32 v[61:62], null, v57, s8, 0
	s_delay_alu instid0(VALU_DEP_1) | instskip(SKIP_1) | instid1(VALU_DEP_2)
	v_add3_u32 v62, v62, v65, v58
	v_lshlrev_b64 v[57:58], 3, v[59:60]
	v_lshlrev_b64 v[61:62], 3, v[61:62]
	s_delay_alu instid0(VALU_DEP_2) | instskip(NEXT) | instid1(VALU_DEP_3)
	v_add_co_u32 v59, vcc_lo, s10, v57
	v_add_co_ci_u32_e32 v60, vcc_lo, s11, v58, vcc_lo
	s_delay_alu instid0(VALU_DEP_3) | instskip(NEXT) | instid1(VALU_DEP_4)
	v_add_co_u32 v57, vcc_lo, s10, v61
	v_add_co_ci_u32_e32 v58, vcc_lo, s11, v62, vcc_lo
	s_clause 0x1
	global_load_b64 v[61:62], v[59:60], off
	global_load_b64 v[63:64], v[57:58], off
	s_waitcnt vmcnt(0)
	v_cmpx_eq_u64_e64 v[61:62], v[63:64]
	s_cbranch_execz .LBB561_920
; %bb.913:
	v_add_co_u32 v57, vcc_lo, v57, 8
	v_add_co_ci_u32_e32 v58, vcc_lo, 0, v58, vcc_lo
	v_add_co_u32 v59, vcc_lo, v59, 8
	v_add_co_ci_u32_e32 v60, vcc_lo, 0, v60, vcc_lo
	s_add_u32 s12, s8, -1
	s_addc_u32 s13, s9, -1
	s_mov_b64 s[14:15], 0
	s_mov_b32 s20, 0
                                        ; implicit-def: $sgpr21
	s_set_inst_prefetch_distance 0x1
	s_branch .LBB561_916
	.p2align	6
.LBB561_914:                            ;   in Loop: Header=BB561_916 Depth=1
	global_load_b64 v[61:62], v[59:60], off
	global_load_b64 v[63:64], v[57:58], off
	v_add_co_u32 v57, vcc_lo, v57, 8
	v_add_co_ci_u32_e32 v58, vcc_lo, 0, v58, vcc_lo
	v_add_co_u32 v59, s0, v59, 8
	s_delay_alu instid0(VALU_DEP_1)
	v_add_co_ci_u32_e64 v60, s0, 0, v60, s0
	s_add_u32 s14, s14, 1
	s_addc_u32 s15, s15, 0
	s_and_not1_b32 s0, s21, exec_lo
	s_waitcnt vmcnt(0)
	v_cmp_ne_u64_e32 vcc_lo, v[61:62], v[63:64]
	s_and_b32 s21, vcc_lo, exec_lo
	s_delay_alu instid0(SALU_CYCLE_1)
	s_or_b32 s21, s0, s21
.LBB561_915:                            ;   in Loop: Header=BB561_916 Depth=1
	v_dual_mov_b32 v62, s15 :: v_dual_mov_b32 v61, s14
	s_and_b32 s0, exec_lo, s21
	s_delay_alu instid0(SALU_CYCLE_1) | instskip(NEXT) | instid1(SALU_CYCLE_1)
	s_or_b32 s20, s0, s20
	s_and_not1_b32 exec_lo, exec_lo, s20
	s_cbranch_execz .LBB561_919
.LBB561_916:                            ; =>This Inner Loop Header: Depth=1
	s_or_b32 s21, s21, exec_lo
	s_cmp_eq_u64 s[12:13], s[14:15]
	s_cbranch_scc0 .LBB561_914
; %bb.917:                              ;   in Loop: Header=BB561_916 Depth=1
	s_mov_b64 s[14:15], s[8:9]
                                        ; implicit-def: $vgpr57_vgpr58
                                        ; implicit-def: $vgpr59_vgpr60
	s_branch .LBB561_915
.LBB561_918:
	s_mov_b32 s0, 0
	s_branch .LBB561_921
.LBB561_919:
	s_set_inst_prefetch_distance 0x2
	s_or_b32 exec_lo, exec_lo, s20
	v_cmp_gt_i64_e32 vcc_lo, s[8:9], v[61:62]
	s_or_not1_b32 s0, vcc_lo, exec_lo
.LBB561_920:
	s_or_b32 exec_lo, exec_lo, s19
.LBB561_921:
	s_delay_alu instid0(SALU_CYCLE_1)
	s_and_b32 s0, s0, exec_lo
	s_or_b32 s1, s1, exec_lo
.LBB561_922:
	s_or_b32 exec_lo, exec_lo, s18
	v_dual_mov_b32 v182, v166 :: v_dual_mov_b32 v181, v165
	v_dual_mov_b32 v168, v164 :: v_dual_mov_b32 v167, v163
	;; [unrolled: 1-line block ×27, first 2 shown]
	s_and_b32 vcc_lo, exec_lo, s3
	s_cbranch_vccz .LBB561_1243
.LBB561_923:
	v_cmp_gt_i64_e64 s0, s[8:9], 0
	s_waitcnt lgkmcnt(0)
	v_mad_u32_u24 v57, v0, 29, 28
	v_mul_u32_u24_e32 v64, 29, v0
	s_mov_b32 s3, exec_lo
	ds_store_b64 v195, v[109:110]
	v_cndmask_b32_e64 v63, 0, 1, s0
	v_cmpx_gt_u32_e64 s6, v57
	s_cbranch_execz .LBB561_934
; %bb.924:
	s_and_not1_b32 vcc_lo, exec_lo, s0
	s_cbranch_vccnz .LBB561_931
; %bb.925:
	v_mul_lo_u32 v61, v110, s8
	v_mul_lo_u32 v62, v109, s9
	v_mad_u64_u32 v[57:58], null, v109, s8, 0
	v_mul_lo_u32 v65, v8, s8
	v_mul_lo_u32 v66, v7, s9
	v_mad_u64_u32 v[59:60], null, v7, s8, 0
	v_mov_b32_e32 v109, 1
	v_mov_b32_e32 v110, 0
	v_add3_u32 v58, v58, v62, v61
	s_mov_b32 s18, exec_lo
	s_delay_alu instid0(VALU_DEP_4) | instskip(NEXT) | instid1(VALU_DEP_2)
	v_add3_u32 v60, v60, v66, v65
	v_lshlrev_b64 v[57:58], 3, v[57:58]
	s_delay_alu instid0(VALU_DEP_2) | instskip(NEXT) | instid1(VALU_DEP_2)
	v_lshlrev_b64 v[61:62], 3, v[59:60]
	v_add_co_u32 v59, vcc_lo, s10, v57
	s_delay_alu instid0(VALU_DEP_3) | instskip(NEXT) | instid1(VALU_DEP_3)
	v_add_co_ci_u32_e32 v60, vcc_lo, s11, v58, vcc_lo
	v_add_co_u32 v57, vcc_lo, s10, v61
	s_delay_alu instid0(VALU_DEP_4)
	v_add_co_ci_u32_e32 v58, vcc_lo, s11, v62, vcc_lo
	s_clause 0x1
	global_load_b64 v[61:62], v[59:60], off
	global_load_b64 v[65:66], v[57:58], off
	s_waitcnt vmcnt(0)
	v_cmpx_eq_u64_e64 v[61:62], v[65:66]
	s_cbranch_execz .LBB561_933
; %bb.926:
	v_add_co_u32 v57, vcc_lo, v57, 8
	v_add_co_ci_u32_e32 v58, vcc_lo, 0, v58, vcc_lo
	v_add_co_u32 v59, vcc_lo, v59, 8
	v_add_co_ci_u32_e32 v60, vcc_lo, 0, v60, vcc_lo
	s_add_u32 s12, s8, -1
	s_addc_u32 s13, s9, -1
	s_mov_b64 s[14:15], 0
	s_mov_b32 s19, 0
                                        ; implicit-def: $sgpr20
	s_set_inst_prefetch_distance 0x1
	s_branch .LBB561_929
	.p2align	6
.LBB561_927:                            ;   in Loop: Header=BB561_929 Depth=1
	global_load_b64 v[61:62], v[59:60], off
	global_load_b64 v[65:66], v[57:58], off
	v_add_co_u32 v57, vcc_lo, v57, 8
	v_add_co_ci_u32_e32 v58, vcc_lo, 0, v58, vcc_lo
	v_add_co_u32 v59, s0, v59, 8
	s_delay_alu instid0(VALU_DEP_1)
	v_add_co_ci_u32_e64 v60, s0, 0, v60, s0
	s_add_u32 s14, s14, 1
	s_addc_u32 s15, s15, 0
	s_and_not1_b32 s0, s20, exec_lo
	s_waitcnt vmcnt(0)
	v_cmp_ne_u64_e32 vcc_lo, v[61:62], v[65:66]
	s_and_b32 s20, vcc_lo, exec_lo
	s_delay_alu instid0(SALU_CYCLE_1)
	s_or_b32 s20, s0, s20
.LBB561_928:                            ;   in Loop: Header=BB561_929 Depth=1
	v_dual_mov_b32 v62, s15 :: v_dual_mov_b32 v61, s14
	s_and_b32 s0, exec_lo, s20
	s_delay_alu instid0(SALU_CYCLE_1) | instskip(NEXT) | instid1(SALU_CYCLE_1)
	s_or_b32 s19, s0, s19
	s_and_not1_b32 exec_lo, exec_lo, s19
	s_cbranch_execz .LBB561_932
.LBB561_929:                            ; =>This Inner Loop Header: Depth=1
	s_or_b32 s20, s20, exec_lo
	s_cmp_eq_u64 s[12:13], s[14:15]
	s_cbranch_scc0 .LBB561_927
; %bb.930:                              ;   in Loop: Header=BB561_929 Depth=1
	s_mov_b64 s[14:15], s[8:9]
                                        ; implicit-def: $vgpr57_vgpr58
                                        ; implicit-def: $vgpr59_vgpr60
	s_branch .LBB561_928
.LBB561_931:
	v_mov_b32_e32 v109, 0
	v_mov_b32_e32 v110, 0
	s_branch .LBB561_934
.LBB561_932:
	s_set_inst_prefetch_distance 0x2
	s_or_b32 exec_lo, exec_lo, s19
	v_cmp_gt_i64_e32 vcc_lo, s[8:9], v[61:62]
	s_mov_b32 s0, 0
	s_delay_alu instid0(SALU_CYCLE_1)
	v_mov_b32_e32 v110, s0
	v_cndmask_b32_e64 v109, 0, 1, vcc_lo
.LBB561_933:
	s_or_b32 exec_lo, exec_lo, s18
.LBB561_934:
	s_delay_alu instid0(SALU_CYCLE_1) | instskip(SKIP_2) | instid1(VALU_DEP_1)
	s_or_b32 exec_lo, exec_lo, s3
	v_add_nc_u32_e32 v57, 27, v64
	s_mov_b32 s3, exec_lo
	v_cmpx_gt_u32_e64 s6, v57
	s_cbranch_execz .LBB561_945
; %bb.935:
	v_cmp_ne_u32_e32 vcc_lo, 1, v63
	s_cbranch_vccnz .LBB561_942
; %bb.936:
	v_mul_lo_u32 v59, v8, s8
	v_mul_lo_u32 v60, v7, s9
	v_mad_u64_u32 v[57:58], null, v7, s8, 0
	v_mul_lo_u32 v61, v6, s8
	v_mul_lo_u32 v62, v5, s9
	v_mad_u64_u32 v[7:8], null, v5, s8, 0
	s_delay_alu instid0(VALU_DEP_4) | instskip(NEXT) | instid1(VALU_DEP_2)
	v_add3_u32 v58, v58, v60, v59
	v_add3_u32 v8, v8, v62, v61
	s_delay_alu instid0(VALU_DEP_2) | instskip(NEXT) | instid1(VALU_DEP_2)
	v_lshlrev_b64 v[57:58], 3, v[57:58]
	v_lshlrev_b64 v[7:8], 3, v[7:8]
	s_delay_alu instid0(VALU_DEP_2) | instskip(NEXT) | instid1(VALU_DEP_3)
	v_add_co_u32 v57, vcc_lo, s10, v57
	v_add_co_ci_u32_e32 v58, vcc_lo, s11, v58, vcc_lo
	s_delay_alu instid0(VALU_DEP_3) | instskip(NEXT) | instid1(VALU_DEP_4)
	v_add_co_u32 v59, vcc_lo, s10, v7
	v_add_co_ci_u32_e32 v60, vcc_lo, s11, v8, vcc_lo
	s_clause 0x1
	global_load_b64 v[7:8], v[57:58], off
	global_load_b64 v[61:62], v[59:60], off
	s_waitcnt vmcnt(0)
	v_cmp_eq_u64_e32 vcc_lo, v[7:8], v[61:62]
	v_mov_b32_e32 v7, 1
	v_mov_b32_e32 v8, 0
	s_and_saveexec_b32 s18, vcc_lo
	s_cbranch_execz .LBB561_944
; %bb.937:
	v_add_co_u32 v7, vcc_lo, v59, 8
	v_add_co_ci_u32_e32 v8, vcc_lo, 0, v60, vcc_lo
	v_add_co_u32 v57, vcc_lo, v57, 8
	v_add_co_ci_u32_e32 v58, vcc_lo, 0, v58, vcc_lo
	s_add_u32 s12, s8, -1
	s_addc_u32 s13, s9, -1
	s_mov_b64 s[14:15], 0
	s_mov_b32 s19, 0
                                        ; implicit-def: $sgpr20
	s_set_inst_prefetch_distance 0x1
	s_branch .LBB561_940
	.p2align	6
.LBB561_938:                            ;   in Loop: Header=BB561_940 Depth=1
	global_load_b64 v[59:60], v[57:58], off
	global_load_b64 v[61:62], v[7:8], off
	v_add_co_u32 v7, vcc_lo, v7, 8
	v_add_co_ci_u32_e32 v8, vcc_lo, 0, v8, vcc_lo
	v_add_co_u32 v57, s0, v57, 8
	s_delay_alu instid0(VALU_DEP_1)
	v_add_co_ci_u32_e64 v58, s0, 0, v58, s0
	s_add_u32 s14, s14, 1
	s_addc_u32 s15, s15, 0
	s_and_not1_b32 s0, s20, exec_lo
	s_waitcnt vmcnt(0)
	v_cmp_ne_u64_e32 vcc_lo, v[59:60], v[61:62]
	s_and_b32 s20, vcc_lo, exec_lo
	s_delay_alu instid0(SALU_CYCLE_1)
	s_or_b32 s20, s0, s20
.LBB561_939:                            ;   in Loop: Header=BB561_940 Depth=1
	v_dual_mov_b32 v60, s15 :: v_dual_mov_b32 v59, s14
	s_and_b32 s0, exec_lo, s20
	s_delay_alu instid0(SALU_CYCLE_1) | instskip(NEXT) | instid1(SALU_CYCLE_1)
	s_or_b32 s19, s0, s19
	s_and_not1_b32 exec_lo, exec_lo, s19
	s_cbranch_execz .LBB561_943
.LBB561_940:                            ; =>This Inner Loop Header: Depth=1
	s_or_b32 s20, s20, exec_lo
	s_cmp_eq_u64 s[12:13], s[14:15]
	s_cbranch_scc0 .LBB561_938
; %bb.941:                              ;   in Loop: Header=BB561_940 Depth=1
	s_mov_b64 s[14:15], s[8:9]
                                        ; implicit-def: $vgpr7_vgpr8
                                        ; implicit-def: $vgpr57_vgpr58
	s_branch .LBB561_939
.LBB561_942:
	v_mov_b32_e32 v7, 0
	v_mov_b32_e32 v8, 0
	s_branch .LBB561_945
.LBB561_943:
	s_set_inst_prefetch_distance 0x2
	s_or_b32 exec_lo, exec_lo, s19
	v_cmp_gt_i64_e32 vcc_lo, s[8:9], v[59:60]
	s_mov_b32 s0, 0
	s_delay_alu instid0(SALU_CYCLE_1)
	v_mov_b32_e32 v8, s0
	v_cndmask_b32_e64 v7, 0, 1, vcc_lo
.LBB561_944:
	s_or_b32 exec_lo, exec_lo, s18
.LBB561_945:
	s_delay_alu instid0(SALU_CYCLE_1) | instskip(SKIP_2) | instid1(VALU_DEP_1)
	s_or_b32 exec_lo, exec_lo, s3
	v_add_nc_u32_e32 v57, 26, v64
	s_mov_b32 s3, exec_lo
	v_cmpx_gt_u32_e64 s6, v57
	s_cbranch_execz .LBB561_956
; %bb.946:
	v_cmp_ne_u32_e32 vcc_lo, 1, v63
	s_cbranch_vccnz .LBB561_953
; %bb.947:
	v_mul_lo_u32 v59, v6, s8
	v_mul_lo_u32 v60, v5, s9
	v_mad_u64_u32 v[57:58], null, v5, s8, 0
	v_mul_lo_u32 v61, v12, s8
	v_mul_lo_u32 v62, v11, s9
	v_mad_u64_u32 v[5:6], null, v11, s8, 0
	s_delay_alu instid0(VALU_DEP_4) | instskip(NEXT) | instid1(VALU_DEP_2)
	v_add3_u32 v58, v58, v60, v59
	v_add3_u32 v6, v6, v62, v61
	s_delay_alu instid0(VALU_DEP_2) | instskip(NEXT) | instid1(VALU_DEP_2)
	v_lshlrev_b64 v[57:58], 3, v[57:58]
	v_lshlrev_b64 v[5:6], 3, v[5:6]
	s_delay_alu instid0(VALU_DEP_2) | instskip(NEXT) | instid1(VALU_DEP_3)
	v_add_co_u32 v57, vcc_lo, s10, v57
	v_add_co_ci_u32_e32 v58, vcc_lo, s11, v58, vcc_lo
	s_delay_alu instid0(VALU_DEP_3) | instskip(NEXT) | instid1(VALU_DEP_4)
	v_add_co_u32 v59, vcc_lo, s10, v5
	v_add_co_ci_u32_e32 v60, vcc_lo, s11, v6, vcc_lo
	s_clause 0x1
	global_load_b64 v[5:6], v[57:58], off
	global_load_b64 v[61:62], v[59:60], off
	s_waitcnt vmcnt(0)
	v_cmp_eq_u64_e32 vcc_lo, v[5:6], v[61:62]
	v_mov_b32_e32 v5, 1
	v_mov_b32_e32 v6, 0
	s_and_saveexec_b32 s18, vcc_lo
	s_cbranch_execz .LBB561_955
; %bb.948:
	v_add_co_u32 v5, vcc_lo, v59, 8
	v_add_co_ci_u32_e32 v6, vcc_lo, 0, v60, vcc_lo
	v_add_co_u32 v57, vcc_lo, v57, 8
	v_add_co_ci_u32_e32 v58, vcc_lo, 0, v58, vcc_lo
	s_add_u32 s12, s8, -1
	s_addc_u32 s13, s9, -1
	s_mov_b64 s[14:15], 0
	s_mov_b32 s19, 0
                                        ; implicit-def: $sgpr20
	s_set_inst_prefetch_distance 0x1
	s_branch .LBB561_951
	.p2align	6
.LBB561_949:                            ;   in Loop: Header=BB561_951 Depth=1
	global_load_b64 v[59:60], v[57:58], off
	global_load_b64 v[61:62], v[5:6], off
	v_add_co_u32 v5, vcc_lo, v5, 8
	v_add_co_ci_u32_e32 v6, vcc_lo, 0, v6, vcc_lo
	v_add_co_u32 v57, s0, v57, 8
	s_delay_alu instid0(VALU_DEP_1)
	v_add_co_ci_u32_e64 v58, s0, 0, v58, s0
	s_add_u32 s14, s14, 1
	s_addc_u32 s15, s15, 0
	s_and_not1_b32 s0, s20, exec_lo
	s_waitcnt vmcnt(0)
	v_cmp_ne_u64_e32 vcc_lo, v[59:60], v[61:62]
	s_and_b32 s20, vcc_lo, exec_lo
	s_delay_alu instid0(SALU_CYCLE_1)
	s_or_b32 s20, s0, s20
.LBB561_950:                            ;   in Loop: Header=BB561_951 Depth=1
	v_dual_mov_b32 v60, s15 :: v_dual_mov_b32 v59, s14
	s_and_b32 s0, exec_lo, s20
	s_delay_alu instid0(SALU_CYCLE_1) | instskip(NEXT) | instid1(SALU_CYCLE_1)
	s_or_b32 s19, s0, s19
	s_and_not1_b32 exec_lo, exec_lo, s19
	s_cbranch_execz .LBB561_954
.LBB561_951:                            ; =>This Inner Loop Header: Depth=1
	s_or_b32 s20, s20, exec_lo
	s_cmp_eq_u64 s[12:13], s[14:15]
	s_cbranch_scc0 .LBB561_949
; %bb.952:                              ;   in Loop: Header=BB561_951 Depth=1
	s_mov_b64 s[14:15], s[8:9]
                                        ; implicit-def: $vgpr5_vgpr6
                                        ; implicit-def: $vgpr57_vgpr58
	s_branch .LBB561_950
.LBB561_953:
	v_mov_b32_e32 v5, 0
	v_mov_b32_e32 v6, 0
	s_branch .LBB561_956
.LBB561_954:
	s_set_inst_prefetch_distance 0x2
	s_or_b32 exec_lo, exec_lo, s19
	v_cmp_gt_i64_e32 vcc_lo, s[8:9], v[59:60]
	s_mov_b32 s0, 0
	s_delay_alu instid0(SALU_CYCLE_1)
	v_mov_b32_e32 v6, s0
	v_cndmask_b32_e64 v5, 0, 1, vcc_lo
.LBB561_955:
	s_or_b32 exec_lo, exec_lo, s18
.LBB561_956:
	s_delay_alu instid0(SALU_CYCLE_1) | instskip(SKIP_2) | instid1(VALU_DEP_1)
	s_or_b32 exec_lo, exec_lo, s3
	v_add_nc_u32_e32 v57, 25, v64
	s_mov_b32 s3, exec_lo
	v_cmpx_gt_u32_e64 s6, v57
	s_cbranch_execz .LBB561_967
; %bb.957:
	v_cmp_ne_u32_e32 vcc_lo, 1, v63
	s_cbranch_vccnz .LBB561_964
; %bb.958:
	v_mul_lo_u32 v59, v12, s8
	v_mul_lo_u32 v60, v11, s9
	v_mad_u64_u32 v[57:58], null, v11, s8, 0
	v_mul_lo_u32 v61, v10, s8
	v_mul_lo_u32 v62, v9, s9
	v_mad_u64_u32 v[11:12], null, v9, s8, 0
	s_delay_alu instid0(VALU_DEP_4) | instskip(NEXT) | instid1(VALU_DEP_2)
	v_add3_u32 v58, v58, v60, v59
	v_add3_u32 v12, v12, v62, v61
	s_delay_alu instid0(VALU_DEP_2) | instskip(NEXT) | instid1(VALU_DEP_2)
	v_lshlrev_b64 v[57:58], 3, v[57:58]
	v_lshlrev_b64 v[11:12], 3, v[11:12]
	s_delay_alu instid0(VALU_DEP_2) | instskip(NEXT) | instid1(VALU_DEP_3)
	v_add_co_u32 v57, vcc_lo, s10, v57
	v_add_co_ci_u32_e32 v58, vcc_lo, s11, v58, vcc_lo
	s_delay_alu instid0(VALU_DEP_3) | instskip(NEXT) | instid1(VALU_DEP_4)
	v_add_co_u32 v59, vcc_lo, s10, v11
	v_add_co_ci_u32_e32 v60, vcc_lo, s11, v12, vcc_lo
	s_clause 0x1
	global_load_b64 v[11:12], v[57:58], off
	global_load_b64 v[61:62], v[59:60], off
	s_waitcnt vmcnt(0)
	v_cmp_eq_u64_e32 vcc_lo, v[11:12], v[61:62]
	v_mov_b32_e32 v11, 1
	v_mov_b32_e32 v12, 0
	s_and_saveexec_b32 s18, vcc_lo
	s_cbranch_execz .LBB561_966
; %bb.959:
	v_add_co_u32 v11, vcc_lo, v59, 8
	v_add_co_ci_u32_e32 v12, vcc_lo, 0, v60, vcc_lo
	v_add_co_u32 v57, vcc_lo, v57, 8
	v_add_co_ci_u32_e32 v58, vcc_lo, 0, v58, vcc_lo
	s_add_u32 s12, s8, -1
	s_addc_u32 s13, s9, -1
	s_mov_b64 s[14:15], 0
	s_mov_b32 s19, 0
                                        ; implicit-def: $sgpr20
	s_set_inst_prefetch_distance 0x1
	s_branch .LBB561_962
	.p2align	6
.LBB561_960:                            ;   in Loop: Header=BB561_962 Depth=1
	global_load_b64 v[59:60], v[57:58], off
	global_load_b64 v[61:62], v[11:12], off
	v_add_co_u32 v11, vcc_lo, v11, 8
	v_add_co_ci_u32_e32 v12, vcc_lo, 0, v12, vcc_lo
	v_add_co_u32 v57, s0, v57, 8
	s_delay_alu instid0(VALU_DEP_1)
	v_add_co_ci_u32_e64 v58, s0, 0, v58, s0
	s_add_u32 s14, s14, 1
	s_addc_u32 s15, s15, 0
	s_and_not1_b32 s0, s20, exec_lo
	s_waitcnt vmcnt(0)
	v_cmp_ne_u64_e32 vcc_lo, v[59:60], v[61:62]
	s_and_b32 s20, vcc_lo, exec_lo
	s_delay_alu instid0(SALU_CYCLE_1)
	s_or_b32 s20, s0, s20
.LBB561_961:                            ;   in Loop: Header=BB561_962 Depth=1
	v_dual_mov_b32 v60, s15 :: v_dual_mov_b32 v59, s14
	s_and_b32 s0, exec_lo, s20
	s_delay_alu instid0(SALU_CYCLE_1) | instskip(NEXT) | instid1(SALU_CYCLE_1)
	s_or_b32 s19, s0, s19
	s_and_not1_b32 exec_lo, exec_lo, s19
	s_cbranch_execz .LBB561_965
.LBB561_962:                            ; =>This Inner Loop Header: Depth=1
	s_or_b32 s20, s20, exec_lo
	s_cmp_eq_u64 s[12:13], s[14:15]
	s_cbranch_scc0 .LBB561_960
; %bb.963:                              ;   in Loop: Header=BB561_962 Depth=1
	s_mov_b64 s[14:15], s[8:9]
                                        ; implicit-def: $vgpr11_vgpr12
                                        ; implicit-def: $vgpr57_vgpr58
	s_branch .LBB561_961
.LBB561_964:
	v_mov_b32_e32 v11, 0
	v_mov_b32_e32 v12, 0
	s_branch .LBB561_967
.LBB561_965:
	s_set_inst_prefetch_distance 0x2
	s_or_b32 exec_lo, exec_lo, s19
	v_cmp_gt_i64_e32 vcc_lo, s[8:9], v[59:60]
	s_mov_b32 s0, 0
	s_delay_alu instid0(SALU_CYCLE_1)
	v_mov_b32_e32 v12, s0
	v_cndmask_b32_e64 v11, 0, 1, vcc_lo
.LBB561_966:
	s_or_b32 exec_lo, exec_lo, s18
.LBB561_967:
	s_delay_alu instid0(SALU_CYCLE_1) | instskip(SKIP_2) | instid1(VALU_DEP_1)
	s_or_b32 exec_lo, exec_lo, s3
	v_add_nc_u32_e32 v57, 24, v64
	s_mov_b32 s3, exec_lo
	v_cmpx_gt_u32_e64 s6, v57
	s_cbranch_execz .LBB561_978
; %bb.968:
	v_cmp_ne_u32_e32 vcc_lo, 1, v63
	s_cbranch_vccnz .LBB561_975
; %bb.969:
	v_mul_lo_u32 v59, v10, s8
	v_mul_lo_u32 v60, v9, s9
	v_mad_u64_u32 v[57:58], null, v9, s8, 0
	v_mul_lo_u32 v61, v56, s8
	v_mul_lo_u32 v62, v55, s9
	v_mad_u64_u32 v[9:10], null, v55, s8, 0
	s_delay_alu instid0(VALU_DEP_4) | instskip(NEXT) | instid1(VALU_DEP_2)
	v_add3_u32 v58, v58, v60, v59
	v_add3_u32 v10, v10, v62, v61
	s_delay_alu instid0(VALU_DEP_2) | instskip(NEXT) | instid1(VALU_DEP_2)
	v_lshlrev_b64 v[57:58], 3, v[57:58]
	v_lshlrev_b64 v[9:10], 3, v[9:10]
	s_delay_alu instid0(VALU_DEP_2) | instskip(NEXT) | instid1(VALU_DEP_3)
	v_add_co_u32 v57, vcc_lo, s10, v57
	v_add_co_ci_u32_e32 v58, vcc_lo, s11, v58, vcc_lo
	s_delay_alu instid0(VALU_DEP_3) | instskip(NEXT) | instid1(VALU_DEP_4)
	v_add_co_u32 v59, vcc_lo, s10, v9
	v_add_co_ci_u32_e32 v60, vcc_lo, s11, v10, vcc_lo
	s_clause 0x1
	global_load_b64 v[9:10], v[57:58], off
	global_load_b64 v[61:62], v[59:60], off
	s_waitcnt vmcnt(0)
	v_cmp_eq_u64_e32 vcc_lo, v[9:10], v[61:62]
	v_mov_b32_e32 v9, 1
	v_mov_b32_e32 v10, 0
	s_and_saveexec_b32 s18, vcc_lo
	s_cbranch_execz .LBB561_977
; %bb.970:
	v_add_co_u32 v9, vcc_lo, v59, 8
	v_add_co_ci_u32_e32 v10, vcc_lo, 0, v60, vcc_lo
	v_add_co_u32 v57, vcc_lo, v57, 8
	v_add_co_ci_u32_e32 v58, vcc_lo, 0, v58, vcc_lo
	s_add_u32 s12, s8, -1
	s_addc_u32 s13, s9, -1
	s_mov_b64 s[14:15], 0
	s_mov_b32 s19, 0
                                        ; implicit-def: $sgpr20
	s_set_inst_prefetch_distance 0x1
	s_branch .LBB561_973
	.p2align	6
.LBB561_971:                            ;   in Loop: Header=BB561_973 Depth=1
	global_load_b64 v[59:60], v[57:58], off
	global_load_b64 v[61:62], v[9:10], off
	v_add_co_u32 v9, vcc_lo, v9, 8
	v_add_co_ci_u32_e32 v10, vcc_lo, 0, v10, vcc_lo
	v_add_co_u32 v57, s0, v57, 8
	s_delay_alu instid0(VALU_DEP_1)
	v_add_co_ci_u32_e64 v58, s0, 0, v58, s0
	s_add_u32 s14, s14, 1
	s_addc_u32 s15, s15, 0
	s_and_not1_b32 s0, s20, exec_lo
	s_waitcnt vmcnt(0)
	v_cmp_ne_u64_e32 vcc_lo, v[59:60], v[61:62]
	s_and_b32 s20, vcc_lo, exec_lo
	s_delay_alu instid0(SALU_CYCLE_1)
	s_or_b32 s20, s0, s20
.LBB561_972:                            ;   in Loop: Header=BB561_973 Depth=1
	v_dual_mov_b32 v60, s15 :: v_dual_mov_b32 v59, s14
	s_and_b32 s0, exec_lo, s20
	s_delay_alu instid0(SALU_CYCLE_1) | instskip(NEXT) | instid1(SALU_CYCLE_1)
	s_or_b32 s19, s0, s19
	s_and_not1_b32 exec_lo, exec_lo, s19
	s_cbranch_execz .LBB561_976
.LBB561_973:                            ; =>This Inner Loop Header: Depth=1
	s_or_b32 s20, s20, exec_lo
	s_cmp_eq_u64 s[12:13], s[14:15]
	s_cbranch_scc0 .LBB561_971
; %bb.974:                              ;   in Loop: Header=BB561_973 Depth=1
	s_mov_b64 s[14:15], s[8:9]
                                        ; implicit-def: $vgpr9_vgpr10
                                        ; implicit-def: $vgpr57_vgpr58
	s_branch .LBB561_972
.LBB561_975:
	v_mov_b32_e32 v9, 0
	v_mov_b32_e32 v10, 0
	s_branch .LBB561_978
.LBB561_976:
	s_set_inst_prefetch_distance 0x2
	s_or_b32 exec_lo, exec_lo, s19
	v_cmp_gt_i64_e32 vcc_lo, s[8:9], v[59:60]
	s_mov_b32 s0, 0
	s_delay_alu instid0(SALU_CYCLE_1)
	v_mov_b32_e32 v10, s0
	v_cndmask_b32_e64 v9, 0, 1, vcc_lo
.LBB561_977:
	s_or_b32 exec_lo, exec_lo, s18
.LBB561_978:
	s_delay_alu instid0(SALU_CYCLE_1) | instskip(SKIP_2) | instid1(VALU_DEP_1)
	s_or_b32 exec_lo, exec_lo, s3
	v_add_nc_u32_e32 v57, 23, v64
	s_mov_b32 s3, exec_lo
	v_cmpx_gt_u32_e64 s6, v57
	s_cbranch_execz .LBB561_989
; %bb.979:
	v_cmp_ne_u32_e32 vcc_lo, 1, v63
	s_cbranch_vccnz .LBB561_986
; %bb.980:
	v_mul_lo_u32 v60, v56, s8
	v_mul_lo_u32 v61, v55, s9
	v_mad_u64_u32 v[56:57], null, v55, s8, 0
	v_mul_lo_u32 v55, v54, s8
	v_mul_lo_u32 v62, v53, s9
	v_mad_u64_u32 v[58:59], null, v53, s8, 0
	s_delay_alu instid0(VALU_DEP_4) | instskip(NEXT) | instid1(VALU_DEP_2)
	v_add3_u32 v57, v57, v61, v60
	v_add3_u32 v59, v59, v62, v55
	s_delay_alu instid0(VALU_DEP_2) | instskip(NEXT) | instid1(VALU_DEP_2)
	v_lshlrev_b64 v[55:56], 3, v[56:57]
	v_lshlrev_b64 v[59:60], 3, v[58:59]
	s_delay_alu instid0(VALU_DEP_2) | instskip(NEXT) | instid1(VALU_DEP_3)
	v_add_co_u32 v57, vcc_lo, s10, v55
	v_add_co_ci_u32_e32 v58, vcc_lo, s11, v56, vcc_lo
	s_delay_alu instid0(VALU_DEP_3) | instskip(NEXT) | instid1(VALU_DEP_4)
	v_add_co_u32 v59, vcc_lo, s10, v59
	v_add_co_ci_u32_e32 v60, vcc_lo, s11, v60, vcc_lo
	s_clause 0x1
	global_load_b64 v[55:56], v[57:58], off
	global_load_b64 v[61:62], v[59:60], off
	s_waitcnt vmcnt(0)
	v_cmp_eq_u64_e32 vcc_lo, v[55:56], v[61:62]
	v_mov_b32_e32 v55, 1
	v_mov_b32_e32 v56, 0
	s_and_saveexec_b32 s18, vcc_lo
	s_cbranch_execz .LBB561_988
; %bb.981:
	v_add_co_u32 v55, vcc_lo, v59, 8
	v_add_co_ci_u32_e32 v56, vcc_lo, 0, v60, vcc_lo
	v_add_co_u32 v57, vcc_lo, v57, 8
	v_add_co_ci_u32_e32 v58, vcc_lo, 0, v58, vcc_lo
	s_add_u32 s12, s8, -1
	s_addc_u32 s13, s9, -1
	s_mov_b64 s[14:15], 0
	s_mov_b32 s19, 0
                                        ; implicit-def: $sgpr20
	s_set_inst_prefetch_distance 0x1
	s_branch .LBB561_984
	.p2align	6
.LBB561_982:                            ;   in Loop: Header=BB561_984 Depth=1
	global_load_b64 v[59:60], v[57:58], off
	global_load_b64 v[61:62], v[55:56], off
	v_add_co_u32 v55, vcc_lo, v55, 8
	v_add_co_ci_u32_e32 v56, vcc_lo, 0, v56, vcc_lo
	v_add_co_u32 v57, s0, v57, 8
	s_delay_alu instid0(VALU_DEP_1)
	v_add_co_ci_u32_e64 v58, s0, 0, v58, s0
	s_add_u32 s14, s14, 1
	s_addc_u32 s15, s15, 0
	s_and_not1_b32 s0, s20, exec_lo
	s_waitcnt vmcnt(0)
	v_cmp_ne_u64_e32 vcc_lo, v[59:60], v[61:62]
	s_and_b32 s20, vcc_lo, exec_lo
	s_delay_alu instid0(SALU_CYCLE_1)
	s_or_b32 s20, s0, s20
.LBB561_983:                            ;   in Loop: Header=BB561_984 Depth=1
	v_dual_mov_b32 v60, s15 :: v_dual_mov_b32 v59, s14
	s_and_b32 s0, exec_lo, s20
	s_delay_alu instid0(SALU_CYCLE_1) | instskip(NEXT) | instid1(SALU_CYCLE_1)
	s_or_b32 s19, s0, s19
	s_and_not1_b32 exec_lo, exec_lo, s19
	s_cbranch_execz .LBB561_987
.LBB561_984:                            ; =>This Inner Loop Header: Depth=1
	s_or_b32 s20, s20, exec_lo
	s_cmp_eq_u64 s[12:13], s[14:15]
	s_cbranch_scc0 .LBB561_982
; %bb.985:                              ;   in Loop: Header=BB561_984 Depth=1
	s_mov_b64 s[14:15], s[8:9]
                                        ; implicit-def: $vgpr55_vgpr56
                                        ; implicit-def: $vgpr57_vgpr58
	s_branch .LBB561_983
.LBB561_986:
	v_mov_b32_e32 v55, 0
	v_mov_b32_e32 v56, 0
	s_branch .LBB561_989
.LBB561_987:
	s_set_inst_prefetch_distance 0x2
	s_or_b32 exec_lo, exec_lo, s19
	v_cmp_gt_i64_e32 vcc_lo, s[8:9], v[59:60]
	s_mov_b32 s0, 0
	s_delay_alu instid0(SALU_CYCLE_1)
	v_mov_b32_e32 v56, s0
	v_cndmask_b32_e64 v55, 0, 1, vcc_lo
.LBB561_988:
	s_or_b32 exec_lo, exec_lo, s18
.LBB561_989:
	s_delay_alu instid0(SALU_CYCLE_1) | instskip(SKIP_2) | instid1(VALU_DEP_1)
	s_or_b32 exec_lo, exec_lo, s3
	v_add_nc_u32_e32 v57, 22, v64
	s_mov_b32 s3, exec_lo
	v_cmpx_gt_u32_e64 s6, v57
	s_cbranch_execz .LBB561_1000
; %bb.990:
	v_cmp_ne_u32_e32 vcc_lo, 1, v63
	s_cbranch_vccnz .LBB561_997
; %bb.991:
	v_mul_lo_u32 v59, v54, s8
	v_mul_lo_u32 v60, v53, s9
	v_mad_u64_u32 v[57:58], null, v53, s8, 0
	v_mul_lo_u32 v61, v52, s8
	v_mul_lo_u32 v62, v51, s9
	v_mad_u64_u32 v[53:54], null, v51, s8, 0
	s_delay_alu instid0(VALU_DEP_4) | instskip(NEXT) | instid1(VALU_DEP_2)
	v_add3_u32 v58, v58, v60, v59
	v_add3_u32 v54, v54, v62, v61
	s_delay_alu instid0(VALU_DEP_2) | instskip(NEXT) | instid1(VALU_DEP_2)
	v_lshlrev_b64 v[57:58], 3, v[57:58]
	v_lshlrev_b64 v[53:54], 3, v[53:54]
	s_delay_alu instid0(VALU_DEP_2) | instskip(NEXT) | instid1(VALU_DEP_3)
	v_add_co_u32 v57, vcc_lo, s10, v57
	v_add_co_ci_u32_e32 v58, vcc_lo, s11, v58, vcc_lo
	s_delay_alu instid0(VALU_DEP_3) | instskip(NEXT) | instid1(VALU_DEP_4)
	v_add_co_u32 v59, vcc_lo, s10, v53
	v_add_co_ci_u32_e32 v60, vcc_lo, s11, v54, vcc_lo
	s_clause 0x1
	global_load_b64 v[53:54], v[57:58], off
	global_load_b64 v[61:62], v[59:60], off
	s_waitcnt vmcnt(0)
	v_cmp_eq_u64_e32 vcc_lo, v[53:54], v[61:62]
	v_mov_b32_e32 v53, 1
	v_mov_b32_e32 v54, 0
	s_and_saveexec_b32 s18, vcc_lo
	s_cbranch_execz .LBB561_999
; %bb.992:
	v_add_co_u32 v53, vcc_lo, v59, 8
	v_add_co_ci_u32_e32 v54, vcc_lo, 0, v60, vcc_lo
	v_add_co_u32 v57, vcc_lo, v57, 8
	v_add_co_ci_u32_e32 v58, vcc_lo, 0, v58, vcc_lo
	s_add_u32 s12, s8, -1
	s_addc_u32 s13, s9, -1
	s_mov_b64 s[14:15], 0
	s_mov_b32 s19, 0
                                        ; implicit-def: $sgpr20
	s_set_inst_prefetch_distance 0x1
	s_branch .LBB561_995
	.p2align	6
.LBB561_993:                            ;   in Loop: Header=BB561_995 Depth=1
	global_load_b64 v[59:60], v[57:58], off
	global_load_b64 v[61:62], v[53:54], off
	v_add_co_u32 v53, vcc_lo, v53, 8
	v_add_co_ci_u32_e32 v54, vcc_lo, 0, v54, vcc_lo
	v_add_co_u32 v57, s0, v57, 8
	s_delay_alu instid0(VALU_DEP_1)
	v_add_co_ci_u32_e64 v58, s0, 0, v58, s0
	s_add_u32 s14, s14, 1
	s_addc_u32 s15, s15, 0
	s_and_not1_b32 s0, s20, exec_lo
	s_waitcnt vmcnt(0)
	v_cmp_ne_u64_e32 vcc_lo, v[59:60], v[61:62]
	s_and_b32 s20, vcc_lo, exec_lo
	s_delay_alu instid0(SALU_CYCLE_1)
	s_or_b32 s20, s0, s20
.LBB561_994:                            ;   in Loop: Header=BB561_995 Depth=1
	v_dual_mov_b32 v60, s15 :: v_dual_mov_b32 v59, s14
	s_and_b32 s0, exec_lo, s20
	s_delay_alu instid0(SALU_CYCLE_1) | instskip(NEXT) | instid1(SALU_CYCLE_1)
	s_or_b32 s19, s0, s19
	s_and_not1_b32 exec_lo, exec_lo, s19
	s_cbranch_execz .LBB561_998
.LBB561_995:                            ; =>This Inner Loop Header: Depth=1
	s_or_b32 s20, s20, exec_lo
	s_cmp_eq_u64 s[12:13], s[14:15]
	s_cbranch_scc0 .LBB561_993
; %bb.996:                              ;   in Loop: Header=BB561_995 Depth=1
	s_mov_b64 s[14:15], s[8:9]
                                        ; implicit-def: $vgpr53_vgpr54
                                        ; implicit-def: $vgpr57_vgpr58
	s_branch .LBB561_994
.LBB561_997:
	v_mov_b32_e32 v53, 0
	v_mov_b32_e32 v54, 0
	s_branch .LBB561_1000
.LBB561_998:
	s_set_inst_prefetch_distance 0x2
	s_or_b32 exec_lo, exec_lo, s19
	v_cmp_gt_i64_e32 vcc_lo, s[8:9], v[59:60]
	s_mov_b32 s0, 0
	s_delay_alu instid0(SALU_CYCLE_1)
	v_mov_b32_e32 v54, s0
	v_cndmask_b32_e64 v53, 0, 1, vcc_lo
.LBB561_999:
	s_or_b32 exec_lo, exec_lo, s18
.LBB561_1000:
	s_delay_alu instid0(SALU_CYCLE_1) | instskip(SKIP_2) | instid1(VALU_DEP_1)
	s_or_b32 exec_lo, exec_lo, s3
	v_add_nc_u32_e32 v57, 21, v64
	s_mov_b32 s3, exec_lo
	v_cmpx_gt_u32_e64 s6, v57
	s_cbranch_execz .LBB561_1011
; %bb.1001:
	v_cmp_ne_u32_e32 vcc_lo, 1, v63
	s_cbranch_vccnz .LBB561_1008
; %bb.1002:
	v_mul_lo_u32 v59, v52, s8
	v_mul_lo_u32 v60, v51, s9
	v_mad_u64_u32 v[57:58], null, v51, s8, 0
	v_mul_lo_u32 v61, v50, s8
	v_mul_lo_u32 v62, v49, s9
	v_mad_u64_u32 v[51:52], null, v49, s8, 0
	s_delay_alu instid0(VALU_DEP_4) | instskip(NEXT) | instid1(VALU_DEP_2)
	v_add3_u32 v58, v58, v60, v59
	v_add3_u32 v52, v52, v62, v61
	s_delay_alu instid0(VALU_DEP_2) | instskip(NEXT) | instid1(VALU_DEP_2)
	v_lshlrev_b64 v[57:58], 3, v[57:58]
	v_lshlrev_b64 v[51:52], 3, v[51:52]
	s_delay_alu instid0(VALU_DEP_2) | instskip(NEXT) | instid1(VALU_DEP_3)
	v_add_co_u32 v57, vcc_lo, s10, v57
	v_add_co_ci_u32_e32 v58, vcc_lo, s11, v58, vcc_lo
	s_delay_alu instid0(VALU_DEP_3) | instskip(NEXT) | instid1(VALU_DEP_4)
	v_add_co_u32 v59, vcc_lo, s10, v51
	v_add_co_ci_u32_e32 v60, vcc_lo, s11, v52, vcc_lo
	s_clause 0x1
	global_load_b64 v[51:52], v[57:58], off
	global_load_b64 v[61:62], v[59:60], off
	s_waitcnt vmcnt(0)
	v_cmp_eq_u64_e32 vcc_lo, v[51:52], v[61:62]
	v_mov_b32_e32 v51, 1
	v_mov_b32_e32 v52, 0
	s_and_saveexec_b32 s18, vcc_lo
	s_cbranch_execz .LBB561_1010
; %bb.1003:
	v_add_co_u32 v51, vcc_lo, v59, 8
	v_add_co_ci_u32_e32 v52, vcc_lo, 0, v60, vcc_lo
	v_add_co_u32 v57, vcc_lo, v57, 8
	v_add_co_ci_u32_e32 v58, vcc_lo, 0, v58, vcc_lo
	s_add_u32 s12, s8, -1
	s_addc_u32 s13, s9, -1
	s_mov_b64 s[14:15], 0
	s_mov_b32 s19, 0
                                        ; implicit-def: $sgpr20
	s_set_inst_prefetch_distance 0x1
	s_branch .LBB561_1006
	.p2align	6
.LBB561_1004:                           ;   in Loop: Header=BB561_1006 Depth=1
	global_load_b64 v[59:60], v[57:58], off
	global_load_b64 v[61:62], v[51:52], off
	v_add_co_u32 v51, vcc_lo, v51, 8
	v_add_co_ci_u32_e32 v52, vcc_lo, 0, v52, vcc_lo
	v_add_co_u32 v57, s0, v57, 8
	s_delay_alu instid0(VALU_DEP_1)
	v_add_co_ci_u32_e64 v58, s0, 0, v58, s0
	s_add_u32 s14, s14, 1
	s_addc_u32 s15, s15, 0
	s_and_not1_b32 s0, s20, exec_lo
	s_waitcnt vmcnt(0)
	v_cmp_ne_u64_e32 vcc_lo, v[59:60], v[61:62]
	s_and_b32 s20, vcc_lo, exec_lo
	s_delay_alu instid0(SALU_CYCLE_1)
	s_or_b32 s20, s0, s20
.LBB561_1005:                           ;   in Loop: Header=BB561_1006 Depth=1
	v_dual_mov_b32 v60, s15 :: v_dual_mov_b32 v59, s14
	s_and_b32 s0, exec_lo, s20
	s_delay_alu instid0(SALU_CYCLE_1) | instskip(NEXT) | instid1(SALU_CYCLE_1)
	s_or_b32 s19, s0, s19
	s_and_not1_b32 exec_lo, exec_lo, s19
	s_cbranch_execz .LBB561_1009
.LBB561_1006:                           ; =>This Inner Loop Header: Depth=1
	s_or_b32 s20, s20, exec_lo
	s_cmp_eq_u64 s[12:13], s[14:15]
	s_cbranch_scc0 .LBB561_1004
; %bb.1007:                             ;   in Loop: Header=BB561_1006 Depth=1
	s_mov_b64 s[14:15], s[8:9]
                                        ; implicit-def: $vgpr51_vgpr52
                                        ; implicit-def: $vgpr57_vgpr58
	s_branch .LBB561_1005
.LBB561_1008:
	v_mov_b32_e32 v51, 0
	v_mov_b32_e32 v52, 0
	s_branch .LBB561_1011
.LBB561_1009:
	s_set_inst_prefetch_distance 0x2
	s_or_b32 exec_lo, exec_lo, s19
	v_cmp_gt_i64_e32 vcc_lo, s[8:9], v[59:60]
	s_mov_b32 s0, 0
	s_delay_alu instid0(SALU_CYCLE_1)
	v_mov_b32_e32 v52, s0
	v_cndmask_b32_e64 v51, 0, 1, vcc_lo
.LBB561_1010:
	s_or_b32 exec_lo, exec_lo, s18
.LBB561_1011:
	s_delay_alu instid0(SALU_CYCLE_1) | instskip(SKIP_2) | instid1(VALU_DEP_1)
	s_or_b32 exec_lo, exec_lo, s3
	v_add_nc_u32_e32 v57, 20, v64
	s_mov_b32 s3, exec_lo
	v_cmpx_gt_u32_e64 s6, v57
	s_cbranch_execz .LBB561_1022
; %bb.1012:
	v_cmp_ne_u32_e32 vcc_lo, 1, v63
	s_cbranch_vccnz .LBB561_1019
; %bb.1013:
	v_mul_lo_u32 v59, v50, s8
	v_mul_lo_u32 v60, v49, s9
	v_mad_u64_u32 v[57:58], null, v49, s8, 0
	v_mul_lo_u32 v61, v48, s8
	v_mul_lo_u32 v62, v47, s9
	v_mad_u64_u32 v[49:50], null, v47, s8, 0
	s_delay_alu instid0(VALU_DEP_4) | instskip(NEXT) | instid1(VALU_DEP_2)
	v_add3_u32 v58, v58, v60, v59
	v_add3_u32 v50, v50, v62, v61
	s_delay_alu instid0(VALU_DEP_2) | instskip(NEXT) | instid1(VALU_DEP_2)
	v_lshlrev_b64 v[57:58], 3, v[57:58]
	v_lshlrev_b64 v[49:50], 3, v[49:50]
	s_delay_alu instid0(VALU_DEP_2) | instskip(NEXT) | instid1(VALU_DEP_3)
	v_add_co_u32 v57, vcc_lo, s10, v57
	v_add_co_ci_u32_e32 v58, vcc_lo, s11, v58, vcc_lo
	s_delay_alu instid0(VALU_DEP_3) | instskip(NEXT) | instid1(VALU_DEP_4)
	v_add_co_u32 v59, vcc_lo, s10, v49
	v_add_co_ci_u32_e32 v60, vcc_lo, s11, v50, vcc_lo
	s_clause 0x1
	global_load_b64 v[49:50], v[57:58], off
	global_load_b64 v[61:62], v[59:60], off
	s_waitcnt vmcnt(0)
	v_cmp_eq_u64_e32 vcc_lo, v[49:50], v[61:62]
	v_mov_b32_e32 v49, 1
	v_mov_b32_e32 v50, 0
	s_and_saveexec_b32 s18, vcc_lo
	s_cbranch_execz .LBB561_1021
; %bb.1014:
	v_add_co_u32 v49, vcc_lo, v59, 8
	v_add_co_ci_u32_e32 v50, vcc_lo, 0, v60, vcc_lo
	v_add_co_u32 v57, vcc_lo, v57, 8
	v_add_co_ci_u32_e32 v58, vcc_lo, 0, v58, vcc_lo
	s_add_u32 s12, s8, -1
	s_addc_u32 s13, s9, -1
	s_mov_b64 s[14:15], 0
	s_mov_b32 s19, 0
                                        ; implicit-def: $sgpr20
	s_set_inst_prefetch_distance 0x1
	s_branch .LBB561_1017
	.p2align	6
.LBB561_1015:                           ;   in Loop: Header=BB561_1017 Depth=1
	global_load_b64 v[59:60], v[57:58], off
	global_load_b64 v[61:62], v[49:50], off
	v_add_co_u32 v49, vcc_lo, v49, 8
	v_add_co_ci_u32_e32 v50, vcc_lo, 0, v50, vcc_lo
	v_add_co_u32 v57, s0, v57, 8
	s_delay_alu instid0(VALU_DEP_1)
	v_add_co_ci_u32_e64 v58, s0, 0, v58, s0
	s_add_u32 s14, s14, 1
	s_addc_u32 s15, s15, 0
	s_and_not1_b32 s0, s20, exec_lo
	s_waitcnt vmcnt(0)
	v_cmp_ne_u64_e32 vcc_lo, v[59:60], v[61:62]
	s_and_b32 s20, vcc_lo, exec_lo
	s_delay_alu instid0(SALU_CYCLE_1)
	s_or_b32 s20, s0, s20
.LBB561_1016:                           ;   in Loop: Header=BB561_1017 Depth=1
	v_dual_mov_b32 v60, s15 :: v_dual_mov_b32 v59, s14
	s_and_b32 s0, exec_lo, s20
	s_delay_alu instid0(SALU_CYCLE_1) | instskip(NEXT) | instid1(SALU_CYCLE_1)
	s_or_b32 s19, s0, s19
	s_and_not1_b32 exec_lo, exec_lo, s19
	s_cbranch_execz .LBB561_1020
.LBB561_1017:                           ; =>This Inner Loop Header: Depth=1
	s_or_b32 s20, s20, exec_lo
	s_cmp_eq_u64 s[12:13], s[14:15]
	s_cbranch_scc0 .LBB561_1015
; %bb.1018:                             ;   in Loop: Header=BB561_1017 Depth=1
	s_mov_b64 s[14:15], s[8:9]
                                        ; implicit-def: $vgpr49_vgpr50
                                        ; implicit-def: $vgpr57_vgpr58
	s_branch .LBB561_1016
.LBB561_1019:
	v_mov_b32_e32 v49, 0
	v_mov_b32_e32 v50, 0
	s_branch .LBB561_1022
.LBB561_1020:
	s_set_inst_prefetch_distance 0x2
	s_or_b32 exec_lo, exec_lo, s19
	v_cmp_gt_i64_e32 vcc_lo, s[8:9], v[59:60]
	s_mov_b32 s0, 0
	s_delay_alu instid0(SALU_CYCLE_1)
	v_mov_b32_e32 v50, s0
	v_cndmask_b32_e64 v49, 0, 1, vcc_lo
.LBB561_1021:
	s_or_b32 exec_lo, exec_lo, s18
.LBB561_1022:
	s_delay_alu instid0(SALU_CYCLE_1) | instskip(SKIP_2) | instid1(VALU_DEP_1)
	s_or_b32 exec_lo, exec_lo, s3
	v_add_nc_u32_e32 v57, 19, v64
	s_mov_b32 s3, exec_lo
	v_cmpx_gt_u32_e64 s6, v57
	s_cbranch_execz .LBB561_1033
; %bb.1023:
	v_cmp_ne_u32_e32 vcc_lo, 1, v63
	s_cbranch_vccnz .LBB561_1030
; %bb.1024:
	v_mul_lo_u32 v59, v48, s8
	v_mul_lo_u32 v60, v47, s9
	v_mad_u64_u32 v[57:58], null, v47, s8, 0
	v_mul_lo_u32 v61, v46, s8
	v_mul_lo_u32 v62, v45, s9
	v_mad_u64_u32 v[47:48], null, v45, s8, 0
	s_delay_alu instid0(VALU_DEP_4) | instskip(NEXT) | instid1(VALU_DEP_2)
	v_add3_u32 v58, v58, v60, v59
	v_add3_u32 v48, v48, v62, v61
	s_delay_alu instid0(VALU_DEP_2) | instskip(NEXT) | instid1(VALU_DEP_2)
	v_lshlrev_b64 v[57:58], 3, v[57:58]
	v_lshlrev_b64 v[47:48], 3, v[47:48]
	s_delay_alu instid0(VALU_DEP_2) | instskip(NEXT) | instid1(VALU_DEP_3)
	v_add_co_u32 v57, vcc_lo, s10, v57
	v_add_co_ci_u32_e32 v58, vcc_lo, s11, v58, vcc_lo
	s_delay_alu instid0(VALU_DEP_3) | instskip(NEXT) | instid1(VALU_DEP_4)
	v_add_co_u32 v59, vcc_lo, s10, v47
	v_add_co_ci_u32_e32 v60, vcc_lo, s11, v48, vcc_lo
	s_clause 0x1
	global_load_b64 v[47:48], v[57:58], off
	global_load_b64 v[61:62], v[59:60], off
	s_waitcnt vmcnt(0)
	v_cmp_eq_u64_e32 vcc_lo, v[47:48], v[61:62]
	v_mov_b32_e32 v47, 1
	v_mov_b32_e32 v48, 0
	s_and_saveexec_b32 s18, vcc_lo
	s_cbranch_execz .LBB561_1032
; %bb.1025:
	v_add_co_u32 v47, vcc_lo, v59, 8
	v_add_co_ci_u32_e32 v48, vcc_lo, 0, v60, vcc_lo
	v_add_co_u32 v57, vcc_lo, v57, 8
	v_add_co_ci_u32_e32 v58, vcc_lo, 0, v58, vcc_lo
	s_add_u32 s12, s8, -1
	s_addc_u32 s13, s9, -1
	s_mov_b64 s[14:15], 0
	s_mov_b32 s19, 0
                                        ; implicit-def: $sgpr20
	s_set_inst_prefetch_distance 0x1
	s_branch .LBB561_1028
	.p2align	6
.LBB561_1026:                           ;   in Loop: Header=BB561_1028 Depth=1
	global_load_b64 v[59:60], v[57:58], off
	global_load_b64 v[61:62], v[47:48], off
	v_add_co_u32 v47, vcc_lo, v47, 8
	v_add_co_ci_u32_e32 v48, vcc_lo, 0, v48, vcc_lo
	v_add_co_u32 v57, s0, v57, 8
	s_delay_alu instid0(VALU_DEP_1)
	v_add_co_ci_u32_e64 v58, s0, 0, v58, s0
	s_add_u32 s14, s14, 1
	s_addc_u32 s15, s15, 0
	s_and_not1_b32 s0, s20, exec_lo
	s_waitcnt vmcnt(0)
	v_cmp_ne_u64_e32 vcc_lo, v[59:60], v[61:62]
	s_and_b32 s20, vcc_lo, exec_lo
	s_delay_alu instid0(SALU_CYCLE_1)
	s_or_b32 s20, s0, s20
.LBB561_1027:                           ;   in Loop: Header=BB561_1028 Depth=1
	v_dual_mov_b32 v60, s15 :: v_dual_mov_b32 v59, s14
	s_and_b32 s0, exec_lo, s20
	s_delay_alu instid0(SALU_CYCLE_1) | instskip(NEXT) | instid1(SALU_CYCLE_1)
	s_or_b32 s19, s0, s19
	s_and_not1_b32 exec_lo, exec_lo, s19
	s_cbranch_execz .LBB561_1031
.LBB561_1028:                           ; =>This Inner Loop Header: Depth=1
	s_or_b32 s20, s20, exec_lo
	s_cmp_eq_u64 s[12:13], s[14:15]
	s_cbranch_scc0 .LBB561_1026
; %bb.1029:                             ;   in Loop: Header=BB561_1028 Depth=1
	s_mov_b64 s[14:15], s[8:9]
                                        ; implicit-def: $vgpr47_vgpr48
                                        ; implicit-def: $vgpr57_vgpr58
	s_branch .LBB561_1027
.LBB561_1030:
	v_mov_b32_e32 v47, 0
	v_mov_b32_e32 v48, 0
	s_branch .LBB561_1033
.LBB561_1031:
	s_set_inst_prefetch_distance 0x2
	s_or_b32 exec_lo, exec_lo, s19
	v_cmp_gt_i64_e32 vcc_lo, s[8:9], v[59:60]
	s_mov_b32 s0, 0
	s_delay_alu instid0(SALU_CYCLE_1)
	v_mov_b32_e32 v48, s0
	v_cndmask_b32_e64 v47, 0, 1, vcc_lo
.LBB561_1032:
	s_or_b32 exec_lo, exec_lo, s18
.LBB561_1033:
	s_delay_alu instid0(SALU_CYCLE_1) | instskip(SKIP_2) | instid1(VALU_DEP_1)
	s_or_b32 exec_lo, exec_lo, s3
	v_add_nc_u32_e32 v57, 18, v64
	s_mov_b32 s3, exec_lo
	v_cmpx_gt_u32_e64 s6, v57
	s_cbranch_execz .LBB561_1044
; %bb.1034:
	v_cmp_ne_u32_e32 vcc_lo, 1, v63
	s_cbranch_vccnz .LBB561_1041
; %bb.1035:
	v_mul_lo_u32 v59, v46, s8
	v_mul_lo_u32 v60, v45, s9
	v_mad_u64_u32 v[57:58], null, v45, s8, 0
	v_mul_lo_u32 v61, v44, s8
	v_mul_lo_u32 v62, v43, s9
	v_mad_u64_u32 v[45:46], null, v43, s8, 0
	s_delay_alu instid0(VALU_DEP_4) | instskip(NEXT) | instid1(VALU_DEP_2)
	v_add3_u32 v58, v58, v60, v59
	v_add3_u32 v46, v46, v62, v61
	s_delay_alu instid0(VALU_DEP_2) | instskip(NEXT) | instid1(VALU_DEP_2)
	v_lshlrev_b64 v[57:58], 3, v[57:58]
	v_lshlrev_b64 v[45:46], 3, v[45:46]
	s_delay_alu instid0(VALU_DEP_2) | instskip(NEXT) | instid1(VALU_DEP_3)
	v_add_co_u32 v57, vcc_lo, s10, v57
	v_add_co_ci_u32_e32 v58, vcc_lo, s11, v58, vcc_lo
	s_delay_alu instid0(VALU_DEP_3) | instskip(NEXT) | instid1(VALU_DEP_4)
	v_add_co_u32 v59, vcc_lo, s10, v45
	v_add_co_ci_u32_e32 v60, vcc_lo, s11, v46, vcc_lo
	s_clause 0x1
	global_load_b64 v[45:46], v[57:58], off
	global_load_b64 v[61:62], v[59:60], off
	s_waitcnt vmcnt(0)
	v_cmp_eq_u64_e32 vcc_lo, v[45:46], v[61:62]
	v_mov_b32_e32 v45, 1
	v_mov_b32_e32 v46, 0
	s_and_saveexec_b32 s18, vcc_lo
	s_cbranch_execz .LBB561_1043
; %bb.1036:
	v_add_co_u32 v45, vcc_lo, v59, 8
	v_add_co_ci_u32_e32 v46, vcc_lo, 0, v60, vcc_lo
	v_add_co_u32 v57, vcc_lo, v57, 8
	v_add_co_ci_u32_e32 v58, vcc_lo, 0, v58, vcc_lo
	s_add_u32 s12, s8, -1
	s_addc_u32 s13, s9, -1
	s_mov_b64 s[14:15], 0
	s_mov_b32 s19, 0
                                        ; implicit-def: $sgpr20
	s_set_inst_prefetch_distance 0x1
	s_branch .LBB561_1039
	.p2align	6
.LBB561_1037:                           ;   in Loop: Header=BB561_1039 Depth=1
	global_load_b64 v[59:60], v[57:58], off
	global_load_b64 v[61:62], v[45:46], off
	v_add_co_u32 v45, vcc_lo, v45, 8
	v_add_co_ci_u32_e32 v46, vcc_lo, 0, v46, vcc_lo
	v_add_co_u32 v57, s0, v57, 8
	s_delay_alu instid0(VALU_DEP_1)
	v_add_co_ci_u32_e64 v58, s0, 0, v58, s0
	s_add_u32 s14, s14, 1
	s_addc_u32 s15, s15, 0
	s_and_not1_b32 s0, s20, exec_lo
	s_waitcnt vmcnt(0)
	v_cmp_ne_u64_e32 vcc_lo, v[59:60], v[61:62]
	s_and_b32 s20, vcc_lo, exec_lo
	s_delay_alu instid0(SALU_CYCLE_1)
	s_or_b32 s20, s0, s20
.LBB561_1038:                           ;   in Loop: Header=BB561_1039 Depth=1
	v_dual_mov_b32 v60, s15 :: v_dual_mov_b32 v59, s14
	s_and_b32 s0, exec_lo, s20
	s_delay_alu instid0(SALU_CYCLE_1) | instskip(NEXT) | instid1(SALU_CYCLE_1)
	s_or_b32 s19, s0, s19
	s_and_not1_b32 exec_lo, exec_lo, s19
	s_cbranch_execz .LBB561_1042
.LBB561_1039:                           ; =>This Inner Loop Header: Depth=1
	s_or_b32 s20, s20, exec_lo
	s_cmp_eq_u64 s[12:13], s[14:15]
	s_cbranch_scc0 .LBB561_1037
; %bb.1040:                             ;   in Loop: Header=BB561_1039 Depth=1
	s_mov_b64 s[14:15], s[8:9]
                                        ; implicit-def: $vgpr45_vgpr46
                                        ; implicit-def: $vgpr57_vgpr58
	s_branch .LBB561_1038
.LBB561_1041:
	v_mov_b32_e32 v45, 0
	v_mov_b32_e32 v46, 0
	s_branch .LBB561_1044
.LBB561_1042:
	s_set_inst_prefetch_distance 0x2
	s_or_b32 exec_lo, exec_lo, s19
	v_cmp_gt_i64_e32 vcc_lo, s[8:9], v[59:60]
	s_mov_b32 s0, 0
	s_delay_alu instid0(SALU_CYCLE_1)
	v_mov_b32_e32 v46, s0
	v_cndmask_b32_e64 v45, 0, 1, vcc_lo
.LBB561_1043:
	s_or_b32 exec_lo, exec_lo, s18
.LBB561_1044:
	s_delay_alu instid0(SALU_CYCLE_1) | instskip(SKIP_2) | instid1(VALU_DEP_1)
	s_or_b32 exec_lo, exec_lo, s3
	v_add_nc_u32_e32 v57, 17, v64
	s_mov_b32 s3, exec_lo
	v_cmpx_gt_u32_e64 s6, v57
	s_cbranch_execz .LBB561_1055
; %bb.1045:
	v_cmp_ne_u32_e32 vcc_lo, 1, v63
	s_cbranch_vccnz .LBB561_1052
; %bb.1046:
	v_mul_lo_u32 v59, v44, s8
	v_mul_lo_u32 v60, v43, s9
	v_mad_u64_u32 v[57:58], null, v43, s8, 0
	v_mul_lo_u32 v61, v42, s8
	v_mul_lo_u32 v62, v41, s9
	v_mad_u64_u32 v[43:44], null, v41, s8, 0
	s_delay_alu instid0(VALU_DEP_4) | instskip(NEXT) | instid1(VALU_DEP_2)
	v_add3_u32 v58, v58, v60, v59
	v_add3_u32 v44, v44, v62, v61
	s_delay_alu instid0(VALU_DEP_2) | instskip(NEXT) | instid1(VALU_DEP_2)
	v_lshlrev_b64 v[57:58], 3, v[57:58]
	v_lshlrev_b64 v[43:44], 3, v[43:44]
	s_delay_alu instid0(VALU_DEP_2) | instskip(NEXT) | instid1(VALU_DEP_3)
	v_add_co_u32 v57, vcc_lo, s10, v57
	v_add_co_ci_u32_e32 v58, vcc_lo, s11, v58, vcc_lo
	s_delay_alu instid0(VALU_DEP_3) | instskip(NEXT) | instid1(VALU_DEP_4)
	v_add_co_u32 v59, vcc_lo, s10, v43
	v_add_co_ci_u32_e32 v60, vcc_lo, s11, v44, vcc_lo
	s_clause 0x1
	global_load_b64 v[43:44], v[57:58], off
	global_load_b64 v[61:62], v[59:60], off
	s_waitcnt vmcnt(0)
	v_cmp_eq_u64_e32 vcc_lo, v[43:44], v[61:62]
	v_mov_b32_e32 v43, 1
	v_mov_b32_e32 v44, 0
	s_and_saveexec_b32 s18, vcc_lo
	s_cbranch_execz .LBB561_1054
; %bb.1047:
	v_add_co_u32 v43, vcc_lo, v59, 8
	v_add_co_ci_u32_e32 v44, vcc_lo, 0, v60, vcc_lo
	v_add_co_u32 v57, vcc_lo, v57, 8
	v_add_co_ci_u32_e32 v58, vcc_lo, 0, v58, vcc_lo
	s_add_u32 s12, s8, -1
	s_addc_u32 s13, s9, -1
	s_mov_b64 s[14:15], 0
	s_mov_b32 s19, 0
                                        ; implicit-def: $sgpr20
	s_set_inst_prefetch_distance 0x1
	s_branch .LBB561_1050
	.p2align	6
.LBB561_1048:                           ;   in Loop: Header=BB561_1050 Depth=1
	global_load_b64 v[59:60], v[57:58], off
	global_load_b64 v[61:62], v[43:44], off
	v_add_co_u32 v43, vcc_lo, v43, 8
	v_add_co_ci_u32_e32 v44, vcc_lo, 0, v44, vcc_lo
	v_add_co_u32 v57, s0, v57, 8
	s_delay_alu instid0(VALU_DEP_1)
	v_add_co_ci_u32_e64 v58, s0, 0, v58, s0
	s_add_u32 s14, s14, 1
	s_addc_u32 s15, s15, 0
	s_and_not1_b32 s0, s20, exec_lo
	s_waitcnt vmcnt(0)
	v_cmp_ne_u64_e32 vcc_lo, v[59:60], v[61:62]
	s_and_b32 s20, vcc_lo, exec_lo
	s_delay_alu instid0(SALU_CYCLE_1)
	s_or_b32 s20, s0, s20
.LBB561_1049:                           ;   in Loop: Header=BB561_1050 Depth=1
	v_dual_mov_b32 v60, s15 :: v_dual_mov_b32 v59, s14
	s_and_b32 s0, exec_lo, s20
	s_delay_alu instid0(SALU_CYCLE_1) | instskip(NEXT) | instid1(SALU_CYCLE_1)
	s_or_b32 s19, s0, s19
	s_and_not1_b32 exec_lo, exec_lo, s19
	s_cbranch_execz .LBB561_1053
.LBB561_1050:                           ; =>This Inner Loop Header: Depth=1
	s_or_b32 s20, s20, exec_lo
	s_cmp_eq_u64 s[12:13], s[14:15]
	s_cbranch_scc0 .LBB561_1048
; %bb.1051:                             ;   in Loop: Header=BB561_1050 Depth=1
	s_mov_b64 s[14:15], s[8:9]
                                        ; implicit-def: $vgpr43_vgpr44
                                        ; implicit-def: $vgpr57_vgpr58
	s_branch .LBB561_1049
.LBB561_1052:
	v_mov_b32_e32 v43, 0
	v_mov_b32_e32 v44, 0
	s_branch .LBB561_1055
.LBB561_1053:
	s_set_inst_prefetch_distance 0x2
	s_or_b32 exec_lo, exec_lo, s19
	v_cmp_gt_i64_e32 vcc_lo, s[8:9], v[59:60]
	s_mov_b32 s0, 0
	s_delay_alu instid0(SALU_CYCLE_1)
	v_mov_b32_e32 v44, s0
	v_cndmask_b32_e64 v43, 0, 1, vcc_lo
.LBB561_1054:
	s_or_b32 exec_lo, exec_lo, s18
.LBB561_1055:
	s_delay_alu instid0(SALU_CYCLE_1) | instskip(SKIP_2) | instid1(VALU_DEP_1)
	s_or_b32 exec_lo, exec_lo, s3
	v_add_nc_u32_e32 v57, 16, v64
	s_mov_b32 s3, exec_lo
	v_cmpx_gt_u32_e64 s6, v57
	s_cbranch_execz .LBB561_1066
; %bb.1056:
	v_cmp_ne_u32_e32 vcc_lo, 1, v63
	s_cbranch_vccnz .LBB561_1063
; %bb.1057:
	v_mul_lo_u32 v59, v42, s8
	v_mul_lo_u32 v60, v41, s9
	v_mad_u64_u32 v[57:58], null, v41, s8, 0
	v_mul_lo_u32 v61, v40, s8
	v_mul_lo_u32 v62, v39, s9
	v_mad_u64_u32 v[41:42], null, v39, s8, 0
	s_delay_alu instid0(VALU_DEP_4) | instskip(NEXT) | instid1(VALU_DEP_2)
	v_add3_u32 v58, v58, v60, v59
	v_add3_u32 v42, v42, v62, v61
	s_delay_alu instid0(VALU_DEP_2) | instskip(NEXT) | instid1(VALU_DEP_2)
	v_lshlrev_b64 v[57:58], 3, v[57:58]
	v_lshlrev_b64 v[41:42], 3, v[41:42]
	s_delay_alu instid0(VALU_DEP_2) | instskip(NEXT) | instid1(VALU_DEP_3)
	v_add_co_u32 v57, vcc_lo, s10, v57
	v_add_co_ci_u32_e32 v58, vcc_lo, s11, v58, vcc_lo
	s_delay_alu instid0(VALU_DEP_3) | instskip(NEXT) | instid1(VALU_DEP_4)
	v_add_co_u32 v59, vcc_lo, s10, v41
	v_add_co_ci_u32_e32 v60, vcc_lo, s11, v42, vcc_lo
	s_clause 0x1
	global_load_b64 v[41:42], v[57:58], off
	global_load_b64 v[61:62], v[59:60], off
	s_waitcnt vmcnt(0)
	v_cmp_eq_u64_e32 vcc_lo, v[41:42], v[61:62]
	v_mov_b32_e32 v41, 1
	v_mov_b32_e32 v42, 0
	s_and_saveexec_b32 s18, vcc_lo
	s_cbranch_execz .LBB561_1065
; %bb.1058:
	v_add_co_u32 v41, vcc_lo, v59, 8
	v_add_co_ci_u32_e32 v42, vcc_lo, 0, v60, vcc_lo
	v_add_co_u32 v57, vcc_lo, v57, 8
	v_add_co_ci_u32_e32 v58, vcc_lo, 0, v58, vcc_lo
	s_add_u32 s12, s8, -1
	s_addc_u32 s13, s9, -1
	s_mov_b64 s[14:15], 0
	s_mov_b32 s19, 0
                                        ; implicit-def: $sgpr20
	s_set_inst_prefetch_distance 0x1
	s_branch .LBB561_1061
	.p2align	6
.LBB561_1059:                           ;   in Loop: Header=BB561_1061 Depth=1
	global_load_b64 v[59:60], v[57:58], off
	global_load_b64 v[61:62], v[41:42], off
	v_add_co_u32 v41, vcc_lo, v41, 8
	v_add_co_ci_u32_e32 v42, vcc_lo, 0, v42, vcc_lo
	v_add_co_u32 v57, s0, v57, 8
	s_delay_alu instid0(VALU_DEP_1)
	v_add_co_ci_u32_e64 v58, s0, 0, v58, s0
	s_add_u32 s14, s14, 1
	s_addc_u32 s15, s15, 0
	s_and_not1_b32 s0, s20, exec_lo
	s_waitcnt vmcnt(0)
	v_cmp_ne_u64_e32 vcc_lo, v[59:60], v[61:62]
	s_and_b32 s20, vcc_lo, exec_lo
	s_delay_alu instid0(SALU_CYCLE_1)
	s_or_b32 s20, s0, s20
.LBB561_1060:                           ;   in Loop: Header=BB561_1061 Depth=1
	v_dual_mov_b32 v60, s15 :: v_dual_mov_b32 v59, s14
	s_and_b32 s0, exec_lo, s20
	s_delay_alu instid0(SALU_CYCLE_1) | instskip(NEXT) | instid1(SALU_CYCLE_1)
	s_or_b32 s19, s0, s19
	s_and_not1_b32 exec_lo, exec_lo, s19
	s_cbranch_execz .LBB561_1064
.LBB561_1061:                           ; =>This Inner Loop Header: Depth=1
	s_or_b32 s20, s20, exec_lo
	s_cmp_eq_u64 s[12:13], s[14:15]
	s_cbranch_scc0 .LBB561_1059
; %bb.1062:                             ;   in Loop: Header=BB561_1061 Depth=1
	s_mov_b64 s[14:15], s[8:9]
                                        ; implicit-def: $vgpr41_vgpr42
                                        ; implicit-def: $vgpr57_vgpr58
	s_branch .LBB561_1060
.LBB561_1063:
	v_mov_b32_e32 v41, 0
	v_mov_b32_e32 v42, 0
	s_branch .LBB561_1066
.LBB561_1064:
	s_set_inst_prefetch_distance 0x2
	s_or_b32 exec_lo, exec_lo, s19
	v_cmp_gt_i64_e32 vcc_lo, s[8:9], v[59:60]
	s_mov_b32 s0, 0
	s_delay_alu instid0(SALU_CYCLE_1)
	v_mov_b32_e32 v42, s0
	v_cndmask_b32_e64 v41, 0, 1, vcc_lo
.LBB561_1065:
	s_or_b32 exec_lo, exec_lo, s18
.LBB561_1066:
	s_delay_alu instid0(SALU_CYCLE_1) | instskip(SKIP_2) | instid1(VALU_DEP_1)
	s_or_b32 exec_lo, exec_lo, s3
	v_add_nc_u32_e32 v57, 15, v64
	s_mov_b32 s3, exec_lo
	v_cmpx_gt_u32_e64 s6, v57
	s_cbranch_execz .LBB561_1077
; %bb.1067:
	v_cmp_ne_u32_e32 vcc_lo, 1, v63
	s_cbranch_vccnz .LBB561_1074
; %bb.1068:
	v_mul_lo_u32 v59, v40, s8
	v_mul_lo_u32 v60, v39, s9
	v_mad_u64_u32 v[57:58], null, v39, s8, 0
	v_mul_lo_u32 v61, v38, s8
	v_mul_lo_u32 v62, v37, s9
	v_mad_u64_u32 v[39:40], null, v37, s8, 0
	s_delay_alu instid0(VALU_DEP_4) | instskip(NEXT) | instid1(VALU_DEP_2)
	v_add3_u32 v58, v58, v60, v59
	v_add3_u32 v40, v40, v62, v61
	s_delay_alu instid0(VALU_DEP_2) | instskip(NEXT) | instid1(VALU_DEP_2)
	v_lshlrev_b64 v[57:58], 3, v[57:58]
	v_lshlrev_b64 v[39:40], 3, v[39:40]
	s_delay_alu instid0(VALU_DEP_2) | instskip(NEXT) | instid1(VALU_DEP_3)
	v_add_co_u32 v57, vcc_lo, s10, v57
	v_add_co_ci_u32_e32 v58, vcc_lo, s11, v58, vcc_lo
	s_delay_alu instid0(VALU_DEP_3) | instskip(NEXT) | instid1(VALU_DEP_4)
	v_add_co_u32 v59, vcc_lo, s10, v39
	v_add_co_ci_u32_e32 v60, vcc_lo, s11, v40, vcc_lo
	s_clause 0x1
	global_load_b64 v[39:40], v[57:58], off
	global_load_b64 v[61:62], v[59:60], off
	s_waitcnt vmcnt(0)
	v_cmp_eq_u64_e32 vcc_lo, v[39:40], v[61:62]
	v_mov_b32_e32 v39, 1
	v_mov_b32_e32 v40, 0
	s_and_saveexec_b32 s18, vcc_lo
	s_cbranch_execz .LBB561_1076
; %bb.1069:
	v_add_co_u32 v39, vcc_lo, v59, 8
	v_add_co_ci_u32_e32 v40, vcc_lo, 0, v60, vcc_lo
	v_add_co_u32 v57, vcc_lo, v57, 8
	v_add_co_ci_u32_e32 v58, vcc_lo, 0, v58, vcc_lo
	s_add_u32 s12, s8, -1
	s_addc_u32 s13, s9, -1
	s_mov_b64 s[14:15], 0
	s_mov_b32 s19, 0
                                        ; implicit-def: $sgpr20
	s_set_inst_prefetch_distance 0x1
	s_branch .LBB561_1072
	.p2align	6
.LBB561_1070:                           ;   in Loop: Header=BB561_1072 Depth=1
	global_load_b64 v[59:60], v[57:58], off
	global_load_b64 v[61:62], v[39:40], off
	v_add_co_u32 v39, vcc_lo, v39, 8
	v_add_co_ci_u32_e32 v40, vcc_lo, 0, v40, vcc_lo
	v_add_co_u32 v57, s0, v57, 8
	s_delay_alu instid0(VALU_DEP_1)
	v_add_co_ci_u32_e64 v58, s0, 0, v58, s0
	s_add_u32 s14, s14, 1
	s_addc_u32 s15, s15, 0
	s_and_not1_b32 s0, s20, exec_lo
	s_waitcnt vmcnt(0)
	v_cmp_ne_u64_e32 vcc_lo, v[59:60], v[61:62]
	s_and_b32 s20, vcc_lo, exec_lo
	s_delay_alu instid0(SALU_CYCLE_1)
	s_or_b32 s20, s0, s20
.LBB561_1071:                           ;   in Loop: Header=BB561_1072 Depth=1
	v_dual_mov_b32 v60, s15 :: v_dual_mov_b32 v59, s14
	s_and_b32 s0, exec_lo, s20
	s_delay_alu instid0(SALU_CYCLE_1) | instskip(NEXT) | instid1(SALU_CYCLE_1)
	s_or_b32 s19, s0, s19
	s_and_not1_b32 exec_lo, exec_lo, s19
	s_cbranch_execz .LBB561_1075
.LBB561_1072:                           ; =>This Inner Loop Header: Depth=1
	s_or_b32 s20, s20, exec_lo
	s_cmp_eq_u64 s[12:13], s[14:15]
	s_cbranch_scc0 .LBB561_1070
; %bb.1073:                             ;   in Loop: Header=BB561_1072 Depth=1
	s_mov_b64 s[14:15], s[8:9]
                                        ; implicit-def: $vgpr39_vgpr40
                                        ; implicit-def: $vgpr57_vgpr58
	s_branch .LBB561_1071
.LBB561_1074:
	v_mov_b32_e32 v39, 0
	v_mov_b32_e32 v40, 0
	s_branch .LBB561_1077
.LBB561_1075:
	s_set_inst_prefetch_distance 0x2
	s_or_b32 exec_lo, exec_lo, s19
	v_cmp_gt_i64_e32 vcc_lo, s[8:9], v[59:60]
	s_mov_b32 s0, 0
	s_delay_alu instid0(SALU_CYCLE_1)
	v_mov_b32_e32 v40, s0
	v_cndmask_b32_e64 v39, 0, 1, vcc_lo
.LBB561_1076:
	s_or_b32 exec_lo, exec_lo, s18
.LBB561_1077:
	s_delay_alu instid0(SALU_CYCLE_1) | instskip(SKIP_2) | instid1(VALU_DEP_1)
	s_or_b32 exec_lo, exec_lo, s3
	v_add_nc_u32_e32 v57, 14, v64
	s_mov_b32 s3, exec_lo
	v_cmpx_gt_u32_e64 s6, v57
	s_cbranch_execz .LBB561_1088
; %bb.1078:
	v_cmp_ne_u32_e32 vcc_lo, 1, v63
	s_cbranch_vccnz .LBB561_1085
; %bb.1079:
	v_mul_lo_u32 v59, v38, s8
	v_mul_lo_u32 v60, v37, s9
	v_mad_u64_u32 v[57:58], null, v37, s8, 0
	v_mul_lo_u32 v61, v36, s8
	v_mul_lo_u32 v62, v35, s9
	v_mad_u64_u32 v[37:38], null, v35, s8, 0
	s_delay_alu instid0(VALU_DEP_4) | instskip(NEXT) | instid1(VALU_DEP_2)
	v_add3_u32 v58, v58, v60, v59
	v_add3_u32 v38, v38, v62, v61
	s_delay_alu instid0(VALU_DEP_2) | instskip(NEXT) | instid1(VALU_DEP_2)
	v_lshlrev_b64 v[57:58], 3, v[57:58]
	v_lshlrev_b64 v[37:38], 3, v[37:38]
	s_delay_alu instid0(VALU_DEP_2) | instskip(NEXT) | instid1(VALU_DEP_3)
	v_add_co_u32 v57, vcc_lo, s10, v57
	v_add_co_ci_u32_e32 v58, vcc_lo, s11, v58, vcc_lo
	s_delay_alu instid0(VALU_DEP_3) | instskip(NEXT) | instid1(VALU_DEP_4)
	v_add_co_u32 v59, vcc_lo, s10, v37
	v_add_co_ci_u32_e32 v60, vcc_lo, s11, v38, vcc_lo
	s_clause 0x1
	global_load_b64 v[37:38], v[57:58], off
	global_load_b64 v[61:62], v[59:60], off
	s_waitcnt vmcnt(0)
	v_cmp_eq_u64_e32 vcc_lo, v[37:38], v[61:62]
	v_mov_b32_e32 v37, 1
	v_mov_b32_e32 v38, 0
	s_and_saveexec_b32 s18, vcc_lo
	s_cbranch_execz .LBB561_1087
; %bb.1080:
	v_add_co_u32 v37, vcc_lo, v59, 8
	v_add_co_ci_u32_e32 v38, vcc_lo, 0, v60, vcc_lo
	v_add_co_u32 v57, vcc_lo, v57, 8
	v_add_co_ci_u32_e32 v58, vcc_lo, 0, v58, vcc_lo
	s_add_u32 s12, s8, -1
	s_addc_u32 s13, s9, -1
	s_mov_b64 s[14:15], 0
	s_mov_b32 s19, 0
                                        ; implicit-def: $sgpr20
	s_set_inst_prefetch_distance 0x1
	s_branch .LBB561_1083
	.p2align	6
.LBB561_1081:                           ;   in Loop: Header=BB561_1083 Depth=1
	global_load_b64 v[59:60], v[57:58], off
	global_load_b64 v[61:62], v[37:38], off
	v_add_co_u32 v37, vcc_lo, v37, 8
	v_add_co_ci_u32_e32 v38, vcc_lo, 0, v38, vcc_lo
	v_add_co_u32 v57, s0, v57, 8
	s_delay_alu instid0(VALU_DEP_1)
	v_add_co_ci_u32_e64 v58, s0, 0, v58, s0
	s_add_u32 s14, s14, 1
	s_addc_u32 s15, s15, 0
	s_and_not1_b32 s0, s20, exec_lo
	s_waitcnt vmcnt(0)
	v_cmp_ne_u64_e32 vcc_lo, v[59:60], v[61:62]
	s_and_b32 s20, vcc_lo, exec_lo
	s_delay_alu instid0(SALU_CYCLE_1)
	s_or_b32 s20, s0, s20
.LBB561_1082:                           ;   in Loop: Header=BB561_1083 Depth=1
	v_dual_mov_b32 v60, s15 :: v_dual_mov_b32 v59, s14
	s_and_b32 s0, exec_lo, s20
	s_delay_alu instid0(SALU_CYCLE_1) | instskip(NEXT) | instid1(SALU_CYCLE_1)
	s_or_b32 s19, s0, s19
	s_and_not1_b32 exec_lo, exec_lo, s19
	s_cbranch_execz .LBB561_1086
.LBB561_1083:                           ; =>This Inner Loop Header: Depth=1
	s_or_b32 s20, s20, exec_lo
	s_cmp_eq_u64 s[12:13], s[14:15]
	s_cbranch_scc0 .LBB561_1081
; %bb.1084:                             ;   in Loop: Header=BB561_1083 Depth=1
	s_mov_b64 s[14:15], s[8:9]
                                        ; implicit-def: $vgpr37_vgpr38
                                        ; implicit-def: $vgpr57_vgpr58
	s_branch .LBB561_1082
.LBB561_1085:
	v_mov_b32_e32 v37, 0
	v_mov_b32_e32 v38, 0
	s_branch .LBB561_1088
.LBB561_1086:
	s_set_inst_prefetch_distance 0x2
	s_or_b32 exec_lo, exec_lo, s19
	v_cmp_gt_i64_e32 vcc_lo, s[8:9], v[59:60]
	s_mov_b32 s0, 0
	s_delay_alu instid0(SALU_CYCLE_1)
	v_mov_b32_e32 v38, s0
	v_cndmask_b32_e64 v37, 0, 1, vcc_lo
.LBB561_1087:
	s_or_b32 exec_lo, exec_lo, s18
.LBB561_1088:
	s_delay_alu instid0(SALU_CYCLE_1) | instskip(SKIP_2) | instid1(VALU_DEP_1)
	s_or_b32 exec_lo, exec_lo, s3
	v_add_nc_u32_e32 v57, 13, v64
	s_mov_b32 s3, exec_lo
	v_cmpx_gt_u32_e64 s6, v57
	s_cbranch_execz .LBB561_1099
; %bb.1089:
	v_cmp_ne_u32_e32 vcc_lo, 1, v63
	s_cbranch_vccnz .LBB561_1096
; %bb.1090:
	v_mul_lo_u32 v59, v36, s8
	v_mul_lo_u32 v60, v35, s9
	v_mad_u64_u32 v[57:58], null, v35, s8, 0
	v_mul_lo_u32 v61, v34, s8
	v_mul_lo_u32 v62, v33, s9
	v_mad_u64_u32 v[35:36], null, v33, s8, 0
	s_delay_alu instid0(VALU_DEP_4) | instskip(NEXT) | instid1(VALU_DEP_2)
	v_add3_u32 v58, v58, v60, v59
	v_add3_u32 v36, v36, v62, v61
	s_delay_alu instid0(VALU_DEP_2) | instskip(NEXT) | instid1(VALU_DEP_2)
	v_lshlrev_b64 v[57:58], 3, v[57:58]
	v_lshlrev_b64 v[35:36], 3, v[35:36]
	s_delay_alu instid0(VALU_DEP_2) | instskip(NEXT) | instid1(VALU_DEP_3)
	v_add_co_u32 v57, vcc_lo, s10, v57
	v_add_co_ci_u32_e32 v58, vcc_lo, s11, v58, vcc_lo
	s_delay_alu instid0(VALU_DEP_3) | instskip(NEXT) | instid1(VALU_DEP_4)
	v_add_co_u32 v59, vcc_lo, s10, v35
	v_add_co_ci_u32_e32 v60, vcc_lo, s11, v36, vcc_lo
	s_clause 0x1
	global_load_b64 v[35:36], v[57:58], off
	global_load_b64 v[61:62], v[59:60], off
	s_waitcnt vmcnt(0)
	v_cmp_eq_u64_e32 vcc_lo, v[35:36], v[61:62]
	v_mov_b32_e32 v35, 1
	v_mov_b32_e32 v36, 0
	s_and_saveexec_b32 s18, vcc_lo
	s_cbranch_execz .LBB561_1098
; %bb.1091:
	v_add_co_u32 v35, vcc_lo, v59, 8
	v_add_co_ci_u32_e32 v36, vcc_lo, 0, v60, vcc_lo
	v_add_co_u32 v57, vcc_lo, v57, 8
	v_add_co_ci_u32_e32 v58, vcc_lo, 0, v58, vcc_lo
	s_add_u32 s12, s8, -1
	s_addc_u32 s13, s9, -1
	s_mov_b64 s[14:15], 0
	s_mov_b32 s19, 0
                                        ; implicit-def: $sgpr20
	s_set_inst_prefetch_distance 0x1
	s_branch .LBB561_1094
	.p2align	6
.LBB561_1092:                           ;   in Loop: Header=BB561_1094 Depth=1
	global_load_b64 v[59:60], v[57:58], off
	global_load_b64 v[61:62], v[35:36], off
	v_add_co_u32 v35, vcc_lo, v35, 8
	v_add_co_ci_u32_e32 v36, vcc_lo, 0, v36, vcc_lo
	v_add_co_u32 v57, s0, v57, 8
	s_delay_alu instid0(VALU_DEP_1)
	v_add_co_ci_u32_e64 v58, s0, 0, v58, s0
	s_add_u32 s14, s14, 1
	s_addc_u32 s15, s15, 0
	s_and_not1_b32 s0, s20, exec_lo
	s_waitcnt vmcnt(0)
	v_cmp_ne_u64_e32 vcc_lo, v[59:60], v[61:62]
	s_and_b32 s20, vcc_lo, exec_lo
	s_delay_alu instid0(SALU_CYCLE_1)
	s_or_b32 s20, s0, s20
.LBB561_1093:                           ;   in Loop: Header=BB561_1094 Depth=1
	v_dual_mov_b32 v60, s15 :: v_dual_mov_b32 v59, s14
	s_and_b32 s0, exec_lo, s20
	s_delay_alu instid0(SALU_CYCLE_1) | instskip(NEXT) | instid1(SALU_CYCLE_1)
	s_or_b32 s19, s0, s19
	s_and_not1_b32 exec_lo, exec_lo, s19
	s_cbranch_execz .LBB561_1097
.LBB561_1094:                           ; =>This Inner Loop Header: Depth=1
	s_or_b32 s20, s20, exec_lo
	s_cmp_eq_u64 s[12:13], s[14:15]
	s_cbranch_scc0 .LBB561_1092
; %bb.1095:                             ;   in Loop: Header=BB561_1094 Depth=1
	s_mov_b64 s[14:15], s[8:9]
                                        ; implicit-def: $vgpr35_vgpr36
                                        ; implicit-def: $vgpr57_vgpr58
	s_branch .LBB561_1093
.LBB561_1096:
	v_mov_b32_e32 v35, 0
	v_mov_b32_e32 v36, 0
	s_branch .LBB561_1099
.LBB561_1097:
	s_set_inst_prefetch_distance 0x2
	s_or_b32 exec_lo, exec_lo, s19
	v_cmp_gt_i64_e32 vcc_lo, s[8:9], v[59:60]
	s_mov_b32 s0, 0
	s_delay_alu instid0(SALU_CYCLE_1)
	v_mov_b32_e32 v36, s0
	v_cndmask_b32_e64 v35, 0, 1, vcc_lo
.LBB561_1098:
	s_or_b32 exec_lo, exec_lo, s18
.LBB561_1099:
	s_delay_alu instid0(SALU_CYCLE_1) | instskip(SKIP_2) | instid1(VALU_DEP_1)
	s_or_b32 exec_lo, exec_lo, s3
	v_add_nc_u32_e32 v57, 12, v64
	s_mov_b32 s3, exec_lo
	v_cmpx_gt_u32_e64 s6, v57
	s_cbranch_execz .LBB561_1110
; %bb.1100:
	v_cmp_ne_u32_e32 vcc_lo, 1, v63
	s_cbranch_vccnz .LBB561_1107
; %bb.1101:
	v_mul_lo_u32 v59, v34, s8
	v_mul_lo_u32 v60, v33, s9
	v_mad_u64_u32 v[57:58], null, v33, s8, 0
	v_mul_lo_u32 v61, v32, s8
	v_mul_lo_u32 v62, v31, s9
	v_mad_u64_u32 v[33:34], null, v31, s8, 0
	s_delay_alu instid0(VALU_DEP_4) | instskip(NEXT) | instid1(VALU_DEP_2)
	v_add3_u32 v58, v58, v60, v59
	v_add3_u32 v34, v34, v62, v61
	s_delay_alu instid0(VALU_DEP_2) | instskip(NEXT) | instid1(VALU_DEP_2)
	v_lshlrev_b64 v[57:58], 3, v[57:58]
	v_lshlrev_b64 v[33:34], 3, v[33:34]
	s_delay_alu instid0(VALU_DEP_2) | instskip(NEXT) | instid1(VALU_DEP_3)
	v_add_co_u32 v57, vcc_lo, s10, v57
	v_add_co_ci_u32_e32 v58, vcc_lo, s11, v58, vcc_lo
	s_delay_alu instid0(VALU_DEP_3) | instskip(NEXT) | instid1(VALU_DEP_4)
	v_add_co_u32 v59, vcc_lo, s10, v33
	v_add_co_ci_u32_e32 v60, vcc_lo, s11, v34, vcc_lo
	s_clause 0x1
	global_load_b64 v[33:34], v[57:58], off
	global_load_b64 v[61:62], v[59:60], off
	s_waitcnt vmcnt(0)
	v_cmp_eq_u64_e32 vcc_lo, v[33:34], v[61:62]
	v_mov_b32_e32 v33, 1
	v_mov_b32_e32 v34, 0
	s_and_saveexec_b32 s18, vcc_lo
	s_cbranch_execz .LBB561_1109
; %bb.1102:
	v_add_co_u32 v33, vcc_lo, v59, 8
	v_add_co_ci_u32_e32 v34, vcc_lo, 0, v60, vcc_lo
	v_add_co_u32 v57, vcc_lo, v57, 8
	v_add_co_ci_u32_e32 v58, vcc_lo, 0, v58, vcc_lo
	s_add_u32 s12, s8, -1
	s_addc_u32 s13, s9, -1
	s_mov_b64 s[14:15], 0
	s_mov_b32 s19, 0
                                        ; implicit-def: $sgpr20
	s_set_inst_prefetch_distance 0x1
	s_branch .LBB561_1105
	.p2align	6
.LBB561_1103:                           ;   in Loop: Header=BB561_1105 Depth=1
	global_load_b64 v[59:60], v[57:58], off
	global_load_b64 v[61:62], v[33:34], off
	v_add_co_u32 v33, vcc_lo, v33, 8
	v_add_co_ci_u32_e32 v34, vcc_lo, 0, v34, vcc_lo
	v_add_co_u32 v57, s0, v57, 8
	s_delay_alu instid0(VALU_DEP_1)
	v_add_co_ci_u32_e64 v58, s0, 0, v58, s0
	s_add_u32 s14, s14, 1
	s_addc_u32 s15, s15, 0
	s_and_not1_b32 s0, s20, exec_lo
	s_waitcnt vmcnt(0)
	v_cmp_ne_u64_e32 vcc_lo, v[59:60], v[61:62]
	s_and_b32 s20, vcc_lo, exec_lo
	s_delay_alu instid0(SALU_CYCLE_1)
	s_or_b32 s20, s0, s20
.LBB561_1104:                           ;   in Loop: Header=BB561_1105 Depth=1
	v_dual_mov_b32 v60, s15 :: v_dual_mov_b32 v59, s14
	s_and_b32 s0, exec_lo, s20
	s_delay_alu instid0(SALU_CYCLE_1) | instskip(NEXT) | instid1(SALU_CYCLE_1)
	s_or_b32 s19, s0, s19
	s_and_not1_b32 exec_lo, exec_lo, s19
	s_cbranch_execz .LBB561_1108
.LBB561_1105:                           ; =>This Inner Loop Header: Depth=1
	s_or_b32 s20, s20, exec_lo
	s_cmp_eq_u64 s[12:13], s[14:15]
	s_cbranch_scc0 .LBB561_1103
; %bb.1106:                             ;   in Loop: Header=BB561_1105 Depth=1
	s_mov_b64 s[14:15], s[8:9]
                                        ; implicit-def: $vgpr33_vgpr34
                                        ; implicit-def: $vgpr57_vgpr58
	s_branch .LBB561_1104
.LBB561_1107:
	v_mov_b32_e32 v33, 0
	v_mov_b32_e32 v34, 0
	s_branch .LBB561_1110
.LBB561_1108:
	s_set_inst_prefetch_distance 0x2
	s_or_b32 exec_lo, exec_lo, s19
	v_cmp_gt_i64_e32 vcc_lo, s[8:9], v[59:60]
	s_mov_b32 s0, 0
	s_delay_alu instid0(SALU_CYCLE_1)
	v_mov_b32_e32 v34, s0
	v_cndmask_b32_e64 v33, 0, 1, vcc_lo
.LBB561_1109:
	s_or_b32 exec_lo, exec_lo, s18
.LBB561_1110:
	s_delay_alu instid0(SALU_CYCLE_1) | instskip(SKIP_2) | instid1(VALU_DEP_1)
	s_or_b32 exec_lo, exec_lo, s3
	v_add_nc_u32_e32 v57, 11, v64
	s_mov_b32 s3, exec_lo
	v_cmpx_gt_u32_e64 s6, v57
	s_cbranch_execz .LBB561_1121
; %bb.1111:
	v_cmp_ne_u32_e32 vcc_lo, 1, v63
	s_cbranch_vccnz .LBB561_1118
; %bb.1112:
	v_mul_lo_u32 v59, v32, s8
	v_mul_lo_u32 v60, v31, s9
	v_mad_u64_u32 v[57:58], null, v31, s8, 0
	v_mul_lo_u32 v61, v30, s8
	v_mul_lo_u32 v62, v29, s9
	v_mad_u64_u32 v[31:32], null, v29, s8, 0
	s_delay_alu instid0(VALU_DEP_4) | instskip(NEXT) | instid1(VALU_DEP_2)
	v_add3_u32 v58, v58, v60, v59
	v_add3_u32 v32, v32, v62, v61
	s_delay_alu instid0(VALU_DEP_2) | instskip(NEXT) | instid1(VALU_DEP_2)
	v_lshlrev_b64 v[57:58], 3, v[57:58]
	v_lshlrev_b64 v[31:32], 3, v[31:32]
	s_delay_alu instid0(VALU_DEP_2) | instskip(NEXT) | instid1(VALU_DEP_3)
	v_add_co_u32 v57, vcc_lo, s10, v57
	v_add_co_ci_u32_e32 v58, vcc_lo, s11, v58, vcc_lo
	s_delay_alu instid0(VALU_DEP_3) | instskip(NEXT) | instid1(VALU_DEP_4)
	v_add_co_u32 v59, vcc_lo, s10, v31
	v_add_co_ci_u32_e32 v60, vcc_lo, s11, v32, vcc_lo
	s_clause 0x1
	global_load_b64 v[31:32], v[57:58], off
	global_load_b64 v[61:62], v[59:60], off
	s_waitcnt vmcnt(0)
	v_cmp_eq_u64_e32 vcc_lo, v[31:32], v[61:62]
	v_mov_b32_e32 v31, 1
	v_mov_b32_e32 v32, 0
	s_and_saveexec_b32 s18, vcc_lo
	s_cbranch_execz .LBB561_1120
; %bb.1113:
	v_add_co_u32 v31, vcc_lo, v59, 8
	v_add_co_ci_u32_e32 v32, vcc_lo, 0, v60, vcc_lo
	v_add_co_u32 v57, vcc_lo, v57, 8
	v_add_co_ci_u32_e32 v58, vcc_lo, 0, v58, vcc_lo
	s_add_u32 s12, s8, -1
	s_addc_u32 s13, s9, -1
	s_mov_b64 s[14:15], 0
	s_mov_b32 s19, 0
                                        ; implicit-def: $sgpr20
	s_set_inst_prefetch_distance 0x1
	s_branch .LBB561_1116
	.p2align	6
.LBB561_1114:                           ;   in Loop: Header=BB561_1116 Depth=1
	global_load_b64 v[59:60], v[57:58], off
	global_load_b64 v[61:62], v[31:32], off
	v_add_co_u32 v31, vcc_lo, v31, 8
	v_add_co_ci_u32_e32 v32, vcc_lo, 0, v32, vcc_lo
	v_add_co_u32 v57, s0, v57, 8
	s_delay_alu instid0(VALU_DEP_1)
	v_add_co_ci_u32_e64 v58, s0, 0, v58, s0
	s_add_u32 s14, s14, 1
	s_addc_u32 s15, s15, 0
	s_and_not1_b32 s0, s20, exec_lo
	s_waitcnt vmcnt(0)
	v_cmp_ne_u64_e32 vcc_lo, v[59:60], v[61:62]
	s_and_b32 s20, vcc_lo, exec_lo
	s_delay_alu instid0(SALU_CYCLE_1)
	s_or_b32 s20, s0, s20
.LBB561_1115:                           ;   in Loop: Header=BB561_1116 Depth=1
	v_dual_mov_b32 v60, s15 :: v_dual_mov_b32 v59, s14
	s_and_b32 s0, exec_lo, s20
	s_delay_alu instid0(SALU_CYCLE_1) | instskip(NEXT) | instid1(SALU_CYCLE_1)
	s_or_b32 s19, s0, s19
	s_and_not1_b32 exec_lo, exec_lo, s19
	s_cbranch_execz .LBB561_1119
.LBB561_1116:                           ; =>This Inner Loop Header: Depth=1
	s_or_b32 s20, s20, exec_lo
	s_cmp_eq_u64 s[12:13], s[14:15]
	s_cbranch_scc0 .LBB561_1114
; %bb.1117:                             ;   in Loop: Header=BB561_1116 Depth=1
	s_mov_b64 s[14:15], s[8:9]
                                        ; implicit-def: $vgpr31_vgpr32
                                        ; implicit-def: $vgpr57_vgpr58
	s_branch .LBB561_1115
.LBB561_1118:
	v_mov_b32_e32 v31, 0
	v_mov_b32_e32 v32, 0
	s_branch .LBB561_1121
.LBB561_1119:
	s_set_inst_prefetch_distance 0x2
	s_or_b32 exec_lo, exec_lo, s19
	v_cmp_gt_i64_e32 vcc_lo, s[8:9], v[59:60]
	s_mov_b32 s0, 0
	s_delay_alu instid0(SALU_CYCLE_1)
	v_mov_b32_e32 v32, s0
	v_cndmask_b32_e64 v31, 0, 1, vcc_lo
.LBB561_1120:
	s_or_b32 exec_lo, exec_lo, s18
.LBB561_1121:
	s_delay_alu instid0(SALU_CYCLE_1) | instskip(SKIP_2) | instid1(VALU_DEP_1)
	s_or_b32 exec_lo, exec_lo, s3
	v_add_nc_u32_e32 v57, 10, v64
	s_mov_b32 s3, exec_lo
	v_cmpx_gt_u32_e64 s6, v57
	s_cbranch_execz .LBB561_1132
; %bb.1122:
	v_cmp_ne_u32_e32 vcc_lo, 1, v63
	s_cbranch_vccnz .LBB561_1129
; %bb.1123:
	v_mul_lo_u32 v59, v30, s8
	v_mul_lo_u32 v60, v29, s9
	v_mad_u64_u32 v[57:58], null, v29, s8, 0
	v_mul_lo_u32 v61, v28, s8
	v_mul_lo_u32 v62, v27, s9
	v_mad_u64_u32 v[29:30], null, v27, s8, 0
	s_delay_alu instid0(VALU_DEP_4) | instskip(NEXT) | instid1(VALU_DEP_2)
	v_add3_u32 v58, v58, v60, v59
	v_add3_u32 v30, v30, v62, v61
	s_delay_alu instid0(VALU_DEP_2) | instskip(NEXT) | instid1(VALU_DEP_2)
	v_lshlrev_b64 v[57:58], 3, v[57:58]
	v_lshlrev_b64 v[29:30], 3, v[29:30]
	s_delay_alu instid0(VALU_DEP_2) | instskip(NEXT) | instid1(VALU_DEP_3)
	v_add_co_u32 v57, vcc_lo, s10, v57
	v_add_co_ci_u32_e32 v58, vcc_lo, s11, v58, vcc_lo
	s_delay_alu instid0(VALU_DEP_3) | instskip(NEXT) | instid1(VALU_DEP_4)
	v_add_co_u32 v59, vcc_lo, s10, v29
	v_add_co_ci_u32_e32 v60, vcc_lo, s11, v30, vcc_lo
	s_clause 0x1
	global_load_b64 v[29:30], v[57:58], off
	global_load_b64 v[61:62], v[59:60], off
	s_waitcnt vmcnt(0)
	v_cmp_eq_u64_e32 vcc_lo, v[29:30], v[61:62]
	v_mov_b32_e32 v29, 1
	v_mov_b32_e32 v30, 0
	s_and_saveexec_b32 s18, vcc_lo
	s_cbranch_execz .LBB561_1131
; %bb.1124:
	v_add_co_u32 v29, vcc_lo, v59, 8
	v_add_co_ci_u32_e32 v30, vcc_lo, 0, v60, vcc_lo
	v_add_co_u32 v57, vcc_lo, v57, 8
	v_add_co_ci_u32_e32 v58, vcc_lo, 0, v58, vcc_lo
	s_add_u32 s12, s8, -1
	s_addc_u32 s13, s9, -1
	s_mov_b64 s[14:15], 0
	s_mov_b32 s19, 0
                                        ; implicit-def: $sgpr20
	s_set_inst_prefetch_distance 0x1
	s_branch .LBB561_1127
	.p2align	6
.LBB561_1125:                           ;   in Loop: Header=BB561_1127 Depth=1
	global_load_b64 v[59:60], v[57:58], off
	global_load_b64 v[61:62], v[29:30], off
	v_add_co_u32 v29, vcc_lo, v29, 8
	v_add_co_ci_u32_e32 v30, vcc_lo, 0, v30, vcc_lo
	v_add_co_u32 v57, s0, v57, 8
	s_delay_alu instid0(VALU_DEP_1)
	v_add_co_ci_u32_e64 v58, s0, 0, v58, s0
	s_add_u32 s14, s14, 1
	s_addc_u32 s15, s15, 0
	s_and_not1_b32 s0, s20, exec_lo
	s_waitcnt vmcnt(0)
	v_cmp_ne_u64_e32 vcc_lo, v[59:60], v[61:62]
	s_and_b32 s20, vcc_lo, exec_lo
	s_delay_alu instid0(SALU_CYCLE_1)
	s_or_b32 s20, s0, s20
.LBB561_1126:                           ;   in Loop: Header=BB561_1127 Depth=1
	v_dual_mov_b32 v60, s15 :: v_dual_mov_b32 v59, s14
	s_and_b32 s0, exec_lo, s20
	s_delay_alu instid0(SALU_CYCLE_1) | instskip(NEXT) | instid1(SALU_CYCLE_1)
	s_or_b32 s19, s0, s19
	s_and_not1_b32 exec_lo, exec_lo, s19
	s_cbranch_execz .LBB561_1130
.LBB561_1127:                           ; =>This Inner Loop Header: Depth=1
	s_or_b32 s20, s20, exec_lo
	s_cmp_eq_u64 s[12:13], s[14:15]
	s_cbranch_scc0 .LBB561_1125
; %bb.1128:                             ;   in Loop: Header=BB561_1127 Depth=1
	s_mov_b64 s[14:15], s[8:9]
                                        ; implicit-def: $vgpr29_vgpr30
                                        ; implicit-def: $vgpr57_vgpr58
	s_branch .LBB561_1126
.LBB561_1129:
	v_mov_b32_e32 v29, 0
	v_mov_b32_e32 v30, 0
	s_branch .LBB561_1132
.LBB561_1130:
	s_set_inst_prefetch_distance 0x2
	s_or_b32 exec_lo, exec_lo, s19
	v_cmp_gt_i64_e32 vcc_lo, s[8:9], v[59:60]
	s_mov_b32 s0, 0
	s_delay_alu instid0(SALU_CYCLE_1)
	v_mov_b32_e32 v30, s0
	v_cndmask_b32_e64 v29, 0, 1, vcc_lo
.LBB561_1131:
	s_or_b32 exec_lo, exec_lo, s18
.LBB561_1132:
	s_delay_alu instid0(SALU_CYCLE_1) | instskip(SKIP_2) | instid1(VALU_DEP_1)
	s_or_b32 exec_lo, exec_lo, s3
	v_add_nc_u32_e32 v57, 9, v64
	s_mov_b32 s3, exec_lo
	v_cmpx_gt_u32_e64 s6, v57
	s_cbranch_execz .LBB561_1143
; %bb.1133:
	v_cmp_ne_u32_e32 vcc_lo, 1, v63
	s_cbranch_vccnz .LBB561_1140
; %bb.1134:
	v_mul_lo_u32 v59, v28, s8
	v_mul_lo_u32 v60, v27, s9
	v_mad_u64_u32 v[57:58], null, v27, s8, 0
	v_mul_lo_u32 v61, v26, s8
	v_mul_lo_u32 v62, v25, s9
	v_mad_u64_u32 v[27:28], null, v25, s8, 0
	s_delay_alu instid0(VALU_DEP_4) | instskip(NEXT) | instid1(VALU_DEP_2)
	v_add3_u32 v58, v58, v60, v59
	v_add3_u32 v28, v28, v62, v61
	s_delay_alu instid0(VALU_DEP_2) | instskip(NEXT) | instid1(VALU_DEP_2)
	v_lshlrev_b64 v[57:58], 3, v[57:58]
	v_lshlrev_b64 v[27:28], 3, v[27:28]
	s_delay_alu instid0(VALU_DEP_2) | instskip(NEXT) | instid1(VALU_DEP_3)
	v_add_co_u32 v57, vcc_lo, s10, v57
	v_add_co_ci_u32_e32 v58, vcc_lo, s11, v58, vcc_lo
	s_delay_alu instid0(VALU_DEP_3) | instskip(NEXT) | instid1(VALU_DEP_4)
	v_add_co_u32 v59, vcc_lo, s10, v27
	v_add_co_ci_u32_e32 v60, vcc_lo, s11, v28, vcc_lo
	s_clause 0x1
	global_load_b64 v[27:28], v[57:58], off
	global_load_b64 v[61:62], v[59:60], off
	s_waitcnt vmcnt(0)
	v_cmp_eq_u64_e32 vcc_lo, v[27:28], v[61:62]
	v_mov_b32_e32 v27, 1
	v_mov_b32_e32 v28, 0
	s_and_saveexec_b32 s18, vcc_lo
	s_cbranch_execz .LBB561_1142
; %bb.1135:
	v_add_co_u32 v27, vcc_lo, v59, 8
	v_add_co_ci_u32_e32 v28, vcc_lo, 0, v60, vcc_lo
	v_add_co_u32 v57, vcc_lo, v57, 8
	v_add_co_ci_u32_e32 v58, vcc_lo, 0, v58, vcc_lo
	s_add_u32 s12, s8, -1
	s_addc_u32 s13, s9, -1
	s_mov_b64 s[14:15], 0
	s_mov_b32 s19, 0
                                        ; implicit-def: $sgpr20
	s_set_inst_prefetch_distance 0x1
	s_branch .LBB561_1138
	.p2align	6
.LBB561_1136:                           ;   in Loop: Header=BB561_1138 Depth=1
	global_load_b64 v[59:60], v[57:58], off
	global_load_b64 v[61:62], v[27:28], off
	v_add_co_u32 v27, vcc_lo, v27, 8
	v_add_co_ci_u32_e32 v28, vcc_lo, 0, v28, vcc_lo
	v_add_co_u32 v57, s0, v57, 8
	s_delay_alu instid0(VALU_DEP_1)
	v_add_co_ci_u32_e64 v58, s0, 0, v58, s0
	s_add_u32 s14, s14, 1
	s_addc_u32 s15, s15, 0
	s_and_not1_b32 s0, s20, exec_lo
	s_waitcnt vmcnt(0)
	v_cmp_ne_u64_e32 vcc_lo, v[59:60], v[61:62]
	s_and_b32 s20, vcc_lo, exec_lo
	s_delay_alu instid0(SALU_CYCLE_1)
	s_or_b32 s20, s0, s20
.LBB561_1137:                           ;   in Loop: Header=BB561_1138 Depth=1
	v_dual_mov_b32 v60, s15 :: v_dual_mov_b32 v59, s14
	s_and_b32 s0, exec_lo, s20
	s_delay_alu instid0(SALU_CYCLE_1) | instskip(NEXT) | instid1(SALU_CYCLE_1)
	s_or_b32 s19, s0, s19
	s_and_not1_b32 exec_lo, exec_lo, s19
	s_cbranch_execz .LBB561_1141
.LBB561_1138:                           ; =>This Inner Loop Header: Depth=1
	s_or_b32 s20, s20, exec_lo
	s_cmp_eq_u64 s[12:13], s[14:15]
	s_cbranch_scc0 .LBB561_1136
; %bb.1139:                             ;   in Loop: Header=BB561_1138 Depth=1
	s_mov_b64 s[14:15], s[8:9]
                                        ; implicit-def: $vgpr27_vgpr28
                                        ; implicit-def: $vgpr57_vgpr58
	s_branch .LBB561_1137
.LBB561_1140:
	v_mov_b32_e32 v27, 0
	v_mov_b32_e32 v28, 0
	s_branch .LBB561_1143
.LBB561_1141:
	s_set_inst_prefetch_distance 0x2
	s_or_b32 exec_lo, exec_lo, s19
	v_cmp_gt_i64_e32 vcc_lo, s[8:9], v[59:60]
	s_mov_b32 s0, 0
	s_delay_alu instid0(SALU_CYCLE_1)
	v_mov_b32_e32 v28, s0
	v_cndmask_b32_e64 v27, 0, 1, vcc_lo
.LBB561_1142:
	s_or_b32 exec_lo, exec_lo, s18
.LBB561_1143:
	s_delay_alu instid0(SALU_CYCLE_1) | instskip(SKIP_2) | instid1(VALU_DEP_1)
	s_or_b32 exec_lo, exec_lo, s3
	v_add_nc_u32_e32 v57, 8, v64
	s_mov_b32 s3, exec_lo
	v_cmpx_gt_u32_e64 s6, v57
	s_cbranch_execz .LBB561_1154
; %bb.1144:
	v_cmp_ne_u32_e32 vcc_lo, 1, v63
	s_cbranch_vccnz .LBB561_1151
; %bb.1145:
	v_mul_lo_u32 v59, v26, s8
	v_mul_lo_u32 v60, v25, s9
	v_mad_u64_u32 v[57:58], null, v25, s8, 0
	v_mul_lo_u32 v61, v24, s8
	v_mul_lo_u32 v62, v23, s9
	v_mad_u64_u32 v[25:26], null, v23, s8, 0
	s_delay_alu instid0(VALU_DEP_4) | instskip(NEXT) | instid1(VALU_DEP_2)
	v_add3_u32 v58, v58, v60, v59
	v_add3_u32 v26, v26, v62, v61
	s_delay_alu instid0(VALU_DEP_2) | instskip(NEXT) | instid1(VALU_DEP_2)
	v_lshlrev_b64 v[57:58], 3, v[57:58]
	v_lshlrev_b64 v[25:26], 3, v[25:26]
	s_delay_alu instid0(VALU_DEP_2) | instskip(NEXT) | instid1(VALU_DEP_3)
	v_add_co_u32 v57, vcc_lo, s10, v57
	v_add_co_ci_u32_e32 v58, vcc_lo, s11, v58, vcc_lo
	s_delay_alu instid0(VALU_DEP_3) | instskip(NEXT) | instid1(VALU_DEP_4)
	v_add_co_u32 v59, vcc_lo, s10, v25
	v_add_co_ci_u32_e32 v60, vcc_lo, s11, v26, vcc_lo
	s_clause 0x1
	global_load_b64 v[25:26], v[57:58], off
	global_load_b64 v[61:62], v[59:60], off
	s_waitcnt vmcnt(0)
	v_cmp_eq_u64_e32 vcc_lo, v[25:26], v[61:62]
	v_mov_b32_e32 v25, 1
	v_mov_b32_e32 v26, 0
	s_and_saveexec_b32 s18, vcc_lo
	s_cbranch_execz .LBB561_1153
; %bb.1146:
	v_add_co_u32 v25, vcc_lo, v59, 8
	v_add_co_ci_u32_e32 v26, vcc_lo, 0, v60, vcc_lo
	v_add_co_u32 v57, vcc_lo, v57, 8
	v_add_co_ci_u32_e32 v58, vcc_lo, 0, v58, vcc_lo
	s_add_u32 s12, s8, -1
	s_addc_u32 s13, s9, -1
	s_mov_b64 s[14:15], 0
	s_mov_b32 s19, 0
                                        ; implicit-def: $sgpr20
	s_set_inst_prefetch_distance 0x1
	s_branch .LBB561_1149
	.p2align	6
.LBB561_1147:                           ;   in Loop: Header=BB561_1149 Depth=1
	global_load_b64 v[59:60], v[57:58], off
	global_load_b64 v[61:62], v[25:26], off
	v_add_co_u32 v25, vcc_lo, v25, 8
	v_add_co_ci_u32_e32 v26, vcc_lo, 0, v26, vcc_lo
	v_add_co_u32 v57, s0, v57, 8
	s_delay_alu instid0(VALU_DEP_1)
	v_add_co_ci_u32_e64 v58, s0, 0, v58, s0
	s_add_u32 s14, s14, 1
	s_addc_u32 s15, s15, 0
	s_and_not1_b32 s0, s20, exec_lo
	s_waitcnt vmcnt(0)
	v_cmp_ne_u64_e32 vcc_lo, v[59:60], v[61:62]
	s_and_b32 s20, vcc_lo, exec_lo
	s_delay_alu instid0(SALU_CYCLE_1)
	s_or_b32 s20, s0, s20
.LBB561_1148:                           ;   in Loop: Header=BB561_1149 Depth=1
	v_dual_mov_b32 v60, s15 :: v_dual_mov_b32 v59, s14
	s_and_b32 s0, exec_lo, s20
	s_delay_alu instid0(SALU_CYCLE_1) | instskip(NEXT) | instid1(SALU_CYCLE_1)
	s_or_b32 s19, s0, s19
	s_and_not1_b32 exec_lo, exec_lo, s19
	s_cbranch_execz .LBB561_1152
.LBB561_1149:                           ; =>This Inner Loop Header: Depth=1
	s_or_b32 s20, s20, exec_lo
	s_cmp_eq_u64 s[12:13], s[14:15]
	s_cbranch_scc0 .LBB561_1147
; %bb.1150:                             ;   in Loop: Header=BB561_1149 Depth=1
	s_mov_b64 s[14:15], s[8:9]
                                        ; implicit-def: $vgpr25_vgpr26
                                        ; implicit-def: $vgpr57_vgpr58
	s_branch .LBB561_1148
.LBB561_1151:
	v_mov_b32_e32 v25, 0
	v_mov_b32_e32 v26, 0
	s_branch .LBB561_1154
.LBB561_1152:
	s_set_inst_prefetch_distance 0x2
	s_or_b32 exec_lo, exec_lo, s19
	v_cmp_gt_i64_e32 vcc_lo, s[8:9], v[59:60]
	s_mov_b32 s0, 0
	s_delay_alu instid0(SALU_CYCLE_1)
	v_mov_b32_e32 v26, s0
	v_cndmask_b32_e64 v25, 0, 1, vcc_lo
.LBB561_1153:
	s_or_b32 exec_lo, exec_lo, s18
.LBB561_1154:
	s_delay_alu instid0(SALU_CYCLE_1) | instskip(SKIP_2) | instid1(VALU_DEP_1)
	s_or_b32 exec_lo, exec_lo, s3
	v_add_nc_u32_e32 v57, 7, v64
	s_mov_b32 s3, exec_lo
	v_cmpx_gt_u32_e64 s6, v57
	s_cbranch_execz .LBB561_1165
; %bb.1155:
	v_cmp_ne_u32_e32 vcc_lo, 1, v63
	s_cbranch_vccnz .LBB561_1162
; %bb.1156:
	v_mul_lo_u32 v59, v24, s8
	v_mul_lo_u32 v60, v23, s9
	v_mad_u64_u32 v[57:58], null, v23, s8, 0
	v_mul_lo_u32 v61, v22, s8
	v_mul_lo_u32 v62, v21, s9
	v_mad_u64_u32 v[23:24], null, v21, s8, 0
	s_delay_alu instid0(VALU_DEP_4) | instskip(NEXT) | instid1(VALU_DEP_2)
	v_add3_u32 v58, v58, v60, v59
	v_add3_u32 v24, v24, v62, v61
	s_delay_alu instid0(VALU_DEP_2) | instskip(NEXT) | instid1(VALU_DEP_2)
	v_lshlrev_b64 v[57:58], 3, v[57:58]
	v_lshlrev_b64 v[23:24], 3, v[23:24]
	s_delay_alu instid0(VALU_DEP_2) | instskip(NEXT) | instid1(VALU_DEP_3)
	v_add_co_u32 v57, vcc_lo, s10, v57
	v_add_co_ci_u32_e32 v58, vcc_lo, s11, v58, vcc_lo
	s_delay_alu instid0(VALU_DEP_3) | instskip(NEXT) | instid1(VALU_DEP_4)
	v_add_co_u32 v59, vcc_lo, s10, v23
	v_add_co_ci_u32_e32 v60, vcc_lo, s11, v24, vcc_lo
	s_clause 0x1
	global_load_b64 v[23:24], v[57:58], off
	global_load_b64 v[61:62], v[59:60], off
	s_waitcnt vmcnt(0)
	v_cmp_eq_u64_e32 vcc_lo, v[23:24], v[61:62]
	v_mov_b32_e32 v23, 1
	v_mov_b32_e32 v24, 0
	s_and_saveexec_b32 s18, vcc_lo
	s_cbranch_execz .LBB561_1164
; %bb.1157:
	v_add_co_u32 v23, vcc_lo, v59, 8
	v_add_co_ci_u32_e32 v24, vcc_lo, 0, v60, vcc_lo
	v_add_co_u32 v57, vcc_lo, v57, 8
	v_add_co_ci_u32_e32 v58, vcc_lo, 0, v58, vcc_lo
	s_add_u32 s12, s8, -1
	s_addc_u32 s13, s9, -1
	s_mov_b64 s[14:15], 0
	s_mov_b32 s19, 0
                                        ; implicit-def: $sgpr20
	s_set_inst_prefetch_distance 0x1
	s_branch .LBB561_1160
	.p2align	6
.LBB561_1158:                           ;   in Loop: Header=BB561_1160 Depth=1
	global_load_b64 v[59:60], v[57:58], off
	global_load_b64 v[61:62], v[23:24], off
	v_add_co_u32 v23, vcc_lo, v23, 8
	v_add_co_ci_u32_e32 v24, vcc_lo, 0, v24, vcc_lo
	v_add_co_u32 v57, s0, v57, 8
	s_delay_alu instid0(VALU_DEP_1)
	v_add_co_ci_u32_e64 v58, s0, 0, v58, s0
	s_add_u32 s14, s14, 1
	s_addc_u32 s15, s15, 0
	s_and_not1_b32 s0, s20, exec_lo
	s_waitcnt vmcnt(0)
	v_cmp_ne_u64_e32 vcc_lo, v[59:60], v[61:62]
	s_and_b32 s20, vcc_lo, exec_lo
	s_delay_alu instid0(SALU_CYCLE_1)
	s_or_b32 s20, s0, s20
.LBB561_1159:                           ;   in Loop: Header=BB561_1160 Depth=1
	v_dual_mov_b32 v60, s15 :: v_dual_mov_b32 v59, s14
	s_and_b32 s0, exec_lo, s20
	s_delay_alu instid0(SALU_CYCLE_1) | instskip(NEXT) | instid1(SALU_CYCLE_1)
	s_or_b32 s19, s0, s19
	s_and_not1_b32 exec_lo, exec_lo, s19
	s_cbranch_execz .LBB561_1163
.LBB561_1160:                           ; =>This Inner Loop Header: Depth=1
	s_or_b32 s20, s20, exec_lo
	s_cmp_eq_u64 s[12:13], s[14:15]
	s_cbranch_scc0 .LBB561_1158
; %bb.1161:                             ;   in Loop: Header=BB561_1160 Depth=1
	s_mov_b64 s[14:15], s[8:9]
                                        ; implicit-def: $vgpr23_vgpr24
                                        ; implicit-def: $vgpr57_vgpr58
	s_branch .LBB561_1159
.LBB561_1162:
	v_mov_b32_e32 v23, 0
	v_mov_b32_e32 v24, 0
	s_branch .LBB561_1165
.LBB561_1163:
	s_set_inst_prefetch_distance 0x2
	s_or_b32 exec_lo, exec_lo, s19
	v_cmp_gt_i64_e32 vcc_lo, s[8:9], v[59:60]
	s_mov_b32 s0, 0
	s_delay_alu instid0(SALU_CYCLE_1)
	v_mov_b32_e32 v24, s0
	v_cndmask_b32_e64 v23, 0, 1, vcc_lo
.LBB561_1164:
	s_or_b32 exec_lo, exec_lo, s18
.LBB561_1165:
	s_delay_alu instid0(SALU_CYCLE_1) | instskip(SKIP_2) | instid1(VALU_DEP_1)
	s_or_b32 exec_lo, exec_lo, s3
	v_add_nc_u32_e32 v57, 6, v64
	s_mov_b32 s3, exec_lo
	v_cmpx_gt_u32_e64 s6, v57
	s_cbranch_execz .LBB561_1176
; %bb.1166:
	v_cmp_ne_u32_e32 vcc_lo, 1, v63
	s_cbranch_vccnz .LBB561_1173
; %bb.1167:
	v_mul_lo_u32 v59, v22, s8
	v_mul_lo_u32 v60, v21, s9
	v_mad_u64_u32 v[57:58], null, v21, s8, 0
	v_mul_lo_u32 v61, v20, s8
	v_mul_lo_u32 v62, v19, s9
	v_mad_u64_u32 v[21:22], null, v19, s8, 0
	s_delay_alu instid0(VALU_DEP_4) | instskip(NEXT) | instid1(VALU_DEP_2)
	v_add3_u32 v58, v58, v60, v59
	v_add3_u32 v22, v22, v62, v61
	s_delay_alu instid0(VALU_DEP_2) | instskip(NEXT) | instid1(VALU_DEP_2)
	v_lshlrev_b64 v[57:58], 3, v[57:58]
	v_lshlrev_b64 v[21:22], 3, v[21:22]
	s_delay_alu instid0(VALU_DEP_2) | instskip(NEXT) | instid1(VALU_DEP_3)
	v_add_co_u32 v57, vcc_lo, s10, v57
	v_add_co_ci_u32_e32 v58, vcc_lo, s11, v58, vcc_lo
	s_delay_alu instid0(VALU_DEP_3) | instskip(NEXT) | instid1(VALU_DEP_4)
	v_add_co_u32 v59, vcc_lo, s10, v21
	v_add_co_ci_u32_e32 v60, vcc_lo, s11, v22, vcc_lo
	s_clause 0x1
	global_load_b64 v[21:22], v[57:58], off
	global_load_b64 v[61:62], v[59:60], off
	s_waitcnt vmcnt(0)
	v_cmp_eq_u64_e32 vcc_lo, v[21:22], v[61:62]
	v_mov_b32_e32 v21, 1
	v_mov_b32_e32 v22, 0
	s_and_saveexec_b32 s18, vcc_lo
	s_cbranch_execz .LBB561_1175
; %bb.1168:
	v_add_co_u32 v21, vcc_lo, v59, 8
	v_add_co_ci_u32_e32 v22, vcc_lo, 0, v60, vcc_lo
	v_add_co_u32 v57, vcc_lo, v57, 8
	v_add_co_ci_u32_e32 v58, vcc_lo, 0, v58, vcc_lo
	s_add_u32 s12, s8, -1
	s_addc_u32 s13, s9, -1
	s_mov_b64 s[14:15], 0
	s_mov_b32 s19, 0
                                        ; implicit-def: $sgpr20
	s_set_inst_prefetch_distance 0x1
	s_branch .LBB561_1171
	.p2align	6
.LBB561_1169:                           ;   in Loop: Header=BB561_1171 Depth=1
	global_load_b64 v[59:60], v[57:58], off
	global_load_b64 v[61:62], v[21:22], off
	v_add_co_u32 v21, vcc_lo, v21, 8
	v_add_co_ci_u32_e32 v22, vcc_lo, 0, v22, vcc_lo
	v_add_co_u32 v57, s0, v57, 8
	s_delay_alu instid0(VALU_DEP_1)
	v_add_co_ci_u32_e64 v58, s0, 0, v58, s0
	s_add_u32 s14, s14, 1
	s_addc_u32 s15, s15, 0
	s_and_not1_b32 s0, s20, exec_lo
	s_waitcnt vmcnt(0)
	v_cmp_ne_u64_e32 vcc_lo, v[59:60], v[61:62]
	s_and_b32 s20, vcc_lo, exec_lo
	s_delay_alu instid0(SALU_CYCLE_1)
	s_or_b32 s20, s0, s20
.LBB561_1170:                           ;   in Loop: Header=BB561_1171 Depth=1
	v_dual_mov_b32 v60, s15 :: v_dual_mov_b32 v59, s14
	s_and_b32 s0, exec_lo, s20
	s_delay_alu instid0(SALU_CYCLE_1) | instskip(NEXT) | instid1(SALU_CYCLE_1)
	s_or_b32 s19, s0, s19
	s_and_not1_b32 exec_lo, exec_lo, s19
	s_cbranch_execz .LBB561_1174
.LBB561_1171:                           ; =>This Inner Loop Header: Depth=1
	s_or_b32 s20, s20, exec_lo
	s_cmp_eq_u64 s[12:13], s[14:15]
	s_cbranch_scc0 .LBB561_1169
; %bb.1172:                             ;   in Loop: Header=BB561_1171 Depth=1
	s_mov_b64 s[14:15], s[8:9]
                                        ; implicit-def: $vgpr21_vgpr22
                                        ; implicit-def: $vgpr57_vgpr58
	s_branch .LBB561_1170
.LBB561_1173:
	v_mov_b32_e32 v21, 0
	v_mov_b32_e32 v22, 0
	s_branch .LBB561_1176
.LBB561_1174:
	s_set_inst_prefetch_distance 0x2
	s_or_b32 exec_lo, exec_lo, s19
	v_cmp_gt_i64_e32 vcc_lo, s[8:9], v[59:60]
	s_mov_b32 s0, 0
	s_delay_alu instid0(SALU_CYCLE_1)
	v_mov_b32_e32 v22, s0
	v_cndmask_b32_e64 v21, 0, 1, vcc_lo
.LBB561_1175:
	s_or_b32 exec_lo, exec_lo, s18
.LBB561_1176:
	s_delay_alu instid0(SALU_CYCLE_1) | instskip(SKIP_2) | instid1(VALU_DEP_1)
	s_or_b32 exec_lo, exec_lo, s3
	v_add_nc_u32_e32 v57, 5, v64
	s_mov_b32 s3, exec_lo
	v_cmpx_gt_u32_e64 s6, v57
	s_cbranch_execz .LBB561_1187
; %bb.1177:
	v_cmp_ne_u32_e32 vcc_lo, 1, v63
	s_cbranch_vccnz .LBB561_1184
; %bb.1178:
	v_mul_lo_u32 v59, v20, s8
	v_mul_lo_u32 v60, v19, s9
	v_mad_u64_u32 v[57:58], null, v19, s8, 0
	v_mul_lo_u32 v61, v18, s8
	v_mul_lo_u32 v62, v17, s9
	v_mad_u64_u32 v[19:20], null, v17, s8, 0
	s_delay_alu instid0(VALU_DEP_4) | instskip(NEXT) | instid1(VALU_DEP_2)
	v_add3_u32 v58, v58, v60, v59
	v_add3_u32 v20, v20, v62, v61
	s_delay_alu instid0(VALU_DEP_2) | instskip(NEXT) | instid1(VALU_DEP_2)
	v_lshlrev_b64 v[57:58], 3, v[57:58]
	v_lshlrev_b64 v[19:20], 3, v[19:20]
	s_delay_alu instid0(VALU_DEP_2) | instskip(NEXT) | instid1(VALU_DEP_3)
	v_add_co_u32 v57, vcc_lo, s10, v57
	v_add_co_ci_u32_e32 v58, vcc_lo, s11, v58, vcc_lo
	s_delay_alu instid0(VALU_DEP_3) | instskip(NEXT) | instid1(VALU_DEP_4)
	v_add_co_u32 v59, vcc_lo, s10, v19
	v_add_co_ci_u32_e32 v60, vcc_lo, s11, v20, vcc_lo
	s_clause 0x1
	global_load_b64 v[19:20], v[57:58], off
	global_load_b64 v[61:62], v[59:60], off
	s_waitcnt vmcnt(0)
	v_cmp_eq_u64_e32 vcc_lo, v[19:20], v[61:62]
	v_mov_b32_e32 v19, 1
	v_mov_b32_e32 v20, 0
	s_and_saveexec_b32 s18, vcc_lo
	s_cbranch_execz .LBB561_1186
; %bb.1179:
	v_add_co_u32 v19, vcc_lo, v59, 8
	v_add_co_ci_u32_e32 v20, vcc_lo, 0, v60, vcc_lo
	v_add_co_u32 v57, vcc_lo, v57, 8
	v_add_co_ci_u32_e32 v58, vcc_lo, 0, v58, vcc_lo
	s_add_u32 s12, s8, -1
	s_addc_u32 s13, s9, -1
	s_mov_b64 s[14:15], 0
	s_mov_b32 s19, 0
                                        ; implicit-def: $sgpr20
	s_set_inst_prefetch_distance 0x1
	s_branch .LBB561_1182
	.p2align	6
.LBB561_1180:                           ;   in Loop: Header=BB561_1182 Depth=1
	global_load_b64 v[59:60], v[57:58], off
	global_load_b64 v[61:62], v[19:20], off
	v_add_co_u32 v19, vcc_lo, v19, 8
	v_add_co_ci_u32_e32 v20, vcc_lo, 0, v20, vcc_lo
	v_add_co_u32 v57, s0, v57, 8
	s_delay_alu instid0(VALU_DEP_1)
	v_add_co_ci_u32_e64 v58, s0, 0, v58, s0
	s_add_u32 s14, s14, 1
	s_addc_u32 s15, s15, 0
	s_and_not1_b32 s0, s20, exec_lo
	s_waitcnt vmcnt(0)
	v_cmp_ne_u64_e32 vcc_lo, v[59:60], v[61:62]
	s_and_b32 s20, vcc_lo, exec_lo
	s_delay_alu instid0(SALU_CYCLE_1)
	s_or_b32 s20, s0, s20
.LBB561_1181:                           ;   in Loop: Header=BB561_1182 Depth=1
	v_dual_mov_b32 v60, s15 :: v_dual_mov_b32 v59, s14
	s_and_b32 s0, exec_lo, s20
	s_delay_alu instid0(SALU_CYCLE_1) | instskip(NEXT) | instid1(SALU_CYCLE_1)
	s_or_b32 s19, s0, s19
	s_and_not1_b32 exec_lo, exec_lo, s19
	s_cbranch_execz .LBB561_1185
.LBB561_1182:                           ; =>This Inner Loop Header: Depth=1
	s_or_b32 s20, s20, exec_lo
	s_cmp_eq_u64 s[12:13], s[14:15]
	s_cbranch_scc0 .LBB561_1180
; %bb.1183:                             ;   in Loop: Header=BB561_1182 Depth=1
	s_mov_b64 s[14:15], s[8:9]
                                        ; implicit-def: $vgpr19_vgpr20
                                        ; implicit-def: $vgpr57_vgpr58
	s_branch .LBB561_1181
.LBB561_1184:
	v_mov_b32_e32 v19, 0
	v_mov_b32_e32 v20, 0
	s_branch .LBB561_1187
.LBB561_1185:
	s_set_inst_prefetch_distance 0x2
	s_or_b32 exec_lo, exec_lo, s19
	v_cmp_gt_i64_e32 vcc_lo, s[8:9], v[59:60]
	s_mov_b32 s0, 0
	s_delay_alu instid0(SALU_CYCLE_1)
	v_mov_b32_e32 v20, s0
	v_cndmask_b32_e64 v19, 0, 1, vcc_lo
.LBB561_1186:
	s_or_b32 exec_lo, exec_lo, s18
.LBB561_1187:
	s_delay_alu instid0(SALU_CYCLE_1) | instskip(SKIP_2) | instid1(VALU_DEP_1)
	s_or_b32 exec_lo, exec_lo, s3
	v_add_nc_u32_e32 v57, 4, v64
	s_mov_b32 s3, exec_lo
	v_cmpx_gt_u32_e64 s6, v57
	s_cbranch_execz .LBB561_1198
; %bb.1188:
	v_cmp_ne_u32_e32 vcc_lo, 1, v63
	s_cbranch_vccnz .LBB561_1195
; %bb.1189:
	v_mul_lo_u32 v59, v18, s8
	v_mul_lo_u32 v60, v17, s9
	v_mad_u64_u32 v[57:58], null, v17, s8, 0
	v_mul_lo_u32 v61, v16, s8
	v_mul_lo_u32 v62, v15, s9
	v_mad_u64_u32 v[17:18], null, v15, s8, 0
	s_delay_alu instid0(VALU_DEP_4) | instskip(NEXT) | instid1(VALU_DEP_2)
	v_add3_u32 v58, v58, v60, v59
	v_add3_u32 v18, v18, v62, v61
	s_delay_alu instid0(VALU_DEP_2) | instskip(NEXT) | instid1(VALU_DEP_2)
	v_lshlrev_b64 v[57:58], 3, v[57:58]
	v_lshlrev_b64 v[17:18], 3, v[17:18]
	s_delay_alu instid0(VALU_DEP_2) | instskip(NEXT) | instid1(VALU_DEP_3)
	v_add_co_u32 v57, vcc_lo, s10, v57
	v_add_co_ci_u32_e32 v58, vcc_lo, s11, v58, vcc_lo
	s_delay_alu instid0(VALU_DEP_3) | instskip(NEXT) | instid1(VALU_DEP_4)
	v_add_co_u32 v59, vcc_lo, s10, v17
	v_add_co_ci_u32_e32 v60, vcc_lo, s11, v18, vcc_lo
	s_clause 0x1
	global_load_b64 v[17:18], v[57:58], off
	global_load_b64 v[61:62], v[59:60], off
	s_waitcnt vmcnt(0)
	v_cmp_eq_u64_e32 vcc_lo, v[17:18], v[61:62]
	v_mov_b32_e32 v17, 1
	v_mov_b32_e32 v18, 0
	s_and_saveexec_b32 s18, vcc_lo
	s_cbranch_execz .LBB561_1197
; %bb.1190:
	v_add_co_u32 v17, vcc_lo, v59, 8
	v_add_co_ci_u32_e32 v18, vcc_lo, 0, v60, vcc_lo
	v_add_co_u32 v57, vcc_lo, v57, 8
	v_add_co_ci_u32_e32 v58, vcc_lo, 0, v58, vcc_lo
	s_add_u32 s12, s8, -1
	s_addc_u32 s13, s9, -1
	s_mov_b64 s[14:15], 0
	s_mov_b32 s19, 0
                                        ; implicit-def: $sgpr20
	s_set_inst_prefetch_distance 0x1
	s_branch .LBB561_1193
	.p2align	6
.LBB561_1191:                           ;   in Loop: Header=BB561_1193 Depth=1
	global_load_b64 v[59:60], v[57:58], off
	global_load_b64 v[61:62], v[17:18], off
	v_add_co_u32 v17, vcc_lo, v17, 8
	v_add_co_ci_u32_e32 v18, vcc_lo, 0, v18, vcc_lo
	v_add_co_u32 v57, s0, v57, 8
	s_delay_alu instid0(VALU_DEP_1)
	v_add_co_ci_u32_e64 v58, s0, 0, v58, s0
	s_add_u32 s14, s14, 1
	s_addc_u32 s15, s15, 0
	s_and_not1_b32 s0, s20, exec_lo
	s_waitcnt vmcnt(0)
	v_cmp_ne_u64_e32 vcc_lo, v[59:60], v[61:62]
	s_and_b32 s20, vcc_lo, exec_lo
	s_delay_alu instid0(SALU_CYCLE_1)
	s_or_b32 s20, s0, s20
.LBB561_1192:                           ;   in Loop: Header=BB561_1193 Depth=1
	v_dual_mov_b32 v60, s15 :: v_dual_mov_b32 v59, s14
	s_and_b32 s0, exec_lo, s20
	s_delay_alu instid0(SALU_CYCLE_1) | instskip(NEXT) | instid1(SALU_CYCLE_1)
	s_or_b32 s19, s0, s19
	s_and_not1_b32 exec_lo, exec_lo, s19
	s_cbranch_execz .LBB561_1196
.LBB561_1193:                           ; =>This Inner Loop Header: Depth=1
	s_or_b32 s20, s20, exec_lo
	s_cmp_eq_u64 s[12:13], s[14:15]
	s_cbranch_scc0 .LBB561_1191
; %bb.1194:                             ;   in Loop: Header=BB561_1193 Depth=1
	s_mov_b64 s[14:15], s[8:9]
                                        ; implicit-def: $vgpr17_vgpr18
                                        ; implicit-def: $vgpr57_vgpr58
	s_branch .LBB561_1192
.LBB561_1195:
	v_mov_b32_e32 v17, 0
	v_mov_b32_e32 v18, 0
	s_branch .LBB561_1198
.LBB561_1196:
	s_set_inst_prefetch_distance 0x2
	s_or_b32 exec_lo, exec_lo, s19
	v_cmp_gt_i64_e32 vcc_lo, s[8:9], v[59:60]
	s_mov_b32 s0, 0
	s_delay_alu instid0(SALU_CYCLE_1)
	v_mov_b32_e32 v18, s0
	v_cndmask_b32_e64 v17, 0, 1, vcc_lo
.LBB561_1197:
	s_or_b32 exec_lo, exec_lo, s18
.LBB561_1198:
	s_delay_alu instid0(SALU_CYCLE_1) | instskip(SKIP_2) | instid1(VALU_DEP_1)
	s_or_b32 exec_lo, exec_lo, s3
	v_add_nc_u32_e32 v57, 3, v64
	s_mov_b32 s3, exec_lo
	v_cmpx_gt_u32_e64 s6, v57
	s_cbranch_execz .LBB561_1209
; %bb.1199:
	v_cmp_ne_u32_e32 vcc_lo, 1, v63
	s_cbranch_vccnz .LBB561_1206
; %bb.1200:
	v_mul_lo_u32 v59, v16, s8
	v_mul_lo_u32 v60, v15, s9
	v_mad_u64_u32 v[57:58], null, v15, s8, 0
	v_mul_lo_u32 v61, v14, s8
	v_mul_lo_u32 v62, v13, s9
	v_mad_u64_u32 v[15:16], null, v13, s8, 0
	s_delay_alu instid0(VALU_DEP_4) | instskip(NEXT) | instid1(VALU_DEP_2)
	v_add3_u32 v58, v58, v60, v59
	v_add3_u32 v16, v16, v62, v61
	s_delay_alu instid0(VALU_DEP_2) | instskip(NEXT) | instid1(VALU_DEP_2)
	v_lshlrev_b64 v[57:58], 3, v[57:58]
	v_lshlrev_b64 v[15:16], 3, v[15:16]
	s_delay_alu instid0(VALU_DEP_2) | instskip(NEXT) | instid1(VALU_DEP_3)
	v_add_co_u32 v57, vcc_lo, s10, v57
	v_add_co_ci_u32_e32 v58, vcc_lo, s11, v58, vcc_lo
	s_delay_alu instid0(VALU_DEP_3) | instskip(NEXT) | instid1(VALU_DEP_4)
	v_add_co_u32 v59, vcc_lo, s10, v15
	v_add_co_ci_u32_e32 v60, vcc_lo, s11, v16, vcc_lo
	s_clause 0x1
	global_load_b64 v[15:16], v[57:58], off
	global_load_b64 v[61:62], v[59:60], off
	s_waitcnt vmcnt(0)
	v_cmp_eq_u64_e32 vcc_lo, v[15:16], v[61:62]
	v_mov_b32_e32 v15, 1
	v_mov_b32_e32 v16, 0
	s_and_saveexec_b32 s18, vcc_lo
	s_cbranch_execz .LBB561_1208
; %bb.1201:
	v_add_co_u32 v15, vcc_lo, v59, 8
	v_add_co_ci_u32_e32 v16, vcc_lo, 0, v60, vcc_lo
	v_add_co_u32 v57, vcc_lo, v57, 8
	v_add_co_ci_u32_e32 v58, vcc_lo, 0, v58, vcc_lo
	s_add_u32 s12, s8, -1
	s_addc_u32 s13, s9, -1
	s_mov_b64 s[14:15], 0
	s_mov_b32 s19, 0
                                        ; implicit-def: $sgpr20
	s_set_inst_prefetch_distance 0x1
	s_branch .LBB561_1204
	.p2align	6
.LBB561_1202:                           ;   in Loop: Header=BB561_1204 Depth=1
	global_load_b64 v[59:60], v[57:58], off
	global_load_b64 v[61:62], v[15:16], off
	v_add_co_u32 v15, vcc_lo, v15, 8
	v_add_co_ci_u32_e32 v16, vcc_lo, 0, v16, vcc_lo
	v_add_co_u32 v57, s0, v57, 8
	s_delay_alu instid0(VALU_DEP_1)
	v_add_co_ci_u32_e64 v58, s0, 0, v58, s0
	s_add_u32 s14, s14, 1
	s_addc_u32 s15, s15, 0
	s_and_not1_b32 s0, s20, exec_lo
	s_waitcnt vmcnt(0)
	v_cmp_ne_u64_e32 vcc_lo, v[59:60], v[61:62]
	s_and_b32 s20, vcc_lo, exec_lo
	s_delay_alu instid0(SALU_CYCLE_1)
	s_or_b32 s20, s0, s20
.LBB561_1203:                           ;   in Loop: Header=BB561_1204 Depth=1
	v_dual_mov_b32 v60, s15 :: v_dual_mov_b32 v59, s14
	s_and_b32 s0, exec_lo, s20
	s_delay_alu instid0(SALU_CYCLE_1) | instskip(NEXT) | instid1(SALU_CYCLE_1)
	s_or_b32 s19, s0, s19
	s_and_not1_b32 exec_lo, exec_lo, s19
	s_cbranch_execz .LBB561_1207
.LBB561_1204:                           ; =>This Inner Loop Header: Depth=1
	s_or_b32 s20, s20, exec_lo
	s_cmp_eq_u64 s[12:13], s[14:15]
	s_cbranch_scc0 .LBB561_1202
; %bb.1205:                             ;   in Loop: Header=BB561_1204 Depth=1
	s_mov_b64 s[14:15], s[8:9]
                                        ; implicit-def: $vgpr15_vgpr16
                                        ; implicit-def: $vgpr57_vgpr58
	s_branch .LBB561_1203
.LBB561_1206:
	v_mov_b32_e32 v15, 0
	v_mov_b32_e32 v16, 0
	s_branch .LBB561_1209
.LBB561_1207:
	s_set_inst_prefetch_distance 0x2
	s_or_b32 exec_lo, exec_lo, s19
	v_cmp_gt_i64_e32 vcc_lo, s[8:9], v[59:60]
	s_mov_b32 s0, 0
	s_delay_alu instid0(SALU_CYCLE_1)
	v_mov_b32_e32 v16, s0
	v_cndmask_b32_e64 v15, 0, 1, vcc_lo
.LBB561_1208:
	s_or_b32 exec_lo, exec_lo, s18
.LBB561_1209:
	s_delay_alu instid0(SALU_CYCLE_1) | instskip(SKIP_2) | instid1(VALU_DEP_1)
	s_or_b32 exec_lo, exec_lo, s3
	v_add_nc_u32_e32 v57, 2, v64
	s_mov_b32 s3, exec_lo
	v_cmpx_gt_u32_e64 s6, v57
	s_cbranch_execz .LBB561_1220
; %bb.1210:
	v_cmp_ne_u32_e32 vcc_lo, 1, v63
	s_cbranch_vccnz .LBB561_1217
; %bb.1211:
	v_mul_lo_u32 v59, v14, s8
	v_mul_lo_u32 v60, v13, s9
	v_mad_u64_u32 v[57:58], null, v13, s8, 0
	v_mul_lo_u32 v61, v4, s8
	v_mul_lo_u32 v62, v3, s9
	v_mad_u64_u32 v[13:14], null, v3, s8, 0
	s_delay_alu instid0(VALU_DEP_4) | instskip(NEXT) | instid1(VALU_DEP_2)
	v_add3_u32 v58, v58, v60, v59
	v_add3_u32 v14, v14, v62, v61
	s_delay_alu instid0(VALU_DEP_2) | instskip(NEXT) | instid1(VALU_DEP_2)
	v_lshlrev_b64 v[57:58], 3, v[57:58]
	v_lshlrev_b64 v[13:14], 3, v[13:14]
	s_delay_alu instid0(VALU_DEP_2) | instskip(NEXT) | instid1(VALU_DEP_3)
	v_add_co_u32 v57, vcc_lo, s10, v57
	v_add_co_ci_u32_e32 v58, vcc_lo, s11, v58, vcc_lo
	s_delay_alu instid0(VALU_DEP_3) | instskip(NEXT) | instid1(VALU_DEP_4)
	v_add_co_u32 v59, vcc_lo, s10, v13
	v_add_co_ci_u32_e32 v60, vcc_lo, s11, v14, vcc_lo
	s_clause 0x1
	global_load_b64 v[13:14], v[57:58], off
	global_load_b64 v[61:62], v[59:60], off
	s_waitcnt vmcnt(0)
	v_cmp_eq_u64_e32 vcc_lo, v[13:14], v[61:62]
	v_mov_b32_e32 v13, 1
	v_mov_b32_e32 v14, 0
	s_and_saveexec_b32 s18, vcc_lo
	s_cbranch_execz .LBB561_1219
; %bb.1212:
	v_add_co_u32 v13, vcc_lo, v59, 8
	v_add_co_ci_u32_e32 v14, vcc_lo, 0, v60, vcc_lo
	v_add_co_u32 v57, vcc_lo, v57, 8
	v_add_co_ci_u32_e32 v58, vcc_lo, 0, v58, vcc_lo
	s_add_u32 s12, s8, -1
	s_addc_u32 s13, s9, -1
	s_mov_b64 s[14:15], 0
	s_mov_b32 s19, 0
                                        ; implicit-def: $sgpr20
	s_set_inst_prefetch_distance 0x1
	s_branch .LBB561_1215
	.p2align	6
.LBB561_1213:                           ;   in Loop: Header=BB561_1215 Depth=1
	global_load_b64 v[59:60], v[57:58], off
	global_load_b64 v[61:62], v[13:14], off
	v_add_co_u32 v13, vcc_lo, v13, 8
	v_add_co_ci_u32_e32 v14, vcc_lo, 0, v14, vcc_lo
	v_add_co_u32 v57, s0, v57, 8
	s_delay_alu instid0(VALU_DEP_1)
	v_add_co_ci_u32_e64 v58, s0, 0, v58, s0
	s_add_u32 s14, s14, 1
	s_addc_u32 s15, s15, 0
	s_and_not1_b32 s0, s20, exec_lo
	s_waitcnt vmcnt(0)
	v_cmp_ne_u64_e32 vcc_lo, v[59:60], v[61:62]
	s_and_b32 s20, vcc_lo, exec_lo
	s_delay_alu instid0(SALU_CYCLE_1)
	s_or_b32 s20, s0, s20
.LBB561_1214:                           ;   in Loop: Header=BB561_1215 Depth=1
	v_dual_mov_b32 v60, s15 :: v_dual_mov_b32 v59, s14
	s_and_b32 s0, exec_lo, s20
	s_delay_alu instid0(SALU_CYCLE_1) | instskip(NEXT) | instid1(SALU_CYCLE_1)
	s_or_b32 s19, s0, s19
	s_and_not1_b32 exec_lo, exec_lo, s19
	s_cbranch_execz .LBB561_1218
.LBB561_1215:                           ; =>This Inner Loop Header: Depth=1
	s_or_b32 s20, s20, exec_lo
	s_cmp_eq_u64 s[12:13], s[14:15]
	s_cbranch_scc0 .LBB561_1213
; %bb.1216:                             ;   in Loop: Header=BB561_1215 Depth=1
	s_mov_b64 s[14:15], s[8:9]
                                        ; implicit-def: $vgpr13_vgpr14
                                        ; implicit-def: $vgpr57_vgpr58
	s_branch .LBB561_1214
.LBB561_1217:
	v_mov_b32_e32 v13, 0
	v_mov_b32_e32 v14, 0
	s_branch .LBB561_1220
.LBB561_1218:
	s_set_inst_prefetch_distance 0x2
	s_or_b32 exec_lo, exec_lo, s19
	v_cmp_gt_i64_e32 vcc_lo, s[8:9], v[59:60]
	s_mov_b32 s0, 0
	s_delay_alu instid0(SALU_CYCLE_1)
	v_mov_b32_e32 v14, s0
	v_cndmask_b32_e64 v13, 0, 1, vcc_lo
.LBB561_1219:
	s_or_b32 exec_lo, exec_lo, s18
.LBB561_1220:
	s_delay_alu instid0(SALU_CYCLE_1) | instskip(SKIP_2) | instid1(VALU_DEP_1)
	s_or_b32 exec_lo, exec_lo, s3
	v_add_nc_u32_e32 v57, 1, v64
	s_mov_b32 s3, exec_lo
	v_cmpx_gt_u32_e64 s6, v57
	s_cbranch_execz .LBB561_1231
; %bb.1221:
	v_cmp_ne_u32_e32 vcc_lo, 1, v63
	s_cbranch_vccnz .LBB561_1228
; %bb.1222:
	v_mul_lo_u32 v59, v4, s8
	v_mul_lo_u32 v60, v3, s9
	v_mad_u64_u32 v[57:58], null, v3, s8, 0
	v_mul_lo_u32 v61, v2, s8
	v_mul_lo_u32 v62, v1, s9
	v_mad_u64_u32 v[3:4], null, v1, s8, 0
	s_delay_alu instid0(VALU_DEP_4) | instskip(NEXT) | instid1(VALU_DEP_2)
	v_add3_u32 v58, v58, v60, v59
	v_add3_u32 v4, v4, v62, v61
	s_delay_alu instid0(VALU_DEP_2) | instskip(NEXT) | instid1(VALU_DEP_2)
	v_lshlrev_b64 v[57:58], 3, v[57:58]
	v_lshlrev_b64 v[3:4], 3, v[3:4]
	s_delay_alu instid0(VALU_DEP_2) | instskip(NEXT) | instid1(VALU_DEP_3)
	v_add_co_u32 v57, vcc_lo, s10, v57
	v_add_co_ci_u32_e32 v58, vcc_lo, s11, v58, vcc_lo
	s_delay_alu instid0(VALU_DEP_3) | instskip(NEXT) | instid1(VALU_DEP_4)
	v_add_co_u32 v59, vcc_lo, s10, v3
	v_add_co_ci_u32_e32 v60, vcc_lo, s11, v4, vcc_lo
	s_clause 0x1
	global_load_b64 v[3:4], v[57:58], off
	global_load_b64 v[61:62], v[59:60], off
	s_waitcnt vmcnt(0)
	v_cmp_eq_u64_e32 vcc_lo, v[3:4], v[61:62]
	v_mov_b32_e32 v3, 1
	v_mov_b32_e32 v4, 0
	s_and_saveexec_b32 s18, vcc_lo
	s_cbranch_execz .LBB561_1230
; %bb.1223:
	v_add_co_u32 v3, vcc_lo, v59, 8
	v_add_co_ci_u32_e32 v4, vcc_lo, 0, v60, vcc_lo
	v_add_co_u32 v57, vcc_lo, v57, 8
	v_add_co_ci_u32_e32 v58, vcc_lo, 0, v58, vcc_lo
	s_add_u32 s12, s8, -1
	s_addc_u32 s13, s9, -1
	s_mov_b64 s[14:15], 0
	s_mov_b32 s19, 0
                                        ; implicit-def: $sgpr20
	s_set_inst_prefetch_distance 0x1
	s_branch .LBB561_1226
	.p2align	6
.LBB561_1224:                           ;   in Loop: Header=BB561_1226 Depth=1
	global_load_b64 v[59:60], v[57:58], off
	global_load_b64 v[61:62], v[3:4], off
	v_add_co_u32 v3, vcc_lo, v3, 8
	v_add_co_ci_u32_e32 v4, vcc_lo, 0, v4, vcc_lo
	v_add_co_u32 v57, s0, v57, 8
	s_delay_alu instid0(VALU_DEP_1)
	v_add_co_ci_u32_e64 v58, s0, 0, v58, s0
	s_add_u32 s14, s14, 1
	s_addc_u32 s15, s15, 0
	s_and_not1_b32 s0, s20, exec_lo
	s_waitcnt vmcnt(0)
	v_cmp_ne_u64_e32 vcc_lo, v[59:60], v[61:62]
	s_and_b32 s20, vcc_lo, exec_lo
	s_delay_alu instid0(SALU_CYCLE_1)
	s_or_b32 s20, s0, s20
.LBB561_1225:                           ;   in Loop: Header=BB561_1226 Depth=1
	v_dual_mov_b32 v60, s15 :: v_dual_mov_b32 v59, s14
	s_and_b32 s0, exec_lo, s20
	s_delay_alu instid0(SALU_CYCLE_1) | instskip(NEXT) | instid1(SALU_CYCLE_1)
	s_or_b32 s19, s0, s19
	s_and_not1_b32 exec_lo, exec_lo, s19
	s_cbranch_execz .LBB561_1229
.LBB561_1226:                           ; =>This Inner Loop Header: Depth=1
	s_or_b32 s20, s20, exec_lo
	s_cmp_eq_u64 s[12:13], s[14:15]
	s_cbranch_scc0 .LBB561_1224
; %bb.1227:                             ;   in Loop: Header=BB561_1226 Depth=1
	s_mov_b64 s[14:15], s[8:9]
                                        ; implicit-def: $vgpr3_vgpr4
                                        ; implicit-def: $vgpr57_vgpr58
	s_branch .LBB561_1225
.LBB561_1228:
	v_mov_b32_e32 v3, 0
	v_mov_b32_e32 v4, 0
	s_branch .LBB561_1231
.LBB561_1229:
	s_set_inst_prefetch_distance 0x2
	s_or_b32 exec_lo, exec_lo, s19
	v_cmp_gt_i64_e32 vcc_lo, s[8:9], v[59:60]
	s_mov_b32 s0, 0
	s_delay_alu instid0(SALU_CYCLE_1)
	v_mov_b32_e32 v4, s0
	v_cndmask_b32_e64 v3, 0, 1, vcc_lo
.LBB561_1230:
	s_or_b32 exec_lo, exec_lo, s18
.LBB561_1231:
	s_delay_alu instid0(SALU_CYCLE_1)
	s_or_b32 exec_lo, exec_lo, s3
	v_cmp_ne_u32_e32 vcc_lo, 0, v0
	v_cmp_gt_u32_e64 s0, s6, v64
	s_mov_b32 s12, 0
	s_waitcnt lgkmcnt(0)
	s_barrier
	buffer_gl0_inv
	s_and_b32 s13, vcc_lo, s0
                                        ; implicit-def: $sgpr0
	s_delay_alu instid0(SALU_CYCLE_1)
	s_and_saveexec_b32 s3, s13
	s_cbranch_execz .LBB561_1242
; %bb.1232:
	v_cmp_ne_u32_e32 vcc_lo, 1, v63
	s_cbranch_vccnz .LBB561_1241
; %bb.1233:
	v_add_nc_u32_e32 v57, -8, v195
	v_mul_lo_u32 v61, v2, s8
	v_mul_lo_u32 v62, v1, s9
	v_mad_u64_u32 v[59:60], null, v1, s8, 0
	ds_load_b64 v[57:58], v57
	s_mov_b32 s12, -1
	s_mov_b32 s14, exec_lo
	v_add3_u32 v60, v60, v62, v61
	s_waitcnt lgkmcnt(0)
	v_mul_lo_u32 v58, v58, s8
	v_mul_lo_u32 v63, v57, s9
	v_mad_u64_u32 v[1:2], null, v57, s8, 0
	s_delay_alu instid0(VALU_DEP_1) | instskip(SKIP_1) | instid1(VALU_DEP_2)
	v_add3_u32 v2, v2, v63, v58
	v_lshlrev_b64 v[57:58], 3, v[59:60]
	v_lshlrev_b64 v[1:2], 3, v[1:2]
	s_delay_alu instid0(VALU_DEP_2) | instskip(NEXT) | instid1(VALU_DEP_3)
	v_add_co_u32 v57, vcc_lo, s10, v57
	v_add_co_ci_u32_e32 v58, vcc_lo, s11, v58, vcc_lo
	s_delay_alu instid0(VALU_DEP_3) | instskip(NEXT) | instid1(VALU_DEP_4)
	v_add_co_u32 v1, vcc_lo, s10, v1
	v_add_co_ci_u32_e32 v2, vcc_lo, s11, v2, vcc_lo
	s_clause 0x1
	global_load_b64 v[59:60], v[57:58], off
	global_load_b64 v[61:62], v[1:2], off
	s_waitcnt vmcnt(0)
	v_cmpx_eq_u64_e64 v[59:60], v[61:62]
	s_cbranch_execz .LBB561_1240
; %bb.1234:
	v_add_co_u32 v1, vcc_lo, v1, 8
	v_add_co_ci_u32_e32 v2, vcc_lo, 0, v2, vcc_lo
	v_add_co_u32 v57, vcc_lo, v57, 8
	v_add_co_ci_u32_e32 v58, vcc_lo, 0, v58, vcc_lo
	s_add_u32 s10, s8, -1
	s_addc_u32 s11, s9, -1
	s_mov_b64 s[12:13], 0
	s_mov_b32 s15, 0
                                        ; implicit-def: $sgpr18
	s_set_inst_prefetch_distance 0x1
	s_branch .LBB561_1237
	.p2align	6
.LBB561_1235:                           ;   in Loop: Header=BB561_1237 Depth=1
	global_load_b64 v[59:60], v[57:58], off
	global_load_b64 v[61:62], v[1:2], off
	v_add_co_u32 v1, vcc_lo, v1, 8
	v_add_co_ci_u32_e32 v2, vcc_lo, 0, v2, vcc_lo
	v_add_co_u32 v57, s0, v57, 8
	s_delay_alu instid0(VALU_DEP_1)
	v_add_co_ci_u32_e64 v58, s0, 0, v58, s0
	s_add_u32 s12, s12, 1
	s_addc_u32 s13, s13, 0
	s_and_not1_b32 s0, s18, exec_lo
	s_waitcnt vmcnt(0)
	v_cmp_ne_u64_e32 vcc_lo, v[59:60], v[61:62]
	s_and_b32 s18, vcc_lo, exec_lo
	s_delay_alu instid0(SALU_CYCLE_1)
	s_or_b32 s18, s0, s18
.LBB561_1236:                           ;   in Loop: Header=BB561_1237 Depth=1
	v_dual_mov_b32 v60, s13 :: v_dual_mov_b32 v59, s12
	s_and_b32 s0, exec_lo, s18
	s_delay_alu instid0(SALU_CYCLE_1) | instskip(NEXT) | instid1(SALU_CYCLE_1)
	s_or_b32 s15, s0, s15
	s_and_not1_b32 exec_lo, exec_lo, s15
	s_cbranch_execz .LBB561_1239
.LBB561_1237:                           ; =>This Inner Loop Header: Depth=1
	s_or_b32 s18, s18, exec_lo
	s_cmp_eq_u64 s[10:11], s[12:13]
	s_cbranch_scc0 .LBB561_1235
; %bb.1238:                             ;   in Loop: Header=BB561_1237 Depth=1
	s_mov_b64 s[12:13], s[8:9]
                                        ; implicit-def: $vgpr1_vgpr2
                                        ; implicit-def: $vgpr57_vgpr58
	s_branch .LBB561_1236
.LBB561_1239:
	s_set_inst_prefetch_distance 0x2
	s_or_b32 exec_lo, exec_lo, s15
	v_cmp_gt_i64_e32 vcc_lo, s[8:9], v[59:60]
	s_or_not1_b32 s12, vcc_lo, exec_lo
.LBB561_1240:
	s_or_b32 exec_lo, exec_lo, s14
.LBB561_1241:
	s_delay_alu instid0(SALU_CYCLE_1)
	s_and_b32 s0, s12, exec_lo
	s_or_b32 s1, s1, exec_lo
.LBB561_1242:
	s_or_b32 exec_lo, exec_lo, s3
	v_dual_mov_b32 v166, v4 :: v_dual_mov_b32 v165, v3
	v_dual_mov_b32 v164, v14 :: v_dual_mov_b32 v163, v13
	;; [unrolled: 1-line block ×55, first 2 shown]
.LBB561_1243:
	s_and_saveexec_b32 s3, s1
	s_cbranch_execz .LBB561_1245
; %bb.1244:
	s_mov_b32 s1, 0
	v_dual_mov_b32 v194, v114 :: v_dual_mov_b32 v63, v117
	v_dual_mov_b32 v2, s1 :: v_dual_mov_b32 v59, v115
	v_dual_mov_b32 v192, v120 :: v_dual_mov_b32 v67, v121
	v_dual_mov_b32 v190, v124 :: v_dual_mov_b32 v71, v125
	v_dual_mov_b32 v188, v128 :: v_dual_mov_b32 v75, v129
	v_dual_mov_b32 v186, v132 :: v_dual_mov_b32 v79, v133
	v_dual_mov_b32 v184, v136 :: v_dual_mov_b32 v83, v137
	v_dual_mov_b32 v180, v140 :: v_dual_mov_b32 v87, v141
	v_dual_mov_b32 v178, v144 :: v_dual_mov_b32 v91, v145
	v_dual_mov_b32 v176, v148 :: v_dual_mov_b32 v95, v149
	v_dual_mov_b32 v174, v152 :: v_dual_mov_b32 v99, v153
	v_dual_mov_b32 v172, v156 :: v_dual_mov_b32 v103, v157
	v_dual_mov_b32 v170, v160 :: v_dual_mov_b32 v107, v161
	v_mov_b32_e32 v168, v164
	v_dual_mov_b32 v182, v166 :: v_dual_mov_b32 v181, v165
	v_cndmask_b32_e64 v1, 0, 1, s0
	v_dual_mov_b32 v60, v116 :: v_dual_mov_b32 v193, v113
	v_dual_mov_b32 v64, v118 :: v_dual_mov_b32 v191, v119
	;; [unrolled: 1-line block ×13, first 2 shown]
.LBB561_1245:
	s_or_b32 exec_lo, exec_lo, s3
	v_mul_u32_u24_e32 v65, 0xe8, v0
	v_mul_i32_i24_e32 v66, 0xffffff20, v0
	s_add_u32 s8, s4, s16
	s_addc_u32 s4, s5, s17
	s_and_b32 vcc_lo, exec_lo, s26
	s_waitcnt lgkmcnt(0)
	s_barrier
	buffer_gl0_inv
	s_cbranch_vccz .LBB561_1303
; %bb.1246:
	v_dual_mov_b32 v3, v181 :: v_dual_mov_b32 v4, v182
	s_mov_b32 s3, 0
	ds_store_2addr_b64 v65, v[169:170], v[103:104] offset0:4 offset1:5
	ds_store_2addr_b64 v65, v[171:172], v[99:100] offset0:6 offset1:7
	ds_store_2addr_b64 v65, v[1:2], v[3:4] offset1:1
	ds_store_2addr_b64 v65, v[167:168], v[107:108] offset0:2 offset1:3
	ds_store_2addr_b64 v65, v[173:174], v[95:96] offset0:8 offset1:9
	;; [unrolled: 1-line block ×11, first 2 shown]
	v_mad_u32_u24 v3, 0xe8, v0, v66
	ds_store_b64 v65, v[111:112] offset:224
	s_waitcnt lgkmcnt(0)
	s_barrier
	buffer_gl0_inv
	ds_load_2addr_stride64_b64 v[55:58], v3 offset0:2 offset1:4
	ds_load_2addr_stride64_b64 v[51:54], v3 offset0:6 offset1:8
	;; [unrolled: 1-line block ×14, first 2 shown]
	s_lshl_b64 s[0:1], s[2:3], 3
	s_add_i32 s7, s7, s6
	s_add_u32 s0, s8, s0
	s_addc_u32 s1, s4, s1
	v_add_co_u32 v61, s0, s0, v195
	s_delay_alu instid0(VALU_DEP_1)
	v_add_co_ci_u32_e64 v62, null, s1, 0, s0
	s_mov_b32 s0, exec_lo
	v_cmpx_gt_u32_e64 s7, v0
	s_cbranch_execz .LBB561_1248
; %bb.1247:
	v_add_nc_u32_e32 v69, v65, v66
	ds_load_b64 v[69:70], v69
	s_waitcnt lgkmcnt(0)
	global_store_b64 v[61:62], v[69:70], off
.LBB561_1248:
	s_or_b32 exec_lo, exec_lo, s0
	v_or_b32_e32 v69, 0x80, v0
	s_mov_b32 s0, exec_lo
	s_delay_alu instid0(VALU_DEP_1)
	v_cmpx_gt_u32_e64 s7, v69
	s_cbranch_execz .LBB561_1250
; %bb.1249:
	s_waitcnt lgkmcnt(13)
	global_store_b64 v[61:62], v[55:56], off offset:1024
.LBB561_1250:
	s_or_b32 exec_lo, exec_lo, s0
	s_waitcnt lgkmcnt(13)
	v_or_b32_e32 v55, 0x100, v0
	s_mov_b32 s0, exec_lo
	s_delay_alu instid0(VALU_DEP_1)
	v_cmpx_gt_u32_e64 s7, v55
	s_cbranch_execz .LBB561_1252
; %bb.1251:
	global_store_b64 v[61:62], v[57:58], off offset:2048
.LBB561_1252:
	s_or_b32 exec_lo, exec_lo, s0
	v_or_b32_e32 v55, 0x180, v0
	s_mov_b32 s0, exec_lo
	s_delay_alu instid0(VALU_DEP_1)
	v_cmpx_gt_u32_e64 s7, v55
	s_cbranch_execz .LBB561_1254
; %bb.1253:
	s_waitcnt lgkmcnt(12)
	global_store_b64 v[61:62], v[51:52], off offset:3072
.LBB561_1254:
	s_or_b32 exec_lo, exec_lo, s0
	s_waitcnt lgkmcnt(12)
	v_or_b32_e32 v51, 0x200, v0
	s_mov_b32 s0, exec_lo
	s_delay_alu instid0(VALU_DEP_1)
	v_cmpx_gt_u32_e64 s7, v51
	s_cbranch_execz .LBB561_1256
; %bb.1255:
	v_add_co_u32 v51, vcc_lo, 0x1000, v61
	v_add_co_ci_u32_e32 v52, vcc_lo, 0, v62, vcc_lo
	global_store_b64 v[51:52], v[53:54], off
.LBB561_1256:
	s_or_b32 exec_lo, exec_lo, s0
	v_or_b32_e32 v51, 0x280, v0
	s_mov_b32 s0, exec_lo
	s_delay_alu instid0(VALU_DEP_1)
	v_cmpx_gt_u32_e64 s7, v51
	s_cbranch_execz .LBB561_1258
; %bb.1257:
	v_add_co_u32 v51, vcc_lo, 0x1000, v61
	v_add_co_ci_u32_e32 v52, vcc_lo, 0, v62, vcc_lo
	s_waitcnt lgkmcnt(11)
	global_store_b64 v[51:52], v[47:48], off offset:1024
.LBB561_1258:
	s_or_b32 exec_lo, exec_lo, s0
	s_waitcnt lgkmcnt(11)
	v_or_b32_e32 v47, 0x300, v0
	s_mov_b32 s0, exec_lo
	s_delay_alu instid0(VALU_DEP_1)
	v_cmpx_gt_u32_e64 s7, v47
	s_cbranch_execz .LBB561_1260
; %bb.1259:
	v_add_co_u32 v47, vcc_lo, 0x1000, v61
	v_add_co_ci_u32_e32 v48, vcc_lo, 0, v62, vcc_lo
	global_store_b64 v[47:48], v[49:50], off offset:2048
.LBB561_1260:
	s_or_b32 exec_lo, exec_lo, s0
	v_or_b32_e32 v47, 0x380, v0
	s_mov_b32 s0, exec_lo
	s_delay_alu instid0(VALU_DEP_1)
	v_cmpx_gt_u32_e64 s7, v47
	s_cbranch_execz .LBB561_1262
; %bb.1261:
	v_add_co_u32 v47, vcc_lo, 0x1000, v61
	v_add_co_ci_u32_e32 v48, vcc_lo, 0, v62, vcc_lo
	s_waitcnt lgkmcnt(10)
	global_store_b64 v[47:48], v[43:44], off offset:3072
.LBB561_1262:
	s_or_b32 exec_lo, exec_lo, s0
	s_waitcnt lgkmcnt(10)
	v_or_b32_e32 v43, 0x400, v0
	s_mov_b32 s0, exec_lo
	s_delay_alu instid0(VALU_DEP_1)
	v_cmpx_gt_u32_e64 s7, v43
	s_cbranch_execz .LBB561_1264
; %bb.1263:
	v_add_co_u32 v43, vcc_lo, 0x2000, v61
	v_add_co_ci_u32_e32 v44, vcc_lo, 0, v62, vcc_lo
	global_store_b64 v[43:44], v[45:46], off
.LBB561_1264:
	s_or_b32 exec_lo, exec_lo, s0
	v_or_b32_e32 v43, 0x480, v0
	s_mov_b32 s0, exec_lo
	s_delay_alu instid0(VALU_DEP_1)
	v_cmpx_gt_u32_e64 s7, v43
	s_cbranch_execz .LBB561_1266
; %bb.1265:
	v_add_co_u32 v43, vcc_lo, 0x2000, v61
	v_add_co_ci_u32_e32 v44, vcc_lo, 0, v62, vcc_lo
	s_waitcnt lgkmcnt(9)
	global_store_b64 v[43:44], v[39:40], off offset:1024
.LBB561_1266:
	s_or_b32 exec_lo, exec_lo, s0
	s_waitcnt lgkmcnt(9)
	v_or_b32_e32 v39, 0x500, v0
	s_mov_b32 s0, exec_lo
	s_delay_alu instid0(VALU_DEP_1)
	v_cmpx_gt_u32_e64 s7, v39
	s_cbranch_execz .LBB561_1268
; %bb.1267:
	v_add_co_u32 v39, vcc_lo, 0x2000, v61
	v_add_co_ci_u32_e32 v40, vcc_lo, 0, v62, vcc_lo
	global_store_b64 v[39:40], v[41:42], off offset:2048
.LBB561_1268:
	s_or_b32 exec_lo, exec_lo, s0
	v_or_b32_e32 v39, 0x580, v0
	s_mov_b32 s0, exec_lo
	s_delay_alu instid0(VALU_DEP_1)
	v_cmpx_gt_u32_e64 s7, v39
	s_cbranch_execz .LBB561_1270
; %bb.1269:
	v_add_co_u32 v39, vcc_lo, 0x2000, v61
	v_add_co_ci_u32_e32 v40, vcc_lo, 0, v62, vcc_lo
	s_waitcnt lgkmcnt(8)
	global_store_b64 v[39:40], v[35:36], off offset:3072
.LBB561_1270:
	;; [unrolled: 48-line block ×6, first 2 shown]
	s_or_b32 exec_lo, exec_lo, s0
	s_waitcnt lgkmcnt(0)
	v_or_b32_e32 v3, 0xe00, v0
	s_delay_alu instid0(VALU_DEP_1)
	v_cmp_gt_u32_e64 s5, s7, v3
	s_branch .LBB561_1305
.LBB561_1303:
	s_mov_b32 s5, 0
                                        ; implicit-def: $vgpr5_vgpr6
                                        ; implicit-def: $vgpr61_vgpr62
	s_cbranch_execz .LBB561_1305
; %bb.1304:
	v_mad_u32_u24 v4, 0xe8, v0, v66
	ds_store_2addr_b64 v65, v[1:2], v[181:182] offset1:1
	ds_store_2addr_b64 v65, v[167:168], v[107:108] offset0:2 offset1:3
	ds_store_2addr_b64 v65, v[169:170], v[103:104] offset0:4 offset1:5
	;; [unrolled: 1-line block ×13, first 2 shown]
	ds_store_b64 v65, v[111:112] offset:224
	s_waitcnt lgkmcnt(0)
	s_waitcnt_vscnt null, 0x0
	s_barrier
	buffer_gl0_inv
	ds_load_2addr_stride64_b64 v[0:3], v4 offset1:2
	s_mov_b32 s3, 0
	ds_load_2addr_stride64_b64 v[7:10], v4 offset0:4 offset1:6
	ds_load_2addr_stride64_b64 v[11:14], v4 offset0:8 offset1:10
	;; [unrolled: 1-line block ×13, first 2 shown]
	ds_load_b64 v[5:6], v4 offset:28672
	s_lshl_b64 s[0:1], s[2:3], 3
	s_delay_alu instid0(SALU_CYCLE_1) | instskip(SKIP_2) | instid1(VALU_DEP_1)
	s_add_u32 s0, s8, s0
	s_addc_u32 s1, s4, s1
	v_add_co_u32 v61, s2, s0, v195
	v_add_co_ci_u32_e64 v62, null, s1, 0, s2
	s_or_b32 s5, s5, exec_lo
	s_waitcnt lgkmcnt(14)
	s_clause 0x1
	global_store_b64 v195, v[0:1], s[0:1]
	global_store_b64 v195, v[2:3], s[0:1] offset:1024
	s_waitcnt lgkmcnt(13)
	s_clause 0x1
	global_store_b64 v195, v[7:8], s[0:1] offset:2048
	global_store_b64 v195, v[9:10], s[0:1] offset:3072
	v_add_co_u32 v0, vcc_lo, 0x1000, v61
	v_add_co_ci_u32_e32 v1, vcc_lo, 0, v62, vcc_lo
	v_add_co_u32 v2, vcc_lo, v61, 0x2000
	v_add_co_ci_u32_e32 v3, vcc_lo, 0, v62, vcc_lo
	;; [unrolled: 2-line block ×3, first 2 shown]
	s_waitcnt lgkmcnt(10)
	s_clause 0x4
	global_store_b64 v[2:3], v[19:20], off
	global_store_b64 v[0:1], v[13:14], off offset:1024
	global_store_b64 v[0:1], v[15:16], off offset:2048
	;; [unrolled: 1-line block ×4, first 2 shown]
	v_add_co_u32 v0, vcc_lo, 0x3000, v61
	v_add_co_ci_u32_e32 v1, vcc_lo, 0, v62, vcc_lo
	v_add_co_u32 v9, vcc_lo, v61, 0x4000
	v_add_co_ci_u32_e32 v10, vcc_lo, 0, v62, vcc_lo
	;; [unrolled: 2-line block ×3, first 2 shown]
	s_waitcnt lgkmcnt(9)
	s_clause 0x1
	global_store_b64 v[7:8], v[23:24], off offset:2048
	global_store_b64 v[7:8], v[25:26], off offset:3072
	s_waitcnt lgkmcnt(8)
	global_store_b64 v[0:1], v[29:30], off offset:1024
	s_waitcnt lgkmcnt(7)
	s_clause 0x1
	global_store_b64 v[0:1], v[31:32], off offset:2048
	global_store_b64 v[0:1], v[33:34], off offset:3072
	s_waitcnt lgkmcnt(6)
	global_store_b64 v[13:14], v[37:38], off offset:1024
	s_waitcnt lgkmcnt(5)
	s_clause 0x1
	global_store_b64 v[13:14], v[39:40], off offset:2048
	global_store_b64 v[13:14], v[41:42], off offset:3072
	v_add_co_u32 v0, vcc_lo, 0x5000, v61
	v_add_co_ci_u32_e32 v1, vcc_lo, 0, v62, vcc_lo
	v_add_co_u32 v7, vcc_lo, v61, 0x6000
	v_add_co_ci_u32_e32 v8, vcc_lo, 0, v62, vcc_lo
	;; [unrolled: 2-line block ×3, first 2 shown]
	s_clause 0x1
	global_store_b64 v[9:10], v[27:28], off offset:-4096
	global_store_b64 v[9:10], v[35:36], off
	s_waitcnt lgkmcnt(4)
	global_store_b64 v[7:8], v[43:44], off offset:-4096
	s_waitcnt lgkmcnt(2)
	s_clause 0x4
	global_store_b64 v[7:8], v[51:52], off
	global_store_b64 v[0:1], v[45:46], off offset:1024
	global_store_b64 v[0:1], v[47:48], off offset:2048
	;; [unrolled: 1-line block ×4, first 2 shown]
	s_waitcnt lgkmcnt(1)
	s_clause 0x2
	global_store_b64 v[13:14], v[55:56], off offset:2048
	global_store_b64 v[2:3], v[11:12], off offset:-4096
	global_store_b64 v[13:14], v[57:58], off offset:3072
.LBB561_1305:
	s_delay_alu instid0(VALU_DEP_1)
	s_and_saveexec_b32 s0, s5
	s_cbranch_execnz .LBB561_1307
; %bb.1306:
	s_nop 0
	s_sendmsg sendmsg(MSG_DEALLOC_VGPRS)
	s_endpgm
.LBB561_1307:
	v_add_co_u32 v0, vcc_lo, 0x7000, v61
	v_add_co_ci_u32_e32 v1, vcc_lo, 0, v62, vcc_lo
	s_waitcnt lgkmcnt(0)
	global_store_b64 v[0:1], v[5:6], off
	s_nop 0
	s_sendmsg sendmsg(MSG_DEALLOC_VGPRS)
	s_endpgm
	.section	.rodata,"a",@progbits
	.p2align	6, 0x0
	.amdhsa_kernel _ZN7rocprim17ROCPRIM_400000_NS6detail17trampoline_kernelINS0_14default_configENS1_35adjacent_difference_config_selectorILb1ElEEZNS1_24adjacent_difference_implIS3_Lb1ELb0EPlS7_ZN2at6native12_GLOBAL__N_124unique_dim_cuda_templateIlEESt5tupleIJNS8_6TensorESD_SD_EERKSD_lbbbEUlllE1_EE10hipError_tPvRmT2_T3_mT4_P12ihipStream_tbEUlT_E_NS1_11comp_targetILNS1_3genE9ELNS1_11target_archE1100ELNS1_3gpuE3ELNS1_3repE0EEENS1_30default_config_static_selectorELNS0_4arch9wavefront6targetE0EEEvT1_
		.amdhsa_group_segment_fixed_size 29696
		.amdhsa_private_segment_fixed_size 0
		.amdhsa_kernarg_size 64
		.amdhsa_user_sgpr_count 15
		.amdhsa_user_sgpr_dispatch_ptr 0
		.amdhsa_user_sgpr_queue_ptr 0
		.amdhsa_user_sgpr_kernarg_segment_ptr 1
		.amdhsa_user_sgpr_dispatch_id 0
		.amdhsa_user_sgpr_private_segment_size 0
		.amdhsa_wavefront_size32 1
		.amdhsa_uses_dynamic_stack 0
		.amdhsa_enable_private_segment 0
		.amdhsa_system_sgpr_workgroup_id_x 1
		.amdhsa_system_sgpr_workgroup_id_y 0
		.amdhsa_system_sgpr_workgroup_id_z 0
		.amdhsa_system_sgpr_workgroup_info 0
		.amdhsa_system_vgpr_workitem_id 0
		.amdhsa_next_free_vgpr 196
		.amdhsa_next_free_sgpr 30
		.amdhsa_reserve_vcc 1
		.amdhsa_float_round_mode_32 0
		.amdhsa_float_round_mode_16_64 0
		.amdhsa_float_denorm_mode_32 3
		.amdhsa_float_denorm_mode_16_64 3
		.amdhsa_dx10_clamp 1
		.amdhsa_ieee_mode 1
		.amdhsa_fp16_overflow 0
		.amdhsa_workgroup_processor_mode 1
		.amdhsa_memory_ordered 1
		.amdhsa_forward_progress 0
		.amdhsa_shared_vgpr_count 0
		.amdhsa_exception_fp_ieee_invalid_op 0
		.amdhsa_exception_fp_denorm_src 0
		.amdhsa_exception_fp_ieee_div_zero 0
		.amdhsa_exception_fp_ieee_overflow 0
		.amdhsa_exception_fp_ieee_underflow 0
		.amdhsa_exception_fp_ieee_inexact 0
		.amdhsa_exception_int_div_zero 0
	.end_amdhsa_kernel
	.section	.text._ZN7rocprim17ROCPRIM_400000_NS6detail17trampoline_kernelINS0_14default_configENS1_35adjacent_difference_config_selectorILb1ElEEZNS1_24adjacent_difference_implIS3_Lb1ELb0EPlS7_ZN2at6native12_GLOBAL__N_124unique_dim_cuda_templateIlEESt5tupleIJNS8_6TensorESD_SD_EERKSD_lbbbEUlllE1_EE10hipError_tPvRmT2_T3_mT4_P12ihipStream_tbEUlT_E_NS1_11comp_targetILNS1_3genE9ELNS1_11target_archE1100ELNS1_3gpuE3ELNS1_3repE0EEENS1_30default_config_static_selectorELNS0_4arch9wavefront6targetE0EEEvT1_,"axG",@progbits,_ZN7rocprim17ROCPRIM_400000_NS6detail17trampoline_kernelINS0_14default_configENS1_35adjacent_difference_config_selectorILb1ElEEZNS1_24adjacent_difference_implIS3_Lb1ELb0EPlS7_ZN2at6native12_GLOBAL__N_124unique_dim_cuda_templateIlEESt5tupleIJNS8_6TensorESD_SD_EERKSD_lbbbEUlllE1_EE10hipError_tPvRmT2_T3_mT4_P12ihipStream_tbEUlT_E_NS1_11comp_targetILNS1_3genE9ELNS1_11target_archE1100ELNS1_3gpuE3ELNS1_3repE0EEENS1_30default_config_static_selectorELNS0_4arch9wavefront6targetE0EEEvT1_,comdat
.Lfunc_end561:
	.size	_ZN7rocprim17ROCPRIM_400000_NS6detail17trampoline_kernelINS0_14default_configENS1_35adjacent_difference_config_selectorILb1ElEEZNS1_24adjacent_difference_implIS3_Lb1ELb0EPlS7_ZN2at6native12_GLOBAL__N_124unique_dim_cuda_templateIlEESt5tupleIJNS8_6TensorESD_SD_EERKSD_lbbbEUlllE1_EE10hipError_tPvRmT2_T3_mT4_P12ihipStream_tbEUlT_E_NS1_11comp_targetILNS1_3genE9ELNS1_11target_archE1100ELNS1_3gpuE3ELNS1_3repE0EEENS1_30default_config_static_selectorELNS0_4arch9wavefront6targetE0EEEvT1_, .Lfunc_end561-_ZN7rocprim17ROCPRIM_400000_NS6detail17trampoline_kernelINS0_14default_configENS1_35adjacent_difference_config_selectorILb1ElEEZNS1_24adjacent_difference_implIS3_Lb1ELb0EPlS7_ZN2at6native12_GLOBAL__N_124unique_dim_cuda_templateIlEESt5tupleIJNS8_6TensorESD_SD_EERKSD_lbbbEUlllE1_EE10hipError_tPvRmT2_T3_mT4_P12ihipStream_tbEUlT_E_NS1_11comp_targetILNS1_3genE9ELNS1_11target_archE1100ELNS1_3gpuE3ELNS1_3repE0EEENS1_30default_config_static_selectorELNS0_4arch9wavefront6targetE0EEEvT1_
                                        ; -- End function
	.section	.AMDGPU.csdata,"",@progbits
; Kernel info:
; codeLenInByte = 52388
; NumSgprs: 32
; NumVgprs: 196
; ScratchSize: 0
; MemoryBound: 1
; FloatMode: 240
; IeeeMode: 1
; LDSByteSize: 29696 bytes/workgroup (compile time only)
; SGPRBlocks: 3
; VGPRBlocks: 24
; NumSGPRsForWavesPerEU: 32
; NumVGPRsForWavesPerEU: 196
; Occupancy: 4
; WaveLimiterHint : 1
; COMPUTE_PGM_RSRC2:SCRATCH_EN: 0
; COMPUTE_PGM_RSRC2:USER_SGPR: 15
; COMPUTE_PGM_RSRC2:TRAP_HANDLER: 0
; COMPUTE_PGM_RSRC2:TGID_X_EN: 1
; COMPUTE_PGM_RSRC2:TGID_Y_EN: 0
; COMPUTE_PGM_RSRC2:TGID_Z_EN: 0
; COMPUTE_PGM_RSRC2:TIDIG_COMP_CNT: 0
	.section	.text._ZN7rocprim17ROCPRIM_400000_NS6detail17trampoline_kernelINS0_14default_configENS1_35adjacent_difference_config_selectorILb1ElEEZNS1_24adjacent_difference_implIS3_Lb1ELb0EPlS7_ZN2at6native12_GLOBAL__N_124unique_dim_cuda_templateIlEESt5tupleIJNS8_6TensorESD_SD_EERKSD_lbbbEUlllE1_EE10hipError_tPvRmT2_T3_mT4_P12ihipStream_tbEUlT_E_NS1_11comp_targetILNS1_3genE8ELNS1_11target_archE1030ELNS1_3gpuE2ELNS1_3repE0EEENS1_30default_config_static_selectorELNS0_4arch9wavefront6targetE0EEEvT1_,"axG",@progbits,_ZN7rocprim17ROCPRIM_400000_NS6detail17trampoline_kernelINS0_14default_configENS1_35adjacent_difference_config_selectorILb1ElEEZNS1_24adjacent_difference_implIS3_Lb1ELb0EPlS7_ZN2at6native12_GLOBAL__N_124unique_dim_cuda_templateIlEESt5tupleIJNS8_6TensorESD_SD_EERKSD_lbbbEUlllE1_EE10hipError_tPvRmT2_T3_mT4_P12ihipStream_tbEUlT_E_NS1_11comp_targetILNS1_3genE8ELNS1_11target_archE1030ELNS1_3gpuE2ELNS1_3repE0EEENS1_30default_config_static_selectorELNS0_4arch9wavefront6targetE0EEEvT1_,comdat
	.globl	_ZN7rocprim17ROCPRIM_400000_NS6detail17trampoline_kernelINS0_14default_configENS1_35adjacent_difference_config_selectorILb1ElEEZNS1_24adjacent_difference_implIS3_Lb1ELb0EPlS7_ZN2at6native12_GLOBAL__N_124unique_dim_cuda_templateIlEESt5tupleIJNS8_6TensorESD_SD_EERKSD_lbbbEUlllE1_EE10hipError_tPvRmT2_T3_mT4_P12ihipStream_tbEUlT_E_NS1_11comp_targetILNS1_3genE8ELNS1_11target_archE1030ELNS1_3gpuE2ELNS1_3repE0EEENS1_30default_config_static_selectorELNS0_4arch9wavefront6targetE0EEEvT1_ ; -- Begin function _ZN7rocprim17ROCPRIM_400000_NS6detail17trampoline_kernelINS0_14default_configENS1_35adjacent_difference_config_selectorILb1ElEEZNS1_24adjacent_difference_implIS3_Lb1ELb0EPlS7_ZN2at6native12_GLOBAL__N_124unique_dim_cuda_templateIlEESt5tupleIJNS8_6TensorESD_SD_EERKSD_lbbbEUlllE1_EE10hipError_tPvRmT2_T3_mT4_P12ihipStream_tbEUlT_E_NS1_11comp_targetILNS1_3genE8ELNS1_11target_archE1030ELNS1_3gpuE2ELNS1_3repE0EEENS1_30default_config_static_selectorELNS0_4arch9wavefront6targetE0EEEvT1_
	.p2align	8
	.type	_ZN7rocprim17ROCPRIM_400000_NS6detail17trampoline_kernelINS0_14default_configENS1_35adjacent_difference_config_selectorILb1ElEEZNS1_24adjacent_difference_implIS3_Lb1ELb0EPlS7_ZN2at6native12_GLOBAL__N_124unique_dim_cuda_templateIlEESt5tupleIJNS8_6TensorESD_SD_EERKSD_lbbbEUlllE1_EE10hipError_tPvRmT2_T3_mT4_P12ihipStream_tbEUlT_E_NS1_11comp_targetILNS1_3genE8ELNS1_11target_archE1030ELNS1_3gpuE2ELNS1_3repE0EEENS1_30default_config_static_selectorELNS0_4arch9wavefront6targetE0EEEvT1_,@function
_ZN7rocprim17ROCPRIM_400000_NS6detail17trampoline_kernelINS0_14default_configENS1_35adjacent_difference_config_selectorILb1ElEEZNS1_24adjacent_difference_implIS3_Lb1ELb0EPlS7_ZN2at6native12_GLOBAL__N_124unique_dim_cuda_templateIlEESt5tupleIJNS8_6TensorESD_SD_EERKSD_lbbbEUlllE1_EE10hipError_tPvRmT2_T3_mT4_P12ihipStream_tbEUlT_E_NS1_11comp_targetILNS1_3genE8ELNS1_11target_archE1030ELNS1_3gpuE2ELNS1_3repE0EEENS1_30default_config_static_selectorELNS0_4arch9wavefront6targetE0EEEvT1_: ; @_ZN7rocprim17ROCPRIM_400000_NS6detail17trampoline_kernelINS0_14default_configENS1_35adjacent_difference_config_selectorILb1ElEEZNS1_24adjacent_difference_implIS3_Lb1ELb0EPlS7_ZN2at6native12_GLOBAL__N_124unique_dim_cuda_templateIlEESt5tupleIJNS8_6TensorESD_SD_EERKSD_lbbbEUlllE1_EE10hipError_tPvRmT2_T3_mT4_P12ihipStream_tbEUlT_E_NS1_11comp_targetILNS1_3genE8ELNS1_11target_archE1030ELNS1_3gpuE2ELNS1_3repE0EEENS1_30default_config_static_selectorELNS0_4arch9wavefront6targetE0EEEvT1_
; %bb.0:
	.section	.rodata,"a",@progbits
	.p2align	6, 0x0
	.amdhsa_kernel _ZN7rocprim17ROCPRIM_400000_NS6detail17trampoline_kernelINS0_14default_configENS1_35adjacent_difference_config_selectorILb1ElEEZNS1_24adjacent_difference_implIS3_Lb1ELb0EPlS7_ZN2at6native12_GLOBAL__N_124unique_dim_cuda_templateIlEESt5tupleIJNS8_6TensorESD_SD_EERKSD_lbbbEUlllE1_EE10hipError_tPvRmT2_T3_mT4_P12ihipStream_tbEUlT_E_NS1_11comp_targetILNS1_3genE8ELNS1_11target_archE1030ELNS1_3gpuE2ELNS1_3repE0EEENS1_30default_config_static_selectorELNS0_4arch9wavefront6targetE0EEEvT1_
		.amdhsa_group_segment_fixed_size 0
		.amdhsa_private_segment_fixed_size 0
		.amdhsa_kernarg_size 64
		.amdhsa_user_sgpr_count 15
		.amdhsa_user_sgpr_dispatch_ptr 0
		.amdhsa_user_sgpr_queue_ptr 0
		.amdhsa_user_sgpr_kernarg_segment_ptr 1
		.amdhsa_user_sgpr_dispatch_id 0
		.amdhsa_user_sgpr_private_segment_size 0
		.amdhsa_wavefront_size32 1
		.amdhsa_uses_dynamic_stack 0
		.amdhsa_enable_private_segment 0
		.amdhsa_system_sgpr_workgroup_id_x 1
		.amdhsa_system_sgpr_workgroup_id_y 0
		.amdhsa_system_sgpr_workgroup_id_z 0
		.amdhsa_system_sgpr_workgroup_info 0
		.amdhsa_system_vgpr_workitem_id 0
		.amdhsa_next_free_vgpr 1
		.amdhsa_next_free_sgpr 1
		.amdhsa_reserve_vcc 0
		.amdhsa_float_round_mode_32 0
		.amdhsa_float_round_mode_16_64 0
		.amdhsa_float_denorm_mode_32 3
		.amdhsa_float_denorm_mode_16_64 3
		.amdhsa_dx10_clamp 1
		.amdhsa_ieee_mode 1
		.amdhsa_fp16_overflow 0
		.amdhsa_workgroup_processor_mode 1
		.amdhsa_memory_ordered 1
		.amdhsa_forward_progress 0
		.amdhsa_shared_vgpr_count 0
		.amdhsa_exception_fp_ieee_invalid_op 0
		.amdhsa_exception_fp_denorm_src 0
		.amdhsa_exception_fp_ieee_div_zero 0
		.amdhsa_exception_fp_ieee_overflow 0
		.amdhsa_exception_fp_ieee_underflow 0
		.amdhsa_exception_fp_ieee_inexact 0
		.amdhsa_exception_int_div_zero 0
	.end_amdhsa_kernel
	.section	.text._ZN7rocprim17ROCPRIM_400000_NS6detail17trampoline_kernelINS0_14default_configENS1_35adjacent_difference_config_selectorILb1ElEEZNS1_24adjacent_difference_implIS3_Lb1ELb0EPlS7_ZN2at6native12_GLOBAL__N_124unique_dim_cuda_templateIlEESt5tupleIJNS8_6TensorESD_SD_EERKSD_lbbbEUlllE1_EE10hipError_tPvRmT2_T3_mT4_P12ihipStream_tbEUlT_E_NS1_11comp_targetILNS1_3genE8ELNS1_11target_archE1030ELNS1_3gpuE2ELNS1_3repE0EEENS1_30default_config_static_selectorELNS0_4arch9wavefront6targetE0EEEvT1_,"axG",@progbits,_ZN7rocprim17ROCPRIM_400000_NS6detail17trampoline_kernelINS0_14default_configENS1_35adjacent_difference_config_selectorILb1ElEEZNS1_24adjacent_difference_implIS3_Lb1ELb0EPlS7_ZN2at6native12_GLOBAL__N_124unique_dim_cuda_templateIlEESt5tupleIJNS8_6TensorESD_SD_EERKSD_lbbbEUlllE1_EE10hipError_tPvRmT2_T3_mT4_P12ihipStream_tbEUlT_E_NS1_11comp_targetILNS1_3genE8ELNS1_11target_archE1030ELNS1_3gpuE2ELNS1_3repE0EEENS1_30default_config_static_selectorELNS0_4arch9wavefront6targetE0EEEvT1_,comdat
.Lfunc_end562:
	.size	_ZN7rocprim17ROCPRIM_400000_NS6detail17trampoline_kernelINS0_14default_configENS1_35adjacent_difference_config_selectorILb1ElEEZNS1_24adjacent_difference_implIS3_Lb1ELb0EPlS7_ZN2at6native12_GLOBAL__N_124unique_dim_cuda_templateIlEESt5tupleIJNS8_6TensorESD_SD_EERKSD_lbbbEUlllE1_EE10hipError_tPvRmT2_T3_mT4_P12ihipStream_tbEUlT_E_NS1_11comp_targetILNS1_3genE8ELNS1_11target_archE1030ELNS1_3gpuE2ELNS1_3repE0EEENS1_30default_config_static_selectorELNS0_4arch9wavefront6targetE0EEEvT1_, .Lfunc_end562-_ZN7rocprim17ROCPRIM_400000_NS6detail17trampoline_kernelINS0_14default_configENS1_35adjacent_difference_config_selectorILb1ElEEZNS1_24adjacent_difference_implIS3_Lb1ELb0EPlS7_ZN2at6native12_GLOBAL__N_124unique_dim_cuda_templateIlEESt5tupleIJNS8_6TensorESD_SD_EERKSD_lbbbEUlllE1_EE10hipError_tPvRmT2_T3_mT4_P12ihipStream_tbEUlT_E_NS1_11comp_targetILNS1_3genE8ELNS1_11target_archE1030ELNS1_3gpuE2ELNS1_3repE0EEENS1_30default_config_static_selectorELNS0_4arch9wavefront6targetE0EEEvT1_
                                        ; -- End function
	.section	.AMDGPU.csdata,"",@progbits
; Kernel info:
; codeLenInByte = 0
; NumSgprs: 0
; NumVgprs: 0
; ScratchSize: 0
; MemoryBound: 0
; FloatMode: 240
; IeeeMode: 1
; LDSByteSize: 0 bytes/workgroup (compile time only)
; SGPRBlocks: 0
; VGPRBlocks: 0
; NumSGPRsForWavesPerEU: 1
; NumVGPRsForWavesPerEU: 1
; Occupancy: 16
; WaveLimiterHint : 0
; COMPUTE_PGM_RSRC2:SCRATCH_EN: 0
; COMPUTE_PGM_RSRC2:USER_SGPR: 15
; COMPUTE_PGM_RSRC2:TRAP_HANDLER: 0
; COMPUTE_PGM_RSRC2:TGID_X_EN: 1
; COMPUTE_PGM_RSRC2:TGID_Y_EN: 0
; COMPUTE_PGM_RSRC2:TGID_Z_EN: 0
; COMPUTE_PGM_RSRC2:TIDIG_COMP_CNT: 0
	.section	.text._ZN7rocprim17ROCPRIM_400000_NS6detail17trampoline_kernelINS0_14default_configENS1_25partition_config_selectorILNS1_17partition_subalgoE8ElNS0_10empty_typeEbEEZZNS1_14partition_implILS5_8ELb0ES3_jPlPS6_PKS6_NS0_5tupleIJS9_S6_EEENSD_IJSA_SA_EEENS0_18inequality_wrapperIZN2at6native12_GLOBAL__N_124unique_dim_cuda_templateIlEESt5tupleIJNSH_6TensorESM_SM_EERKSM_lbbbEUlllE0_EEPmJS6_EEE10hipError_tPvRmT3_T4_T5_T6_T7_T9_mT8_P12ihipStream_tbDpT10_ENKUlT_T0_E_clISt17integral_constantIbLb0EES1C_EEDaS17_S18_EUlS17_E_NS1_11comp_targetILNS1_3genE0ELNS1_11target_archE4294967295ELNS1_3gpuE0ELNS1_3repE0EEENS1_30default_config_static_selectorELNS0_4arch9wavefront6targetE0EEEvT1_,"axG",@progbits,_ZN7rocprim17ROCPRIM_400000_NS6detail17trampoline_kernelINS0_14default_configENS1_25partition_config_selectorILNS1_17partition_subalgoE8ElNS0_10empty_typeEbEEZZNS1_14partition_implILS5_8ELb0ES3_jPlPS6_PKS6_NS0_5tupleIJS9_S6_EEENSD_IJSA_SA_EEENS0_18inequality_wrapperIZN2at6native12_GLOBAL__N_124unique_dim_cuda_templateIlEESt5tupleIJNSH_6TensorESM_SM_EERKSM_lbbbEUlllE0_EEPmJS6_EEE10hipError_tPvRmT3_T4_T5_T6_T7_T9_mT8_P12ihipStream_tbDpT10_ENKUlT_T0_E_clISt17integral_constantIbLb0EES1C_EEDaS17_S18_EUlS17_E_NS1_11comp_targetILNS1_3genE0ELNS1_11target_archE4294967295ELNS1_3gpuE0ELNS1_3repE0EEENS1_30default_config_static_selectorELNS0_4arch9wavefront6targetE0EEEvT1_,comdat
	.globl	_ZN7rocprim17ROCPRIM_400000_NS6detail17trampoline_kernelINS0_14default_configENS1_25partition_config_selectorILNS1_17partition_subalgoE8ElNS0_10empty_typeEbEEZZNS1_14partition_implILS5_8ELb0ES3_jPlPS6_PKS6_NS0_5tupleIJS9_S6_EEENSD_IJSA_SA_EEENS0_18inequality_wrapperIZN2at6native12_GLOBAL__N_124unique_dim_cuda_templateIlEESt5tupleIJNSH_6TensorESM_SM_EERKSM_lbbbEUlllE0_EEPmJS6_EEE10hipError_tPvRmT3_T4_T5_T6_T7_T9_mT8_P12ihipStream_tbDpT10_ENKUlT_T0_E_clISt17integral_constantIbLb0EES1C_EEDaS17_S18_EUlS17_E_NS1_11comp_targetILNS1_3genE0ELNS1_11target_archE4294967295ELNS1_3gpuE0ELNS1_3repE0EEENS1_30default_config_static_selectorELNS0_4arch9wavefront6targetE0EEEvT1_ ; -- Begin function _ZN7rocprim17ROCPRIM_400000_NS6detail17trampoline_kernelINS0_14default_configENS1_25partition_config_selectorILNS1_17partition_subalgoE8ElNS0_10empty_typeEbEEZZNS1_14partition_implILS5_8ELb0ES3_jPlPS6_PKS6_NS0_5tupleIJS9_S6_EEENSD_IJSA_SA_EEENS0_18inequality_wrapperIZN2at6native12_GLOBAL__N_124unique_dim_cuda_templateIlEESt5tupleIJNSH_6TensorESM_SM_EERKSM_lbbbEUlllE0_EEPmJS6_EEE10hipError_tPvRmT3_T4_T5_T6_T7_T9_mT8_P12ihipStream_tbDpT10_ENKUlT_T0_E_clISt17integral_constantIbLb0EES1C_EEDaS17_S18_EUlS17_E_NS1_11comp_targetILNS1_3genE0ELNS1_11target_archE4294967295ELNS1_3gpuE0ELNS1_3repE0EEENS1_30default_config_static_selectorELNS0_4arch9wavefront6targetE0EEEvT1_
	.p2align	8
	.type	_ZN7rocprim17ROCPRIM_400000_NS6detail17trampoline_kernelINS0_14default_configENS1_25partition_config_selectorILNS1_17partition_subalgoE8ElNS0_10empty_typeEbEEZZNS1_14partition_implILS5_8ELb0ES3_jPlPS6_PKS6_NS0_5tupleIJS9_S6_EEENSD_IJSA_SA_EEENS0_18inequality_wrapperIZN2at6native12_GLOBAL__N_124unique_dim_cuda_templateIlEESt5tupleIJNSH_6TensorESM_SM_EERKSM_lbbbEUlllE0_EEPmJS6_EEE10hipError_tPvRmT3_T4_T5_T6_T7_T9_mT8_P12ihipStream_tbDpT10_ENKUlT_T0_E_clISt17integral_constantIbLb0EES1C_EEDaS17_S18_EUlS17_E_NS1_11comp_targetILNS1_3genE0ELNS1_11target_archE4294967295ELNS1_3gpuE0ELNS1_3repE0EEENS1_30default_config_static_selectorELNS0_4arch9wavefront6targetE0EEEvT1_,@function
_ZN7rocprim17ROCPRIM_400000_NS6detail17trampoline_kernelINS0_14default_configENS1_25partition_config_selectorILNS1_17partition_subalgoE8ElNS0_10empty_typeEbEEZZNS1_14partition_implILS5_8ELb0ES3_jPlPS6_PKS6_NS0_5tupleIJS9_S6_EEENSD_IJSA_SA_EEENS0_18inequality_wrapperIZN2at6native12_GLOBAL__N_124unique_dim_cuda_templateIlEESt5tupleIJNSH_6TensorESM_SM_EERKSM_lbbbEUlllE0_EEPmJS6_EEE10hipError_tPvRmT3_T4_T5_T6_T7_T9_mT8_P12ihipStream_tbDpT10_ENKUlT_T0_E_clISt17integral_constantIbLb0EES1C_EEDaS17_S18_EUlS17_E_NS1_11comp_targetILNS1_3genE0ELNS1_11target_archE4294967295ELNS1_3gpuE0ELNS1_3repE0EEENS1_30default_config_static_selectorELNS0_4arch9wavefront6targetE0EEEvT1_: ; @_ZN7rocprim17ROCPRIM_400000_NS6detail17trampoline_kernelINS0_14default_configENS1_25partition_config_selectorILNS1_17partition_subalgoE8ElNS0_10empty_typeEbEEZZNS1_14partition_implILS5_8ELb0ES3_jPlPS6_PKS6_NS0_5tupleIJS9_S6_EEENSD_IJSA_SA_EEENS0_18inequality_wrapperIZN2at6native12_GLOBAL__N_124unique_dim_cuda_templateIlEESt5tupleIJNSH_6TensorESM_SM_EERKSM_lbbbEUlllE0_EEPmJS6_EEE10hipError_tPvRmT3_T4_T5_T6_T7_T9_mT8_P12ihipStream_tbDpT10_ENKUlT_T0_E_clISt17integral_constantIbLb0EES1C_EEDaS17_S18_EUlS17_E_NS1_11comp_targetILNS1_3genE0ELNS1_11target_archE4294967295ELNS1_3gpuE0ELNS1_3repE0EEENS1_30default_config_static_selectorELNS0_4arch9wavefront6targetE0EEEvT1_
; %bb.0:
	.section	.rodata,"a",@progbits
	.p2align	6, 0x0
	.amdhsa_kernel _ZN7rocprim17ROCPRIM_400000_NS6detail17trampoline_kernelINS0_14default_configENS1_25partition_config_selectorILNS1_17partition_subalgoE8ElNS0_10empty_typeEbEEZZNS1_14partition_implILS5_8ELb0ES3_jPlPS6_PKS6_NS0_5tupleIJS9_S6_EEENSD_IJSA_SA_EEENS0_18inequality_wrapperIZN2at6native12_GLOBAL__N_124unique_dim_cuda_templateIlEESt5tupleIJNSH_6TensorESM_SM_EERKSM_lbbbEUlllE0_EEPmJS6_EEE10hipError_tPvRmT3_T4_T5_T6_T7_T9_mT8_P12ihipStream_tbDpT10_ENKUlT_T0_E_clISt17integral_constantIbLb0EES1C_EEDaS17_S18_EUlS17_E_NS1_11comp_targetILNS1_3genE0ELNS1_11target_archE4294967295ELNS1_3gpuE0ELNS1_3repE0EEENS1_30default_config_static_selectorELNS0_4arch9wavefront6targetE0EEEvT1_
		.amdhsa_group_segment_fixed_size 0
		.amdhsa_private_segment_fixed_size 0
		.amdhsa_kernarg_size 120
		.amdhsa_user_sgpr_count 15
		.amdhsa_user_sgpr_dispatch_ptr 0
		.amdhsa_user_sgpr_queue_ptr 0
		.amdhsa_user_sgpr_kernarg_segment_ptr 1
		.amdhsa_user_sgpr_dispatch_id 0
		.amdhsa_user_sgpr_private_segment_size 0
		.amdhsa_wavefront_size32 1
		.amdhsa_uses_dynamic_stack 0
		.amdhsa_enable_private_segment 0
		.amdhsa_system_sgpr_workgroup_id_x 1
		.amdhsa_system_sgpr_workgroup_id_y 0
		.amdhsa_system_sgpr_workgroup_id_z 0
		.amdhsa_system_sgpr_workgroup_info 0
		.amdhsa_system_vgpr_workitem_id 0
		.amdhsa_next_free_vgpr 1
		.amdhsa_next_free_sgpr 1
		.amdhsa_reserve_vcc 0
		.amdhsa_float_round_mode_32 0
		.amdhsa_float_round_mode_16_64 0
		.amdhsa_float_denorm_mode_32 3
		.amdhsa_float_denorm_mode_16_64 3
		.amdhsa_dx10_clamp 1
		.amdhsa_ieee_mode 1
		.amdhsa_fp16_overflow 0
		.amdhsa_workgroup_processor_mode 1
		.amdhsa_memory_ordered 1
		.amdhsa_forward_progress 0
		.amdhsa_shared_vgpr_count 0
		.amdhsa_exception_fp_ieee_invalid_op 0
		.amdhsa_exception_fp_denorm_src 0
		.amdhsa_exception_fp_ieee_div_zero 0
		.amdhsa_exception_fp_ieee_overflow 0
		.amdhsa_exception_fp_ieee_underflow 0
		.amdhsa_exception_fp_ieee_inexact 0
		.amdhsa_exception_int_div_zero 0
	.end_amdhsa_kernel
	.section	.text._ZN7rocprim17ROCPRIM_400000_NS6detail17trampoline_kernelINS0_14default_configENS1_25partition_config_selectorILNS1_17partition_subalgoE8ElNS0_10empty_typeEbEEZZNS1_14partition_implILS5_8ELb0ES3_jPlPS6_PKS6_NS0_5tupleIJS9_S6_EEENSD_IJSA_SA_EEENS0_18inequality_wrapperIZN2at6native12_GLOBAL__N_124unique_dim_cuda_templateIlEESt5tupleIJNSH_6TensorESM_SM_EERKSM_lbbbEUlllE0_EEPmJS6_EEE10hipError_tPvRmT3_T4_T5_T6_T7_T9_mT8_P12ihipStream_tbDpT10_ENKUlT_T0_E_clISt17integral_constantIbLb0EES1C_EEDaS17_S18_EUlS17_E_NS1_11comp_targetILNS1_3genE0ELNS1_11target_archE4294967295ELNS1_3gpuE0ELNS1_3repE0EEENS1_30default_config_static_selectorELNS0_4arch9wavefront6targetE0EEEvT1_,"axG",@progbits,_ZN7rocprim17ROCPRIM_400000_NS6detail17trampoline_kernelINS0_14default_configENS1_25partition_config_selectorILNS1_17partition_subalgoE8ElNS0_10empty_typeEbEEZZNS1_14partition_implILS5_8ELb0ES3_jPlPS6_PKS6_NS0_5tupleIJS9_S6_EEENSD_IJSA_SA_EEENS0_18inequality_wrapperIZN2at6native12_GLOBAL__N_124unique_dim_cuda_templateIlEESt5tupleIJNSH_6TensorESM_SM_EERKSM_lbbbEUlllE0_EEPmJS6_EEE10hipError_tPvRmT3_T4_T5_T6_T7_T9_mT8_P12ihipStream_tbDpT10_ENKUlT_T0_E_clISt17integral_constantIbLb0EES1C_EEDaS17_S18_EUlS17_E_NS1_11comp_targetILNS1_3genE0ELNS1_11target_archE4294967295ELNS1_3gpuE0ELNS1_3repE0EEENS1_30default_config_static_selectorELNS0_4arch9wavefront6targetE0EEEvT1_,comdat
.Lfunc_end563:
	.size	_ZN7rocprim17ROCPRIM_400000_NS6detail17trampoline_kernelINS0_14default_configENS1_25partition_config_selectorILNS1_17partition_subalgoE8ElNS0_10empty_typeEbEEZZNS1_14partition_implILS5_8ELb0ES3_jPlPS6_PKS6_NS0_5tupleIJS9_S6_EEENSD_IJSA_SA_EEENS0_18inequality_wrapperIZN2at6native12_GLOBAL__N_124unique_dim_cuda_templateIlEESt5tupleIJNSH_6TensorESM_SM_EERKSM_lbbbEUlllE0_EEPmJS6_EEE10hipError_tPvRmT3_T4_T5_T6_T7_T9_mT8_P12ihipStream_tbDpT10_ENKUlT_T0_E_clISt17integral_constantIbLb0EES1C_EEDaS17_S18_EUlS17_E_NS1_11comp_targetILNS1_3genE0ELNS1_11target_archE4294967295ELNS1_3gpuE0ELNS1_3repE0EEENS1_30default_config_static_selectorELNS0_4arch9wavefront6targetE0EEEvT1_, .Lfunc_end563-_ZN7rocprim17ROCPRIM_400000_NS6detail17trampoline_kernelINS0_14default_configENS1_25partition_config_selectorILNS1_17partition_subalgoE8ElNS0_10empty_typeEbEEZZNS1_14partition_implILS5_8ELb0ES3_jPlPS6_PKS6_NS0_5tupleIJS9_S6_EEENSD_IJSA_SA_EEENS0_18inequality_wrapperIZN2at6native12_GLOBAL__N_124unique_dim_cuda_templateIlEESt5tupleIJNSH_6TensorESM_SM_EERKSM_lbbbEUlllE0_EEPmJS6_EEE10hipError_tPvRmT3_T4_T5_T6_T7_T9_mT8_P12ihipStream_tbDpT10_ENKUlT_T0_E_clISt17integral_constantIbLb0EES1C_EEDaS17_S18_EUlS17_E_NS1_11comp_targetILNS1_3genE0ELNS1_11target_archE4294967295ELNS1_3gpuE0ELNS1_3repE0EEENS1_30default_config_static_selectorELNS0_4arch9wavefront6targetE0EEEvT1_
                                        ; -- End function
	.section	.AMDGPU.csdata,"",@progbits
; Kernel info:
; codeLenInByte = 0
; NumSgprs: 0
; NumVgprs: 0
; ScratchSize: 0
; MemoryBound: 0
; FloatMode: 240
; IeeeMode: 1
; LDSByteSize: 0 bytes/workgroup (compile time only)
; SGPRBlocks: 0
; VGPRBlocks: 0
; NumSGPRsForWavesPerEU: 1
; NumVGPRsForWavesPerEU: 1
; Occupancy: 16
; WaveLimiterHint : 0
; COMPUTE_PGM_RSRC2:SCRATCH_EN: 0
; COMPUTE_PGM_RSRC2:USER_SGPR: 15
; COMPUTE_PGM_RSRC2:TRAP_HANDLER: 0
; COMPUTE_PGM_RSRC2:TGID_X_EN: 1
; COMPUTE_PGM_RSRC2:TGID_Y_EN: 0
; COMPUTE_PGM_RSRC2:TGID_Z_EN: 0
; COMPUTE_PGM_RSRC2:TIDIG_COMP_CNT: 0
	.section	.text._ZN7rocprim17ROCPRIM_400000_NS6detail17trampoline_kernelINS0_14default_configENS1_25partition_config_selectorILNS1_17partition_subalgoE8ElNS0_10empty_typeEbEEZZNS1_14partition_implILS5_8ELb0ES3_jPlPS6_PKS6_NS0_5tupleIJS9_S6_EEENSD_IJSA_SA_EEENS0_18inequality_wrapperIZN2at6native12_GLOBAL__N_124unique_dim_cuda_templateIlEESt5tupleIJNSH_6TensorESM_SM_EERKSM_lbbbEUlllE0_EEPmJS6_EEE10hipError_tPvRmT3_T4_T5_T6_T7_T9_mT8_P12ihipStream_tbDpT10_ENKUlT_T0_E_clISt17integral_constantIbLb0EES1C_EEDaS17_S18_EUlS17_E_NS1_11comp_targetILNS1_3genE5ELNS1_11target_archE942ELNS1_3gpuE9ELNS1_3repE0EEENS1_30default_config_static_selectorELNS0_4arch9wavefront6targetE0EEEvT1_,"axG",@progbits,_ZN7rocprim17ROCPRIM_400000_NS6detail17trampoline_kernelINS0_14default_configENS1_25partition_config_selectorILNS1_17partition_subalgoE8ElNS0_10empty_typeEbEEZZNS1_14partition_implILS5_8ELb0ES3_jPlPS6_PKS6_NS0_5tupleIJS9_S6_EEENSD_IJSA_SA_EEENS0_18inequality_wrapperIZN2at6native12_GLOBAL__N_124unique_dim_cuda_templateIlEESt5tupleIJNSH_6TensorESM_SM_EERKSM_lbbbEUlllE0_EEPmJS6_EEE10hipError_tPvRmT3_T4_T5_T6_T7_T9_mT8_P12ihipStream_tbDpT10_ENKUlT_T0_E_clISt17integral_constantIbLb0EES1C_EEDaS17_S18_EUlS17_E_NS1_11comp_targetILNS1_3genE5ELNS1_11target_archE942ELNS1_3gpuE9ELNS1_3repE0EEENS1_30default_config_static_selectorELNS0_4arch9wavefront6targetE0EEEvT1_,comdat
	.globl	_ZN7rocprim17ROCPRIM_400000_NS6detail17trampoline_kernelINS0_14default_configENS1_25partition_config_selectorILNS1_17partition_subalgoE8ElNS0_10empty_typeEbEEZZNS1_14partition_implILS5_8ELb0ES3_jPlPS6_PKS6_NS0_5tupleIJS9_S6_EEENSD_IJSA_SA_EEENS0_18inequality_wrapperIZN2at6native12_GLOBAL__N_124unique_dim_cuda_templateIlEESt5tupleIJNSH_6TensorESM_SM_EERKSM_lbbbEUlllE0_EEPmJS6_EEE10hipError_tPvRmT3_T4_T5_T6_T7_T9_mT8_P12ihipStream_tbDpT10_ENKUlT_T0_E_clISt17integral_constantIbLb0EES1C_EEDaS17_S18_EUlS17_E_NS1_11comp_targetILNS1_3genE5ELNS1_11target_archE942ELNS1_3gpuE9ELNS1_3repE0EEENS1_30default_config_static_selectorELNS0_4arch9wavefront6targetE0EEEvT1_ ; -- Begin function _ZN7rocprim17ROCPRIM_400000_NS6detail17trampoline_kernelINS0_14default_configENS1_25partition_config_selectorILNS1_17partition_subalgoE8ElNS0_10empty_typeEbEEZZNS1_14partition_implILS5_8ELb0ES3_jPlPS6_PKS6_NS0_5tupleIJS9_S6_EEENSD_IJSA_SA_EEENS0_18inequality_wrapperIZN2at6native12_GLOBAL__N_124unique_dim_cuda_templateIlEESt5tupleIJNSH_6TensorESM_SM_EERKSM_lbbbEUlllE0_EEPmJS6_EEE10hipError_tPvRmT3_T4_T5_T6_T7_T9_mT8_P12ihipStream_tbDpT10_ENKUlT_T0_E_clISt17integral_constantIbLb0EES1C_EEDaS17_S18_EUlS17_E_NS1_11comp_targetILNS1_3genE5ELNS1_11target_archE942ELNS1_3gpuE9ELNS1_3repE0EEENS1_30default_config_static_selectorELNS0_4arch9wavefront6targetE0EEEvT1_
	.p2align	8
	.type	_ZN7rocprim17ROCPRIM_400000_NS6detail17trampoline_kernelINS0_14default_configENS1_25partition_config_selectorILNS1_17partition_subalgoE8ElNS0_10empty_typeEbEEZZNS1_14partition_implILS5_8ELb0ES3_jPlPS6_PKS6_NS0_5tupleIJS9_S6_EEENSD_IJSA_SA_EEENS0_18inequality_wrapperIZN2at6native12_GLOBAL__N_124unique_dim_cuda_templateIlEESt5tupleIJNSH_6TensorESM_SM_EERKSM_lbbbEUlllE0_EEPmJS6_EEE10hipError_tPvRmT3_T4_T5_T6_T7_T9_mT8_P12ihipStream_tbDpT10_ENKUlT_T0_E_clISt17integral_constantIbLb0EES1C_EEDaS17_S18_EUlS17_E_NS1_11comp_targetILNS1_3genE5ELNS1_11target_archE942ELNS1_3gpuE9ELNS1_3repE0EEENS1_30default_config_static_selectorELNS0_4arch9wavefront6targetE0EEEvT1_,@function
_ZN7rocprim17ROCPRIM_400000_NS6detail17trampoline_kernelINS0_14default_configENS1_25partition_config_selectorILNS1_17partition_subalgoE8ElNS0_10empty_typeEbEEZZNS1_14partition_implILS5_8ELb0ES3_jPlPS6_PKS6_NS0_5tupleIJS9_S6_EEENSD_IJSA_SA_EEENS0_18inequality_wrapperIZN2at6native12_GLOBAL__N_124unique_dim_cuda_templateIlEESt5tupleIJNSH_6TensorESM_SM_EERKSM_lbbbEUlllE0_EEPmJS6_EEE10hipError_tPvRmT3_T4_T5_T6_T7_T9_mT8_P12ihipStream_tbDpT10_ENKUlT_T0_E_clISt17integral_constantIbLb0EES1C_EEDaS17_S18_EUlS17_E_NS1_11comp_targetILNS1_3genE5ELNS1_11target_archE942ELNS1_3gpuE9ELNS1_3repE0EEENS1_30default_config_static_selectorELNS0_4arch9wavefront6targetE0EEEvT1_: ; @_ZN7rocprim17ROCPRIM_400000_NS6detail17trampoline_kernelINS0_14default_configENS1_25partition_config_selectorILNS1_17partition_subalgoE8ElNS0_10empty_typeEbEEZZNS1_14partition_implILS5_8ELb0ES3_jPlPS6_PKS6_NS0_5tupleIJS9_S6_EEENSD_IJSA_SA_EEENS0_18inequality_wrapperIZN2at6native12_GLOBAL__N_124unique_dim_cuda_templateIlEESt5tupleIJNSH_6TensorESM_SM_EERKSM_lbbbEUlllE0_EEPmJS6_EEE10hipError_tPvRmT3_T4_T5_T6_T7_T9_mT8_P12ihipStream_tbDpT10_ENKUlT_T0_E_clISt17integral_constantIbLb0EES1C_EEDaS17_S18_EUlS17_E_NS1_11comp_targetILNS1_3genE5ELNS1_11target_archE942ELNS1_3gpuE9ELNS1_3repE0EEENS1_30default_config_static_selectorELNS0_4arch9wavefront6targetE0EEEvT1_
; %bb.0:
	.section	.rodata,"a",@progbits
	.p2align	6, 0x0
	.amdhsa_kernel _ZN7rocprim17ROCPRIM_400000_NS6detail17trampoline_kernelINS0_14default_configENS1_25partition_config_selectorILNS1_17partition_subalgoE8ElNS0_10empty_typeEbEEZZNS1_14partition_implILS5_8ELb0ES3_jPlPS6_PKS6_NS0_5tupleIJS9_S6_EEENSD_IJSA_SA_EEENS0_18inequality_wrapperIZN2at6native12_GLOBAL__N_124unique_dim_cuda_templateIlEESt5tupleIJNSH_6TensorESM_SM_EERKSM_lbbbEUlllE0_EEPmJS6_EEE10hipError_tPvRmT3_T4_T5_T6_T7_T9_mT8_P12ihipStream_tbDpT10_ENKUlT_T0_E_clISt17integral_constantIbLb0EES1C_EEDaS17_S18_EUlS17_E_NS1_11comp_targetILNS1_3genE5ELNS1_11target_archE942ELNS1_3gpuE9ELNS1_3repE0EEENS1_30default_config_static_selectorELNS0_4arch9wavefront6targetE0EEEvT1_
		.amdhsa_group_segment_fixed_size 0
		.amdhsa_private_segment_fixed_size 0
		.amdhsa_kernarg_size 120
		.amdhsa_user_sgpr_count 15
		.amdhsa_user_sgpr_dispatch_ptr 0
		.amdhsa_user_sgpr_queue_ptr 0
		.amdhsa_user_sgpr_kernarg_segment_ptr 1
		.amdhsa_user_sgpr_dispatch_id 0
		.amdhsa_user_sgpr_private_segment_size 0
		.amdhsa_wavefront_size32 1
		.amdhsa_uses_dynamic_stack 0
		.amdhsa_enable_private_segment 0
		.amdhsa_system_sgpr_workgroup_id_x 1
		.amdhsa_system_sgpr_workgroup_id_y 0
		.amdhsa_system_sgpr_workgroup_id_z 0
		.amdhsa_system_sgpr_workgroup_info 0
		.amdhsa_system_vgpr_workitem_id 0
		.amdhsa_next_free_vgpr 1
		.amdhsa_next_free_sgpr 1
		.amdhsa_reserve_vcc 0
		.amdhsa_float_round_mode_32 0
		.amdhsa_float_round_mode_16_64 0
		.amdhsa_float_denorm_mode_32 3
		.amdhsa_float_denorm_mode_16_64 3
		.amdhsa_dx10_clamp 1
		.amdhsa_ieee_mode 1
		.amdhsa_fp16_overflow 0
		.amdhsa_workgroup_processor_mode 1
		.amdhsa_memory_ordered 1
		.amdhsa_forward_progress 0
		.amdhsa_shared_vgpr_count 0
		.amdhsa_exception_fp_ieee_invalid_op 0
		.amdhsa_exception_fp_denorm_src 0
		.amdhsa_exception_fp_ieee_div_zero 0
		.amdhsa_exception_fp_ieee_overflow 0
		.amdhsa_exception_fp_ieee_underflow 0
		.amdhsa_exception_fp_ieee_inexact 0
		.amdhsa_exception_int_div_zero 0
	.end_amdhsa_kernel
	.section	.text._ZN7rocprim17ROCPRIM_400000_NS6detail17trampoline_kernelINS0_14default_configENS1_25partition_config_selectorILNS1_17partition_subalgoE8ElNS0_10empty_typeEbEEZZNS1_14partition_implILS5_8ELb0ES3_jPlPS6_PKS6_NS0_5tupleIJS9_S6_EEENSD_IJSA_SA_EEENS0_18inequality_wrapperIZN2at6native12_GLOBAL__N_124unique_dim_cuda_templateIlEESt5tupleIJNSH_6TensorESM_SM_EERKSM_lbbbEUlllE0_EEPmJS6_EEE10hipError_tPvRmT3_T4_T5_T6_T7_T9_mT8_P12ihipStream_tbDpT10_ENKUlT_T0_E_clISt17integral_constantIbLb0EES1C_EEDaS17_S18_EUlS17_E_NS1_11comp_targetILNS1_3genE5ELNS1_11target_archE942ELNS1_3gpuE9ELNS1_3repE0EEENS1_30default_config_static_selectorELNS0_4arch9wavefront6targetE0EEEvT1_,"axG",@progbits,_ZN7rocprim17ROCPRIM_400000_NS6detail17trampoline_kernelINS0_14default_configENS1_25partition_config_selectorILNS1_17partition_subalgoE8ElNS0_10empty_typeEbEEZZNS1_14partition_implILS5_8ELb0ES3_jPlPS6_PKS6_NS0_5tupleIJS9_S6_EEENSD_IJSA_SA_EEENS0_18inequality_wrapperIZN2at6native12_GLOBAL__N_124unique_dim_cuda_templateIlEESt5tupleIJNSH_6TensorESM_SM_EERKSM_lbbbEUlllE0_EEPmJS6_EEE10hipError_tPvRmT3_T4_T5_T6_T7_T9_mT8_P12ihipStream_tbDpT10_ENKUlT_T0_E_clISt17integral_constantIbLb0EES1C_EEDaS17_S18_EUlS17_E_NS1_11comp_targetILNS1_3genE5ELNS1_11target_archE942ELNS1_3gpuE9ELNS1_3repE0EEENS1_30default_config_static_selectorELNS0_4arch9wavefront6targetE0EEEvT1_,comdat
.Lfunc_end564:
	.size	_ZN7rocprim17ROCPRIM_400000_NS6detail17trampoline_kernelINS0_14default_configENS1_25partition_config_selectorILNS1_17partition_subalgoE8ElNS0_10empty_typeEbEEZZNS1_14partition_implILS5_8ELb0ES3_jPlPS6_PKS6_NS0_5tupleIJS9_S6_EEENSD_IJSA_SA_EEENS0_18inequality_wrapperIZN2at6native12_GLOBAL__N_124unique_dim_cuda_templateIlEESt5tupleIJNSH_6TensorESM_SM_EERKSM_lbbbEUlllE0_EEPmJS6_EEE10hipError_tPvRmT3_T4_T5_T6_T7_T9_mT8_P12ihipStream_tbDpT10_ENKUlT_T0_E_clISt17integral_constantIbLb0EES1C_EEDaS17_S18_EUlS17_E_NS1_11comp_targetILNS1_3genE5ELNS1_11target_archE942ELNS1_3gpuE9ELNS1_3repE0EEENS1_30default_config_static_selectorELNS0_4arch9wavefront6targetE0EEEvT1_, .Lfunc_end564-_ZN7rocprim17ROCPRIM_400000_NS6detail17trampoline_kernelINS0_14default_configENS1_25partition_config_selectorILNS1_17partition_subalgoE8ElNS0_10empty_typeEbEEZZNS1_14partition_implILS5_8ELb0ES3_jPlPS6_PKS6_NS0_5tupleIJS9_S6_EEENSD_IJSA_SA_EEENS0_18inequality_wrapperIZN2at6native12_GLOBAL__N_124unique_dim_cuda_templateIlEESt5tupleIJNSH_6TensorESM_SM_EERKSM_lbbbEUlllE0_EEPmJS6_EEE10hipError_tPvRmT3_T4_T5_T6_T7_T9_mT8_P12ihipStream_tbDpT10_ENKUlT_T0_E_clISt17integral_constantIbLb0EES1C_EEDaS17_S18_EUlS17_E_NS1_11comp_targetILNS1_3genE5ELNS1_11target_archE942ELNS1_3gpuE9ELNS1_3repE0EEENS1_30default_config_static_selectorELNS0_4arch9wavefront6targetE0EEEvT1_
                                        ; -- End function
	.section	.AMDGPU.csdata,"",@progbits
; Kernel info:
; codeLenInByte = 0
; NumSgprs: 0
; NumVgprs: 0
; ScratchSize: 0
; MemoryBound: 0
; FloatMode: 240
; IeeeMode: 1
; LDSByteSize: 0 bytes/workgroup (compile time only)
; SGPRBlocks: 0
; VGPRBlocks: 0
; NumSGPRsForWavesPerEU: 1
; NumVGPRsForWavesPerEU: 1
; Occupancy: 16
; WaveLimiterHint : 0
; COMPUTE_PGM_RSRC2:SCRATCH_EN: 0
; COMPUTE_PGM_RSRC2:USER_SGPR: 15
; COMPUTE_PGM_RSRC2:TRAP_HANDLER: 0
; COMPUTE_PGM_RSRC2:TGID_X_EN: 1
; COMPUTE_PGM_RSRC2:TGID_Y_EN: 0
; COMPUTE_PGM_RSRC2:TGID_Z_EN: 0
; COMPUTE_PGM_RSRC2:TIDIG_COMP_CNT: 0
	.section	.text._ZN7rocprim17ROCPRIM_400000_NS6detail17trampoline_kernelINS0_14default_configENS1_25partition_config_selectorILNS1_17partition_subalgoE8ElNS0_10empty_typeEbEEZZNS1_14partition_implILS5_8ELb0ES3_jPlPS6_PKS6_NS0_5tupleIJS9_S6_EEENSD_IJSA_SA_EEENS0_18inequality_wrapperIZN2at6native12_GLOBAL__N_124unique_dim_cuda_templateIlEESt5tupleIJNSH_6TensorESM_SM_EERKSM_lbbbEUlllE0_EEPmJS6_EEE10hipError_tPvRmT3_T4_T5_T6_T7_T9_mT8_P12ihipStream_tbDpT10_ENKUlT_T0_E_clISt17integral_constantIbLb0EES1C_EEDaS17_S18_EUlS17_E_NS1_11comp_targetILNS1_3genE4ELNS1_11target_archE910ELNS1_3gpuE8ELNS1_3repE0EEENS1_30default_config_static_selectorELNS0_4arch9wavefront6targetE0EEEvT1_,"axG",@progbits,_ZN7rocprim17ROCPRIM_400000_NS6detail17trampoline_kernelINS0_14default_configENS1_25partition_config_selectorILNS1_17partition_subalgoE8ElNS0_10empty_typeEbEEZZNS1_14partition_implILS5_8ELb0ES3_jPlPS6_PKS6_NS0_5tupleIJS9_S6_EEENSD_IJSA_SA_EEENS0_18inequality_wrapperIZN2at6native12_GLOBAL__N_124unique_dim_cuda_templateIlEESt5tupleIJNSH_6TensorESM_SM_EERKSM_lbbbEUlllE0_EEPmJS6_EEE10hipError_tPvRmT3_T4_T5_T6_T7_T9_mT8_P12ihipStream_tbDpT10_ENKUlT_T0_E_clISt17integral_constantIbLb0EES1C_EEDaS17_S18_EUlS17_E_NS1_11comp_targetILNS1_3genE4ELNS1_11target_archE910ELNS1_3gpuE8ELNS1_3repE0EEENS1_30default_config_static_selectorELNS0_4arch9wavefront6targetE0EEEvT1_,comdat
	.globl	_ZN7rocprim17ROCPRIM_400000_NS6detail17trampoline_kernelINS0_14default_configENS1_25partition_config_selectorILNS1_17partition_subalgoE8ElNS0_10empty_typeEbEEZZNS1_14partition_implILS5_8ELb0ES3_jPlPS6_PKS6_NS0_5tupleIJS9_S6_EEENSD_IJSA_SA_EEENS0_18inequality_wrapperIZN2at6native12_GLOBAL__N_124unique_dim_cuda_templateIlEESt5tupleIJNSH_6TensorESM_SM_EERKSM_lbbbEUlllE0_EEPmJS6_EEE10hipError_tPvRmT3_T4_T5_T6_T7_T9_mT8_P12ihipStream_tbDpT10_ENKUlT_T0_E_clISt17integral_constantIbLb0EES1C_EEDaS17_S18_EUlS17_E_NS1_11comp_targetILNS1_3genE4ELNS1_11target_archE910ELNS1_3gpuE8ELNS1_3repE0EEENS1_30default_config_static_selectorELNS0_4arch9wavefront6targetE0EEEvT1_ ; -- Begin function _ZN7rocprim17ROCPRIM_400000_NS6detail17trampoline_kernelINS0_14default_configENS1_25partition_config_selectorILNS1_17partition_subalgoE8ElNS0_10empty_typeEbEEZZNS1_14partition_implILS5_8ELb0ES3_jPlPS6_PKS6_NS0_5tupleIJS9_S6_EEENSD_IJSA_SA_EEENS0_18inequality_wrapperIZN2at6native12_GLOBAL__N_124unique_dim_cuda_templateIlEESt5tupleIJNSH_6TensorESM_SM_EERKSM_lbbbEUlllE0_EEPmJS6_EEE10hipError_tPvRmT3_T4_T5_T6_T7_T9_mT8_P12ihipStream_tbDpT10_ENKUlT_T0_E_clISt17integral_constantIbLb0EES1C_EEDaS17_S18_EUlS17_E_NS1_11comp_targetILNS1_3genE4ELNS1_11target_archE910ELNS1_3gpuE8ELNS1_3repE0EEENS1_30default_config_static_selectorELNS0_4arch9wavefront6targetE0EEEvT1_
	.p2align	8
	.type	_ZN7rocprim17ROCPRIM_400000_NS6detail17trampoline_kernelINS0_14default_configENS1_25partition_config_selectorILNS1_17partition_subalgoE8ElNS0_10empty_typeEbEEZZNS1_14partition_implILS5_8ELb0ES3_jPlPS6_PKS6_NS0_5tupleIJS9_S6_EEENSD_IJSA_SA_EEENS0_18inequality_wrapperIZN2at6native12_GLOBAL__N_124unique_dim_cuda_templateIlEESt5tupleIJNSH_6TensorESM_SM_EERKSM_lbbbEUlllE0_EEPmJS6_EEE10hipError_tPvRmT3_T4_T5_T6_T7_T9_mT8_P12ihipStream_tbDpT10_ENKUlT_T0_E_clISt17integral_constantIbLb0EES1C_EEDaS17_S18_EUlS17_E_NS1_11comp_targetILNS1_3genE4ELNS1_11target_archE910ELNS1_3gpuE8ELNS1_3repE0EEENS1_30default_config_static_selectorELNS0_4arch9wavefront6targetE0EEEvT1_,@function
_ZN7rocprim17ROCPRIM_400000_NS6detail17trampoline_kernelINS0_14default_configENS1_25partition_config_selectorILNS1_17partition_subalgoE8ElNS0_10empty_typeEbEEZZNS1_14partition_implILS5_8ELb0ES3_jPlPS6_PKS6_NS0_5tupleIJS9_S6_EEENSD_IJSA_SA_EEENS0_18inequality_wrapperIZN2at6native12_GLOBAL__N_124unique_dim_cuda_templateIlEESt5tupleIJNSH_6TensorESM_SM_EERKSM_lbbbEUlllE0_EEPmJS6_EEE10hipError_tPvRmT3_T4_T5_T6_T7_T9_mT8_P12ihipStream_tbDpT10_ENKUlT_T0_E_clISt17integral_constantIbLb0EES1C_EEDaS17_S18_EUlS17_E_NS1_11comp_targetILNS1_3genE4ELNS1_11target_archE910ELNS1_3gpuE8ELNS1_3repE0EEENS1_30default_config_static_selectorELNS0_4arch9wavefront6targetE0EEEvT1_: ; @_ZN7rocprim17ROCPRIM_400000_NS6detail17trampoline_kernelINS0_14default_configENS1_25partition_config_selectorILNS1_17partition_subalgoE8ElNS0_10empty_typeEbEEZZNS1_14partition_implILS5_8ELb0ES3_jPlPS6_PKS6_NS0_5tupleIJS9_S6_EEENSD_IJSA_SA_EEENS0_18inequality_wrapperIZN2at6native12_GLOBAL__N_124unique_dim_cuda_templateIlEESt5tupleIJNSH_6TensorESM_SM_EERKSM_lbbbEUlllE0_EEPmJS6_EEE10hipError_tPvRmT3_T4_T5_T6_T7_T9_mT8_P12ihipStream_tbDpT10_ENKUlT_T0_E_clISt17integral_constantIbLb0EES1C_EEDaS17_S18_EUlS17_E_NS1_11comp_targetILNS1_3genE4ELNS1_11target_archE910ELNS1_3gpuE8ELNS1_3repE0EEENS1_30default_config_static_selectorELNS0_4arch9wavefront6targetE0EEEvT1_
; %bb.0:
	.section	.rodata,"a",@progbits
	.p2align	6, 0x0
	.amdhsa_kernel _ZN7rocprim17ROCPRIM_400000_NS6detail17trampoline_kernelINS0_14default_configENS1_25partition_config_selectorILNS1_17partition_subalgoE8ElNS0_10empty_typeEbEEZZNS1_14partition_implILS5_8ELb0ES3_jPlPS6_PKS6_NS0_5tupleIJS9_S6_EEENSD_IJSA_SA_EEENS0_18inequality_wrapperIZN2at6native12_GLOBAL__N_124unique_dim_cuda_templateIlEESt5tupleIJNSH_6TensorESM_SM_EERKSM_lbbbEUlllE0_EEPmJS6_EEE10hipError_tPvRmT3_T4_T5_T6_T7_T9_mT8_P12ihipStream_tbDpT10_ENKUlT_T0_E_clISt17integral_constantIbLb0EES1C_EEDaS17_S18_EUlS17_E_NS1_11comp_targetILNS1_3genE4ELNS1_11target_archE910ELNS1_3gpuE8ELNS1_3repE0EEENS1_30default_config_static_selectorELNS0_4arch9wavefront6targetE0EEEvT1_
		.amdhsa_group_segment_fixed_size 0
		.amdhsa_private_segment_fixed_size 0
		.amdhsa_kernarg_size 120
		.amdhsa_user_sgpr_count 15
		.amdhsa_user_sgpr_dispatch_ptr 0
		.amdhsa_user_sgpr_queue_ptr 0
		.amdhsa_user_sgpr_kernarg_segment_ptr 1
		.amdhsa_user_sgpr_dispatch_id 0
		.amdhsa_user_sgpr_private_segment_size 0
		.amdhsa_wavefront_size32 1
		.amdhsa_uses_dynamic_stack 0
		.amdhsa_enable_private_segment 0
		.amdhsa_system_sgpr_workgroup_id_x 1
		.amdhsa_system_sgpr_workgroup_id_y 0
		.amdhsa_system_sgpr_workgroup_id_z 0
		.amdhsa_system_sgpr_workgroup_info 0
		.amdhsa_system_vgpr_workitem_id 0
		.amdhsa_next_free_vgpr 1
		.amdhsa_next_free_sgpr 1
		.amdhsa_reserve_vcc 0
		.amdhsa_float_round_mode_32 0
		.amdhsa_float_round_mode_16_64 0
		.amdhsa_float_denorm_mode_32 3
		.amdhsa_float_denorm_mode_16_64 3
		.amdhsa_dx10_clamp 1
		.amdhsa_ieee_mode 1
		.amdhsa_fp16_overflow 0
		.amdhsa_workgroup_processor_mode 1
		.amdhsa_memory_ordered 1
		.amdhsa_forward_progress 0
		.amdhsa_shared_vgpr_count 0
		.amdhsa_exception_fp_ieee_invalid_op 0
		.amdhsa_exception_fp_denorm_src 0
		.amdhsa_exception_fp_ieee_div_zero 0
		.amdhsa_exception_fp_ieee_overflow 0
		.amdhsa_exception_fp_ieee_underflow 0
		.amdhsa_exception_fp_ieee_inexact 0
		.amdhsa_exception_int_div_zero 0
	.end_amdhsa_kernel
	.section	.text._ZN7rocprim17ROCPRIM_400000_NS6detail17trampoline_kernelINS0_14default_configENS1_25partition_config_selectorILNS1_17partition_subalgoE8ElNS0_10empty_typeEbEEZZNS1_14partition_implILS5_8ELb0ES3_jPlPS6_PKS6_NS0_5tupleIJS9_S6_EEENSD_IJSA_SA_EEENS0_18inequality_wrapperIZN2at6native12_GLOBAL__N_124unique_dim_cuda_templateIlEESt5tupleIJNSH_6TensorESM_SM_EERKSM_lbbbEUlllE0_EEPmJS6_EEE10hipError_tPvRmT3_T4_T5_T6_T7_T9_mT8_P12ihipStream_tbDpT10_ENKUlT_T0_E_clISt17integral_constantIbLb0EES1C_EEDaS17_S18_EUlS17_E_NS1_11comp_targetILNS1_3genE4ELNS1_11target_archE910ELNS1_3gpuE8ELNS1_3repE0EEENS1_30default_config_static_selectorELNS0_4arch9wavefront6targetE0EEEvT1_,"axG",@progbits,_ZN7rocprim17ROCPRIM_400000_NS6detail17trampoline_kernelINS0_14default_configENS1_25partition_config_selectorILNS1_17partition_subalgoE8ElNS0_10empty_typeEbEEZZNS1_14partition_implILS5_8ELb0ES3_jPlPS6_PKS6_NS0_5tupleIJS9_S6_EEENSD_IJSA_SA_EEENS0_18inequality_wrapperIZN2at6native12_GLOBAL__N_124unique_dim_cuda_templateIlEESt5tupleIJNSH_6TensorESM_SM_EERKSM_lbbbEUlllE0_EEPmJS6_EEE10hipError_tPvRmT3_T4_T5_T6_T7_T9_mT8_P12ihipStream_tbDpT10_ENKUlT_T0_E_clISt17integral_constantIbLb0EES1C_EEDaS17_S18_EUlS17_E_NS1_11comp_targetILNS1_3genE4ELNS1_11target_archE910ELNS1_3gpuE8ELNS1_3repE0EEENS1_30default_config_static_selectorELNS0_4arch9wavefront6targetE0EEEvT1_,comdat
.Lfunc_end565:
	.size	_ZN7rocprim17ROCPRIM_400000_NS6detail17trampoline_kernelINS0_14default_configENS1_25partition_config_selectorILNS1_17partition_subalgoE8ElNS0_10empty_typeEbEEZZNS1_14partition_implILS5_8ELb0ES3_jPlPS6_PKS6_NS0_5tupleIJS9_S6_EEENSD_IJSA_SA_EEENS0_18inequality_wrapperIZN2at6native12_GLOBAL__N_124unique_dim_cuda_templateIlEESt5tupleIJNSH_6TensorESM_SM_EERKSM_lbbbEUlllE0_EEPmJS6_EEE10hipError_tPvRmT3_T4_T5_T6_T7_T9_mT8_P12ihipStream_tbDpT10_ENKUlT_T0_E_clISt17integral_constantIbLb0EES1C_EEDaS17_S18_EUlS17_E_NS1_11comp_targetILNS1_3genE4ELNS1_11target_archE910ELNS1_3gpuE8ELNS1_3repE0EEENS1_30default_config_static_selectorELNS0_4arch9wavefront6targetE0EEEvT1_, .Lfunc_end565-_ZN7rocprim17ROCPRIM_400000_NS6detail17trampoline_kernelINS0_14default_configENS1_25partition_config_selectorILNS1_17partition_subalgoE8ElNS0_10empty_typeEbEEZZNS1_14partition_implILS5_8ELb0ES3_jPlPS6_PKS6_NS0_5tupleIJS9_S6_EEENSD_IJSA_SA_EEENS0_18inequality_wrapperIZN2at6native12_GLOBAL__N_124unique_dim_cuda_templateIlEESt5tupleIJNSH_6TensorESM_SM_EERKSM_lbbbEUlllE0_EEPmJS6_EEE10hipError_tPvRmT3_T4_T5_T6_T7_T9_mT8_P12ihipStream_tbDpT10_ENKUlT_T0_E_clISt17integral_constantIbLb0EES1C_EEDaS17_S18_EUlS17_E_NS1_11comp_targetILNS1_3genE4ELNS1_11target_archE910ELNS1_3gpuE8ELNS1_3repE0EEENS1_30default_config_static_selectorELNS0_4arch9wavefront6targetE0EEEvT1_
                                        ; -- End function
	.section	.AMDGPU.csdata,"",@progbits
; Kernel info:
; codeLenInByte = 0
; NumSgprs: 0
; NumVgprs: 0
; ScratchSize: 0
; MemoryBound: 0
; FloatMode: 240
; IeeeMode: 1
; LDSByteSize: 0 bytes/workgroup (compile time only)
; SGPRBlocks: 0
; VGPRBlocks: 0
; NumSGPRsForWavesPerEU: 1
; NumVGPRsForWavesPerEU: 1
; Occupancy: 16
; WaveLimiterHint : 0
; COMPUTE_PGM_RSRC2:SCRATCH_EN: 0
; COMPUTE_PGM_RSRC2:USER_SGPR: 15
; COMPUTE_PGM_RSRC2:TRAP_HANDLER: 0
; COMPUTE_PGM_RSRC2:TGID_X_EN: 1
; COMPUTE_PGM_RSRC2:TGID_Y_EN: 0
; COMPUTE_PGM_RSRC2:TGID_Z_EN: 0
; COMPUTE_PGM_RSRC2:TIDIG_COMP_CNT: 0
	.section	.text._ZN7rocprim17ROCPRIM_400000_NS6detail17trampoline_kernelINS0_14default_configENS1_25partition_config_selectorILNS1_17partition_subalgoE8ElNS0_10empty_typeEbEEZZNS1_14partition_implILS5_8ELb0ES3_jPlPS6_PKS6_NS0_5tupleIJS9_S6_EEENSD_IJSA_SA_EEENS0_18inequality_wrapperIZN2at6native12_GLOBAL__N_124unique_dim_cuda_templateIlEESt5tupleIJNSH_6TensorESM_SM_EERKSM_lbbbEUlllE0_EEPmJS6_EEE10hipError_tPvRmT3_T4_T5_T6_T7_T9_mT8_P12ihipStream_tbDpT10_ENKUlT_T0_E_clISt17integral_constantIbLb0EES1C_EEDaS17_S18_EUlS17_E_NS1_11comp_targetILNS1_3genE3ELNS1_11target_archE908ELNS1_3gpuE7ELNS1_3repE0EEENS1_30default_config_static_selectorELNS0_4arch9wavefront6targetE0EEEvT1_,"axG",@progbits,_ZN7rocprim17ROCPRIM_400000_NS6detail17trampoline_kernelINS0_14default_configENS1_25partition_config_selectorILNS1_17partition_subalgoE8ElNS0_10empty_typeEbEEZZNS1_14partition_implILS5_8ELb0ES3_jPlPS6_PKS6_NS0_5tupleIJS9_S6_EEENSD_IJSA_SA_EEENS0_18inequality_wrapperIZN2at6native12_GLOBAL__N_124unique_dim_cuda_templateIlEESt5tupleIJNSH_6TensorESM_SM_EERKSM_lbbbEUlllE0_EEPmJS6_EEE10hipError_tPvRmT3_T4_T5_T6_T7_T9_mT8_P12ihipStream_tbDpT10_ENKUlT_T0_E_clISt17integral_constantIbLb0EES1C_EEDaS17_S18_EUlS17_E_NS1_11comp_targetILNS1_3genE3ELNS1_11target_archE908ELNS1_3gpuE7ELNS1_3repE0EEENS1_30default_config_static_selectorELNS0_4arch9wavefront6targetE0EEEvT1_,comdat
	.globl	_ZN7rocprim17ROCPRIM_400000_NS6detail17trampoline_kernelINS0_14default_configENS1_25partition_config_selectorILNS1_17partition_subalgoE8ElNS0_10empty_typeEbEEZZNS1_14partition_implILS5_8ELb0ES3_jPlPS6_PKS6_NS0_5tupleIJS9_S6_EEENSD_IJSA_SA_EEENS0_18inequality_wrapperIZN2at6native12_GLOBAL__N_124unique_dim_cuda_templateIlEESt5tupleIJNSH_6TensorESM_SM_EERKSM_lbbbEUlllE0_EEPmJS6_EEE10hipError_tPvRmT3_T4_T5_T6_T7_T9_mT8_P12ihipStream_tbDpT10_ENKUlT_T0_E_clISt17integral_constantIbLb0EES1C_EEDaS17_S18_EUlS17_E_NS1_11comp_targetILNS1_3genE3ELNS1_11target_archE908ELNS1_3gpuE7ELNS1_3repE0EEENS1_30default_config_static_selectorELNS0_4arch9wavefront6targetE0EEEvT1_ ; -- Begin function _ZN7rocprim17ROCPRIM_400000_NS6detail17trampoline_kernelINS0_14default_configENS1_25partition_config_selectorILNS1_17partition_subalgoE8ElNS0_10empty_typeEbEEZZNS1_14partition_implILS5_8ELb0ES3_jPlPS6_PKS6_NS0_5tupleIJS9_S6_EEENSD_IJSA_SA_EEENS0_18inequality_wrapperIZN2at6native12_GLOBAL__N_124unique_dim_cuda_templateIlEESt5tupleIJNSH_6TensorESM_SM_EERKSM_lbbbEUlllE0_EEPmJS6_EEE10hipError_tPvRmT3_T4_T5_T6_T7_T9_mT8_P12ihipStream_tbDpT10_ENKUlT_T0_E_clISt17integral_constantIbLb0EES1C_EEDaS17_S18_EUlS17_E_NS1_11comp_targetILNS1_3genE3ELNS1_11target_archE908ELNS1_3gpuE7ELNS1_3repE0EEENS1_30default_config_static_selectorELNS0_4arch9wavefront6targetE0EEEvT1_
	.p2align	8
	.type	_ZN7rocprim17ROCPRIM_400000_NS6detail17trampoline_kernelINS0_14default_configENS1_25partition_config_selectorILNS1_17partition_subalgoE8ElNS0_10empty_typeEbEEZZNS1_14partition_implILS5_8ELb0ES3_jPlPS6_PKS6_NS0_5tupleIJS9_S6_EEENSD_IJSA_SA_EEENS0_18inequality_wrapperIZN2at6native12_GLOBAL__N_124unique_dim_cuda_templateIlEESt5tupleIJNSH_6TensorESM_SM_EERKSM_lbbbEUlllE0_EEPmJS6_EEE10hipError_tPvRmT3_T4_T5_T6_T7_T9_mT8_P12ihipStream_tbDpT10_ENKUlT_T0_E_clISt17integral_constantIbLb0EES1C_EEDaS17_S18_EUlS17_E_NS1_11comp_targetILNS1_3genE3ELNS1_11target_archE908ELNS1_3gpuE7ELNS1_3repE0EEENS1_30default_config_static_selectorELNS0_4arch9wavefront6targetE0EEEvT1_,@function
_ZN7rocprim17ROCPRIM_400000_NS6detail17trampoline_kernelINS0_14default_configENS1_25partition_config_selectorILNS1_17partition_subalgoE8ElNS0_10empty_typeEbEEZZNS1_14partition_implILS5_8ELb0ES3_jPlPS6_PKS6_NS0_5tupleIJS9_S6_EEENSD_IJSA_SA_EEENS0_18inequality_wrapperIZN2at6native12_GLOBAL__N_124unique_dim_cuda_templateIlEESt5tupleIJNSH_6TensorESM_SM_EERKSM_lbbbEUlllE0_EEPmJS6_EEE10hipError_tPvRmT3_T4_T5_T6_T7_T9_mT8_P12ihipStream_tbDpT10_ENKUlT_T0_E_clISt17integral_constantIbLb0EES1C_EEDaS17_S18_EUlS17_E_NS1_11comp_targetILNS1_3genE3ELNS1_11target_archE908ELNS1_3gpuE7ELNS1_3repE0EEENS1_30default_config_static_selectorELNS0_4arch9wavefront6targetE0EEEvT1_: ; @_ZN7rocprim17ROCPRIM_400000_NS6detail17trampoline_kernelINS0_14default_configENS1_25partition_config_selectorILNS1_17partition_subalgoE8ElNS0_10empty_typeEbEEZZNS1_14partition_implILS5_8ELb0ES3_jPlPS6_PKS6_NS0_5tupleIJS9_S6_EEENSD_IJSA_SA_EEENS0_18inequality_wrapperIZN2at6native12_GLOBAL__N_124unique_dim_cuda_templateIlEESt5tupleIJNSH_6TensorESM_SM_EERKSM_lbbbEUlllE0_EEPmJS6_EEE10hipError_tPvRmT3_T4_T5_T6_T7_T9_mT8_P12ihipStream_tbDpT10_ENKUlT_T0_E_clISt17integral_constantIbLb0EES1C_EEDaS17_S18_EUlS17_E_NS1_11comp_targetILNS1_3genE3ELNS1_11target_archE908ELNS1_3gpuE7ELNS1_3repE0EEENS1_30default_config_static_selectorELNS0_4arch9wavefront6targetE0EEEvT1_
; %bb.0:
	.section	.rodata,"a",@progbits
	.p2align	6, 0x0
	.amdhsa_kernel _ZN7rocprim17ROCPRIM_400000_NS6detail17trampoline_kernelINS0_14default_configENS1_25partition_config_selectorILNS1_17partition_subalgoE8ElNS0_10empty_typeEbEEZZNS1_14partition_implILS5_8ELb0ES3_jPlPS6_PKS6_NS0_5tupleIJS9_S6_EEENSD_IJSA_SA_EEENS0_18inequality_wrapperIZN2at6native12_GLOBAL__N_124unique_dim_cuda_templateIlEESt5tupleIJNSH_6TensorESM_SM_EERKSM_lbbbEUlllE0_EEPmJS6_EEE10hipError_tPvRmT3_T4_T5_T6_T7_T9_mT8_P12ihipStream_tbDpT10_ENKUlT_T0_E_clISt17integral_constantIbLb0EES1C_EEDaS17_S18_EUlS17_E_NS1_11comp_targetILNS1_3genE3ELNS1_11target_archE908ELNS1_3gpuE7ELNS1_3repE0EEENS1_30default_config_static_selectorELNS0_4arch9wavefront6targetE0EEEvT1_
		.amdhsa_group_segment_fixed_size 0
		.amdhsa_private_segment_fixed_size 0
		.amdhsa_kernarg_size 120
		.amdhsa_user_sgpr_count 15
		.amdhsa_user_sgpr_dispatch_ptr 0
		.amdhsa_user_sgpr_queue_ptr 0
		.amdhsa_user_sgpr_kernarg_segment_ptr 1
		.amdhsa_user_sgpr_dispatch_id 0
		.amdhsa_user_sgpr_private_segment_size 0
		.amdhsa_wavefront_size32 1
		.amdhsa_uses_dynamic_stack 0
		.amdhsa_enable_private_segment 0
		.amdhsa_system_sgpr_workgroup_id_x 1
		.amdhsa_system_sgpr_workgroup_id_y 0
		.amdhsa_system_sgpr_workgroup_id_z 0
		.amdhsa_system_sgpr_workgroup_info 0
		.amdhsa_system_vgpr_workitem_id 0
		.amdhsa_next_free_vgpr 1
		.amdhsa_next_free_sgpr 1
		.amdhsa_reserve_vcc 0
		.amdhsa_float_round_mode_32 0
		.amdhsa_float_round_mode_16_64 0
		.amdhsa_float_denorm_mode_32 3
		.amdhsa_float_denorm_mode_16_64 3
		.amdhsa_dx10_clamp 1
		.amdhsa_ieee_mode 1
		.amdhsa_fp16_overflow 0
		.amdhsa_workgroup_processor_mode 1
		.amdhsa_memory_ordered 1
		.amdhsa_forward_progress 0
		.amdhsa_shared_vgpr_count 0
		.amdhsa_exception_fp_ieee_invalid_op 0
		.amdhsa_exception_fp_denorm_src 0
		.amdhsa_exception_fp_ieee_div_zero 0
		.amdhsa_exception_fp_ieee_overflow 0
		.amdhsa_exception_fp_ieee_underflow 0
		.amdhsa_exception_fp_ieee_inexact 0
		.amdhsa_exception_int_div_zero 0
	.end_amdhsa_kernel
	.section	.text._ZN7rocprim17ROCPRIM_400000_NS6detail17trampoline_kernelINS0_14default_configENS1_25partition_config_selectorILNS1_17partition_subalgoE8ElNS0_10empty_typeEbEEZZNS1_14partition_implILS5_8ELb0ES3_jPlPS6_PKS6_NS0_5tupleIJS9_S6_EEENSD_IJSA_SA_EEENS0_18inequality_wrapperIZN2at6native12_GLOBAL__N_124unique_dim_cuda_templateIlEESt5tupleIJNSH_6TensorESM_SM_EERKSM_lbbbEUlllE0_EEPmJS6_EEE10hipError_tPvRmT3_T4_T5_T6_T7_T9_mT8_P12ihipStream_tbDpT10_ENKUlT_T0_E_clISt17integral_constantIbLb0EES1C_EEDaS17_S18_EUlS17_E_NS1_11comp_targetILNS1_3genE3ELNS1_11target_archE908ELNS1_3gpuE7ELNS1_3repE0EEENS1_30default_config_static_selectorELNS0_4arch9wavefront6targetE0EEEvT1_,"axG",@progbits,_ZN7rocprim17ROCPRIM_400000_NS6detail17trampoline_kernelINS0_14default_configENS1_25partition_config_selectorILNS1_17partition_subalgoE8ElNS0_10empty_typeEbEEZZNS1_14partition_implILS5_8ELb0ES3_jPlPS6_PKS6_NS0_5tupleIJS9_S6_EEENSD_IJSA_SA_EEENS0_18inequality_wrapperIZN2at6native12_GLOBAL__N_124unique_dim_cuda_templateIlEESt5tupleIJNSH_6TensorESM_SM_EERKSM_lbbbEUlllE0_EEPmJS6_EEE10hipError_tPvRmT3_T4_T5_T6_T7_T9_mT8_P12ihipStream_tbDpT10_ENKUlT_T0_E_clISt17integral_constantIbLb0EES1C_EEDaS17_S18_EUlS17_E_NS1_11comp_targetILNS1_3genE3ELNS1_11target_archE908ELNS1_3gpuE7ELNS1_3repE0EEENS1_30default_config_static_selectorELNS0_4arch9wavefront6targetE0EEEvT1_,comdat
.Lfunc_end566:
	.size	_ZN7rocprim17ROCPRIM_400000_NS6detail17trampoline_kernelINS0_14default_configENS1_25partition_config_selectorILNS1_17partition_subalgoE8ElNS0_10empty_typeEbEEZZNS1_14partition_implILS5_8ELb0ES3_jPlPS6_PKS6_NS0_5tupleIJS9_S6_EEENSD_IJSA_SA_EEENS0_18inequality_wrapperIZN2at6native12_GLOBAL__N_124unique_dim_cuda_templateIlEESt5tupleIJNSH_6TensorESM_SM_EERKSM_lbbbEUlllE0_EEPmJS6_EEE10hipError_tPvRmT3_T4_T5_T6_T7_T9_mT8_P12ihipStream_tbDpT10_ENKUlT_T0_E_clISt17integral_constantIbLb0EES1C_EEDaS17_S18_EUlS17_E_NS1_11comp_targetILNS1_3genE3ELNS1_11target_archE908ELNS1_3gpuE7ELNS1_3repE0EEENS1_30default_config_static_selectorELNS0_4arch9wavefront6targetE0EEEvT1_, .Lfunc_end566-_ZN7rocprim17ROCPRIM_400000_NS6detail17trampoline_kernelINS0_14default_configENS1_25partition_config_selectorILNS1_17partition_subalgoE8ElNS0_10empty_typeEbEEZZNS1_14partition_implILS5_8ELb0ES3_jPlPS6_PKS6_NS0_5tupleIJS9_S6_EEENSD_IJSA_SA_EEENS0_18inequality_wrapperIZN2at6native12_GLOBAL__N_124unique_dim_cuda_templateIlEESt5tupleIJNSH_6TensorESM_SM_EERKSM_lbbbEUlllE0_EEPmJS6_EEE10hipError_tPvRmT3_T4_T5_T6_T7_T9_mT8_P12ihipStream_tbDpT10_ENKUlT_T0_E_clISt17integral_constantIbLb0EES1C_EEDaS17_S18_EUlS17_E_NS1_11comp_targetILNS1_3genE3ELNS1_11target_archE908ELNS1_3gpuE7ELNS1_3repE0EEENS1_30default_config_static_selectorELNS0_4arch9wavefront6targetE0EEEvT1_
                                        ; -- End function
	.section	.AMDGPU.csdata,"",@progbits
; Kernel info:
; codeLenInByte = 0
; NumSgprs: 0
; NumVgprs: 0
; ScratchSize: 0
; MemoryBound: 0
; FloatMode: 240
; IeeeMode: 1
; LDSByteSize: 0 bytes/workgroup (compile time only)
; SGPRBlocks: 0
; VGPRBlocks: 0
; NumSGPRsForWavesPerEU: 1
; NumVGPRsForWavesPerEU: 1
; Occupancy: 16
; WaveLimiterHint : 0
; COMPUTE_PGM_RSRC2:SCRATCH_EN: 0
; COMPUTE_PGM_RSRC2:USER_SGPR: 15
; COMPUTE_PGM_RSRC2:TRAP_HANDLER: 0
; COMPUTE_PGM_RSRC2:TGID_X_EN: 1
; COMPUTE_PGM_RSRC2:TGID_Y_EN: 0
; COMPUTE_PGM_RSRC2:TGID_Z_EN: 0
; COMPUTE_PGM_RSRC2:TIDIG_COMP_CNT: 0
	.section	.text._ZN7rocprim17ROCPRIM_400000_NS6detail17trampoline_kernelINS0_14default_configENS1_25partition_config_selectorILNS1_17partition_subalgoE8ElNS0_10empty_typeEbEEZZNS1_14partition_implILS5_8ELb0ES3_jPlPS6_PKS6_NS0_5tupleIJS9_S6_EEENSD_IJSA_SA_EEENS0_18inequality_wrapperIZN2at6native12_GLOBAL__N_124unique_dim_cuda_templateIlEESt5tupleIJNSH_6TensorESM_SM_EERKSM_lbbbEUlllE0_EEPmJS6_EEE10hipError_tPvRmT3_T4_T5_T6_T7_T9_mT8_P12ihipStream_tbDpT10_ENKUlT_T0_E_clISt17integral_constantIbLb0EES1C_EEDaS17_S18_EUlS17_E_NS1_11comp_targetILNS1_3genE2ELNS1_11target_archE906ELNS1_3gpuE6ELNS1_3repE0EEENS1_30default_config_static_selectorELNS0_4arch9wavefront6targetE0EEEvT1_,"axG",@progbits,_ZN7rocprim17ROCPRIM_400000_NS6detail17trampoline_kernelINS0_14default_configENS1_25partition_config_selectorILNS1_17partition_subalgoE8ElNS0_10empty_typeEbEEZZNS1_14partition_implILS5_8ELb0ES3_jPlPS6_PKS6_NS0_5tupleIJS9_S6_EEENSD_IJSA_SA_EEENS0_18inequality_wrapperIZN2at6native12_GLOBAL__N_124unique_dim_cuda_templateIlEESt5tupleIJNSH_6TensorESM_SM_EERKSM_lbbbEUlllE0_EEPmJS6_EEE10hipError_tPvRmT3_T4_T5_T6_T7_T9_mT8_P12ihipStream_tbDpT10_ENKUlT_T0_E_clISt17integral_constantIbLb0EES1C_EEDaS17_S18_EUlS17_E_NS1_11comp_targetILNS1_3genE2ELNS1_11target_archE906ELNS1_3gpuE6ELNS1_3repE0EEENS1_30default_config_static_selectorELNS0_4arch9wavefront6targetE0EEEvT1_,comdat
	.globl	_ZN7rocprim17ROCPRIM_400000_NS6detail17trampoline_kernelINS0_14default_configENS1_25partition_config_selectorILNS1_17partition_subalgoE8ElNS0_10empty_typeEbEEZZNS1_14partition_implILS5_8ELb0ES3_jPlPS6_PKS6_NS0_5tupleIJS9_S6_EEENSD_IJSA_SA_EEENS0_18inequality_wrapperIZN2at6native12_GLOBAL__N_124unique_dim_cuda_templateIlEESt5tupleIJNSH_6TensorESM_SM_EERKSM_lbbbEUlllE0_EEPmJS6_EEE10hipError_tPvRmT3_T4_T5_T6_T7_T9_mT8_P12ihipStream_tbDpT10_ENKUlT_T0_E_clISt17integral_constantIbLb0EES1C_EEDaS17_S18_EUlS17_E_NS1_11comp_targetILNS1_3genE2ELNS1_11target_archE906ELNS1_3gpuE6ELNS1_3repE0EEENS1_30default_config_static_selectorELNS0_4arch9wavefront6targetE0EEEvT1_ ; -- Begin function _ZN7rocprim17ROCPRIM_400000_NS6detail17trampoline_kernelINS0_14default_configENS1_25partition_config_selectorILNS1_17partition_subalgoE8ElNS0_10empty_typeEbEEZZNS1_14partition_implILS5_8ELb0ES3_jPlPS6_PKS6_NS0_5tupleIJS9_S6_EEENSD_IJSA_SA_EEENS0_18inequality_wrapperIZN2at6native12_GLOBAL__N_124unique_dim_cuda_templateIlEESt5tupleIJNSH_6TensorESM_SM_EERKSM_lbbbEUlllE0_EEPmJS6_EEE10hipError_tPvRmT3_T4_T5_T6_T7_T9_mT8_P12ihipStream_tbDpT10_ENKUlT_T0_E_clISt17integral_constantIbLb0EES1C_EEDaS17_S18_EUlS17_E_NS1_11comp_targetILNS1_3genE2ELNS1_11target_archE906ELNS1_3gpuE6ELNS1_3repE0EEENS1_30default_config_static_selectorELNS0_4arch9wavefront6targetE0EEEvT1_
	.p2align	8
	.type	_ZN7rocprim17ROCPRIM_400000_NS6detail17trampoline_kernelINS0_14default_configENS1_25partition_config_selectorILNS1_17partition_subalgoE8ElNS0_10empty_typeEbEEZZNS1_14partition_implILS5_8ELb0ES3_jPlPS6_PKS6_NS0_5tupleIJS9_S6_EEENSD_IJSA_SA_EEENS0_18inequality_wrapperIZN2at6native12_GLOBAL__N_124unique_dim_cuda_templateIlEESt5tupleIJNSH_6TensorESM_SM_EERKSM_lbbbEUlllE0_EEPmJS6_EEE10hipError_tPvRmT3_T4_T5_T6_T7_T9_mT8_P12ihipStream_tbDpT10_ENKUlT_T0_E_clISt17integral_constantIbLb0EES1C_EEDaS17_S18_EUlS17_E_NS1_11comp_targetILNS1_3genE2ELNS1_11target_archE906ELNS1_3gpuE6ELNS1_3repE0EEENS1_30default_config_static_selectorELNS0_4arch9wavefront6targetE0EEEvT1_,@function
_ZN7rocprim17ROCPRIM_400000_NS6detail17trampoline_kernelINS0_14default_configENS1_25partition_config_selectorILNS1_17partition_subalgoE8ElNS0_10empty_typeEbEEZZNS1_14partition_implILS5_8ELb0ES3_jPlPS6_PKS6_NS0_5tupleIJS9_S6_EEENSD_IJSA_SA_EEENS0_18inequality_wrapperIZN2at6native12_GLOBAL__N_124unique_dim_cuda_templateIlEESt5tupleIJNSH_6TensorESM_SM_EERKSM_lbbbEUlllE0_EEPmJS6_EEE10hipError_tPvRmT3_T4_T5_T6_T7_T9_mT8_P12ihipStream_tbDpT10_ENKUlT_T0_E_clISt17integral_constantIbLb0EES1C_EEDaS17_S18_EUlS17_E_NS1_11comp_targetILNS1_3genE2ELNS1_11target_archE906ELNS1_3gpuE6ELNS1_3repE0EEENS1_30default_config_static_selectorELNS0_4arch9wavefront6targetE0EEEvT1_: ; @_ZN7rocprim17ROCPRIM_400000_NS6detail17trampoline_kernelINS0_14default_configENS1_25partition_config_selectorILNS1_17partition_subalgoE8ElNS0_10empty_typeEbEEZZNS1_14partition_implILS5_8ELb0ES3_jPlPS6_PKS6_NS0_5tupleIJS9_S6_EEENSD_IJSA_SA_EEENS0_18inequality_wrapperIZN2at6native12_GLOBAL__N_124unique_dim_cuda_templateIlEESt5tupleIJNSH_6TensorESM_SM_EERKSM_lbbbEUlllE0_EEPmJS6_EEE10hipError_tPvRmT3_T4_T5_T6_T7_T9_mT8_P12ihipStream_tbDpT10_ENKUlT_T0_E_clISt17integral_constantIbLb0EES1C_EEDaS17_S18_EUlS17_E_NS1_11comp_targetILNS1_3genE2ELNS1_11target_archE906ELNS1_3gpuE6ELNS1_3repE0EEENS1_30default_config_static_selectorELNS0_4arch9wavefront6targetE0EEEvT1_
; %bb.0:
	.section	.rodata,"a",@progbits
	.p2align	6, 0x0
	.amdhsa_kernel _ZN7rocprim17ROCPRIM_400000_NS6detail17trampoline_kernelINS0_14default_configENS1_25partition_config_selectorILNS1_17partition_subalgoE8ElNS0_10empty_typeEbEEZZNS1_14partition_implILS5_8ELb0ES3_jPlPS6_PKS6_NS0_5tupleIJS9_S6_EEENSD_IJSA_SA_EEENS0_18inequality_wrapperIZN2at6native12_GLOBAL__N_124unique_dim_cuda_templateIlEESt5tupleIJNSH_6TensorESM_SM_EERKSM_lbbbEUlllE0_EEPmJS6_EEE10hipError_tPvRmT3_T4_T5_T6_T7_T9_mT8_P12ihipStream_tbDpT10_ENKUlT_T0_E_clISt17integral_constantIbLb0EES1C_EEDaS17_S18_EUlS17_E_NS1_11comp_targetILNS1_3genE2ELNS1_11target_archE906ELNS1_3gpuE6ELNS1_3repE0EEENS1_30default_config_static_selectorELNS0_4arch9wavefront6targetE0EEEvT1_
		.amdhsa_group_segment_fixed_size 0
		.amdhsa_private_segment_fixed_size 0
		.amdhsa_kernarg_size 120
		.amdhsa_user_sgpr_count 15
		.amdhsa_user_sgpr_dispatch_ptr 0
		.amdhsa_user_sgpr_queue_ptr 0
		.amdhsa_user_sgpr_kernarg_segment_ptr 1
		.amdhsa_user_sgpr_dispatch_id 0
		.amdhsa_user_sgpr_private_segment_size 0
		.amdhsa_wavefront_size32 1
		.amdhsa_uses_dynamic_stack 0
		.amdhsa_enable_private_segment 0
		.amdhsa_system_sgpr_workgroup_id_x 1
		.amdhsa_system_sgpr_workgroup_id_y 0
		.amdhsa_system_sgpr_workgroup_id_z 0
		.amdhsa_system_sgpr_workgroup_info 0
		.amdhsa_system_vgpr_workitem_id 0
		.amdhsa_next_free_vgpr 1
		.amdhsa_next_free_sgpr 1
		.amdhsa_reserve_vcc 0
		.amdhsa_float_round_mode_32 0
		.amdhsa_float_round_mode_16_64 0
		.amdhsa_float_denorm_mode_32 3
		.amdhsa_float_denorm_mode_16_64 3
		.amdhsa_dx10_clamp 1
		.amdhsa_ieee_mode 1
		.amdhsa_fp16_overflow 0
		.amdhsa_workgroup_processor_mode 1
		.amdhsa_memory_ordered 1
		.amdhsa_forward_progress 0
		.amdhsa_shared_vgpr_count 0
		.amdhsa_exception_fp_ieee_invalid_op 0
		.amdhsa_exception_fp_denorm_src 0
		.amdhsa_exception_fp_ieee_div_zero 0
		.amdhsa_exception_fp_ieee_overflow 0
		.amdhsa_exception_fp_ieee_underflow 0
		.amdhsa_exception_fp_ieee_inexact 0
		.amdhsa_exception_int_div_zero 0
	.end_amdhsa_kernel
	.section	.text._ZN7rocprim17ROCPRIM_400000_NS6detail17trampoline_kernelINS0_14default_configENS1_25partition_config_selectorILNS1_17partition_subalgoE8ElNS0_10empty_typeEbEEZZNS1_14partition_implILS5_8ELb0ES3_jPlPS6_PKS6_NS0_5tupleIJS9_S6_EEENSD_IJSA_SA_EEENS0_18inequality_wrapperIZN2at6native12_GLOBAL__N_124unique_dim_cuda_templateIlEESt5tupleIJNSH_6TensorESM_SM_EERKSM_lbbbEUlllE0_EEPmJS6_EEE10hipError_tPvRmT3_T4_T5_T6_T7_T9_mT8_P12ihipStream_tbDpT10_ENKUlT_T0_E_clISt17integral_constantIbLb0EES1C_EEDaS17_S18_EUlS17_E_NS1_11comp_targetILNS1_3genE2ELNS1_11target_archE906ELNS1_3gpuE6ELNS1_3repE0EEENS1_30default_config_static_selectorELNS0_4arch9wavefront6targetE0EEEvT1_,"axG",@progbits,_ZN7rocprim17ROCPRIM_400000_NS6detail17trampoline_kernelINS0_14default_configENS1_25partition_config_selectorILNS1_17partition_subalgoE8ElNS0_10empty_typeEbEEZZNS1_14partition_implILS5_8ELb0ES3_jPlPS6_PKS6_NS0_5tupleIJS9_S6_EEENSD_IJSA_SA_EEENS0_18inequality_wrapperIZN2at6native12_GLOBAL__N_124unique_dim_cuda_templateIlEESt5tupleIJNSH_6TensorESM_SM_EERKSM_lbbbEUlllE0_EEPmJS6_EEE10hipError_tPvRmT3_T4_T5_T6_T7_T9_mT8_P12ihipStream_tbDpT10_ENKUlT_T0_E_clISt17integral_constantIbLb0EES1C_EEDaS17_S18_EUlS17_E_NS1_11comp_targetILNS1_3genE2ELNS1_11target_archE906ELNS1_3gpuE6ELNS1_3repE0EEENS1_30default_config_static_selectorELNS0_4arch9wavefront6targetE0EEEvT1_,comdat
.Lfunc_end567:
	.size	_ZN7rocprim17ROCPRIM_400000_NS6detail17trampoline_kernelINS0_14default_configENS1_25partition_config_selectorILNS1_17partition_subalgoE8ElNS0_10empty_typeEbEEZZNS1_14partition_implILS5_8ELb0ES3_jPlPS6_PKS6_NS0_5tupleIJS9_S6_EEENSD_IJSA_SA_EEENS0_18inequality_wrapperIZN2at6native12_GLOBAL__N_124unique_dim_cuda_templateIlEESt5tupleIJNSH_6TensorESM_SM_EERKSM_lbbbEUlllE0_EEPmJS6_EEE10hipError_tPvRmT3_T4_T5_T6_T7_T9_mT8_P12ihipStream_tbDpT10_ENKUlT_T0_E_clISt17integral_constantIbLb0EES1C_EEDaS17_S18_EUlS17_E_NS1_11comp_targetILNS1_3genE2ELNS1_11target_archE906ELNS1_3gpuE6ELNS1_3repE0EEENS1_30default_config_static_selectorELNS0_4arch9wavefront6targetE0EEEvT1_, .Lfunc_end567-_ZN7rocprim17ROCPRIM_400000_NS6detail17trampoline_kernelINS0_14default_configENS1_25partition_config_selectorILNS1_17partition_subalgoE8ElNS0_10empty_typeEbEEZZNS1_14partition_implILS5_8ELb0ES3_jPlPS6_PKS6_NS0_5tupleIJS9_S6_EEENSD_IJSA_SA_EEENS0_18inequality_wrapperIZN2at6native12_GLOBAL__N_124unique_dim_cuda_templateIlEESt5tupleIJNSH_6TensorESM_SM_EERKSM_lbbbEUlllE0_EEPmJS6_EEE10hipError_tPvRmT3_T4_T5_T6_T7_T9_mT8_P12ihipStream_tbDpT10_ENKUlT_T0_E_clISt17integral_constantIbLb0EES1C_EEDaS17_S18_EUlS17_E_NS1_11comp_targetILNS1_3genE2ELNS1_11target_archE906ELNS1_3gpuE6ELNS1_3repE0EEENS1_30default_config_static_selectorELNS0_4arch9wavefront6targetE0EEEvT1_
                                        ; -- End function
	.section	.AMDGPU.csdata,"",@progbits
; Kernel info:
; codeLenInByte = 0
; NumSgprs: 0
; NumVgprs: 0
; ScratchSize: 0
; MemoryBound: 0
; FloatMode: 240
; IeeeMode: 1
; LDSByteSize: 0 bytes/workgroup (compile time only)
; SGPRBlocks: 0
; VGPRBlocks: 0
; NumSGPRsForWavesPerEU: 1
; NumVGPRsForWavesPerEU: 1
; Occupancy: 16
; WaveLimiterHint : 0
; COMPUTE_PGM_RSRC2:SCRATCH_EN: 0
; COMPUTE_PGM_RSRC2:USER_SGPR: 15
; COMPUTE_PGM_RSRC2:TRAP_HANDLER: 0
; COMPUTE_PGM_RSRC2:TGID_X_EN: 1
; COMPUTE_PGM_RSRC2:TGID_Y_EN: 0
; COMPUTE_PGM_RSRC2:TGID_Z_EN: 0
; COMPUTE_PGM_RSRC2:TIDIG_COMP_CNT: 0
	.section	.text._ZN7rocprim17ROCPRIM_400000_NS6detail17trampoline_kernelINS0_14default_configENS1_25partition_config_selectorILNS1_17partition_subalgoE8ElNS0_10empty_typeEbEEZZNS1_14partition_implILS5_8ELb0ES3_jPlPS6_PKS6_NS0_5tupleIJS9_S6_EEENSD_IJSA_SA_EEENS0_18inequality_wrapperIZN2at6native12_GLOBAL__N_124unique_dim_cuda_templateIlEESt5tupleIJNSH_6TensorESM_SM_EERKSM_lbbbEUlllE0_EEPmJS6_EEE10hipError_tPvRmT3_T4_T5_T6_T7_T9_mT8_P12ihipStream_tbDpT10_ENKUlT_T0_E_clISt17integral_constantIbLb0EES1C_EEDaS17_S18_EUlS17_E_NS1_11comp_targetILNS1_3genE10ELNS1_11target_archE1200ELNS1_3gpuE4ELNS1_3repE0EEENS1_30default_config_static_selectorELNS0_4arch9wavefront6targetE0EEEvT1_,"axG",@progbits,_ZN7rocprim17ROCPRIM_400000_NS6detail17trampoline_kernelINS0_14default_configENS1_25partition_config_selectorILNS1_17partition_subalgoE8ElNS0_10empty_typeEbEEZZNS1_14partition_implILS5_8ELb0ES3_jPlPS6_PKS6_NS0_5tupleIJS9_S6_EEENSD_IJSA_SA_EEENS0_18inequality_wrapperIZN2at6native12_GLOBAL__N_124unique_dim_cuda_templateIlEESt5tupleIJNSH_6TensorESM_SM_EERKSM_lbbbEUlllE0_EEPmJS6_EEE10hipError_tPvRmT3_T4_T5_T6_T7_T9_mT8_P12ihipStream_tbDpT10_ENKUlT_T0_E_clISt17integral_constantIbLb0EES1C_EEDaS17_S18_EUlS17_E_NS1_11comp_targetILNS1_3genE10ELNS1_11target_archE1200ELNS1_3gpuE4ELNS1_3repE0EEENS1_30default_config_static_selectorELNS0_4arch9wavefront6targetE0EEEvT1_,comdat
	.globl	_ZN7rocprim17ROCPRIM_400000_NS6detail17trampoline_kernelINS0_14default_configENS1_25partition_config_selectorILNS1_17partition_subalgoE8ElNS0_10empty_typeEbEEZZNS1_14partition_implILS5_8ELb0ES3_jPlPS6_PKS6_NS0_5tupleIJS9_S6_EEENSD_IJSA_SA_EEENS0_18inequality_wrapperIZN2at6native12_GLOBAL__N_124unique_dim_cuda_templateIlEESt5tupleIJNSH_6TensorESM_SM_EERKSM_lbbbEUlllE0_EEPmJS6_EEE10hipError_tPvRmT3_T4_T5_T6_T7_T9_mT8_P12ihipStream_tbDpT10_ENKUlT_T0_E_clISt17integral_constantIbLb0EES1C_EEDaS17_S18_EUlS17_E_NS1_11comp_targetILNS1_3genE10ELNS1_11target_archE1200ELNS1_3gpuE4ELNS1_3repE0EEENS1_30default_config_static_selectorELNS0_4arch9wavefront6targetE0EEEvT1_ ; -- Begin function _ZN7rocprim17ROCPRIM_400000_NS6detail17trampoline_kernelINS0_14default_configENS1_25partition_config_selectorILNS1_17partition_subalgoE8ElNS0_10empty_typeEbEEZZNS1_14partition_implILS5_8ELb0ES3_jPlPS6_PKS6_NS0_5tupleIJS9_S6_EEENSD_IJSA_SA_EEENS0_18inequality_wrapperIZN2at6native12_GLOBAL__N_124unique_dim_cuda_templateIlEESt5tupleIJNSH_6TensorESM_SM_EERKSM_lbbbEUlllE0_EEPmJS6_EEE10hipError_tPvRmT3_T4_T5_T6_T7_T9_mT8_P12ihipStream_tbDpT10_ENKUlT_T0_E_clISt17integral_constantIbLb0EES1C_EEDaS17_S18_EUlS17_E_NS1_11comp_targetILNS1_3genE10ELNS1_11target_archE1200ELNS1_3gpuE4ELNS1_3repE0EEENS1_30default_config_static_selectorELNS0_4arch9wavefront6targetE0EEEvT1_
	.p2align	8
	.type	_ZN7rocprim17ROCPRIM_400000_NS6detail17trampoline_kernelINS0_14default_configENS1_25partition_config_selectorILNS1_17partition_subalgoE8ElNS0_10empty_typeEbEEZZNS1_14partition_implILS5_8ELb0ES3_jPlPS6_PKS6_NS0_5tupleIJS9_S6_EEENSD_IJSA_SA_EEENS0_18inequality_wrapperIZN2at6native12_GLOBAL__N_124unique_dim_cuda_templateIlEESt5tupleIJNSH_6TensorESM_SM_EERKSM_lbbbEUlllE0_EEPmJS6_EEE10hipError_tPvRmT3_T4_T5_T6_T7_T9_mT8_P12ihipStream_tbDpT10_ENKUlT_T0_E_clISt17integral_constantIbLb0EES1C_EEDaS17_S18_EUlS17_E_NS1_11comp_targetILNS1_3genE10ELNS1_11target_archE1200ELNS1_3gpuE4ELNS1_3repE0EEENS1_30default_config_static_selectorELNS0_4arch9wavefront6targetE0EEEvT1_,@function
_ZN7rocprim17ROCPRIM_400000_NS6detail17trampoline_kernelINS0_14default_configENS1_25partition_config_selectorILNS1_17partition_subalgoE8ElNS0_10empty_typeEbEEZZNS1_14partition_implILS5_8ELb0ES3_jPlPS6_PKS6_NS0_5tupleIJS9_S6_EEENSD_IJSA_SA_EEENS0_18inequality_wrapperIZN2at6native12_GLOBAL__N_124unique_dim_cuda_templateIlEESt5tupleIJNSH_6TensorESM_SM_EERKSM_lbbbEUlllE0_EEPmJS6_EEE10hipError_tPvRmT3_T4_T5_T6_T7_T9_mT8_P12ihipStream_tbDpT10_ENKUlT_T0_E_clISt17integral_constantIbLb0EES1C_EEDaS17_S18_EUlS17_E_NS1_11comp_targetILNS1_3genE10ELNS1_11target_archE1200ELNS1_3gpuE4ELNS1_3repE0EEENS1_30default_config_static_selectorELNS0_4arch9wavefront6targetE0EEEvT1_: ; @_ZN7rocprim17ROCPRIM_400000_NS6detail17trampoline_kernelINS0_14default_configENS1_25partition_config_selectorILNS1_17partition_subalgoE8ElNS0_10empty_typeEbEEZZNS1_14partition_implILS5_8ELb0ES3_jPlPS6_PKS6_NS0_5tupleIJS9_S6_EEENSD_IJSA_SA_EEENS0_18inequality_wrapperIZN2at6native12_GLOBAL__N_124unique_dim_cuda_templateIlEESt5tupleIJNSH_6TensorESM_SM_EERKSM_lbbbEUlllE0_EEPmJS6_EEE10hipError_tPvRmT3_T4_T5_T6_T7_T9_mT8_P12ihipStream_tbDpT10_ENKUlT_T0_E_clISt17integral_constantIbLb0EES1C_EEDaS17_S18_EUlS17_E_NS1_11comp_targetILNS1_3genE10ELNS1_11target_archE1200ELNS1_3gpuE4ELNS1_3repE0EEENS1_30default_config_static_selectorELNS0_4arch9wavefront6targetE0EEEvT1_
; %bb.0:
	.section	.rodata,"a",@progbits
	.p2align	6, 0x0
	.amdhsa_kernel _ZN7rocprim17ROCPRIM_400000_NS6detail17trampoline_kernelINS0_14default_configENS1_25partition_config_selectorILNS1_17partition_subalgoE8ElNS0_10empty_typeEbEEZZNS1_14partition_implILS5_8ELb0ES3_jPlPS6_PKS6_NS0_5tupleIJS9_S6_EEENSD_IJSA_SA_EEENS0_18inequality_wrapperIZN2at6native12_GLOBAL__N_124unique_dim_cuda_templateIlEESt5tupleIJNSH_6TensorESM_SM_EERKSM_lbbbEUlllE0_EEPmJS6_EEE10hipError_tPvRmT3_T4_T5_T6_T7_T9_mT8_P12ihipStream_tbDpT10_ENKUlT_T0_E_clISt17integral_constantIbLb0EES1C_EEDaS17_S18_EUlS17_E_NS1_11comp_targetILNS1_3genE10ELNS1_11target_archE1200ELNS1_3gpuE4ELNS1_3repE0EEENS1_30default_config_static_selectorELNS0_4arch9wavefront6targetE0EEEvT1_
		.amdhsa_group_segment_fixed_size 0
		.amdhsa_private_segment_fixed_size 0
		.amdhsa_kernarg_size 120
		.amdhsa_user_sgpr_count 15
		.amdhsa_user_sgpr_dispatch_ptr 0
		.amdhsa_user_sgpr_queue_ptr 0
		.amdhsa_user_sgpr_kernarg_segment_ptr 1
		.amdhsa_user_sgpr_dispatch_id 0
		.amdhsa_user_sgpr_private_segment_size 0
		.amdhsa_wavefront_size32 1
		.amdhsa_uses_dynamic_stack 0
		.amdhsa_enable_private_segment 0
		.amdhsa_system_sgpr_workgroup_id_x 1
		.amdhsa_system_sgpr_workgroup_id_y 0
		.amdhsa_system_sgpr_workgroup_id_z 0
		.amdhsa_system_sgpr_workgroup_info 0
		.amdhsa_system_vgpr_workitem_id 0
		.amdhsa_next_free_vgpr 1
		.amdhsa_next_free_sgpr 1
		.amdhsa_reserve_vcc 0
		.amdhsa_float_round_mode_32 0
		.amdhsa_float_round_mode_16_64 0
		.amdhsa_float_denorm_mode_32 3
		.amdhsa_float_denorm_mode_16_64 3
		.amdhsa_dx10_clamp 1
		.amdhsa_ieee_mode 1
		.amdhsa_fp16_overflow 0
		.amdhsa_workgroup_processor_mode 1
		.amdhsa_memory_ordered 1
		.amdhsa_forward_progress 0
		.amdhsa_shared_vgpr_count 0
		.amdhsa_exception_fp_ieee_invalid_op 0
		.amdhsa_exception_fp_denorm_src 0
		.amdhsa_exception_fp_ieee_div_zero 0
		.amdhsa_exception_fp_ieee_overflow 0
		.amdhsa_exception_fp_ieee_underflow 0
		.amdhsa_exception_fp_ieee_inexact 0
		.amdhsa_exception_int_div_zero 0
	.end_amdhsa_kernel
	.section	.text._ZN7rocprim17ROCPRIM_400000_NS6detail17trampoline_kernelINS0_14default_configENS1_25partition_config_selectorILNS1_17partition_subalgoE8ElNS0_10empty_typeEbEEZZNS1_14partition_implILS5_8ELb0ES3_jPlPS6_PKS6_NS0_5tupleIJS9_S6_EEENSD_IJSA_SA_EEENS0_18inequality_wrapperIZN2at6native12_GLOBAL__N_124unique_dim_cuda_templateIlEESt5tupleIJNSH_6TensorESM_SM_EERKSM_lbbbEUlllE0_EEPmJS6_EEE10hipError_tPvRmT3_T4_T5_T6_T7_T9_mT8_P12ihipStream_tbDpT10_ENKUlT_T0_E_clISt17integral_constantIbLb0EES1C_EEDaS17_S18_EUlS17_E_NS1_11comp_targetILNS1_3genE10ELNS1_11target_archE1200ELNS1_3gpuE4ELNS1_3repE0EEENS1_30default_config_static_selectorELNS0_4arch9wavefront6targetE0EEEvT1_,"axG",@progbits,_ZN7rocprim17ROCPRIM_400000_NS6detail17trampoline_kernelINS0_14default_configENS1_25partition_config_selectorILNS1_17partition_subalgoE8ElNS0_10empty_typeEbEEZZNS1_14partition_implILS5_8ELb0ES3_jPlPS6_PKS6_NS0_5tupleIJS9_S6_EEENSD_IJSA_SA_EEENS0_18inequality_wrapperIZN2at6native12_GLOBAL__N_124unique_dim_cuda_templateIlEESt5tupleIJNSH_6TensorESM_SM_EERKSM_lbbbEUlllE0_EEPmJS6_EEE10hipError_tPvRmT3_T4_T5_T6_T7_T9_mT8_P12ihipStream_tbDpT10_ENKUlT_T0_E_clISt17integral_constantIbLb0EES1C_EEDaS17_S18_EUlS17_E_NS1_11comp_targetILNS1_3genE10ELNS1_11target_archE1200ELNS1_3gpuE4ELNS1_3repE0EEENS1_30default_config_static_selectorELNS0_4arch9wavefront6targetE0EEEvT1_,comdat
.Lfunc_end568:
	.size	_ZN7rocprim17ROCPRIM_400000_NS6detail17trampoline_kernelINS0_14default_configENS1_25partition_config_selectorILNS1_17partition_subalgoE8ElNS0_10empty_typeEbEEZZNS1_14partition_implILS5_8ELb0ES3_jPlPS6_PKS6_NS0_5tupleIJS9_S6_EEENSD_IJSA_SA_EEENS0_18inequality_wrapperIZN2at6native12_GLOBAL__N_124unique_dim_cuda_templateIlEESt5tupleIJNSH_6TensorESM_SM_EERKSM_lbbbEUlllE0_EEPmJS6_EEE10hipError_tPvRmT3_T4_T5_T6_T7_T9_mT8_P12ihipStream_tbDpT10_ENKUlT_T0_E_clISt17integral_constantIbLb0EES1C_EEDaS17_S18_EUlS17_E_NS1_11comp_targetILNS1_3genE10ELNS1_11target_archE1200ELNS1_3gpuE4ELNS1_3repE0EEENS1_30default_config_static_selectorELNS0_4arch9wavefront6targetE0EEEvT1_, .Lfunc_end568-_ZN7rocprim17ROCPRIM_400000_NS6detail17trampoline_kernelINS0_14default_configENS1_25partition_config_selectorILNS1_17partition_subalgoE8ElNS0_10empty_typeEbEEZZNS1_14partition_implILS5_8ELb0ES3_jPlPS6_PKS6_NS0_5tupleIJS9_S6_EEENSD_IJSA_SA_EEENS0_18inequality_wrapperIZN2at6native12_GLOBAL__N_124unique_dim_cuda_templateIlEESt5tupleIJNSH_6TensorESM_SM_EERKSM_lbbbEUlllE0_EEPmJS6_EEE10hipError_tPvRmT3_T4_T5_T6_T7_T9_mT8_P12ihipStream_tbDpT10_ENKUlT_T0_E_clISt17integral_constantIbLb0EES1C_EEDaS17_S18_EUlS17_E_NS1_11comp_targetILNS1_3genE10ELNS1_11target_archE1200ELNS1_3gpuE4ELNS1_3repE0EEENS1_30default_config_static_selectorELNS0_4arch9wavefront6targetE0EEEvT1_
                                        ; -- End function
	.section	.AMDGPU.csdata,"",@progbits
; Kernel info:
; codeLenInByte = 0
; NumSgprs: 0
; NumVgprs: 0
; ScratchSize: 0
; MemoryBound: 0
; FloatMode: 240
; IeeeMode: 1
; LDSByteSize: 0 bytes/workgroup (compile time only)
; SGPRBlocks: 0
; VGPRBlocks: 0
; NumSGPRsForWavesPerEU: 1
; NumVGPRsForWavesPerEU: 1
; Occupancy: 15
; WaveLimiterHint : 0
; COMPUTE_PGM_RSRC2:SCRATCH_EN: 0
; COMPUTE_PGM_RSRC2:USER_SGPR: 15
; COMPUTE_PGM_RSRC2:TRAP_HANDLER: 0
; COMPUTE_PGM_RSRC2:TGID_X_EN: 1
; COMPUTE_PGM_RSRC2:TGID_Y_EN: 0
; COMPUTE_PGM_RSRC2:TGID_Z_EN: 0
; COMPUTE_PGM_RSRC2:TIDIG_COMP_CNT: 0
	.section	.text._ZN7rocprim17ROCPRIM_400000_NS6detail17trampoline_kernelINS0_14default_configENS1_25partition_config_selectorILNS1_17partition_subalgoE8ElNS0_10empty_typeEbEEZZNS1_14partition_implILS5_8ELb0ES3_jPlPS6_PKS6_NS0_5tupleIJS9_S6_EEENSD_IJSA_SA_EEENS0_18inequality_wrapperIZN2at6native12_GLOBAL__N_124unique_dim_cuda_templateIlEESt5tupleIJNSH_6TensorESM_SM_EERKSM_lbbbEUlllE0_EEPmJS6_EEE10hipError_tPvRmT3_T4_T5_T6_T7_T9_mT8_P12ihipStream_tbDpT10_ENKUlT_T0_E_clISt17integral_constantIbLb0EES1C_EEDaS17_S18_EUlS17_E_NS1_11comp_targetILNS1_3genE9ELNS1_11target_archE1100ELNS1_3gpuE3ELNS1_3repE0EEENS1_30default_config_static_selectorELNS0_4arch9wavefront6targetE0EEEvT1_,"axG",@progbits,_ZN7rocprim17ROCPRIM_400000_NS6detail17trampoline_kernelINS0_14default_configENS1_25partition_config_selectorILNS1_17partition_subalgoE8ElNS0_10empty_typeEbEEZZNS1_14partition_implILS5_8ELb0ES3_jPlPS6_PKS6_NS0_5tupleIJS9_S6_EEENSD_IJSA_SA_EEENS0_18inequality_wrapperIZN2at6native12_GLOBAL__N_124unique_dim_cuda_templateIlEESt5tupleIJNSH_6TensorESM_SM_EERKSM_lbbbEUlllE0_EEPmJS6_EEE10hipError_tPvRmT3_T4_T5_T6_T7_T9_mT8_P12ihipStream_tbDpT10_ENKUlT_T0_E_clISt17integral_constantIbLb0EES1C_EEDaS17_S18_EUlS17_E_NS1_11comp_targetILNS1_3genE9ELNS1_11target_archE1100ELNS1_3gpuE3ELNS1_3repE0EEENS1_30default_config_static_selectorELNS0_4arch9wavefront6targetE0EEEvT1_,comdat
	.globl	_ZN7rocprim17ROCPRIM_400000_NS6detail17trampoline_kernelINS0_14default_configENS1_25partition_config_selectorILNS1_17partition_subalgoE8ElNS0_10empty_typeEbEEZZNS1_14partition_implILS5_8ELb0ES3_jPlPS6_PKS6_NS0_5tupleIJS9_S6_EEENSD_IJSA_SA_EEENS0_18inequality_wrapperIZN2at6native12_GLOBAL__N_124unique_dim_cuda_templateIlEESt5tupleIJNSH_6TensorESM_SM_EERKSM_lbbbEUlllE0_EEPmJS6_EEE10hipError_tPvRmT3_T4_T5_T6_T7_T9_mT8_P12ihipStream_tbDpT10_ENKUlT_T0_E_clISt17integral_constantIbLb0EES1C_EEDaS17_S18_EUlS17_E_NS1_11comp_targetILNS1_3genE9ELNS1_11target_archE1100ELNS1_3gpuE3ELNS1_3repE0EEENS1_30default_config_static_selectorELNS0_4arch9wavefront6targetE0EEEvT1_ ; -- Begin function _ZN7rocprim17ROCPRIM_400000_NS6detail17trampoline_kernelINS0_14default_configENS1_25partition_config_selectorILNS1_17partition_subalgoE8ElNS0_10empty_typeEbEEZZNS1_14partition_implILS5_8ELb0ES3_jPlPS6_PKS6_NS0_5tupleIJS9_S6_EEENSD_IJSA_SA_EEENS0_18inequality_wrapperIZN2at6native12_GLOBAL__N_124unique_dim_cuda_templateIlEESt5tupleIJNSH_6TensorESM_SM_EERKSM_lbbbEUlllE0_EEPmJS6_EEE10hipError_tPvRmT3_T4_T5_T6_T7_T9_mT8_P12ihipStream_tbDpT10_ENKUlT_T0_E_clISt17integral_constantIbLb0EES1C_EEDaS17_S18_EUlS17_E_NS1_11comp_targetILNS1_3genE9ELNS1_11target_archE1100ELNS1_3gpuE3ELNS1_3repE0EEENS1_30default_config_static_selectorELNS0_4arch9wavefront6targetE0EEEvT1_
	.p2align	8
	.type	_ZN7rocprim17ROCPRIM_400000_NS6detail17trampoline_kernelINS0_14default_configENS1_25partition_config_selectorILNS1_17partition_subalgoE8ElNS0_10empty_typeEbEEZZNS1_14partition_implILS5_8ELb0ES3_jPlPS6_PKS6_NS0_5tupleIJS9_S6_EEENSD_IJSA_SA_EEENS0_18inequality_wrapperIZN2at6native12_GLOBAL__N_124unique_dim_cuda_templateIlEESt5tupleIJNSH_6TensorESM_SM_EERKSM_lbbbEUlllE0_EEPmJS6_EEE10hipError_tPvRmT3_T4_T5_T6_T7_T9_mT8_P12ihipStream_tbDpT10_ENKUlT_T0_E_clISt17integral_constantIbLb0EES1C_EEDaS17_S18_EUlS17_E_NS1_11comp_targetILNS1_3genE9ELNS1_11target_archE1100ELNS1_3gpuE3ELNS1_3repE0EEENS1_30default_config_static_selectorELNS0_4arch9wavefront6targetE0EEEvT1_,@function
_ZN7rocprim17ROCPRIM_400000_NS6detail17trampoline_kernelINS0_14default_configENS1_25partition_config_selectorILNS1_17partition_subalgoE8ElNS0_10empty_typeEbEEZZNS1_14partition_implILS5_8ELb0ES3_jPlPS6_PKS6_NS0_5tupleIJS9_S6_EEENSD_IJSA_SA_EEENS0_18inequality_wrapperIZN2at6native12_GLOBAL__N_124unique_dim_cuda_templateIlEESt5tupleIJNSH_6TensorESM_SM_EERKSM_lbbbEUlllE0_EEPmJS6_EEE10hipError_tPvRmT3_T4_T5_T6_T7_T9_mT8_P12ihipStream_tbDpT10_ENKUlT_T0_E_clISt17integral_constantIbLb0EES1C_EEDaS17_S18_EUlS17_E_NS1_11comp_targetILNS1_3genE9ELNS1_11target_archE1100ELNS1_3gpuE3ELNS1_3repE0EEENS1_30default_config_static_selectorELNS0_4arch9wavefront6targetE0EEEvT1_: ; @_ZN7rocprim17ROCPRIM_400000_NS6detail17trampoline_kernelINS0_14default_configENS1_25partition_config_selectorILNS1_17partition_subalgoE8ElNS0_10empty_typeEbEEZZNS1_14partition_implILS5_8ELb0ES3_jPlPS6_PKS6_NS0_5tupleIJS9_S6_EEENSD_IJSA_SA_EEENS0_18inequality_wrapperIZN2at6native12_GLOBAL__N_124unique_dim_cuda_templateIlEESt5tupleIJNSH_6TensorESM_SM_EERKSM_lbbbEUlllE0_EEPmJS6_EEE10hipError_tPvRmT3_T4_T5_T6_T7_T9_mT8_P12ihipStream_tbDpT10_ENKUlT_T0_E_clISt17integral_constantIbLb0EES1C_EEDaS17_S18_EUlS17_E_NS1_11comp_targetILNS1_3genE9ELNS1_11target_archE1100ELNS1_3gpuE3ELNS1_3repE0EEENS1_30default_config_static_selectorELNS0_4arch9wavefront6targetE0EEEvT1_
; %bb.0:
	s_clause 0x3
	s_load_b128 s[4:7], s[0:1], 0x8
	s_load_b256 s[16:23], s[0:1], 0x40
	s_load_b32 s14, s[0:1], 0x70
	s_load_b128 s[8:11], s[0:1], 0x60
	s_mov_b32 s3, 0
	v_lshlrev_b32_e32 v39, 3, v0
	v_lshrrev_b32_e32 v17, 2, v0
	v_or_b32_e32 v24, 0x200, v0
	v_or_b32_e32 v22, 0x400, v0
	;; [unrolled: 1-line block ×7, first 2 shown]
	s_waitcnt lgkmcnt(0)
	s_lshl_b64 s[24:25], s[6:7], 3
	s_load_b64 s[12:13], s[18:19], 0x0
	s_add_u32 s26, s4, s24
	s_addc_u32 s5, s5, s25
	s_add_i32 s24, s14, -1
	s_lshl_b32 s14, s14, 12
	s_lshl_b32 s4, s24, 12
	;; [unrolled: 1-line block ×3, first 2 shown]
	s_add_i32 s4, s6, s4
	s_add_u32 s18, s6, s14
	s_addc_u32 s19, s7, 0
	s_cmp_eq_u32 s15, s24
	v_cmp_ge_u64_e64 s18, s[18:19], s[20:21]
	s_cselect_b32 s14, -1, 0
	s_lshl_b64 s[2:3], s[2:3], 3
	s_delay_alu instid0(VALU_DEP_1) | instskip(NEXT) | instid1(SALU_CYCLE_1)
	s_and_b32 s24, s14, s18
	s_xor_b32 s21, s24, -1
	s_add_u32 s2, s26, s2
	s_addc_u32 s3, s5, s3
	s_and_b32 vcc_lo, exec_lo, s21
	s_mov_b32 s5, -1
	s_cbranch_vccz .LBB569_2
; %bb.1:
	v_add_co_u32 v9, s5, s2, v39
	s_delay_alu instid0(VALU_DEP_1)
	v_add_co_ci_u32_e64 v10, null, s3, 0, s5
	global_load_b64 v[1:2], v39, s[2:3]
	v_add_co_u32 v3, vcc_lo, v9, 0x2000
	v_add_co_ci_u32_e32 v4, vcc_lo, 0, v10, vcc_lo
	v_add_co_u32 v5, vcc_lo, v9, 0x4000
	v_add_co_ci_u32_e32 v6, vcc_lo, 0, v10, vcc_lo
	;; [unrolled: 2-line block ×4, first 2 shown]
	s_clause 0x6
	global_load_b64 v[11:12], v[3:4], off offset:-4096
	global_load_b64 v[3:4], v[3:4], off
	global_load_b64 v[13:14], v[5:6], off offset:-4096
	global_load_b64 v[5:6], v[5:6], off
	;; [unrolled: 2-line block ×3, first 2 shown]
	global_load_b64 v[9:10], v[9:10], off
	v_lshrrev_b32_e32 v26, 2, v24
	v_lshrrev_b32_e32 v27, 2, v22
	;; [unrolled: 1-line block ×4, first 2 shown]
	v_and_b32_e32 v25, 0x78, v17
	v_lshrrev_b32_e32 v30, 2, v20
	v_lshrrev_b32_e32 v31, 2, v19
	v_lshrrev_b32_e32 v32, 2, v18
	v_and_b32_e32 v26, 0xf8, v26
	v_and_b32_e32 v27, 0x178, v27
	;; [unrolled: 1-line block ×4, first 2 shown]
	v_add_nc_u32_e32 v25, v25, v39
	v_and_b32_e32 v30, 0x2f8, v30
	v_and_b32_e32 v31, 0x378, v31
	;; [unrolled: 1-line block ×3, first 2 shown]
	v_add_nc_u32_e32 v26, v26, v39
	v_add_nc_u32_e32 v27, v27, v39
	;; [unrolled: 1-line block ×4, first 2 shown]
	s_mov_b32 s5, 0
	v_add_nc_u32_e32 v30, v30, v39
	v_add_nc_u32_e32 v31, v31, v39
	;; [unrolled: 1-line block ×3, first 2 shown]
	s_waitcnt vmcnt(7)
	ds_store_b64 v25, v[1:2]
	s_waitcnt vmcnt(6)
	ds_store_b64 v26, v[11:12] offset:4096
	s_waitcnt vmcnt(5)
	ds_store_b64 v27, v[3:4] offset:8192
	;; [unrolled: 2-line block ×7, first 2 shown]
	s_waitcnt lgkmcnt(0)
	s_barrier
.LBB569_2:
	s_and_not1_b32 vcc_lo, exec_lo, s5
	s_sub_i32 s20, s20, s4
	s_cbranch_vccnz .LBB569_13
; %bb.3:
	s_mov_b32 s4, exec_lo
                                        ; implicit-def: $vgpr1_vgpr2_vgpr3_vgpr4_vgpr5_vgpr6_vgpr7_vgpr8_vgpr9_vgpr10_vgpr11_vgpr12_vgpr13_vgpr14_vgpr15_vgpr16
	v_cmpx_gt_u32_e64 s20, v0
	s_cbranch_execnz .LBB569_23
; %bb.4:
	s_or_b32 exec_lo, exec_lo, s4
	s_delay_alu instid0(SALU_CYCLE_1)
	s_mov_b32 s4, exec_lo
	v_cmpx_gt_u32_e64 s20, v24
	s_cbranch_execnz .LBB569_24
.LBB569_5:
	s_or_b32 exec_lo, exec_lo, s4
	s_delay_alu instid0(SALU_CYCLE_1)
	s_mov_b32 s4, exec_lo
	v_cmpx_gt_u32_e64 s20, v22
	s_cbranch_execnz .LBB569_25
.LBB569_6:
	s_or_b32 exec_lo, exec_lo, s4
	s_delay_alu instid0(SALU_CYCLE_1)
	s_mov_b32 s4, exec_lo
	v_cmpx_gt_u32_e64 s20, v23
	s_cbranch_execnz .LBB569_26
.LBB569_7:
	s_or_b32 exec_lo, exec_lo, s4
	s_delay_alu instid0(SALU_CYCLE_1)
	s_mov_b32 s4, exec_lo
	v_cmpx_gt_u32_e64 s20, v21
	s_cbranch_execnz .LBB569_27
.LBB569_8:
	s_or_b32 exec_lo, exec_lo, s4
	s_delay_alu instid0(SALU_CYCLE_1)
	s_mov_b32 s4, exec_lo
	v_cmpx_gt_u32_e64 s20, v20
	s_cbranch_execnz .LBB569_28
.LBB569_9:
	s_or_b32 exec_lo, exec_lo, s4
	s_delay_alu instid0(SALU_CYCLE_1)
	s_mov_b32 s4, exec_lo
	v_cmpx_gt_u32_e64 s20, v19
	s_cbranch_execnz .LBB569_29
.LBB569_10:
	s_or_b32 exec_lo, exec_lo, s4
	s_delay_alu instid0(SALU_CYCLE_1)
	s_mov_b32 s4, exec_lo
	v_cmpx_gt_u32_e64 s20, v18
	s_cbranch_execz .LBB569_12
.LBB569_11:
	v_lshlrev_b32_e32 v15, 3, v18
	global_load_b64 v[15:16], v15, s[2:3]
.LBB569_12:
	s_or_b32 exec_lo, exec_lo, s4
	v_lshrrev_b32_e32 v24, 2, v24
	v_lshrrev_b32_e32 v22, 2, v22
	;; [unrolled: 1-line block ×4, first 2 shown]
	v_and_b32_e32 v25, 0x78, v17
	v_lshrrev_b32_e32 v20, 2, v20
	v_lshrrev_b32_e32 v19, 2, v19
	;; [unrolled: 1-line block ×3, first 2 shown]
	v_and_b32_e32 v24, 0xf8, v24
	v_and_b32_e32 v22, 0x1f8, v22
	;; [unrolled: 1-line block ×4, first 2 shown]
	v_add_nc_u32_e32 v25, v25, v39
	v_and_b32_e32 v20, 0x3f8, v20
	v_and_b32_e32 v19, 0x3f8, v19
	v_and_b32_e32 v18, 0x3f8, v18
	v_add_nc_u32_e32 v24, v24, v39
	v_add_nc_u32_e32 v22, v22, v39
	;; [unrolled: 1-line block ×7, first 2 shown]
	s_waitcnt vmcnt(0)
	ds_store_b64 v25, v[1:2]
	ds_store_b64 v24, v[3:4] offset:4096
	ds_store_b64 v22, v[5:6] offset:8192
	;; [unrolled: 1-line block ×7, first 2 shown]
	s_waitcnt lgkmcnt(0)
	s_barrier
.LBB569_13:
	v_add_lshl_u32 v1, v17, v39, 3
	s_waitcnt lgkmcnt(0)
	buffer_gl0_inv
	s_cmp_lg_u32 s15, 0
	v_cmp_gt_i64_e64 s26, s[22:23], 0
	s_cselect_b32 s25, -1, 0
	ds_load_2addr_b64 v[13:16], v1 offset1:1
	ds_load_2addr_b64 v[9:12], v1 offset0:2 offset1:3
	ds_load_2addr_b64 v[5:8], v1 offset0:4 offset1:5
	;; [unrolled: 1-line block ×3, first 2 shown]
	s_cmp_lg_u64 s[6:7], 0
	s_mov_b32 s18, 0
	s_cselect_b32 s4, -1, 0
	s_waitcnt lgkmcnt(0)
	s_or_b32 s4, s25, s4
	s_barrier
	s_and_b32 vcc_lo, exec_lo, s4
	buffer_gl0_inv
	s_cbranch_vccz .LBB569_22
; %bb.14:
	s_add_u32 s2, s2, -8
	s_addc_u32 s3, s3, -1
	v_cndmask_b32_e64 v25, 0, 1, s26
	s_load_b64 s[4:5], s[2:3], 0x0
	s_and_b32 vcc_lo, exec_lo, s21
	ds_store_b64 v39, v[3:4]
	v_cmp_ne_u32_e64 s2, 1, v25
	s_cbranch_vccz .LBB569_30
; %bb.15:
	v_mul_lo_u32 v19, v2, s22
	v_mul_lo_u32 v20, v1, s23
	v_mad_u64_u32 v[17:18], null, v1, s22, 0
	s_mov_b32 s3, 0
	s_and_b32 vcc_lo, exec_lo, s2
	s_mov_b32 s27, 0
	s_delay_alu instid0(VALU_DEP_1) | instskip(NEXT) | instid1(VALU_DEP_1)
	v_add3_u32 v18, v18, v20, v19
	v_lshlrev_b64 v[17:18], 3, v[17:18]
	s_cbranch_vccnz .LBB569_33
; %bb.16:
	v_mul_lo_u32 v21, v4, s22
	v_mul_lo_u32 v22, v3, s23
	v_mad_u64_u32 v[19:20], null, v3, s22, 0
	s_mov_b32 s27, -1
	s_mov_b32 s28, exec_lo
	s_delay_alu instid0(VALU_DEP_1) | instskip(SKIP_2) | instid1(VALU_DEP_3)
	v_add3_u32 v20, v20, v22, v21
	v_add_co_u32 v21, vcc_lo, s8, v17
	v_add_co_ci_u32_e32 v22, vcc_lo, s9, v18, vcc_lo
	v_lshlrev_b64 v[19:20], 3, v[19:20]
	s_delay_alu instid0(VALU_DEP_1) | instskip(NEXT) | instid1(VALU_DEP_2)
	v_add_co_u32 v19, vcc_lo, s8, v19
	v_add_co_ci_u32_e32 v20, vcc_lo, s9, v20, vcc_lo
	s_clause 0x1
	global_load_b64 v[23:24], v[21:22], off
	global_load_b64 v[26:27], v[19:20], off
	s_waitcnt vmcnt(0)
	v_cmpx_eq_u64_e64 v[23:24], v[26:27]
	s_cbranch_execz .LBB569_32
; %bb.17:
	v_add_co_u32 v19, vcc_lo, v19, 8
	v_add_co_ci_u32_e32 v20, vcc_lo, 0, v20, vcc_lo
	v_add_co_u32 v21, vcc_lo, v21, 8
	v_add_co_ci_u32_e32 v22, vcc_lo, 0, v22, vcc_lo
	s_add_u32 s6, s22, -1
	s_addc_u32 s7, s23, -1
	s_mov_b64 s[18:19], 0
	s_mov_b32 s27, 0
                                        ; implicit-def: $sgpr29
	s_set_inst_prefetch_distance 0x1
	s_branch .LBB569_20
	.p2align	6
.LBB569_18:                             ;   in Loop: Header=BB569_20 Depth=1
	global_load_b64 v[23:24], v[21:22], off
	global_load_b64 v[26:27], v[19:20], off
	v_add_co_u32 v19, vcc_lo, v19, 8
	v_add_co_ci_u32_e32 v20, vcc_lo, 0, v20, vcc_lo
	v_add_co_u32 v21, s2, v21, 8
	s_delay_alu instid0(VALU_DEP_1)
	v_add_co_ci_u32_e64 v22, s2, 0, v22, s2
	s_add_u32 s18, s18, 1
	s_addc_u32 s19, s19, 0
	s_and_not1_b32 s2, s29, exec_lo
	s_waitcnt vmcnt(0)
	v_cmp_ne_u64_e32 vcc_lo, v[23:24], v[26:27]
	s_and_b32 s29, vcc_lo, exec_lo
	s_delay_alu instid0(SALU_CYCLE_1)
	s_or_b32 s29, s2, s29
.LBB569_19:                             ;   in Loop: Header=BB569_20 Depth=1
	v_dual_mov_b32 v24, s19 :: v_dual_mov_b32 v23, s18
	s_and_b32 s2, exec_lo, s29
	s_delay_alu instid0(SALU_CYCLE_1) | instskip(NEXT) | instid1(SALU_CYCLE_1)
	s_or_b32 s27, s2, s27
	s_and_not1_b32 exec_lo, exec_lo, s27
	s_cbranch_execz .LBB569_31
.LBB569_20:                             ; =>This Inner Loop Header: Depth=1
	s_or_b32 s29, s29, exec_lo
	s_cmp_eq_u64 s[6:7], s[18:19]
	s_cbranch_scc0 .LBB569_18
; %bb.21:                               ;   in Loop: Header=BB569_20 Depth=1
	s_mov_b64 s[18:19], s[22:23]
                                        ; implicit-def: $vgpr19_vgpr20
                                        ; implicit-def: $vgpr21_vgpr22
	s_branch .LBB569_19
.LBB569_22:
                                        ; implicit-def: $sgpr2
                                        ; implicit-def: $vgpr18
	s_branch .LBB569_191
.LBB569_23:
	global_load_b64 v[1:2], v39, s[2:3]
	s_or_b32 exec_lo, exec_lo, s4
	s_delay_alu instid0(SALU_CYCLE_1)
	s_mov_b32 s4, exec_lo
	v_cmpx_gt_u32_e64 s20, v24
	s_cbranch_execz .LBB569_5
.LBB569_24:
	v_lshlrev_b32_e32 v3, 3, v24
	global_load_b64 v[3:4], v3, s[2:3]
	s_or_b32 exec_lo, exec_lo, s4
	s_delay_alu instid0(SALU_CYCLE_1)
	s_mov_b32 s4, exec_lo
	v_cmpx_gt_u32_e64 s20, v22
	s_cbranch_execz .LBB569_6
.LBB569_25:
	v_lshlrev_b32_e32 v5, 3, v22
	global_load_b64 v[5:6], v5, s[2:3]
	s_or_b32 exec_lo, exec_lo, s4
	s_delay_alu instid0(SALU_CYCLE_1)
	s_mov_b32 s4, exec_lo
	v_cmpx_gt_u32_e64 s20, v23
	s_cbranch_execz .LBB569_7
.LBB569_26:
	v_lshlrev_b32_e32 v7, 3, v23
	global_load_b64 v[7:8], v7, s[2:3]
	s_or_b32 exec_lo, exec_lo, s4
	s_delay_alu instid0(SALU_CYCLE_1)
	s_mov_b32 s4, exec_lo
	v_cmpx_gt_u32_e64 s20, v21
	s_cbranch_execz .LBB569_8
.LBB569_27:
	v_lshlrev_b32_e32 v9, 3, v21
	global_load_b64 v[9:10], v9, s[2:3]
	s_or_b32 exec_lo, exec_lo, s4
	s_delay_alu instid0(SALU_CYCLE_1)
	s_mov_b32 s4, exec_lo
	v_cmpx_gt_u32_e64 s20, v20
	s_cbranch_execz .LBB569_9
.LBB569_28:
	v_lshlrev_b32_e32 v11, 3, v20
	global_load_b64 v[11:12], v11, s[2:3]
	s_or_b32 exec_lo, exec_lo, s4
	s_delay_alu instid0(SALU_CYCLE_1)
	s_mov_b32 s4, exec_lo
	v_cmpx_gt_u32_e64 s20, v19
	s_cbranch_execz .LBB569_10
.LBB569_29:
	v_lshlrev_b32_e32 v13, 3, v19
	global_load_b64 v[13:14], v13, s[2:3]
	s_or_b32 exec_lo, exec_lo, s4
	s_delay_alu instid0(SALU_CYCLE_1)
	s_mov_b32 s4, exec_lo
	v_cmpx_gt_u32_e64 s20, v18
	s_cbranch_execnz .LBB569_11
	s_branch .LBB569_12
.LBB569_30:
                                        ; implicit-def: $sgpr2
                                        ; implicit-def: $vgpr18
	s_cbranch_execnz .LBB569_99
	s_branch .LBB569_190
.LBB569_31:
	s_set_inst_prefetch_distance 0x2
	s_or_b32 exec_lo, exec_lo, s27
	v_cmp_gt_i64_e32 vcc_lo, s[22:23], v[23:24]
	s_or_not1_b32 s27, vcc_lo, exec_lo
.LBB569_32:
	s_or_b32 exec_lo, exec_lo, s28
.LBB569_33:
	v_mul_lo_u32 v21, v8, s22
	v_mul_lo_u32 v22, v7, s23
	v_mad_u64_u32 v[19:20], null, v7, s22, 0
	s_and_not1_b32 vcc_lo, exec_lo, s26
	s_delay_alu instid0(VALU_DEP_1) | instskip(NEXT) | instid1(VALU_DEP_1)
	v_add3_u32 v20, v20, v22, v21
	v_lshlrev_b64 v[19:20], 3, v[19:20]
	s_cbranch_vccnz .LBB569_42
; %bb.34:
	s_delay_alu instid0(VALU_DEP_1) | instskip(NEXT) | instid1(VALU_DEP_2)
	v_add_co_u32 v21, vcc_lo, s8, v19
	v_add_co_ci_u32_e32 v22, vcc_lo, s9, v20, vcc_lo
	v_add_co_u32 v17, vcc_lo, s8, v17
	v_add_co_ci_u32_e32 v18, vcc_lo, s9, v18, vcc_lo
	s_mov_b32 s3, -1
	s_clause 0x1
	global_load_b64 v[23:24], v[21:22], off
	global_load_b64 v[26:27], v[17:18], off
	s_mov_b32 s28, exec_lo
	s_waitcnt vmcnt(0)
	v_cmpx_eq_u64_e64 v[23:24], v[26:27]
	s_cbranch_execz .LBB569_41
; %bb.35:
	v_add_co_u32 v17, vcc_lo, v17, 8
	v_add_co_ci_u32_e32 v18, vcc_lo, 0, v18, vcc_lo
	v_add_co_u32 v21, vcc_lo, v21, 8
	v_add_co_ci_u32_e32 v22, vcc_lo, 0, v22, vcc_lo
	s_add_u32 s6, s22, -1
	s_addc_u32 s7, s23, -1
	s_mov_b64 s[18:19], 0
	s_mov_b32 s3, 0
                                        ; implicit-def: $sgpr29
	s_set_inst_prefetch_distance 0x1
	s_branch .LBB569_38
	.p2align	6
.LBB569_36:                             ;   in Loop: Header=BB569_38 Depth=1
	global_load_b64 v[23:24], v[21:22], off
	global_load_b64 v[26:27], v[17:18], off
	v_add_co_u32 v17, vcc_lo, v17, 8
	v_add_co_ci_u32_e32 v18, vcc_lo, 0, v18, vcc_lo
	v_add_co_u32 v21, s2, v21, 8
	s_delay_alu instid0(VALU_DEP_1)
	v_add_co_ci_u32_e64 v22, s2, 0, v22, s2
	s_add_u32 s18, s18, 1
	s_addc_u32 s19, s19, 0
	s_and_not1_b32 s2, s29, exec_lo
	s_waitcnt vmcnt(0)
	v_cmp_ne_u64_e32 vcc_lo, v[23:24], v[26:27]
	s_and_b32 s29, vcc_lo, exec_lo
	s_delay_alu instid0(SALU_CYCLE_1)
	s_or_b32 s29, s2, s29
.LBB569_37:                             ;   in Loop: Header=BB569_38 Depth=1
	v_dual_mov_b32 v24, s19 :: v_dual_mov_b32 v23, s18
	s_and_b32 s2, exec_lo, s29
	s_delay_alu instid0(SALU_CYCLE_1) | instskip(NEXT) | instid1(SALU_CYCLE_1)
	s_or_b32 s3, s2, s3
	s_and_not1_b32 exec_lo, exec_lo, s3
	s_cbranch_execz .LBB569_40
.LBB569_38:                             ; =>This Inner Loop Header: Depth=1
	s_or_b32 s29, s29, exec_lo
	s_cmp_eq_u64 s[6:7], s[18:19]
	s_cbranch_scc0 .LBB569_36
; %bb.39:                               ;   in Loop: Header=BB569_38 Depth=1
	s_mov_b64 s[18:19], s[22:23]
                                        ; implicit-def: $vgpr17_vgpr18
                                        ; implicit-def: $vgpr21_vgpr22
	s_branch .LBB569_37
.LBB569_40:
	s_set_inst_prefetch_distance 0x2
	s_or_b32 exec_lo, exec_lo, s3
	v_cmp_gt_i64_e32 vcc_lo, s[22:23], v[23:24]
	s_or_not1_b32 s3, vcc_lo, exec_lo
.LBB569_41:
	s_or_b32 exec_lo, exec_lo, s28
.LBB569_42:
	v_mul_lo_u32 v21, v6, s22
	v_mul_lo_u32 v22, v5, s23
	v_mad_u64_u32 v[17:18], null, v5, s22, 0
	s_mov_b32 s28, 0
	s_and_not1_b32 vcc_lo, exec_lo, s26
	s_mov_b32 s29, 0
	s_delay_alu instid0(VALU_DEP_1) | instskip(NEXT) | instid1(VALU_DEP_1)
	v_add3_u32 v18, v18, v22, v21
	v_lshlrev_b64 v[21:22], 3, v[17:18]
	s_cbranch_vccnz .LBB569_51
; %bb.43:
	s_delay_alu instid0(VALU_DEP_1) | instskip(NEXT) | instid1(VALU_DEP_2)
	v_add_co_u32 v23, vcc_lo, s8, v21
	v_add_co_ci_u32_e32 v24, vcc_lo, s9, v22, vcc_lo
	v_add_co_u32 v17, vcc_lo, s8, v19
	v_add_co_ci_u32_e32 v18, vcc_lo, s9, v20, vcc_lo
	s_mov_b32 s29, -1
	s_clause 0x1
	global_load_b64 v[19:20], v[23:24], off
	global_load_b64 v[26:27], v[17:18], off
	s_mov_b32 s30, exec_lo
	s_waitcnt vmcnt(0)
	v_cmpx_eq_u64_e64 v[19:20], v[26:27]
	s_cbranch_execz .LBB569_50
; %bb.44:
	v_add_co_u32 v17, vcc_lo, v17, 8
	v_add_co_ci_u32_e32 v18, vcc_lo, 0, v18, vcc_lo
	v_add_co_u32 v19, vcc_lo, v23, 8
	v_add_co_ci_u32_e32 v20, vcc_lo, 0, v24, vcc_lo
	s_add_u32 s6, s22, -1
	s_addc_u32 s7, s23, -1
	s_mov_b64 s[18:19], 0
	s_mov_b32 s29, 0
                                        ; implicit-def: $sgpr31
	s_set_inst_prefetch_distance 0x1
	s_branch .LBB569_47
	.p2align	6
.LBB569_45:                             ;   in Loop: Header=BB569_47 Depth=1
	global_load_b64 v[23:24], v[19:20], off
	global_load_b64 v[26:27], v[17:18], off
	v_add_co_u32 v17, vcc_lo, v17, 8
	v_add_co_ci_u32_e32 v18, vcc_lo, 0, v18, vcc_lo
	v_add_co_u32 v19, s2, v19, 8
	s_delay_alu instid0(VALU_DEP_1)
	v_add_co_ci_u32_e64 v20, s2, 0, v20, s2
	s_add_u32 s18, s18, 1
	s_addc_u32 s19, s19, 0
	s_and_not1_b32 s2, s31, exec_lo
	s_waitcnt vmcnt(0)
	v_cmp_ne_u64_e32 vcc_lo, v[23:24], v[26:27]
	s_and_b32 s31, vcc_lo, exec_lo
	s_delay_alu instid0(SALU_CYCLE_1)
	s_or_b32 s31, s2, s31
.LBB569_46:                             ;   in Loop: Header=BB569_47 Depth=1
	v_dual_mov_b32 v24, s19 :: v_dual_mov_b32 v23, s18
	s_and_b32 s2, exec_lo, s31
	s_delay_alu instid0(SALU_CYCLE_1) | instskip(NEXT) | instid1(SALU_CYCLE_1)
	s_or_b32 s29, s2, s29
	s_and_not1_b32 exec_lo, exec_lo, s29
	s_cbranch_execz .LBB569_49
.LBB569_47:                             ; =>This Inner Loop Header: Depth=1
	s_or_b32 s31, s31, exec_lo
	s_cmp_eq_u64 s[6:7], s[18:19]
	s_cbranch_scc0 .LBB569_45
; %bb.48:                               ;   in Loop: Header=BB569_47 Depth=1
	s_mov_b64 s[18:19], s[22:23]
                                        ; implicit-def: $vgpr17_vgpr18
                                        ; implicit-def: $vgpr19_vgpr20
	s_branch .LBB569_46
.LBB569_49:
	s_set_inst_prefetch_distance 0x2
	s_or_b32 exec_lo, exec_lo, s29
	v_cmp_gt_i64_e32 vcc_lo, s[22:23], v[23:24]
	s_or_not1_b32 s29, vcc_lo, exec_lo
.LBB569_50:
	s_or_b32 exec_lo, exec_lo, s30
.LBB569_51:
	v_mul_lo_u32 v19, v12, s22
	v_mul_lo_u32 v20, v11, s23
	v_mad_u64_u32 v[17:18], null, v11, s22, 0
	s_and_not1_b32 vcc_lo, exec_lo, s26
	s_delay_alu instid0(VALU_DEP_1) | instskip(NEXT) | instid1(VALU_DEP_1)
	v_add3_u32 v18, v18, v20, v19
	v_lshlrev_b64 v[17:18], 3, v[17:18]
	s_cbranch_vccnz .LBB569_60
; %bb.52:
	s_delay_alu instid0(VALU_DEP_1) | instskip(NEXT) | instid1(VALU_DEP_2)
	v_add_co_u32 v23, vcc_lo, s8, v17
	v_add_co_ci_u32_e32 v24, vcc_lo, s9, v18, vcc_lo
	v_add_co_u32 v19, vcc_lo, s8, v21
	v_add_co_ci_u32_e32 v20, vcc_lo, s9, v22, vcc_lo
	s_mov_b32 s28, -1
	s_clause 0x1
	global_load_b64 v[21:22], v[23:24], off
	global_load_b64 v[26:27], v[19:20], off
	s_mov_b32 s30, exec_lo
	s_waitcnt vmcnt(0)
	v_cmpx_eq_u64_e64 v[21:22], v[26:27]
	s_cbranch_execz .LBB569_59
; %bb.53:
	v_add_co_u32 v19, vcc_lo, v19, 8
	v_add_co_ci_u32_e32 v20, vcc_lo, 0, v20, vcc_lo
	v_add_co_u32 v21, vcc_lo, v23, 8
	v_add_co_ci_u32_e32 v22, vcc_lo, 0, v24, vcc_lo
	s_add_u32 s6, s22, -1
	s_addc_u32 s7, s23, -1
	s_mov_b64 s[18:19], 0
	s_mov_b32 s28, 0
                                        ; implicit-def: $sgpr31
	s_set_inst_prefetch_distance 0x1
	s_branch .LBB569_56
	.p2align	6
.LBB569_54:                             ;   in Loop: Header=BB569_56 Depth=1
	global_load_b64 v[23:24], v[21:22], off
	global_load_b64 v[26:27], v[19:20], off
	v_add_co_u32 v19, vcc_lo, v19, 8
	v_add_co_ci_u32_e32 v20, vcc_lo, 0, v20, vcc_lo
	v_add_co_u32 v21, s2, v21, 8
	s_delay_alu instid0(VALU_DEP_1)
	v_add_co_ci_u32_e64 v22, s2, 0, v22, s2
	s_add_u32 s18, s18, 1
	s_addc_u32 s19, s19, 0
	s_and_not1_b32 s2, s31, exec_lo
	s_waitcnt vmcnt(0)
	v_cmp_ne_u64_e32 vcc_lo, v[23:24], v[26:27]
	s_and_b32 s31, vcc_lo, exec_lo
	s_delay_alu instid0(SALU_CYCLE_1)
	s_or_b32 s31, s2, s31
.LBB569_55:                             ;   in Loop: Header=BB569_56 Depth=1
	v_dual_mov_b32 v24, s19 :: v_dual_mov_b32 v23, s18
	s_and_b32 s2, exec_lo, s31
	s_delay_alu instid0(SALU_CYCLE_1) | instskip(NEXT) | instid1(SALU_CYCLE_1)
	s_or_b32 s28, s2, s28
	s_and_not1_b32 exec_lo, exec_lo, s28
	s_cbranch_execz .LBB569_58
.LBB569_56:                             ; =>This Inner Loop Header: Depth=1
	s_or_b32 s31, s31, exec_lo
	s_cmp_eq_u64 s[6:7], s[18:19]
	s_cbranch_scc0 .LBB569_54
; %bb.57:                               ;   in Loop: Header=BB569_56 Depth=1
	s_mov_b64 s[18:19], s[22:23]
                                        ; implicit-def: $vgpr19_vgpr20
                                        ; implicit-def: $vgpr21_vgpr22
	s_branch .LBB569_55
.LBB569_58:
	s_set_inst_prefetch_distance 0x2
	s_or_b32 exec_lo, exec_lo, s28
	v_cmp_gt_i64_e32 vcc_lo, s[22:23], v[23:24]
	s_or_not1_b32 s28, vcc_lo, exec_lo
.LBB569_59:
	s_or_b32 exec_lo, exec_lo, s30
.LBB569_60:
	v_mul_lo_u32 v21, v10, s22
	v_mul_lo_u32 v22, v9, s23
	v_mad_u64_u32 v[19:20], null, v9, s22, 0
	s_mov_b32 s30, 0
	s_and_not1_b32 vcc_lo, exec_lo, s26
	s_mov_b32 s31, 0
	s_delay_alu instid0(VALU_DEP_1) | instskip(NEXT) | instid1(VALU_DEP_1)
	v_add3_u32 v20, v20, v22, v21
	v_lshlrev_b64 v[21:22], 3, v[19:20]
	s_cbranch_vccnz .LBB569_69
; %bb.61:
	s_delay_alu instid0(VALU_DEP_1) | instskip(NEXT) | instid1(VALU_DEP_2)
	v_add_co_u32 v19, vcc_lo, s8, v21
	v_add_co_ci_u32_e32 v20, vcc_lo, s9, v22, vcc_lo
	v_add_co_u32 v17, vcc_lo, s8, v17
	v_add_co_ci_u32_e32 v18, vcc_lo, s9, v18, vcc_lo
	s_mov_b32 s31, -1
	s_clause 0x1
	global_load_b64 v[23:24], v[19:20], off
	global_load_b64 v[26:27], v[17:18], off
	s_mov_b32 s33, exec_lo
	s_waitcnt vmcnt(0)
	v_cmpx_eq_u64_e64 v[23:24], v[26:27]
	s_cbranch_execz .LBB569_68
; %bb.62:
	v_add_co_u32 v17, vcc_lo, v17, 8
	v_add_co_ci_u32_e32 v18, vcc_lo, 0, v18, vcc_lo
	v_add_co_u32 v19, vcc_lo, v19, 8
	v_add_co_ci_u32_e32 v20, vcc_lo, 0, v20, vcc_lo
	s_add_u32 s6, s22, -1
	s_addc_u32 s7, s23, -1
	s_mov_b64 s[18:19], 0
	s_mov_b32 s31, 0
                                        ; implicit-def: $sgpr34
	s_set_inst_prefetch_distance 0x1
	s_branch .LBB569_65
	.p2align	6
.LBB569_63:                             ;   in Loop: Header=BB569_65 Depth=1
	global_load_b64 v[23:24], v[19:20], off
	global_load_b64 v[26:27], v[17:18], off
	v_add_co_u32 v17, vcc_lo, v17, 8
	v_add_co_ci_u32_e32 v18, vcc_lo, 0, v18, vcc_lo
	v_add_co_u32 v19, s2, v19, 8
	s_delay_alu instid0(VALU_DEP_1)
	v_add_co_ci_u32_e64 v20, s2, 0, v20, s2
	s_add_u32 s18, s18, 1
	s_addc_u32 s19, s19, 0
	s_and_not1_b32 s2, s34, exec_lo
	s_waitcnt vmcnt(0)
	v_cmp_ne_u64_e32 vcc_lo, v[23:24], v[26:27]
	s_and_b32 s34, vcc_lo, exec_lo
	s_delay_alu instid0(SALU_CYCLE_1)
	s_or_b32 s34, s2, s34
.LBB569_64:                             ;   in Loop: Header=BB569_65 Depth=1
	v_dual_mov_b32 v24, s19 :: v_dual_mov_b32 v23, s18
	s_and_b32 s2, exec_lo, s34
	s_delay_alu instid0(SALU_CYCLE_1) | instskip(NEXT) | instid1(SALU_CYCLE_1)
	s_or_b32 s31, s2, s31
	s_and_not1_b32 exec_lo, exec_lo, s31
	s_cbranch_execz .LBB569_67
.LBB569_65:                             ; =>This Inner Loop Header: Depth=1
	s_or_b32 s34, s34, exec_lo
	s_cmp_eq_u64 s[6:7], s[18:19]
	s_cbranch_scc0 .LBB569_63
; %bb.66:                               ;   in Loop: Header=BB569_65 Depth=1
	s_mov_b64 s[18:19], s[22:23]
                                        ; implicit-def: $vgpr17_vgpr18
                                        ; implicit-def: $vgpr19_vgpr20
	s_branch .LBB569_64
.LBB569_67:
	s_set_inst_prefetch_distance 0x2
	s_or_b32 exec_lo, exec_lo, s31
	v_cmp_gt_i64_e32 vcc_lo, s[22:23], v[23:24]
	s_or_not1_b32 s31, vcc_lo, exec_lo
.LBB569_68:
	s_or_b32 exec_lo, exec_lo, s33
.LBB569_69:
	v_mul_lo_u32 v19, v16, s22
	v_mul_lo_u32 v20, v15, s23
	v_mad_u64_u32 v[17:18], null, v15, s22, 0
	s_and_not1_b32 vcc_lo, exec_lo, s26
	s_delay_alu instid0(VALU_DEP_1) | instskip(NEXT) | instid1(VALU_DEP_1)
	v_add3_u32 v18, v18, v20, v19
	v_lshlrev_b64 v[19:20], 3, v[17:18]
	s_cbranch_vccnz .LBB569_78
; %bb.70:
	s_delay_alu instid0(VALU_DEP_1) | instskip(NEXT) | instid1(VALU_DEP_2)
	v_add_co_u32 v23, vcc_lo, s8, v19
	v_add_co_ci_u32_e32 v24, vcc_lo, s9, v20, vcc_lo
	v_add_co_u32 v17, vcc_lo, s8, v21
	v_add_co_ci_u32_e32 v18, vcc_lo, s9, v22, vcc_lo
	s_mov_b32 s30, -1
	s_clause 0x1
	global_load_b64 v[21:22], v[23:24], off
	global_load_b64 v[26:27], v[17:18], off
	s_mov_b32 s33, exec_lo
	s_waitcnt vmcnt(0)
	v_cmpx_eq_u64_e64 v[21:22], v[26:27]
	s_cbranch_execz .LBB569_77
; %bb.71:
	v_add_co_u32 v17, vcc_lo, v17, 8
	v_add_co_ci_u32_e32 v18, vcc_lo, 0, v18, vcc_lo
	v_add_co_u32 v21, vcc_lo, v23, 8
	v_add_co_ci_u32_e32 v22, vcc_lo, 0, v24, vcc_lo
	s_add_u32 s6, s22, -1
	s_addc_u32 s7, s23, -1
	s_mov_b64 s[18:19], 0
	s_mov_b32 s30, 0
                                        ; implicit-def: $sgpr34
	s_set_inst_prefetch_distance 0x1
	s_branch .LBB569_74
	.p2align	6
.LBB569_72:                             ;   in Loop: Header=BB569_74 Depth=1
	global_load_b64 v[23:24], v[21:22], off
	global_load_b64 v[26:27], v[17:18], off
	v_add_co_u32 v17, vcc_lo, v17, 8
	v_add_co_ci_u32_e32 v18, vcc_lo, 0, v18, vcc_lo
	v_add_co_u32 v21, s2, v21, 8
	s_delay_alu instid0(VALU_DEP_1)
	v_add_co_ci_u32_e64 v22, s2, 0, v22, s2
	s_add_u32 s18, s18, 1
	s_addc_u32 s19, s19, 0
	s_and_not1_b32 s2, s34, exec_lo
	s_waitcnt vmcnt(0)
	v_cmp_ne_u64_e32 vcc_lo, v[23:24], v[26:27]
	s_and_b32 s34, vcc_lo, exec_lo
	s_delay_alu instid0(SALU_CYCLE_1)
	s_or_b32 s34, s2, s34
.LBB569_73:                             ;   in Loop: Header=BB569_74 Depth=1
	v_dual_mov_b32 v24, s19 :: v_dual_mov_b32 v23, s18
	s_and_b32 s2, exec_lo, s34
	s_delay_alu instid0(SALU_CYCLE_1) | instskip(NEXT) | instid1(SALU_CYCLE_1)
	s_or_b32 s30, s2, s30
	s_and_not1_b32 exec_lo, exec_lo, s30
	s_cbranch_execz .LBB569_76
.LBB569_74:                             ; =>This Inner Loop Header: Depth=1
	s_or_b32 s34, s34, exec_lo
	s_cmp_eq_u64 s[6:7], s[18:19]
	s_cbranch_scc0 .LBB569_72
; %bb.75:                               ;   in Loop: Header=BB569_74 Depth=1
	s_mov_b64 s[18:19], s[22:23]
                                        ; implicit-def: $vgpr17_vgpr18
                                        ; implicit-def: $vgpr21_vgpr22
	s_branch .LBB569_73
.LBB569_76:
	s_set_inst_prefetch_distance 0x2
	s_or_b32 exec_lo, exec_lo, s30
	v_cmp_gt_i64_e32 vcc_lo, s[22:23], v[23:24]
	s_or_not1_b32 s30, vcc_lo, exec_lo
.LBB569_77:
	s_or_b32 exec_lo, exec_lo, s33
.LBB569_78:
	v_mul_lo_u32 v21, v14, s22
	v_mul_lo_u32 v22, v13, s23
	v_mad_u64_u32 v[17:18], null, v13, s22, 0
	s_and_not1_b32 vcc_lo, exec_lo, s26
	s_mov_b32 s2, 0
	s_delay_alu instid0(VALU_DEP_1) | instskip(NEXT) | instid1(VALU_DEP_1)
	v_add3_u32 v18, v18, v22, v21
	v_lshlrev_b64 v[17:18], 3, v[17:18]
	s_cbranch_vccnz .LBB569_87
; %bb.79:
	s_delay_alu instid0(VALU_DEP_1) | instskip(NEXT) | instid1(VALU_DEP_2)
	v_add_co_u32 v21, vcc_lo, s8, v17
	v_add_co_ci_u32_e32 v22, vcc_lo, s9, v18, vcc_lo
	v_add_co_u32 v19, vcc_lo, s8, v19
	v_add_co_ci_u32_e32 v20, vcc_lo, s9, v20, vcc_lo
	s_mov_b32 s2, -1
	s_clause 0x1
	global_load_b64 v[23:24], v[21:22], off
	global_load_b64 v[26:27], v[19:20], off
	s_mov_b32 s33, exec_lo
	s_waitcnt vmcnt(0)
	v_cmpx_eq_u64_e64 v[23:24], v[26:27]
	s_cbranch_execz .LBB569_86
; %bb.80:
	v_add_co_u32 v19, vcc_lo, v19, 8
	v_add_co_ci_u32_e32 v20, vcc_lo, 0, v20, vcc_lo
	v_add_co_u32 v21, vcc_lo, v21, 8
	v_add_co_ci_u32_e32 v22, vcc_lo, 0, v22, vcc_lo
	s_add_u32 s6, s22, -1
	s_addc_u32 s7, s23, -1
	s_mov_b64 s[18:19], 0
	s_mov_b32 s34, 0
                                        ; implicit-def: $sgpr35
	s_set_inst_prefetch_distance 0x1
	s_branch .LBB569_83
	.p2align	6
.LBB569_81:                             ;   in Loop: Header=BB569_83 Depth=1
	global_load_b64 v[23:24], v[21:22], off
	global_load_b64 v[26:27], v[19:20], off
	v_add_co_u32 v19, vcc_lo, v19, 8
	v_add_co_ci_u32_e32 v20, vcc_lo, 0, v20, vcc_lo
	v_add_co_u32 v21, s2, v21, 8
	s_delay_alu instid0(VALU_DEP_1)
	v_add_co_ci_u32_e64 v22, s2, 0, v22, s2
	s_add_u32 s18, s18, 1
	s_addc_u32 s19, s19, 0
	s_and_not1_b32 s2, s35, exec_lo
	s_waitcnt vmcnt(0)
	v_cmp_ne_u64_e32 vcc_lo, v[23:24], v[26:27]
	s_and_b32 s35, vcc_lo, exec_lo
	s_delay_alu instid0(SALU_CYCLE_1)
	s_or_b32 s35, s2, s35
.LBB569_82:                             ;   in Loop: Header=BB569_83 Depth=1
	v_dual_mov_b32 v24, s19 :: v_dual_mov_b32 v23, s18
	s_and_b32 s2, exec_lo, s35
	s_delay_alu instid0(SALU_CYCLE_1) | instskip(NEXT) | instid1(SALU_CYCLE_1)
	s_or_b32 s34, s2, s34
	s_and_not1_b32 exec_lo, exec_lo, s34
	s_cbranch_execz .LBB569_85
.LBB569_83:                             ; =>This Inner Loop Header: Depth=1
	s_or_b32 s35, s35, exec_lo
	s_cmp_eq_u64 s[6:7], s[18:19]
	s_cbranch_scc0 .LBB569_81
; %bb.84:                               ;   in Loop: Header=BB569_83 Depth=1
	s_mov_b64 s[18:19], s[22:23]
                                        ; implicit-def: $vgpr19_vgpr20
                                        ; implicit-def: $vgpr21_vgpr22
	s_branch .LBB569_82
.LBB569_85:
	s_set_inst_prefetch_distance 0x2
	s_or_b32 exec_lo, exec_lo, s34
	v_cmp_gt_i64_e32 vcc_lo, s[22:23], v[23:24]
	s_or_not1_b32 s2, vcc_lo, exec_lo
.LBB569_86:
	s_or_b32 exec_lo, exec_lo, s33
.LBB569_87:
	s_waitcnt lgkmcnt(0)
	v_dual_mov_b32 v20, s5 :: v_dual_mov_b32 v19, s4
	s_mov_b32 s6, exec_lo
	s_barrier
	buffer_gl0_inv
	v_cmpx_ne_u32_e32 0, v0
	s_cbranch_execz .LBB569_89
; %bb.88:
	v_add_nc_u32_e32 v19, -8, v39
	ds_load_b64 v[19:20], v19
.LBB569_89:
	s_or_b32 exec_lo, exec_lo, s6
	v_cndmask_b32_e64 v22, 0, 1, s31
	v_cndmask_b32_e64 v24, 0, 1, s29
	;; [unrolled: 1-line block ×7, first 2 shown]
	v_lshlrev_b16 v22, 8, v22
	v_lshlrev_b16 v24, 8, v24
	;; [unrolled: 1-line block ×4, first 2 shown]
	s_mov_b32 s3, 0
	v_or_b32_e32 v21, v21, v22
	v_or_b32_e32 v22, v23, v24
	;; [unrolled: 1-line block ×3, first 2 shown]
	v_and_b32_e32 v23, 0xffff, v27
	s_and_not1_b32 vcc_lo, exec_lo, s26
	v_lshlrev_b32_e32 v24, 16, v21
	v_and_b32_e32 v26, 0xffff, v22
	v_lshlrev_b32_e32 v27, 16, v28
	s_mov_b32 s2, 0
	s_cbranch_vccnz .LBB569_98
; %bb.90:
	s_waitcnt lgkmcnt(0)
	v_mul_lo_u32 v22, v20, s22
	v_mul_lo_u32 v28, v19, s23
	v_mad_u64_u32 v[20:21], null, v19, s22, 0
	s_mov_b32 s2, -1
	s_mov_b32 s27, exec_lo
	s_delay_alu instid0(VALU_DEP_1) | instskip(NEXT) | instid1(VALU_DEP_1)
	v_add3_u32 v21, v21, v28, v22
	v_lshlrev_b64 v[19:20], 3, v[20:21]
	s_delay_alu instid0(VALU_DEP_1) | instskip(NEXT) | instid1(VALU_DEP_2)
	v_add_co_u32 v19, vcc_lo, s8, v19
	v_add_co_ci_u32_e32 v20, vcc_lo, s9, v20, vcc_lo
	v_add_co_u32 v17, vcc_lo, s8, v17
	v_add_co_ci_u32_e32 v18, vcc_lo, s9, v18, vcc_lo
	s_clause 0x1
	global_load_b64 v[21:22], v[19:20], off
	global_load_b64 v[28:29], v[17:18], off
	s_waitcnt vmcnt(0)
	v_cmpx_eq_u64_e64 v[21:22], v[28:29]
	s_cbranch_execz .LBB569_97
; %bb.91:
	v_add_co_u32 v17, vcc_lo, v17, 8
	v_add_co_ci_u32_e32 v18, vcc_lo, 0, v18, vcc_lo
	v_add_co_u32 v19, vcc_lo, v19, 8
	v_add_co_ci_u32_e32 v20, vcc_lo, 0, v20, vcc_lo
	s_add_u32 s6, s22, -1
	s_addc_u32 s7, s23, -1
	s_mov_b64 s[18:19], 0
	s_mov_b32 s28, 0
                                        ; implicit-def: $sgpr29
	s_set_inst_prefetch_distance 0x1
	s_branch .LBB569_94
	.p2align	6
.LBB569_92:                             ;   in Loop: Header=BB569_94 Depth=1
	global_load_b64 v[21:22], v[19:20], off
	global_load_b64 v[28:29], v[17:18], off
	v_add_co_u32 v17, vcc_lo, v17, 8
	v_add_co_ci_u32_e32 v18, vcc_lo, 0, v18, vcc_lo
	v_add_co_u32 v19, s2, v19, 8
	s_delay_alu instid0(VALU_DEP_1)
	v_add_co_ci_u32_e64 v20, s2, 0, v20, s2
	s_add_u32 s18, s18, 1
	s_addc_u32 s19, s19, 0
	s_and_not1_b32 s2, s29, exec_lo
	s_waitcnt vmcnt(0)
	v_cmp_ne_u64_e32 vcc_lo, v[21:22], v[28:29]
	s_and_b32 s29, vcc_lo, exec_lo
	s_delay_alu instid0(SALU_CYCLE_1)
	s_or_b32 s29, s2, s29
.LBB569_93:                             ;   in Loop: Header=BB569_94 Depth=1
	v_dual_mov_b32 v22, s19 :: v_dual_mov_b32 v21, s18
	s_and_b32 s2, exec_lo, s29
	s_delay_alu instid0(SALU_CYCLE_1) | instskip(NEXT) | instid1(SALU_CYCLE_1)
	s_or_b32 s28, s2, s28
	s_and_not1_b32 exec_lo, exec_lo, s28
	s_cbranch_execz .LBB569_96
.LBB569_94:                             ; =>This Inner Loop Header: Depth=1
	s_or_b32 s29, s29, exec_lo
	s_cmp_eq_u64 s[6:7], s[18:19]
	s_cbranch_scc0 .LBB569_92
; %bb.95:                               ;   in Loop: Header=BB569_94 Depth=1
	s_mov_b64 s[18:19], s[22:23]
                                        ; implicit-def: $vgpr17_vgpr18
                                        ; implicit-def: $vgpr19_vgpr20
	s_branch .LBB569_93
.LBB569_96:
	s_set_inst_prefetch_distance 0x2
	s_or_b32 exec_lo, exec_lo, s28
	v_cmp_gt_i64_e32 vcc_lo, s[22:23], v[21:22]
	s_or_not1_b32 s2, vcc_lo, exec_lo
.LBB569_97:
	s_or_b32 exec_lo, exec_lo, s27
.LBB569_98:
	v_or_b32_e32 v17, v23, v24
	s_delay_alu instid0(VALU_DEP_2)
	v_or_b32_e32 v18, v26, v27
	s_and_b32 vcc_lo, exec_lo, s3
	s_cbranch_vccz .LBB569_190
.LBB569_99:
	v_or_b32_e32 v17, 7, v39
	s_mov_b32 s3, 0
	s_mov_b32 s27, 0
	s_mov_b32 s28, exec_lo
	s_delay_alu instid0(VALU_DEP_1)
	v_cmpx_gt_u32_e64 s20, v17
	s_cbranch_execz .LBB569_110
; %bb.100:
	s_and_not1_b32 vcc_lo, exec_lo, s26
	s_mov_b32 s2, 0
	s_cbranch_vccnz .LBB569_109
; %bb.101:
	v_mul_lo_u32 v21, v2, s22
	v_mul_lo_u32 v22, v1, s23
	v_mad_u64_u32 v[17:18], null, v1, s22, 0
	v_mul_lo_u32 v23, v4, s22
	v_mul_lo_u32 v24, v3, s23
	s_waitcnt lgkmcnt(0)
	v_mad_u64_u32 v[19:20], null, v3, s22, 0
	s_mov_b32 s2, -1
	s_mov_b32 s26, exec_lo
	s_delay_alu instid0(VALU_DEP_4) | instskip(NEXT) | instid1(VALU_DEP_2)
	v_add3_u32 v18, v18, v22, v21
	v_add3_u32 v20, v20, v24, v23
	s_delay_alu instid0(VALU_DEP_2) | instskip(NEXT) | instid1(VALU_DEP_2)
	v_lshlrev_b64 v[17:18], 3, v[17:18]
	v_lshlrev_b64 v[21:22], 3, v[19:20]
	s_delay_alu instid0(VALU_DEP_2) | instskip(NEXT) | instid1(VALU_DEP_3)
	v_add_co_u32 v19, vcc_lo, s8, v17
	v_add_co_ci_u32_e32 v20, vcc_lo, s9, v18, vcc_lo
	s_delay_alu instid0(VALU_DEP_3) | instskip(NEXT) | instid1(VALU_DEP_4)
	v_add_co_u32 v17, vcc_lo, s8, v21
	v_add_co_ci_u32_e32 v18, vcc_lo, s9, v22, vcc_lo
	s_clause 0x1
	global_load_b64 v[21:22], v[19:20], off
	global_load_b64 v[23:24], v[17:18], off
	s_waitcnt vmcnt(0)
	v_cmpx_eq_u64_e64 v[21:22], v[23:24]
	s_cbranch_execz .LBB569_108
; %bb.102:
	v_add_co_u32 v17, vcc_lo, v17, 8
	v_add_co_ci_u32_e32 v18, vcc_lo, 0, v18, vcc_lo
	v_add_co_u32 v19, vcc_lo, v19, 8
	v_add_co_ci_u32_e32 v20, vcc_lo, 0, v20, vcc_lo
	s_add_u32 s6, s22, -1
	s_addc_u32 s7, s23, -1
	s_mov_b64 s[18:19], 0
                                        ; implicit-def: $sgpr29
	s_set_inst_prefetch_distance 0x1
	s_branch .LBB569_105
	.p2align	6
.LBB569_103:                            ;   in Loop: Header=BB569_105 Depth=1
	global_load_b64 v[21:22], v[19:20], off
	global_load_b64 v[23:24], v[17:18], off
	v_add_co_u32 v17, vcc_lo, v17, 8
	v_add_co_ci_u32_e32 v18, vcc_lo, 0, v18, vcc_lo
	v_add_co_u32 v19, s2, v19, 8
	s_delay_alu instid0(VALU_DEP_1)
	v_add_co_ci_u32_e64 v20, s2, 0, v20, s2
	s_add_u32 s18, s18, 1
	s_addc_u32 s19, s19, 0
	s_and_not1_b32 s2, s29, exec_lo
	s_waitcnt vmcnt(0)
	v_cmp_ne_u64_e32 vcc_lo, v[21:22], v[23:24]
	s_and_b32 s29, vcc_lo, exec_lo
	s_delay_alu instid0(SALU_CYCLE_1)
	s_or_b32 s29, s2, s29
.LBB569_104:                            ;   in Loop: Header=BB569_105 Depth=1
	v_dual_mov_b32 v22, s19 :: v_dual_mov_b32 v21, s18
	s_and_b32 s2, exec_lo, s29
	s_delay_alu instid0(SALU_CYCLE_1) | instskip(NEXT) | instid1(SALU_CYCLE_1)
	s_or_b32 s27, s2, s27
	s_and_not1_b32 exec_lo, exec_lo, s27
	s_cbranch_execz .LBB569_107
.LBB569_105:                            ; =>This Inner Loop Header: Depth=1
	s_or_b32 s29, s29, exec_lo
	s_cmp_eq_u64 s[6:7], s[18:19]
	s_cbranch_scc0 .LBB569_103
; %bb.106:                              ;   in Loop: Header=BB569_105 Depth=1
	s_mov_b64 s[18:19], s[22:23]
                                        ; implicit-def: $vgpr17_vgpr18
                                        ; implicit-def: $vgpr19_vgpr20
	s_branch .LBB569_104
.LBB569_107:
	s_set_inst_prefetch_distance 0x2
	s_or_b32 exec_lo, exec_lo, s27
	v_cmp_gt_i64_e32 vcc_lo, s[22:23], v[21:22]
	s_or_not1_b32 s2, vcc_lo, exec_lo
.LBB569_108:
	s_or_b32 exec_lo, exec_lo, s26
.LBB569_109:
	s_delay_alu instid0(SALU_CYCLE_1)
	s_and_b32 s27, s2, exec_lo
.LBB569_110:
	s_or_b32 exec_lo, exec_lo, s28
	v_or_b32_e32 v17, 6, v39
	s_mov_b32 s26, exec_lo
	s_delay_alu instid0(VALU_DEP_1)
	v_cmpx_gt_u32_e64 s20, v17
	s_cbranch_execz .LBB569_121
; %bb.111:
	v_cmp_ne_u32_e32 vcc_lo, 1, v25
	s_mov_b32 s2, 0
	s_cbranch_vccnz .LBB569_120
; %bb.112:
	v_mul_lo_u32 v21, v8, s22
	v_mul_lo_u32 v22, v7, s23
	v_mad_u64_u32 v[17:18], null, v7, s22, 0
	v_mul_lo_u32 v23, v2, s22
	v_mul_lo_u32 v24, v1, s23
	s_waitcnt lgkmcnt(0)
	v_mad_u64_u32 v[19:20], null, v1, s22, 0
	s_mov_b32 s2, -1
	s_mov_b32 s3, exec_lo
	s_delay_alu instid0(VALU_DEP_4) | instskip(NEXT) | instid1(VALU_DEP_2)
	v_add3_u32 v18, v18, v22, v21
	v_add3_u32 v20, v20, v24, v23
	s_delay_alu instid0(VALU_DEP_2) | instskip(NEXT) | instid1(VALU_DEP_2)
	v_lshlrev_b64 v[17:18], 3, v[17:18]
	v_lshlrev_b64 v[21:22], 3, v[19:20]
	s_delay_alu instid0(VALU_DEP_2) | instskip(NEXT) | instid1(VALU_DEP_3)
	v_add_co_u32 v19, vcc_lo, s8, v17
	v_add_co_ci_u32_e32 v20, vcc_lo, s9, v18, vcc_lo
	s_delay_alu instid0(VALU_DEP_3) | instskip(NEXT) | instid1(VALU_DEP_4)
	v_add_co_u32 v17, vcc_lo, s8, v21
	v_add_co_ci_u32_e32 v18, vcc_lo, s9, v22, vcc_lo
	s_clause 0x1
	global_load_b64 v[21:22], v[19:20], off
	global_load_b64 v[23:24], v[17:18], off
	s_waitcnt vmcnt(0)
	v_cmpx_eq_u64_e64 v[21:22], v[23:24]
	s_cbranch_execz .LBB569_119
; %bb.113:
	v_add_co_u32 v17, vcc_lo, v17, 8
	v_add_co_ci_u32_e32 v18, vcc_lo, 0, v18, vcc_lo
	v_add_co_u32 v19, vcc_lo, v19, 8
	v_add_co_ci_u32_e32 v20, vcc_lo, 0, v20, vcc_lo
	s_add_u32 s6, s22, -1
	s_addc_u32 s7, s23, -1
	s_mov_b64 s[18:19], 0
	s_mov_b32 s28, 0
                                        ; implicit-def: $sgpr29
	s_set_inst_prefetch_distance 0x1
	s_branch .LBB569_116
	.p2align	6
.LBB569_114:                            ;   in Loop: Header=BB569_116 Depth=1
	global_load_b64 v[21:22], v[19:20], off
	global_load_b64 v[23:24], v[17:18], off
	v_add_co_u32 v17, vcc_lo, v17, 8
	v_add_co_ci_u32_e32 v18, vcc_lo, 0, v18, vcc_lo
	v_add_co_u32 v19, s2, v19, 8
	s_delay_alu instid0(VALU_DEP_1)
	v_add_co_ci_u32_e64 v20, s2, 0, v20, s2
	s_add_u32 s18, s18, 1
	s_addc_u32 s19, s19, 0
	s_and_not1_b32 s2, s29, exec_lo
	s_waitcnt vmcnt(0)
	v_cmp_ne_u64_e32 vcc_lo, v[21:22], v[23:24]
	s_and_b32 s29, vcc_lo, exec_lo
	s_delay_alu instid0(SALU_CYCLE_1)
	s_or_b32 s29, s2, s29
.LBB569_115:                            ;   in Loop: Header=BB569_116 Depth=1
	v_dual_mov_b32 v22, s19 :: v_dual_mov_b32 v21, s18
	s_and_b32 s2, exec_lo, s29
	s_delay_alu instid0(SALU_CYCLE_1) | instskip(NEXT) | instid1(SALU_CYCLE_1)
	s_or_b32 s28, s2, s28
	s_and_not1_b32 exec_lo, exec_lo, s28
	s_cbranch_execz .LBB569_118
.LBB569_116:                            ; =>This Inner Loop Header: Depth=1
	s_or_b32 s29, s29, exec_lo
	s_cmp_eq_u64 s[6:7], s[18:19]
	s_cbranch_scc0 .LBB569_114
; %bb.117:                              ;   in Loop: Header=BB569_116 Depth=1
	s_mov_b64 s[18:19], s[22:23]
                                        ; implicit-def: $vgpr17_vgpr18
                                        ; implicit-def: $vgpr19_vgpr20
	s_branch .LBB569_115
.LBB569_118:
	s_set_inst_prefetch_distance 0x2
	s_or_b32 exec_lo, exec_lo, s28
	v_cmp_gt_i64_e32 vcc_lo, s[22:23], v[21:22]
	s_or_not1_b32 s2, vcc_lo, exec_lo
.LBB569_119:
	s_or_b32 exec_lo, exec_lo, s3
.LBB569_120:
	s_delay_alu instid0(SALU_CYCLE_1)
	s_and_b32 s3, s2, exec_lo
.LBB569_121:
	s_or_b32 exec_lo, exec_lo, s26
	v_or_b32_e32 v17, 5, v39
	s_mov_b32 s28, 0
	s_mov_b32 s26, 0
	s_mov_b32 s29, exec_lo
	s_delay_alu instid0(VALU_DEP_1)
	v_cmpx_gt_u32_e64 s20, v17
	s_cbranch_execz .LBB569_132
; %bb.122:
	v_cmp_ne_u32_e32 vcc_lo, 1, v25
	s_mov_b32 s2, 0
	s_cbranch_vccnz .LBB569_131
; %bb.123:
	v_mul_lo_u32 v21, v6, s22
	v_mul_lo_u32 v22, v5, s23
	v_mad_u64_u32 v[17:18], null, v5, s22, 0
	v_mul_lo_u32 v23, v8, s22
	v_mul_lo_u32 v24, v7, s23
	s_waitcnt lgkmcnt(0)
	v_mad_u64_u32 v[19:20], null, v7, s22, 0
	s_mov_b32 s2, -1
	s_mov_b32 s26, exec_lo
	s_delay_alu instid0(VALU_DEP_4) | instskip(NEXT) | instid1(VALU_DEP_2)
	v_add3_u32 v18, v18, v22, v21
	v_add3_u32 v20, v20, v24, v23
	s_delay_alu instid0(VALU_DEP_2) | instskip(NEXT) | instid1(VALU_DEP_2)
	v_lshlrev_b64 v[17:18], 3, v[17:18]
	v_lshlrev_b64 v[21:22], 3, v[19:20]
	s_delay_alu instid0(VALU_DEP_2) | instskip(NEXT) | instid1(VALU_DEP_3)
	v_add_co_u32 v19, vcc_lo, s8, v17
	v_add_co_ci_u32_e32 v20, vcc_lo, s9, v18, vcc_lo
	s_delay_alu instid0(VALU_DEP_3) | instskip(NEXT) | instid1(VALU_DEP_4)
	v_add_co_u32 v17, vcc_lo, s8, v21
	v_add_co_ci_u32_e32 v18, vcc_lo, s9, v22, vcc_lo
	s_clause 0x1
	global_load_b64 v[21:22], v[19:20], off
	global_load_b64 v[23:24], v[17:18], off
	s_waitcnt vmcnt(0)
	v_cmpx_eq_u64_e64 v[21:22], v[23:24]
	s_cbranch_execz .LBB569_130
; %bb.124:
	v_add_co_u32 v17, vcc_lo, v17, 8
	v_add_co_ci_u32_e32 v18, vcc_lo, 0, v18, vcc_lo
	v_add_co_u32 v19, vcc_lo, v19, 8
	v_add_co_ci_u32_e32 v20, vcc_lo, 0, v20, vcc_lo
	s_add_u32 s6, s22, -1
	s_addc_u32 s7, s23, -1
	s_mov_b64 s[18:19], 0
	s_mov_b32 s30, 0
                                        ; implicit-def: $sgpr31
	s_set_inst_prefetch_distance 0x1
	s_branch .LBB569_127
	.p2align	6
.LBB569_125:                            ;   in Loop: Header=BB569_127 Depth=1
	global_load_b64 v[21:22], v[19:20], off
	global_load_b64 v[23:24], v[17:18], off
	v_add_co_u32 v17, vcc_lo, v17, 8
	v_add_co_ci_u32_e32 v18, vcc_lo, 0, v18, vcc_lo
	v_add_co_u32 v19, s2, v19, 8
	s_delay_alu instid0(VALU_DEP_1)
	v_add_co_ci_u32_e64 v20, s2, 0, v20, s2
	s_add_u32 s18, s18, 1
	s_addc_u32 s19, s19, 0
	s_and_not1_b32 s2, s31, exec_lo
	s_waitcnt vmcnt(0)
	v_cmp_ne_u64_e32 vcc_lo, v[21:22], v[23:24]
	s_and_b32 s31, vcc_lo, exec_lo
	s_delay_alu instid0(SALU_CYCLE_1)
	s_or_b32 s31, s2, s31
.LBB569_126:                            ;   in Loop: Header=BB569_127 Depth=1
	v_dual_mov_b32 v22, s19 :: v_dual_mov_b32 v21, s18
	s_and_b32 s2, exec_lo, s31
	s_delay_alu instid0(SALU_CYCLE_1) | instskip(NEXT) | instid1(SALU_CYCLE_1)
	s_or_b32 s30, s2, s30
	s_and_not1_b32 exec_lo, exec_lo, s30
	s_cbranch_execz .LBB569_129
.LBB569_127:                            ; =>This Inner Loop Header: Depth=1
	s_or_b32 s31, s31, exec_lo
	s_cmp_eq_u64 s[6:7], s[18:19]
	s_cbranch_scc0 .LBB569_125
; %bb.128:                              ;   in Loop: Header=BB569_127 Depth=1
	s_mov_b64 s[18:19], s[22:23]
                                        ; implicit-def: $vgpr17_vgpr18
                                        ; implicit-def: $vgpr19_vgpr20
	s_branch .LBB569_126
.LBB569_129:
	s_set_inst_prefetch_distance 0x2
	s_or_b32 exec_lo, exec_lo, s30
	v_cmp_gt_i64_e32 vcc_lo, s[22:23], v[21:22]
	s_or_not1_b32 s2, vcc_lo, exec_lo
.LBB569_130:
	s_or_b32 exec_lo, exec_lo, s26
.LBB569_131:
	s_delay_alu instid0(SALU_CYCLE_1)
	s_and_b32 s26, s2, exec_lo
.LBB569_132:
	s_or_b32 exec_lo, exec_lo, s29
	v_or_b32_e32 v17, 4, v39
	s_mov_b32 s29, exec_lo
	s_delay_alu instid0(VALU_DEP_1)
	v_cmpx_gt_u32_e64 s20, v17
	s_cbranch_execz .LBB569_143
; %bb.133:
	v_cmp_ne_u32_e32 vcc_lo, 1, v25
	s_mov_b32 s2, 0
	s_cbranch_vccnz .LBB569_142
; %bb.134:
	v_mul_lo_u32 v21, v12, s22
	v_mul_lo_u32 v22, v11, s23
	v_mad_u64_u32 v[17:18], null, v11, s22, 0
	v_mul_lo_u32 v23, v6, s22
	v_mul_lo_u32 v24, v5, s23
	s_waitcnt lgkmcnt(0)
	v_mad_u64_u32 v[19:20], null, v5, s22, 0
	s_mov_b32 s2, -1
	s_mov_b32 s28, exec_lo
	s_delay_alu instid0(VALU_DEP_4) | instskip(NEXT) | instid1(VALU_DEP_2)
	v_add3_u32 v18, v18, v22, v21
	v_add3_u32 v20, v20, v24, v23
	s_delay_alu instid0(VALU_DEP_2) | instskip(NEXT) | instid1(VALU_DEP_2)
	v_lshlrev_b64 v[17:18], 3, v[17:18]
	v_lshlrev_b64 v[21:22], 3, v[19:20]
	s_delay_alu instid0(VALU_DEP_2) | instskip(NEXT) | instid1(VALU_DEP_3)
	v_add_co_u32 v19, vcc_lo, s8, v17
	v_add_co_ci_u32_e32 v20, vcc_lo, s9, v18, vcc_lo
	s_delay_alu instid0(VALU_DEP_3) | instskip(NEXT) | instid1(VALU_DEP_4)
	v_add_co_u32 v17, vcc_lo, s8, v21
	v_add_co_ci_u32_e32 v18, vcc_lo, s9, v22, vcc_lo
	s_clause 0x1
	global_load_b64 v[21:22], v[19:20], off
	global_load_b64 v[23:24], v[17:18], off
	s_waitcnt vmcnt(0)
	v_cmpx_eq_u64_e64 v[21:22], v[23:24]
	s_cbranch_execz .LBB569_141
; %bb.135:
	v_add_co_u32 v17, vcc_lo, v17, 8
	v_add_co_ci_u32_e32 v18, vcc_lo, 0, v18, vcc_lo
	v_add_co_u32 v19, vcc_lo, v19, 8
	v_add_co_ci_u32_e32 v20, vcc_lo, 0, v20, vcc_lo
	s_add_u32 s6, s22, -1
	s_addc_u32 s7, s23, -1
	s_mov_b64 s[18:19], 0
	s_mov_b32 s30, 0
                                        ; implicit-def: $sgpr31
	s_set_inst_prefetch_distance 0x1
	s_branch .LBB569_138
	.p2align	6
.LBB569_136:                            ;   in Loop: Header=BB569_138 Depth=1
	global_load_b64 v[21:22], v[19:20], off
	global_load_b64 v[23:24], v[17:18], off
	v_add_co_u32 v17, vcc_lo, v17, 8
	v_add_co_ci_u32_e32 v18, vcc_lo, 0, v18, vcc_lo
	v_add_co_u32 v19, s2, v19, 8
	s_delay_alu instid0(VALU_DEP_1)
	v_add_co_ci_u32_e64 v20, s2, 0, v20, s2
	s_add_u32 s18, s18, 1
	s_addc_u32 s19, s19, 0
	s_and_not1_b32 s2, s31, exec_lo
	s_waitcnt vmcnt(0)
	v_cmp_ne_u64_e32 vcc_lo, v[21:22], v[23:24]
	s_and_b32 s31, vcc_lo, exec_lo
	s_delay_alu instid0(SALU_CYCLE_1)
	s_or_b32 s31, s2, s31
.LBB569_137:                            ;   in Loop: Header=BB569_138 Depth=1
	v_dual_mov_b32 v22, s19 :: v_dual_mov_b32 v21, s18
	s_and_b32 s2, exec_lo, s31
	s_delay_alu instid0(SALU_CYCLE_1) | instskip(NEXT) | instid1(SALU_CYCLE_1)
	s_or_b32 s30, s2, s30
	s_and_not1_b32 exec_lo, exec_lo, s30
	s_cbranch_execz .LBB569_140
.LBB569_138:                            ; =>This Inner Loop Header: Depth=1
	s_or_b32 s31, s31, exec_lo
	s_cmp_eq_u64 s[6:7], s[18:19]
	s_cbranch_scc0 .LBB569_136
; %bb.139:                              ;   in Loop: Header=BB569_138 Depth=1
	s_mov_b64 s[18:19], s[22:23]
                                        ; implicit-def: $vgpr17_vgpr18
                                        ; implicit-def: $vgpr19_vgpr20
	s_branch .LBB569_137
.LBB569_140:
	s_set_inst_prefetch_distance 0x2
	s_or_b32 exec_lo, exec_lo, s30
	v_cmp_gt_i64_e32 vcc_lo, s[22:23], v[21:22]
	s_or_not1_b32 s2, vcc_lo, exec_lo
.LBB569_141:
	s_or_b32 exec_lo, exec_lo, s28
.LBB569_142:
	s_delay_alu instid0(SALU_CYCLE_1)
	s_and_b32 s28, s2, exec_lo
.LBB569_143:
	s_or_b32 exec_lo, exec_lo, s29
	v_or_b32_e32 v17, 3, v39
	s_mov_b32 s30, 0
	s_mov_b32 s29, 0
	s_mov_b32 s31, exec_lo
	s_delay_alu instid0(VALU_DEP_1)
	v_cmpx_gt_u32_e64 s20, v17
	s_cbranch_execz .LBB569_154
; %bb.144:
	v_cmp_ne_u32_e32 vcc_lo, 1, v25
	s_mov_b32 s2, 0
	s_cbranch_vccnz .LBB569_153
; %bb.145:
	v_mul_lo_u32 v21, v10, s22
	v_mul_lo_u32 v22, v9, s23
	v_mad_u64_u32 v[17:18], null, v9, s22, 0
	v_mul_lo_u32 v23, v12, s22
	v_mul_lo_u32 v24, v11, s23
	s_waitcnt lgkmcnt(0)
	v_mad_u64_u32 v[19:20], null, v11, s22, 0
	s_mov_b32 s2, -1
	s_mov_b32 s29, exec_lo
	s_delay_alu instid0(VALU_DEP_4) | instskip(NEXT) | instid1(VALU_DEP_2)
	v_add3_u32 v18, v18, v22, v21
	v_add3_u32 v20, v20, v24, v23
	s_delay_alu instid0(VALU_DEP_2) | instskip(NEXT) | instid1(VALU_DEP_2)
	v_lshlrev_b64 v[17:18], 3, v[17:18]
	v_lshlrev_b64 v[21:22], 3, v[19:20]
	s_delay_alu instid0(VALU_DEP_2) | instskip(NEXT) | instid1(VALU_DEP_3)
	v_add_co_u32 v19, vcc_lo, s8, v17
	v_add_co_ci_u32_e32 v20, vcc_lo, s9, v18, vcc_lo
	s_delay_alu instid0(VALU_DEP_3) | instskip(NEXT) | instid1(VALU_DEP_4)
	v_add_co_u32 v17, vcc_lo, s8, v21
	v_add_co_ci_u32_e32 v18, vcc_lo, s9, v22, vcc_lo
	s_clause 0x1
	global_load_b64 v[21:22], v[19:20], off
	global_load_b64 v[23:24], v[17:18], off
	s_waitcnt vmcnt(0)
	v_cmpx_eq_u64_e64 v[21:22], v[23:24]
	s_cbranch_execz .LBB569_152
; %bb.146:
	v_add_co_u32 v17, vcc_lo, v17, 8
	v_add_co_ci_u32_e32 v18, vcc_lo, 0, v18, vcc_lo
	v_add_co_u32 v19, vcc_lo, v19, 8
	v_add_co_ci_u32_e32 v20, vcc_lo, 0, v20, vcc_lo
	s_add_u32 s6, s22, -1
	s_addc_u32 s7, s23, -1
	s_mov_b64 s[18:19], 0
	s_mov_b32 s33, 0
                                        ; implicit-def: $sgpr34
	s_set_inst_prefetch_distance 0x1
	s_branch .LBB569_149
	.p2align	6
.LBB569_147:                            ;   in Loop: Header=BB569_149 Depth=1
	global_load_b64 v[21:22], v[19:20], off
	global_load_b64 v[23:24], v[17:18], off
	v_add_co_u32 v17, vcc_lo, v17, 8
	v_add_co_ci_u32_e32 v18, vcc_lo, 0, v18, vcc_lo
	v_add_co_u32 v19, s2, v19, 8
	s_delay_alu instid0(VALU_DEP_1)
	v_add_co_ci_u32_e64 v20, s2, 0, v20, s2
	s_add_u32 s18, s18, 1
	s_addc_u32 s19, s19, 0
	s_and_not1_b32 s2, s34, exec_lo
	s_waitcnt vmcnt(0)
	v_cmp_ne_u64_e32 vcc_lo, v[21:22], v[23:24]
	s_and_b32 s34, vcc_lo, exec_lo
	s_delay_alu instid0(SALU_CYCLE_1)
	s_or_b32 s34, s2, s34
.LBB569_148:                            ;   in Loop: Header=BB569_149 Depth=1
	v_dual_mov_b32 v22, s19 :: v_dual_mov_b32 v21, s18
	s_and_b32 s2, exec_lo, s34
	s_delay_alu instid0(SALU_CYCLE_1) | instskip(NEXT) | instid1(SALU_CYCLE_1)
	s_or_b32 s33, s2, s33
	s_and_not1_b32 exec_lo, exec_lo, s33
	s_cbranch_execz .LBB569_151
.LBB569_149:                            ; =>This Inner Loop Header: Depth=1
	s_or_b32 s34, s34, exec_lo
	s_cmp_eq_u64 s[6:7], s[18:19]
	s_cbranch_scc0 .LBB569_147
; %bb.150:                              ;   in Loop: Header=BB569_149 Depth=1
	s_mov_b64 s[18:19], s[22:23]
                                        ; implicit-def: $vgpr17_vgpr18
                                        ; implicit-def: $vgpr19_vgpr20
	s_branch .LBB569_148
.LBB569_151:
	s_set_inst_prefetch_distance 0x2
	s_or_b32 exec_lo, exec_lo, s33
	v_cmp_gt_i64_e32 vcc_lo, s[22:23], v[21:22]
	s_or_not1_b32 s2, vcc_lo, exec_lo
.LBB569_152:
	s_or_b32 exec_lo, exec_lo, s29
.LBB569_153:
	s_delay_alu instid0(SALU_CYCLE_1)
	s_and_b32 s29, s2, exec_lo
.LBB569_154:
	s_or_b32 exec_lo, exec_lo, s31
	v_or_b32_e32 v17, 2, v39
	s_mov_b32 s31, exec_lo
	s_delay_alu instid0(VALU_DEP_1)
	v_cmpx_gt_u32_e64 s20, v17
	s_cbranch_execz .LBB569_165
; %bb.155:
	v_cmp_ne_u32_e32 vcc_lo, 1, v25
	s_mov_b32 s2, 0
	s_cbranch_vccnz .LBB569_164
; %bb.156:
	v_mul_lo_u32 v21, v16, s22
	v_mul_lo_u32 v22, v15, s23
	v_mad_u64_u32 v[17:18], null, v15, s22, 0
	v_mul_lo_u32 v23, v10, s22
	v_mul_lo_u32 v24, v9, s23
	s_waitcnt lgkmcnt(0)
	v_mad_u64_u32 v[19:20], null, v9, s22, 0
	s_mov_b32 s2, -1
	s_mov_b32 s30, exec_lo
	s_delay_alu instid0(VALU_DEP_4) | instskip(NEXT) | instid1(VALU_DEP_2)
	v_add3_u32 v18, v18, v22, v21
	v_add3_u32 v20, v20, v24, v23
	s_delay_alu instid0(VALU_DEP_2) | instskip(NEXT) | instid1(VALU_DEP_2)
	v_lshlrev_b64 v[17:18], 3, v[17:18]
	v_lshlrev_b64 v[21:22], 3, v[19:20]
	s_delay_alu instid0(VALU_DEP_2) | instskip(NEXT) | instid1(VALU_DEP_3)
	v_add_co_u32 v19, vcc_lo, s8, v17
	v_add_co_ci_u32_e32 v20, vcc_lo, s9, v18, vcc_lo
	s_delay_alu instid0(VALU_DEP_3) | instskip(NEXT) | instid1(VALU_DEP_4)
	v_add_co_u32 v17, vcc_lo, s8, v21
	v_add_co_ci_u32_e32 v18, vcc_lo, s9, v22, vcc_lo
	s_clause 0x1
	global_load_b64 v[21:22], v[19:20], off
	global_load_b64 v[23:24], v[17:18], off
	s_waitcnt vmcnt(0)
	v_cmpx_eq_u64_e64 v[21:22], v[23:24]
	s_cbranch_execz .LBB569_163
; %bb.157:
	v_add_co_u32 v17, vcc_lo, v17, 8
	v_add_co_ci_u32_e32 v18, vcc_lo, 0, v18, vcc_lo
	v_add_co_u32 v19, vcc_lo, v19, 8
	v_add_co_ci_u32_e32 v20, vcc_lo, 0, v20, vcc_lo
	s_add_u32 s6, s22, -1
	s_addc_u32 s7, s23, -1
	s_mov_b64 s[18:19], 0
	s_mov_b32 s33, 0
                                        ; implicit-def: $sgpr34
	s_set_inst_prefetch_distance 0x1
	s_branch .LBB569_160
	.p2align	6
.LBB569_158:                            ;   in Loop: Header=BB569_160 Depth=1
	global_load_b64 v[21:22], v[19:20], off
	global_load_b64 v[23:24], v[17:18], off
	v_add_co_u32 v17, vcc_lo, v17, 8
	v_add_co_ci_u32_e32 v18, vcc_lo, 0, v18, vcc_lo
	v_add_co_u32 v19, s2, v19, 8
	s_delay_alu instid0(VALU_DEP_1)
	v_add_co_ci_u32_e64 v20, s2, 0, v20, s2
	s_add_u32 s18, s18, 1
	s_addc_u32 s19, s19, 0
	s_and_not1_b32 s2, s34, exec_lo
	s_waitcnt vmcnt(0)
	v_cmp_ne_u64_e32 vcc_lo, v[21:22], v[23:24]
	s_and_b32 s34, vcc_lo, exec_lo
	s_delay_alu instid0(SALU_CYCLE_1)
	s_or_b32 s34, s2, s34
.LBB569_159:                            ;   in Loop: Header=BB569_160 Depth=1
	v_dual_mov_b32 v22, s19 :: v_dual_mov_b32 v21, s18
	s_and_b32 s2, exec_lo, s34
	s_delay_alu instid0(SALU_CYCLE_1) | instskip(NEXT) | instid1(SALU_CYCLE_1)
	s_or_b32 s33, s2, s33
	s_and_not1_b32 exec_lo, exec_lo, s33
	s_cbranch_execz .LBB569_162
.LBB569_160:                            ; =>This Inner Loop Header: Depth=1
	s_or_b32 s34, s34, exec_lo
	s_cmp_eq_u64 s[6:7], s[18:19]
	s_cbranch_scc0 .LBB569_158
; %bb.161:                              ;   in Loop: Header=BB569_160 Depth=1
	s_mov_b64 s[18:19], s[22:23]
                                        ; implicit-def: $vgpr17_vgpr18
                                        ; implicit-def: $vgpr19_vgpr20
	s_branch .LBB569_159
.LBB569_162:
	s_set_inst_prefetch_distance 0x2
	s_or_b32 exec_lo, exec_lo, s33
	v_cmp_gt_i64_e32 vcc_lo, s[22:23], v[21:22]
	s_or_not1_b32 s2, vcc_lo, exec_lo
.LBB569_163:
	s_or_b32 exec_lo, exec_lo, s30
.LBB569_164:
	s_delay_alu instid0(SALU_CYCLE_1)
	s_and_b32 s30, s2, exec_lo
.LBB569_165:
	s_or_b32 exec_lo, exec_lo, s31
	v_or_b32_e32 v17, 1, v39
	s_mov_b32 s2, 0
	s_mov_b32 s31, exec_lo
	s_delay_alu instid0(VALU_DEP_1)
	v_cmpx_gt_u32_e64 s20, v17
	s_cbranch_execz .LBB569_176
; %bb.166:
	v_cmp_ne_u32_e32 vcc_lo, 1, v25
	s_cbranch_vccnz .LBB569_175
; %bb.167:
	v_mul_lo_u32 v21, v14, s22
	v_mul_lo_u32 v22, v13, s23
	v_mad_u64_u32 v[17:18], null, v13, s22, 0
	v_mul_lo_u32 v23, v16, s22
	v_mul_lo_u32 v24, v15, s23
	s_waitcnt lgkmcnt(0)
	v_mad_u64_u32 v[19:20], null, v15, s22, 0
	s_mov_b32 s2, -1
	s_mov_b32 s33, exec_lo
	s_delay_alu instid0(VALU_DEP_4) | instskip(NEXT) | instid1(VALU_DEP_2)
	v_add3_u32 v18, v18, v22, v21
	v_add3_u32 v20, v20, v24, v23
	s_delay_alu instid0(VALU_DEP_2) | instskip(NEXT) | instid1(VALU_DEP_2)
	v_lshlrev_b64 v[17:18], 3, v[17:18]
	v_lshlrev_b64 v[21:22], 3, v[19:20]
	s_delay_alu instid0(VALU_DEP_2) | instskip(NEXT) | instid1(VALU_DEP_3)
	v_add_co_u32 v19, vcc_lo, s8, v17
	v_add_co_ci_u32_e32 v20, vcc_lo, s9, v18, vcc_lo
	s_delay_alu instid0(VALU_DEP_3) | instskip(NEXT) | instid1(VALU_DEP_4)
	v_add_co_u32 v17, vcc_lo, s8, v21
	v_add_co_ci_u32_e32 v18, vcc_lo, s9, v22, vcc_lo
	s_clause 0x1
	global_load_b64 v[21:22], v[19:20], off
	global_load_b64 v[23:24], v[17:18], off
	s_waitcnt vmcnt(0)
	v_cmpx_eq_u64_e64 v[21:22], v[23:24]
	s_cbranch_execz .LBB569_174
; %bb.168:
	v_add_co_u32 v17, vcc_lo, v17, 8
	v_add_co_ci_u32_e32 v18, vcc_lo, 0, v18, vcc_lo
	v_add_co_u32 v19, vcc_lo, v19, 8
	v_add_co_ci_u32_e32 v20, vcc_lo, 0, v20, vcc_lo
	s_add_u32 s6, s22, -1
	s_addc_u32 s7, s23, -1
	s_mov_b64 s[18:19], 0
	s_mov_b32 s34, 0
                                        ; implicit-def: $sgpr35
	s_set_inst_prefetch_distance 0x1
	s_branch .LBB569_171
	.p2align	6
.LBB569_169:                            ;   in Loop: Header=BB569_171 Depth=1
	global_load_b64 v[21:22], v[19:20], off
	global_load_b64 v[23:24], v[17:18], off
	v_add_co_u32 v17, vcc_lo, v17, 8
	v_add_co_ci_u32_e32 v18, vcc_lo, 0, v18, vcc_lo
	v_add_co_u32 v19, s2, v19, 8
	s_delay_alu instid0(VALU_DEP_1)
	v_add_co_ci_u32_e64 v20, s2, 0, v20, s2
	s_add_u32 s18, s18, 1
	s_addc_u32 s19, s19, 0
	s_and_not1_b32 s2, s35, exec_lo
	s_waitcnt vmcnt(0)
	v_cmp_ne_u64_e32 vcc_lo, v[21:22], v[23:24]
	s_and_b32 s35, vcc_lo, exec_lo
	s_delay_alu instid0(SALU_CYCLE_1)
	s_or_b32 s35, s2, s35
.LBB569_170:                            ;   in Loop: Header=BB569_171 Depth=1
	v_dual_mov_b32 v22, s19 :: v_dual_mov_b32 v21, s18
	s_and_b32 s2, exec_lo, s35
	s_delay_alu instid0(SALU_CYCLE_1) | instskip(NEXT) | instid1(SALU_CYCLE_1)
	s_or_b32 s34, s2, s34
	s_and_not1_b32 exec_lo, exec_lo, s34
	s_cbranch_execz .LBB569_173
.LBB569_171:                            ; =>This Inner Loop Header: Depth=1
	s_or_b32 s35, s35, exec_lo
	s_cmp_eq_u64 s[6:7], s[18:19]
	s_cbranch_scc0 .LBB569_169
; %bb.172:                              ;   in Loop: Header=BB569_171 Depth=1
	s_mov_b64 s[18:19], s[22:23]
                                        ; implicit-def: $vgpr17_vgpr18
                                        ; implicit-def: $vgpr19_vgpr20
	s_branch .LBB569_170
.LBB569_173:
	s_set_inst_prefetch_distance 0x2
	s_or_b32 exec_lo, exec_lo, s34
	v_cmp_gt_i64_e32 vcc_lo, s[22:23], v[21:22]
	s_or_not1_b32 s2, vcc_lo, exec_lo
.LBB569_174:
	s_or_b32 exec_lo, exec_lo, s33
.LBB569_175:
	s_delay_alu instid0(SALU_CYCLE_1)
	s_and_b32 s2, s2, exec_lo
.LBB569_176:
	s_or_b32 exec_lo, exec_lo, s31
	s_waitcnt lgkmcnt(0)
	v_dual_mov_b32 v18, s5 :: v_dual_mov_b32 v17, s4
	s_mov_b32 s4, exec_lo
	s_barrier
	buffer_gl0_inv
	v_cmpx_ne_u32_e32 0, v0
	s_cbranch_execz .LBB569_178
; %bb.177:
	v_add_nc_u32_e32 v17, -8, v39
	ds_load_b64 v[17:18], v17
.LBB569_178:
	s_or_b32 exec_lo, exec_lo, s4
	v_cndmask_b32_e64 v20, 0, 1, s29
	v_cndmask_b32_e64 v22, 0, 1, s26
	;; [unrolled: 1-line block ×7, first 2 shown]
	v_lshlrev_b16 v20, 8, v20
	v_lshlrev_b16 v22, 8, v22
	;; [unrolled: 1-line block ×3, first 2 shown]
	s_mov_b32 s2, 0
	v_lshlrev_b16 v26, 8, v26
	v_or_b32_e32 v19, v19, v20
	v_or_b32_e32 v20, v21, v22
	;; [unrolled: 1-line block ×3, first 2 shown]
	s_mov_b32 s3, exec_lo
	v_and_b32_e32 v23, 0xffff, v26
	v_lshlrev_b32_e32 v24, 16, v19
	v_and_b32_e32 v26, 0xffff, v20
	v_lshlrev_b32_e32 v27, 16, v21
	v_cmpx_gt_u32_e64 s20, v39
	s_cbranch_execz .LBB569_189
; %bb.179:
	v_cmp_ne_u32_e32 vcc_lo, 1, v25
	s_cbranch_vccnz .LBB569_188
; %bb.180:
	s_waitcnt lgkmcnt(0)
	v_mul_lo_u32 v22, v18, s22
	v_mul_lo_u32 v25, v17, s23
	v_mad_u64_u32 v[18:19], null, v17, s22, 0
	v_mul_lo_u32 v17, v14, s22
	v_mul_lo_u32 v28, v13, s23
	v_mad_u64_u32 v[20:21], null, v13, s22, 0
	s_mov_b32 s2, -1
	s_mov_b32 s18, exec_lo
	s_delay_alu instid0(VALU_DEP_4) | instskip(NEXT) | instid1(VALU_DEP_2)
	v_add3_u32 v19, v19, v25, v22
	v_add3_u32 v21, v21, v28, v17
	s_delay_alu instid0(VALU_DEP_2) | instskip(NEXT) | instid1(VALU_DEP_2)
	v_lshlrev_b64 v[17:18], 3, v[18:19]
	v_lshlrev_b64 v[21:22], 3, v[20:21]
	s_delay_alu instid0(VALU_DEP_2) | instskip(NEXT) | instid1(VALU_DEP_3)
	v_add_co_u32 v19, vcc_lo, s8, v17
	v_add_co_ci_u32_e32 v20, vcc_lo, s9, v18, vcc_lo
	s_delay_alu instid0(VALU_DEP_3) | instskip(NEXT) | instid1(VALU_DEP_4)
	v_add_co_u32 v17, vcc_lo, s8, v21
	v_add_co_ci_u32_e32 v18, vcc_lo, s9, v22, vcc_lo
	s_clause 0x1
	global_load_b64 v[21:22], v[19:20], off
	global_load_b64 v[28:29], v[17:18], off
	s_waitcnt vmcnt(0)
	v_cmpx_eq_u64_e64 v[21:22], v[28:29]
	s_cbranch_execz .LBB569_187
; %bb.181:
	v_add_co_u32 v17, vcc_lo, v17, 8
	v_add_co_ci_u32_e32 v18, vcc_lo, 0, v18, vcc_lo
	v_add_co_u32 v19, vcc_lo, v19, 8
	v_add_co_ci_u32_e32 v20, vcc_lo, 0, v20, vcc_lo
	s_add_u32 s4, s22, -1
	s_addc_u32 s5, s23, -1
	s_mov_b64 s[6:7], 0
	s_mov_b32 s19, 0
                                        ; implicit-def: $sgpr26
	s_set_inst_prefetch_distance 0x1
	s_branch .LBB569_184
	.p2align	6
.LBB569_182:                            ;   in Loop: Header=BB569_184 Depth=1
	global_load_b64 v[21:22], v[19:20], off
	global_load_b64 v[28:29], v[17:18], off
	v_add_co_u32 v17, vcc_lo, v17, 8
	v_add_co_ci_u32_e32 v18, vcc_lo, 0, v18, vcc_lo
	v_add_co_u32 v19, s2, v19, 8
	s_delay_alu instid0(VALU_DEP_1)
	v_add_co_ci_u32_e64 v20, s2, 0, v20, s2
	s_add_u32 s6, s6, 1
	s_addc_u32 s7, s7, 0
	s_and_not1_b32 s2, s26, exec_lo
	s_waitcnt vmcnt(0)
	v_cmp_ne_u64_e32 vcc_lo, v[21:22], v[28:29]
	s_and_b32 s26, vcc_lo, exec_lo
	s_delay_alu instid0(SALU_CYCLE_1)
	s_or_b32 s26, s2, s26
.LBB569_183:                            ;   in Loop: Header=BB569_184 Depth=1
	v_dual_mov_b32 v22, s7 :: v_dual_mov_b32 v21, s6
	s_and_b32 s2, exec_lo, s26
	s_delay_alu instid0(SALU_CYCLE_1) | instskip(NEXT) | instid1(SALU_CYCLE_1)
	s_or_b32 s19, s2, s19
	s_and_not1_b32 exec_lo, exec_lo, s19
	s_cbranch_execz .LBB569_186
.LBB569_184:                            ; =>This Inner Loop Header: Depth=1
	s_or_b32 s26, s26, exec_lo
	s_cmp_eq_u64 s[4:5], s[6:7]
	s_cbranch_scc0 .LBB569_182
; %bb.185:                              ;   in Loop: Header=BB569_184 Depth=1
	s_mov_b64 s[6:7], s[22:23]
                                        ; implicit-def: $vgpr17_vgpr18
                                        ; implicit-def: $vgpr19_vgpr20
	s_branch .LBB569_183
.LBB569_186:
	s_set_inst_prefetch_distance 0x2
	s_or_b32 exec_lo, exec_lo, s19
	v_cmp_gt_i64_e32 vcc_lo, s[22:23], v[21:22]
	s_or_not1_b32 s2, vcc_lo, exec_lo
.LBB569_187:
	s_or_b32 exec_lo, exec_lo, s18
.LBB569_188:
	s_delay_alu instid0(SALU_CYCLE_1)
	s_and_b32 s2, s2, exec_lo
.LBB569_189:
	s_or_b32 exec_lo, exec_lo, s3
	s_waitcnt lgkmcnt(0)
	v_or_b32_e32 v17, v23, v24
	v_or_b32_e32 v18, v26, v27
.LBB569_190:
	s_mov_b32 s18, -1
	s_cbranch_execnz .LBB569_359
.LBB569_191:
	v_cmp_gt_i64_e64 s3, s[22:23], 0
	s_and_b32 vcc_lo, exec_lo, s21
	ds_store_b64 v39, v[3:4]
	s_cbranch_vccz .LBB569_199
; %bb.192:
	s_waitcnt lgkmcnt(0)
	v_mul_lo_u32 v19, v2, s22
	v_mul_lo_u32 v20, v1, s23
	v_mad_u64_u32 v[17:18], null, v1, s22, 0
	s_mov_b32 s19, 0
	s_and_not1_b32 vcc_lo, exec_lo, s3
	s_mov_b32 s26, 0
	s_delay_alu instid0(VALU_DEP_1) | instskip(NEXT) | instid1(VALU_DEP_1)
	v_add3_u32 v18, v18, v20, v19
	v_lshlrev_b64 v[17:18], 3, v[17:18]
	s_cbranch_vccnz .LBB569_202
; %bb.193:
	v_mul_lo_u32 v21, v4, s22
	v_mul_lo_u32 v22, v3, s23
	v_mad_u64_u32 v[19:20], null, v3, s22, 0
	s_mov_b32 s26, -1
	s_mov_b32 s27, exec_lo
	s_delay_alu instid0(VALU_DEP_1) | instskip(SKIP_2) | instid1(VALU_DEP_3)
	v_add3_u32 v20, v20, v22, v21
	v_add_co_u32 v21, vcc_lo, s8, v17
	v_add_co_ci_u32_e32 v22, vcc_lo, s9, v18, vcc_lo
	v_lshlrev_b64 v[19:20], 3, v[19:20]
	s_delay_alu instid0(VALU_DEP_1) | instskip(NEXT) | instid1(VALU_DEP_2)
	v_add_co_u32 v19, vcc_lo, s8, v19
	v_add_co_ci_u32_e32 v20, vcc_lo, s9, v20, vcc_lo
	s_clause 0x1
	global_load_b64 v[23:24], v[21:22], off
	global_load_b64 v[25:26], v[19:20], off
	s_waitcnt vmcnt(0)
	v_cmpx_eq_u64_e64 v[23:24], v[25:26]
	s_cbranch_execz .LBB569_201
; %bb.194:
	v_add_co_u32 v19, vcc_lo, v19, 8
	v_add_co_ci_u32_e32 v20, vcc_lo, 0, v20, vcc_lo
	v_add_co_u32 v21, vcc_lo, v21, 8
	v_add_co_ci_u32_e32 v22, vcc_lo, 0, v22, vcc_lo
	s_add_u32 s4, s22, -1
	s_addc_u32 s5, s23, -1
	s_mov_b64 s[6:7], 0
	s_mov_b32 s26, 0
                                        ; implicit-def: $sgpr28
	s_set_inst_prefetch_distance 0x1
	s_branch .LBB569_197
	.p2align	6
.LBB569_195:                            ;   in Loop: Header=BB569_197 Depth=1
	global_load_b64 v[23:24], v[21:22], off
	global_load_b64 v[25:26], v[19:20], off
	v_add_co_u32 v19, vcc_lo, v19, 8
	v_add_co_ci_u32_e32 v20, vcc_lo, 0, v20, vcc_lo
	v_add_co_u32 v21, s2, v21, 8
	s_delay_alu instid0(VALU_DEP_1)
	v_add_co_ci_u32_e64 v22, s2, 0, v22, s2
	s_add_u32 s6, s6, 1
	s_addc_u32 s7, s7, 0
	s_and_not1_b32 s2, s28, exec_lo
	s_waitcnt vmcnt(0)
	v_cmp_ne_u64_e32 vcc_lo, v[23:24], v[25:26]
	s_and_b32 s28, vcc_lo, exec_lo
	s_delay_alu instid0(SALU_CYCLE_1)
	s_or_b32 s28, s2, s28
.LBB569_196:                            ;   in Loop: Header=BB569_197 Depth=1
	v_dual_mov_b32 v24, s7 :: v_dual_mov_b32 v23, s6
	s_and_b32 s2, exec_lo, s28
	s_delay_alu instid0(SALU_CYCLE_1) | instskip(NEXT) | instid1(SALU_CYCLE_1)
	s_or_b32 s26, s2, s26
	s_and_not1_b32 exec_lo, exec_lo, s26
	s_cbranch_execz .LBB569_200
.LBB569_197:                            ; =>This Inner Loop Header: Depth=1
	s_or_b32 s28, s28, exec_lo
	s_cmp_eq_u64 s[4:5], s[6:7]
	s_cbranch_scc0 .LBB569_195
; %bb.198:                              ;   in Loop: Header=BB569_197 Depth=1
	s_mov_b64 s[6:7], s[22:23]
                                        ; implicit-def: $vgpr19_vgpr20
                                        ; implicit-def: $vgpr21_vgpr22
	s_branch .LBB569_196
.LBB569_199:
	s_waitcnt lgkmcnt(0)
                                        ; implicit-def: $sgpr2
                                        ; implicit-def: $vgpr18
	s_cbranch_execnz .LBB569_268
	s_branch .LBB569_359
.LBB569_200:
	s_set_inst_prefetch_distance 0x2
	s_or_b32 exec_lo, exec_lo, s26
	v_cmp_gt_i64_e32 vcc_lo, s[22:23], v[23:24]
	s_or_not1_b32 s26, vcc_lo, exec_lo
.LBB569_201:
	s_or_b32 exec_lo, exec_lo, s27
.LBB569_202:
	v_mul_lo_u32 v21, v8, s22
	v_mul_lo_u32 v22, v7, s23
	v_mad_u64_u32 v[19:20], null, v7, s22, 0
	s_and_not1_b32 vcc_lo, exec_lo, s3
	s_delay_alu instid0(VALU_DEP_1) | instskip(NEXT) | instid1(VALU_DEP_1)
	v_add3_u32 v20, v20, v22, v21
	v_lshlrev_b64 v[19:20], 3, v[19:20]
	s_cbranch_vccnz .LBB569_211
; %bb.203:
	s_delay_alu instid0(VALU_DEP_1) | instskip(NEXT) | instid1(VALU_DEP_2)
	v_add_co_u32 v21, vcc_lo, s8, v19
	v_add_co_ci_u32_e32 v22, vcc_lo, s9, v20, vcc_lo
	v_add_co_u32 v17, vcc_lo, s8, v17
	v_add_co_ci_u32_e32 v18, vcc_lo, s9, v18, vcc_lo
	s_mov_b32 s19, -1
	s_clause 0x1
	global_load_b64 v[23:24], v[21:22], off
	global_load_b64 v[25:26], v[17:18], off
	s_mov_b32 s27, exec_lo
	s_waitcnt vmcnt(0)
	v_cmpx_eq_u64_e64 v[23:24], v[25:26]
	s_cbranch_execz .LBB569_210
; %bb.204:
	v_add_co_u32 v17, vcc_lo, v17, 8
	v_add_co_ci_u32_e32 v18, vcc_lo, 0, v18, vcc_lo
	v_add_co_u32 v21, vcc_lo, v21, 8
	v_add_co_ci_u32_e32 v22, vcc_lo, 0, v22, vcc_lo
	s_add_u32 s4, s22, -1
	s_addc_u32 s5, s23, -1
	s_mov_b64 s[6:7], 0
	s_mov_b32 s19, 0
                                        ; implicit-def: $sgpr28
	s_set_inst_prefetch_distance 0x1
	s_branch .LBB569_207
	.p2align	6
.LBB569_205:                            ;   in Loop: Header=BB569_207 Depth=1
	global_load_b64 v[23:24], v[21:22], off
	global_load_b64 v[25:26], v[17:18], off
	v_add_co_u32 v17, vcc_lo, v17, 8
	v_add_co_ci_u32_e32 v18, vcc_lo, 0, v18, vcc_lo
	v_add_co_u32 v21, s2, v21, 8
	s_delay_alu instid0(VALU_DEP_1)
	v_add_co_ci_u32_e64 v22, s2, 0, v22, s2
	s_add_u32 s6, s6, 1
	s_addc_u32 s7, s7, 0
	s_and_not1_b32 s2, s28, exec_lo
	s_waitcnt vmcnt(0)
	v_cmp_ne_u64_e32 vcc_lo, v[23:24], v[25:26]
	s_and_b32 s28, vcc_lo, exec_lo
	s_delay_alu instid0(SALU_CYCLE_1)
	s_or_b32 s28, s2, s28
.LBB569_206:                            ;   in Loop: Header=BB569_207 Depth=1
	v_dual_mov_b32 v24, s7 :: v_dual_mov_b32 v23, s6
	s_and_b32 s2, exec_lo, s28
	s_delay_alu instid0(SALU_CYCLE_1) | instskip(NEXT) | instid1(SALU_CYCLE_1)
	s_or_b32 s19, s2, s19
	s_and_not1_b32 exec_lo, exec_lo, s19
	s_cbranch_execz .LBB569_209
.LBB569_207:                            ; =>This Inner Loop Header: Depth=1
	s_or_b32 s28, s28, exec_lo
	s_cmp_eq_u64 s[4:5], s[6:7]
	s_cbranch_scc0 .LBB569_205
; %bb.208:                              ;   in Loop: Header=BB569_207 Depth=1
	s_mov_b64 s[6:7], s[22:23]
                                        ; implicit-def: $vgpr17_vgpr18
                                        ; implicit-def: $vgpr21_vgpr22
	s_branch .LBB569_206
.LBB569_209:
	s_set_inst_prefetch_distance 0x2
	s_or_b32 exec_lo, exec_lo, s19
	v_cmp_gt_i64_e32 vcc_lo, s[22:23], v[23:24]
	s_or_not1_b32 s19, vcc_lo, exec_lo
.LBB569_210:
	s_or_b32 exec_lo, exec_lo, s27
.LBB569_211:
	v_mul_lo_u32 v21, v6, s22
	v_mul_lo_u32 v22, v5, s23
	v_mad_u64_u32 v[17:18], null, v5, s22, 0
	s_mov_b32 s27, 0
	s_and_not1_b32 vcc_lo, exec_lo, s3
	s_mov_b32 s28, 0
	s_delay_alu instid0(VALU_DEP_1) | instskip(NEXT) | instid1(VALU_DEP_1)
	v_add3_u32 v18, v18, v22, v21
	v_lshlrev_b64 v[21:22], 3, v[17:18]
	s_cbranch_vccnz .LBB569_220
; %bb.212:
	s_delay_alu instid0(VALU_DEP_1) | instskip(NEXT) | instid1(VALU_DEP_2)
	v_add_co_u32 v23, vcc_lo, s8, v21
	v_add_co_ci_u32_e32 v24, vcc_lo, s9, v22, vcc_lo
	v_add_co_u32 v17, vcc_lo, s8, v19
	v_add_co_ci_u32_e32 v18, vcc_lo, s9, v20, vcc_lo
	s_mov_b32 s28, -1
	s_clause 0x1
	global_load_b64 v[19:20], v[23:24], off
	global_load_b64 v[25:26], v[17:18], off
	s_mov_b32 s29, exec_lo
	s_waitcnt vmcnt(0)
	v_cmpx_eq_u64_e64 v[19:20], v[25:26]
	s_cbranch_execz .LBB569_219
; %bb.213:
	v_add_co_u32 v17, vcc_lo, v17, 8
	v_add_co_ci_u32_e32 v18, vcc_lo, 0, v18, vcc_lo
	v_add_co_u32 v19, vcc_lo, v23, 8
	v_add_co_ci_u32_e32 v20, vcc_lo, 0, v24, vcc_lo
	s_add_u32 s4, s22, -1
	s_addc_u32 s5, s23, -1
	s_mov_b64 s[6:7], 0
	s_mov_b32 s28, 0
                                        ; implicit-def: $sgpr30
	s_set_inst_prefetch_distance 0x1
	s_branch .LBB569_216
	.p2align	6
.LBB569_214:                            ;   in Loop: Header=BB569_216 Depth=1
	global_load_b64 v[23:24], v[19:20], off
	global_load_b64 v[25:26], v[17:18], off
	v_add_co_u32 v17, vcc_lo, v17, 8
	v_add_co_ci_u32_e32 v18, vcc_lo, 0, v18, vcc_lo
	v_add_co_u32 v19, s2, v19, 8
	s_delay_alu instid0(VALU_DEP_1)
	v_add_co_ci_u32_e64 v20, s2, 0, v20, s2
	s_add_u32 s6, s6, 1
	s_addc_u32 s7, s7, 0
	s_and_not1_b32 s2, s30, exec_lo
	s_waitcnt vmcnt(0)
	v_cmp_ne_u64_e32 vcc_lo, v[23:24], v[25:26]
	s_and_b32 s30, vcc_lo, exec_lo
	s_delay_alu instid0(SALU_CYCLE_1)
	s_or_b32 s30, s2, s30
.LBB569_215:                            ;   in Loop: Header=BB569_216 Depth=1
	v_dual_mov_b32 v24, s7 :: v_dual_mov_b32 v23, s6
	s_and_b32 s2, exec_lo, s30
	s_delay_alu instid0(SALU_CYCLE_1) | instskip(NEXT) | instid1(SALU_CYCLE_1)
	s_or_b32 s28, s2, s28
	s_and_not1_b32 exec_lo, exec_lo, s28
	s_cbranch_execz .LBB569_218
.LBB569_216:                            ; =>This Inner Loop Header: Depth=1
	s_or_b32 s30, s30, exec_lo
	s_cmp_eq_u64 s[4:5], s[6:7]
	s_cbranch_scc0 .LBB569_214
; %bb.217:                              ;   in Loop: Header=BB569_216 Depth=1
	s_mov_b64 s[6:7], s[22:23]
                                        ; implicit-def: $vgpr17_vgpr18
                                        ; implicit-def: $vgpr19_vgpr20
	s_branch .LBB569_215
.LBB569_218:
	s_set_inst_prefetch_distance 0x2
	s_or_b32 exec_lo, exec_lo, s28
	v_cmp_gt_i64_e32 vcc_lo, s[22:23], v[23:24]
	s_or_not1_b32 s28, vcc_lo, exec_lo
.LBB569_219:
	s_or_b32 exec_lo, exec_lo, s29
.LBB569_220:
	v_mul_lo_u32 v19, v12, s22
	v_mul_lo_u32 v20, v11, s23
	v_mad_u64_u32 v[17:18], null, v11, s22, 0
	s_and_not1_b32 vcc_lo, exec_lo, s3
	s_delay_alu instid0(VALU_DEP_1) | instskip(NEXT) | instid1(VALU_DEP_1)
	v_add3_u32 v18, v18, v20, v19
	v_lshlrev_b64 v[17:18], 3, v[17:18]
	s_cbranch_vccnz .LBB569_229
; %bb.221:
	s_delay_alu instid0(VALU_DEP_1) | instskip(NEXT) | instid1(VALU_DEP_2)
	v_add_co_u32 v23, vcc_lo, s8, v17
	v_add_co_ci_u32_e32 v24, vcc_lo, s9, v18, vcc_lo
	v_add_co_u32 v19, vcc_lo, s8, v21
	v_add_co_ci_u32_e32 v20, vcc_lo, s9, v22, vcc_lo
	s_mov_b32 s27, -1
	s_clause 0x1
	global_load_b64 v[21:22], v[23:24], off
	global_load_b64 v[25:26], v[19:20], off
	s_mov_b32 s29, exec_lo
	s_waitcnt vmcnt(0)
	v_cmpx_eq_u64_e64 v[21:22], v[25:26]
	s_cbranch_execz .LBB569_228
; %bb.222:
	v_add_co_u32 v19, vcc_lo, v19, 8
	v_add_co_ci_u32_e32 v20, vcc_lo, 0, v20, vcc_lo
	v_add_co_u32 v21, vcc_lo, v23, 8
	v_add_co_ci_u32_e32 v22, vcc_lo, 0, v24, vcc_lo
	s_add_u32 s4, s22, -1
	s_addc_u32 s5, s23, -1
	s_mov_b64 s[6:7], 0
	s_mov_b32 s27, 0
                                        ; implicit-def: $sgpr30
	s_set_inst_prefetch_distance 0x1
	s_branch .LBB569_225
	.p2align	6
.LBB569_223:                            ;   in Loop: Header=BB569_225 Depth=1
	global_load_b64 v[23:24], v[21:22], off
	global_load_b64 v[25:26], v[19:20], off
	v_add_co_u32 v19, vcc_lo, v19, 8
	v_add_co_ci_u32_e32 v20, vcc_lo, 0, v20, vcc_lo
	v_add_co_u32 v21, s2, v21, 8
	s_delay_alu instid0(VALU_DEP_1)
	v_add_co_ci_u32_e64 v22, s2, 0, v22, s2
	s_add_u32 s6, s6, 1
	s_addc_u32 s7, s7, 0
	s_and_not1_b32 s2, s30, exec_lo
	s_waitcnt vmcnt(0)
	v_cmp_ne_u64_e32 vcc_lo, v[23:24], v[25:26]
	s_and_b32 s30, vcc_lo, exec_lo
	s_delay_alu instid0(SALU_CYCLE_1)
	s_or_b32 s30, s2, s30
.LBB569_224:                            ;   in Loop: Header=BB569_225 Depth=1
	v_dual_mov_b32 v24, s7 :: v_dual_mov_b32 v23, s6
	s_and_b32 s2, exec_lo, s30
	s_delay_alu instid0(SALU_CYCLE_1) | instskip(NEXT) | instid1(SALU_CYCLE_1)
	s_or_b32 s27, s2, s27
	s_and_not1_b32 exec_lo, exec_lo, s27
	s_cbranch_execz .LBB569_227
.LBB569_225:                            ; =>This Inner Loop Header: Depth=1
	s_or_b32 s30, s30, exec_lo
	s_cmp_eq_u64 s[4:5], s[6:7]
	s_cbranch_scc0 .LBB569_223
; %bb.226:                              ;   in Loop: Header=BB569_225 Depth=1
	s_mov_b64 s[6:7], s[22:23]
                                        ; implicit-def: $vgpr19_vgpr20
                                        ; implicit-def: $vgpr21_vgpr22
	s_branch .LBB569_224
.LBB569_227:
	s_set_inst_prefetch_distance 0x2
	s_or_b32 exec_lo, exec_lo, s27
	v_cmp_gt_i64_e32 vcc_lo, s[22:23], v[23:24]
	s_or_not1_b32 s27, vcc_lo, exec_lo
.LBB569_228:
	s_or_b32 exec_lo, exec_lo, s29
.LBB569_229:
	v_mul_lo_u32 v21, v10, s22
	v_mul_lo_u32 v22, v9, s23
	v_mad_u64_u32 v[19:20], null, v9, s22, 0
	s_mov_b32 s29, 0
	s_and_not1_b32 vcc_lo, exec_lo, s3
	s_mov_b32 s30, 0
	s_delay_alu instid0(VALU_DEP_1) | instskip(NEXT) | instid1(VALU_DEP_1)
	v_add3_u32 v20, v20, v22, v21
	v_lshlrev_b64 v[19:20], 3, v[19:20]
	s_cbranch_vccnz .LBB569_238
; %bb.230:
	s_delay_alu instid0(VALU_DEP_1) | instskip(NEXT) | instid1(VALU_DEP_2)
	v_add_co_u32 v21, vcc_lo, s8, v19
	v_add_co_ci_u32_e32 v22, vcc_lo, s9, v20, vcc_lo
	v_add_co_u32 v17, vcc_lo, s8, v17
	v_add_co_ci_u32_e32 v18, vcc_lo, s9, v18, vcc_lo
	s_mov_b32 s30, -1
	s_clause 0x1
	global_load_b64 v[23:24], v[21:22], off
	global_load_b64 v[25:26], v[17:18], off
	s_mov_b32 s31, exec_lo
	s_waitcnt vmcnt(0)
	v_cmpx_eq_u64_e64 v[23:24], v[25:26]
	s_cbranch_execz .LBB569_237
; %bb.231:
	v_add_co_u32 v17, vcc_lo, v17, 8
	v_add_co_ci_u32_e32 v18, vcc_lo, 0, v18, vcc_lo
	v_add_co_u32 v21, vcc_lo, v21, 8
	v_add_co_ci_u32_e32 v22, vcc_lo, 0, v22, vcc_lo
	s_add_u32 s4, s22, -1
	s_addc_u32 s5, s23, -1
	s_mov_b64 s[6:7], 0
	s_mov_b32 s30, 0
                                        ; implicit-def: $sgpr33
	s_set_inst_prefetch_distance 0x1
	s_branch .LBB569_234
	.p2align	6
.LBB569_232:                            ;   in Loop: Header=BB569_234 Depth=1
	global_load_b64 v[23:24], v[21:22], off
	global_load_b64 v[25:26], v[17:18], off
	v_add_co_u32 v17, vcc_lo, v17, 8
	v_add_co_ci_u32_e32 v18, vcc_lo, 0, v18, vcc_lo
	v_add_co_u32 v21, s2, v21, 8
	s_delay_alu instid0(VALU_DEP_1)
	v_add_co_ci_u32_e64 v22, s2, 0, v22, s2
	s_add_u32 s6, s6, 1
	s_addc_u32 s7, s7, 0
	s_and_not1_b32 s2, s33, exec_lo
	s_waitcnt vmcnt(0)
	v_cmp_ne_u64_e32 vcc_lo, v[23:24], v[25:26]
	s_and_b32 s33, vcc_lo, exec_lo
	s_delay_alu instid0(SALU_CYCLE_1)
	s_or_b32 s33, s2, s33
.LBB569_233:                            ;   in Loop: Header=BB569_234 Depth=1
	v_dual_mov_b32 v24, s7 :: v_dual_mov_b32 v23, s6
	s_and_b32 s2, exec_lo, s33
	s_delay_alu instid0(SALU_CYCLE_1) | instskip(NEXT) | instid1(SALU_CYCLE_1)
	s_or_b32 s30, s2, s30
	s_and_not1_b32 exec_lo, exec_lo, s30
	s_cbranch_execz .LBB569_236
.LBB569_234:                            ; =>This Inner Loop Header: Depth=1
	s_or_b32 s33, s33, exec_lo
	s_cmp_eq_u64 s[4:5], s[6:7]
	s_cbranch_scc0 .LBB569_232
; %bb.235:                              ;   in Loop: Header=BB569_234 Depth=1
	s_mov_b64 s[6:7], s[22:23]
                                        ; implicit-def: $vgpr17_vgpr18
                                        ; implicit-def: $vgpr21_vgpr22
	s_branch .LBB569_233
.LBB569_236:
	s_set_inst_prefetch_distance 0x2
	s_or_b32 exec_lo, exec_lo, s30
	v_cmp_gt_i64_e32 vcc_lo, s[22:23], v[23:24]
	s_or_not1_b32 s30, vcc_lo, exec_lo
.LBB569_237:
	s_or_b32 exec_lo, exec_lo, s31
.LBB569_238:
	v_mul_lo_u32 v21, v16, s22
	v_mul_lo_u32 v22, v15, s23
	v_mad_u64_u32 v[17:18], null, v15, s22, 0
	s_and_not1_b32 vcc_lo, exec_lo, s3
	s_delay_alu instid0(VALU_DEP_1) | instskip(NEXT) | instid1(VALU_DEP_1)
	v_add3_u32 v18, v18, v22, v21
	v_lshlrev_b64 v[17:18], 3, v[17:18]
	s_cbranch_vccnz .LBB569_247
; %bb.239:
	s_delay_alu instid0(VALU_DEP_1) | instskip(NEXT) | instid1(VALU_DEP_2)
	v_add_co_u32 v21, vcc_lo, s8, v17
	v_add_co_ci_u32_e32 v22, vcc_lo, s9, v18, vcc_lo
	v_add_co_u32 v19, vcc_lo, s8, v19
	v_add_co_ci_u32_e32 v20, vcc_lo, s9, v20, vcc_lo
	s_mov_b32 s29, -1
	s_clause 0x1
	global_load_b64 v[23:24], v[21:22], off
	global_load_b64 v[25:26], v[19:20], off
	s_mov_b32 s31, exec_lo
	s_waitcnt vmcnt(0)
	v_cmpx_eq_u64_e64 v[23:24], v[25:26]
	s_cbranch_execz .LBB569_246
; %bb.240:
	v_add_co_u32 v19, vcc_lo, v19, 8
	v_add_co_ci_u32_e32 v20, vcc_lo, 0, v20, vcc_lo
	v_add_co_u32 v21, vcc_lo, v21, 8
	v_add_co_ci_u32_e32 v22, vcc_lo, 0, v22, vcc_lo
	s_add_u32 s4, s22, -1
	s_addc_u32 s5, s23, -1
	s_mov_b64 s[6:7], 0
	s_mov_b32 s29, 0
                                        ; implicit-def: $sgpr33
	s_set_inst_prefetch_distance 0x1
	s_branch .LBB569_243
	.p2align	6
.LBB569_241:                            ;   in Loop: Header=BB569_243 Depth=1
	global_load_b64 v[23:24], v[21:22], off
	global_load_b64 v[25:26], v[19:20], off
	v_add_co_u32 v19, vcc_lo, v19, 8
	v_add_co_ci_u32_e32 v20, vcc_lo, 0, v20, vcc_lo
	v_add_co_u32 v21, s2, v21, 8
	s_delay_alu instid0(VALU_DEP_1)
	v_add_co_ci_u32_e64 v22, s2, 0, v22, s2
	s_add_u32 s6, s6, 1
	s_addc_u32 s7, s7, 0
	s_and_not1_b32 s2, s33, exec_lo
	s_waitcnt vmcnt(0)
	v_cmp_ne_u64_e32 vcc_lo, v[23:24], v[25:26]
	s_and_b32 s33, vcc_lo, exec_lo
	s_delay_alu instid0(SALU_CYCLE_1)
	s_or_b32 s33, s2, s33
.LBB569_242:                            ;   in Loop: Header=BB569_243 Depth=1
	v_dual_mov_b32 v24, s7 :: v_dual_mov_b32 v23, s6
	s_and_b32 s2, exec_lo, s33
	s_delay_alu instid0(SALU_CYCLE_1) | instskip(NEXT) | instid1(SALU_CYCLE_1)
	s_or_b32 s29, s2, s29
	s_and_not1_b32 exec_lo, exec_lo, s29
	s_cbranch_execz .LBB569_245
.LBB569_243:                            ; =>This Inner Loop Header: Depth=1
	s_or_b32 s33, s33, exec_lo
	s_cmp_eq_u64 s[4:5], s[6:7]
	s_cbranch_scc0 .LBB569_241
; %bb.244:                              ;   in Loop: Header=BB569_243 Depth=1
	s_mov_b64 s[6:7], s[22:23]
                                        ; implicit-def: $vgpr19_vgpr20
                                        ; implicit-def: $vgpr21_vgpr22
	s_branch .LBB569_242
.LBB569_245:
	s_set_inst_prefetch_distance 0x2
	s_or_b32 exec_lo, exec_lo, s29
	v_cmp_gt_i64_e32 vcc_lo, s[22:23], v[23:24]
	s_or_not1_b32 s29, vcc_lo, exec_lo
.LBB569_246:
	s_or_b32 exec_lo, exec_lo, s31
.LBB569_247:
	v_mul_lo_u32 v21, v14, s22
	v_mul_lo_u32 v22, v13, s23
	v_mad_u64_u32 v[19:20], null, v13, s22, 0
	s_and_not1_b32 vcc_lo, exec_lo, s3
	s_mov_b32 s2, 0
	s_delay_alu instid0(VALU_DEP_1)
	v_add3_u32 v20, v20, v22, v21
	s_cbranch_vccnz .LBB569_256
; %bb.248:
	s_delay_alu instid0(VALU_DEP_1) | instskip(SKIP_2) | instid1(VALU_DEP_1)
	v_lshlrev_b64 v[21:22], 3, v[19:20]
	s_mov_b32 s2, -1
	s_mov_b32 s31, exec_lo
	v_add_co_u32 v21, vcc_lo, s8, v21
	s_delay_alu instid0(VALU_DEP_2)
	v_add_co_ci_u32_e32 v22, vcc_lo, s9, v22, vcc_lo
	v_add_co_u32 v17, vcc_lo, s8, v17
	v_add_co_ci_u32_e32 v18, vcc_lo, s9, v18, vcc_lo
	s_clause 0x1
	global_load_b64 v[23:24], v[21:22], off
	global_load_b64 v[25:26], v[17:18], off
	s_waitcnt vmcnt(0)
	v_cmpx_eq_u64_e64 v[23:24], v[25:26]
	s_cbranch_execz .LBB569_255
; %bb.249:
	v_add_co_u32 v17, vcc_lo, v17, 8
	v_add_co_ci_u32_e32 v18, vcc_lo, 0, v18, vcc_lo
	v_add_co_u32 v21, vcc_lo, v21, 8
	v_add_co_ci_u32_e32 v22, vcc_lo, 0, v22, vcc_lo
	s_add_u32 s4, s22, -1
	s_addc_u32 s5, s23, -1
	s_mov_b64 s[6:7], 0
	s_mov_b32 s33, 0
                                        ; implicit-def: $sgpr34
	s_set_inst_prefetch_distance 0x1
	s_branch .LBB569_252
	.p2align	6
.LBB569_250:                            ;   in Loop: Header=BB569_252 Depth=1
	global_load_b64 v[23:24], v[21:22], off
	global_load_b64 v[25:26], v[17:18], off
	v_add_co_u32 v17, vcc_lo, v17, 8
	v_add_co_ci_u32_e32 v18, vcc_lo, 0, v18, vcc_lo
	v_add_co_u32 v21, s2, v21, 8
	s_delay_alu instid0(VALU_DEP_1)
	v_add_co_ci_u32_e64 v22, s2, 0, v22, s2
	s_add_u32 s6, s6, 1
	s_addc_u32 s7, s7, 0
	s_and_not1_b32 s2, s34, exec_lo
	s_waitcnt vmcnt(0)
	v_cmp_ne_u64_e32 vcc_lo, v[23:24], v[25:26]
	s_and_b32 s34, vcc_lo, exec_lo
	s_delay_alu instid0(SALU_CYCLE_1)
	s_or_b32 s34, s2, s34
.LBB569_251:                            ;   in Loop: Header=BB569_252 Depth=1
	v_dual_mov_b32 v24, s7 :: v_dual_mov_b32 v23, s6
	s_and_b32 s2, exec_lo, s34
	s_delay_alu instid0(SALU_CYCLE_1) | instskip(NEXT) | instid1(SALU_CYCLE_1)
	s_or_b32 s33, s2, s33
	s_and_not1_b32 exec_lo, exec_lo, s33
	s_cbranch_execz .LBB569_254
.LBB569_252:                            ; =>This Inner Loop Header: Depth=1
	s_or_b32 s34, s34, exec_lo
	s_cmp_eq_u64 s[4:5], s[6:7]
	s_cbranch_scc0 .LBB569_250
; %bb.253:                              ;   in Loop: Header=BB569_252 Depth=1
	s_mov_b64 s[6:7], s[22:23]
                                        ; implicit-def: $vgpr17_vgpr18
                                        ; implicit-def: $vgpr21_vgpr22
	s_branch .LBB569_251
.LBB569_254:
	s_set_inst_prefetch_distance 0x2
	s_or_b32 exec_lo, exec_lo, s33
	v_cmp_gt_i64_e32 vcc_lo, s[22:23], v[23:24]
	s_or_not1_b32 s2, vcc_lo, exec_lo
.LBB569_255:
	s_or_b32 exec_lo, exec_lo, s31
.LBB569_256:
	v_cndmask_b32_e64 v18, 0, 1, s30
	v_cndmask_b32_e64 v21, 0, 1, s28
	;; [unrolled: 1-line block ×7, first 2 shown]
	v_lshlrev_b16 v21, 8, v21
	v_lshlrev_b16 v22, 8, v22
	;; [unrolled: 1-line block ×4, first 2 shown]
	s_delay_alu instid0(VALU_DEP_4) | instskip(NEXT) | instid1(VALU_DEP_4)
	v_or_b32_e32 v21, v24, v21
	v_or_b32_e32 v22, v25, v22
	s_delay_alu instid0(VALU_DEP_4) | instskip(NEXT) | instid1(VALU_DEP_4)
	v_or_b32_e32 v23, 1, v23
	v_or_b32_e32 v17, v17, v18
	s_barrier
	v_and_b32_e32 v18, 0xffff, v21
	v_lshlrev_b32_e32 v21, 16, v22
	v_and_b32_e32 v22, 0xffff, v23
	v_lshlrev_b32_e32 v17, 16, v17
	buffer_gl0_inv
                                        ; implicit-def: $sgpr2
	s_mov_b32 s4, exec_lo
	v_or_b32_e32 v18, v18, v21
	v_or_b32_e32 v17, v22, v17
	v_cmpx_ne_u32_e32 0, v0
	s_xor_b32 s19, exec_lo, s4
	s_cbranch_execz .LBB569_267
; %bb.257:
	s_and_not1_b32 vcc_lo, exec_lo, s3
	s_mov_b32 s2, 0
	s_cbranch_vccnz .LBB569_266
; %bb.258:
	v_add_nc_u32_e32 v21, -8, v39
	v_lshlrev_b64 v[19:20], 3, v[19:20]
	s_mov_b32 s2, -1
	s_mov_b32 s26, exec_lo
	ds_load_b64 v[21:22], v21
	s_waitcnt lgkmcnt(0)
	v_mul_lo_u32 v24, v22, s22
	v_mul_lo_u32 v25, v21, s23
	v_mad_u64_u32 v[22:23], null, v21, s22, 0
	s_delay_alu instid0(VALU_DEP_1) | instskip(NEXT) | instid1(VALU_DEP_1)
	v_add3_u32 v23, v23, v25, v24
	v_lshlrev_b64 v[21:22], 3, v[22:23]
	s_delay_alu instid0(VALU_DEP_1) | instskip(NEXT) | instid1(VALU_DEP_2)
	v_add_co_u32 v21, vcc_lo, s8, v21
	v_add_co_ci_u32_e32 v22, vcc_lo, s9, v22, vcc_lo
	v_add_co_u32 v19, vcc_lo, s8, v19
	v_add_co_ci_u32_e32 v20, vcc_lo, s9, v20, vcc_lo
	s_clause 0x1
	global_load_b64 v[23:24], v[21:22], off
	global_load_b64 v[25:26], v[19:20], off
	s_waitcnt vmcnt(0)
	v_cmpx_eq_u64_e64 v[23:24], v[25:26]
	s_cbranch_execz .LBB569_265
; %bb.259:
	v_add_co_u32 v19, vcc_lo, v19, 8
	v_add_co_ci_u32_e32 v20, vcc_lo, 0, v20, vcc_lo
	v_add_co_u32 v21, vcc_lo, v21, 8
	v_add_co_ci_u32_e32 v22, vcc_lo, 0, v22, vcc_lo
	s_add_u32 s4, s22, -1
	s_addc_u32 s5, s23, -1
	s_mov_b64 s[6:7], 0
	s_mov_b32 s27, 0
                                        ; implicit-def: $sgpr28
	s_set_inst_prefetch_distance 0x1
	s_branch .LBB569_262
	.p2align	6
.LBB569_260:                            ;   in Loop: Header=BB569_262 Depth=1
	global_load_b64 v[23:24], v[21:22], off
	global_load_b64 v[25:26], v[19:20], off
	v_add_co_u32 v19, vcc_lo, v19, 8
	v_add_co_ci_u32_e32 v20, vcc_lo, 0, v20, vcc_lo
	v_add_co_u32 v21, s2, v21, 8
	s_delay_alu instid0(VALU_DEP_1)
	v_add_co_ci_u32_e64 v22, s2, 0, v22, s2
	s_add_u32 s6, s6, 1
	s_addc_u32 s7, s7, 0
	s_and_not1_b32 s2, s28, exec_lo
	s_waitcnt vmcnt(0)
	v_cmp_ne_u64_e32 vcc_lo, v[23:24], v[25:26]
	s_and_b32 s28, vcc_lo, exec_lo
	s_delay_alu instid0(SALU_CYCLE_1)
	s_or_b32 s28, s2, s28
.LBB569_261:                            ;   in Loop: Header=BB569_262 Depth=1
	v_dual_mov_b32 v24, s7 :: v_dual_mov_b32 v23, s6
	s_and_b32 s2, exec_lo, s28
	s_delay_alu instid0(SALU_CYCLE_1) | instskip(NEXT) | instid1(SALU_CYCLE_1)
	s_or_b32 s27, s2, s27
	s_and_not1_b32 exec_lo, exec_lo, s27
	s_cbranch_execz .LBB569_264
.LBB569_262:                            ; =>This Inner Loop Header: Depth=1
	s_or_b32 s28, s28, exec_lo
	s_cmp_eq_u64 s[4:5], s[6:7]
	s_cbranch_scc0 .LBB569_260
; %bb.263:                              ;   in Loop: Header=BB569_262 Depth=1
	s_mov_b64 s[6:7], s[22:23]
                                        ; implicit-def: $vgpr19_vgpr20
                                        ; implicit-def: $vgpr21_vgpr22
	s_branch .LBB569_261
.LBB569_264:
	s_set_inst_prefetch_distance 0x2
	s_or_b32 exec_lo, exec_lo, s27
	v_cmp_gt_i64_e32 vcc_lo, s[22:23], v[23:24]
	s_or_not1_b32 s2, vcc_lo, exec_lo
.LBB569_265:
	s_or_b32 exec_lo, exec_lo, s26
.LBB569_266:
	s_delay_alu instid0(SALU_CYCLE_1)
	s_and_b32 s2, s2, exec_lo
	s_or_b32 s18, s18, exec_lo
.LBB569_267:
	s_or_b32 exec_lo, exec_lo, s19
	s_branch .LBB569_359
.LBB569_268:
	v_or_b32_e32 v17, 7, v39
	s_mov_b32 s19, 0
	s_mov_b32 s26, 0
	s_mov_b32 s27, exec_lo
	s_delay_alu instid0(VALU_DEP_1)
	v_cmpx_gt_u32_e64 s20, v17
	s_cbranch_execz .LBB569_279
; %bb.269:
	s_and_not1_b32 vcc_lo, exec_lo, s3
	s_mov_b32 s2, 0
	s_cbranch_vccnz .LBB569_278
; %bb.270:
	v_mul_lo_u32 v21, v2, s22
	v_mul_lo_u32 v22, v1, s23
	v_mad_u64_u32 v[17:18], null, v1, s22, 0
	v_mul_lo_u32 v23, v4, s22
	v_mul_lo_u32 v24, v3, s23
	v_mad_u64_u32 v[19:20], null, v3, s22, 0
	s_mov_b32 s2, -1
	s_mov_b32 s26, exec_lo
	s_delay_alu instid0(VALU_DEP_4) | instskip(NEXT) | instid1(VALU_DEP_2)
	v_add3_u32 v18, v18, v22, v21
	v_add3_u32 v20, v20, v24, v23
	s_delay_alu instid0(VALU_DEP_2) | instskip(NEXT) | instid1(VALU_DEP_2)
	v_lshlrev_b64 v[17:18], 3, v[17:18]
	v_lshlrev_b64 v[21:22], 3, v[19:20]
	s_delay_alu instid0(VALU_DEP_2) | instskip(NEXT) | instid1(VALU_DEP_3)
	v_add_co_u32 v19, vcc_lo, s8, v17
	v_add_co_ci_u32_e32 v20, vcc_lo, s9, v18, vcc_lo
	s_delay_alu instid0(VALU_DEP_3) | instskip(NEXT) | instid1(VALU_DEP_4)
	v_add_co_u32 v17, vcc_lo, s8, v21
	v_add_co_ci_u32_e32 v18, vcc_lo, s9, v22, vcc_lo
	s_clause 0x1
	global_load_b64 v[21:22], v[19:20], off
	global_load_b64 v[23:24], v[17:18], off
	s_waitcnt vmcnt(0)
	v_cmpx_eq_u64_e64 v[21:22], v[23:24]
	s_cbranch_execz .LBB569_277
; %bb.271:
	v_add_co_u32 v17, vcc_lo, v17, 8
	v_add_co_ci_u32_e32 v18, vcc_lo, 0, v18, vcc_lo
	v_add_co_u32 v19, vcc_lo, v19, 8
	v_add_co_ci_u32_e32 v20, vcc_lo, 0, v20, vcc_lo
	s_add_u32 s4, s22, -1
	s_addc_u32 s5, s23, -1
	s_mov_b64 s[6:7], 0
	s_mov_b32 s28, 0
                                        ; implicit-def: $sgpr29
	s_set_inst_prefetch_distance 0x1
	s_branch .LBB569_274
	.p2align	6
.LBB569_272:                            ;   in Loop: Header=BB569_274 Depth=1
	global_load_b64 v[21:22], v[19:20], off
	global_load_b64 v[23:24], v[17:18], off
	v_add_co_u32 v17, vcc_lo, v17, 8
	v_add_co_ci_u32_e32 v18, vcc_lo, 0, v18, vcc_lo
	v_add_co_u32 v19, s2, v19, 8
	s_delay_alu instid0(VALU_DEP_1)
	v_add_co_ci_u32_e64 v20, s2, 0, v20, s2
	s_add_u32 s6, s6, 1
	s_addc_u32 s7, s7, 0
	s_and_not1_b32 s2, s29, exec_lo
	s_waitcnt vmcnt(0)
	v_cmp_ne_u64_e32 vcc_lo, v[21:22], v[23:24]
	s_and_b32 s29, vcc_lo, exec_lo
	s_delay_alu instid0(SALU_CYCLE_1)
	s_or_b32 s29, s2, s29
.LBB569_273:                            ;   in Loop: Header=BB569_274 Depth=1
	v_dual_mov_b32 v22, s7 :: v_dual_mov_b32 v21, s6
	s_and_b32 s2, exec_lo, s29
	s_delay_alu instid0(SALU_CYCLE_1) | instskip(NEXT) | instid1(SALU_CYCLE_1)
	s_or_b32 s28, s2, s28
	s_and_not1_b32 exec_lo, exec_lo, s28
	s_cbranch_execz .LBB569_276
.LBB569_274:                            ; =>This Inner Loop Header: Depth=1
	s_or_b32 s29, s29, exec_lo
	s_cmp_eq_u64 s[4:5], s[6:7]
	s_cbranch_scc0 .LBB569_272
; %bb.275:                              ;   in Loop: Header=BB569_274 Depth=1
	s_mov_b64 s[6:7], s[22:23]
                                        ; implicit-def: $vgpr17_vgpr18
                                        ; implicit-def: $vgpr19_vgpr20
	s_branch .LBB569_273
.LBB569_276:
	s_set_inst_prefetch_distance 0x2
	s_or_b32 exec_lo, exec_lo, s28
	v_cmp_gt_i64_e32 vcc_lo, s[22:23], v[21:22]
	s_or_not1_b32 s2, vcc_lo, exec_lo
.LBB569_277:
	s_or_b32 exec_lo, exec_lo, s26
.LBB569_278:
	s_delay_alu instid0(SALU_CYCLE_1)
	s_and_b32 s26, s2, exec_lo
.LBB569_279:
	s_or_b32 exec_lo, exec_lo, s27
	v_or_b32_e32 v17, 6, v39
	s_mov_b32 s27, exec_lo
	s_delay_alu instid0(VALU_DEP_1)
	v_cmpx_gt_u32_e64 s20, v17
	s_cbranch_execz .LBB569_290
; %bb.280:
	s_and_not1_b32 vcc_lo, exec_lo, s3
	s_mov_b32 s2, 0
	s_cbranch_vccnz .LBB569_289
; %bb.281:
	v_mul_lo_u32 v21, v8, s22
	v_mul_lo_u32 v22, v7, s23
	v_mad_u64_u32 v[17:18], null, v7, s22, 0
	v_mul_lo_u32 v23, v2, s22
	v_mul_lo_u32 v24, v1, s23
	v_mad_u64_u32 v[19:20], null, v1, s22, 0
	s_mov_b32 s2, -1
	s_mov_b32 s19, exec_lo
	s_delay_alu instid0(VALU_DEP_4) | instskip(NEXT) | instid1(VALU_DEP_2)
	v_add3_u32 v18, v18, v22, v21
	v_add3_u32 v20, v20, v24, v23
	s_delay_alu instid0(VALU_DEP_2) | instskip(NEXT) | instid1(VALU_DEP_2)
	v_lshlrev_b64 v[17:18], 3, v[17:18]
	v_lshlrev_b64 v[21:22], 3, v[19:20]
	s_delay_alu instid0(VALU_DEP_2) | instskip(NEXT) | instid1(VALU_DEP_3)
	v_add_co_u32 v19, vcc_lo, s8, v17
	v_add_co_ci_u32_e32 v20, vcc_lo, s9, v18, vcc_lo
	s_delay_alu instid0(VALU_DEP_3) | instskip(NEXT) | instid1(VALU_DEP_4)
	v_add_co_u32 v17, vcc_lo, s8, v21
	v_add_co_ci_u32_e32 v18, vcc_lo, s9, v22, vcc_lo
	s_clause 0x1
	global_load_b64 v[21:22], v[19:20], off
	global_load_b64 v[23:24], v[17:18], off
	s_waitcnt vmcnt(0)
	v_cmpx_eq_u64_e64 v[21:22], v[23:24]
	s_cbranch_execz .LBB569_288
; %bb.282:
	v_add_co_u32 v17, vcc_lo, v17, 8
	v_add_co_ci_u32_e32 v18, vcc_lo, 0, v18, vcc_lo
	v_add_co_u32 v19, vcc_lo, v19, 8
	v_add_co_ci_u32_e32 v20, vcc_lo, 0, v20, vcc_lo
	s_add_u32 s4, s22, -1
	s_addc_u32 s5, s23, -1
	s_mov_b64 s[6:7], 0
	s_mov_b32 s28, 0
                                        ; implicit-def: $sgpr29
	s_set_inst_prefetch_distance 0x1
	s_branch .LBB569_285
	.p2align	6
.LBB569_283:                            ;   in Loop: Header=BB569_285 Depth=1
	global_load_b64 v[21:22], v[19:20], off
	global_load_b64 v[23:24], v[17:18], off
	v_add_co_u32 v17, vcc_lo, v17, 8
	v_add_co_ci_u32_e32 v18, vcc_lo, 0, v18, vcc_lo
	v_add_co_u32 v19, s2, v19, 8
	s_delay_alu instid0(VALU_DEP_1)
	v_add_co_ci_u32_e64 v20, s2, 0, v20, s2
	s_add_u32 s6, s6, 1
	s_addc_u32 s7, s7, 0
	s_and_not1_b32 s2, s29, exec_lo
	s_waitcnt vmcnt(0)
	v_cmp_ne_u64_e32 vcc_lo, v[21:22], v[23:24]
	s_and_b32 s29, vcc_lo, exec_lo
	s_delay_alu instid0(SALU_CYCLE_1)
	s_or_b32 s29, s2, s29
.LBB569_284:                            ;   in Loop: Header=BB569_285 Depth=1
	v_dual_mov_b32 v22, s7 :: v_dual_mov_b32 v21, s6
	s_and_b32 s2, exec_lo, s29
	s_delay_alu instid0(SALU_CYCLE_1) | instskip(NEXT) | instid1(SALU_CYCLE_1)
	s_or_b32 s28, s2, s28
	s_and_not1_b32 exec_lo, exec_lo, s28
	s_cbranch_execz .LBB569_287
.LBB569_285:                            ; =>This Inner Loop Header: Depth=1
	s_or_b32 s29, s29, exec_lo
	s_cmp_eq_u64 s[4:5], s[6:7]
	s_cbranch_scc0 .LBB569_283
; %bb.286:                              ;   in Loop: Header=BB569_285 Depth=1
	s_mov_b64 s[6:7], s[22:23]
                                        ; implicit-def: $vgpr17_vgpr18
                                        ; implicit-def: $vgpr19_vgpr20
	s_branch .LBB569_284
.LBB569_287:
	s_set_inst_prefetch_distance 0x2
	s_or_b32 exec_lo, exec_lo, s28
	v_cmp_gt_i64_e32 vcc_lo, s[22:23], v[21:22]
	s_or_not1_b32 s2, vcc_lo, exec_lo
.LBB569_288:
	s_or_b32 exec_lo, exec_lo, s19
.LBB569_289:
	s_delay_alu instid0(SALU_CYCLE_1)
	s_and_b32 s19, s2, exec_lo
.LBB569_290:
	s_or_b32 exec_lo, exec_lo, s27
	v_or_b32_e32 v17, 5, v39
	s_mov_b32 s27, 0
	s_mov_b32 s28, 0
	s_mov_b32 s29, exec_lo
	s_delay_alu instid0(VALU_DEP_1)
	v_cmpx_gt_u32_e64 s20, v17
	s_cbranch_execz .LBB569_301
; %bb.291:
	s_and_not1_b32 vcc_lo, exec_lo, s3
	s_mov_b32 s2, 0
	s_cbranch_vccnz .LBB569_300
; %bb.292:
	v_mul_lo_u32 v21, v6, s22
	v_mul_lo_u32 v22, v5, s23
	v_mad_u64_u32 v[17:18], null, v5, s22, 0
	v_mul_lo_u32 v23, v8, s22
	v_mul_lo_u32 v24, v7, s23
	v_mad_u64_u32 v[19:20], null, v7, s22, 0
	s_mov_b32 s2, -1
	s_mov_b32 s28, exec_lo
	s_delay_alu instid0(VALU_DEP_4) | instskip(NEXT) | instid1(VALU_DEP_2)
	v_add3_u32 v18, v18, v22, v21
	v_add3_u32 v20, v20, v24, v23
	s_delay_alu instid0(VALU_DEP_2) | instskip(NEXT) | instid1(VALU_DEP_2)
	v_lshlrev_b64 v[17:18], 3, v[17:18]
	v_lshlrev_b64 v[21:22], 3, v[19:20]
	s_delay_alu instid0(VALU_DEP_2) | instskip(NEXT) | instid1(VALU_DEP_3)
	v_add_co_u32 v19, vcc_lo, s8, v17
	v_add_co_ci_u32_e32 v20, vcc_lo, s9, v18, vcc_lo
	s_delay_alu instid0(VALU_DEP_3) | instskip(NEXT) | instid1(VALU_DEP_4)
	v_add_co_u32 v17, vcc_lo, s8, v21
	v_add_co_ci_u32_e32 v18, vcc_lo, s9, v22, vcc_lo
	s_clause 0x1
	global_load_b64 v[21:22], v[19:20], off
	global_load_b64 v[23:24], v[17:18], off
	s_waitcnt vmcnt(0)
	v_cmpx_eq_u64_e64 v[21:22], v[23:24]
	s_cbranch_execz .LBB569_299
; %bb.293:
	v_add_co_u32 v17, vcc_lo, v17, 8
	v_add_co_ci_u32_e32 v18, vcc_lo, 0, v18, vcc_lo
	v_add_co_u32 v19, vcc_lo, v19, 8
	v_add_co_ci_u32_e32 v20, vcc_lo, 0, v20, vcc_lo
	s_add_u32 s4, s22, -1
	s_addc_u32 s5, s23, -1
	s_mov_b64 s[6:7], 0
	s_mov_b32 s30, 0
                                        ; implicit-def: $sgpr31
	s_set_inst_prefetch_distance 0x1
	s_branch .LBB569_296
	.p2align	6
.LBB569_294:                            ;   in Loop: Header=BB569_296 Depth=1
	global_load_b64 v[21:22], v[19:20], off
	global_load_b64 v[23:24], v[17:18], off
	v_add_co_u32 v17, vcc_lo, v17, 8
	v_add_co_ci_u32_e32 v18, vcc_lo, 0, v18, vcc_lo
	v_add_co_u32 v19, s2, v19, 8
	s_delay_alu instid0(VALU_DEP_1)
	v_add_co_ci_u32_e64 v20, s2, 0, v20, s2
	s_add_u32 s6, s6, 1
	s_addc_u32 s7, s7, 0
	s_and_not1_b32 s2, s31, exec_lo
	s_waitcnt vmcnt(0)
	v_cmp_ne_u64_e32 vcc_lo, v[21:22], v[23:24]
	s_and_b32 s31, vcc_lo, exec_lo
	s_delay_alu instid0(SALU_CYCLE_1)
	s_or_b32 s31, s2, s31
.LBB569_295:                            ;   in Loop: Header=BB569_296 Depth=1
	v_dual_mov_b32 v22, s7 :: v_dual_mov_b32 v21, s6
	s_and_b32 s2, exec_lo, s31
	s_delay_alu instid0(SALU_CYCLE_1) | instskip(NEXT) | instid1(SALU_CYCLE_1)
	s_or_b32 s30, s2, s30
	s_and_not1_b32 exec_lo, exec_lo, s30
	s_cbranch_execz .LBB569_298
.LBB569_296:                            ; =>This Inner Loop Header: Depth=1
	s_or_b32 s31, s31, exec_lo
	s_cmp_eq_u64 s[4:5], s[6:7]
	s_cbranch_scc0 .LBB569_294
; %bb.297:                              ;   in Loop: Header=BB569_296 Depth=1
	s_mov_b64 s[6:7], s[22:23]
                                        ; implicit-def: $vgpr17_vgpr18
                                        ; implicit-def: $vgpr19_vgpr20
	s_branch .LBB569_295
.LBB569_298:
	s_set_inst_prefetch_distance 0x2
	s_or_b32 exec_lo, exec_lo, s30
	v_cmp_gt_i64_e32 vcc_lo, s[22:23], v[21:22]
	s_or_not1_b32 s2, vcc_lo, exec_lo
.LBB569_299:
	s_or_b32 exec_lo, exec_lo, s28
.LBB569_300:
	s_delay_alu instid0(SALU_CYCLE_1)
	s_and_b32 s28, s2, exec_lo
.LBB569_301:
	s_or_b32 exec_lo, exec_lo, s29
	v_or_b32_e32 v17, 4, v39
	s_mov_b32 s29, exec_lo
	s_delay_alu instid0(VALU_DEP_1)
	v_cmpx_gt_u32_e64 s20, v17
	s_cbranch_execz .LBB569_312
; %bb.302:
	s_and_not1_b32 vcc_lo, exec_lo, s3
	s_mov_b32 s2, 0
	s_cbranch_vccnz .LBB569_311
; %bb.303:
	v_mul_lo_u32 v21, v12, s22
	v_mul_lo_u32 v22, v11, s23
	v_mad_u64_u32 v[17:18], null, v11, s22, 0
	v_mul_lo_u32 v23, v6, s22
	v_mul_lo_u32 v24, v5, s23
	v_mad_u64_u32 v[19:20], null, v5, s22, 0
	s_mov_b32 s2, -1
	s_mov_b32 s27, exec_lo
	s_delay_alu instid0(VALU_DEP_4) | instskip(NEXT) | instid1(VALU_DEP_2)
	v_add3_u32 v18, v18, v22, v21
	v_add3_u32 v20, v20, v24, v23
	s_delay_alu instid0(VALU_DEP_2) | instskip(NEXT) | instid1(VALU_DEP_2)
	v_lshlrev_b64 v[17:18], 3, v[17:18]
	v_lshlrev_b64 v[21:22], 3, v[19:20]
	s_delay_alu instid0(VALU_DEP_2) | instskip(NEXT) | instid1(VALU_DEP_3)
	v_add_co_u32 v19, vcc_lo, s8, v17
	v_add_co_ci_u32_e32 v20, vcc_lo, s9, v18, vcc_lo
	s_delay_alu instid0(VALU_DEP_3) | instskip(NEXT) | instid1(VALU_DEP_4)
	v_add_co_u32 v17, vcc_lo, s8, v21
	v_add_co_ci_u32_e32 v18, vcc_lo, s9, v22, vcc_lo
	s_clause 0x1
	global_load_b64 v[21:22], v[19:20], off
	global_load_b64 v[23:24], v[17:18], off
	s_waitcnt vmcnt(0)
	v_cmpx_eq_u64_e64 v[21:22], v[23:24]
	s_cbranch_execz .LBB569_310
; %bb.304:
	v_add_co_u32 v17, vcc_lo, v17, 8
	v_add_co_ci_u32_e32 v18, vcc_lo, 0, v18, vcc_lo
	v_add_co_u32 v19, vcc_lo, v19, 8
	v_add_co_ci_u32_e32 v20, vcc_lo, 0, v20, vcc_lo
	s_add_u32 s4, s22, -1
	s_addc_u32 s5, s23, -1
	s_mov_b64 s[6:7], 0
	s_mov_b32 s30, 0
                                        ; implicit-def: $sgpr31
	s_set_inst_prefetch_distance 0x1
	s_branch .LBB569_307
	.p2align	6
.LBB569_305:                            ;   in Loop: Header=BB569_307 Depth=1
	global_load_b64 v[21:22], v[19:20], off
	global_load_b64 v[23:24], v[17:18], off
	v_add_co_u32 v17, vcc_lo, v17, 8
	v_add_co_ci_u32_e32 v18, vcc_lo, 0, v18, vcc_lo
	v_add_co_u32 v19, s2, v19, 8
	s_delay_alu instid0(VALU_DEP_1)
	v_add_co_ci_u32_e64 v20, s2, 0, v20, s2
	s_add_u32 s6, s6, 1
	s_addc_u32 s7, s7, 0
	s_and_not1_b32 s2, s31, exec_lo
	s_waitcnt vmcnt(0)
	v_cmp_ne_u64_e32 vcc_lo, v[21:22], v[23:24]
	s_and_b32 s31, vcc_lo, exec_lo
	s_delay_alu instid0(SALU_CYCLE_1)
	s_or_b32 s31, s2, s31
.LBB569_306:                            ;   in Loop: Header=BB569_307 Depth=1
	v_dual_mov_b32 v22, s7 :: v_dual_mov_b32 v21, s6
	s_and_b32 s2, exec_lo, s31
	s_delay_alu instid0(SALU_CYCLE_1) | instskip(NEXT) | instid1(SALU_CYCLE_1)
	s_or_b32 s30, s2, s30
	s_and_not1_b32 exec_lo, exec_lo, s30
	s_cbranch_execz .LBB569_309
.LBB569_307:                            ; =>This Inner Loop Header: Depth=1
	s_or_b32 s31, s31, exec_lo
	s_cmp_eq_u64 s[4:5], s[6:7]
	s_cbranch_scc0 .LBB569_305
; %bb.308:                              ;   in Loop: Header=BB569_307 Depth=1
	s_mov_b64 s[6:7], s[22:23]
                                        ; implicit-def: $vgpr17_vgpr18
                                        ; implicit-def: $vgpr19_vgpr20
	s_branch .LBB569_306
.LBB569_309:
	s_set_inst_prefetch_distance 0x2
	s_or_b32 exec_lo, exec_lo, s30
	v_cmp_gt_i64_e32 vcc_lo, s[22:23], v[21:22]
	s_or_not1_b32 s2, vcc_lo, exec_lo
.LBB569_310:
	s_or_b32 exec_lo, exec_lo, s27
.LBB569_311:
	s_delay_alu instid0(SALU_CYCLE_1)
	s_and_b32 s27, s2, exec_lo
.LBB569_312:
	s_or_b32 exec_lo, exec_lo, s29
	v_or_b32_e32 v17, 3, v39
	s_mov_b32 s30, 0
	s_mov_b32 s29, 0
	s_mov_b32 s31, exec_lo
	s_delay_alu instid0(VALU_DEP_1)
	v_cmpx_gt_u32_e64 s20, v17
	s_cbranch_execz .LBB569_323
; %bb.313:
	s_and_not1_b32 vcc_lo, exec_lo, s3
	s_mov_b32 s2, 0
	s_cbranch_vccnz .LBB569_322
; %bb.314:
	v_mul_lo_u32 v21, v10, s22
	v_mul_lo_u32 v22, v9, s23
	v_mad_u64_u32 v[17:18], null, v9, s22, 0
	v_mul_lo_u32 v23, v12, s22
	v_mul_lo_u32 v24, v11, s23
	v_mad_u64_u32 v[19:20], null, v11, s22, 0
	s_mov_b32 s2, -1
	s_mov_b32 s29, exec_lo
	s_delay_alu instid0(VALU_DEP_4) | instskip(NEXT) | instid1(VALU_DEP_2)
	v_add3_u32 v18, v18, v22, v21
	v_add3_u32 v20, v20, v24, v23
	s_delay_alu instid0(VALU_DEP_2) | instskip(NEXT) | instid1(VALU_DEP_2)
	v_lshlrev_b64 v[17:18], 3, v[17:18]
	v_lshlrev_b64 v[21:22], 3, v[19:20]
	s_delay_alu instid0(VALU_DEP_2) | instskip(NEXT) | instid1(VALU_DEP_3)
	v_add_co_u32 v19, vcc_lo, s8, v17
	v_add_co_ci_u32_e32 v20, vcc_lo, s9, v18, vcc_lo
	s_delay_alu instid0(VALU_DEP_3) | instskip(NEXT) | instid1(VALU_DEP_4)
	v_add_co_u32 v17, vcc_lo, s8, v21
	v_add_co_ci_u32_e32 v18, vcc_lo, s9, v22, vcc_lo
	s_clause 0x1
	global_load_b64 v[21:22], v[19:20], off
	global_load_b64 v[23:24], v[17:18], off
	s_waitcnt vmcnt(0)
	v_cmpx_eq_u64_e64 v[21:22], v[23:24]
	s_cbranch_execz .LBB569_321
; %bb.315:
	v_add_co_u32 v17, vcc_lo, v17, 8
	v_add_co_ci_u32_e32 v18, vcc_lo, 0, v18, vcc_lo
	v_add_co_u32 v19, vcc_lo, v19, 8
	v_add_co_ci_u32_e32 v20, vcc_lo, 0, v20, vcc_lo
	s_add_u32 s4, s22, -1
	s_addc_u32 s5, s23, -1
	s_mov_b64 s[6:7], 0
	s_mov_b32 s33, 0
                                        ; implicit-def: $sgpr34
	s_set_inst_prefetch_distance 0x1
	s_branch .LBB569_318
	.p2align	6
.LBB569_316:                            ;   in Loop: Header=BB569_318 Depth=1
	global_load_b64 v[21:22], v[19:20], off
	global_load_b64 v[23:24], v[17:18], off
	v_add_co_u32 v17, vcc_lo, v17, 8
	v_add_co_ci_u32_e32 v18, vcc_lo, 0, v18, vcc_lo
	v_add_co_u32 v19, s2, v19, 8
	s_delay_alu instid0(VALU_DEP_1)
	v_add_co_ci_u32_e64 v20, s2, 0, v20, s2
	s_add_u32 s6, s6, 1
	s_addc_u32 s7, s7, 0
	s_and_not1_b32 s2, s34, exec_lo
	s_waitcnt vmcnt(0)
	v_cmp_ne_u64_e32 vcc_lo, v[21:22], v[23:24]
	s_and_b32 s34, vcc_lo, exec_lo
	s_delay_alu instid0(SALU_CYCLE_1)
	s_or_b32 s34, s2, s34
.LBB569_317:                            ;   in Loop: Header=BB569_318 Depth=1
	v_dual_mov_b32 v22, s7 :: v_dual_mov_b32 v21, s6
	s_and_b32 s2, exec_lo, s34
	s_delay_alu instid0(SALU_CYCLE_1) | instskip(NEXT) | instid1(SALU_CYCLE_1)
	s_or_b32 s33, s2, s33
	s_and_not1_b32 exec_lo, exec_lo, s33
	s_cbranch_execz .LBB569_320
.LBB569_318:                            ; =>This Inner Loop Header: Depth=1
	s_or_b32 s34, s34, exec_lo
	s_cmp_eq_u64 s[4:5], s[6:7]
	s_cbranch_scc0 .LBB569_316
; %bb.319:                              ;   in Loop: Header=BB569_318 Depth=1
	s_mov_b64 s[6:7], s[22:23]
                                        ; implicit-def: $vgpr17_vgpr18
                                        ; implicit-def: $vgpr19_vgpr20
	s_branch .LBB569_317
.LBB569_320:
	s_set_inst_prefetch_distance 0x2
	s_or_b32 exec_lo, exec_lo, s33
	v_cmp_gt_i64_e32 vcc_lo, s[22:23], v[21:22]
	s_or_not1_b32 s2, vcc_lo, exec_lo
.LBB569_321:
	s_or_b32 exec_lo, exec_lo, s29
.LBB569_322:
	s_delay_alu instid0(SALU_CYCLE_1)
	s_and_b32 s29, s2, exec_lo
.LBB569_323:
	s_or_b32 exec_lo, exec_lo, s31
	v_or_b32_e32 v17, 2, v39
	s_mov_b32 s31, exec_lo
	s_delay_alu instid0(VALU_DEP_1)
	v_cmpx_gt_u32_e64 s20, v17
	s_cbranch_execz .LBB569_334
; %bb.324:
	s_and_not1_b32 vcc_lo, exec_lo, s3
	s_mov_b32 s2, 0
	s_cbranch_vccnz .LBB569_333
; %bb.325:
	v_mul_lo_u32 v21, v16, s22
	v_mul_lo_u32 v22, v15, s23
	v_mad_u64_u32 v[17:18], null, v15, s22, 0
	v_mul_lo_u32 v23, v10, s22
	v_mul_lo_u32 v24, v9, s23
	v_mad_u64_u32 v[19:20], null, v9, s22, 0
	s_mov_b32 s2, -1
	s_mov_b32 s30, exec_lo
	s_delay_alu instid0(VALU_DEP_4) | instskip(NEXT) | instid1(VALU_DEP_2)
	v_add3_u32 v18, v18, v22, v21
	v_add3_u32 v20, v20, v24, v23
	s_delay_alu instid0(VALU_DEP_2) | instskip(NEXT) | instid1(VALU_DEP_2)
	v_lshlrev_b64 v[17:18], 3, v[17:18]
	v_lshlrev_b64 v[21:22], 3, v[19:20]
	s_delay_alu instid0(VALU_DEP_2) | instskip(NEXT) | instid1(VALU_DEP_3)
	v_add_co_u32 v19, vcc_lo, s8, v17
	v_add_co_ci_u32_e32 v20, vcc_lo, s9, v18, vcc_lo
	s_delay_alu instid0(VALU_DEP_3) | instskip(NEXT) | instid1(VALU_DEP_4)
	v_add_co_u32 v17, vcc_lo, s8, v21
	v_add_co_ci_u32_e32 v18, vcc_lo, s9, v22, vcc_lo
	s_clause 0x1
	global_load_b64 v[21:22], v[19:20], off
	global_load_b64 v[23:24], v[17:18], off
	s_waitcnt vmcnt(0)
	v_cmpx_eq_u64_e64 v[21:22], v[23:24]
	s_cbranch_execz .LBB569_332
; %bb.326:
	v_add_co_u32 v17, vcc_lo, v17, 8
	v_add_co_ci_u32_e32 v18, vcc_lo, 0, v18, vcc_lo
	v_add_co_u32 v19, vcc_lo, v19, 8
	v_add_co_ci_u32_e32 v20, vcc_lo, 0, v20, vcc_lo
	s_add_u32 s4, s22, -1
	s_addc_u32 s5, s23, -1
	s_mov_b64 s[6:7], 0
	s_mov_b32 s33, 0
                                        ; implicit-def: $sgpr34
	s_set_inst_prefetch_distance 0x1
	s_branch .LBB569_329
	.p2align	6
.LBB569_327:                            ;   in Loop: Header=BB569_329 Depth=1
	global_load_b64 v[21:22], v[19:20], off
	global_load_b64 v[23:24], v[17:18], off
	v_add_co_u32 v17, vcc_lo, v17, 8
	v_add_co_ci_u32_e32 v18, vcc_lo, 0, v18, vcc_lo
	v_add_co_u32 v19, s2, v19, 8
	s_delay_alu instid0(VALU_DEP_1)
	v_add_co_ci_u32_e64 v20, s2, 0, v20, s2
	s_add_u32 s6, s6, 1
	s_addc_u32 s7, s7, 0
	s_and_not1_b32 s2, s34, exec_lo
	s_waitcnt vmcnt(0)
	v_cmp_ne_u64_e32 vcc_lo, v[21:22], v[23:24]
	s_and_b32 s34, vcc_lo, exec_lo
	s_delay_alu instid0(SALU_CYCLE_1)
	s_or_b32 s34, s2, s34
.LBB569_328:                            ;   in Loop: Header=BB569_329 Depth=1
	v_dual_mov_b32 v22, s7 :: v_dual_mov_b32 v21, s6
	s_and_b32 s2, exec_lo, s34
	s_delay_alu instid0(SALU_CYCLE_1) | instskip(NEXT) | instid1(SALU_CYCLE_1)
	s_or_b32 s33, s2, s33
	s_and_not1_b32 exec_lo, exec_lo, s33
	s_cbranch_execz .LBB569_331
.LBB569_329:                            ; =>This Inner Loop Header: Depth=1
	s_or_b32 s34, s34, exec_lo
	s_cmp_eq_u64 s[4:5], s[6:7]
	s_cbranch_scc0 .LBB569_327
; %bb.330:                              ;   in Loop: Header=BB569_329 Depth=1
	s_mov_b64 s[6:7], s[22:23]
                                        ; implicit-def: $vgpr17_vgpr18
                                        ; implicit-def: $vgpr19_vgpr20
	s_branch .LBB569_328
.LBB569_331:
	s_set_inst_prefetch_distance 0x2
	s_or_b32 exec_lo, exec_lo, s33
	v_cmp_gt_i64_e32 vcc_lo, s[22:23], v[21:22]
	s_or_not1_b32 s2, vcc_lo, exec_lo
.LBB569_332:
	s_or_b32 exec_lo, exec_lo, s30
.LBB569_333:
	s_delay_alu instid0(SALU_CYCLE_1)
	s_and_b32 s30, s2, exec_lo
.LBB569_334:
	s_or_b32 exec_lo, exec_lo, s31
	v_or_b32_e32 v17, 1, v39
	s_mov_b32 s2, 0
	s_mov_b32 s31, exec_lo
	s_delay_alu instid0(VALU_DEP_1)
	v_cmpx_gt_u32_e64 s20, v17
	s_cbranch_execz .LBB569_345
; %bb.335:
	s_and_not1_b32 vcc_lo, exec_lo, s3
	s_cbranch_vccnz .LBB569_344
; %bb.336:
	v_mul_lo_u32 v21, v14, s22
	v_mul_lo_u32 v22, v13, s23
	v_mad_u64_u32 v[17:18], null, v13, s22, 0
	v_mul_lo_u32 v23, v16, s22
	v_mul_lo_u32 v24, v15, s23
	v_mad_u64_u32 v[19:20], null, v15, s22, 0
	s_mov_b32 s2, -1
	s_mov_b32 s33, exec_lo
	s_delay_alu instid0(VALU_DEP_4) | instskip(NEXT) | instid1(VALU_DEP_2)
	v_add3_u32 v18, v18, v22, v21
	v_add3_u32 v20, v20, v24, v23
	s_delay_alu instid0(VALU_DEP_2) | instskip(NEXT) | instid1(VALU_DEP_2)
	v_lshlrev_b64 v[17:18], 3, v[17:18]
	v_lshlrev_b64 v[21:22], 3, v[19:20]
	s_delay_alu instid0(VALU_DEP_2) | instskip(NEXT) | instid1(VALU_DEP_3)
	v_add_co_u32 v19, vcc_lo, s8, v17
	v_add_co_ci_u32_e32 v20, vcc_lo, s9, v18, vcc_lo
	s_delay_alu instid0(VALU_DEP_3) | instskip(NEXT) | instid1(VALU_DEP_4)
	v_add_co_u32 v17, vcc_lo, s8, v21
	v_add_co_ci_u32_e32 v18, vcc_lo, s9, v22, vcc_lo
	s_clause 0x1
	global_load_b64 v[21:22], v[19:20], off
	global_load_b64 v[23:24], v[17:18], off
	s_waitcnt vmcnt(0)
	v_cmpx_eq_u64_e64 v[21:22], v[23:24]
	s_cbranch_execz .LBB569_343
; %bb.337:
	v_add_co_u32 v17, vcc_lo, v17, 8
	v_add_co_ci_u32_e32 v18, vcc_lo, 0, v18, vcc_lo
	v_add_co_u32 v19, vcc_lo, v19, 8
	v_add_co_ci_u32_e32 v20, vcc_lo, 0, v20, vcc_lo
	s_add_u32 s4, s22, -1
	s_addc_u32 s5, s23, -1
	s_mov_b64 s[6:7], 0
	s_mov_b32 s34, 0
                                        ; implicit-def: $sgpr35
	s_set_inst_prefetch_distance 0x1
	s_branch .LBB569_340
	.p2align	6
.LBB569_338:                            ;   in Loop: Header=BB569_340 Depth=1
	global_load_b64 v[21:22], v[19:20], off
	global_load_b64 v[23:24], v[17:18], off
	v_add_co_u32 v17, vcc_lo, v17, 8
	v_add_co_ci_u32_e32 v18, vcc_lo, 0, v18, vcc_lo
	v_add_co_u32 v19, s2, v19, 8
	s_delay_alu instid0(VALU_DEP_1)
	v_add_co_ci_u32_e64 v20, s2, 0, v20, s2
	s_add_u32 s6, s6, 1
	s_addc_u32 s7, s7, 0
	s_and_not1_b32 s2, s35, exec_lo
	s_waitcnt vmcnt(0)
	v_cmp_ne_u64_e32 vcc_lo, v[21:22], v[23:24]
	s_and_b32 s35, vcc_lo, exec_lo
	s_delay_alu instid0(SALU_CYCLE_1)
	s_or_b32 s35, s2, s35
.LBB569_339:                            ;   in Loop: Header=BB569_340 Depth=1
	v_dual_mov_b32 v22, s7 :: v_dual_mov_b32 v21, s6
	s_and_b32 s2, exec_lo, s35
	s_delay_alu instid0(SALU_CYCLE_1) | instskip(NEXT) | instid1(SALU_CYCLE_1)
	s_or_b32 s34, s2, s34
	s_and_not1_b32 exec_lo, exec_lo, s34
	s_cbranch_execz .LBB569_342
.LBB569_340:                            ; =>This Inner Loop Header: Depth=1
	s_or_b32 s35, s35, exec_lo
	s_cmp_eq_u64 s[4:5], s[6:7]
	s_cbranch_scc0 .LBB569_338
; %bb.341:                              ;   in Loop: Header=BB569_340 Depth=1
	s_mov_b64 s[6:7], s[22:23]
                                        ; implicit-def: $vgpr17_vgpr18
                                        ; implicit-def: $vgpr19_vgpr20
	s_branch .LBB569_339
.LBB569_342:
	s_set_inst_prefetch_distance 0x2
	s_or_b32 exec_lo, exec_lo, s34
	v_cmp_gt_i64_e32 vcc_lo, s[22:23], v[21:22]
	s_or_not1_b32 s2, vcc_lo, exec_lo
.LBB569_343:
	s_or_b32 exec_lo, exec_lo, s33
.LBB569_344:
	s_delay_alu instid0(SALU_CYCLE_1)
	s_and_b32 s2, s2, exec_lo
.LBB569_345:
	s_or_b32 exec_lo, exec_lo, s31
	v_cndmask_b32_e64 v18, 0, 1, s29
	v_cndmask_b32_e64 v19, 0, 1, s28
	;; [unrolled: 1-line block ×7, first 2 shown]
	v_lshlrev_b16 v19, 8, v19
	v_lshlrev_b16 v20, 8, v20
	;; [unrolled: 1-line block ×4, first 2 shown]
	s_mov_b32 s19, exec_lo
	v_or_b32_e32 v19, v22, v19
	v_or_b32_e32 v20, v23, v20
	;; [unrolled: 1-line block ×4, first 2 shown]
	s_delay_alu instid0(VALU_DEP_4) | instskip(NEXT) | instid1(VALU_DEP_4)
	v_and_b32_e32 v18, 0xffff, v19
	v_lshlrev_b32_e32 v19, 16, v20
	s_delay_alu instid0(VALU_DEP_4) | instskip(NEXT) | instid1(VALU_DEP_4)
	v_and_b32_e32 v20, 0xffff, v21
	v_lshlrev_b32_e32 v17, 16, v17
	s_barrier
	buffer_gl0_inv
	v_or_b32_e32 v18, v18, v19
                                        ; implicit-def: $sgpr2
	v_or_b32_e32 v17, v20, v17
	v_cmpx_ne_u32_e32 0, v0
	s_cbranch_execz .LBB569_358
; %bb.346:
	s_mov_b32 s2, 0
	s_mov_b32 s26, exec_lo
	v_cmpx_gt_u32_e64 s20, v39
	s_cbranch_execz .LBB569_357
; %bb.347:
	s_and_not1_b32 vcc_lo, exec_lo, s3
	s_cbranch_vccnz .LBB569_356
; %bb.348:
	v_add_nc_u32_e32 v19, -8, v39
	v_mul_lo_u32 v26, v13, s23
	v_mad_u64_u32 v[22:23], null, v13, s22, 0
	s_mov_b32 s2, -1
	ds_load_b64 v[19:20], v19
	s_mov_b32 s3, exec_lo
	s_waitcnt lgkmcnt(0)
	v_mul_lo_u32 v24, v20, s22
	v_mul_lo_u32 v25, v19, s23
	v_mad_u64_u32 v[20:21], null, v19, s22, 0
	v_mul_lo_u32 v19, v14, s22
	s_delay_alu instid0(VALU_DEP_2) | instskip(NEXT) | instid1(VALU_DEP_2)
	v_add3_u32 v21, v21, v25, v24
	v_add3_u32 v23, v23, v26, v19
	s_delay_alu instid0(VALU_DEP_2) | instskip(NEXT) | instid1(VALU_DEP_2)
	v_lshlrev_b64 v[19:20], 3, v[20:21]
	v_lshlrev_b64 v[23:24], 3, v[22:23]
	s_delay_alu instid0(VALU_DEP_2) | instskip(NEXT) | instid1(VALU_DEP_3)
	v_add_co_u32 v21, vcc_lo, s8, v19
	v_add_co_ci_u32_e32 v22, vcc_lo, s9, v20, vcc_lo
	s_delay_alu instid0(VALU_DEP_3) | instskip(NEXT) | instid1(VALU_DEP_4)
	v_add_co_u32 v19, vcc_lo, s8, v23
	v_add_co_ci_u32_e32 v20, vcc_lo, s9, v24, vcc_lo
	s_clause 0x1
	global_load_b64 v[23:24], v[21:22], off
	global_load_b64 v[25:26], v[19:20], off
	s_waitcnt vmcnt(0)
	v_cmpx_eq_u64_e64 v[23:24], v[25:26]
	s_cbranch_execz .LBB569_355
; %bb.349:
	v_add_co_u32 v19, vcc_lo, v19, 8
	v_add_co_ci_u32_e32 v20, vcc_lo, 0, v20, vcc_lo
	v_add_co_u32 v21, vcc_lo, v21, 8
	v_add_co_ci_u32_e32 v22, vcc_lo, 0, v22, vcc_lo
	s_add_u32 s4, s22, -1
	s_addc_u32 s5, s23, -1
	s_mov_b64 s[6:7], 0
	s_mov_b32 s8, 0
                                        ; implicit-def: $sgpr9
	s_set_inst_prefetch_distance 0x1
	s_branch .LBB569_352
	.p2align	6
.LBB569_350:                            ;   in Loop: Header=BB569_352 Depth=1
	global_load_b64 v[23:24], v[21:22], off
	global_load_b64 v[25:26], v[19:20], off
	v_add_co_u32 v19, vcc_lo, v19, 8
	v_add_co_ci_u32_e32 v20, vcc_lo, 0, v20, vcc_lo
	v_add_co_u32 v21, s2, v21, 8
	s_delay_alu instid0(VALU_DEP_1)
	v_add_co_ci_u32_e64 v22, s2, 0, v22, s2
	s_add_u32 s6, s6, 1
	s_addc_u32 s7, s7, 0
	s_and_not1_b32 s2, s9, exec_lo
	s_waitcnt vmcnt(0)
	v_cmp_ne_u64_e32 vcc_lo, v[23:24], v[25:26]
	s_and_b32 s9, vcc_lo, exec_lo
	s_delay_alu instid0(SALU_CYCLE_1)
	s_or_b32 s9, s2, s9
.LBB569_351:                            ;   in Loop: Header=BB569_352 Depth=1
	v_dual_mov_b32 v24, s7 :: v_dual_mov_b32 v23, s6
	s_and_b32 s2, exec_lo, s9
	s_delay_alu instid0(SALU_CYCLE_1) | instskip(NEXT) | instid1(SALU_CYCLE_1)
	s_or_b32 s8, s2, s8
	s_and_not1_b32 exec_lo, exec_lo, s8
	s_cbranch_execz .LBB569_354
.LBB569_352:                            ; =>This Inner Loop Header: Depth=1
	s_or_b32 s9, s9, exec_lo
	s_cmp_eq_u64 s[4:5], s[6:7]
	s_cbranch_scc0 .LBB569_350
; %bb.353:                              ;   in Loop: Header=BB569_352 Depth=1
	s_mov_b64 s[6:7], s[22:23]
                                        ; implicit-def: $vgpr19_vgpr20
                                        ; implicit-def: $vgpr21_vgpr22
	s_branch .LBB569_351
.LBB569_354:
	s_set_inst_prefetch_distance 0x2
	s_or_b32 exec_lo, exec_lo, s8
	v_cmp_gt_i64_e32 vcc_lo, s[22:23], v[23:24]
	s_or_not1_b32 s2, vcc_lo, exec_lo
.LBB569_355:
	s_or_b32 exec_lo, exec_lo, s3
.LBB569_356:
	s_delay_alu instid0(SALU_CYCLE_1)
	s_and_b32 s2, s2, exec_lo
.LBB569_357:
	s_or_b32 exec_lo, exec_lo, s26
	s_delay_alu instid0(SALU_CYCLE_1)
	s_and_b32 s2, s2, exec_lo
	s_or_b32 s18, s18, exec_lo
.LBB569_358:
	s_or_b32 exec_lo, exec_lo, s19
.LBB569_359:
	s_and_saveexec_b32 s3, s18
	s_cbranch_execz .LBB569_361
; %bb.360:
	s_waitcnt lgkmcnt(0)
	v_and_b32_e32 v19, 0xffffff00, v17
	v_cndmask_b32_e64 v20, 0, 1, s2
	s_delay_alu instid0(VALU_DEP_1) | instskip(NEXT) | instid1(VALU_DEP_1)
	v_or_b32_e32 v19, v20, v19
	v_and_b32_e32 v19, 0xffff, v19
	s_delay_alu instid0(VALU_DEP_1)
	v_and_or_b32 v17, 0xffff0000, v17, v19
.LBB569_361:
	s_or_b32 exec_lo, exec_lo, s3
	s_delay_alu instid0(SALU_CYCLE_1)
	s_and_not1_b32 vcc_lo, exec_lo, s24
	s_cbranch_vccnz .LBB569_363
; %bb.362:
	v_cmp_gt_u32_e32 vcc_lo, s20, v39
	s_waitcnt lgkmcnt(0)
	v_or_b32_e32 v20, 1, v39
	v_and_b32_e32 v21, 0xffffff00, v18
	v_or_b32_e32 v22, 2, v39
	v_cndmask_b32_e32 v19, 0, v17, vcc_lo
	s_delay_alu instid0(VALU_DEP_4) | instskip(SKIP_1) | instid1(VALU_DEP_4)
	v_cmp_gt_u32_e32 vcc_lo, s20, v20
	v_or_b32_e32 v20, 4, v39
	v_cmp_gt_u32_e64 s2, s20, v22
	v_or_b32_e32 v22, 3, v39
	v_and_b32_e32 v19, 0xff, v19
	s_delay_alu instid0(VALU_DEP_2) | instskip(NEXT) | instid1(VALU_DEP_2)
	v_cmp_gt_u32_e64 s3, s20, v22
	v_cndmask_b32_e32 v19, v19, v17, vcc_lo
	v_cmp_gt_u32_e32 vcc_lo, s20, v20
	v_cndmask_b32_e32 v20, v21, v18, vcc_lo
	v_or_b32_e32 v21, 5, v39
	s_delay_alu instid0(VALU_DEP_2) | instskip(SKIP_1) | instid1(VALU_DEP_1)
	v_and_b32_e32 v20, 0xffff00ff, v20
	v_and_b32_e32 v19, 0xffff, v19
	v_cndmask_b32_e64 v19, v19, v17, s2
	s_delay_alu instid0(VALU_DEP_4) | instskip(SKIP_1) | instid1(VALU_DEP_3)
	v_cmp_gt_u32_e64 s2, s20, v21
	v_or_b32_e32 v21, 6, v39
	v_and_b32_e32 v19, 0xffffff, v19
	s_delay_alu instid0(VALU_DEP_3) | instskip(NEXT) | instid1(VALU_DEP_2)
	v_cndmask_b32_e64 v20, v20, v18, s2
	v_cndmask_b32_e64 v19, v19, v17, s3
	s_delay_alu instid0(VALU_DEP_1) | instskip(SKIP_2) | instid1(VALU_DEP_3)
	v_dual_cndmask_b32 v19, v19, v17 :: v_dual_and_b32 v20, 0xff00ffff, v20
	v_cmp_gt_u32_e32 vcc_lo, s20, v21
	v_or_b32_e32 v21, 7, v39
	v_cndmask_b32_e64 v19, v19, v17, s2
	s_delay_alu instid0(VALU_DEP_1) | instskip(NEXT) | instid1(VALU_DEP_1)
	v_dual_cndmask_b32 v20, v20, v18 :: v_dual_cndmask_b32 v19, v19, v17
	v_and_b32_e32 v20, 0xffffff, v20
	s_delay_alu instid0(VALU_DEP_4) | instskip(NEXT) | instid1(VALU_DEP_2)
	v_cmp_gt_u32_e32 vcc_lo, s20, v21
	v_dual_cndmask_b32 v18, v20, v18 :: v_dual_cndmask_b32 v17, v19, v17
.LBB569_363:
	s_delay_alu instid0(VALU_DEP_1) | instskip(SKIP_1) | instid1(VALU_DEP_2)
	v_and_b32_e32 v26, 0xff, v17
	s_waitcnt lgkmcnt(0)
	v_alignbit_b32 v19, v18, v17, 24
	v_bfe_u32 v28, v17, 8, 8
	v_bfe_u32 v30, v17, 16, 8
	v_and_b32_e32 v34, 0xff, v18
	v_bfe_u32 v36, v18, 8, 8
	v_and_b32_e32 v32, 0xff, v19
	v_add_nc_u32_e32 v19, v28, v26
	v_mbcnt_lo_u32_b32 v41, -1, 0
	v_bfe_u32 v38, v18, 16, 8
	v_lshrrev_b32_e32 v40, 24, v18
	v_lshrrev_b32_e32 v42, 5, v0
	v_add3_u32 v19, v19, v30, v32
	v_and_b32_e32 v20, 15, v41
	v_and_b32_e32 v21, 16, v41
	s_and_b32 vcc_lo, exec_lo, s25
	s_mov_b32 s18, -1
	v_add3_u32 v19, v19, v34, v36
	v_cmp_eq_u32_e64 s4, 0, v20
	v_cmp_lt_u32_e64 s2, 1, v20
	v_cmp_lt_u32_e64 s5, 3, v20
	;; [unrolled: 1-line block ×3, first 2 shown]
	v_add3_u32 v43, v19, v38, v40
	v_or_b32_e32 v19, 31, v0
	v_cmp_eq_u32_e64 s7, 0, v21
	s_barrier
	buffer_gl0_inv
	v_cmp_eq_u32_e64 s6, v19, v0
	s_cbranch_vccz .LBB569_389
; %bb.364:
	v_mov_b32_dpp v19, v43 row_shr:1 row_mask:0xf bank_mask:0xf
	s_delay_alu instid0(VALU_DEP_1) | instskip(NEXT) | instid1(VALU_DEP_1)
	v_cndmask_b32_e64 v19, v19, 0, s4
	v_add_nc_u32_e32 v19, v19, v43
	s_delay_alu instid0(VALU_DEP_1) | instskip(NEXT) | instid1(VALU_DEP_1)
	v_mov_b32_dpp v20, v19 row_shr:2 row_mask:0xf bank_mask:0xf
	v_cndmask_b32_e64 v20, 0, v20, s2
	s_delay_alu instid0(VALU_DEP_1) | instskip(NEXT) | instid1(VALU_DEP_1)
	v_add_nc_u32_e32 v19, v19, v20
	v_mov_b32_dpp v20, v19 row_shr:4 row_mask:0xf bank_mask:0xf
	s_delay_alu instid0(VALU_DEP_1) | instskip(NEXT) | instid1(VALU_DEP_1)
	v_cndmask_b32_e64 v20, 0, v20, s5
	v_add_nc_u32_e32 v19, v19, v20
	s_delay_alu instid0(VALU_DEP_1) | instskip(NEXT) | instid1(VALU_DEP_1)
	v_mov_b32_dpp v20, v19 row_shr:8 row_mask:0xf bank_mask:0xf
	v_cndmask_b32_e64 v20, 0, v20, s3
	s_delay_alu instid0(VALU_DEP_1) | instskip(SKIP_3) | instid1(VALU_DEP_1)
	v_add_nc_u32_e32 v19, v19, v20
	ds_swizzle_b32 v20, v19 offset:swizzle(BROADCAST,32,15)
	s_waitcnt lgkmcnt(0)
	v_cndmask_b32_e64 v20, v20, 0, s7
	v_add_nc_u32_e32 v19, v19, v20
	s_and_saveexec_b32 s8, s6
	s_cbranch_execz .LBB569_366
; %bb.365:
	v_lshlrev_b32_e32 v20, 2, v42
	ds_store_b32 v20, v19
.LBB569_366:
	s_or_b32 exec_lo, exec_lo, s8
	s_delay_alu instid0(SALU_CYCLE_1)
	s_mov_b32 s8, exec_lo
	s_waitcnt lgkmcnt(0)
	s_barrier
	buffer_gl0_inv
	v_cmpx_gt_u32_e32 16, v0
	s_cbranch_execz .LBB569_368
; %bb.367:
	v_lshlrev_b32_e32 v20, 2, v0
	ds_load_b32 v21, v20
	s_waitcnt lgkmcnt(0)
	v_mov_b32_dpp v22, v21 row_shr:1 row_mask:0xf bank_mask:0xf
	s_delay_alu instid0(VALU_DEP_1) | instskip(NEXT) | instid1(VALU_DEP_1)
	v_cndmask_b32_e64 v22, v22, 0, s4
	v_add_nc_u32_e32 v21, v22, v21
	s_delay_alu instid0(VALU_DEP_1) | instskip(NEXT) | instid1(VALU_DEP_1)
	v_mov_b32_dpp v22, v21 row_shr:2 row_mask:0xf bank_mask:0xf
	v_cndmask_b32_e64 v22, 0, v22, s2
	s_delay_alu instid0(VALU_DEP_1) | instskip(NEXT) | instid1(VALU_DEP_1)
	v_add_nc_u32_e32 v21, v21, v22
	v_mov_b32_dpp v22, v21 row_shr:4 row_mask:0xf bank_mask:0xf
	s_delay_alu instid0(VALU_DEP_1) | instskip(NEXT) | instid1(VALU_DEP_1)
	v_cndmask_b32_e64 v22, 0, v22, s5
	v_add_nc_u32_e32 v21, v21, v22
	s_delay_alu instid0(VALU_DEP_1) | instskip(NEXT) | instid1(VALU_DEP_1)
	v_mov_b32_dpp v22, v21 row_shr:8 row_mask:0xf bank_mask:0xf
	v_cndmask_b32_e64 v22, 0, v22, s3
	s_delay_alu instid0(VALU_DEP_1)
	v_add_nc_u32_e32 v21, v21, v22
	ds_store_b32 v20, v21
.LBB569_368:
	s_or_b32 exec_lo, exec_lo, s8
	v_cmp_gt_u32_e32 vcc_lo, 32, v0
	s_mov_b32 s9, exec_lo
	s_waitcnt lgkmcnt(0)
	s_barrier
	buffer_gl0_inv
                                        ; implicit-def: $vgpr27
	v_cmpx_lt_u32_e32 31, v0
	s_cbranch_execz .LBB569_370
; %bb.369:
	v_lshl_add_u32 v20, v42, 2, -4
	ds_load_b32 v27, v20
	s_waitcnt lgkmcnt(0)
	v_add_nc_u32_e32 v19, v27, v19
.LBB569_370:
	s_or_b32 exec_lo, exec_lo, s9
	v_add_nc_u32_e32 v20, -1, v41
	s_delay_alu instid0(VALU_DEP_1) | instskip(NEXT) | instid1(VALU_DEP_1)
	v_cmp_gt_i32_e64 s8, 0, v20
	v_cndmask_b32_e64 v20, v20, v41, s8
	v_cmp_eq_u32_e64 s8, 0, v41
	s_delay_alu instid0(VALU_DEP_2)
	v_lshlrev_b32_e32 v20, 2, v20
	ds_bpermute_b32 v29, v20, v19
	s_and_saveexec_b32 s9, vcc_lo
	s_cbranch_execz .LBB569_388
; %bb.371:
	v_mov_b32_e32 v22, 0
	ds_load_b32 v19, v22 offset:60
	s_and_saveexec_b32 s18, s8
	s_cbranch_execz .LBB569_373
; %bb.372:
	s_add_i32 s22, s15, 32
	s_mov_b32 s23, 0
	v_mov_b32_e32 v20, 1
	s_lshl_b64 s[22:23], s[22:23], 3
	s_delay_alu instid0(SALU_CYCLE_1)
	s_add_u32 s22, s10, s22
	s_addc_u32 s23, s11, s23
	s_waitcnt lgkmcnt(0)
	global_store_b64 v22, v[19:20], s[22:23]
.LBB569_373:
	s_or_b32 exec_lo, exec_lo, s18
	v_xad_u32 v20, v41, -1, s15
	s_mov_b32 s19, 0
	s_mov_b32 s18, exec_lo
	s_delay_alu instid0(VALU_DEP_1) | instskip(NEXT) | instid1(VALU_DEP_1)
	v_add_nc_u32_e32 v21, 32, v20
	v_lshlrev_b64 v[21:22], 3, v[21:22]
	s_delay_alu instid0(VALU_DEP_1) | instskip(NEXT) | instid1(VALU_DEP_2)
	v_add_co_u32 v24, vcc_lo, s10, v21
	v_add_co_ci_u32_e32 v25, vcc_lo, s11, v22, vcc_lo
	global_load_b64 v[22:23], v[24:25], off glc
	s_waitcnt vmcnt(0)
	v_and_b32_e32 v21, 0xff, v23
	s_delay_alu instid0(VALU_DEP_1)
	v_cmpx_eq_u16_e32 0, v21
	s_cbranch_execz .LBB569_376
.LBB569_374:                            ; =>This Inner Loop Header: Depth=1
	global_load_b64 v[22:23], v[24:25], off glc
	s_waitcnt vmcnt(0)
	v_and_b32_e32 v21, 0xff, v23
	s_delay_alu instid0(VALU_DEP_1) | instskip(SKIP_1) | instid1(SALU_CYCLE_1)
	v_cmp_ne_u16_e32 vcc_lo, 0, v21
	s_or_b32 s19, vcc_lo, s19
	s_and_not1_b32 exec_lo, exec_lo, s19
	s_cbranch_execnz .LBB569_374
; %bb.375:
	s_or_b32 exec_lo, exec_lo, s19
.LBB569_376:
	s_delay_alu instid0(SALU_CYCLE_1)
	s_or_b32 exec_lo, exec_lo, s18
	v_cmp_ne_u32_e32 vcc_lo, 31, v41
	v_lshlrev_b32_e64 v33, v41, -1
	v_add_nc_u32_e32 v37, 2, v41
	v_add_nc_u32_e32 v46, 4, v41
	;; [unrolled: 1-line block ×3, first 2 shown]
	v_add_co_ci_u32_e32 v21, vcc_lo, 0, v41, vcc_lo
	v_add_nc_u32_e32 v50, 16, v41
	s_delay_alu instid0(VALU_DEP_2)
	v_lshlrev_b32_e32 v31, 2, v21
	v_and_b32_e32 v21, 0xff, v23
	ds_bpermute_b32 v24, v31, v22
	v_cmp_eq_u16_e32 vcc_lo, 2, v21
	v_and_or_b32 v21, vcc_lo, v33, 0x80000000
	v_cmp_gt_u32_e32 vcc_lo, 30, v41
	s_delay_alu instid0(VALU_DEP_2) | instskip(SKIP_1) | instid1(VALU_DEP_2)
	v_ctz_i32_b32_e32 v21, v21
	v_cndmask_b32_e64 v25, 0, 1, vcc_lo
	v_cmp_lt_u32_e32 vcc_lo, v41, v21
	s_waitcnt lgkmcnt(0)
	s_delay_alu instid0(VALU_DEP_2) | instskip(NEXT) | instid1(VALU_DEP_1)
	v_dual_cndmask_b32 v24, 0, v24 :: v_dual_lshlrev_b32 v25, 1, v25
	v_add_lshl_u32 v35, v25, v41, 2
	v_cmp_gt_u32_e32 vcc_lo, 28, v41
	s_delay_alu instid0(VALU_DEP_3) | instskip(SKIP_4) | instid1(VALU_DEP_1)
	v_add_nc_u32_e32 v22, v24, v22
	v_cndmask_b32_e64 v25, 0, 1, vcc_lo
	v_cmp_le_u32_e32 vcc_lo, v37, v21
	ds_bpermute_b32 v24, v35, v22
	v_lshlrev_b32_e32 v25, 2, v25
	v_add_lshl_u32 v44, v25, v41, 2
	s_waitcnt lgkmcnt(0)
	v_cndmask_b32_e32 v24, 0, v24, vcc_lo
	v_cmp_gt_u32_e32 vcc_lo, 24, v41
	s_delay_alu instid0(VALU_DEP_2) | instskip(SKIP_4) | instid1(VALU_DEP_1)
	v_add_nc_u32_e32 v22, v22, v24
	v_cndmask_b32_e64 v25, 0, 1, vcc_lo
	v_cmp_le_u32_e32 vcc_lo, v46, v21
	ds_bpermute_b32 v24, v44, v22
	v_lshlrev_b32_e32 v25, 3, v25
	v_add_lshl_u32 v47, v25, v41, 2
	s_waitcnt lgkmcnt(0)
	v_cndmask_b32_e32 v24, 0, v24, vcc_lo
	v_cmp_gt_u32_e32 vcc_lo, 16, v41
	s_delay_alu instid0(VALU_DEP_2) | instskip(SKIP_4) | instid1(VALU_DEP_1)
	v_add_nc_u32_e32 v22, v22, v24
	v_cndmask_b32_e64 v25, 0, 1, vcc_lo
	v_cmp_le_u32_e32 vcc_lo, v48, v21
	ds_bpermute_b32 v24, v47, v22
	v_lshlrev_b32_e32 v25, 4, v25
	v_add_lshl_u32 v49, v25, v41, 2
	s_waitcnt lgkmcnt(0)
	v_cndmask_b32_e32 v24, 0, v24, vcc_lo
	v_cmp_le_u32_e32 vcc_lo, v50, v21
	s_delay_alu instid0(VALU_DEP_2) | instskip(SKIP_3) | instid1(VALU_DEP_1)
	v_add_nc_u32_e32 v22, v22, v24
	ds_bpermute_b32 v24, v49, v22
	s_waitcnt lgkmcnt(0)
	v_cndmask_b32_e32 v21, 0, v24, vcc_lo
	v_dual_mov_b32 v21, 0 :: v_dual_add_nc_u32 v22, v22, v21
	s_branch .LBB569_378
.LBB569_377:                            ;   in Loop: Header=BB569_378 Depth=1
	s_or_b32 exec_lo, exec_lo, s18
	ds_bpermute_b32 v25, v31, v22
	v_and_b32_e32 v24, 0xff, v23
	v_subrev_nc_u32_e32 v20, 32, v20
	s_delay_alu instid0(VALU_DEP_2) | instskip(SKIP_1) | instid1(VALU_DEP_1)
	v_cmp_eq_u16_e32 vcc_lo, 2, v24
	v_and_or_b32 v24, vcc_lo, v33, 0x80000000
	v_ctz_i32_b32_e32 v24, v24
	s_delay_alu instid0(VALU_DEP_1) | instskip(SKIP_3) | instid1(VALU_DEP_2)
	v_cmp_lt_u32_e32 vcc_lo, v41, v24
	s_waitcnt lgkmcnt(0)
	v_cndmask_b32_e32 v25, 0, v25, vcc_lo
	v_cmp_le_u32_e32 vcc_lo, v37, v24
	v_add_nc_u32_e32 v22, v25, v22
	ds_bpermute_b32 v25, v35, v22
	s_waitcnt lgkmcnt(0)
	v_cndmask_b32_e32 v25, 0, v25, vcc_lo
	v_cmp_le_u32_e32 vcc_lo, v46, v24
	s_delay_alu instid0(VALU_DEP_2) | instskip(SKIP_4) | instid1(VALU_DEP_2)
	v_add_nc_u32_e32 v22, v22, v25
	ds_bpermute_b32 v25, v44, v22
	s_waitcnt lgkmcnt(0)
	v_cndmask_b32_e32 v25, 0, v25, vcc_lo
	v_cmp_le_u32_e32 vcc_lo, v48, v24
	v_add_nc_u32_e32 v22, v22, v25
	ds_bpermute_b32 v25, v47, v22
	s_waitcnt lgkmcnt(0)
	v_cndmask_b32_e32 v25, 0, v25, vcc_lo
	v_cmp_le_u32_e32 vcc_lo, v50, v24
	s_delay_alu instid0(VALU_DEP_2) | instskip(SKIP_3) | instid1(VALU_DEP_1)
	v_add_nc_u32_e32 v22, v22, v25
	ds_bpermute_b32 v25, v49, v22
	s_waitcnt lgkmcnt(0)
	v_cndmask_b32_e32 v24, 0, v25, vcc_lo
	v_add3_u32 v22, v24, v45, v22
.LBB569_378:                            ; =>This Loop Header: Depth=1
                                        ;     Child Loop BB569_381 Depth 2
	v_and_b32_e32 v23, 0xff, v23
	s_delay_alu instid0(VALU_DEP_2) | instskip(NEXT) | instid1(VALU_DEP_2)
	v_mov_b32_e32 v45, v22
	v_cmp_ne_u16_e32 vcc_lo, 2, v23
	v_cndmask_b32_e64 v23, 0, 1, vcc_lo
	;;#ASMSTART
	;;#ASMEND
	s_delay_alu instid0(VALU_DEP_1)
	v_cmp_ne_u32_e32 vcc_lo, 0, v23
	s_cmp_lg_u32 vcc_lo, exec_lo
	s_cbranch_scc1 .LBB569_383
; %bb.379:                              ;   in Loop: Header=BB569_378 Depth=1
	v_lshlrev_b64 v[22:23], 3, v[20:21]
	s_mov_b32 s18, exec_lo
	s_delay_alu instid0(VALU_DEP_1) | instskip(NEXT) | instid1(VALU_DEP_2)
	v_add_co_u32 v24, vcc_lo, s10, v22
	v_add_co_ci_u32_e32 v25, vcc_lo, s11, v23, vcc_lo
	global_load_b64 v[22:23], v[24:25], off glc
	s_waitcnt vmcnt(0)
	v_and_b32_e32 v51, 0xff, v23
	s_delay_alu instid0(VALU_DEP_1)
	v_cmpx_eq_u16_e32 0, v51
	s_cbranch_execz .LBB569_377
; %bb.380:                              ;   in Loop: Header=BB569_378 Depth=1
	s_mov_b32 s19, 0
.LBB569_381:                            ;   Parent Loop BB569_378 Depth=1
                                        ; =>  This Inner Loop Header: Depth=2
	global_load_b64 v[22:23], v[24:25], off glc
	s_waitcnt vmcnt(0)
	v_and_b32_e32 v51, 0xff, v23
	s_delay_alu instid0(VALU_DEP_1) | instskip(SKIP_1) | instid1(SALU_CYCLE_1)
	v_cmp_ne_u16_e32 vcc_lo, 0, v51
	s_or_b32 s19, vcc_lo, s19
	s_and_not1_b32 exec_lo, exec_lo, s19
	s_cbranch_execnz .LBB569_381
; %bb.382:                              ;   in Loop: Header=BB569_378 Depth=1
	s_or_b32 exec_lo, exec_lo, s19
	s_branch .LBB569_377
.LBB569_383:                            ;   in Loop: Header=BB569_378 Depth=1
                                        ; implicit-def: $vgpr22
                                        ; implicit-def: $vgpr23
	s_cbranch_execz .LBB569_378
; %bb.384:
	s_and_saveexec_b32 s18, s8
	s_cbranch_execz .LBB569_386
; %bb.385:
	s_add_i32 s22, s15, 32
	s_mov_b32 s23, 0
	v_dual_mov_b32 v21, 2 :: v_dual_add_nc_u32 v20, v45, v19
	s_lshl_b64 s[22:23], s[22:23], 3
	v_mov_b32_e32 v22, 0
	v_add_nc_u32_e64 v23, 0x8400, 0
	s_add_u32 s22, s10, s22
	s_addc_u32 s23, s11, s23
	global_store_b64 v22, v[20:21], s[22:23]
	ds_store_2addr_b32 v23, v19, v45 offset1:2
.LBB569_386:
	s_or_b32 exec_lo, exec_lo, s18
	v_cmp_eq_u32_e32 vcc_lo, 0, v0
	s_and_b32 exec_lo, exec_lo, vcc_lo
	s_cbranch_execz .LBB569_388
; %bb.387:
	v_mov_b32_e32 v19, 0
	ds_store_b32 v19, v45 offset:60
.LBB569_388:
	s_or_b32 exec_lo, exec_lo, s9
	s_waitcnt lgkmcnt(0)
	v_cndmask_b32_e64 v20, v29, v27, s8
	v_cmp_ne_u32_e32 vcc_lo, 0, v0
	v_mov_b32_e32 v19, 0
	s_waitcnt_vscnt null, 0x0
	s_barrier
	buffer_gl0_inv
	v_cndmask_b32_e32 v20, 0, v20, vcc_lo
	ds_load_b32 v19, v19 offset:60
	s_waitcnt lgkmcnt(0)
	s_barrier
	buffer_gl0_inv
	v_add_nc_u32_e32 v37, v19, v20
	v_add_nc_u32_e64 v19, 0x8400, 0
	s_delay_alu instid0(VALU_DEP_2) | instskip(SKIP_2) | instid1(VALU_DEP_1)
	v_add_nc_u32_e32 v35, v37, v26
	ds_load_2addr_b32 v[19:20], v19 offset1:2
	v_add_nc_u32_e32 v33, v35, v28
	v_add_nc_u32_e32 v31, v33, v30
	s_delay_alu instid0(VALU_DEP_1) | instskip(NEXT) | instid1(VALU_DEP_1)
	v_add_nc_u32_e32 v29, v31, v32
	v_add_nc_u32_e32 v27, v29, v34
	s_delay_alu instid0(VALU_DEP_1) | instskip(NEXT) | instid1(VALU_DEP_1)
	v_add_nc_u32_e32 v25, v27, v36
	v_add_nc_u32_e32 v23, v25, v38
	s_load_b64 s[8:9], s[0:1], 0x28
	v_lshrrev_b64 v[21:22], 24, v[17:18]
	s_branch .LBB569_399
.LBB569_389:
                                        ; implicit-def: $vgpr23
                                        ; implicit-def: $vgpr25
                                        ; implicit-def: $vgpr27
                                        ; implicit-def: $vgpr29
                                        ; implicit-def: $vgpr31
                                        ; implicit-def: $vgpr33
                                        ; implicit-def: $vgpr35
                                        ; implicit-def: $vgpr37
                                        ; implicit-def: $vgpr20
	s_load_b64 s[8:9], s[0:1], 0x28
	v_lshrrev_b64 v[21:22], 24, v[17:18]
	s_and_b32 vcc_lo, exec_lo, s18
	s_cbranch_vccz .LBB569_399
; %bb.390:
	s_waitcnt lgkmcnt(0)
	v_mov_b32_dpp v19, v43 row_shr:1 row_mask:0xf bank_mask:0xf
	s_delay_alu instid0(VALU_DEP_1) | instskip(NEXT) | instid1(VALU_DEP_1)
	v_cndmask_b32_e64 v19, v19, 0, s4
	v_add_nc_u32_e32 v19, v19, v43
	s_delay_alu instid0(VALU_DEP_1) | instskip(NEXT) | instid1(VALU_DEP_1)
	v_mov_b32_dpp v20, v19 row_shr:2 row_mask:0xf bank_mask:0xf
	v_cndmask_b32_e64 v20, 0, v20, s2
	s_delay_alu instid0(VALU_DEP_1) | instskip(NEXT) | instid1(VALU_DEP_1)
	v_add_nc_u32_e32 v19, v19, v20
	v_mov_b32_dpp v20, v19 row_shr:4 row_mask:0xf bank_mask:0xf
	s_delay_alu instid0(VALU_DEP_1) | instskip(NEXT) | instid1(VALU_DEP_1)
	v_cndmask_b32_e64 v20, 0, v20, s5
	v_add_nc_u32_e32 v19, v19, v20
	s_delay_alu instid0(VALU_DEP_1) | instskip(NEXT) | instid1(VALU_DEP_1)
	v_mov_b32_dpp v20, v19 row_shr:8 row_mask:0xf bank_mask:0xf
	v_cndmask_b32_e64 v20, 0, v20, s3
	s_delay_alu instid0(VALU_DEP_1) | instskip(SKIP_3) | instid1(VALU_DEP_1)
	v_add_nc_u32_e32 v19, v19, v20
	ds_swizzle_b32 v20, v19 offset:swizzle(BROADCAST,32,15)
	s_waitcnt lgkmcnt(0)
	v_cndmask_b32_e64 v20, v20, 0, s7
	v_add_nc_u32_e32 v19, v19, v20
	s_and_saveexec_b32 s0, s6
	s_cbranch_execz .LBB569_392
; %bb.391:
	v_lshlrev_b32_e32 v20, 2, v42
	ds_store_b32 v20, v19
.LBB569_392:
	s_or_b32 exec_lo, exec_lo, s0
	s_delay_alu instid0(SALU_CYCLE_1)
	s_mov_b32 s0, exec_lo
	s_waitcnt lgkmcnt(0)
	s_barrier
	buffer_gl0_inv
	v_cmpx_gt_u32_e32 16, v0
	s_cbranch_execz .LBB569_394
; %bb.393:
	v_lshlrev_b32_e32 v20, 2, v0
	ds_load_b32 v22, v20
	s_waitcnt lgkmcnt(0)
	v_mov_b32_dpp v23, v22 row_shr:1 row_mask:0xf bank_mask:0xf
	s_delay_alu instid0(VALU_DEP_1) | instskip(NEXT) | instid1(VALU_DEP_1)
	v_cndmask_b32_e64 v23, v23, 0, s4
	v_add_nc_u32_e32 v22, v23, v22
	s_delay_alu instid0(VALU_DEP_1) | instskip(NEXT) | instid1(VALU_DEP_1)
	v_mov_b32_dpp v23, v22 row_shr:2 row_mask:0xf bank_mask:0xf
	v_cndmask_b32_e64 v23, 0, v23, s2
	s_delay_alu instid0(VALU_DEP_1) | instskip(NEXT) | instid1(VALU_DEP_1)
	v_add_nc_u32_e32 v22, v22, v23
	v_mov_b32_dpp v23, v22 row_shr:4 row_mask:0xf bank_mask:0xf
	s_delay_alu instid0(VALU_DEP_1) | instskip(NEXT) | instid1(VALU_DEP_1)
	v_cndmask_b32_e64 v23, 0, v23, s5
	v_add_nc_u32_e32 v22, v22, v23
	s_delay_alu instid0(VALU_DEP_1) | instskip(NEXT) | instid1(VALU_DEP_1)
	v_mov_b32_dpp v23, v22 row_shr:8 row_mask:0xf bank_mask:0xf
	v_cndmask_b32_e64 v23, 0, v23, s3
	s_delay_alu instid0(VALU_DEP_1)
	v_add_nc_u32_e32 v22, v22, v23
	ds_store_b32 v20, v22
.LBB569_394:
	s_or_b32 exec_lo, exec_lo, s0
	v_mov_b32_e32 v20, 0
	v_mov_b32_e32 v22, 0
	s_mov_b32 s0, exec_lo
	s_waitcnt lgkmcnt(0)
	s_barrier
	buffer_gl0_inv
	v_cmpx_lt_u32_e32 31, v0
	s_cbranch_execz .LBB569_396
; %bb.395:
	v_lshl_add_u32 v22, v42, 2, -4
	ds_load_b32 v22, v22
.LBB569_396:
	s_or_b32 exec_lo, exec_lo, s0
	v_add_nc_u32_e32 v23, -1, v41
	s_waitcnt lgkmcnt(0)
	v_add_nc_u32_e32 v19, v22, v19
	s_delay_alu instid0(VALU_DEP_2) | instskip(SKIP_2) | instid1(VALU_DEP_2)
	v_cmp_gt_i32_e32 vcc_lo, 0, v23
	v_cndmask_b32_e32 v23, v23, v41, vcc_lo
	v_cmp_eq_u32_e32 vcc_lo, 0, v0
	v_lshlrev_b32_e32 v23, 2, v23
	ds_bpermute_b32 v23, v23, v19
	ds_load_b32 v19, v20 offset:60
	s_and_saveexec_b32 s0, vcc_lo
	s_cbranch_execz .LBB569_398
; %bb.397:
	v_mov_b32_e32 v24, 0
	v_mov_b32_e32 v20, 2
	s_waitcnt lgkmcnt(0)
	global_store_b64 v24, v[19:20], s[10:11] offset:256
.LBB569_398:
	s_or_b32 exec_lo, exec_lo, s0
	v_cmp_eq_u32_e64 s0, 0, v41
	s_waitcnt lgkmcnt(0)
	s_waitcnt_vscnt null, 0x0
	s_barrier
	buffer_gl0_inv
	v_cndmask_b32_e64 v20, v23, v22, s0
	s_delay_alu instid0(VALU_DEP_1) | instskip(NEXT) | instid1(VALU_DEP_1)
	v_cndmask_b32_e64 v37, v20, 0, vcc_lo
	v_dual_mov_b32 v20, 0 :: v_dual_add_nc_u32 v35, v37, v26
	s_delay_alu instid0(VALU_DEP_1) | instskip(NEXT) | instid1(VALU_DEP_1)
	v_add_nc_u32_e32 v33, v35, v28
	v_add_nc_u32_e32 v31, v33, v30
	s_delay_alu instid0(VALU_DEP_1) | instskip(NEXT) | instid1(VALU_DEP_1)
	v_add_nc_u32_e32 v29, v31, v32
	v_add_nc_u32_e32 v27, v29, v34
	;; [unrolled: 3-line block ×3, first 2 shown]
.LBB569_399:
	s_waitcnt lgkmcnt(0)
	v_cmp_gt_u32_e32 vcc_lo, 0x201, v19
	v_lshrrev_b32_e32 v43, 8, v17
	v_lshrrev_b32_e32 v42, 16, v17
	;; [unrolled: 1-line block ×4, first 2 shown]
	s_mov_b32 s0, -1
	s_cbranch_vccnz .LBB569_403
; %bb.400:
	s_and_b32 vcc_lo, exec_lo, s0
	s_cbranch_vccnz .LBB569_428
.LBB569_401:
	v_cmp_eq_u32_e32 vcc_lo, 0, v0
	s_and_b32 s0, vcc_lo, s14
	s_delay_alu instid0(SALU_CYCLE_1)
	s_and_saveexec_b32 s1, s0
	s_cbranch_execnz .LBB569_448
.LBB569_402:
	s_nop 0
	s_sendmsg sendmsg(MSG_DEALLOC_VGPRS)
	s_endpgm
.LBB569_403:
	v_add_nc_u32_e32 v24, v20, v19
	s_delay_alu instid0(VALU_DEP_1) | instskip(SKIP_1) | instid1(SALU_CYCLE_1)
	v_cmp_lt_u32_e32 vcc_lo, v37, v24
	s_or_b32 s1, s21, vcc_lo
	s_and_saveexec_b32 s0, s1
	s_cbranch_execz .LBB569_406
; %bb.404:
	v_and_b32_e32 v26, 1, v17
	s_delay_alu instid0(VALU_DEP_1)
	v_cmp_eq_u32_e32 vcc_lo, 1, v26
	s_and_b32 exec_lo, exec_lo, vcc_lo
	s_cbranch_execz .LBB569_406
; %bb.405:
	v_mov_b32_e32 v38, 0
	s_lshl_b64 s[2:3], s[12:13], 3
	s_delay_alu instid0(SALU_CYCLE_1) | instskip(SKIP_1) | instid1(VALU_DEP_1)
	s_add_u32 s1, s8, s2
	s_addc_u32 s2, s9, s3
	v_lshlrev_b64 v[44:45], 3, v[37:38]
	s_delay_alu instid0(VALU_DEP_1) | instskip(NEXT) | instid1(VALU_DEP_2)
	v_add_co_u32 v44, vcc_lo, s1, v44
	v_add_co_ci_u32_e32 v45, vcc_lo, s2, v45, vcc_lo
	global_store_b64 v[44:45], v[13:14], off
.LBB569_406:
	s_or_b32 exec_lo, exec_lo, s0
	v_cmp_lt_u32_e32 vcc_lo, v35, v24
	s_or_b32 s1, s21, vcc_lo
	s_delay_alu instid0(SALU_CYCLE_1)
	s_and_saveexec_b32 s0, s1
	s_cbranch_execz .LBB569_409
; %bb.407:
	v_and_b32_e32 v26, 1, v43
	s_delay_alu instid0(VALU_DEP_1)
	v_cmp_eq_u32_e32 vcc_lo, 1, v26
	s_and_b32 exec_lo, exec_lo, vcc_lo
	s_cbranch_execz .LBB569_409
; %bb.408:
	v_mov_b32_e32 v36, 0
	s_lshl_b64 s[2:3], s[12:13], 3
	s_delay_alu instid0(SALU_CYCLE_1) | instskip(SKIP_1) | instid1(VALU_DEP_1)
	s_add_u32 s1, s8, s2
	s_addc_u32 s2, s9, s3
	v_lshlrev_b64 v[44:45], 3, v[35:36]
	s_delay_alu instid0(VALU_DEP_1) | instskip(NEXT) | instid1(VALU_DEP_2)
	v_add_co_u32 v44, vcc_lo, s1, v44
	v_add_co_ci_u32_e32 v45, vcc_lo, s2, v45, vcc_lo
	global_store_b64 v[44:45], v[15:16], off
.LBB569_409:
	s_or_b32 exec_lo, exec_lo, s0
	v_cmp_lt_u32_e32 vcc_lo, v33, v24
	s_or_b32 s1, s21, vcc_lo
	s_delay_alu instid0(SALU_CYCLE_1)
	s_and_saveexec_b32 s0, s1
	s_cbranch_execz .LBB569_412
; %bb.410:
	v_and_b32_e32 v26, 1, v42
	s_delay_alu instid0(VALU_DEP_1)
	v_cmp_eq_u32_e32 vcc_lo, 1, v26
	s_and_b32 exec_lo, exec_lo, vcc_lo
	s_cbranch_execz .LBB569_412
; %bb.411:
	v_mov_b32_e32 v34, 0
	s_lshl_b64 s[2:3], s[12:13], 3
	s_delay_alu instid0(SALU_CYCLE_1) | instskip(SKIP_1) | instid1(VALU_DEP_1)
	s_add_u32 s1, s8, s2
	s_addc_u32 s2, s9, s3
	v_lshlrev_b64 v[44:45], 3, v[33:34]
	s_delay_alu instid0(VALU_DEP_1) | instskip(NEXT) | instid1(VALU_DEP_2)
	v_add_co_u32 v44, vcc_lo, s1, v44
	v_add_co_ci_u32_e32 v45, vcc_lo, s2, v45, vcc_lo
	global_store_b64 v[44:45], v[9:10], off
.LBB569_412:
	s_or_b32 exec_lo, exec_lo, s0
	v_cmp_lt_u32_e32 vcc_lo, v31, v24
	s_or_b32 s1, s21, vcc_lo
	s_delay_alu instid0(SALU_CYCLE_1)
	s_and_saveexec_b32 s0, s1
	s_cbranch_execz .LBB569_415
; %bb.413:
	v_and_b32_e32 v26, 1, v21
	s_delay_alu instid0(VALU_DEP_1)
	v_cmp_eq_u32_e32 vcc_lo, 1, v26
	s_and_b32 exec_lo, exec_lo, vcc_lo
	s_cbranch_execz .LBB569_415
; %bb.414:
	v_mov_b32_e32 v32, 0
	s_lshl_b64 s[2:3], s[12:13], 3
	s_delay_alu instid0(SALU_CYCLE_1) | instskip(SKIP_1) | instid1(VALU_DEP_1)
	s_add_u32 s1, s8, s2
	s_addc_u32 s2, s9, s3
	v_lshlrev_b64 v[44:45], 3, v[31:32]
	s_delay_alu instid0(VALU_DEP_1) | instskip(NEXT) | instid1(VALU_DEP_2)
	v_add_co_u32 v44, vcc_lo, s1, v44
	v_add_co_ci_u32_e32 v45, vcc_lo, s2, v45, vcc_lo
	global_store_b64 v[44:45], v[11:12], off
.LBB569_415:
	s_or_b32 exec_lo, exec_lo, s0
	v_cmp_lt_u32_e32 vcc_lo, v29, v24
	s_or_b32 s1, s21, vcc_lo
	s_delay_alu instid0(SALU_CYCLE_1)
	s_and_saveexec_b32 s0, s1
	s_cbranch_execz .LBB569_418
; %bb.416:
	v_and_b32_e32 v26, 1, v18
	s_delay_alu instid0(VALU_DEP_1)
	v_cmp_eq_u32_e32 vcc_lo, 1, v26
	s_and_b32 exec_lo, exec_lo, vcc_lo
	s_cbranch_execz .LBB569_418
; %bb.417:
	v_mov_b32_e32 v30, 0
	s_lshl_b64 s[2:3], s[12:13], 3
	s_delay_alu instid0(SALU_CYCLE_1) | instskip(SKIP_1) | instid1(VALU_DEP_1)
	s_add_u32 s1, s8, s2
	s_addc_u32 s2, s9, s3
	v_lshlrev_b64 v[44:45], 3, v[29:30]
	s_delay_alu instid0(VALU_DEP_1) | instskip(NEXT) | instid1(VALU_DEP_2)
	v_add_co_u32 v44, vcc_lo, s1, v44
	v_add_co_ci_u32_e32 v45, vcc_lo, s2, v45, vcc_lo
	global_store_b64 v[44:45], v[5:6], off
.LBB569_418:
	s_or_b32 exec_lo, exec_lo, s0
	v_cmp_lt_u32_e32 vcc_lo, v27, v24
	s_or_b32 s1, s21, vcc_lo
	s_delay_alu instid0(SALU_CYCLE_1)
	s_and_saveexec_b32 s0, s1
	s_cbranch_execz .LBB569_421
; %bb.419:
	v_and_b32_e32 v26, 1, v41
	s_delay_alu instid0(VALU_DEP_1)
	v_cmp_eq_u32_e32 vcc_lo, 1, v26
	s_and_b32 exec_lo, exec_lo, vcc_lo
	s_cbranch_execz .LBB569_421
; %bb.420:
	v_mov_b32_e32 v28, 0
	s_lshl_b64 s[2:3], s[12:13], 3
	s_delay_alu instid0(SALU_CYCLE_1) | instskip(SKIP_1) | instid1(VALU_DEP_1)
	s_add_u32 s1, s8, s2
	s_addc_u32 s2, s9, s3
	v_lshlrev_b64 v[44:45], 3, v[27:28]
	s_delay_alu instid0(VALU_DEP_1) | instskip(NEXT) | instid1(VALU_DEP_2)
	v_add_co_u32 v44, vcc_lo, s1, v44
	v_add_co_ci_u32_e32 v45, vcc_lo, s2, v45, vcc_lo
	global_store_b64 v[44:45], v[7:8], off
.LBB569_421:
	s_or_b32 exec_lo, exec_lo, s0
	v_cmp_lt_u32_e32 vcc_lo, v25, v24
	s_or_b32 s1, s21, vcc_lo
	s_delay_alu instid0(SALU_CYCLE_1)
	s_and_saveexec_b32 s0, s1
	s_cbranch_execz .LBB569_424
; %bb.422:
	v_and_b32_e32 v26, 1, v22
	s_delay_alu instid0(VALU_DEP_1)
	v_cmp_eq_u32_e32 vcc_lo, 1, v26
	s_and_b32 exec_lo, exec_lo, vcc_lo
	s_cbranch_execz .LBB569_424
; %bb.423:
	v_mov_b32_e32 v26, 0
	s_lshl_b64 s[2:3], s[12:13], 3
	s_delay_alu instid0(SALU_CYCLE_1) | instskip(SKIP_1) | instid1(VALU_DEP_1)
	s_add_u32 s1, s8, s2
	s_addc_u32 s2, s9, s3
	v_lshlrev_b64 v[44:45], 3, v[25:26]
	s_delay_alu instid0(VALU_DEP_1) | instskip(NEXT) | instid1(VALU_DEP_2)
	v_add_co_u32 v44, vcc_lo, s1, v44
	v_add_co_ci_u32_e32 v45, vcc_lo, s2, v45, vcc_lo
	global_store_b64 v[44:45], v[1:2], off
.LBB569_424:
	s_or_b32 exec_lo, exec_lo, s0
	v_cmp_lt_u32_e32 vcc_lo, v23, v24
	s_or_b32 s1, s21, vcc_lo
	s_delay_alu instid0(SALU_CYCLE_1)
	s_and_saveexec_b32 s0, s1
	s_cbranch_execz .LBB569_427
; %bb.425:
	v_and_b32_e32 v24, 1, v40
	s_delay_alu instid0(VALU_DEP_1)
	v_cmp_eq_u32_e32 vcc_lo, 1, v24
	s_and_b32 exec_lo, exec_lo, vcc_lo
	s_cbranch_execz .LBB569_427
; %bb.426:
	v_mov_b32_e32 v24, 0
	s_lshl_b64 s[2:3], s[12:13], 3
	s_delay_alu instid0(SALU_CYCLE_1) | instskip(SKIP_1) | instid1(VALU_DEP_1)
	s_add_u32 s1, s8, s2
	s_addc_u32 s2, s9, s3
	v_lshlrev_b64 v[44:45], 3, v[23:24]
	s_delay_alu instid0(VALU_DEP_1) | instskip(NEXT) | instid1(VALU_DEP_2)
	v_add_co_u32 v44, vcc_lo, s1, v44
	v_add_co_ci_u32_e32 v45, vcc_lo, s2, v45, vcc_lo
	global_store_b64 v[44:45], v[3:4], off
.LBB569_427:
	s_or_b32 exec_lo, exec_lo, s0
	s_branch .LBB569_401
.LBB569_428:
	v_and_b32_e32 v17, 1, v17
	s_mov_b32 s0, exec_lo
	s_delay_alu instid0(VALU_DEP_1)
	v_cmpx_eq_u32_e32 1, v17
	s_cbranch_execz .LBB569_430
; %bb.429:
	v_sub_nc_u32_e32 v17, v37, v20
	s_delay_alu instid0(VALU_DEP_1)
	v_lshlrev_b32_e32 v17, 3, v17
	ds_store_b64 v17, v[13:14]
.LBB569_430:
	s_or_b32 exec_lo, exec_lo, s0
	v_and_b32_e32 v13, 1, v43
	s_mov_b32 s0, exec_lo
	s_delay_alu instid0(VALU_DEP_1)
	v_cmpx_eq_u32_e32 1, v13
	s_cbranch_execz .LBB569_432
; %bb.431:
	v_sub_nc_u32_e32 v13, v35, v20
	s_delay_alu instid0(VALU_DEP_1)
	v_lshlrev_b32_e32 v13, 3, v13
	ds_store_b64 v13, v[15:16]
.LBB569_432:
	s_or_b32 exec_lo, exec_lo, s0
	;; [unrolled: 12-line block ×8, first 2 shown]
	s_delay_alu instid0(SALU_CYCLE_1)
	s_mov_b32 s1, exec_lo
	s_waitcnt lgkmcnt(0)
	s_waitcnt_vscnt null, 0x0
	s_barrier
	buffer_gl0_inv
	v_cmpx_lt_u32_e64 v0, v19
	s_cbranch_execz .LBB569_447
; %bb.445:
	v_dual_mov_b32 v2, 0 :: v_dual_mov_b32 v1, v20
	s_lshl_b64 s[2:3], s[12:13], 3
	v_mov_b32_e32 v3, v0
	s_delay_alu instid0(VALU_DEP_2) | instskip(NEXT) | instid1(VALU_DEP_1)
	v_lshlrev_b64 v[1:2], 3, v[1:2]
	v_add_co_u32 v1, vcc_lo, s2, v1
	s_delay_alu instid0(VALU_DEP_2) | instskip(SKIP_1) | instid1(VALU_DEP_2)
	v_add_co_ci_u32_e32 v2, vcc_lo, s3, v2, vcc_lo
	s_mov_b32 s2, 0
	v_add_co_u32 v1, vcc_lo, s8, v1
	s_delay_alu instid0(VALU_DEP_2) | instskip(NEXT) | instid1(VALU_DEP_2)
	v_add_co_ci_u32_e32 v2, vcc_lo, s9, v2, vcc_lo
	v_add_co_u32 v1, vcc_lo, v1, v39
	s_delay_alu instid0(VALU_DEP_2)
	v_add_co_ci_u32_e32 v2, vcc_lo, 0, v2, vcc_lo
	.p2align	6
.LBB569_446:                            ; =>This Inner Loop Header: Depth=1
	ds_load_b64 v[4:5], v39
	v_add_nc_u32_e32 v3, 0x200, v3
	v_add_nc_u32_e32 v39, 0x1000, v39
	s_delay_alu instid0(VALU_DEP_2) | instskip(SKIP_4) | instid1(VALU_DEP_1)
	v_cmp_ge_u32_e32 vcc_lo, v3, v19
	s_or_b32 s2, vcc_lo, s2
	s_waitcnt lgkmcnt(0)
	global_store_b64 v[1:2], v[4:5], off
	v_add_co_u32 v1, s0, 0x1000, v1
	v_add_co_ci_u32_e64 v2, s0, 0, v2, s0
	s_and_not1_b32 exec_lo, exec_lo, s2
	s_cbranch_execnz .LBB569_446
.LBB569_447:
	s_or_b32 exec_lo, exec_lo, s1
	v_cmp_eq_u32_e32 vcc_lo, 0, v0
	s_and_b32 s0, vcc_lo, s14
	s_delay_alu instid0(SALU_CYCLE_1)
	s_and_saveexec_b32 s1, s0
	s_cbranch_execz .LBB569_402
.LBB569_448:
	v_add_co_u32 v0, s0, s12, v19
	s_delay_alu instid0(VALU_DEP_1) | instskip(SKIP_1) | instid1(VALU_DEP_3)
	v_add_co_ci_u32_e64 v1, null, s13, 0, s0
	v_mov_b32_e32 v2, 0
	v_add_co_u32 v0, vcc_lo, v0, v20
	s_delay_alu instid0(VALU_DEP_3)
	v_add_co_ci_u32_e32 v1, vcc_lo, 0, v1, vcc_lo
	global_store_b64 v2, v[0:1], s[16:17]
	s_nop 0
	s_sendmsg sendmsg(MSG_DEALLOC_VGPRS)
	s_endpgm
	.section	.rodata,"a",@progbits
	.p2align	6, 0x0
	.amdhsa_kernel _ZN7rocprim17ROCPRIM_400000_NS6detail17trampoline_kernelINS0_14default_configENS1_25partition_config_selectorILNS1_17partition_subalgoE8ElNS0_10empty_typeEbEEZZNS1_14partition_implILS5_8ELb0ES3_jPlPS6_PKS6_NS0_5tupleIJS9_S6_EEENSD_IJSA_SA_EEENS0_18inequality_wrapperIZN2at6native12_GLOBAL__N_124unique_dim_cuda_templateIlEESt5tupleIJNSH_6TensorESM_SM_EERKSM_lbbbEUlllE0_EEPmJS6_EEE10hipError_tPvRmT3_T4_T5_T6_T7_T9_mT8_P12ihipStream_tbDpT10_ENKUlT_T0_E_clISt17integral_constantIbLb0EES1C_EEDaS17_S18_EUlS17_E_NS1_11comp_targetILNS1_3genE9ELNS1_11target_archE1100ELNS1_3gpuE3ELNS1_3repE0EEENS1_30default_config_static_selectorELNS0_4arch9wavefront6targetE0EEEvT1_
		.amdhsa_group_segment_fixed_size 33804
		.amdhsa_private_segment_fixed_size 0
		.amdhsa_kernarg_size 120
		.amdhsa_user_sgpr_count 15
		.amdhsa_user_sgpr_dispatch_ptr 0
		.amdhsa_user_sgpr_queue_ptr 0
		.amdhsa_user_sgpr_kernarg_segment_ptr 1
		.amdhsa_user_sgpr_dispatch_id 0
		.amdhsa_user_sgpr_private_segment_size 0
		.amdhsa_wavefront_size32 1
		.amdhsa_uses_dynamic_stack 0
		.amdhsa_enable_private_segment 0
		.amdhsa_system_sgpr_workgroup_id_x 1
		.amdhsa_system_sgpr_workgroup_id_y 0
		.amdhsa_system_sgpr_workgroup_id_z 0
		.amdhsa_system_sgpr_workgroup_info 0
		.amdhsa_system_vgpr_workitem_id 0
		.amdhsa_next_free_vgpr 52
		.amdhsa_next_free_sgpr 36
		.amdhsa_reserve_vcc 1
		.amdhsa_float_round_mode_32 0
		.amdhsa_float_round_mode_16_64 0
		.amdhsa_float_denorm_mode_32 3
		.amdhsa_float_denorm_mode_16_64 3
		.amdhsa_dx10_clamp 1
		.amdhsa_ieee_mode 1
		.amdhsa_fp16_overflow 0
		.amdhsa_workgroup_processor_mode 1
		.amdhsa_memory_ordered 1
		.amdhsa_forward_progress 0
		.amdhsa_shared_vgpr_count 0
		.amdhsa_exception_fp_ieee_invalid_op 0
		.amdhsa_exception_fp_denorm_src 0
		.amdhsa_exception_fp_ieee_div_zero 0
		.amdhsa_exception_fp_ieee_overflow 0
		.amdhsa_exception_fp_ieee_underflow 0
		.amdhsa_exception_fp_ieee_inexact 0
		.amdhsa_exception_int_div_zero 0
	.end_amdhsa_kernel
	.section	.text._ZN7rocprim17ROCPRIM_400000_NS6detail17trampoline_kernelINS0_14default_configENS1_25partition_config_selectorILNS1_17partition_subalgoE8ElNS0_10empty_typeEbEEZZNS1_14partition_implILS5_8ELb0ES3_jPlPS6_PKS6_NS0_5tupleIJS9_S6_EEENSD_IJSA_SA_EEENS0_18inequality_wrapperIZN2at6native12_GLOBAL__N_124unique_dim_cuda_templateIlEESt5tupleIJNSH_6TensorESM_SM_EERKSM_lbbbEUlllE0_EEPmJS6_EEE10hipError_tPvRmT3_T4_T5_T6_T7_T9_mT8_P12ihipStream_tbDpT10_ENKUlT_T0_E_clISt17integral_constantIbLb0EES1C_EEDaS17_S18_EUlS17_E_NS1_11comp_targetILNS1_3genE9ELNS1_11target_archE1100ELNS1_3gpuE3ELNS1_3repE0EEENS1_30default_config_static_selectorELNS0_4arch9wavefront6targetE0EEEvT1_,"axG",@progbits,_ZN7rocprim17ROCPRIM_400000_NS6detail17trampoline_kernelINS0_14default_configENS1_25partition_config_selectorILNS1_17partition_subalgoE8ElNS0_10empty_typeEbEEZZNS1_14partition_implILS5_8ELb0ES3_jPlPS6_PKS6_NS0_5tupleIJS9_S6_EEENSD_IJSA_SA_EEENS0_18inequality_wrapperIZN2at6native12_GLOBAL__N_124unique_dim_cuda_templateIlEESt5tupleIJNSH_6TensorESM_SM_EERKSM_lbbbEUlllE0_EEPmJS6_EEE10hipError_tPvRmT3_T4_T5_T6_T7_T9_mT8_P12ihipStream_tbDpT10_ENKUlT_T0_E_clISt17integral_constantIbLb0EES1C_EEDaS17_S18_EUlS17_E_NS1_11comp_targetILNS1_3genE9ELNS1_11target_archE1100ELNS1_3gpuE3ELNS1_3repE0EEENS1_30default_config_static_selectorELNS0_4arch9wavefront6targetE0EEEvT1_,comdat
.Lfunc_end569:
	.size	_ZN7rocprim17ROCPRIM_400000_NS6detail17trampoline_kernelINS0_14default_configENS1_25partition_config_selectorILNS1_17partition_subalgoE8ElNS0_10empty_typeEbEEZZNS1_14partition_implILS5_8ELb0ES3_jPlPS6_PKS6_NS0_5tupleIJS9_S6_EEENSD_IJSA_SA_EEENS0_18inequality_wrapperIZN2at6native12_GLOBAL__N_124unique_dim_cuda_templateIlEESt5tupleIJNSH_6TensorESM_SM_EERKSM_lbbbEUlllE0_EEPmJS6_EEE10hipError_tPvRmT3_T4_T5_T6_T7_T9_mT8_P12ihipStream_tbDpT10_ENKUlT_T0_E_clISt17integral_constantIbLb0EES1C_EEDaS17_S18_EUlS17_E_NS1_11comp_targetILNS1_3genE9ELNS1_11target_archE1100ELNS1_3gpuE3ELNS1_3repE0EEENS1_30default_config_static_selectorELNS0_4arch9wavefront6targetE0EEEvT1_, .Lfunc_end569-_ZN7rocprim17ROCPRIM_400000_NS6detail17trampoline_kernelINS0_14default_configENS1_25partition_config_selectorILNS1_17partition_subalgoE8ElNS0_10empty_typeEbEEZZNS1_14partition_implILS5_8ELb0ES3_jPlPS6_PKS6_NS0_5tupleIJS9_S6_EEENSD_IJSA_SA_EEENS0_18inequality_wrapperIZN2at6native12_GLOBAL__N_124unique_dim_cuda_templateIlEESt5tupleIJNSH_6TensorESM_SM_EERKSM_lbbbEUlllE0_EEPmJS6_EEE10hipError_tPvRmT3_T4_T5_T6_T7_T9_mT8_P12ihipStream_tbDpT10_ENKUlT_T0_E_clISt17integral_constantIbLb0EES1C_EEDaS17_S18_EUlS17_E_NS1_11comp_targetILNS1_3genE9ELNS1_11target_archE1100ELNS1_3gpuE3ELNS1_3repE0EEENS1_30default_config_static_selectorELNS0_4arch9wavefront6targetE0EEEvT1_
                                        ; -- End function
	.section	.AMDGPU.csdata,"",@progbits
; Kernel info:
; codeLenInByte = 18232
; NumSgprs: 38
; NumVgprs: 52
; ScratchSize: 0
; MemoryBound: 1
; FloatMode: 240
; IeeeMode: 1
; LDSByteSize: 33804 bytes/workgroup (compile time only)
; SGPRBlocks: 4
; VGPRBlocks: 6
; NumSGPRsForWavesPerEU: 38
; NumVGPRsForWavesPerEU: 52
; Occupancy: 12
; WaveLimiterHint : 1
; COMPUTE_PGM_RSRC2:SCRATCH_EN: 0
; COMPUTE_PGM_RSRC2:USER_SGPR: 15
; COMPUTE_PGM_RSRC2:TRAP_HANDLER: 0
; COMPUTE_PGM_RSRC2:TGID_X_EN: 1
; COMPUTE_PGM_RSRC2:TGID_Y_EN: 0
; COMPUTE_PGM_RSRC2:TGID_Z_EN: 0
; COMPUTE_PGM_RSRC2:TIDIG_COMP_CNT: 0
	.section	.text._ZN7rocprim17ROCPRIM_400000_NS6detail17trampoline_kernelINS0_14default_configENS1_25partition_config_selectorILNS1_17partition_subalgoE8ElNS0_10empty_typeEbEEZZNS1_14partition_implILS5_8ELb0ES3_jPlPS6_PKS6_NS0_5tupleIJS9_S6_EEENSD_IJSA_SA_EEENS0_18inequality_wrapperIZN2at6native12_GLOBAL__N_124unique_dim_cuda_templateIlEESt5tupleIJNSH_6TensorESM_SM_EERKSM_lbbbEUlllE0_EEPmJS6_EEE10hipError_tPvRmT3_T4_T5_T6_T7_T9_mT8_P12ihipStream_tbDpT10_ENKUlT_T0_E_clISt17integral_constantIbLb0EES1C_EEDaS17_S18_EUlS17_E_NS1_11comp_targetILNS1_3genE8ELNS1_11target_archE1030ELNS1_3gpuE2ELNS1_3repE0EEENS1_30default_config_static_selectorELNS0_4arch9wavefront6targetE0EEEvT1_,"axG",@progbits,_ZN7rocprim17ROCPRIM_400000_NS6detail17trampoline_kernelINS0_14default_configENS1_25partition_config_selectorILNS1_17partition_subalgoE8ElNS0_10empty_typeEbEEZZNS1_14partition_implILS5_8ELb0ES3_jPlPS6_PKS6_NS0_5tupleIJS9_S6_EEENSD_IJSA_SA_EEENS0_18inequality_wrapperIZN2at6native12_GLOBAL__N_124unique_dim_cuda_templateIlEESt5tupleIJNSH_6TensorESM_SM_EERKSM_lbbbEUlllE0_EEPmJS6_EEE10hipError_tPvRmT3_T4_T5_T6_T7_T9_mT8_P12ihipStream_tbDpT10_ENKUlT_T0_E_clISt17integral_constantIbLb0EES1C_EEDaS17_S18_EUlS17_E_NS1_11comp_targetILNS1_3genE8ELNS1_11target_archE1030ELNS1_3gpuE2ELNS1_3repE0EEENS1_30default_config_static_selectorELNS0_4arch9wavefront6targetE0EEEvT1_,comdat
	.globl	_ZN7rocprim17ROCPRIM_400000_NS6detail17trampoline_kernelINS0_14default_configENS1_25partition_config_selectorILNS1_17partition_subalgoE8ElNS0_10empty_typeEbEEZZNS1_14partition_implILS5_8ELb0ES3_jPlPS6_PKS6_NS0_5tupleIJS9_S6_EEENSD_IJSA_SA_EEENS0_18inequality_wrapperIZN2at6native12_GLOBAL__N_124unique_dim_cuda_templateIlEESt5tupleIJNSH_6TensorESM_SM_EERKSM_lbbbEUlllE0_EEPmJS6_EEE10hipError_tPvRmT3_T4_T5_T6_T7_T9_mT8_P12ihipStream_tbDpT10_ENKUlT_T0_E_clISt17integral_constantIbLb0EES1C_EEDaS17_S18_EUlS17_E_NS1_11comp_targetILNS1_3genE8ELNS1_11target_archE1030ELNS1_3gpuE2ELNS1_3repE0EEENS1_30default_config_static_selectorELNS0_4arch9wavefront6targetE0EEEvT1_ ; -- Begin function _ZN7rocprim17ROCPRIM_400000_NS6detail17trampoline_kernelINS0_14default_configENS1_25partition_config_selectorILNS1_17partition_subalgoE8ElNS0_10empty_typeEbEEZZNS1_14partition_implILS5_8ELb0ES3_jPlPS6_PKS6_NS0_5tupleIJS9_S6_EEENSD_IJSA_SA_EEENS0_18inequality_wrapperIZN2at6native12_GLOBAL__N_124unique_dim_cuda_templateIlEESt5tupleIJNSH_6TensorESM_SM_EERKSM_lbbbEUlllE0_EEPmJS6_EEE10hipError_tPvRmT3_T4_T5_T6_T7_T9_mT8_P12ihipStream_tbDpT10_ENKUlT_T0_E_clISt17integral_constantIbLb0EES1C_EEDaS17_S18_EUlS17_E_NS1_11comp_targetILNS1_3genE8ELNS1_11target_archE1030ELNS1_3gpuE2ELNS1_3repE0EEENS1_30default_config_static_selectorELNS0_4arch9wavefront6targetE0EEEvT1_
	.p2align	8
	.type	_ZN7rocprim17ROCPRIM_400000_NS6detail17trampoline_kernelINS0_14default_configENS1_25partition_config_selectorILNS1_17partition_subalgoE8ElNS0_10empty_typeEbEEZZNS1_14partition_implILS5_8ELb0ES3_jPlPS6_PKS6_NS0_5tupleIJS9_S6_EEENSD_IJSA_SA_EEENS0_18inequality_wrapperIZN2at6native12_GLOBAL__N_124unique_dim_cuda_templateIlEESt5tupleIJNSH_6TensorESM_SM_EERKSM_lbbbEUlllE0_EEPmJS6_EEE10hipError_tPvRmT3_T4_T5_T6_T7_T9_mT8_P12ihipStream_tbDpT10_ENKUlT_T0_E_clISt17integral_constantIbLb0EES1C_EEDaS17_S18_EUlS17_E_NS1_11comp_targetILNS1_3genE8ELNS1_11target_archE1030ELNS1_3gpuE2ELNS1_3repE0EEENS1_30default_config_static_selectorELNS0_4arch9wavefront6targetE0EEEvT1_,@function
_ZN7rocprim17ROCPRIM_400000_NS6detail17trampoline_kernelINS0_14default_configENS1_25partition_config_selectorILNS1_17partition_subalgoE8ElNS0_10empty_typeEbEEZZNS1_14partition_implILS5_8ELb0ES3_jPlPS6_PKS6_NS0_5tupleIJS9_S6_EEENSD_IJSA_SA_EEENS0_18inequality_wrapperIZN2at6native12_GLOBAL__N_124unique_dim_cuda_templateIlEESt5tupleIJNSH_6TensorESM_SM_EERKSM_lbbbEUlllE0_EEPmJS6_EEE10hipError_tPvRmT3_T4_T5_T6_T7_T9_mT8_P12ihipStream_tbDpT10_ENKUlT_T0_E_clISt17integral_constantIbLb0EES1C_EEDaS17_S18_EUlS17_E_NS1_11comp_targetILNS1_3genE8ELNS1_11target_archE1030ELNS1_3gpuE2ELNS1_3repE0EEENS1_30default_config_static_selectorELNS0_4arch9wavefront6targetE0EEEvT1_: ; @_ZN7rocprim17ROCPRIM_400000_NS6detail17trampoline_kernelINS0_14default_configENS1_25partition_config_selectorILNS1_17partition_subalgoE8ElNS0_10empty_typeEbEEZZNS1_14partition_implILS5_8ELb0ES3_jPlPS6_PKS6_NS0_5tupleIJS9_S6_EEENSD_IJSA_SA_EEENS0_18inequality_wrapperIZN2at6native12_GLOBAL__N_124unique_dim_cuda_templateIlEESt5tupleIJNSH_6TensorESM_SM_EERKSM_lbbbEUlllE0_EEPmJS6_EEE10hipError_tPvRmT3_T4_T5_T6_T7_T9_mT8_P12ihipStream_tbDpT10_ENKUlT_T0_E_clISt17integral_constantIbLb0EES1C_EEDaS17_S18_EUlS17_E_NS1_11comp_targetILNS1_3genE8ELNS1_11target_archE1030ELNS1_3gpuE2ELNS1_3repE0EEENS1_30default_config_static_selectorELNS0_4arch9wavefront6targetE0EEEvT1_
; %bb.0:
	.section	.rodata,"a",@progbits
	.p2align	6, 0x0
	.amdhsa_kernel _ZN7rocprim17ROCPRIM_400000_NS6detail17trampoline_kernelINS0_14default_configENS1_25partition_config_selectorILNS1_17partition_subalgoE8ElNS0_10empty_typeEbEEZZNS1_14partition_implILS5_8ELb0ES3_jPlPS6_PKS6_NS0_5tupleIJS9_S6_EEENSD_IJSA_SA_EEENS0_18inequality_wrapperIZN2at6native12_GLOBAL__N_124unique_dim_cuda_templateIlEESt5tupleIJNSH_6TensorESM_SM_EERKSM_lbbbEUlllE0_EEPmJS6_EEE10hipError_tPvRmT3_T4_T5_T6_T7_T9_mT8_P12ihipStream_tbDpT10_ENKUlT_T0_E_clISt17integral_constantIbLb0EES1C_EEDaS17_S18_EUlS17_E_NS1_11comp_targetILNS1_3genE8ELNS1_11target_archE1030ELNS1_3gpuE2ELNS1_3repE0EEENS1_30default_config_static_selectorELNS0_4arch9wavefront6targetE0EEEvT1_
		.amdhsa_group_segment_fixed_size 0
		.amdhsa_private_segment_fixed_size 0
		.amdhsa_kernarg_size 120
		.amdhsa_user_sgpr_count 15
		.amdhsa_user_sgpr_dispatch_ptr 0
		.amdhsa_user_sgpr_queue_ptr 0
		.amdhsa_user_sgpr_kernarg_segment_ptr 1
		.amdhsa_user_sgpr_dispatch_id 0
		.amdhsa_user_sgpr_private_segment_size 0
		.amdhsa_wavefront_size32 1
		.amdhsa_uses_dynamic_stack 0
		.amdhsa_enable_private_segment 0
		.amdhsa_system_sgpr_workgroup_id_x 1
		.amdhsa_system_sgpr_workgroup_id_y 0
		.amdhsa_system_sgpr_workgroup_id_z 0
		.amdhsa_system_sgpr_workgroup_info 0
		.amdhsa_system_vgpr_workitem_id 0
		.amdhsa_next_free_vgpr 1
		.amdhsa_next_free_sgpr 1
		.amdhsa_reserve_vcc 0
		.amdhsa_float_round_mode_32 0
		.amdhsa_float_round_mode_16_64 0
		.amdhsa_float_denorm_mode_32 3
		.amdhsa_float_denorm_mode_16_64 3
		.amdhsa_dx10_clamp 1
		.amdhsa_ieee_mode 1
		.amdhsa_fp16_overflow 0
		.amdhsa_workgroup_processor_mode 1
		.amdhsa_memory_ordered 1
		.amdhsa_forward_progress 0
		.amdhsa_shared_vgpr_count 0
		.amdhsa_exception_fp_ieee_invalid_op 0
		.amdhsa_exception_fp_denorm_src 0
		.amdhsa_exception_fp_ieee_div_zero 0
		.amdhsa_exception_fp_ieee_overflow 0
		.amdhsa_exception_fp_ieee_underflow 0
		.amdhsa_exception_fp_ieee_inexact 0
		.amdhsa_exception_int_div_zero 0
	.end_amdhsa_kernel
	.section	.text._ZN7rocprim17ROCPRIM_400000_NS6detail17trampoline_kernelINS0_14default_configENS1_25partition_config_selectorILNS1_17partition_subalgoE8ElNS0_10empty_typeEbEEZZNS1_14partition_implILS5_8ELb0ES3_jPlPS6_PKS6_NS0_5tupleIJS9_S6_EEENSD_IJSA_SA_EEENS0_18inequality_wrapperIZN2at6native12_GLOBAL__N_124unique_dim_cuda_templateIlEESt5tupleIJNSH_6TensorESM_SM_EERKSM_lbbbEUlllE0_EEPmJS6_EEE10hipError_tPvRmT3_T4_T5_T6_T7_T9_mT8_P12ihipStream_tbDpT10_ENKUlT_T0_E_clISt17integral_constantIbLb0EES1C_EEDaS17_S18_EUlS17_E_NS1_11comp_targetILNS1_3genE8ELNS1_11target_archE1030ELNS1_3gpuE2ELNS1_3repE0EEENS1_30default_config_static_selectorELNS0_4arch9wavefront6targetE0EEEvT1_,"axG",@progbits,_ZN7rocprim17ROCPRIM_400000_NS6detail17trampoline_kernelINS0_14default_configENS1_25partition_config_selectorILNS1_17partition_subalgoE8ElNS0_10empty_typeEbEEZZNS1_14partition_implILS5_8ELb0ES3_jPlPS6_PKS6_NS0_5tupleIJS9_S6_EEENSD_IJSA_SA_EEENS0_18inequality_wrapperIZN2at6native12_GLOBAL__N_124unique_dim_cuda_templateIlEESt5tupleIJNSH_6TensorESM_SM_EERKSM_lbbbEUlllE0_EEPmJS6_EEE10hipError_tPvRmT3_T4_T5_T6_T7_T9_mT8_P12ihipStream_tbDpT10_ENKUlT_T0_E_clISt17integral_constantIbLb0EES1C_EEDaS17_S18_EUlS17_E_NS1_11comp_targetILNS1_3genE8ELNS1_11target_archE1030ELNS1_3gpuE2ELNS1_3repE0EEENS1_30default_config_static_selectorELNS0_4arch9wavefront6targetE0EEEvT1_,comdat
.Lfunc_end570:
	.size	_ZN7rocprim17ROCPRIM_400000_NS6detail17trampoline_kernelINS0_14default_configENS1_25partition_config_selectorILNS1_17partition_subalgoE8ElNS0_10empty_typeEbEEZZNS1_14partition_implILS5_8ELb0ES3_jPlPS6_PKS6_NS0_5tupleIJS9_S6_EEENSD_IJSA_SA_EEENS0_18inequality_wrapperIZN2at6native12_GLOBAL__N_124unique_dim_cuda_templateIlEESt5tupleIJNSH_6TensorESM_SM_EERKSM_lbbbEUlllE0_EEPmJS6_EEE10hipError_tPvRmT3_T4_T5_T6_T7_T9_mT8_P12ihipStream_tbDpT10_ENKUlT_T0_E_clISt17integral_constantIbLb0EES1C_EEDaS17_S18_EUlS17_E_NS1_11comp_targetILNS1_3genE8ELNS1_11target_archE1030ELNS1_3gpuE2ELNS1_3repE0EEENS1_30default_config_static_selectorELNS0_4arch9wavefront6targetE0EEEvT1_, .Lfunc_end570-_ZN7rocprim17ROCPRIM_400000_NS6detail17trampoline_kernelINS0_14default_configENS1_25partition_config_selectorILNS1_17partition_subalgoE8ElNS0_10empty_typeEbEEZZNS1_14partition_implILS5_8ELb0ES3_jPlPS6_PKS6_NS0_5tupleIJS9_S6_EEENSD_IJSA_SA_EEENS0_18inequality_wrapperIZN2at6native12_GLOBAL__N_124unique_dim_cuda_templateIlEESt5tupleIJNSH_6TensorESM_SM_EERKSM_lbbbEUlllE0_EEPmJS6_EEE10hipError_tPvRmT3_T4_T5_T6_T7_T9_mT8_P12ihipStream_tbDpT10_ENKUlT_T0_E_clISt17integral_constantIbLb0EES1C_EEDaS17_S18_EUlS17_E_NS1_11comp_targetILNS1_3genE8ELNS1_11target_archE1030ELNS1_3gpuE2ELNS1_3repE0EEENS1_30default_config_static_selectorELNS0_4arch9wavefront6targetE0EEEvT1_
                                        ; -- End function
	.section	.AMDGPU.csdata,"",@progbits
; Kernel info:
; codeLenInByte = 0
; NumSgprs: 0
; NumVgprs: 0
; ScratchSize: 0
; MemoryBound: 0
; FloatMode: 240
; IeeeMode: 1
; LDSByteSize: 0 bytes/workgroup (compile time only)
; SGPRBlocks: 0
; VGPRBlocks: 0
; NumSGPRsForWavesPerEU: 1
; NumVGPRsForWavesPerEU: 1
; Occupancy: 16
; WaveLimiterHint : 0
; COMPUTE_PGM_RSRC2:SCRATCH_EN: 0
; COMPUTE_PGM_RSRC2:USER_SGPR: 15
; COMPUTE_PGM_RSRC2:TRAP_HANDLER: 0
; COMPUTE_PGM_RSRC2:TGID_X_EN: 1
; COMPUTE_PGM_RSRC2:TGID_Y_EN: 0
; COMPUTE_PGM_RSRC2:TGID_Z_EN: 0
; COMPUTE_PGM_RSRC2:TIDIG_COMP_CNT: 0
	.section	.text._ZN7rocprim17ROCPRIM_400000_NS6detail17trampoline_kernelINS0_14default_configENS1_25partition_config_selectorILNS1_17partition_subalgoE8ElNS0_10empty_typeEbEEZZNS1_14partition_implILS5_8ELb0ES3_jPlPS6_PKS6_NS0_5tupleIJS9_S6_EEENSD_IJSA_SA_EEENS0_18inequality_wrapperIZN2at6native12_GLOBAL__N_124unique_dim_cuda_templateIlEESt5tupleIJNSH_6TensorESM_SM_EERKSM_lbbbEUlllE0_EEPmJS6_EEE10hipError_tPvRmT3_T4_T5_T6_T7_T9_mT8_P12ihipStream_tbDpT10_ENKUlT_T0_E_clISt17integral_constantIbLb1EES1C_EEDaS17_S18_EUlS17_E_NS1_11comp_targetILNS1_3genE0ELNS1_11target_archE4294967295ELNS1_3gpuE0ELNS1_3repE0EEENS1_30default_config_static_selectorELNS0_4arch9wavefront6targetE0EEEvT1_,"axG",@progbits,_ZN7rocprim17ROCPRIM_400000_NS6detail17trampoline_kernelINS0_14default_configENS1_25partition_config_selectorILNS1_17partition_subalgoE8ElNS0_10empty_typeEbEEZZNS1_14partition_implILS5_8ELb0ES3_jPlPS6_PKS6_NS0_5tupleIJS9_S6_EEENSD_IJSA_SA_EEENS0_18inequality_wrapperIZN2at6native12_GLOBAL__N_124unique_dim_cuda_templateIlEESt5tupleIJNSH_6TensorESM_SM_EERKSM_lbbbEUlllE0_EEPmJS6_EEE10hipError_tPvRmT3_T4_T5_T6_T7_T9_mT8_P12ihipStream_tbDpT10_ENKUlT_T0_E_clISt17integral_constantIbLb1EES1C_EEDaS17_S18_EUlS17_E_NS1_11comp_targetILNS1_3genE0ELNS1_11target_archE4294967295ELNS1_3gpuE0ELNS1_3repE0EEENS1_30default_config_static_selectorELNS0_4arch9wavefront6targetE0EEEvT1_,comdat
	.globl	_ZN7rocprim17ROCPRIM_400000_NS6detail17trampoline_kernelINS0_14default_configENS1_25partition_config_selectorILNS1_17partition_subalgoE8ElNS0_10empty_typeEbEEZZNS1_14partition_implILS5_8ELb0ES3_jPlPS6_PKS6_NS0_5tupleIJS9_S6_EEENSD_IJSA_SA_EEENS0_18inequality_wrapperIZN2at6native12_GLOBAL__N_124unique_dim_cuda_templateIlEESt5tupleIJNSH_6TensorESM_SM_EERKSM_lbbbEUlllE0_EEPmJS6_EEE10hipError_tPvRmT3_T4_T5_T6_T7_T9_mT8_P12ihipStream_tbDpT10_ENKUlT_T0_E_clISt17integral_constantIbLb1EES1C_EEDaS17_S18_EUlS17_E_NS1_11comp_targetILNS1_3genE0ELNS1_11target_archE4294967295ELNS1_3gpuE0ELNS1_3repE0EEENS1_30default_config_static_selectorELNS0_4arch9wavefront6targetE0EEEvT1_ ; -- Begin function _ZN7rocprim17ROCPRIM_400000_NS6detail17trampoline_kernelINS0_14default_configENS1_25partition_config_selectorILNS1_17partition_subalgoE8ElNS0_10empty_typeEbEEZZNS1_14partition_implILS5_8ELb0ES3_jPlPS6_PKS6_NS0_5tupleIJS9_S6_EEENSD_IJSA_SA_EEENS0_18inequality_wrapperIZN2at6native12_GLOBAL__N_124unique_dim_cuda_templateIlEESt5tupleIJNSH_6TensorESM_SM_EERKSM_lbbbEUlllE0_EEPmJS6_EEE10hipError_tPvRmT3_T4_T5_T6_T7_T9_mT8_P12ihipStream_tbDpT10_ENKUlT_T0_E_clISt17integral_constantIbLb1EES1C_EEDaS17_S18_EUlS17_E_NS1_11comp_targetILNS1_3genE0ELNS1_11target_archE4294967295ELNS1_3gpuE0ELNS1_3repE0EEENS1_30default_config_static_selectorELNS0_4arch9wavefront6targetE0EEEvT1_
	.p2align	8
	.type	_ZN7rocprim17ROCPRIM_400000_NS6detail17trampoline_kernelINS0_14default_configENS1_25partition_config_selectorILNS1_17partition_subalgoE8ElNS0_10empty_typeEbEEZZNS1_14partition_implILS5_8ELb0ES3_jPlPS6_PKS6_NS0_5tupleIJS9_S6_EEENSD_IJSA_SA_EEENS0_18inequality_wrapperIZN2at6native12_GLOBAL__N_124unique_dim_cuda_templateIlEESt5tupleIJNSH_6TensorESM_SM_EERKSM_lbbbEUlllE0_EEPmJS6_EEE10hipError_tPvRmT3_T4_T5_T6_T7_T9_mT8_P12ihipStream_tbDpT10_ENKUlT_T0_E_clISt17integral_constantIbLb1EES1C_EEDaS17_S18_EUlS17_E_NS1_11comp_targetILNS1_3genE0ELNS1_11target_archE4294967295ELNS1_3gpuE0ELNS1_3repE0EEENS1_30default_config_static_selectorELNS0_4arch9wavefront6targetE0EEEvT1_,@function
_ZN7rocprim17ROCPRIM_400000_NS6detail17trampoline_kernelINS0_14default_configENS1_25partition_config_selectorILNS1_17partition_subalgoE8ElNS0_10empty_typeEbEEZZNS1_14partition_implILS5_8ELb0ES3_jPlPS6_PKS6_NS0_5tupleIJS9_S6_EEENSD_IJSA_SA_EEENS0_18inequality_wrapperIZN2at6native12_GLOBAL__N_124unique_dim_cuda_templateIlEESt5tupleIJNSH_6TensorESM_SM_EERKSM_lbbbEUlllE0_EEPmJS6_EEE10hipError_tPvRmT3_T4_T5_T6_T7_T9_mT8_P12ihipStream_tbDpT10_ENKUlT_T0_E_clISt17integral_constantIbLb1EES1C_EEDaS17_S18_EUlS17_E_NS1_11comp_targetILNS1_3genE0ELNS1_11target_archE4294967295ELNS1_3gpuE0ELNS1_3repE0EEENS1_30default_config_static_selectorELNS0_4arch9wavefront6targetE0EEEvT1_: ; @_ZN7rocprim17ROCPRIM_400000_NS6detail17trampoline_kernelINS0_14default_configENS1_25partition_config_selectorILNS1_17partition_subalgoE8ElNS0_10empty_typeEbEEZZNS1_14partition_implILS5_8ELb0ES3_jPlPS6_PKS6_NS0_5tupleIJS9_S6_EEENSD_IJSA_SA_EEENS0_18inequality_wrapperIZN2at6native12_GLOBAL__N_124unique_dim_cuda_templateIlEESt5tupleIJNSH_6TensorESM_SM_EERKSM_lbbbEUlllE0_EEPmJS6_EEE10hipError_tPvRmT3_T4_T5_T6_T7_T9_mT8_P12ihipStream_tbDpT10_ENKUlT_T0_E_clISt17integral_constantIbLb1EES1C_EEDaS17_S18_EUlS17_E_NS1_11comp_targetILNS1_3genE0ELNS1_11target_archE4294967295ELNS1_3gpuE0ELNS1_3repE0EEENS1_30default_config_static_selectorELNS0_4arch9wavefront6targetE0EEEvT1_
; %bb.0:
	.section	.rodata,"a",@progbits
	.p2align	6, 0x0
	.amdhsa_kernel _ZN7rocprim17ROCPRIM_400000_NS6detail17trampoline_kernelINS0_14default_configENS1_25partition_config_selectorILNS1_17partition_subalgoE8ElNS0_10empty_typeEbEEZZNS1_14partition_implILS5_8ELb0ES3_jPlPS6_PKS6_NS0_5tupleIJS9_S6_EEENSD_IJSA_SA_EEENS0_18inequality_wrapperIZN2at6native12_GLOBAL__N_124unique_dim_cuda_templateIlEESt5tupleIJNSH_6TensorESM_SM_EERKSM_lbbbEUlllE0_EEPmJS6_EEE10hipError_tPvRmT3_T4_T5_T6_T7_T9_mT8_P12ihipStream_tbDpT10_ENKUlT_T0_E_clISt17integral_constantIbLb1EES1C_EEDaS17_S18_EUlS17_E_NS1_11comp_targetILNS1_3genE0ELNS1_11target_archE4294967295ELNS1_3gpuE0ELNS1_3repE0EEENS1_30default_config_static_selectorELNS0_4arch9wavefront6targetE0EEEvT1_
		.amdhsa_group_segment_fixed_size 0
		.amdhsa_private_segment_fixed_size 0
		.amdhsa_kernarg_size 136
		.amdhsa_user_sgpr_count 15
		.amdhsa_user_sgpr_dispatch_ptr 0
		.amdhsa_user_sgpr_queue_ptr 0
		.amdhsa_user_sgpr_kernarg_segment_ptr 1
		.amdhsa_user_sgpr_dispatch_id 0
		.amdhsa_user_sgpr_private_segment_size 0
		.amdhsa_wavefront_size32 1
		.amdhsa_uses_dynamic_stack 0
		.amdhsa_enable_private_segment 0
		.amdhsa_system_sgpr_workgroup_id_x 1
		.amdhsa_system_sgpr_workgroup_id_y 0
		.amdhsa_system_sgpr_workgroup_id_z 0
		.amdhsa_system_sgpr_workgroup_info 0
		.amdhsa_system_vgpr_workitem_id 0
		.amdhsa_next_free_vgpr 1
		.amdhsa_next_free_sgpr 1
		.amdhsa_reserve_vcc 0
		.amdhsa_float_round_mode_32 0
		.amdhsa_float_round_mode_16_64 0
		.amdhsa_float_denorm_mode_32 3
		.amdhsa_float_denorm_mode_16_64 3
		.amdhsa_dx10_clamp 1
		.amdhsa_ieee_mode 1
		.amdhsa_fp16_overflow 0
		.amdhsa_workgroup_processor_mode 1
		.amdhsa_memory_ordered 1
		.amdhsa_forward_progress 0
		.amdhsa_shared_vgpr_count 0
		.amdhsa_exception_fp_ieee_invalid_op 0
		.amdhsa_exception_fp_denorm_src 0
		.amdhsa_exception_fp_ieee_div_zero 0
		.amdhsa_exception_fp_ieee_overflow 0
		.amdhsa_exception_fp_ieee_underflow 0
		.amdhsa_exception_fp_ieee_inexact 0
		.amdhsa_exception_int_div_zero 0
	.end_amdhsa_kernel
	.section	.text._ZN7rocprim17ROCPRIM_400000_NS6detail17trampoline_kernelINS0_14default_configENS1_25partition_config_selectorILNS1_17partition_subalgoE8ElNS0_10empty_typeEbEEZZNS1_14partition_implILS5_8ELb0ES3_jPlPS6_PKS6_NS0_5tupleIJS9_S6_EEENSD_IJSA_SA_EEENS0_18inequality_wrapperIZN2at6native12_GLOBAL__N_124unique_dim_cuda_templateIlEESt5tupleIJNSH_6TensorESM_SM_EERKSM_lbbbEUlllE0_EEPmJS6_EEE10hipError_tPvRmT3_T4_T5_T6_T7_T9_mT8_P12ihipStream_tbDpT10_ENKUlT_T0_E_clISt17integral_constantIbLb1EES1C_EEDaS17_S18_EUlS17_E_NS1_11comp_targetILNS1_3genE0ELNS1_11target_archE4294967295ELNS1_3gpuE0ELNS1_3repE0EEENS1_30default_config_static_selectorELNS0_4arch9wavefront6targetE0EEEvT1_,"axG",@progbits,_ZN7rocprim17ROCPRIM_400000_NS6detail17trampoline_kernelINS0_14default_configENS1_25partition_config_selectorILNS1_17partition_subalgoE8ElNS0_10empty_typeEbEEZZNS1_14partition_implILS5_8ELb0ES3_jPlPS6_PKS6_NS0_5tupleIJS9_S6_EEENSD_IJSA_SA_EEENS0_18inequality_wrapperIZN2at6native12_GLOBAL__N_124unique_dim_cuda_templateIlEESt5tupleIJNSH_6TensorESM_SM_EERKSM_lbbbEUlllE0_EEPmJS6_EEE10hipError_tPvRmT3_T4_T5_T6_T7_T9_mT8_P12ihipStream_tbDpT10_ENKUlT_T0_E_clISt17integral_constantIbLb1EES1C_EEDaS17_S18_EUlS17_E_NS1_11comp_targetILNS1_3genE0ELNS1_11target_archE4294967295ELNS1_3gpuE0ELNS1_3repE0EEENS1_30default_config_static_selectorELNS0_4arch9wavefront6targetE0EEEvT1_,comdat
.Lfunc_end571:
	.size	_ZN7rocprim17ROCPRIM_400000_NS6detail17trampoline_kernelINS0_14default_configENS1_25partition_config_selectorILNS1_17partition_subalgoE8ElNS0_10empty_typeEbEEZZNS1_14partition_implILS5_8ELb0ES3_jPlPS6_PKS6_NS0_5tupleIJS9_S6_EEENSD_IJSA_SA_EEENS0_18inequality_wrapperIZN2at6native12_GLOBAL__N_124unique_dim_cuda_templateIlEESt5tupleIJNSH_6TensorESM_SM_EERKSM_lbbbEUlllE0_EEPmJS6_EEE10hipError_tPvRmT3_T4_T5_T6_T7_T9_mT8_P12ihipStream_tbDpT10_ENKUlT_T0_E_clISt17integral_constantIbLb1EES1C_EEDaS17_S18_EUlS17_E_NS1_11comp_targetILNS1_3genE0ELNS1_11target_archE4294967295ELNS1_3gpuE0ELNS1_3repE0EEENS1_30default_config_static_selectorELNS0_4arch9wavefront6targetE0EEEvT1_, .Lfunc_end571-_ZN7rocprim17ROCPRIM_400000_NS6detail17trampoline_kernelINS0_14default_configENS1_25partition_config_selectorILNS1_17partition_subalgoE8ElNS0_10empty_typeEbEEZZNS1_14partition_implILS5_8ELb0ES3_jPlPS6_PKS6_NS0_5tupleIJS9_S6_EEENSD_IJSA_SA_EEENS0_18inequality_wrapperIZN2at6native12_GLOBAL__N_124unique_dim_cuda_templateIlEESt5tupleIJNSH_6TensorESM_SM_EERKSM_lbbbEUlllE0_EEPmJS6_EEE10hipError_tPvRmT3_T4_T5_T6_T7_T9_mT8_P12ihipStream_tbDpT10_ENKUlT_T0_E_clISt17integral_constantIbLb1EES1C_EEDaS17_S18_EUlS17_E_NS1_11comp_targetILNS1_3genE0ELNS1_11target_archE4294967295ELNS1_3gpuE0ELNS1_3repE0EEENS1_30default_config_static_selectorELNS0_4arch9wavefront6targetE0EEEvT1_
                                        ; -- End function
	.section	.AMDGPU.csdata,"",@progbits
; Kernel info:
; codeLenInByte = 0
; NumSgprs: 0
; NumVgprs: 0
; ScratchSize: 0
; MemoryBound: 0
; FloatMode: 240
; IeeeMode: 1
; LDSByteSize: 0 bytes/workgroup (compile time only)
; SGPRBlocks: 0
; VGPRBlocks: 0
; NumSGPRsForWavesPerEU: 1
; NumVGPRsForWavesPerEU: 1
; Occupancy: 16
; WaveLimiterHint : 0
; COMPUTE_PGM_RSRC2:SCRATCH_EN: 0
; COMPUTE_PGM_RSRC2:USER_SGPR: 15
; COMPUTE_PGM_RSRC2:TRAP_HANDLER: 0
; COMPUTE_PGM_RSRC2:TGID_X_EN: 1
; COMPUTE_PGM_RSRC2:TGID_Y_EN: 0
; COMPUTE_PGM_RSRC2:TGID_Z_EN: 0
; COMPUTE_PGM_RSRC2:TIDIG_COMP_CNT: 0
	.section	.text._ZN7rocprim17ROCPRIM_400000_NS6detail17trampoline_kernelINS0_14default_configENS1_25partition_config_selectorILNS1_17partition_subalgoE8ElNS0_10empty_typeEbEEZZNS1_14partition_implILS5_8ELb0ES3_jPlPS6_PKS6_NS0_5tupleIJS9_S6_EEENSD_IJSA_SA_EEENS0_18inequality_wrapperIZN2at6native12_GLOBAL__N_124unique_dim_cuda_templateIlEESt5tupleIJNSH_6TensorESM_SM_EERKSM_lbbbEUlllE0_EEPmJS6_EEE10hipError_tPvRmT3_T4_T5_T6_T7_T9_mT8_P12ihipStream_tbDpT10_ENKUlT_T0_E_clISt17integral_constantIbLb1EES1C_EEDaS17_S18_EUlS17_E_NS1_11comp_targetILNS1_3genE5ELNS1_11target_archE942ELNS1_3gpuE9ELNS1_3repE0EEENS1_30default_config_static_selectorELNS0_4arch9wavefront6targetE0EEEvT1_,"axG",@progbits,_ZN7rocprim17ROCPRIM_400000_NS6detail17trampoline_kernelINS0_14default_configENS1_25partition_config_selectorILNS1_17partition_subalgoE8ElNS0_10empty_typeEbEEZZNS1_14partition_implILS5_8ELb0ES3_jPlPS6_PKS6_NS0_5tupleIJS9_S6_EEENSD_IJSA_SA_EEENS0_18inequality_wrapperIZN2at6native12_GLOBAL__N_124unique_dim_cuda_templateIlEESt5tupleIJNSH_6TensorESM_SM_EERKSM_lbbbEUlllE0_EEPmJS6_EEE10hipError_tPvRmT3_T4_T5_T6_T7_T9_mT8_P12ihipStream_tbDpT10_ENKUlT_T0_E_clISt17integral_constantIbLb1EES1C_EEDaS17_S18_EUlS17_E_NS1_11comp_targetILNS1_3genE5ELNS1_11target_archE942ELNS1_3gpuE9ELNS1_3repE0EEENS1_30default_config_static_selectorELNS0_4arch9wavefront6targetE0EEEvT1_,comdat
	.globl	_ZN7rocprim17ROCPRIM_400000_NS6detail17trampoline_kernelINS0_14default_configENS1_25partition_config_selectorILNS1_17partition_subalgoE8ElNS0_10empty_typeEbEEZZNS1_14partition_implILS5_8ELb0ES3_jPlPS6_PKS6_NS0_5tupleIJS9_S6_EEENSD_IJSA_SA_EEENS0_18inequality_wrapperIZN2at6native12_GLOBAL__N_124unique_dim_cuda_templateIlEESt5tupleIJNSH_6TensorESM_SM_EERKSM_lbbbEUlllE0_EEPmJS6_EEE10hipError_tPvRmT3_T4_T5_T6_T7_T9_mT8_P12ihipStream_tbDpT10_ENKUlT_T0_E_clISt17integral_constantIbLb1EES1C_EEDaS17_S18_EUlS17_E_NS1_11comp_targetILNS1_3genE5ELNS1_11target_archE942ELNS1_3gpuE9ELNS1_3repE0EEENS1_30default_config_static_selectorELNS0_4arch9wavefront6targetE0EEEvT1_ ; -- Begin function _ZN7rocprim17ROCPRIM_400000_NS6detail17trampoline_kernelINS0_14default_configENS1_25partition_config_selectorILNS1_17partition_subalgoE8ElNS0_10empty_typeEbEEZZNS1_14partition_implILS5_8ELb0ES3_jPlPS6_PKS6_NS0_5tupleIJS9_S6_EEENSD_IJSA_SA_EEENS0_18inequality_wrapperIZN2at6native12_GLOBAL__N_124unique_dim_cuda_templateIlEESt5tupleIJNSH_6TensorESM_SM_EERKSM_lbbbEUlllE0_EEPmJS6_EEE10hipError_tPvRmT3_T4_T5_T6_T7_T9_mT8_P12ihipStream_tbDpT10_ENKUlT_T0_E_clISt17integral_constantIbLb1EES1C_EEDaS17_S18_EUlS17_E_NS1_11comp_targetILNS1_3genE5ELNS1_11target_archE942ELNS1_3gpuE9ELNS1_3repE0EEENS1_30default_config_static_selectorELNS0_4arch9wavefront6targetE0EEEvT1_
	.p2align	8
	.type	_ZN7rocprim17ROCPRIM_400000_NS6detail17trampoline_kernelINS0_14default_configENS1_25partition_config_selectorILNS1_17partition_subalgoE8ElNS0_10empty_typeEbEEZZNS1_14partition_implILS5_8ELb0ES3_jPlPS6_PKS6_NS0_5tupleIJS9_S6_EEENSD_IJSA_SA_EEENS0_18inequality_wrapperIZN2at6native12_GLOBAL__N_124unique_dim_cuda_templateIlEESt5tupleIJNSH_6TensorESM_SM_EERKSM_lbbbEUlllE0_EEPmJS6_EEE10hipError_tPvRmT3_T4_T5_T6_T7_T9_mT8_P12ihipStream_tbDpT10_ENKUlT_T0_E_clISt17integral_constantIbLb1EES1C_EEDaS17_S18_EUlS17_E_NS1_11comp_targetILNS1_3genE5ELNS1_11target_archE942ELNS1_3gpuE9ELNS1_3repE0EEENS1_30default_config_static_selectorELNS0_4arch9wavefront6targetE0EEEvT1_,@function
_ZN7rocprim17ROCPRIM_400000_NS6detail17trampoline_kernelINS0_14default_configENS1_25partition_config_selectorILNS1_17partition_subalgoE8ElNS0_10empty_typeEbEEZZNS1_14partition_implILS5_8ELb0ES3_jPlPS6_PKS6_NS0_5tupleIJS9_S6_EEENSD_IJSA_SA_EEENS0_18inequality_wrapperIZN2at6native12_GLOBAL__N_124unique_dim_cuda_templateIlEESt5tupleIJNSH_6TensorESM_SM_EERKSM_lbbbEUlllE0_EEPmJS6_EEE10hipError_tPvRmT3_T4_T5_T6_T7_T9_mT8_P12ihipStream_tbDpT10_ENKUlT_T0_E_clISt17integral_constantIbLb1EES1C_EEDaS17_S18_EUlS17_E_NS1_11comp_targetILNS1_3genE5ELNS1_11target_archE942ELNS1_3gpuE9ELNS1_3repE0EEENS1_30default_config_static_selectorELNS0_4arch9wavefront6targetE0EEEvT1_: ; @_ZN7rocprim17ROCPRIM_400000_NS6detail17trampoline_kernelINS0_14default_configENS1_25partition_config_selectorILNS1_17partition_subalgoE8ElNS0_10empty_typeEbEEZZNS1_14partition_implILS5_8ELb0ES3_jPlPS6_PKS6_NS0_5tupleIJS9_S6_EEENSD_IJSA_SA_EEENS0_18inequality_wrapperIZN2at6native12_GLOBAL__N_124unique_dim_cuda_templateIlEESt5tupleIJNSH_6TensorESM_SM_EERKSM_lbbbEUlllE0_EEPmJS6_EEE10hipError_tPvRmT3_T4_T5_T6_T7_T9_mT8_P12ihipStream_tbDpT10_ENKUlT_T0_E_clISt17integral_constantIbLb1EES1C_EEDaS17_S18_EUlS17_E_NS1_11comp_targetILNS1_3genE5ELNS1_11target_archE942ELNS1_3gpuE9ELNS1_3repE0EEENS1_30default_config_static_selectorELNS0_4arch9wavefront6targetE0EEEvT1_
; %bb.0:
	.section	.rodata,"a",@progbits
	.p2align	6, 0x0
	.amdhsa_kernel _ZN7rocprim17ROCPRIM_400000_NS6detail17trampoline_kernelINS0_14default_configENS1_25partition_config_selectorILNS1_17partition_subalgoE8ElNS0_10empty_typeEbEEZZNS1_14partition_implILS5_8ELb0ES3_jPlPS6_PKS6_NS0_5tupleIJS9_S6_EEENSD_IJSA_SA_EEENS0_18inequality_wrapperIZN2at6native12_GLOBAL__N_124unique_dim_cuda_templateIlEESt5tupleIJNSH_6TensorESM_SM_EERKSM_lbbbEUlllE0_EEPmJS6_EEE10hipError_tPvRmT3_T4_T5_T6_T7_T9_mT8_P12ihipStream_tbDpT10_ENKUlT_T0_E_clISt17integral_constantIbLb1EES1C_EEDaS17_S18_EUlS17_E_NS1_11comp_targetILNS1_3genE5ELNS1_11target_archE942ELNS1_3gpuE9ELNS1_3repE0EEENS1_30default_config_static_selectorELNS0_4arch9wavefront6targetE0EEEvT1_
		.amdhsa_group_segment_fixed_size 0
		.amdhsa_private_segment_fixed_size 0
		.amdhsa_kernarg_size 136
		.amdhsa_user_sgpr_count 15
		.amdhsa_user_sgpr_dispatch_ptr 0
		.amdhsa_user_sgpr_queue_ptr 0
		.amdhsa_user_sgpr_kernarg_segment_ptr 1
		.amdhsa_user_sgpr_dispatch_id 0
		.amdhsa_user_sgpr_private_segment_size 0
		.amdhsa_wavefront_size32 1
		.amdhsa_uses_dynamic_stack 0
		.amdhsa_enable_private_segment 0
		.amdhsa_system_sgpr_workgroup_id_x 1
		.amdhsa_system_sgpr_workgroup_id_y 0
		.amdhsa_system_sgpr_workgroup_id_z 0
		.amdhsa_system_sgpr_workgroup_info 0
		.amdhsa_system_vgpr_workitem_id 0
		.amdhsa_next_free_vgpr 1
		.amdhsa_next_free_sgpr 1
		.amdhsa_reserve_vcc 0
		.amdhsa_float_round_mode_32 0
		.amdhsa_float_round_mode_16_64 0
		.amdhsa_float_denorm_mode_32 3
		.amdhsa_float_denorm_mode_16_64 3
		.amdhsa_dx10_clamp 1
		.amdhsa_ieee_mode 1
		.amdhsa_fp16_overflow 0
		.amdhsa_workgroup_processor_mode 1
		.amdhsa_memory_ordered 1
		.amdhsa_forward_progress 0
		.amdhsa_shared_vgpr_count 0
		.amdhsa_exception_fp_ieee_invalid_op 0
		.amdhsa_exception_fp_denorm_src 0
		.amdhsa_exception_fp_ieee_div_zero 0
		.amdhsa_exception_fp_ieee_overflow 0
		.amdhsa_exception_fp_ieee_underflow 0
		.amdhsa_exception_fp_ieee_inexact 0
		.amdhsa_exception_int_div_zero 0
	.end_amdhsa_kernel
	.section	.text._ZN7rocprim17ROCPRIM_400000_NS6detail17trampoline_kernelINS0_14default_configENS1_25partition_config_selectorILNS1_17partition_subalgoE8ElNS0_10empty_typeEbEEZZNS1_14partition_implILS5_8ELb0ES3_jPlPS6_PKS6_NS0_5tupleIJS9_S6_EEENSD_IJSA_SA_EEENS0_18inequality_wrapperIZN2at6native12_GLOBAL__N_124unique_dim_cuda_templateIlEESt5tupleIJNSH_6TensorESM_SM_EERKSM_lbbbEUlllE0_EEPmJS6_EEE10hipError_tPvRmT3_T4_T5_T6_T7_T9_mT8_P12ihipStream_tbDpT10_ENKUlT_T0_E_clISt17integral_constantIbLb1EES1C_EEDaS17_S18_EUlS17_E_NS1_11comp_targetILNS1_3genE5ELNS1_11target_archE942ELNS1_3gpuE9ELNS1_3repE0EEENS1_30default_config_static_selectorELNS0_4arch9wavefront6targetE0EEEvT1_,"axG",@progbits,_ZN7rocprim17ROCPRIM_400000_NS6detail17trampoline_kernelINS0_14default_configENS1_25partition_config_selectorILNS1_17partition_subalgoE8ElNS0_10empty_typeEbEEZZNS1_14partition_implILS5_8ELb0ES3_jPlPS6_PKS6_NS0_5tupleIJS9_S6_EEENSD_IJSA_SA_EEENS0_18inequality_wrapperIZN2at6native12_GLOBAL__N_124unique_dim_cuda_templateIlEESt5tupleIJNSH_6TensorESM_SM_EERKSM_lbbbEUlllE0_EEPmJS6_EEE10hipError_tPvRmT3_T4_T5_T6_T7_T9_mT8_P12ihipStream_tbDpT10_ENKUlT_T0_E_clISt17integral_constantIbLb1EES1C_EEDaS17_S18_EUlS17_E_NS1_11comp_targetILNS1_3genE5ELNS1_11target_archE942ELNS1_3gpuE9ELNS1_3repE0EEENS1_30default_config_static_selectorELNS0_4arch9wavefront6targetE0EEEvT1_,comdat
.Lfunc_end572:
	.size	_ZN7rocprim17ROCPRIM_400000_NS6detail17trampoline_kernelINS0_14default_configENS1_25partition_config_selectorILNS1_17partition_subalgoE8ElNS0_10empty_typeEbEEZZNS1_14partition_implILS5_8ELb0ES3_jPlPS6_PKS6_NS0_5tupleIJS9_S6_EEENSD_IJSA_SA_EEENS0_18inequality_wrapperIZN2at6native12_GLOBAL__N_124unique_dim_cuda_templateIlEESt5tupleIJNSH_6TensorESM_SM_EERKSM_lbbbEUlllE0_EEPmJS6_EEE10hipError_tPvRmT3_T4_T5_T6_T7_T9_mT8_P12ihipStream_tbDpT10_ENKUlT_T0_E_clISt17integral_constantIbLb1EES1C_EEDaS17_S18_EUlS17_E_NS1_11comp_targetILNS1_3genE5ELNS1_11target_archE942ELNS1_3gpuE9ELNS1_3repE0EEENS1_30default_config_static_selectorELNS0_4arch9wavefront6targetE0EEEvT1_, .Lfunc_end572-_ZN7rocprim17ROCPRIM_400000_NS6detail17trampoline_kernelINS0_14default_configENS1_25partition_config_selectorILNS1_17partition_subalgoE8ElNS0_10empty_typeEbEEZZNS1_14partition_implILS5_8ELb0ES3_jPlPS6_PKS6_NS0_5tupleIJS9_S6_EEENSD_IJSA_SA_EEENS0_18inequality_wrapperIZN2at6native12_GLOBAL__N_124unique_dim_cuda_templateIlEESt5tupleIJNSH_6TensorESM_SM_EERKSM_lbbbEUlllE0_EEPmJS6_EEE10hipError_tPvRmT3_T4_T5_T6_T7_T9_mT8_P12ihipStream_tbDpT10_ENKUlT_T0_E_clISt17integral_constantIbLb1EES1C_EEDaS17_S18_EUlS17_E_NS1_11comp_targetILNS1_3genE5ELNS1_11target_archE942ELNS1_3gpuE9ELNS1_3repE0EEENS1_30default_config_static_selectorELNS0_4arch9wavefront6targetE0EEEvT1_
                                        ; -- End function
	.section	.AMDGPU.csdata,"",@progbits
; Kernel info:
; codeLenInByte = 0
; NumSgprs: 0
; NumVgprs: 0
; ScratchSize: 0
; MemoryBound: 0
; FloatMode: 240
; IeeeMode: 1
; LDSByteSize: 0 bytes/workgroup (compile time only)
; SGPRBlocks: 0
; VGPRBlocks: 0
; NumSGPRsForWavesPerEU: 1
; NumVGPRsForWavesPerEU: 1
; Occupancy: 16
; WaveLimiterHint : 0
; COMPUTE_PGM_RSRC2:SCRATCH_EN: 0
; COMPUTE_PGM_RSRC2:USER_SGPR: 15
; COMPUTE_PGM_RSRC2:TRAP_HANDLER: 0
; COMPUTE_PGM_RSRC2:TGID_X_EN: 1
; COMPUTE_PGM_RSRC2:TGID_Y_EN: 0
; COMPUTE_PGM_RSRC2:TGID_Z_EN: 0
; COMPUTE_PGM_RSRC2:TIDIG_COMP_CNT: 0
	.section	.text._ZN7rocprim17ROCPRIM_400000_NS6detail17trampoline_kernelINS0_14default_configENS1_25partition_config_selectorILNS1_17partition_subalgoE8ElNS0_10empty_typeEbEEZZNS1_14partition_implILS5_8ELb0ES3_jPlPS6_PKS6_NS0_5tupleIJS9_S6_EEENSD_IJSA_SA_EEENS0_18inequality_wrapperIZN2at6native12_GLOBAL__N_124unique_dim_cuda_templateIlEESt5tupleIJNSH_6TensorESM_SM_EERKSM_lbbbEUlllE0_EEPmJS6_EEE10hipError_tPvRmT3_T4_T5_T6_T7_T9_mT8_P12ihipStream_tbDpT10_ENKUlT_T0_E_clISt17integral_constantIbLb1EES1C_EEDaS17_S18_EUlS17_E_NS1_11comp_targetILNS1_3genE4ELNS1_11target_archE910ELNS1_3gpuE8ELNS1_3repE0EEENS1_30default_config_static_selectorELNS0_4arch9wavefront6targetE0EEEvT1_,"axG",@progbits,_ZN7rocprim17ROCPRIM_400000_NS6detail17trampoline_kernelINS0_14default_configENS1_25partition_config_selectorILNS1_17partition_subalgoE8ElNS0_10empty_typeEbEEZZNS1_14partition_implILS5_8ELb0ES3_jPlPS6_PKS6_NS0_5tupleIJS9_S6_EEENSD_IJSA_SA_EEENS0_18inequality_wrapperIZN2at6native12_GLOBAL__N_124unique_dim_cuda_templateIlEESt5tupleIJNSH_6TensorESM_SM_EERKSM_lbbbEUlllE0_EEPmJS6_EEE10hipError_tPvRmT3_T4_T5_T6_T7_T9_mT8_P12ihipStream_tbDpT10_ENKUlT_T0_E_clISt17integral_constantIbLb1EES1C_EEDaS17_S18_EUlS17_E_NS1_11comp_targetILNS1_3genE4ELNS1_11target_archE910ELNS1_3gpuE8ELNS1_3repE0EEENS1_30default_config_static_selectorELNS0_4arch9wavefront6targetE0EEEvT1_,comdat
	.globl	_ZN7rocprim17ROCPRIM_400000_NS6detail17trampoline_kernelINS0_14default_configENS1_25partition_config_selectorILNS1_17partition_subalgoE8ElNS0_10empty_typeEbEEZZNS1_14partition_implILS5_8ELb0ES3_jPlPS6_PKS6_NS0_5tupleIJS9_S6_EEENSD_IJSA_SA_EEENS0_18inequality_wrapperIZN2at6native12_GLOBAL__N_124unique_dim_cuda_templateIlEESt5tupleIJNSH_6TensorESM_SM_EERKSM_lbbbEUlllE0_EEPmJS6_EEE10hipError_tPvRmT3_T4_T5_T6_T7_T9_mT8_P12ihipStream_tbDpT10_ENKUlT_T0_E_clISt17integral_constantIbLb1EES1C_EEDaS17_S18_EUlS17_E_NS1_11comp_targetILNS1_3genE4ELNS1_11target_archE910ELNS1_3gpuE8ELNS1_3repE0EEENS1_30default_config_static_selectorELNS0_4arch9wavefront6targetE0EEEvT1_ ; -- Begin function _ZN7rocprim17ROCPRIM_400000_NS6detail17trampoline_kernelINS0_14default_configENS1_25partition_config_selectorILNS1_17partition_subalgoE8ElNS0_10empty_typeEbEEZZNS1_14partition_implILS5_8ELb0ES3_jPlPS6_PKS6_NS0_5tupleIJS9_S6_EEENSD_IJSA_SA_EEENS0_18inequality_wrapperIZN2at6native12_GLOBAL__N_124unique_dim_cuda_templateIlEESt5tupleIJNSH_6TensorESM_SM_EERKSM_lbbbEUlllE0_EEPmJS6_EEE10hipError_tPvRmT3_T4_T5_T6_T7_T9_mT8_P12ihipStream_tbDpT10_ENKUlT_T0_E_clISt17integral_constantIbLb1EES1C_EEDaS17_S18_EUlS17_E_NS1_11comp_targetILNS1_3genE4ELNS1_11target_archE910ELNS1_3gpuE8ELNS1_3repE0EEENS1_30default_config_static_selectorELNS0_4arch9wavefront6targetE0EEEvT1_
	.p2align	8
	.type	_ZN7rocprim17ROCPRIM_400000_NS6detail17trampoline_kernelINS0_14default_configENS1_25partition_config_selectorILNS1_17partition_subalgoE8ElNS0_10empty_typeEbEEZZNS1_14partition_implILS5_8ELb0ES3_jPlPS6_PKS6_NS0_5tupleIJS9_S6_EEENSD_IJSA_SA_EEENS0_18inequality_wrapperIZN2at6native12_GLOBAL__N_124unique_dim_cuda_templateIlEESt5tupleIJNSH_6TensorESM_SM_EERKSM_lbbbEUlllE0_EEPmJS6_EEE10hipError_tPvRmT3_T4_T5_T6_T7_T9_mT8_P12ihipStream_tbDpT10_ENKUlT_T0_E_clISt17integral_constantIbLb1EES1C_EEDaS17_S18_EUlS17_E_NS1_11comp_targetILNS1_3genE4ELNS1_11target_archE910ELNS1_3gpuE8ELNS1_3repE0EEENS1_30default_config_static_selectorELNS0_4arch9wavefront6targetE0EEEvT1_,@function
_ZN7rocprim17ROCPRIM_400000_NS6detail17trampoline_kernelINS0_14default_configENS1_25partition_config_selectorILNS1_17partition_subalgoE8ElNS0_10empty_typeEbEEZZNS1_14partition_implILS5_8ELb0ES3_jPlPS6_PKS6_NS0_5tupleIJS9_S6_EEENSD_IJSA_SA_EEENS0_18inequality_wrapperIZN2at6native12_GLOBAL__N_124unique_dim_cuda_templateIlEESt5tupleIJNSH_6TensorESM_SM_EERKSM_lbbbEUlllE0_EEPmJS6_EEE10hipError_tPvRmT3_T4_T5_T6_T7_T9_mT8_P12ihipStream_tbDpT10_ENKUlT_T0_E_clISt17integral_constantIbLb1EES1C_EEDaS17_S18_EUlS17_E_NS1_11comp_targetILNS1_3genE4ELNS1_11target_archE910ELNS1_3gpuE8ELNS1_3repE0EEENS1_30default_config_static_selectorELNS0_4arch9wavefront6targetE0EEEvT1_: ; @_ZN7rocprim17ROCPRIM_400000_NS6detail17trampoline_kernelINS0_14default_configENS1_25partition_config_selectorILNS1_17partition_subalgoE8ElNS0_10empty_typeEbEEZZNS1_14partition_implILS5_8ELb0ES3_jPlPS6_PKS6_NS0_5tupleIJS9_S6_EEENSD_IJSA_SA_EEENS0_18inequality_wrapperIZN2at6native12_GLOBAL__N_124unique_dim_cuda_templateIlEESt5tupleIJNSH_6TensorESM_SM_EERKSM_lbbbEUlllE0_EEPmJS6_EEE10hipError_tPvRmT3_T4_T5_T6_T7_T9_mT8_P12ihipStream_tbDpT10_ENKUlT_T0_E_clISt17integral_constantIbLb1EES1C_EEDaS17_S18_EUlS17_E_NS1_11comp_targetILNS1_3genE4ELNS1_11target_archE910ELNS1_3gpuE8ELNS1_3repE0EEENS1_30default_config_static_selectorELNS0_4arch9wavefront6targetE0EEEvT1_
; %bb.0:
	.section	.rodata,"a",@progbits
	.p2align	6, 0x0
	.amdhsa_kernel _ZN7rocprim17ROCPRIM_400000_NS6detail17trampoline_kernelINS0_14default_configENS1_25partition_config_selectorILNS1_17partition_subalgoE8ElNS0_10empty_typeEbEEZZNS1_14partition_implILS5_8ELb0ES3_jPlPS6_PKS6_NS0_5tupleIJS9_S6_EEENSD_IJSA_SA_EEENS0_18inequality_wrapperIZN2at6native12_GLOBAL__N_124unique_dim_cuda_templateIlEESt5tupleIJNSH_6TensorESM_SM_EERKSM_lbbbEUlllE0_EEPmJS6_EEE10hipError_tPvRmT3_T4_T5_T6_T7_T9_mT8_P12ihipStream_tbDpT10_ENKUlT_T0_E_clISt17integral_constantIbLb1EES1C_EEDaS17_S18_EUlS17_E_NS1_11comp_targetILNS1_3genE4ELNS1_11target_archE910ELNS1_3gpuE8ELNS1_3repE0EEENS1_30default_config_static_selectorELNS0_4arch9wavefront6targetE0EEEvT1_
		.amdhsa_group_segment_fixed_size 0
		.amdhsa_private_segment_fixed_size 0
		.amdhsa_kernarg_size 136
		.amdhsa_user_sgpr_count 15
		.amdhsa_user_sgpr_dispatch_ptr 0
		.amdhsa_user_sgpr_queue_ptr 0
		.amdhsa_user_sgpr_kernarg_segment_ptr 1
		.amdhsa_user_sgpr_dispatch_id 0
		.amdhsa_user_sgpr_private_segment_size 0
		.amdhsa_wavefront_size32 1
		.amdhsa_uses_dynamic_stack 0
		.amdhsa_enable_private_segment 0
		.amdhsa_system_sgpr_workgroup_id_x 1
		.amdhsa_system_sgpr_workgroup_id_y 0
		.amdhsa_system_sgpr_workgroup_id_z 0
		.amdhsa_system_sgpr_workgroup_info 0
		.amdhsa_system_vgpr_workitem_id 0
		.amdhsa_next_free_vgpr 1
		.amdhsa_next_free_sgpr 1
		.amdhsa_reserve_vcc 0
		.amdhsa_float_round_mode_32 0
		.amdhsa_float_round_mode_16_64 0
		.amdhsa_float_denorm_mode_32 3
		.amdhsa_float_denorm_mode_16_64 3
		.amdhsa_dx10_clamp 1
		.amdhsa_ieee_mode 1
		.amdhsa_fp16_overflow 0
		.amdhsa_workgroup_processor_mode 1
		.amdhsa_memory_ordered 1
		.amdhsa_forward_progress 0
		.amdhsa_shared_vgpr_count 0
		.amdhsa_exception_fp_ieee_invalid_op 0
		.amdhsa_exception_fp_denorm_src 0
		.amdhsa_exception_fp_ieee_div_zero 0
		.amdhsa_exception_fp_ieee_overflow 0
		.amdhsa_exception_fp_ieee_underflow 0
		.amdhsa_exception_fp_ieee_inexact 0
		.amdhsa_exception_int_div_zero 0
	.end_amdhsa_kernel
	.section	.text._ZN7rocprim17ROCPRIM_400000_NS6detail17trampoline_kernelINS0_14default_configENS1_25partition_config_selectorILNS1_17partition_subalgoE8ElNS0_10empty_typeEbEEZZNS1_14partition_implILS5_8ELb0ES3_jPlPS6_PKS6_NS0_5tupleIJS9_S6_EEENSD_IJSA_SA_EEENS0_18inequality_wrapperIZN2at6native12_GLOBAL__N_124unique_dim_cuda_templateIlEESt5tupleIJNSH_6TensorESM_SM_EERKSM_lbbbEUlllE0_EEPmJS6_EEE10hipError_tPvRmT3_T4_T5_T6_T7_T9_mT8_P12ihipStream_tbDpT10_ENKUlT_T0_E_clISt17integral_constantIbLb1EES1C_EEDaS17_S18_EUlS17_E_NS1_11comp_targetILNS1_3genE4ELNS1_11target_archE910ELNS1_3gpuE8ELNS1_3repE0EEENS1_30default_config_static_selectorELNS0_4arch9wavefront6targetE0EEEvT1_,"axG",@progbits,_ZN7rocprim17ROCPRIM_400000_NS6detail17trampoline_kernelINS0_14default_configENS1_25partition_config_selectorILNS1_17partition_subalgoE8ElNS0_10empty_typeEbEEZZNS1_14partition_implILS5_8ELb0ES3_jPlPS6_PKS6_NS0_5tupleIJS9_S6_EEENSD_IJSA_SA_EEENS0_18inequality_wrapperIZN2at6native12_GLOBAL__N_124unique_dim_cuda_templateIlEESt5tupleIJNSH_6TensorESM_SM_EERKSM_lbbbEUlllE0_EEPmJS6_EEE10hipError_tPvRmT3_T4_T5_T6_T7_T9_mT8_P12ihipStream_tbDpT10_ENKUlT_T0_E_clISt17integral_constantIbLb1EES1C_EEDaS17_S18_EUlS17_E_NS1_11comp_targetILNS1_3genE4ELNS1_11target_archE910ELNS1_3gpuE8ELNS1_3repE0EEENS1_30default_config_static_selectorELNS0_4arch9wavefront6targetE0EEEvT1_,comdat
.Lfunc_end573:
	.size	_ZN7rocprim17ROCPRIM_400000_NS6detail17trampoline_kernelINS0_14default_configENS1_25partition_config_selectorILNS1_17partition_subalgoE8ElNS0_10empty_typeEbEEZZNS1_14partition_implILS5_8ELb0ES3_jPlPS6_PKS6_NS0_5tupleIJS9_S6_EEENSD_IJSA_SA_EEENS0_18inequality_wrapperIZN2at6native12_GLOBAL__N_124unique_dim_cuda_templateIlEESt5tupleIJNSH_6TensorESM_SM_EERKSM_lbbbEUlllE0_EEPmJS6_EEE10hipError_tPvRmT3_T4_T5_T6_T7_T9_mT8_P12ihipStream_tbDpT10_ENKUlT_T0_E_clISt17integral_constantIbLb1EES1C_EEDaS17_S18_EUlS17_E_NS1_11comp_targetILNS1_3genE4ELNS1_11target_archE910ELNS1_3gpuE8ELNS1_3repE0EEENS1_30default_config_static_selectorELNS0_4arch9wavefront6targetE0EEEvT1_, .Lfunc_end573-_ZN7rocprim17ROCPRIM_400000_NS6detail17trampoline_kernelINS0_14default_configENS1_25partition_config_selectorILNS1_17partition_subalgoE8ElNS0_10empty_typeEbEEZZNS1_14partition_implILS5_8ELb0ES3_jPlPS6_PKS6_NS0_5tupleIJS9_S6_EEENSD_IJSA_SA_EEENS0_18inequality_wrapperIZN2at6native12_GLOBAL__N_124unique_dim_cuda_templateIlEESt5tupleIJNSH_6TensorESM_SM_EERKSM_lbbbEUlllE0_EEPmJS6_EEE10hipError_tPvRmT3_T4_T5_T6_T7_T9_mT8_P12ihipStream_tbDpT10_ENKUlT_T0_E_clISt17integral_constantIbLb1EES1C_EEDaS17_S18_EUlS17_E_NS1_11comp_targetILNS1_3genE4ELNS1_11target_archE910ELNS1_3gpuE8ELNS1_3repE0EEENS1_30default_config_static_selectorELNS0_4arch9wavefront6targetE0EEEvT1_
                                        ; -- End function
	.section	.AMDGPU.csdata,"",@progbits
; Kernel info:
; codeLenInByte = 0
; NumSgprs: 0
; NumVgprs: 0
; ScratchSize: 0
; MemoryBound: 0
; FloatMode: 240
; IeeeMode: 1
; LDSByteSize: 0 bytes/workgroup (compile time only)
; SGPRBlocks: 0
; VGPRBlocks: 0
; NumSGPRsForWavesPerEU: 1
; NumVGPRsForWavesPerEU: 1
; Occupancy: 16
; WaveLimiterHint : 0
; COMPUTE_PGM_RSRC2:SCRATCH_EN: 0
; COMPUTE_PGM_RSRC2:USER_SGPR: 15
; COMPUTE_PGM_RSRC2:TRAP_HANDLER: 0
; COMPUTE_PGM_RSRC2:TGID_X_EN: 1
; COMPUTE_PGM_RSRC2:TGID_Y_EN: 0
; COMPUTE_PGM_RSRC2:TGID_Z_EN: 0
; COMPUTE_PGM_RSRC2:TIDIG_COMP_CNT: 0
	.section	.text._ZN7rocprim17ROCPRIM_400000_NS6detail17trampoline_kernelINS0_14default_configENS1_25partition_config_selectorILNS1_17partition_subalgoE8ElNS0_10empty_typeEbEEZZNS1_14partition_implILS5_8ELb0ES3_jPlPS6_PKS6_NS0_5tupleIJS9_S6_EEENSD_IJSA_SA_EEENS0_18inequality_wrapperIZN2at6native12_GLOBAL__N_124unique_dim_cuda_templateIlEESt5tupleIJNSH_6TensorESM_SM_EERKSM_lbbbEUlllE0_EEPmJS6_EEE10hipError_tPvRmT3_T4_T5_T6_T7_T9_mT8_P12ihipStream_tbDpT10_ENKUlT_T0_E_clISt17integral_constantIbLb1EES1C_EEDaS17_S18_EUlS17_E_NS1_11comp_targetILNS1_3genE3ELNS1_11target_archE908ELNS1_3gpuE7ELNS1_3repE0EEENS1_30default_config_static_selectorELNS0_4arch9wavefront6targetE0EEEvT1_,"axG",@progbits,_ZN7rocprim17ROCPRIM_400000_NS6detail17trampoline_kernelINS0_14default_configENS1_25partition_config_selectorILNS1_17partition_subalgoE8ElNS0_10empty_typeEbEEZZNS1_14partition_implILS5_8ELb0ES3_jPlPS6_PKS6_NS0_5tupleIJS9_S6_EEENSD_IJSA_SA_EEENS0_18inequality_wrapperIZN2at6native12_GLOBAL__N_124unique_dim_cuda_templateIlEESt5tupleIJNSH_6TensorESM_SM_EERKSM_lbbbEUlllE0_EEPmJS6_EEE10hipError_tPvRmT3_T4_T5_T6_T7_T9_mT8_P12ihipStream_tbDpT10_ENKUlT_T0_E_clISt17integral_constantIbLb1EES1C_EEDaS17_S18_EUlS17_E_NS1_11comp_targetILNS1_3genE3ELNS1_11target_archE908ELNS1_3gpuE7ELNS1_3repE0EEENS1_30default_config_static_selectorELNS0_4arch9wavefront6targetE0EEEvT1_,comdat
	.globl	_ZN7rocprim17ROCPRIM_400000_NS6detail17trampoline_kernelINS0_14default_configENS1_25partition_config_selectorILNS1_17partition_subalgoE8ElNS0_10empty_typeEbEEZZNS1_14partition_implILS5_8ELb0ES3_jPlPS6_PKS6_NS0_5tupleIJS9_S6_EEENSD_IJSA_SA_EEENS0_18inequality_wrapperIZN2at6native12_GLOBAL__N_124unique_dim_cuda_templateIlEESt5tupleIJNSH_6TensorESM_SM_EERKSM_lbbbEUlllE0_EEPmJS6_EEE10hipError_tPvRmT3_T4_T5_T6_T7_T9_mT8_P12ihipStream_tbDpT10_ENKUlT_T0_E_clISt17integral_constantIbLb1EES1C_EEDaS17_S18_EUlS17_E_NS1_11comp_targetILNS1_3genE3ELNS1_11target_archE908ELNS1_3gpuE7ELNS1_3repE0EEENS1_30default_config_static_selectorELNS0_4arch9wavefront6targetE0EEEvT1_ ; -- Begin function _ZN7rocprim17ROCPRIM_400000_NS6detail17trampoline_kernelINS0_14default_configENS1_25partition_config_selectorILNS1_17partition_subalgoE8ElNS0_10empty_typeEbEEZZNS1_14partition_implILS5_8ELb0ES3_jPlPS6_PKS6_NS0_5tupleIJS9_S6_EEENSD_IJSA_SA_EEENS0_18inequality_wrapperIZN2at6native12_GLOBAL__N_124unique_dim_cuda_templateIlEESt5tupleIJNSH_6TensorESM_SM_EERKSM_lbbbEUlllE0_EEPmJS6_EEE10hipError_tPvRmT3_T4_T5_T6_T7_T9_mT8_P12ihipStream_tbDpT10_ENKUlT_T0_E_clISt17integral_constantIbLb1EES1C_EEDaS17_S18_EUlS17_E_NS1_11comp_targetILNS1_3genE3ELNS1_11target_archE908ELNS1_3gpuE7ELNS1_3repE0EEENS1_30default_config_static_selectorELNS0_4arch9wavefront6targetE0EEEvT1_
	.p2align	8
	.type	_ZN7rocprim17ROCPRIM_400000_NS6detail17trampoline_kernelINS0_14default_configENS1_25partition_config_selectorILNS1_17partition_subalgoE8ElNS0_10empty_typeEbEEZZNS1_14partition_implILS5_8ELb0ES3_jPlPS6_PKS6_NS0_5tupleIJS9_S6_EEENSD_IJSA_SA_EEENS0_18inequality_wrapperIZN2at6native12_GLOBAL__N_124unique_dim_cuda_templateIlEESt5tupleIJNSH_6TensorESM_SM_EERKSM_lbbbEUlllE0_EEPmJS6_EEE10hipError_tPvRmT3_T4_T5_T6_T7_T9_mT8_P12ihipStream_tbDpT10_ENKUlT_T0_E_clISt17integral_constantIbLb1EES1C_EEDaS17_S18_EUlS17_E_NS1_11comp_targetILNS1_3genE3ELNS1_11target_archE908ELNS1_3gpuE7ELNS1_3repE0EEENS1_30default_config_static_selectorELNS0_4arch9wavefront6targetE0EEEvT1_,@function
_ZN7rocprim17ROCPRIM_400000_NS6detail17trampoline_kernelINS0_14default_configENS1_25partition_config_selectorILNS1_17partition_subalgoE8ElNS0_10empty_typeEbEEZZNS1_14partition_implILS5_8ELb0ES3_jPlPS6_PKS6_NS0_5tupleIJS9_S6_EEENSD_IJSA_SA_EEENS0_18inequality_wrapperIZN2at6native12_GLOBAL__N_124unique_dim_cuda_templateIlEESt5tupleIJNSH_6TensorESM_SM_EERKSM_lbbbEUlllE0_EEPmJS6_EEE10hipError_tPvRmT3_T4_T5_T6_T7_T9_mT8_P12ihipStream_tbDpT10_ENKUlT_T0_E_clISt17integral_constantIbLb1EES1C_EEDaS17_S18_EUlS17_E_NS1_11comp_targetILNS1_3genE3ELNS1_11target_archE908ELNS1_3gpuE7ELNS1_3repE0EEENS1_30default_config_static_selectorELNS0_4arch9wavefront6targetE0EEEvT1_: ; @_ZN7rocprim17ROCPRIM_400000_NS6detail17trampoline_kernelINS0_14default_configENS1_25partition_config_selectorILNS1_17partition_subalgoE8ElNS0_10empty_typeEbEEZZNS1_14partition_implILS5_8ELb0ES3_jPlPS6_PKS6_NS0_5tupleIJS9_S6_EEENSD_IJSA_SA_EEENS0_18inequality_wrapperIZN2at6native12_GLOBAL__N_124unique_dim_cuda_templateIlEESt5tupleIJNSH_6TensorESM_SM_EERKSM_lbbbEUlllE0_EEPmJS6_EEE10hipError_tPvRmT3_T4_T5_T6_T7_T9_mT8_P12ihipStream_tbDpT10_ENKUlT_T0_E_clISt17integral_constantIbLb1EES1C_EEDaS17_S18_EUlS17_E_NS1_11comp_targetILNS1_3genE3ELNS1_11target_archE908ELNS1_3gpuE7ELNS1_3repE0EEENS1_30default_config_static_selectorELNS0_4arch9wavefront6targetE0EEEvT1_
; %bb.0:
	.section	.rodata,"a",@progbits
	.p2align	6, 0x0
	.amdhsa_kernel _ZN7rocprim17ROCPRIM_400000_NS6detail17trampoline_kernelINS0_14default_configENS1_25partition_config_selectorILNS1_17partition_subalgoE8ElNS0_10empty_typeEbEEZZNS1_14partition_implILS5_8ELb0ES3_jPlPS6_PKS6_NS0_5tupleIJS9_S6_EEENSD_IJSA_SA_EEENS0_18inequality_wrapperIZN2at6native12_GLOBAL__N_124unique_dim_cuda_templateIlEESt5tupleIJNSH_6TensorESM_SM_EERKSM_lbbbEUlllE0_EEPmJS6_EEE10hipError_tPvRmT3_T4_T5_T6_T7_T9_mT8_P12ihipStream_tbDpT10_ENKUlT_T0_E_clISt17integral_constantIbLb1EES1C_EEDaS17_S18_EUlS17_E_NS1_11comp_targetILNS1_3genE3ELNS1_11target_archE908ELNS1_3gpuE7ELNS1_3repE0EEENS1_30default_config_static_selectorELNS0_4arch9wavefront6targetE0EEEvT1_
		.amdhsa_group_segment_fixed_size 0
		.amdhsa_private_segment_fixed_size 0
		.amdhsa_kernarg_size 136
		.amdhsa_user_sgpr_count 15
		.amdhsa_user_sgpr_dispatch_ptr 0
		.amdhsa_user_sgpr_queue_ptr 0
		.amdhsa_user_sgpr_kernarg_segment_ptr 1
		.amdhsa_user_sgpr_dispatch_id 0
		.amdhsa_user_sgpr_private_segment_size 0
		.amdhsa_wavefront_size32 1
		.amdhsa_uses_dynamic_stack 0
		.amdhsa_enable_private_segment 0
		.amdhsa_system_sgpr_workgroup_id_x 1
		.amdhsa_system_sgpr_workgroup_id_y 0
		.amdhsa_system_sgpr_workgroup_id_z 0
		.amdhsa_system_sgpr_workgroup_info 0
		.amdhsa_system_vgpr_workitem_id 0
		.amdhsa_next_free_vgpr 1
		.amdhsa_next_free_sgpr 1
		.amdhsa_reserve_vcc 0
		.amdhsa_float_round_mode_32 0
		.amdhsa_float_round_mode_16_64 0
		.amdhsa_float_denorm_mode_32 3
		.amdhsa_float_denorm_mode_16_64 3
		.amdhsa_dx10_clamp 1
		.amdhsa_ieee_mode 1
		.amdhsa_fp16_overflow 0
		.amdhsa_workgroup_processor_mode 1
		.amdhsa_memory_ordered 1
		.amdhsa_forward_progress 0
		.amdhsa_shared_vgpr_count 0
		.amdhsa_exception_fp_ieee_invalid_op 0
		.amdhsa_exception_fp_denorm_src 0
		.amdhsa_exception_fp_ieee_div_zero 0
		.amdhsa_exception_fp_ieee_overflow 0
		.amdhsa_exception_fp_ieee_underflow 0
		.amdhsa_exception_fp_ieee_inexact 0
		.amdhsa_exception_int_div_zero 0
	.end_amdhsa_kernel
	.section	.text._ZN7rocprim17ROCPRIM_400000_NS6detail17trampoline_kernelINS0_14default_configENS1_25partition_config_selectorILNS1_17partition_subalgoE8ElNS0_10empty_typeEbEEZZNS1_14partition_implILS5_8ELb0ES3_jPlPS6_PKS6_NS0_5tupleIJS9_S6_EEENSD_IJSA_SA_EEENS0_18inequality_wrapperIZN2at6native12_GLOBAL__N_124unique_dim_cuda_templateIlEESt5tupleIJNSH_6TensorESM_SM_EERKSM_lbbbEUlllE0_EEPmJS6_EEE10hipError_tPvRmT3_T4_T5_T6_T7_T9_mT8_P12ihipStream_tbDpT10_ENKUlT_T0_E_clISt17integral_constantIbLb1EES1C_EEDaS17_S18_EUlS17_E_NS1_11comp_targetILNS1_3genE3ELNS1_11target_archE908ELNS1_3gpuE7ELNS1_3repE0EEENS1_30default_config_static_selectorELNS0_4arch9wavefront6targetE0EEEvT1_,"axG",@progbits,_ZN7rocprim17ROCPRIM_400000_NS6detail17trampoline_kernelINS0_14default_configENS1_25partition_config_selectorILNS1_17partition_subalgoE8ElNS0_10empty_typeEbEEZZNS1_14partition_implILS5_8ELb0ES3_jPlPS6_PKS6_NS0_5tupleIJS9_S6_EEENSD_IJSA_SA_EEENS0_18inequality_wrapperIZN2at6native12_GLOBAL__N_124unique_dim_cuda_templateIlEESt5tupleIJNSH_6TensorESM_SM_EERKSM_lbbbEUlllE0_EEPmJS6_EEE10hipError_tPvRmT3_T4_T5_T6_T7_T9_mT8_P12ihipStream_tbDpT10_ENKUlT_T0_E_clISt17integral_constantIbLb1EES1C_EEDaS17_S18_EUlS17_E_NS1_11comp_targetILNS1_3genE3ELNS1_11target_archE908ELNS1_3gpuE7ELNS1_3repE0EEENS1_30default_config_static_selectorELNS0_4arch9wavefront6targetE0EEEvT1_,comdat
.Lfunc_end574:
	.size	_ZN7rocprim17ROCPRIM_400000_NS6detail17trampoline_kernelINS0_14default_configENS1_25partition_config_selectorILNS1_17partition_subalgoE8ElNS0_10empty_typeEbEEZZNS1_14partition_implILS5_8ELb0ES3_jPlPS6_PKS6_NS0_5tupleIJS9_S6_EEENSD_IJSA_SA_EEENS0_18inequality_wrapperIZN2at6native12_GLOBAL__N_124unique_dim_cuda_templateIlEESt5tupleIJNSH_6TensorESM_SM_EERKSM_lbbbEUlllE0_EEPmJS6_EEE10hipError_tPvRmT3_T4_T5_T6_T7_T9_mT8_P12ihipStream_tbDpT10_ENKUlT_T0_E_clISt17integral_constantIbLb1EES1C_EEDaS17_S18_EUlS17_E_NS1_11comp_targetILNS1_3genE3ELNS1_11target_archE908ELNS1_3gpuE7ELNS1_3repE0EEENS1_30default_config_static_selectorELNS0_4arch9wavefront6targetE0EEEvT1_, .Lfunc_end574-_ZN7rocprim17ROCPRIM_400000_NS6detail17trampoline_kernelINS0_14default_configENS1_25partition_config_selectorILNS1_17partition_subalgoE8ElNS0_10empty_typeEbEEZZNS1_14partition_implILS5_8ELb0ES3_jPlPS6_PKS6_NS0_5tupleIJS9_S6_EEENSD_IJSA_SA_EEENS0_18inequality_wrapperIZN2at6native12_GLOBAL__N_124unique_dim_cuda_templateIlEESt5tupleIJNSH_6TensorESM_SM_EERKSM_lbbbEUlllE0_EEPmJS6_EEE10hipError_tPvRmT3_T4_T5_T6_T7_T9_mT8_P12ihipStream_tbDpT10_ENKUlT_T0_E_clISt17integral_constantIbLb1EES1C_EEDaS17_S18_EUlS17_E_NS1_11comp_targetILNS1_3genE3ELNS1_11target_archE908ELNS1_3gpuE7ELNS1_3repE0EEENS1_30default_config_static_selectorELNS0_4arch9wavefront6targetE0EEEvT1_
                                        ; -- End function
	.section	.AMDGPU.csdata,"",@progbits
; Kernel info:
; codeLenInByte = 0
; NumSgprs: 0
; NumVgprs: 0
; ScratchSize: 0
; MemoryBound: 0
; FloatMode: 240
; IeeeMode: 1
; LDSByteSize: 0 bytes/workgroup (compile time only)
; SGPRBlocks: 0
; VGPRBlocks: 0
; NumSGPRsForWavesPerEU: 1
; NumVGPRsForWavesPerEU: 1
; Occupancy: 16
; WaveLimiterHint : 0
; COMPUTE_PGM_RSRC2:SCRATCH_EN: 0
; COMPUTE_PGM_RSRC2:USER_SGPR: 15
; COMPUTE_PGM_RSRC2:TRAP_HANDLER: 0
; COMPUTE_PGM_RSRC2:TGID_X_EN: 1
; COMPUTE_PGM_RSRC2:TGID_Y_EN: 0
; COMPUTE_PGM_RSRC2:TGID_Z_EN: 0
; COMPUTE_PGM_RSRC2:TIDIG_COMP_CNT: 0
	.section	.text._ZN7rocprim17ROCPRIM_400000_NS6detail17trampoline_kernelINS0_14default_configENS1_25partition_config_selectorILNS1_17partition_subalgoE8ElNS0_10empty_typeEbEEZZNS1_14partition_implILS5_8ELb0ES3_jPlPS6_PKS6_NS0_5tupleIJS9_S6_EEENSD_IJSA_SA_EEENS0_18inequality_wrapperIZN2at6native12_GLOBAL__N_124unique_dim_cuda_templateIlEESt5tupleIJNSH_6TensorESM_SM_EERKSM_lbbbEUlllE0_EEPmJS6_EEE10hipError_tPvRmT3_T4_T5_T6_T7_T9_mT8_P12ihipStream_tbDpT10_ENKUlT_T0_E_clISt17integral_constantIbLb1EES1C_EEDaS17_S18_EUlS17_E_NS1_11comp_targetILNS1_3genE2ELNS1_11target_archE906ELNS1_3gpuE6ELNS1_3repE0EEENS1_30default_config_static_selectorELNS0_4arch9wavefront6targetE0EEEvT1_,"axG",@progbits,_ZN7rocprim17ROCPRIM_400000_NS6detail17trampoline_kernelINS0_14default_configENS1_25partition_config_selectorILNS1_17partition_subalgoE8ElNS0_10empty_typeEbEEZZNS1_14partition_implILS5_8ELb0ES3_jPlPS6_PKS6_NS0_5tupleIJS9_S6_EEENSD_IJSA_SA_EEENS0_18inequality_wrapperIZN2at6native12_GLOBAL__N_124unique_dim_cuda_templateIlEESt5tupleIJNSH_6TensorESM_SM_EERKSM_lbbbEUlllE0_EEPmJS6_EEE10hipError_tPvRmT3_T4_T5_T6_T7_T9_mT8_P12ihipStream_tbDpT10_ENKUlT_T0_E_clISt17integral_constantIbLb1EES1C_EEDaS17_S18_EUlS17_E_NS1_11comp_targetILNS1_3genE2ELNS1_11target_archE906ELNS1_3gpuE6ELNS1_3repE0EEENS1_30default_config_static_selectorELNS0_4arch9wavefront6targetE0EEEvT1_,comdat
	.globl	_ZN7rocprim17ROCPRIM_400000_NS6detail17trampoline_kernelINS0_14default_configENS1_25partition_config_selectorILNS1_17partition_subalgoE8ElNS0_10empty_typeEbEEZZNS1_14partition_implILS5_8ELb0ES3_jPlPS6_PKS6_NS0_5tupleIJS9_S6_EEENSD_IJSA_SA_EEENS0_18inequality_wrapperIZN2at6native12_GLOBAL__N_124unique_dim_cuda_templateIlEESt5tupleIJNSH_6TensorESM_SM_EERKSM_lbbbEUlllE0_EEPmJS6_EEE10hipError_tPvRmT3_T4_T5_T6_T7_T9_mT8_P12ihipStream_tbDpT10_ENKUlT_T0_E_clISt17integral_constantIbLb1EES1C_EEDaS17_S18_EUlS17_E_NS1_11comp_targetILNS1_3genE2ELNS1_11target_archE906ELNS1_3gpuE6ELNS1_3repE0EEENS1_30default_config_static_selectorELNS0_4arch9wavefront6targetE0EEEvT1_ ; -- Begin function _ZN7rocprim17ROCPRIM_400000_NS6detail17trampoline_kernelINS0_14default_configENS1_25partition_config_selectorILNS1_17partition_subalgoE8ElNS0_10empty_typeEbEEZZNS1_14partition_implILS5_8ELb0ES3_jPlPS6_PKS6_NS0_5tupleIJS9_S6_EEENSD_IJSA_SA_EEENS0_18inequality_wrapperIZN2at6native12_GLOBAL__N_124unique_dim_cuda_templateIlEESt5tupleIJNSH_6TensorESM_SM_EERKSM_lbbbEUlllE0_EEPmJS6_EEE10hipError_tPvRmT3_T4_T5_T6_T7_T9_mT8_P12ihipStream_tbDpT10_ENKUlT_T0_E_clISt17integral_constantIbLb1EES1C_EEDaS17_S18_EUlS17_E_NS1_11comp_targetILNS1_3genE2ELNS1_11target_archE906ELNS1_3gpuE6ELNS1_3repE0EEENS1_30default_config_static_selectorELNS0_4arch9wavefront6targetE0EEEvT1_
	.p2align	8
	.type	_ZN7rocprim17ROCPRIM_400000_NS6detail17trampoline_kernelINS0_14default_configENS1_25partition_config_selectorILNS1_17partition_subalgoE8ElNS0_10empty_typeEbEEZZNS1_14partition_implILS5_8ELb0ES3_jPlPS6_PKS6_NS0_5tupleIJS9_S6_EEENSD_IJSA_SA_EEENS0_18inequality_wrapperIZN2at6native12_GLOBAL__N_124unique_dim_cuda_templateIlEESt5tupleIJNSH_6TensorESM_SM_EERKSM_lbbbEUlllE0_EEPmJS6_EEE10hipError_tPvRmT3_T4_T5_T6_T7_T9_mT8_P12ihipStream_tbDpT10_ENKUlT_T0_E_clISt17integral_constantIbLb1EES1C_EEDaS17_S18_EUlS17_E_NS1_11comp_targetILNS1_3genE2ELNS1_11target_archE906ELNS1_3gpuE6ELNS1_3repE0EEENS1_30default_config_static_selectorELNS0_4arch9wavefront6targetE0EEEvT1_,@function
_ZN7rocprim17ROCPRIM_400000_NS6detail17trampoline_kernelINS0_14default_configENS1_25partition_config_selectorILNS1_17partition_subalgoE8ElNS0_10empty_typeEbEEZZNS1_14partition_implILS5_8ELb0ES3_jPlPS6_PKS6_NS0_5tupleIJS9_S6_EEENSD_IJSA_SA_EEENS0_18inequality_wrapperIZN2at6native12_GLOBAL__N_124unique_dim_cuda_templateIlEESt5tupleIJNSH_6TensorESM_SM_EERKSM_lbbbEUlllE0_EEPmJS6_EEE10hipError_tPvRmT3_T4_T5_T6_T7_T9_mT8_P12ihipStream_tbDpT10_ENKUlT_T0_E_clISt17integral_constantIbLb1EES1C_EEDaS17_S18_EUlS17_E_NS1_11comp_targetILNS1_3genE2ELNS1_11target_archE906ELNS1_3gpuE6ELNS1_3repE0EEENS1_30default_config_static_selectorELNS0_4arch9wavefront6targetE0EEEvT1_: ; @_ZN7rocprim17ROCPRIM_400000_NS6detail17trampoline_kernelINS0_14default_configENS1_25partition_config_selectorILNS1_17partition_subalgoE8ElNS0_10empty_typeEbEEZZNS1_14partition_implILS5_8ELb0ES3_jPlPS6_PKS6_NS0_5tupleIJS9_S6_EEENSD_IJSA_SA_EEENS0_18inequality_wrapperIZN2at6native12_GLOBAL__N_124unique_dim_cuda_templateIlEESt5tupleIJNSH_6TensorESM_SM_EERKSM_lbbbEUlllE0_EEPmJS6_EEE10hipError_tPvRmT3_T4_T5_T6_T7_T9_mT8_P12ihipStream_tbDpT10_ENKUlT_T0_E_clISt17integral_constantIbLb1EES1C_EEDaS17_S18_EUlS17_E_NS1_11comp_targetILNS1_3genE2ELNS1_11target_archE906ELNS1_3gpuE6ELNS1_3repE0EEENS1_30default_config_static_selectorELNS0_4arch9wavefront6targetE0EEEvT1_
; %bb.0:
	.section	.rodata,"a",@progbits
	.p2align	6, 0x0
	.amdhsa_kernel _ZN7rocprim17ROCPRIM_400000_NS6detail17trampoline_kernelINS0_14default_configENS1_25partition_config_selectorILNS1_17partition_subalgoE8ElNS0_10empty_typeEbEEZZNS1_14partition_implILS5_8ELb0ES3_jPlPS6_PKS6_NS0_5tupleIJS9_S6_EEENSD_IJSA_SA_EEENS0_18inequality_wrapperIZN2at6native12_GLOBAL__N_124unique_dim_cuda_templateIlEESt5tupleIJNSH_6TensorESM_SM_EERKSM_lbbbEUlllE0_EEPmJS6_EEE10hipError_tPvRmT3_T4_T5_T6_T7_T9_mT8_P12ihipStream_tbDpT10_ENKUlT_T0_E_clISt17integral_constantIbLb1EES1C_EEDaS17_S18_EUlS17_E_NS1_11comp_targetILNS1_3genE2ELNS1_11target_archE906ELNS1_3gpuE6ELNS1_3repE0EEENS1_30default_config_static_selectorELNS0_4arch9wavefront6targetE0EEEvT1_
		.amdhsa_group_segment_fixed_size 0
		.amdhsa_private_segment_fixed_size 0
		.amdhsa_kernarg_size 136
		.amdhsa_user_sgpr_count 15
		.amdhsa_user_sgpr_dispatch_ptr 0
		.amdhsa_user_sgpr_queue_ptr 0
		.amdhsa_user_sgpr_kernarg_segment_ptr 1
		.amdhsa_user_sgpr_dispatch_id 0
		.amdhsa_user_sgpr_private_segment_size 0
		.amdhsa_wavefront_size32 1
		.amdhsa_uses_dynamic_stack 0
		.amdhsa_enable_private_segment 0
		.amdhsa_system_sgpr_workgroup_id_x 1
		.amdhsa_system_sgpr_workgroup_id_y 0
		.amdhsa_system_sgpr_workgroup_id_z 0
		.amdhsa_system_sgpr_workgroup_info 0
		.amdhsa_system_vgpr_workitem_id 0
		.amdhsa_next_free_vgpr 1
		.amdhsa_next_free_sgpr 1
		.amdhsa_reserve_vcc 0
		.amdhsa_float_round_mode_32 0
		.amdhsa_float_round_mode_16_64 0
		.amdhsa_float_denorm_mode_32 3
		.amdhsa_float_denorm_mode_16_64 3
		.amdhsa_dx10_clamp 1
		.amdhsa_ieee_mode 1
		.amdhsa_fp16_overflow 0
		.amdhsa_workgroup_processor_mode 1
		.amdhsa_memory_ordered 1
		.amdhsa_forward_progress 0
		.amdhsa_shared_vgpr_count 0
		.amdhsa_exception_fp_ieee_invalid_op 0
		.amdhsa_exception_fp_denorm_src 0
		.amdhsa_exception_fp_ieee_div_zero 0
		.amdhsa_exception_fp_ieee_overflow 0
		.amdhsa_exception_fp_ieee_underflow 0
		.amdhsa_exception_fp_ieee_inexact 0
		.amdhsa_exception_int_div_zero 0
	.end_amdhsa_kernel
	.section	.text._ZN7rocprim17ROCPRIM_400000_NS6detail17trampoline_kernelINS0_14default_configENS1_25partition_config_selectorILNS1_17partition_subalgoE8ElNS0_10empty_typeEbEEZZNS1_14partition_implILS5_8ELb0ES3_jPlPS6_PKS6_NS0_5tupleIJS9_S6_EEENSD_IJSA_SA_EEENS0_18inequality_wrapperIZN2at6native12_GLOBAL__N_124unique_dim_cuda_templateIlEESt5tupleIJNSH_6TensorESM_SM_EERKSM_lbbbEUlllE0_EEPmJS6_EEE10hipError_tPvRmT3_T4_T5_T6_T7_T9_mT8_P12ihipStream_tbDpT10_ENKUlT_T0_E_clISt17integral_constantIbLb1EES1C_EEDaS17_S18_EUlS17_E_NS1_11comp_targetILNS1_3genE2ELNS1_11target_archE906ELNS1_3gpuE6ELNS1_3repE0EEENS1_30default_config_static_selectorELNS0_4arch9wavefront6targetE0EEEvT1_,"axG",@progbits,_ZN7rocprim17ROCPRIM_400000_NS6detail17trampoline_kernelINS0_14default_configENS1_25partition_config_selectorILNS1_17partition_subalgoE8ElNS0_10empty_typeEbEEZZNS1_14partition_implILS5_8ELb0ES3_jPlPS6_PKS6_NS0_5tupleIJS9_S6_EEENSD_IJSA_SA_EEENS0_18inequality_wrapperIZN2at6native12_GLOBAL__N_124unique_dim_cuda_templateIlEESt5tupleIJNSH_6TensorESM_SM_EERKSM_lbbbEUlllE0_EEPmJS6_EEE10hipError_tPvRmT3_T4_T5_T6_T7_T9_mT8_P12ihipStream_tbDpT10_ENKUlT_T0_E_clISt17integral_constantIbLb1EES1C_EEDaS17_S18_EUlS17_E_NS1_11comp_targetILNS1_3genE2ELNS1_11target_archE906ELNS1_3gpuE6ELNS1_3repE0EEENS1_30default_config_static_selectorELNS0_4arch9wavefront6targetE0EEEvT1_,comdat
.Lfunc_end575:
	.size	_ZN7rocprim17ROCPRIM_400000_NS6detail17trampoline_kernelINS0_14default_configENS1_25partition_config_selectorILNS1_17partition_subalgoE8ElNS0_10empty_typeEbEEZZNS1_14partition_implILS5_8ELb0ES3_jPlPS6_PKS6_NS0_5tupleIJS9_S6_EEENSD_IJSA_SA_EEENS0_18inequality_wrapperIZN2at6native12_GLOBAL__N_124unique_dim_cuda_templateIlEESt5tupleIJNSH_6TensorESM_SM_EERKSM_lbbbEUlllE0_EEPmJS6_EEE10hipError_tPvRmT3_T4_T5_T6_T7_T9_mT8_P12ihipStream_tbDpT10_ENKUlT_T0_E_clISt17integral_constantIbLb1EES1C_EEDaS17_S18_EUlS17_E_NS1_11comp_targetILNS1_3genE2ELNS1_11target_archE906ELNS1_3gpuE6ELNS1_3repE0EEENS1_30default_config_static_selectorELNS0_4arch9wavefront6targetE0EEEvT1_, .Lfunc_end575-_ZN7rocprim17ROCPRIM_400000_NS6detail17trampoline_kernelINS0_14default_configENS1_25partition_config_selectorILNS1_17partition_subalgoE8ElNS0_10empty_typeEbEEZZNS1_14partition_implILS5_8ELb0ES3_jPlPS6_PKS6_NS0_5tupleIJS9_S6_EEENSD_IJSA_SA_EEENS0_18inequality_wrapperIZN2at6native12_GLOBAL__N_124unique_dim_cuda_templateIlEESt5tupleIJNSH_6TensorESM_SM_EERKSM_lbbbEUlllE0_EEPmJS6_EEE10hipError_tPvRmT3_T4_T5_T6_T7_T9_mT8_P12ihipStream_tbDpT10_ENKUlT_T0_E_clISt17integral_constantIbLb1EES1C_EEDaS17_S18_EUlS17_E_NS1_11comp_targetILNS1_3genE2ELNS1_11target_archE906ELNS1_3gpuE6ELNS1_3repE0EEENS1_30default_config_static_selectorELNS0_4arch9wavefront6targetE0EEEvT1_
                                        ; -- End function
	.section	.AMDGPU.csdata,"",@progbits
; Kernel info:
; codeLenInByte = 0
; NumSgprs: 0
; NumVgprs: 0
; ScratchSize: 0
; MemoryBound: 0
; FloatMode: 240
; IeeeMode: 1
; LDSByteSize: 0 bytes/workgroup (compile time only)
; SGPRBlocks: 0
; VGPRBlocks: 0
; NumSGPRsForWavesPerEU: 1
; NumVGPRsForWavesPerEU: 1
; Occupancy: 16
; WaveLimiterHint : 0
; COMPUTE_PGM_RSRC2:SCRATCH_EN: 0
; COMPUTE_PGM_RSRC2:USER_SGPR: 15
; COMPUTE_PGM_RSRC2:TRAP_HANDLER: 0
; COMPUTE_PGM_RSRC2:TGID_X_EN: 1
; COMPUTE_PGM_RSRC2:TGID_Y_EN: 0
; COMPUTE_PGM_RSRC2:TGID_Z_EN: 0
; COMPUTE_PGM_RSRC2:TIDIG_COMP_CNT: 0
	.section	.text._ZN7rocprim17ROCPRIM_400000_NS6detail17trampoline_kernelINS0_14default_configENS1_25partition_config_selectorILNS1_17partition_subalgoE8ElNS0_10empty_typeEbEEZZNS1_14partition_implILS5_8ELb0ES3_jPlPS6_PKS6_NS0_5tupleIJS9_S6_EEENSD_IJSA_SA_EEENS0_18inequality_wrapperIZN2at6native12_GLOBAL__N_124unique_dim_cuda_templateIlEESt5tupleIJNSH_6TensorESM_SM_EERKSM_lbbbEUlllE0_EEPmJS6_EEE10hipError_tPvRmT3_T4_T5_T6_T7_T9_mT8_P12ihipStream_tbDpT10_ENKUlT_T0_E_clISt17integral_constantIbLb1EES1C_EEDaS17_S18_EUlS17_E_NS1_11comp_targetILNS1_3genE10ELNS1_11target_archE1200ELNS1_3gpuE4ELNS1_3repE0EEENS1_30default_config_static_selectorELNS0_4arch9wavefront6targetE0EEEvT1_,"axG",@progbits,_ZN7rocprim17ROCPRIM_400000_NS6detail17trampoline_kernelINS0_14default_configENS1_25partition_config_selectorILNS1_17partition_subalgoE8ElNS0_10empty_typeEbEEZZNS1_14partition_implILS5_8ELb0ES3_jPlPS6_PKS6_NS0_5tupleIJS9_S6_EEENSD_IJSA_SA_EEENS0_18inequality_wrapperIZN2at6native12_GLOBAL__N_124unique_dim_cuda_templateIlEESt5tupleIJNSH_6TensorESM_SM_EERKSM_lbbbEUlllE0_EEPmJS6_EEE10hipError_tPvRmT3_T4_T5_T6_T7_T9_mT8_P12ihipStream_tbDpT10_ENKUlT_T0_E_clISt17integral_constantIbLb1EES1C_EEDaS17_S18_EUlS17_E_NS1_11comp_targetILNS1_3genE10ELNS1_11target_archE1200ELNS1_3gpuE4ELNS1_3repE0EEENS1_30default_config_static_selectorELNS0_4arch9wavefront6targetE0EEEvT1_,comdat
	.globl	_ZN7rocprim17ROCPRIM_400000_NS6detail17trampoline_kernelINS0_14default_configENS1_25partition_config_selectorILNS1_17partition_subalgoE8ElNS0_10empty_typeEbEEZZNS1_14partition_implILS5_8ELb0ES3_jPlPS6_PKS6_NS0_5tupleIJS9_S6_EEENSD_IJSA_SA_EEENS0_18inequality_wrapperIZN2at6native12_GLOBAL__N_124unique_dim_cuda_templateIlEESt5tupleIJNSH_6TensorESM_SM_EERKSM_lbbbEUlllE0_EEPmJS6_EEE10hipError_tPvRmT3_T4_T5_T6_T7_T9_mT8_P12ihipStream_tbDpT10_ENKUlT_T0_E_clISt17integral_constantIbLb1EES1C_EEDaS17_S18_EUlS17_E_NS1_11comp_targetILNS1_3genE10ELNS1_11target_archE1200ELNS1_3gpuE4ELNS1_3repE0EEENS1_30default_config_static_selectorELNS0_4arch9wavefront6targetE0EEEvT1_ ; -- Begin function _ZN7rocprim17ROCPRIM_400000_NS6detail17trampoline_kernelINS0_14default_configENS1_25partition_config_selectorILNS1_17partition_subalgoE8ElNS0_10empty_typeEbEEZZNS1_14partition_implILS5_8ELb0ES3_jPlPS6_PKS6_NS0_5tupleIJS9_S6_EEENSD_IJSA_SA_EEENS0_18inequality_wrapperIZN2at6native12_GLOBAL__N_124unique_dim_cuda_templateIlEESt5tupleIJNSH_6TensorESM_SM_EERKSM_lbbbEUlllE0_EEPmJS6_EEE10hipError_tPvRmT3_T4_T5_T6_T7_T9_mT8_P12ihipStream_tbDpT10_ENKUlT_T0_E_clISt17integral_constantIbLb1EES1C_EEDaS17_S18_EUlS17_E_NS1_11comp_targetILNS1_3genE10ELNS1_11target_archE1200ELNS1_3gpuE4ELNS1_3repE0EEENS1_30default_config_static_selectorELNS0_4arch9wavefront6targetE0EEEvT1_
	.p2align	8
	.type	_ZN7rocprim17ROCPRIM_400000_NS6detail17trampoline_kernelINS0_14default_configENS1_25partition_config_selectorILNS1_17partition_subalgoE8ElNS0_10empty_typeEbEEZZNS1_14partition_implILS5_8ELb0ES3_jPlPS6_PKS6_NS0_5tupleIJS9_S6_EEENSD_IJSA_SA_EEENS0_18inequality_wrapperIZN2at6native12_GLOBAL__N_124unique_dim_cuda_templateIlEESt5tupleIJNSH_6TensorESM_SM_EERKSM_lbbbEUlllE0_EEPmJS6_EEE10hipError_tPvRmT3_T4_T5_T6_T7_T9_mT8_P12ihipStream_tbDpT10_ENKUlT_T0_E_clISt17integral_constantIbLb1EES1C_EEDaS17_S18_EUlS17_E_NS1_11comp_targetILNS1_3genE10ELNS1_11target_archE1200ELNS1_3gpuE4ELNS1_3repE0EEENS1_30default_config_static_selectorELNS0_4arch9wavefront6targetE0EEEvT1_,@function
_ZN7rocprim17ROCPRIM_400000_NS6detail17trampoline_kernelINS0_14default_configENS1_25partition_config_selectorILNS1_17partition_subalgoE8ElNS0_10empty_typeEbEEZZNS1_14partition_implILS5_8ELb0ES3_jPlPS6_PKS6_NS0_5tupleIJS9_S6_EEENSD_IJSA_SA_EEENS0_18inequality_wrapperIZN2at6native12_GLOBAL__N_124unique_dim_cuda_templateIlEESt5tupleIJNSH_6TensorESM_SM_EERKSM_lbbbEUlllE0_EEPmJS6_EEE10hipError_tPvRmT3_T4_T5_T6_T7_T9_mT8_P12ihipStream_tbDpT10_ENKUlT_T0_E_clISt17integral_constantIbLb1EES1C_EEDaS17_S18_EUlS17_E_NS1_11comp_targetILNS1_3genE10ELNS1_11target_archE1200ELNS1_3gpuE4ELNS1_3repE0EEENS1_30default_config_static_selectorELNS0_4arch9wavefront6targetE0EEEvT1_: ; @_ZN7rocprim17ROCPRIM_400000_NS6detail17trampoline_kernelINS0_14default_configENS1_25partition_config_selectorILNS1_17partition_subalgoE8ElNS0_10empty_typeEbEEZZNS1_14partition_implILS5_8ELb0ES3_jPlPS6_PKS6_NS0_5tupleIJS9_S6_EEENSD_IJSA_SA_EEENS0_18inequality_wrapperIZN2at6native12_GLOBAL__N_124unique_dim_cuda_templateIlEESt5tupleIJNSH_6TensorESM_SM_EERKSM_lbbbEUlllE0_EEPmJS6_EEE10hipError_tPvRmT3_T4_T5_T6_T7_T9_mT8_P12ihipStream_tbDpT10_ENKUlT_T0_E_clISt17integral_constantIbLb1EES1C_EEDaS17_S18_EUlS17_E_NS1_11comp_targetILNS1_3genE10ELNS1_11target_archE1200ELNS1_3gpuE4ELNS1_3repE0EEENS1_30default_config_static_selectorELNS0_4arch9wavefront6targetE0EEEvT1_
; %bb.0:
	.section	.rodata,"a",@progbits
	.p2align	6, 0x0
	.amdhsa_kernel _ZN7rocprim17ROCPRIM_400000_NS6detail17trampoline_kernelINS0_14default_configENS1_25partition_config_selectorILNS1_17partition_subalgoE8ElNS0_10empty_typeEbEEZZNS1_14partition_implILS5_8ELb0ES3_jPlPS6_PKS6_NS0_5tupleIJS9_S6_EEENSD_IJSA_SA_EEENS0_18inequality_wrapperIZN2at6native12_GLOBAL__N_124unique_dim_cuda_templateIlEESt5tupleIJNSH_6TensorESM_SM_EERKSM_lbbbEUlllE0_EEPmJS6_EEE10hipError_tPvRmT3_T4_T5_T6_T7_T9_mT8_P12ihipStream_tbDpT10_ENKUlT_T0_E_clISt17integral_constantIbLb1EES1C_EEDaS17_S18_EUlS17_E_NS1_11comp_targetILNS1_3genE10ELNS1_11target_archE1200ELNS1_3gpuE4ELNS1_3repE0EEENS1_30default_config_static_selectorELNS0_4arch9wavefront6targetE0EEEvT1_
		.amdhsa_group_segment_fixed_size 0
		.amdhsa_private_segment_fixed_size 0
		.amdhsa_kernarg_size 136
		.amdhsa_user_sgpr_count 15
		.amdhsa_user_sgpr_dispatch_ptr 0
		.amdhsa_user_sgpr_queue_ptr 0
		.amdhsa_user_sgpr_kernarg_segment_ptr 1
		.amdhsa_user_sgpr_dispatch_id 0
		.amdhsa_user_sgpr_private_segment_size 0
		.amdhsa_wavefront_size32 1
		.amdhsa_uses_dynamic_stack 0
		.amdhsa_enable_private_segment 0
		.amdhsa_system_sgpr_workgroup_id_x 1
		.amdhsa_system_sgpr_workgroup_id_y 0
		.amdhsa_system_sgpr_workgroup_id_z 0
		.amdhsa_system_sgpr_workgroup_info 0
		.amdhsa_system_vgpr_workitem_id 0
		.amdhsa_next_free_vgpr 1
		.amdhsa_next_free_sgpr 1
		.amdhsa_reserve_vcc 0
		.amdhsa_float_round_mode_32 0
		.amdhsa_float_round_mode_16_64 0
		.amdhsa_float_denorm_mode_32 3
		.amdhsa_float_denorm_mode_16_64 3
		.amdhsa_dx10_clamp 1
		.amdhsa_ieee_mode 1
		.amdhsa_fp16_overflow 0
		.amdhsa_workgroup_processor_mode 1
		.amdhsa_memory_ordered 1
		.amdhsa_forward_progress 0
		.amdhsa_shared_vgpr_count 0
		.amdhsa_exception_fp_ieee_invalid_op 0
		.amdhsa_exception_fp_denorm_src 0
		.amdhsa_exception_fp_ieee_div_zero 0
		.amdhsa_exception_fp_ieee_overflow 0
		.amdhsa_exception_fp_ieee_underflow 0
		.amdhsa_exception_fp_ieee_inexact 0
		.amdhsa_exception_int_div_zero 0
	.end_amdhsa_kernel
	.section	.text._ZN7rocprim17ROCPRIM_400000_NS6detail17trampoline_kernelINS0_14default_configENS1_25partition_config_selectorILNS1_17partition_subalgoE8ElNS0_10empty_typeEbEEZZNS1_14partition_implILS5_8ELb0ES3_jPlPS6_PKS6_NS0_5tupleIJS9_S6_EEENSD_IJSA_SA_EEENS0_18inequality_wrapperIZN2at6native12_GLOBAL__N_124unique_dim_cuda_templateIlEESt5tupleIJNSH_6TensorESM_SM_EERKSM_lbbbEUlllE0_EEPmJS6_EEE10hipError_tPvRmT3_T4_T5_T6_T7_T9_mT8_P12ihipStream_tbDpT10_ENKUlT_T0_E_clISt17integral_constantIbLb1EES1C_EEDaS17_S18_EUlS17_E_NS1_11comp_targetILNS1_3genE10ELNS1_11target_archE1200ELNS1_3gpuE4ELNS1_3repE0EEENS1_30default_config_static_selectorELNS0_4arch9wavefront6targetE0EEEvT1_,"axG",@progbits,_ZN7rocprim17ROCPRIM_400000_NS6detail17trampoline_kernelINS0_14default_configENS1_25partition_config_selectorILNS1_17partition_subalgoE8ElNS0_10empty_typeEbEEZZNS1_14partition_implILS5_8ELb0ES3_jPlPS6_PKS6_NS0_5tupleIJS9_S6_EEENSD_IJSA_SA_EEENS0_18inequality_wrapperIZN2at6native12_GLOBAL__N_124unique_dim_cuda_templateIlEESt5tupleIJNSH_6TensorESM_SM_EERKSM_lbbbEUlllE0_EEPmJS6_EEE10hipError_tPvRmT3_T4_T5_T6_T7_T9_mT8_P12ihipStream_tbDpT10_ENKUlT_T0_E_clISt17integral_constantIbLb1EES1C_EEDaS17_S18_EUlS17_E_NS1_11comp_targetILNS1_3genE10ELNS1_11target_archE1200ELNS1_3gpuE4ELNS1_3repE0EEENS1_30default_config_static_selectorELNS0_4arch9wavefront6targetE0EEEvT1_,comdat
.Lfunc_end576:
	.size	_ZN7rocprim17ROCPRIM_400000_NS6detail17trampoline_kernelINS0_14default_configENS1_25partition_config_selectorILNS1_17partition_subalgoE8ElNS0_10empty_typeEbEEZZNS1_14partition_implILS5_8ELb0ES3_jPlPS6_PKS6_NS0_5tupleIJS9_S6_EEENSD_IJSA_SA_EEENS0_18inequality_wrapperIZN2at6native12_GLOBAL__N_124unique_dim_cuda_templateIlEESt5tupleIJNSH_6TensorESM_SM_EERKSM_lbbbEUlllE0_EEPmJS6_EEE10hipError_tPvRmT3_T4_T5_T6_T7_T9_mT8_P12ihipStream_tbDpT10_ENKUlT_T0_E_clISt17integral_constantIbLb1EES1C_EEDaS17_S18_EUlS17_E_NS1_11comp_targetILNS1_3genE10ELNS1_11target_archE1200ELNS1_3gpuE4ELNS1_3repE0EEENS1_30default_config_static_selectorELNS0_4arch9wavefront6targetE0EEEvT1_, .Lfunc_end576-_ZN7rocprim17ROCPRIM_400000_NS6detail17trampoline_kernelINS0_14default_configENS1_25partition_config_selectorILNS1_17partition_subalgoE8ElNS0_10empty_typeEbEEZZNS1_14partition_implILS5_8ELb0ES3_jPlPS6_PKS6_NS0_5tupleIJS9_S6_EEENSD_IJSA_SA_EEENS0_18inequality_wrapperIZN2at6native12_GLOBAL__N_124unique_dim_cuda_templateIlEESt5tupleIJNSH_6TensorESM_SM_EERKSM_lbbbEUlllE0_EEPmJS6_EEE10hipError_tPvRmT3_T4_T5_T6_T7_T9_mT8_P12ihipStream_tbDpT10_ENKUlT_T0_E_clISt17integral_constantIbLb1EES1C_EEDaS17_S18_EUlS17_E_NS1_11comp_targetILNS1_3genE10ELNS1_11target_archE1200ELNS1_3gpuE4ELNS1_3repE0EEENS1_30default_config_static_selectorELNS0_4arch9wavefront6targetE0EEEvT1_
                                        ; -- End function
	.section	.AMDGPU.csdata,"",@progbits
; Kernel info:
; codeLenInByte = 0
; NumSgprs: 0
; NumVgprs: 0
; ScratchSize: 0
; MemoryBound: 0
; FloatMode: 240
; IeeeMode: 1
; LDSByteSize: 0 bytes/workgroup (compile time only)
; SGPRBlocks: 0
; VGPRBlocks: 0
; NumSGPRsForWavesPerEU: 1
; NumVGPRsForWavesPerEU: 1
; Occupancy: 15
; WaveLimiterHint : 0
; COMPUTE_PGM_RSRC2:SCRATCH_EN: 0
; COMPUTE_PGM_RSRC2:USER_SGPR: 15
; COMPUTE_PGM_RSRC2:TRAP_HANDLER: 0
; COMPUTE_PGM_RSRC2:TGID_X_EN: 1
; COMPUTE_PGM_RSRC2:TGID_Y_EN: 0
; COMPUTE_PGM_RSRC2:TGID_Z_EN: 0
; COMPUTE_PGM_RSRC2:TIDIG_COMP_CNT: 0
	.section	.text._ZN7rocprim17ROCPRIM_400000_NS6detail17trampoline_kernelINS0_14default_configENS1_25partition_config_selectorILNS1_17partition_subalgoE8ElNS0_10empty_typeEbEEZZNS1_14partition_implILS5_8ELb0ES3_jPlPS6_PKS6_NS0_5tupleIJS9_S6_EEENSD_IJSA_SA_EEENS0_18inequality_wrapperIZN2at6native12_GLOBAL__N_124unique_dim_cuda_templateIlEESt5tupleIJNSH_6TensorESM_SM_EERKSM_lbbbEUlllE0_EEPmJS6_EEE10hipError_tPvRmT3_T4_T5_T6_T7_T9_mT8_P12ihipStream_tbDpT10_ENKUlT_T0_E_clISt17integral_constantIbLb1EES1C_EEDaS17_S18_EUlS17_E_NS1_11comp_targetILNS1_3genE9ELNS1_11target_archE1100ELNS1_3gpuE3ELNS1_3repE0EEENS1_30default_config_static_selectorELNS0_4arch9wavefront6targetE0EEEvT1_,"axG",@progbits,_ZN7rocprim17ROCPRIM_400000_NS6detail17trampoline_kernelINS0_14default_configENS1_25partition_config_selectorILNS1_17partition_subalgoE8ElNS0_10empty_typeEbEEZZNS1_14partition_implILS5_8ELb0ES3_jPlPS6_PKS6_NS0_5tupleIJS9_S6_EEENSD_IJSA_SA_EEENS0_18inequality_wrapperIZN2at6native12_GLOBAL__N_124unique_dim_cuda_templateIlEESt5tupleIJNSH_6TensorESM_SM_EERKSM_lbbbEUlllE0_EEPmJS6_EEE10hipError_tPvRmT3_T4_T5_T6_T7_T9_mT8_P12ihipStream_tbDpT10_ENKUlT_T0_E_clISt17integral_constantIbLb1EES1C_EEDaS17_S18_EUlS17_E_NS1_11comp_targetILNS1_3genE9ELNS1_11target_archE1100ELNS1_3gpuE3ELNS1_3repE0EEENS1_30default_config_static_selectorELNS0_4arch9wavefront6targetE0EEEvT1_,comdat
	.globl	_ZN7rocprim17ROCPRIM_400000_NS6detail17trampoline_kernelINS0_14default_configENS1_25partition_config_selectorILNS1_17partition_subalgoE8ElNS0_10empty_typeEbEEZZNS1_14partition_implILS5_8ELb0ES3_jPlPS6_PKS6_NS0_5tupleIJS9_S6_EEENSD_IJSA_SA_EEENS0_18inequality_wrapperIZN2at6native12_GLOBAL__N_124unique_dim_cuda_templateIlEESt5tupleIJNSH_6TensorESM_SM_EERKSM_lbbbEUlllE0_EEPmJS6_EEE10hipError_tPvRmT3_T4_T5_T6_T7_T9_mT8_P12ihipStream_tbDpT10_ENKUlT_T0_E_clISt17integral_constantIbLb1EES1C_EEDaS17_S18_EUlS17_E_NS1_11comp_targetILNS1_3genE9ELNS1_11target_archE1100ELNS1_3gpuE3ELNS1_3repE0EEENS1_30default_config_static_selectorELNS0_4arch9wavefront6targetE0EEEvT1_ ; -- Begin function _ZN7rocprim17ROCPRIM_400000_NS6detail17trampoline_kernelINS0_14default_configENS1_25partition_config_selectorILNS1_17partition_subalgoE8ElNS0_10empty_typeEbEEZZNS1_14partition_implILS5_8ELb0ES3_jPlPS6_PKS6_NS0_5tupleIJS9_S6_EEENSD_IJSA_SA_EEENS0_18inequality_wrapperIZN2at6native12_GLOBAL__N_124unique_dim_cuda_templateIlEESt5tupleIJNSH_6TensorESM_SM_EERKSM_lbbbEUlllE0_EEPmJS6_EEE10hipError_tPvRmT3_T4_T5_T6_T7_T9_mT8_P12ihipStream_tbDpT10_ENKUlT_T0_E_clISt17integral_constantIbLb1EES1C_EEDaS17_S18_EUlS17_E_NS1_11comp_targetILNS1_3genE9ELNS1_11target_archE1100ELNS1_3gpuE3ELNS1_3repE0EEENS1_30default_config_static_selectorELNS0_4arch9wavefront6targetE0EEEvT1_
	.p2align	8
	.type	_ZN7rocprim17ROCPRIM_400000_NS6detail17trampoline_kernelINS0_14default_configENS1_25partition_config_selectorILNS1_17partition_subalgoE8ElNS0_10empty_typeEbEEZZNS1_14partition_implILS5_8ELb0ES3_jPlPS6_PKS6_NS0_5tupleIJS9_S6_EEENSD_IJSA_SA_EEENS0_18inequality_wrapperIZN2at6native12_GLOBAL__N_124unique_dim_cuda_templateIlEESt5tupleIJNSH_6TensorESM_SM_EERKSM_lbbbEUlllE0_EEPmJS6_EEE10hipError_tPvRmT3_T4_T5_T6_T7_T9_mT8_P12ihipStream_tbDpT10_ENKUlT_T0_E_clISt17integral_constantIbLb1EES1C_EEDaS17_S18_EUlS17_E_NS1_11comp_targetILNS1_3genE9ELNS1_11target_archE1100ELNS1_3gpuE3ELNS1_3repE0EEENS1_30default_config_static_selectorELNS0_4arch9wavefront6targetE0EEEvT1_,@function
_ZN7rocprim17ROCPRIM_400000_NS6detail17trampoline_kernelINS0_14default_configENS1_25partition_config_selectorILNS1_17partition_subalgoE8ElNS0_10empty_typeEbEEZZNS1_14partition_implILS5_8ELb0ES3_jPlPS6_PKS6_NS0_5tupleIJS9_S6_EEENSD_IJSA_SA_EEENS0_18inequality_wrapperIZN2at6native12_GLOBAL__N_124unique_dim_cuda_templateIlEESt5tupleIJNSH_6TensorESM_SM_EERKSM_lbbbEUlllE0_EEPmJS6_EEE10hipError_tPvRmT3_T4_T5_T6_T7_T9_mT8_P12ihipStream_tbDpT10_ENKUlT_T0_E_clISt17integral_constantIbLb1EES1C_EEDaS17_S18_EUlS17_E_NS1_11comp_targetILNS1_3genE9ELNS1_11target_archE1100ELNS1_3gpuE3ELNS1_3repE0EEENS1_30default_config_static_selectorELNS0_4arch9wavefront6targetE0EEEvT1_: ; @_ZN7rocprim17ROCPRIM_400000_NS6detail17trampoline_kernelINS0_14default_configENS1_25partition_config_selectorILNS1_17partition_subalgoE8ElNS0_10empty_typeEbEEZZNS1_14partition_implILS5_8ELb0ES3_jPlPS6_PKS6_NS0_5tupleIJS9_S6_EEENSD_IJSA_SA_EEENS0_18inequality_wrapperIZN2at6native12_GLOBAL__N_124unique_dim_cuda_templateIlEESt5tupleIJNSH_6TensorESM_SM_EERKSM_lbbbEUlllE0_EEPmJS6_EEE10hipError_tPvRmT3_T4_T5_T6_T7_T9_mT8_P12ihipStream_tbDpT10_ENKUlT_T0_E_clISt17integral_constantIbLb1EES1C_EEDaS17_S18_EUlS17_E_NS1_11comp_targetILNS1_3genE9ELNS1_11target_archE1100ELNS1_3gpuE3ELNS1_3repE0EEENS1_30default_config_static_selectorELNS0_4arch9wavefront6targetE0EEEvT1_
; %bb.0:
	s_clause 0x2
	s_load_b64 s[20:21], s[0:1], 0x28
	s_load_b256 s[8:15], s[0:1], 0x40
	s_load_b128 s[16:19], s[0:1], 0x60
	v_cmp_ne_u32_e64 s3, 0, v0
	v_cmp_eq_u32_e64 s2, 0, v0
	s_delay_alu instid0(VALU_DEP_1)
	s_and_saveexec_b32 s4, s2
	s_cbranch_execz .LBB577_4
; %bb.1:
	s_mov_b32 s6, exec_lo
	s_mov_b32 s5, exec_lo
	v_mbcnt_lo_u32_b32 v1, s6, 0
                                        ; implicit-def: $vgpr2
	s_delay_alu instid0(VALU_DEP_1)
	v_cmpx_eq_u32_e32 0, v1
	s_cbranch_execz .LBB577_3
; %bb.2:
	s_load_b64 s[22:23], s[0:1], 0x78
	s_bcnt1_i32_b32 s6, s6
	s_delay_alu instid0(SALU_CYCLE_1)
	v_dual_mov_b32 v2, 0 :: v_dual_mov_b32 v3, s6
	s_waitcnt lgkmcnt(0)
	global_atomic_add_u32 v2, v2, v3, s[22:23] glc
.LBB577_3:
	s_or_b32 exec_lo, exec_lo, s5
	s_waitcnt vmcnt(0)
	v_readfirstlane_b32 s5, v2
	s_delay_alu instid0(VALU_DEP_1)
	v_dual_mov_b32 v2, 0 :: v_dual_add_nc_u32 v1, s5, v1
	ds_store_b32 v2, v1
.LBB577_4:
	s_or_b32 exec_lo, exec_lo, s4
	v_dual_mov_b32 v2, 0 :: v_dual_lshlrev_b32 v39, 3, v0
	s_clause 0x1
	s_load_b128 s[4:7], s[0:1], 0x8
	s_load_b32 s0, s[0:1], 0x70
	s_waitcnt lgkmcnt(0)
	s_barrier
	buffer_gl0_inv
	ds_load_b32 v1, v2
	s_waitcnt lgkmcnt(0)
	s_barrier
	buffer_gl0_inv
	global_load_b64 v[3:4], v2, s[10:11]
	v_lshrrev_b32_e32 v19, 2, v0
	v_or_b32_e32 v26, 0x200, v0
	v_or_b32_e32 v25, 0x400, v0
	;; [unrolled: 1-line block ×7, first 2 shown]
	s_lshl_b64 s[10:11], s[6:7], 3
	s_delay_alu instid0(SALU_CYCLE_1)
	s_add_u32 s10, s4, s10
	s_addc_u32 s11, s5, s11
	s_add_i32 s1, s0, -1
	v_readfirstlane_b32 s23, v1
	s_lshl_b32 s4, s1, 12
	v_lshlrev_b32_e32 v1, 12, v1
	s_lshl_b32 s5, s0, 12
	s_add_i32 s0, s6, s4
	s_add_u32 s4, s6, s5
	s_addc_u32 s5, s7, 0
	v_lshlrev_b64 v[1:2], 3, v[1:2]
	v_cmp_ge_u64_e64 s4, s[4:5], s[12:13]
	s_cmp_eq_u32 s23, s1
	s_cselect_b32 s13, -1, 0
	s_delay_alu instid0(VALU_DEP_2) | instskip(NEXT) | instid1(VALU_DEP_2)
	v_add_co_u32 v17, vcc_lo, s10, v1
	s_and_b32 s1, s4, s13
	v_add_co_ci_u32_e32 v18, vcc_lo, s11, v2, vcc_lo
	s_xor_b32 s22, s1, -1
	s_mov_b32 s4, -1
	s_and_b32 vcc_lo, exec_lo, s22
	s_waitcnt vmcnt(0)
	v_readfirstlane_b32 s10, v3
	v_readfirstlane_b32 s11, v4
	s_cbranch_vccz .LBB577_6
; %bb.5:
	v_add_co_u32 v9, vcc_lo, v17, v39
	v_add_co_ci_u32_e32 v10, vcc_lo, 0, v18, vcc_lo
	v_readfirstlane_b32 s4, v17
	s_delay_alu instid0(VALU_DEP_3) | instskip(NEXT) | instid1(VALU_DEP_3)
	v_add_co_u32 v3, vcc_lo, v9, 0x2000
	v_add_co_ci_u32_e32 v4, vcc_lo, 0, v10, vcc_lo
	v_add_co_u32 v5, vcc_lo, v9, 0x4000
	v_add_co_ci_u32_e32 v6, vcc_lo, 0, v10, vcc_lo
	v_add_co_u32 v7, vcc_lo, v9, 0x6000
	v_readfirstlane_b32 s5, v18
	v_add_co_ci_u32_e32 v8, vcc_lo, 0, v10, vcc_lo
	v_add_co_u32 v9, vcc_lo, 0x7000, v9
	v_add_co_ci_u32_e32 v10, vcc_lo, 0, v10, vcc_lo
	s_clause 0x7
	global_load_b64 v[1:2], v39, s[4:5]
	global_load_b64 v[11:12], v[3:4], off offset:-4096
	global_load_b64 v[3:4], v[3:4], off
	global_load_b64 v[13:14], v[5:6], off offset:-4096
	global_load_b64 v[5:6], v[5:6], off
	;; [unrolled: 2-line block ×3, first 2 shown]
	global_load_b64 v[9:10], v[9:10], off
	v_lshrrev_b32_e32 v28, 2, v26
	v_lshrrev_b32_e32 v29, 2, v25
	;; [unrolled: 1-line block ×4, first 2 shown]
	v_and_b32_e32 v27, 0x78, v19
	v_lshrrev_b32_e32 v32, 2, v22
	v_lshrrev_b32_e32 v33, 2, v21
	;; [unrolled: 1-line block ×3, first 2 shown]
	v_and_b32_e32 v28, 0xf8, v28
	v_and_b32_e32 v29, 0x178, v29
	;; [unrolled: 1-line block ×4, first 2 shown]
	v_add_nc_u32_e32 v27, v27, v39
	v_and_b32_e32 v32, 0x2f8, v32
	v_and_b32_e32 v33, 0x378, v33
	;; [unrolled: 1-line block ×3, first 2 shown]
	v_add_nc_u32_e32 v28, v28, v39
	v_add_nc_u32_e32 v29, v29, v39
	;; [unrolled: 1-line block ×4, first 2 shown]
	s_mov_b32 s4, 0
	v_add_nc_u32_e32 v32, v32, v39
	v_add_nc_u32_e32 v33, v33, v39
	;; [unrolled: 1-line block ×3, first 2 shown]
	s_waitcnt vmcnt(7)
	ds_store_b64 v27, v[1:2]
	s_waitcnt vmcnt(6)
	ds_store_b64 v28, v[11:12] offset:4096
	s_waitcnt vmcnt(5)
	ds_store_b64 v29, v[3:4] offset:8192
	;; [unrolled: 2-line block ×7, first 2 shown]
	s_waitcnt lgkmcnt(0)
	s_barrier
.LBB577_6:
	s_and_not1_b32 vcc_lo, exec_lo, s4
	s_sub_i32 s12, s12, s0
	s_cbranch_vccnz .LBB577_17
; %bb.7:
	s_mov_b32 s0, exec_lo
                                        ; implicit-def: $vgpr1_vgpr2_vgpr3_vgpr4_vgpr5_vgpr6_vgpr7_vgpr8_vgpr9_vgpr10_vgpr11_vgpr12_vgpr13_vgpr14_vgpr15_vgpr16
	v_cmpx_gt_u32_e64 s12, v0
	s_cbranch_execnz .LBB577_27
; %bb.8:
	s_or_b32 exec_lo, exec_lo, s0
	s_delay_alu instid0(SALU_CYCLE_1)
	s_mov_b32 s0, exec_lo
	v_cmpx_gt_u32_e64 s12, v26
	s_cbranch_execnz .LBB577_28
.LBB577_9:
	s_or_b32 exec_lo, exec_lo, s0
	s_delay_alu instid0(SALU_CYCLE_1)
	s_mov_b32 s0, exec_lo
	v_cmpx_gt_u32_e64 s12, v25
	s_cbranch_execnz .LBB577_29
.LBB577_10:
	s_or_b32 exec_lo, exec_lo, s0
	s_delay_alu instid0(SALU_CYCLE_1)
	s_mov_b32 s0, exec_lo
	v_cmpx_gt_u32_e64 s12, v24
	s_cbranch_execnz .LBB577_30
.LBB577_11:
	s_or_b32 exec_lo, exec_lo, s0
	s_delay_alu instid0(SALU_CYCLE_1)
	s_mov_b32 s0, exec_lo
	v_cmpx_gt_u32_e64 s12, v23
	s_cbranch_execnz .LBB577_31
.LBB577_12:
	s_or_b32 exec_lo, exec_lo, s0
	s_delay_alu instid0(SALU_CYCLE_1)
	s_mov_b32 s0, exec_lo
	v_cmpx_gt_u32_e64 s12, v22
	s_cbranch_execnz .LBB577_32
.LBB577_13:
	s_or_b32 exec_lo, exec_lo, s0
	s_delay_alu instid0(SALU_CYCLE_1)
	s_mov_b32 s0, exec_lo
	v_cmpx_gt_u32_e64 s12, v21
	s_cbranch_execnz .LBB577_33
.LBB577_14:
	s_or_b32 exec_lo, exec_lo, s0
	s_delay_alu instid0(SALU_CYCLE_1)
	s_mov_b32 s0, exec_lo
	v_cmpx_gt_u32_e64 s12, v20
	s_cbranch_execz .LBB577_16
.LBB577_15:
	v_lshlrev_b32_e32 v15, 3, v20
	v_readfirstlane_b32 s4, v17
	v_readfirstlane_b32 s5, v18
	global_load_b64 v[15:16], v15, s[4:5]
.LBB577_16:
	s_or_b32 exec_lo, exec_lo, s0
	v_lshrrev_b32_e32 v26, 2, v26
	v_lshrrev_b32_e32 v25, 2, v25
	;; [unrolled: 1-line block ×4, first 2 shown]
	v_and_b32_e32 v27, 0x78, v19
	v_lshrrev_b32_e32 v22, 2, v22
	v_lshrrev_b32_e32 v21, 2, v21
	;; [unrolled: 1-line block ×3, first 2 shown]
	v_and_b32_e32 v26, 0xf8, v26
	v_and_b32_e32 v25, 0x1f8, v25
	;; [unrolled: 1-line block ×4, first 2 shown]
	v_add_nc_u32_e32 v27, v27, v39
	v_and_b32_e32 v22, 0x3f8, v22
	v_and_b32_e32 v21, 0x3f8, v21
	;; [unrolled: 1-line block ×3, first 2 shown]
	v_add_nc_u32_e32 v26, v26, v39
	v_add_nc_u32_e32 v25, v25, v39
	;; [unrolled: 1-line block ×7, first 2 shown]
	s_waitcnt vmcnt(0)
	ds_store_b64 v27, v[1:2]
	ds_store_b64 v26, v[3:4] offset:4096
	ds_store_b64 v25, v[5:6] offset:8192
	;; [unrolled: 1-line block ×7, first 2 shown]
	s_waitcnt lgkmcnt(0)
	s_barrier
.LBB577_17:
	v_add_lshl_u32 v1, v19, v39, 3
	buffer_gl0_inv
	s_cmp_lg_u32 s23, 0
	v_cmp_gt_i64_e64 s26, s[14:15], 0
	s_cselect_b32 s24, -1, 0
	ds_load_2addr_b64 v[13:16], v1 offset1:1
	ds_load_2addr_b64 v[9:12], v1 offset0:2 offset1:3
	ds_load_2addr_b64 v[5:8], v1 offset0:4 offset1:5
	;; [unrolled: 1-line block ×3, first 2 shown]
	s_cmp_lg_u64 s[6:7], 0
	s_mov_b32 s25, 0
	s_cselect_b32 s0, -1, 0
	s_waitcnt lgkmcnt(0)
	s_or_b32 s0, s0, s24
	s_barrier
	s_and_b32 vcc_lo, exec_lo, s0
	buffer_gl0_inv
	s_cbranch_vccz .LBB577_26
; %bb.18:
	global_load_b64 v[17:18], v[17:18], off offset:-8
	v_cndmask_b32_e64 v27, 0, 1, s26
	s_and_b32 vcc_lo, exec_lo, s22
	ds_store_b64 v39, v[3:4]
	v_cmp_ne_u32_e64 s0, 1, v27
	s_cbranch_vccz .LBB577_34
; %bb.19:
	v_mul_lo_u32 v21, v2, s14
	v_mul_lo_u32 v22, v1, s15
	v_mad_u64_u32 v[19:20], null, v1, s14, 0
	s_and_b32 vcc_lo, exec_lo, s0
	s_mov_b32 s27, 0
	s_delay_alu instid0(VALU_DEP_1) | instskip(NEXT) | instid1(VALU_DEP_1)
	v_add3_u32 v20, v20, v22, v21
	v_lshlrev_b64 v[19:20], 3, v[19:20]
	s_cbranch_vccnz .LBB577_37
; %bb.20:
	v_mul_lo_u32 v23, v4, s14
	v_mul_lo_u32 v24, v3, s15
	v_mad_u64_u32 v[21:22], null, v3, s14, 0
	s_mov_b32 s27, -1
	s_mov_b32 s28, exec_lo
	s_delay_alu instid0(VALU_DEP_1) | instskip(SKIP_2) | instid1(VALU_DEP_3)
	v_add3_u32 v22, v22, v24, v23
	v_add_co_u32 v23, vcc_lo, s16, v19
	v_add_co_ci_u32_e32 v24, vcc_lo, s17, v20, vcc_lo
	v_lshlrev_b64 v[21:22], 3, v[21:22]
	s_delay_alu instid0(VALU_DEP_1) | instskip(NEXT) | instid1(VALU_DEP_2)
	v_add_co_u32 v21, vcc_lo, s16, v21
	v_add_co_ci_u32_e32 v22, vcc_lo, s17, v22, vcc_lo
	s_clause 0x1
	global_load_b64 v[25:26], v[23:24], off
	global_load_b64 v[28:29], v[21:22], off
	s_waitcnt vmcnt(0)
	v_cmpx_eq_u64_e64 v[25:26], v[28:29]
	s_cbranch_execz .LBB577_36
; %bb.21:
	v_add_co_u32 v21, vcc_lo, v21, 8
	v_add_co_ci_u32_e32 v22, vcc_lo, 0, v22, vcc_lo
	v_add_co_u32 v23, vcc_lo, v23, 8
	v_add_co_ci_u32_e32 v24, vcc_lo, 0, v24, vcc_lo
	s_add_u32 s4, s14, -1
	s_addc_u32 s5, s15, -1
	s_mov_b64 s[6:7], 0
	s_mov_b32 s27, 0
                                        ; implicit-def: $sgpr29
	s_set_inst_prefetch_distance 0x1
	s_branch .LBB577_24
	.p2align	6
.LBB577_22:                             ;   in Loop: Header=BB577_24 Depth=1
	global_load_b64 v[25:26], v[23:24], off
	global_load_b64 v[28:29], v[21:22], off
	v_add_co_u32 v21, vcc_lo, v21, 8
	v_add_co_ci_u32_e32 v22, vcc_lo, 0, v22, vcc_lo
	v_add_co_u32 v23, s0, v23, 8
	s_delay_alu instid0(VALU_DEP_1)
	v_add_co_ci_u32_e64 v24, s0, 0, v24, s0
	s_add_u32 s6, s6, 1
	s_addc_u32 s7, s7, 0
	s_and_not1_b32 s0, s29, exec_lo
	s_waitcnt vmcnt(0)
	v_cmp_ne_u64_e32 vcc_lo, v[25:26], v[28:29]
	s_and_b32 s29, vcc_lo, exec_lo
	s_delay_alu instid0(SALU_CYCLE_1)
	s_or_b32 s29, s0, s29
.LBB577_23:                             ;   in Loop: Header=BB577_24 Depth=1
	v_dual_mov_b32 v26, s7 :: v_dual_mov_b32 v25, s6
	s_and_b32 s0, exec_lo, s29
	s_delay_alu instid0(SALU_CYCLE_1) | instskip(NEXT) | instid1(SALU_CYCLE_1)
	s_or_b32 s27, s0, s27
	s_and_not1_b32 exec_lo, exec_lo, s27
	s_cbranch_execz .LBB577_35
.LBB577_24:                             ; =>This Inner Loop Header: Depth=1
	s_or_b32 s29, s29, exec_lo
	s_cmp_eq_u64 s[4:5], s[6:7]
	s_cbranch_scc0 .LBB577_22
; %bb.25:                               ;   in Loop: Header=BB577_24 Depth=1
	s_mov_b64 s[6:7], s[14:15]
                                        ; implicit-def: $vgpr21_vgpr22
                                        ; implicit-def: $vgpr23_vgpr24
	s_branch .LBB577_23
.LBB577_26:
                                        ; implicit-def: $sgpr0
                                        ; implicit-def: $vgpr20
	s_branch .LBB577_195
.LBB577_27:
	v_readfirstlane_b32 s4, v17
	v_readfirstlane_b32 s5, v18
	global_load_b64 v[1:2], v39, s[4:5]
	s_or_b32 exec_lo, exec_lo, s0
	s_delay_alu instid0(SALU_CYCLE_1)
	s_mov_b32 s0, exec_lo
	v_cmpx_gt_u32_e64 s12, v26
	s_cbranch_execz .LBB577_9
.LBB577_28:
	v_lshlrev_b32_e32 v3, 3, v26
	v_readfirstlane_b32 s4, v17
	v_readfirstlane_b32 s5, v18
	global_load_b64 v[3:4], v3, s[4:5]
	s_or_b32 exec_lo, exec_lo, s0
	s_delay_alu instid0(SALU_CYCLE_1)
	s_mov_b32 s0, exec_lo
	v_cmpx_gt_u32_e64 s12, v25
	s_cbranch_execz .LBB577_10
.LBB577_29:
	v_lshlrev_b32_e32 v5, 3, v25
	v_readfirstlane_b32 s4, v17
	v_readfirstlane_b32 s5, v18
	global_load_b64 v[5:6], v5, s[4:5]
	s_or_b32 exec_lo, exec_lo, s0
	s_delay_alu instid0(SALU_CYCLE_1)
	s_mov_b32 s0, exec_lo
	v_cmpx_gt_u32_e64 s12, v24
	s_cbranch_execz .LBB577_11
.LBB577_30:
	v_lshlrev_b32_e32 v7, 3, v24
	v_readfirstlane_b32 s4, v17
	v_readfirstlane_b32 s5, v18
	global_load_b64 v[7:8], v7, s[4:5]
	s_or_b32 exec_lo, exec_lo, s0
	s_delay_alu instid0(SALU_CYCLE_1)
	s_mov_b32 s0, exec_lo
	v_cmpx_gt_u32_e64 s12, v23
	s_cbranch_execz .LBB577_12
.LBB577_31:
	v_lshlrev_b32_e32 v9, 3, v23
	v_readfirstlane_b32 s4, v17
	v_readfirstlane_b32 s5, v18
	global_load_b64 v[9:10], v9, s[4:5]
	s_or_b32 exec_lo, exec_lo, s0
	s_delay_alu instid0(SALU_CYCLE_1)
	s_mov_b32 s0, exec_lo
	v_cmpx_gt_u32_e64 s12, v22
	s_cbranch_execz .LBB577_13
.LBB577_32:
	v_lshlrev_b32_e32 v11, 3, v22
	v_readfirstlane_b32 s4, v17
	v_readfirstlane_b32 s5, v18
	global_load_b64 v[11:12], v11, s[4:5]
	s_or_b32 exec_lo, exec_lo, s0
	s_delay_alu instid0(SALU_CYCLE_1)
	s_mov_b32 s0, exec_lo
	v_cmpx_gt_u32_e64 s12, v21
	s_cbranch_execz .LBB577_14
.LBB577_33:
	v_lshlrev_b32_e32 v13, 3, v21
	v_readfirstlane_b32 s4, v17
	v_readfirstlane_b32 s5, v18
	global_load_b64 v[13:14], v13, s[4:5]
	s_or_b32 exec_lo, exec_lo, s0
	s_delay_alu instid0(SALU_CYCLE_1)
	s_mov_b32 s0, exec_lo
	v_cmpx_gt_u32_e64 s12, v20
	s_cbranch_execnz .LBB577_15
	s_branch .LBB577_16
.LBB577_34:
                                        ; implicit-def: $sgpr0
                                        ; implicit-def: $vgpr20
	s_cbranch_execnz .LBB577_103
	s_branch .LBB577_194
.LBB577_35:
	s_set_inst_prefetch_distance 0x2
	s_or_b32 exec_lo, exec_lo, s27
	v_cmp_gt_i64_e32 vcc_lo, s[14:15], v[25:26]
	s_or_not1_b32 s27, vcc_lo, exec_lo
.LBB577_36:
	s_or_b32 exec_lo, exec_lo, s28
.LBB577_37:
	v_mul_lo_u32 v23, v8, s14
	v_mul_lo_u32 v24, v7, s15
	v_mad_u64_u32 v[21:22], null, v7, s14, 0
	s_and_not1_b32 vcc_lo, exec_lo, s26
	s_delay_alu instid0(VALU_DEP_1) | instskip(NEXT) | instid1(VALU_DEP_1)
	v_add3_u32 v22, v22, v24, v23
	v_lshlrev_b64 v[21:22], 3, v[21:22]
	s_cbranch_vccnz .LBB577_46
; %bb.38:
	s_delay_alu instid0(VALU_DEP_1) | instskip(NEXT) | instid1(VALU_DEP_2)
	v_add_co_u32 v23, vcc_lo, s16, v21
	v_add_co_ci_u32_e32 v24, vcc_lo, s17, v22, vcc_lo
	v_add_co_u32 v19, vcc_lo, s16, v19
	v_add_co_ci_u32_e32 v20, vcc_lo, s17, v20, vcc_lo
	s_mov_b32 s25, -1
	s_clause 0x1
	global_load_b64 v[25:26], v[23:24], off
	global_load_b64 v[28:29], v[19:20], off
	s_mov_b32 s28, exec_lo
	s_waitcnt vmcnt(0)
	v_cmpx_eq_u64_e64 v[25:26], v[28:29]
	s_cbranch_execz .LBB577_45
; %bb.39:
	v_add_co_u32 v19, vcc_lo, v19, 8
	v_add_co_ci_u32_e32 v20, vcc_lo, 0, v20, vcc_lo
	v_add_co_u32 v23, vcc_lo, v23, 8
	v_add_co_ci_u32_e32 v24, vcc_lo, 0, v24, vcc_lo
	s_add_u32 s4, s14, -1
	s_addc_u32 s5, s15, -1
	s_mov_b64 s[6:7], 0
	s_mov_b32 s25, 0
                                        ; implicit-def: $sgpr29
	s_set_inst_prefetch_distance 0x1
	s_branch .LBB577_42
	.p2align	6
.LBB577_40:                             ;   in Loop: Header=BB577_42 Depth=1
	global_load_b64 v[25:26], v[23:24], off
	global_load_b64 v[28:29], v[19:20], off
	v_add_co_u32 v19, vcc_lo, v19, 8
	v_add_co_ci_u32_e32 v20, vcc_lo, 0, v20, vcc_lo
	v_add_co_u32 v23, s0, v23, 8
	s_delay_alu instid0(VALU_DEP_1)
	v_add_co_ci_u32_e64 v24, s0, 0, v24, s0
	s_add_u32 s6, s6, 1
	s_addc_u32 s7, s7, 0
	s_and_not1_b32 s0, s29, exec_lo
	s_waitcnt vmcnt(0)
	v_cmp_ne_u64_e32 vcc_lo, v[25:26], v[28:29]
	s_and_b32 s29, vcc_lo, exec_lo
	s_delay_alu instid0(SALU_CYCLE_1)
	s_or_b32 s29, s0, s29
.LBB577_41:                             ;   in Loop: Header=BB577_42 Depth=1
	v_dual_mov_b32 v26, s7 :: v_dual_mov_b32 v25, s6
	s_and_b32 s0, exec_lo, s29
	s_delay_alu instid0(SALU_CYCLE_1) | instskip(NEXT) | instid1(SALU_CYCLE_1)
	s_or_b32 s25, s0, s25
	s_and_not1_b32 exec_lo, exec_lo, s25
	s_cbranch_execz .LBB577_44
.LBB577_42:                             ; =>This Inner Loop Header: Depth=1
	s_or_b32 s29, s29, exec_lo
	s_cmp_eq_u64 s[4:5], s[6:7]
	s_cbranch_scc0 .LBB577_40
; %bb.43:                               ;   in Loop: Header=BB577_42 Depth=1
	s_mov_b64 s[6:7], s[14:15]
                                        ; implicit-def: $vgpr19_vgpr20
                                        ; implicit-def: $vgpr23_vgpr24
	s_branch .LBB577_41
.LBB577_44:
	s_set_inst_prefetch_distance 0x2
	s_or_b32 exec_lo, exec_lo, s25
	v_cmp_gt_i64_e32 vcc_lo, s[14:15], v[25:26]
	s_or_not1_b32 s25, vcc_lo, exec_lo
.LBB577_45:
	s_or_b32 exec_lo, exec_lo, s28
.LBB577_46:
	v_mul_lo_u32 v23, v6, s14
	v_mul_lo_u32 v24, v5, s15
	v_mad_u64_u32 v[19:20], null, v5, s14, 0
	s_mov_b32 s28, 0
	s_and_not1_b32 vcc_lo, exec_lo, s26
	s_mov_b32 s29, 0
	s_delay_alu instid0(VALU_DEP_1) | instskip(NEXT) | instid1(VALU_DEP_1)
	v_add3_u32 v20, v20, v24, v23
	v_lshlrev_b64 v[23:24], 3, v[19:20]
	s_cbranch_vccnz .LBB577_55
; %bb.47:
	s_delay_alu instid0(VALU_DEP_1) | instskip(NEXT) | instid1(VALU_DEP_2)
	v_add_co_u32 v25, vcc_lo, s16, v23
	v_add_co_ci_u32_e32 v26, vcc_lo, s17, v24, vcc_lo
	v_add_co_u32 v19, vcc_lo, s16, v21
	v_add_co_ci_u32_e32 v20, vcc_lo, s17, v22, vcc_lo
	s_mov_b32 s29, -1
	s_clause 0x1
	global_load_b64 v[21:22], v[25:26], off
	global_load_b64 v[28:29], v[19:20], off
	s_mov_b32 s30, exec_lo
	s_waitcnt vmcnt(0)
	v_cmpx_eq_u64_e64 v[21:22], v[28:29]
	s_cbranch_execz .LBB577_54
; %bb.48:
	v_add_co_u32 v19, vcc_lo, v19, 8
	v_add_co_ci_u32_e32 v20, vcc_lo, 0, v20, vcc_lo
	v_add_co_u32 v21, vcc_lo, v25, 8
	v_add_co_ci_u32_e32 v22, vcc_lo, 0, v26, vcc_lo
	s_add_u32 s4, s14, -1
	s_addc_u32 s5, s15, -1
	s_mov_b64 s[6:7], 0
	s_mov_b32 s29, 0
                                        ; implicit-def: $sgpr31
	s_set_inst_prefetch_distance 0x1
	s_branch .LBB577_51
	.p2align	6
.LBB577_49:                             ;   in Loop: Header=BB577_51 Depth=1
	global_load_b64 v[25:26], v[21:22], off
	global_load_b64 v[28:29], v[19:20], off
	v_add_co_u32 v19, vcc_lo, v19, 8
	v_add_co_ci_u32_e32 v20, vcc_lo, 0, v20, vcc_lo
	v_add_co_u32 v21, s0, v21, 8
	s_delay_alu instid0(VALU_DEP_1)
	v_add_co_ci_u32_e64 v22, s0, 0, v22, s0
	s_add_u32 s6, s6, 1
	s_addc_u32 s7, s7, 0
	s_and_not1_b32 s0, s31, exec_lo
	s_waitcnt vmcnt(0)
	v_cmp_ne_u64_e32 vcc_lo, v[25:26], v[28:29]
	s_and_b32 s31, vcc_lo, exec_lo
	s_delay_alu instid0(SALU_CYCLE_1)
	s_or_b32 s31, s0, s31
.LBB577_50:                             ;   in Loop: Header=BB577_51 Depth=1
	v_dual_mov_b32 v26, s7 :: v_dual_mov_b32 v25, s6
	s_and_b32 s0, exec_lo, s31
	s_delay_alu instid0(SALU_CYCLE_1) | instskip(NEXT) | instid1(SALU_CYCLE_1)
	s_or_b32 s29, s0, s29
	s_and_not1_b32 exec_lo, exec_lo, s29
	s_cbranch_execz .LBB577_53
.LBB577_51:                             ; =>This Inner Loop Header: Depth=1
	s_or_b32 s31, s31, exec_lo
	s_cmp_eq_u64 s[4:5], s[6:7]
	s_cbranch_scc0 .LBB577_49
; %bb.52:                               ;   in Loop: Header=BB577_51 Depth=1
	s_mov_b64 s[6:7], s[14:15]
                                        ; implicit-def: $vgpr19_vgpr20
                                        ; implicit-def: $vgpr21_vgpr22
	s_branch .LBB577_50
.LBB577_53:
	s_set_inst_prefetch_distance 0x2
	s_or_b32 exec_lo, exec_lo, s29
	v_cmp_gt_i64_e32 vcc_lo, s[14:15], v[25:26]
	s_or_not1_b32 s29, vcc_lo, exec_lo
.LBB577_54:
	s_or_b32 exec_lo, exec_lo, s30
.LBB577_55:
	v_mul_lo_u32 v21, v12, s14
	v_mul_lo_u32 v22, v11, s15
	v_mad_u64_u32 v[19:20], null, v11, s14, 0
	s_and_not1_b32 vcc_lo, exec_lo, s26
	s_delay_alu instid0(VALU_DEP_1) | instskip(NEXT) | instid1(VALU_DEP_1)
	v_add3_u32 v20, v20, v22, v21
	v_lshlrev_b64 v[19:20], 3, v[19:20]
	s_cbranch_vccnz .LBB577_64
; %bb.56:
	s_delay_alu instid0(VALU_DEP_1) | instskip(NEXT) | instid1(VALU_DEP_2)
	v_add_co_u32 v25, vcc_lo, s16, v19
	v_add_co_ci_u32_e32 v26, vcc_lo, s17, v20, vcc_lo
	v_add_co_u32 v21, vcc_lo, s16, v23
	v_add_co_ci_u32_e32 v22, vcc_lo, s17, v24, vcc_lo
	s_mov_b32 s28, -1
	s_clause 0x1
	global_load_b64 v[23:24], v[25:26], off
	global_load_b64 v[28:29], v[21:22], off
	s_mov_b32 s30, exec_lo
	s_waitcnt vmcnt(0)
	v_cmpx_eq_u64_e64 v[23:24], v[28:29]
	s_cbranch_execz .LBB577_63
; %bb.57:
	v_add_co_u32 v21, vcc_lo, v21, 8
	v_add_co_ci_u32_e32 v22, vcc_lo, 0, v22, vcc_lo
	v_add_co_u32 v23, vcc_lo, v25, 8
	v_add_co_ci_u32_e32 v24, vcc_lo, 0, v26, vcc_lo
	s_add_u32 s4, s14, -1
	s_addc_u32 s5, s15, -1
	s_mov_b64 s[6:7], 0
	s_mov_b32 s28, 0
                                        ; implicit-def: $sgpr31
	s_set_inst_prefetch_distance 0x1
	s_branch .LBB577_60
	.p2align	6
.LBB577_58:                             ;   in Loop: Header=BB577_60 Depth=1
	global_load_b64 v[25:26], v[23:24], off
	global_load_b64 v[28:29], v[21:22], off
	v_add_co_u32 v21, vcc_lo, v21, 8
	v_add_co_ci_u32_e32 v22, vcc_lo, 0, v22, vcc_lo
	v_add_co_u32 v23, s0, v23, 8
	s_delay_alu instid0(VALU_DEP_1)
	v_add_co_ci_u32_e64 v24, s0, 0, v24, s0
	s_add_u32 s6, s6, 1
	s_addc_u32 s7, s7, 0
	s_and_not1_b32 s0, s31, exec_lo
	s_waitcnt vmcnt(0)
	v_cmp_ne_u64_e32 vcc_lo, v[25:26], v[28:29]
	s_and_b32 s31, vcc_lo, exec_lo
	s_delay_alu instid0(SALU_CYCLE_1)
	s_or_b32 s31, s0, s31
.LBB577_59:                             ;   in Loop: Header=BB577_60 Depth=1
	v_dual_mov_b32 v26, s7 :: v_dual_mov_b32 v25, s6
	s_and_b32 s0, exec_lo, s31
	s_delay_alu instid0(SALU_CYCLE_1) | instskip(NEXT) | instid1(SALU_CYCLE_1)
	s_or_b32 s28, s0, s28
	s_and_not1_b32 exec_lo, exec_lo, s28
	s_cbranch_execz .LBB577_62
.LBB577_60:                             ; =>This Inner Loop Header: Depth=1
	s_or_b32 s31, s31, exec_lo
	s_cmp_eq_u64 s[4:5], s[6:7]
	s_cbranch_scc0 .LBB577_58
; %bb.61:                               ;   in Loop: Header=BB577_60 Depth=1
	s_mov_b64 s[6:7], s[14:15]
                                        ; implicit-def: $vgpr21_vgpr22
                                        ; implicit-def: $vgpr23_vgpr24
	s_branch .LBB577_59
.LBB577_62:
	s_set_inst_prefetch_distance 0x2
	s_or_b32 exec_lo, exec_lo, s28
	v_cmp_gt_i64_e32 vcc_lo, s[14:15], v[25:26]
	s_or_not1_b32 s28, vcc_lo, exec_lo
.LBB577_63:
	s_or_b32 exec_lo, exec_lo, s30
.LBB577_64:
	v_mul_lo_u32 v23, v10, s14
	v_mul_lo_u32 v24, v9, s15
	v_mad_u64_u32 v[21:22], null, v9, s14, 0
	s_mov_b32 s30, 0
	s_and_not1_b32 vcc_lo, exec_lo, s26
	s_mov_b32 s31, 0
	s_delay_alu instid0(VALU_DEP_1) | instskip(NEXT) | instid1(VALU_DEP_1)
	v_add3_u32 v22, v22, v24, v23
	v_lshlrev_b64 v[23:24], 3, v[21:22]
	s_cbranch_vccnz .LBB577_73
; %bb.65:
	s_delay_alu instid0(VALU_DEP_1) | instskip(NEXT) | instid1(VALU_DEP_2)
	v_add_co_u32 v21, vcc_lo, s16, v23
	v_add_co_ci_u32_e32 v22, vcc_lo, s17, v24, vcc_lo
	v_add_co_u32 v19, vcc_lo, s16, v19
	v_add_co_ci_u32_e32 v20, vcc_lo, s17, v20, vcc_lo
	s_mov_b32 s31, -1
	s_clause 0x1
	global_load_b64 v[25:26], v[21:22], off
	global_load_b64 v[28:29], v[19:20], off
	s_mov_b32 s33, exec_lo
	s_waitcnt vmcnt(0)
	v_cmpx_eq_u64_e64 v[25:26], v[28:29]
	s_cbranch_execz .LBB577_72
; %bb.66:
	v_add_co_u32 v19, vcc_lo, v19, 8
	v_add_co_ci_u32_e32 v20, vcc_lo, 0, v20, vcc_lo
	v_add_co_u32 v21, vcc_lo, v21, 8
	v_add_co_ci_u32_e32 v22, vcc_lo, 0, v22, vcc_lo
	s_add_u32 s4, s14, -1
	s_addc_u32 s5, s15, -1
	s_mov_b64 s[6:7], 0
	s_mov_b32 s31, 0
                                        ; implicit-def: $sgpr34
	s_set_inst_prefetch_distance 0x1
	s_branch .LBB577_69
	.p2align	6
.LBB577_67:                             ;   in Loop: Header=BB577_69 Depth=1
	global_load_b64 v[25:26], v[21:22], off
	global_load_b64 v[28:29], v[19:20], off
	v_add_co_u32 v19, vcc_lo, v19, 8
	v_add_co_ci_u32_e32 v20, vcc_lo, 0, v20, vcc_lo
	v_add_co_u32 v21, s0, v21, 8
	s_delay_alu instid0(VALU_DEP_1)
	v_add_co_ci_u32_e64 v22, s0, 0, v22, s0
	s_add_u32 s6, s6, 1
	s_addc_u32 s7, s7, 0
	s_and_not1_b32 s0, s34, exec_lo
	s_waitcnt vmcnt(0)
	v_cmp_ne_u64_e32 vcc_lo, v[25:26], v[28:29]
	s_and_b32 s34, vcc_lo, exec_lo
	s_delay_alu instid0(SALU_CYCLE_1)
	s_or_b32 s34, s0, s34
.LBB577_68:                             ;   in Loop: Header=BB577_69 Depth=1
	v_dual_mov_b32 v26, s7 :: v_dual_mov_b32 v25, s6
	s_and_b32 s0, exec_lo, s34
	s_delay_alu instid0(SALU_CYCLE_1) | instskip(NEXT) | instid1(SALU_CYCLE_1)
	s_or_b32 s31, s0, s31
	s_and_not1_b32 exec_lo, exec_lo, s31
	s_cbranch_execz .LBB577_71
.LBB577_69:                             ; =>This Inner Loop Header: Depth=1
	s_or_b32 s34, s34, exec_lo
	s_cmp_eq_u64 s[4:5], s[6:7]
	s_cbranch_scc0 .LBB577_67
; %bb.70:                               ;   in Loop: Header=BB577_69 Depth=1
	s_mov_b64 s[6:7], s[14:15]
                                        ; implicit-def: $vgpr19_vgpr20
                                        ; implicit-def: $vgpr21_vgpr22
	s_branch .LBB577_68
.LBB577_71:
	s_set_inst_prefetch_distance 0x2
	s_or_b32 exec_lo, exec_lo, s31
	v_cmp_gt_i64_e32 vcc_lo, s[14:15], v[25:26]
	s_or_not1_b32 s31, vcc_lo, exec_lo
.LBB577_72:
	s_or_b32 exec_lo, exec_lo, s33
.LBB577_73:
	v_mul_lo_u32 v21, v16, s14
	v_mul_lo_u32 v22, v15, s15
	v_mad_u64_u32 v[19:20], null, v15, s14, 0
	s_and_not1_b32 vcc_lo, exec_lo, s26
	s_delay_alu instid0(VALU_DEP_1) | instskip(NEXT) | instid1(VALU_DEP_1)
	v_add3_u32 v20, v20, v22, v21
	v_lshlrev_b64 v[21:22], 3, v[19:20]
	s_cbranch_vccnz .LBB577_82
; %bb.74:
	s_delay_alu instid0(VALU_DEP_1) | instskip(NEXT) | instid1(VALU_DEP_2)
	v_add_co_u32 v25, vcc_lo, s16, v21
	v_add_co_ci_u32_e32 v26, vcc_lo, s17, v22, vcc_lo
	v_add_co_u32 v19, vcc_lo, s16, v23
	v_add_co_ci_u32_e32 v20, vcc_lo, s17, v24, vcc_lo
	s_mov_b32 s30, -1
	s_clause 0x1
	global_load_b64 v[23:24], v[25:26], off
	global_load_b64 v[28:29], v[19:20], off
	s_mov_b32 s33, exec_lo
	s_waitcnt vmcnt(0)
	v_cmpx_eq_u64_e64 v[23:24], v[28:29]
	s_cbranch_execz .LBB577_81
; %bb.75:
	v_add_co_u32 v19, vcc_lo, v19, 8
	v_add_co_ci_u32_e32 v20, vcc_lo, 0, v20, vcc_lo
	v_add_co_u32 v23, vcc_lo, v25, 8
	v_add_co_ci_u32_e32 v24, vcc_lo, 0, v26, vcc_lo
	s_add_u32 s4, s14, -1
	s_addc_u32 s5, s15, -1
	s_mov_b64 s[6:7], 0
	s_mov_b32 s30, 0
                                        ; implicit-def: $sgpr34
	s_set_inst_prefetch_distance 0x1
	s_branch .LBB577_78
	.p2align	6
.LBB577_76:                             ;   in Loop: Header=BB577_78 Depth=1
	global_load_b64 v[25:26], v[23:24], off
	global_load_b64 v[28:29], v[19:20], off
	v_add_co_u32 v19, vcc_lo, v19, 8
	v_add_co_ci_u32_e32 v20, vcc_lo, 0, v20, vcc_lo
	v_add_co_u32 v23, s0, v23, 8
	s_delay_alu instid0(VALU_DEP_1)
	v_add_co_ci_u32_e64 v24, s0, 0, v24, s0
	s_add_u32 s6, s6, 1
	s_addc_u32 s7, s7, 0
	s_and_not1_b32 s0, s34, exec_lo
	s_waitcnt vmcnt(0)
	v_cmp_ne_u64_e32 vcc_lo, v[25:26], v[28:29]
	s_and_b32 s34, vcc_lo, exec_lo
	s_delay_alu instid0(SALU_CYCLE_1)
	s_or_b32 s34, s0, s34
.LBB577_77:                             ;   in Loop: Header=BB577_78 Depth=1
	v_dual_mov_b32 v26, s7 :: v_dual_mov_b32 v25, s6
	s_and_b32 s0, exec_lo, s34
	s_delay_alu instid0(SALU_CYCLE_1) | instskip(NEXT) | instid1(SALU_CYCLE_1)
	s_or_b32 s30, s0, s30
	s_and_not1_b32 exec_lo, exec_lo, s30
	s_cbranch_execz .LBB577_80
.LBB577_78:                             ; =>This Inner Loop Header: Depth=1
	s_or_b32 s34, s34, exec_lo
	s_cmp_eq_u64 s[4:5], s[6:7]
	s_cbranch_scc0 .LBB577_76
; %bb.79:                               ;   in Loop: Header=BB577_78 Depth=1
	s_mov_b64 s[6:7], s[14:15]
                                        ; implicit-def: $vgpr19_vgpr20
                                        ; implicit-def: $vgpr23_vgpr24
	s_branch .LBB577_77
.LBB577_80:
	s_set_inst_prefetch_distance 0x2
	s_or_b32 exec_lo, exec_lo, s30
	v_cmp_gt_i64_e32 vcc_lo, s[14:15], v[25:26]
	s_or_not1_b32 s30, vcc_lo, exec_lo
.LBB577_81:
	s_or_b32 exec_lo, exec_lo, s33
.LBB577_82:
	v_mul_lo_u32 v23, v14, s14
	v_mul_lo_u32 v24, v13, s15
	v_mad_u64_u32 v[19:20], null, v13, s14, 0
	s_and_not1_b32 vcc_lo, exec_lo, s26
	s_mov_b32 s0, 0
	s_delay_alu instid0(VALU_DEP_1) | instskip(NEXT) | instid1(VALU_DEP_1)
	v_add3_u32 v20, v20, v24, v23
	v_lshlrev_b64 v[19:20], 3, v[19:20]
	s_cbranch_vccnz .LBB577_91
; %bb.83:
	s_delay_alu instid0(VALU_DEP_1) | instskip(NEXT) | instid1(VALU_DEP_2)
	v_add_co_u32 v23, vcc_lo, s16, v19
	v_add_co_ci_u32_e32 v24, vcc_lo, s17, v20, vcc_lo
	v_add_co_u32 v21, vcc_lo, s16, v21
	v_add_co_ci_u32_e32 v22, vcc_lo, s17, v22, vcc_lo
	s_mov_b32 s0, -1
	s_clause 0x1
	global_load_b64 v[25:26], v[23:24], off
	global_load_b64 v[28:29], v[21:22], off
	s_mov_b32 s33, exec_lo
	s_waitcnt vmcnt(0)
	v_cmpx_eq_u64_e64 v[25:26], v[28:29]
	s_cbranch_execz .LBB577_90
; %bb.84:
	v_add_co_u32 v21, vcc_lo, v21, 8
	v_add_co_ci_u32_e32 v22, vcc_lo, 0, v22, vcc_lo
	v_add_co_u32 v23, vcc_lo, v23, 8
	v_add_co_ci_u32_e32 v24, vcc_lo, 0, v24, vcc_lo
	s_add_u32 s4, s14, -1
	s_addc_u32 s5, s15, -1
	s_mov_b64 s[6:7], 0
	s_mov_b32 s34, 0
                                        ; implicit-def: $sgpr35
	s_set_inst_prefetch_distance 0x1
	s_branch .LBB577_87
	.p2align	6
.LBB577_85:                             ;   in Loop: Header=BB577_87 Depth=1
	global_load_b64 v[25:26], v[23:24], off
	global_load_b64 v[28:29], v[21:22], off
	v_add_co_u32 v21, vcc_lo, v21, 8
	v_add_co_ci_u32_e32 v22, vcc_lo, 0, v22, vcc_lo
	v_add_co_u32 v23, s0, v23, 8
	s_delay_alu instid0(VALU_DEP_1)
	v_add_co_ci_u32_e64 v24, s0, 0, v24, s0
	s_add_u32 s6, s6, 1
	s_addc_u32 s7, s7, 0
	s_and_not1_b32 s0, s35, exec_lo
	s_waitcnt vmcnt(0)
	v_cmp_ne_u64_e32 vcc_lo, v[25:26], v[28:29]
	s_and_b32 s35, vcc_lo, exec_lo
	s_delay_alu instid0(SALU_CYCLE_1)
	s_or_b32 s35, s0, s35
.LBB577_86:                             ;   in Loop: Header=BB577_87 Depth=1
	v_dual_mov_b32 v26, s7 :: v_dual_mov_b32 v25, s6
	s_and_b32 s0, exec_lo, s35
	s_delay_alu instid0(SALU_CYCLE_1) | instskip(NEXT) | instid1(SALU_CYCLE_1)
	s_or_b32 s34, s0, s34
	s_and_not1_b32 exec_lo, exec_lo, s34
	s_cbranch_execz .LBB577_89
.LBB577_87:                             ; =>This Inner Loop Header: Depth=1
	s_or_b32 s35, s35, exec_lo
	s_cmp_eq_u64 s[4:5], s[6:7]
	s_cbranch_scc0 .LBB577_85
; %bb.88:                               ;   in Loop: Header=BB577_87 Depth=1
	s_mov_b64 s[6:7], s[14:15]
                                        ; implicit-def: $vgpr21_vgpr22
                                        ; implicit-def: $vgpr23_vgpr24
	s_branch .LBB577_86
.LBB577_89:
	s_set_inst_prefetch_distance 0x2
	s_or_b32 exec_lo, exec_lo, s34
	v_cmp_gt_i64_e32 vcc_lo, s[14:15], v[25:26]
	s_or_not1_b32 s0, vcc_lo, exec_lo
.LBB577_90:
	s_or_b32 exec_lo, exec_lo, s33
.LBB577_91:
	s_waitcnt vmcnt(0)
	v_dual_mov_b32 v22, v18 :: v_dual_mov_b32 v21, v17
	s_waitcnt lgkmcnt(0)
	s_barrier
	buffer_gl0_inv
	s_and_saveexec_b32 s4, s3
	s_cbranch_execz .LBB577_93
; %bb.92:
	v_add_nc_u32_e32 v21, -8, v39
	ds_load_b64 v[21:22], v21
.LBB577_93:
	s_or_b32 exec_lo, exec_lo, s4
	v_cndmask_b32_e64 v24, 0, 1, s31
	v_cndmask_b32_e64 v26, 0, 1, s29
	;; [unrolled: 1-line block ×7, first 2 shown]
	v_lshlrev_b16 v24, 8, v24
	v_lshlrev_b16 v26, 8, v26
	;; [unrolled: 1-line block ×4, first 2 shown]
	s_mov_b32 s25, 0
	v_or_b32_e32 v23, v23, v24
	v_or_b32_e32 v24, v25, v26
	;; [unrolled: 1-line block ×3, first 2 shown]
	v_and_b32_e32 v25, 0xffff, v29
	s_and_not1_b32 vcc_lo, exec_lo, s26
	v_lshlrev_b32_e32 v26, 16, v23
	v_and_b32_e32 v28, 0xffff, v24
	v_lshlrev_b32_e32 v29, 16, v30
	s_mov_b32 s0, 0
	s_cbranch_vccnz .LBB577_102
; %bb.94:
	s_waitcnt lgkmcnt(0)
	v_mul_lo_u32 v24, v22, s14
	v_mul_lo_u32 v30, v21, s15
	v_mad_u64_u32 v[22:23], null, v21, s14, 0
	s_mov_b32 s0, -1
	s_mov_b32 s27, exec_lo
	s_delay_alu instid0(VALU_DEP_1) | instskip(NEXT) | instid1(VALU_DEP_1)
	v_add3_u32 v23, v23, v30, v24
	v_lshlrev_b64 v[21:22], 3, v[22:23]
	s_delay_alu instid0(VALU_DEP_1) | instskip(NEXT) | instid1(VALU_DEP_2)
	v_add_co_u32 v21, vcc_lo, s16, v21
	v_add_co_ci_u32_e32 v22, vcc_lo, s17, v22, vcc_lo
	v_add_co_u32 v19, vcc_lo, s16, v19
	v_add_co_ci_u32_e32 v20, vcc_lo, s17, v20, vcc_lo
	s_clause 0x1
	global_load_b64 v[23:24], v[21:22], off
	global_load_b64 v[30:31], v[19:20], off
	s_waitcnt vmcnt(0)
	v_cmpx_eq_u64_e64 v[23:24], v[30:31]
	s_cbranch_execz .LBB577_101
; %bb.95:
	v_add_co_u32 v19, vcc_lo, v19, 8
	v_add_co_ci_u32_e32 v20, vcc_lo, 0, v20, vcc_lo
	v_add_co_u32 v21, vcc_lo, v21, 8
	v_add_co_ci_u32_e32 v22, vcc_lo, 0, v22, vcc_lo
	s_add_u32 s4, s14, -1
	s_addc_u32 s5, s15, -1
	s_mov_b64 s[6:7], 0
	s_mov_b32 s28, 0
                                        ; implicit-def: $sgpr29
	s_set_inst_prefetch_distance 0x1
	s_branch .LBB577_98
	.p2align	6
.LBB577_96:                             ;   in Loop: Header=BB577_98 Depth=1
	global_load_b64 v[23:24], v[21:22], off
	global_load_b64 v[30:31], v[19:20], off
	v_add_co_u32 v19, vcc_lo, v19, 8
	v_add_co_ci_u32_e32 v20, vcc_lo, 0, v20, vcc_lo
	v_add_co_u32 v21, s0, v21, 8
	s_delay_alu instid0(VALU_DEP_1)
	v_add_co_ci_u32_e64 v22, s0, 0, v22, s0
	s_add_u32 s6, s6, 1
	s_addc_u32 s7, s7, 0
	s_and_not1_b32 s0, s29, exec_lo
	s_waitcnt vmcnt(0)
	v_cmp_ne_u64_e32 vcc_lo, v[23:24], v[30:31]
	s_and_b32 s29, vcc_lo, exec_lo
	s_delay_alu instid0(SALU_CYCLE_1)
	s_or_b32 s29, s0, s29
.LBB577_97:                             ;   in Loop: Header=BB577_98 Depth=1
	v_dual_mov_b32 v24, s7 :: v_dual_mov_b32 v23, s6
	s_and_b32 s0, exec_lo, s29
	s_delay_alu instid0(SALU_CYCLE_1) | instskip(NEXT) | instid1(SALU_CYCLE_1)
	s_or_b32 s28, s0, s28
	s_and_not1_b32 exec_lo, exec_lo, s28
	s_cbranch_execz .LBB577_100
.LBB577_98:                             ; =>This Inner Loop Header: Depth=1
	s_or_b32 s29, s29, exec_lo
	s_cmp_eq_u64 s[4:5], s[6:7]
	s_cbranch_scc0 .LBB577_96
; %bb.99:                               ;   in Loop: Header=BB577_98 Depth=1
	s_mov_b64 s[6:7], s[14:15]
                                        ; implicit-def: $vgpr19_vgpr20
                                        ; implicit-def: $vgpr21_vgpr22
	s_branch .LBB577_97
.LBB577_100:
	s_set_inst_prefetch_distance 0x2
	s_or_b32 exec_lo, exec_lo, s28
	v_cmp_gt_i64_e32 vcc_lo, s[14:15], v[23:24]
	s_or_not1_b32 s0, vcc_lo, exec_lo
.LBB577_101:
	s_or_b32 exec_lo, exec_lo, s27
.LBB577_102:
	v_or_b32_e32 v19, v25, v26
	s_delay_alu instid0(VALU_DEP_2)
	v_or_b32_e32 v20, v28, v29
	s_and_b32 vcc_lo, exec_lo, s25
	s_cbranch_vccz .LBB577_194
.LBB577_103:
	v_or_b32_e32 v19, 7, v39
	s_mov_b32 s25, 0
	s_mov_b32 s27, 0
	s_mov_b32 s28, exec_lo
	s_delay_alu instid0(VALU_DEP_1)
	v_cmpx_gt_u32_e64 s12, v19
	s_cbranch_execz .LBB577_114
; %bb.104:
	s_and_not1_b32 vcc_lo, exec_lo, s26
	s_mov_b32 s0, 0
	s_cbranch_vccnz .LBB577_113
; %bb.105:
	v_mul_lo_u32 v23, v2, s14
	v_mul_lo_u32 v24, v1, s15
	v_mad_u64_u32 v[19:20], null, v1, s14, 0
	v_mul_lo_u32 v25, v4, s14
	v_mul_lo_u32 v26, v3, s15
	s_waitcnt lgkmcnt(0)
	v_mad_u64_u32 v[21:22], null, v3, s14, 0
	s_mov_b32 s0, -1
	s_mov_b32 s26, exec_lo
	s_delay_alu instid0(VALU_DEP_4) | instskip(NEXT) | instid1(VALU_DEP_2)
	v_add3_u32 v20, v20, v24, v23
	v_add3_u32 v22, v22, v26, v25
	s_delay_alu instid0(VALU_DEP_2) | instskip(NEXT) | instid1(VALU_DEP_2)
	v_lshlrev_b64 v[19:20], 3, v[19:20]
	v_lshlrev_b64 v[23:24], 3, v[21:22]
	s_delay_alu instid0(VALU_DEP_2) | instskip(NEXT) | instid1(VALU_DEP_3)
	v_add_co_u32 v21, vcc_lo, s16, v19
	v_add_co_ci_u32_e32 v22, vcc_lo, s17, v20, vcc_lo
	s_delay_alu instid0(VALU_DEP_3) | instskip(NEXT) | instid1(VALU_DEP_4)
	v_add_co_u32 v19, vcc_lo, s16, v23
	v_add_co_ci_u32_e32 v20, vcc_lo, s17, v24, vcc_lo
	s_clause 0x1
	global_load_b64 v[23:24], v[21:22], off
	global_load_b64 v[25:26], v[19:20], off
	s_waitcnt vmcnt(0)
	v_cmpx_eq_u64_e64 v[23:24], v[25:26]
	s_cbranch_execz .LBB577_112
; %bb.106:
	v_add_co_u32 v19, vcc_lo, v19, 8
	v_add_co_ci_u32_e32 v20, vcc_lo, 0, v20, vcc_lo
	v_add_co_u32 v21, vcc_lo, v21, 8
	v_add_co_ci_u32_e32 v22, vcc_lo, 0, v22, vcc_lo
	s_add_u32 s4, s14, -1
	s_addc_u32 s5, s15, -1
	s_mov_b64 s[6:7], 0
                                        ; implicit-def: $sgpr29
	s_set_inst_prefetch_distance 0x1
	s_branch .LBB577_109
	.p2align	6
.LBB577_107:                            ;   in Loop: Header=BB577_109 Depth=1
	global_load_b64 v[23:24], v[21:22], off
	global_load_b64 v[25:26], v[19:20], off
	v_add_co_u32 v19, vcc_lo, v19, 8
	v_add_co_ci_u32_e32 v20, vcc_lo, 0, v20, vcc_lo
	v_add_co_u32 v21, s0, v21, 8
	s_delay_alu instid0(VALU_DEP_1)
	v_add_co_ci_u32_e64 v22, s0, 0, v22, s0
	s_add_u32 s6, s6, 1
	s_addc_u32 s7, s7, 0
	s_and_not1_b32 s0, s29, exec_lo
	s_waitcnt vmcnt(0)
	v_cmp_ne_u64_e32 vcc_lo, v[23:24], v[25:26]
	s_and_b32 s29, vcc_lo, exec_lo
	s_delay_alu instid0(SALU_CYCLE_1)
	s_or_b32 s29, s0, s29
.LBB577_108:                            ;   in Loop: Header=BB577_109 Depth=1
	v_dual_mov_b32 v24, s7 :: v_dual_mov_b32 v23, s6
	s_and_b32 s0, exec_lo, s29
	s_delay_alu instid0(SALU_CYCLE_1) | instskip(NEXT) | instid1(SALU_CYCLE_1)
	s_or_b32 s27, s0, s27
	s_and_not1_b32 exec_lo, exec_lo, s27
	s_cbranch_execz .LBB577_111
.LBB577_109:                            ; =>This Inner Loop Header: Depth=1
	s_or_b32 s29, s29, exec_lo
	s_cmp_eq_u64 s[4:5], s[6:7]
	s_cbranch_scc0 .LBB577_107
; %bb.110:                              ;   in Loop: Header=BB577_109 Depth=1
	s_mov_b64 s[6:7], s[14:15]
                                        ; implicit-def: $vgpr19_vgpr20
                                        ; implicit-def: $vgpr21_vgpr22
	s_branch .LBB577_108
.LBB577_111:
	s_set_inst_prefetch_distance 0x2
	s_or_b32 exec_lo, exec_lo, s27
	v_cmp_gt_i64_e32 vcc_lo, s[14:15], v[23:24]
	s_or_not1_b32 s0, vcc_lo, exec_lo
.LBB577_112:
	s_or_b32 exec_lo, exec_lo, s26
.LBB577_113:
	s_delay_alu instid0(SALU_CYCLE_1)
	s_and_b32 s27, s0, exec_lo
.LBB577_114:
	s_or_b32 exec_lo, exec_lo, s28
	v_or_b32_e32 v19, 6, v39
	s_mov_b32 s26, exec_lo
	s_delay_alu instid0(VALU_DEP_1)
	v_cmpx_gt_u32_e64 s12, v19
	s_cbranch_execz .LBB577_125
; %bb.115:
	v_cmp_ne_u32_e32 vcc_lo, 1, v27
	s_mov_b32 s0, 0
	s_cbranch_vccnz .LBB577_124
; %bb.116:
	v_mul_lo_u32 v23, v8, s14
	v_mul_lo_u32 v24, v7, s15
	v_mad_u64_u32 v[19:20], null, v7, s14, 0
	v_mul_lo_u32 v25, v2, s14
	v_mul_lo_u32 v26, v1, s15
	s_waitcnt lgkmcnt(0)
	v_mad_u64_u32 v[21:22], null, v1, s14, 0
	s_mov_b32 s0, -1
	s_mov_b32 s25, exec_lo
	s_delay_alu instid0(VALU_DEP_4) | instskip(NEXT) | instid1(VALU_DEP_2)
	v_add3_u32 v20, v20, v24, v23
	v_add3_u32 v22, v22, v26, v25
	s_delay_alu instid0(VALU_DEP_2) | instskip(NEXT) | instid1(VALU_DEP_2)
	v_lshlrev_b64 v[19:20], 3, v[19:20]
	v_lshlrev_b64 v[23:24], 3, v[21:22]
	s_delay_alu instid0(VALU_DEP_2) | instskip(NEXT) | instid1(VALU_DEP_3)
	v_add_co_u32 v21, vcc_lo, s16, v19
	v_add_co_ci_u32_e32 v22, vcc_lo, s17, v20, vcc_lo
	s_delay_alu instid0(VALU_DEP_3) | instskip(NEXT) | instid1(VALU_DEP_4)
	v_add_co_u32 v19, vcc_lo, s16, v23
	v_add_co_ci_u32_e32 v20, vcc_lo, s17, v24, vcc_lo
	s_clause 0x1
	global_load_b64 v[23:24], v[21:22], off
	global_load_b64 v[25:26], v[19:20], off
	s_waitcnt vmcnt(0)
	v_cmpx_eq_u64_e64 v[23:24], v[25:26]
	s_cbranch_execz .LBB577_123
; %bb.117:
	v_add_co_u32 v19, vcc_lo, v19, 8
	v_add_co_ci_u32_e32 v20, vcc_lo, 0, v20, vcc_lo
	v_add_co_u32 v21, vcc_lo, v21, 8
	v_add_co_ci_u32_e32 v22, vcc_lo, 0, v22, vcc_lo
	s_add_u32 s4, s14, -1
	s_addc_u32 s5, s15, -1
	s_mov_b64 s[6:7], 0
	s_mov_b32 s28, 0
                                        ; implicit-def: $sgpr29
	s_set_inst_prefetch_distance 0x1
	s_branch .LBB577_120
	.p2align	6
.LBB577_118:                            ;   in Loop: Header=BB577_120 Depth=1
	global_load_b64 v[23:24], v[21:22], off
	global_load_b64 v[25:26], v[19:20], off
	v_add_co_u32 v19, vcc_lo, v19, 8
	v_add_co_ci_u32_e32 v20, vcc_lo, 0, v20, vcc_lo
	v_add_co_u32 v21, s0, v21, 8
	s_delay_alu instid0(VALU_DEP_1)
	v_add_co_ci_u32_e64 v22, s0, 0, v22, s0
	s_add_u32 s6, s6, 1
	s_addc_u32 s7, s7, 0
	s_and_not1_b32 s0, s29, exec_lo
	s_waitcnt vmcnt(0)
	v_cmp_ne_u64_e32 vcc_lo, v[23:24], v[25:26]
	s_and_b32 s29, vcc_lo, exec_lo
	s_delay_alu instid0(SALU_CYCLE_1)
	s_or_b32 s29, s0, s29
.LBB577_119:                            ;   in Loop: Header=BB577_120 Depth=1
	v_dual_mov_b32 v24, s7 :: v_dual_mov_b32 v23, s6
	s_and_b32 s0, exec_lo, s29
	s_delay_alu instid0(SALU_CYCLE_1) | instskip(NEXT) | instid1(SALU_CYCLE_1)
	s_or_b32 s28, s0, s28
	s_and_not1_b32 exec_lo, exec_lo, s28
	s_cbranch_execz .LBB577_122
.LBB577_120:                            ; =>This Inner Loop Header: Depth=1
	s_or_b32 s29, s29, exec_lo
	s_cmp_eq_u64 s[4:5], s[6:7]
	s_cbranch_scc0 .LBB577_118
; %bb.121:                              ;   in Loop: Header=BB577_120 Depth=1
	s_mov_b64 s[6:7], s[14:15]
                                        ; implicit-def: $vgpr19_vgpr20
                                        ; implicit-def: $vgpr21_vgpr22
	s_branch .LBB577_119
.LBB577_122:
	s_set_inst_prefetch_distance 0x2
	s_or_b32 exec_lo, exec_lo, s28
	v_cmp_gt_i64_e32 vcc_lo, s[14:15], v[23:24]
	s_or_not1_b32 s0, vcc_lo, exec_lo
.LBB577_123:
	s_or_b32 exec_lo, exec_lo, s25
.LBB577_124:
	s_delay_alu instid0(SALU_CYCLE_1)
	s_and_b32 s25, s0, exec_lo
.LBB577_125:
	s_or_b32 exec_lo, exec_lo, s26
	v_or_b32_e32 v19, 5, v39
	s_mov_b32 s28, 0
	s_mov_b32 s26, 0
	s_mov_b32 s29, exec_lo
	s_delay_alu instid0(VALU_DEP_1)
	v_cmpx_gt_u32_e64 s12, v19
	s_cbranch_execz .LBB577_136
; %bb.126:
	v_cmp_ne_u32_e32 vcc_lo, 1, v27
	s_mov_b32 s0, 0
	s_cbranch_vccnz .LBB577_135
; %bb.127:
	v_mul_lo_u32 v23, v6, s14
	v_mul_lo_u32 v24, v5, s15
	v_mad_u64_u32 v[19:20], null, v5, s14, 0
	v_mul_lo_u32 v25, v8, s14
	v_mul_lo_u32 v26, v7, s15
	s_waitcnt lgkmcnt(0)
	v_mad_u64_u32 v[21:22], null, v7, s14, 0
	s_mov_b32 s0, -1
	s_mov_b32 s26, exec_lo
	s_delay_alu instid0(VALU_DEP_4) | instskip(NEXT) | instid1(VALU_DEP_2)
	v_add3_u32 v20, v20, v24, v23
	v_add3_u32 v22, v22, v26, v25
	s_delay_alu instid0(VALU_DEP_2) | instskip(NEXT) | instid1(VALU_DEP_2)
	v_lshlrev_b64 v[19:20], 3, v[19:20]
	v_lshlrev_b64 v[23:24], 3, v[21:22]
	s_delay_alu instid0(VALU_DEP_2) | instskip(NEXT) | instid1(VALU_DEP_3)
	v_add_co_u32 v21, vcc_lo, s16, v19
	v_add_co_ci_u32_e32 v22, vcc_lo, s17, v20, vcc_lo
	s_delay_alu instid0(VALU_DEP_3) | instskip(NEXT) | instid1(VALU_DEP_4)
	v_add_co_u32 v19, vcc_lo, s16, v23
	v_add_co_ci_u32_e32 v20, vcc_lo, s17, v24, vcc_lo
	s_clause 0x1
	global_load_b64 v[23:24], v[21:22], off
	global_load_b64 v[25:26], v[19:20], off
	s_waitcnt vmcnt(0)
	v_cmpx_eq_u64_e64 v[23:24], v[25:26]
	s_cbranch_execz .LBB577_134
; %bb.128:
	v_add_co_u32 v19, vcc_lo, v19, 8
	v_add_co_ci_u32_e32 v20, vcc_lo, 0, v20, vcc_lo
	v_add_co_u32 v21, vcc_lo, v21, 8
	v_add_co_ci_u32_e32 v22, vcc_lo, 0, v22, vcc_lo
	s_add_u32 s4, s14, -1
	s_addc_u32 s5, s15, -1
	s_mov_b64 s[6:7], 0
	s_mov_b32 s30, 0
                                        ; implicit-def: $sgpr31
	s_set_inst_prefetch_distance 0x1
	s_branch .LBB577_131
	.p2align	6
.LBB577_129:                            ;   in Loop: Header=BB577_131 Depth=1
	global_load_b64 v[23:24], v[21:22], off
	global_load_b64 v[25:26], v[19:20], off
	v_add_co_u32 v19, vcc_lo, v19, 8
	v_add_co_ci_u32_e32 v20, vcc_lo, 0, v20, vcc_lo
	v_add_co_u32 v21, s0, v21, 8
	s_delay_alu instid0(VALU_DEP_1)
	v_add_co_ci_u32_e64 v22, s0, 0, v22, s0
	s_add_u32 s6, s6, 1
	s_addc_u32 s7, s7, 0
	s_and_not1_b32 s0, s31, exec_lo
	s_waitcnt vmcnt(0)
	v_cmp_ne_u64_e32 vcc_lo, v[23:24], v[25:26]
	s_and_b32 s31, vcc_lo, exec_lo
	s_delay_alu instid0(SALU_CYCLE_1)
	s_or_b32 s31, s0, s31
.LBB577_130:                            ;   in Loop: Header=BB577_131 Depth=1
	v_dual_mov_b32 v24, s7 :: v_dual_mov_b32 v23, s6
	s_and_b32 s0, exec_lo, s31
	s_delay_alu instid0(SALU_CYCLE_1) | instskip(NEXT) | instid1(SALU_CYCLE_1)
	s_or_b32 s30, s0, s30
	s_and_not1_b32 exec_lo, exec_lo, s30
	s_cbranch_execz .LBB577_133
.LBB577_131:                            ; =>This Inner Loop Header: Depth=1
	s_or_b32 s31, s31, exec_lo
	s_cmp_eq_u64 s[4:5], s[6:7]
	s_cbranch_scc0 .LBB577_129
; %bb.132:                              ;   in Loop: Header=BB577_131 Depth=1
	s_mov_b64 s[6:7], s[14:15]
                                        ; implicit-def: $vgpr19_vgpr20
                                        ; implicit-def: $vgpr21_vgpr22
	s_branch .LBB577_130
.LBB577_133:
	s_set_inst_prefetch_distance 0x2
	s_or_b32 exec_lo, exec_lo, s30
	v_cmp_gt_i64_e32 vcc_lo, s[14:15], v[23:24]
	s_or_not1_b32 s0, vcc_lo, exec_lo
.LBB577_134:
	s_or_b32 exec_lo, exec_lo, s26
.LBB577_135:
	s_delay_alu instid0(SALU_CYCLE_1)
	s_and_b32 s26, s0, exec_lo
.LBB577_136:
	s_or_b32 exec_lo, exec_lo, s29
	v_or_b32_e32 v19, 4, v39
	s_mov_b32 s29, exec_lo
	s_delay_alu instid0(VALU_DEP_1)
	v_cmpx_gt_u32_e64 s12, v19
	s_cbranch_execz .LBB577_147
; %bb.137:
	v_cmp_ne_u32_e32 vcc_lo, 1, v27
	s_mov_b32 s0, 0
	s_cbranch_vccnz .LBB577_146
; %bb.138:
	v_mul_lo_u32 v23, v12, s14
	v_mul_lo_u32 v24, v11, s15
	v_mad_u64_u32 v[19:20], null, v11, s14, 0
	v_mul_lo_u32 v25, v6, s14
	v_mul_lo_u32 v26, v5, s15
	s_waitcnt lgkmcnt(0)
	v_mad_u64_u32 v[21:22], null, v5, s14, 0
	s_mov_b32 s0, -1
	s_mov_b32 s28, exec_lo
	s_delay_alu instid0(VALU_DEP_4) | instskip(NEXT) | instid1(VALU_DEP_2)
	v_add3_u32 v20, v20, v24, v23
	v_add3_u32 v22, v22, v26, v25
	s_delay_alu instid0(VALU_DEP_2) | instskip(NEXT) | instid1(VALU_DEP_2)
	v_lshlrev_b64 v[19:20], 3, v[19:20]
	v_lshlrev_b64 v[23:24], 3, v[21:22]
	s_delay_alu instid0(VALU_DEP_2) | instskip(NEXT) | instid1(VALU_DEP_3)
	v_add_co_u32 v21, vcc_lo, s16, v19
	v_add_co_ci_u32_e32 v22, vcc_lo, s17, v20, vcc_lo
	s_delay_alu instid0(VALU_DEP_3) | instskip(NEXT) | instid1(VALU_DEP_4)
	v_add_co_u32 v19, vcc_lo, s16, v23
	v_add_co_ci_u32_e32 v20, vcc_lo, s17, v24, vcc_lo
	s_clause 0x1
	global_load_b64 v[23:24], v[21:22], off
	global_load_b64 v[25:26], v[19:20], off
	s_waitcnt vmcnt(0)
	v_cmpx_eq_u64_e64 v[23:24], v[25:26]
	s_cbranch_execz .LBB577_145
; %bb.139:
	v_add_co_u32 v19, vcc_lo, v19, 8
	v_add_co_ci_u32_e32 v20, vcc_lo, 0, v20, vcc_lo
	v_add_co_u32 v21, vcc_lo, v21, 8
	v_add_co_ci_u32_e32 v22, vcc_lo, 0, v22, vcc_lo
	s_add_u32 s4, s14, -1
	s_addc_u32 s5, s15, -1
	s_mov_b64 s[6:7], 0
	s_mov_b32 s30, 0
                                        ; implicit-def: $sgpr31
	s_set_inst_prefetch_distance 0x1
	s_branch .LBB577_142
	.p2align	6
.LBB577_140:                            ;   in Loop: Header=BB577_142 Depth=1
	global_load_b64 v[23:24], v[21:22], off
	global_load_b64 v[25:26], v[19:20], off
	v_add_co_u32 v19, vcc_lo, v19, 8
	v_add_co_ci_u32_e32 v20, vcc_lo, 0, v20, vcc_lo
	v_add_co_u32 v21, s0, v21, 8
	s_delay_alu instid0(VALU_DEP_1)
	v_add_co_ci_u32_e64 v22, s0, 0, v22, s0
	s_add_u32 s6, s6, 1
	s_addc_u32 s7, s7, 0
	s_and_not1_b32 s0, s31, exec_lo
	s_waitcnt vmcnt(0)
	v_cmp_ne_u64_e32 vcc_lo, v[23:24], v[25:26]
	s_and_b32 s31, vcc_lo, exec_lo
	s_delay_alu instid0(SALU_CYCLE_1)
	s_or_b32 s31, s0, s31
.LBB577_141:                            ;   in Loop: Header=BB577_142 Depth=1
	v_dual_mov_b32 v24, s7 :: v_dual_mov_b32 v23, s6
	s_and_b32 s0, exec_lo, s31
	s_delay_alu instid0(SALU_CYCLE_1) | instskip(NEXT) | instid1(SALU_CYCLE_1)
	s_or_b32 s30, s0, s30
	s_and_not1_b32 exec_lo, exec_lo, s30
	s_cbranch_execz .LBB577_144
.LBB577_142:                            ; =>This Inner Loop Header: Depth=1
	s_or_b32 s31, s31, exec_lo
	s_cmp_eq_u64 s[4:5], s[6:7]
	s_cbranch_scc0 .LBB577_140
; %bb.143:                              ;   in Loop: Header=BB577_142 Depth=1
	s_mov_b64 s[6:7], s[14:15]
                                        ; implicit-def: $vgpr19_vgpr20
                                        ; implicit-def: $vgpr21_vgpr22
	s_branch .LBB577_141
.LBB577_144:
	s_set_inst_prefetch_distance 0x2
	s_or_b32 exec_lo, exec_lo, s30
	v_cmp_gt_i64_e32 vcc_lo, s[14:15], v[23:24]
	s_or_not1_b32 s0, vcc_lo, exec_lo
.LBB577_145:
	s_or_b32 exec_lo, exec_lo, s28
.LBB577_146:
	s_delay_alu instid0(SALU_CYCLE_1)
	s_and_b32 s28, s0, exec_lo
.LBB577_147:
	s_or_b32 exec_lo, exec_lo, s29
	v_or_b32_e32 v19, 3, v39
	s_mov_b32 s30, 0
	s_mov_b32 s29, 0
	s_mov_b32 s31, exec_lo
	s_delay_alu instid0(VALU_DEP_1)
	v_cmpx_gt_u32_e64 s12, v19
	s_cbranch_execz .LBB577_158
; %bb.148:
	v_cmp_ne_u32_e32 vcc_lo, 1, v27
	s_mov_b32 s0, 0
	s_cbranch_vccnz .LBB577_157
; %bb.149:
	v_mul_lo_u32 v23, v10, s14
	v_mul_lo_u32 v24, v9, s15
	v_mad_u64_u32 v[19:20], null, v9, s14, 0
	v_mul_lo_u32 v25, v12, s14
	v_mul_lo_u32 v26, v11, s15
	s_waitcnt lgkmcnt(0)
	v_mad_u64_u32 v[21:22], null, v11, s14, 0
	s_mov_b32 s0, -1
	s_mov_b32 s29, exec_lo
	s_delay_alu instid0(VALU_DEP_4) | instskip(NEXT) | instid1(VALU_DEP_2)
	v_add3_u32 v20, v20, v24, v23
	v_add3_u32 v22, v22, v26, v25
	s_delay_alu instid0(VALU_DEP_2) | instskip(NEXT) | instid1(VALU_DEP_2)
	v_lshlrev_b64 v[19:20], 3, v[19:20]
	v_lshlrev_b64 v[23:24], 3, v[21:22]
	s_delay_alu instid0(VALU_DEP_2) | instskip(NEXT) | instid1(VALU_DEP_3)
	v_add_co_u32 v21, vcc_lo, s16, v19
	v_add_co_ci_u32_e32 v22, vcc_lo, s17, v20, vcc_lo
	s_delay_alu instid0(VALU_DEP_3) | instskip(NEXT) | instid1(VALU_DEP_4)
	v_add_co_u32 v19, vcc_lo, s16, v23
	v_add_co_ci_u32_e32 v20, vcc_lo, s17, v24, vcc_lo
	s_clause 0x1
	global_load_b64 v[23:24], v[21:22], off
	global_load_b64 v[25:26], v[19:20], off
	s_waitcnt vmcnt(0)
	v_cmpx_eq_u64_e64 v[23:24], v[25:26]
	s_cbranch_execz .LBB577_156
; %bb.150:
	v_add_co_u32 v19, vcc_lo, v19, 8
	v_add_co_ci_u32_e32 v20, vcc_lo, 0, v20, vcc_lo
	v_add_co_u32 v21, vcc_lo, v21, 8
	v_add_co_ci_u32_e32 v22, vcc_lo, 0, v22, vcc_lo
	s_add_u32 s4, s14, -1
	s_addc_u32 s5, s15, -1
	s_mov_b64 s[6:7], 0
	s_mov_b32 s33, 0
                                        ; implicit-def: $sgpr34
	s_set_inst_prefetch_distance 0x1
	s_branch .LBB577_153
	.p2align	6
.LBB577_151:                            ;   in Loop: Header=BB577_153 Depth=1
	global_load_b64 v[23:24], v[21:22], off
	global_load_b64 v[25:26], v[19:20], off
	v_add_co_u32 v19, vcc_lo, v19, 8
	v_add_co_ci_u32_e32 v20, vcc_lo, 0, v20, vcc_lo
	v_add_co_u32 v21, s0, v21, 8
	s_delay_alu instid0(VALU_DEP_1)
	v_add_co_ci_u32_e64 v22, s0, 0, v22, s0
	s_add_u32 s6, s6, 1
	s_addc_u32 s7, s7, 0
	s_and_not1_b32 s0, s34, exec_lo
	s_waitcnt vmcnt(0)
	v_cmp_ne_u64_e32 vcc_lo, v[23:24], v[25:26]
	s_and_b32 s34, vcc_lo, exec_lo
	s_delay_alu instid0(SALU_CYCLE_1)
	s_or_b32 s34, s0, s34
.LBB577_152:                            ;   in Loop: Header=BB577_153 Depth=1
	v_dual_mov_b32 v24, s7 :: v_dual_mov_b32 v23, s6
	s_and_b32 s0, exec_lo, s34
	s_delay_alu instid0(SALU_CYCLE_1) | instskip(NEXT) | instid1(SALU_CYCLE_1)
	s_or_b32 s33, s0, s33
	s_and_not1_b32 exec_lo, exec_lo, s33
	s_cbranch_execz .LBB577_155
.LBB577_153:                            ; =>This Inner Loop Header: Depth=1
	s_or_b32 s34, s34, exec_lo
	s_cmp_eq_u64 s[4:5], s[6:7]
	s_cbranch_scc0 .LBB577_151
; %bb.154:                              ;   in Loop: Header=BB577_153 Depth=1
	s_mov_b64 s[6:7], s[14:15]
                                        ; implicit-def: $vgpr19_vgpr20
                                        ; implicit-def: $vgpr21_vgpr22
	s_branch .LBB577_152
.LBB577_155:
	s_set_inst_prefetch_distance 0x2
	s_or_b32 exec_lo, exec_lo, s33
	v_cmp_gt_i64_e32 vcc_lo, s[14:15], v[23:24]
	s_or_not1_b32 s0, vcc_lo, exec_lo
.LBB577_156:
	s_or_b32 exec_lo, exec_lo, s29
.LBB577_157:
	s_delay_alu instid0(SALU_CYCLE_1)
	s_and_b32 s29, s0, exec_lo
.LBB577_158:
	s_or_b32 exec_lo, exec_lo, s31
	v_or_b32_e32 v19, 2, v39
	s_mov_b32 s31, exec_lo
	s_delay_alu instid0(VALU_DEP_1)
	v_cmpx_gt_u32_e64 s12, v19
	s_cbranch_execz .LBB577_169
; %bb.159:
	v_cmp_ne_u32_e32 vcc_lo, 1, v27
	s_mov_b32 s0, 0
	s_cbranch_vccnz .LBB577_168
; %bb.160:
	v_mul_lo_u32 v23, v16, s14
	v_mul_lo_u32 v24, v15, s15
	v_mad_u64_u32 v[19:20], null, v15, s14, 0
	v_mul_lo_u32 v25, v10, s14
	v_mul_lo_u32 v26, v9, s15
	s_waitcnt lgkmcnt(0)
	v_mad_u64_u32 v[21:22], null, v9, s14, 0
	s_mov_b32 s0, -1
	s_mov_b32 s30, exec_lo
	s_delay_alu instid0(VALU_DEP_4) | instskip(NEXT) | instid1(VALU_DEP_2)
	v_add3_u32 v20, v20, v24, v23
	v_add3_u32 v22, v22, v26, v25
	s_delay_alu instid0(VALU_DEP_2) | instskip(NEXT) | instid1(VALU_DEP_2)
	v_lshlrev_b64 v[19:20], 3, v[19:20]
	v_lshlrev_b64 v[23:24], 3, v[21:22]
	s_delay_alu instid0(VALU_DEP_2) | instskip(NEXT) | instid1(VALU_DEP_3)
	v_add_co_u32 v21, vcc_lo, s16, v19
	v_add_co_ci_u32_e32 v22, vcc_lo, s17, v20, vcc_lo
	s_delay_alu instid0(VALU_DEP_3) | instskip(NEXT) | instid1(VALU_DEP_4)
	v_add_co_u32 v19, vcc_lo, s16, v23
	v_add_co_ci_u32_e32 v20, vcc_lo, s17, v24, vcc_lo
	s_clause 0x1
	global_load_b64 v[23:24], v[21:22], off
	global_load_b64 v[25:26], v[19:20], off
	s_waitcnt vmcnt(0)
	v_cmpx_eq_u64_e64 v[23:24], v[25:26]
	s_cbranch_execz .LBB577_167
; %bb.161:
	v_add_co_u32 v19, vcc_lo, v19, 8
	v_add_co_ci_u32_e32 v20, vcc_lo, 0, v20, vcc_lo
	v_add_co_u32 v21, vcc_lo, v21, 8
	v_add_co_ci_u32_e32 v22, vcc_lo, 0, v22, vcc_lo
	s_add_u32 s4, s14, -1
	s_addc_u32 s5, s15, -1
	s_mov_b64 s[6:7], 0
	s_mov_b32 s33, 0
                                        ; implicit-def: $sgpr34
	s_set_inst_prefetch_distance 0x1
	s_branch .LBB577_164
	.p2align	6
.LBB577_162:                            ;   in Loop: Header=BB577_164 Depth=1
	global_load_b64 v[23:24], v[21:22], off
	global_load_b64 v[25:26], v[19:20], off
	v_add_co_u32 v19, vcc_lo, v19, 8
	v_add_co_ci_u32_e32 v20, vcc_lo, 0, v20, vcc_lo
	v_add_co_u32 v21, s0, v21, 8
	s_delay_alu instid0(VALU_DEP_1)
	v_add_co_ci_u32_e64 v22, s0, 0, v22, s0
	s_add_u32 s6, s6, 1
	s_addc_u32 s7, s7, 0
	s_and_not1_b32 s0, s34, exec_lo
	s_waitcnt vmcnt(0)
	v_cmp_ne_u64_e32 vcc_lo, v[23:24], v[25:26]
	s_and_b32 s34, vcc_lo, exec_lo
	s_delay_alu instid0(SALU_CYCLE_1)
	s_or_b32 s34, s0, s34
.LBB577_163:                            ;   in Loop: Header=BB577_164 Depth=1
	v_dual_mov_b32 v24, s7 :: v_dual_mov_b32 v23, s6
	s_and_b32 s0, exec_lo, s34
	s_delay_alu instid0(SALU_CYCLE_1) | instskip(NEXT) | instid1(SALU_CYCLE_1)
	s_or_b32 s33, s0, s33
	s_and_not1_b32 exec_lo, exec_lo, s33
	s_cbranch_execz .LBB577_166
.LBB577_164:                            ; =>This Inner Loop Header: Depth=1
	s_or_b32 s34, s34, exec_lo
	s_cmp_eq_u64 s[4:5], s[6:7]
	s_cbranch_scc0 .LBB577_162
; %bb.165:                              ;   in Loop: Header=BB577_164 Depth=1
	s_mov_b64 s[6:7], s[14:15]
                                        ; implicit-def: $vgpr19_vgpr20
                                        ; implicit-def: $vgpr21_vgpr22
	s_branch .LBB577_163
.LBB577_166:
	s_set_inst_prefetch_distance 0x2
	s_or_b32 exec_lo, exec_lo, s33
	v_cmp_gt_i64_e32 vcc_lo, s[14:15], v[23:24]
	s_or_not1_b32 s0, vcc_lo, exec_lo
.LBB577_167:
	s_or_b32 exec_lo, exec_lo, s30
.LBB577_168:
	s_delay_alu instid0(SALU_CYCLE_1)
	s_and_b32 s30, s0, exec_lo
.LBB577_169:
	s_or_b32 exec_lo, exec_lo, s31
	v_or_b32_e32 v19, 1, v39
	s_mov_b32 s0, 0
	s_mov_b32 s31, exec_lo
	s_delay_alu instid0(VALU_DEP_1)
	v_cmpx_gt_u32_e64 s12, v19
	s_cbranch_execz .LBB577_180
; %bb.170:
	v_cmp_ne_u32_e32 vcc_lo, 1, v27
	s_cbranch_vccnz .LBB577_179
; %bb.171:
	v_mul_lo_u32 v23, v14, s14
	v_mul_lo_u32 v24, v13, s15
	v_mad_u64_u32 v[19:20], null, v13, s14, 0
	v_mul_lo_u32 v25, v16, s14
	v_mul_lo_u32 v26, v15, s15
	s_waitcnt lgkmcnt(0)
	v_mad_u64_u32 v[21:22], null, v15, s14, 0
	s_mov_b32 s0, -1
	s_mov_b32 s33, exec_lo
	s_delay_alu instid0(VALU_DEP_4) | instskip(NEXT) | instid1(VALU_DEP_2)
	v_add3_u32 v20, v20, v24, v23
	v_add3_u32 v22, v22, v26, v25
	s_delay_alu instid0(VALU_DEP_2) | instskip(NEXT) | instid1(VALU_DEP_2)
	v_lshlrev_b64 v[19:20], 3, v[19:20]
	v_lshlrev_b64 v[23:24], 3, v[21:22]
	s_delay_alu instid0(VALU_DEP_2) | instskip(NEXT) | instid1(VALU_DEP_3)
	v_add_co_u32 v21, vcc_lo, s16, v19
	v_add_co_ci_u32_e32 v22, vcc_lo, s17, v20, vcc_lo
	s_delay_alu instid0(VALU_DEP_3) | instskip(NEXT) | instid1(VALU_DEP_4)
	v_add_co_u32 v19, vcc_lo, s16, v23
	v_add_co_ci_u32_e32 v20, vcc_lo, s17, v24, vcc_lo
	s_clause 0x1
	global_load_b64 v[23:24], v[21:22], off
	global_load_b64 v[25:26], v[19:20], off
	s_waitcnt vmcnt(0)
	v_cmpx_eq_u64_e64 v[23:24], v[25:26]
	s_cbranch_execz .LBB577_178
; %bb.172:
	v_add_co_u32 v19, vcc_lo, v19, 8
	v_add_co_ci_u32_e32 v20, vcc_lo, 0, v20, vcc_lo
	v_add_co_u32 v21, vcc_lo, v21, 8
	v_add_co_ci_u32_e32 v22, vcc_lo, 0, v22, vcc_lo
	s_add_u32 s4, s14, -1
	s_addc_u32 s5, s15, -1
	s_mov_b64 s[6:7], 0
	s_mov_b32 s34, 0
                                        ; implicit-def: $sgpr35
	s_set_inst_prefetch_distance 0x1
	s_branch .LBB577_175
	.p2align	6
.LBB577_173:                            ;   in Loop: Header=BB577_175 Depth=1
	global_load_b64 v[23:24], v[21:22], off
	global_load_b64 v[25:26], v[19:20], off
	v_add_co_u32 v19, vcc_lo, v19, 8
	v_add_co_ci_u32_e32 v20, vcc_lo, 0, v20, vcc_lo
	v_add_co_u32 v21, s0, v21, 8
	s_delay_alu instid0(VALU_DEP_1)
	v_add_co_ci_u32_e64 v22, s0, 0, v22, s0
	s_add_u32 s6, s6, 1
	s_addc_u32 s7, s7, 0
	s_and_not1_b32 s0, s35, exec_lo
	s_waitcnt vmcnt(0)
	v_cmp_ne_u64_e32 vcc_lo, v[23:24], v[25:26]
	s_and_b32 s35, vcc_lo, exec_lo
	s_delay_alu instid0(SALU_CYCLE_1)
	s_or_b32 s35, s0, s35
.LBB577_174:                            ;   in Loop: Header=BB577_175 Depth=1
	v_dual_mov_b32 v24, s7 :: v_dual_mov_b32 v23, s6
	s_and_b32 s0, exec_lo, s35
	s_delay_alu instid0(SALU_CYCLE_1) | instskip(NEXT) | instid1(SALU_CYCLE_1)
	s_or_b32 s34, s0, s34
	s_and_not1_b32 exec_lo, exec_lo, s34
	s_cbranch_execz .LBB577_177
.LBB577_175:                            ; =>This Inner Loop Header: Depth=1
	s_or_b32 s35, s35, exec_lo
	s_cmp_eq_u64 s[4:5], s[6:7]
	s_cbranch_scc0 .LBB577_173
; %bb.176:                              ;   in Loop: Header=BB577_175 Depth=1
	s_mov_b64 s[6:7], s[14:15]
                                        ; implicit-def: $vgpr19_vgpr20
                                        ; implicit-def: $vgpr21_vgpr22
	s_branch .LBB577_174
.LBB577_177:
	s_set_inst_prefetch_distance 0x2
	s_or_b32 exec_lo, exec_lo, s34
	v_cmp_gt_i64_e32 vcc_lo, s[14:15], v[23:24]
	s_or_not1_b32 s0, vcc_lo, exec_lo
.LBB577_178:
	s_or_b32 exec_lo, exec_lo, s33
.LBB577_179:
	s_delay_alu instid0(SALU_CYCLE_1)
	s_and_b32 s0, s0, exec_lo
.LBB577_180:
	s_or_b32 exec_lo, exec_lo, s31
	s_waitcnt vmcnt(0) lgkmcnt(0)
	s_barrier
	buffer_gl0_inv
	s_and_saveexec_b32 s4, s3
	s_cbranch_execz .LBB577_182
; %bb.181:
	v_add_nc_u32_e32 v17, -8, v39
	ds_load_b64 v[17:18], v17
.LBB577_182:
	s_or_b32 exec_lo, exec_lo, s4
	v_cndmask_b32_e64 v20, 0, 1, s29
	v_cndmask_b32_e64 v22, 0, 1, s26
	;; [unrolled: 1-line block ×7, first 2 shown]
	v_lshlrev_b16 v20, 8, v20
	v_lshlrev_b16 v22, 8, v22
	;; [unrolled: 1-line block ×3, first 2 shown]
	s_mov_b32 s0, 0
	v_lshlrev_b16 v25, 8, v25
	v_or_b32_e32 v19, v19, v20
	v_or_b32_e32 v20, v21, v22
	;; [unrolled: 1-line block ×3, first 2 shown]
	s_mov_b32 s25, exec_lo
	v_and_b32_e32 v23, 0xffff, v25
	v_lshlrev_b32_e32 v24, 16, v19
	v_and_b32_e32 v25, 0xffff, v20
	v_lshlrev_b32_e32 v26, 16, v21
	v_cmpx_gt_u32_e64 s12, v39
	s_cbranch_execz .LBB577_193
; %bb.183:
	v_cmp_ne_u32_e32 vcc_lo, 1, v27
	s_cbranch_vccnz .LBB577_192
; %bb.184:
	s_waitcnt lgkmcnt(0)
	v_mul_lo_u32 v22, v18, s14
	v_mul_lo_u32 v27, v17, s15
	v_mad_u64_u32 v[18:19], null, v17, s14, 0
	v_mul_lo_u32 v17, v14, s14
	v_mul_lo_u32 v28, v13, s15
	v_mad_u64_u32 v[20:21], null, v13, s14, 0
	s_mov_b32 s0, -1
	s_mov_b32 s26, exec_lo
	s_delay_alu instid0(VALU_DEP_4) | instskip(NEXT) | instid1(VALU_DEP_2)
	v_add3_u32 v19, v19, v27, v22
	v_add3_u32 v21, v21, v28, v17
	s_delay_alu instid0(VALU_DEP_2) | instskip(NEXT) | instid1(VALU_DEP_2)
	v_lshlrev_b64 v[17:18], 3, v[18:19]
	v_lshlrev_b64 v[21:22], 3, v[20:21]
	s_delay_alu instid0(VALU_DEP_2) | instskip(NEXT) | instid1(VALU_DEP_3)
	v_add_co_u32 v19, vcc_lo, s16, v17
	v_add_co_ci_u32_e32 v20, vcc_lo, s17, v18, vcc_lo
	s_delay_alu instid0(VALU_DEP_3) | instskip(NEXT) | instid1(VALU_DEP_4)
	v_add_co_u32 v17, vcc_lo, s16, v21
	v_add_co_ci_u32_e32 v18, vcc_lo, s17, v22, vcc_lo
	s_clause 0x1
	global_load_b64 v[21:22], v[19:20], off
	global_load_b64 v[27:28], v[17:18], off
	s_waitcnt vmcnt(0)
	v_cmpx_eq_u64_e64 v[21:22], v[27:28]
	s_cbranch_execz .LBB577_191
; %bb.185:
	v_add_co_u32 v17, vcc_lo, v17, 8
	v_add_co_ci_u32_e32 v18, vcc_lo, 0, v18, vcc_lo
	v_add_co_u32 v19, vcc_lo, v19, 8
	v_add_co_ci_u32_e32 v20, vcc_lo, 0, v20, vcc_lo
	s_add_u32 s4, s14, -1
	s_addc_u32 s5, s15, -1
	s_mov_b64 s[6:7], 0
	s_mov_b32 s27, 0
                                        ; implicit-def: $sgpr28
	s_set_inst_prefetch_distance 0x1
	s_branch .LBB577_188
	.p2align	6
.LBB577_186:                            ;   in Loop: Header=BB577_188 Depth=1
	global_load_b64 v[21:22], v[19:20], off
	global_load_b64 v[27:28], v[17:18], off
	v_add_co_u32 v17, vcc_lo, v17, 8
	v_add_co_ci_u32_e32 v18, vcc_lo, 0, v18, vcc_lo
	v_add_co_u32 v19, s0, v19, 8
	s_delay_alu instid0(VALU_DEP_1)
	v_add_co_ci_u32_e64 v20, s0, 0, v20, s0
	s_add_u32 s6, s6, 1
	s_addc_u32 s7, s7, 0
	s_and_not1_b32 s0, s28, exec_lo
	s_waitcnt vmcnt(0)
	v_cmp_ne_u64_e32 vcc_lo, v[21:22], v[27:28]
	s_and_b32 s28, vcc_lo, exec_lo
	s_delay_alu instid0(SALU_CYCLE_1)
	s_or_b32 s28, s0, s28
.LBB577_187:                            ;   in Loop: Header=BB577_188 Depth=1
	v_dual_mov_b32 v22, s7 :: v_dual_mov_b32 v21, s6
	s_and_b32 s0, exec_lo, s28
	s_delay_alu instid0(SALU_CYCLE_1) | instskip(NEXT) | instid1(SALU_CYCLE_1)
	s_or_b32 s27, s0, s27
	s_and_not1_b32 exec_lo, exec_lo, s27
	s_cbranch_execz .LBB577_190
.LBB577_188:                            ; =>This Inner Loop Header: Depth=1
	s_or_b32 s28, s28, exec_lo
	s_cmp_eq_u64 s[4:5], s[6:7]
	s_cbranch_scc0 .LBB577_186
; %bb.189:                              ;   in Loop: Header=BB577_188 Depth=1
	s_mov_b64 s[6:7], s[14:15]
                                        ; implicit-def: $vgpr17_vgpr18
                                        ; implicit-def: $vgpr19_vgpr20
	s_branch .LBB577_187
.LBB577_190:
	s_set_inst_prefetch_distance 0x2
	s_or_b32 exec_lo, exec_lo, s27
	v_cmp_gt_i64_e32 vcc_lo, s[14:15], v[21:22]
	s_or_not1_b32 s0, vcc_lo, exec_lo
.LBB577_191:
	s_or_b32 exec_lo, exec_lo, s26
.LBB577_192:
	s_delay_alu instid0(SALU_CYCLE_1)
	s_and_b32 s0, s0, exec_lo
.LBB577_193:
	s_or_b32 exec_lo, exec_lo, s25
	v_or_b32_e32 v19, v23, v24
	v_or_b32_e32 v20, v25, v26
.LBB577_194:
	s_mov_b32 s25, -1
	s_cbranch_execnz .LBB577_363
.LBB577_195:
	v_cmp_gt_i64_e64 s26, s[14:15], 0
	s_and_b32 vcc_lo, exec_lo, s22
	ds_store_b64 v39, v[3:4]
	s_cbranch_vccz .LBB577_203
; %bb.196:
	v_mul_lo_u32 v19, v2, s14
	v_mul_lo_u32 v20, v1, s15
	s_waitcnt vmcnt(0) lgkmcnt(1)
	v_mad_u64_u32 v[17:18], null, v1, s14, 0
	s_mov_b32 s27, 0
	s_and_not1_b32 vcc_lo, exec_lo, s26
	s_mov_b32 s28, 0
	s_delay_alu instid0(VALU_DEP_1) | instskip(NEXT) | instid1(VALU_DEP_1)
	v_add3_u32 v18, v18, v20, v19
	v_lshlrev_b64 v[17:18], 3, v[17:18]
	s_cbranch_vccnz .LBB577_206
; %bb.197:
	v_mul_lo_u32 v21, v4, s14
	v_mul_lo_u32 v22, v3, s15
	v_mad_u64_u32 v[19:20], null, v3, s14, 0
	s_mov_b32 s28, -1
	s_mov_b32 s29, exec_lo
	s_delay_alu instid0(VALU_DEP_1) | instskip(SKIP_2) | instid1(VALU_DEP_3)
	v_add3_u32 v20, v20, v22, v21
	v_add_co_u32 v21, vcc_lo, s16, v17
	v_add_co_ci_u32_e32 v22, vcc_lo, s17, v18, vcc_lo
	v_lshlrev_b64 v[19:20], 3, v[19:20]
	s_delay_alu instid0(VALU_DEP_1) | instskip(NEXT) | instid1(VALU_DEP_2)
	v_add_co_u32 v19, vcc_lo, s16, v19
	v_add_co_ci_u32_e32 v20, vcc_lo, s17, v20, vcc_lo
	s_clause 0x1
	global_load_b64 v[23:24], v[21:22], off
	global_load_b64 v[25:26], v[19:20], off
	s_waitcnt vmcnt(0)
	v_cmpx_eq_u64_e64 v[23:24], v[25:26]
	s_cbranch_execz .LBB577_205
; %bb.198:
	v_add_co_u32 v19, vcc_lo, v19, 8
	v_add_co_ci_u32_e32 v20, vcc_lo, 0, v20, vcc_lo
	v_add_co_u32 v21, vcc_lo, v21, 8
	v_add_co_ci_u32_e32 v22, vcc_lo, 0, v22, vcc_lo
	s_add_u32 s4, s14, -1
	s_addc_u32 s5, s15, -1
	s_mov_b64 s[6:7], 0
	s_mov_b32 s28, 0
                                        ; implicit-def: $sgpr30
	s_set_inst_prefetch_distance 0x1
	s_branch .LBB577_201
	.p2align	6
.LBB577_199:                            ;   in Loop: Header=BB577_201 Depth=1
	global_load_b64 v[23:24], v[21:22], off
	global_load_b64 v[25:26], v[19:20], off
	v_add_co_u32 v19, vcc_lo, v19, 8
	v_add_co_ci_u32_e32 v20, vcc_lo, 0, v20, vcc_lo
	v_add_co_u32 v21, s0, v21, 8
	s_delay_alu instid0(VALU_DEP_1)
	v_add_co_ci_u32_e64 v22, s0, 0, v22, s0
	s_add_u32 s6, s6, 1
	s_addc_u32 s7, s7, 0
	s_and_not1_b32 s0, s30, exec_lo
	s_waitcnt vmcnt(0)
	v_cmp_ne_u64_e32 vcc_lo, v[23:24], v[25:26]
	s_and_b32 s30, vcc_lo, exec_lo
	s_delay_alu instid0(SALU_CYCLE_1)
	s_or_b32 s30, s0, s30
.LBB577_200:                            ;   in Loop: Header=BB577_201 Depth=1
	v_dual_mov_b32 v24, s7 :: v_dual_mov_b32 v23, s6
	s_and_b32 s0, exec_lo, s30
	s_delay_alu instid0(SALU_CYCLE_1) | instskip(NEXT) | instid1(SALU_CYCLE_1)
	s_or_b32 s28, s0, s28
	s_and_not1_b32 exec_lo, exec_lo, s28
	s_cbranch_execz .LBB577_204
.LBB577_201:                            ; =>This Inner Loop Header: Depth=1
	s_or_b32 s30, s30, exec_lo
	s_cmp_eq_u64 s[4:5], s[6:7]
	s_cbranch_scc0 .LBB577_199
; %bb.202:                              ;   in Loop: Header=BB577_201 Depth=1
	s_mov_b64 s[6:7], s[14:15]
                                        ; implicit-def: $vgpr19_vgpr20
                                        ; implicit-def: $vgpr21_vgpr22
	s_branch .LBB577_200
.LBB577_203:
                                        ; implicit-def: $sgpr0
                                        ; implicit-def: $vgpr20
	s_cbranch_execnz .LBB577_272
	s_branch .LBB577_363
.LBB577_204:
	s_set_inst_prefetch_distance 0x2
	s_or_b32 exec_lo, exec_lo, s28
	v_cmp_gt_i64_e32 vcc_lo, s[14:15], v[23:24]
	s_or_not1_b32 s28, vcc_lo, exec_lo
.LBB577_205:
	s_or_b32 exec_lo, exec_lo, s29
.LBB577_206:
	v_mul_lo_u32 v21, v8, s14
	v_mul_lo_u32 v22, v7, s15
	v_mad_u64_u32 v[19:20], null, v7, s14, 0
	s_and_not1_b32 vcc_lo, exec_lo, s26
	s_delay_alu instid0(VALU_DEP_1) | instskip(NEXT) | instid1(VALU_DEP_1)
	v_add3_u32 v20, v20, v22, v21
	v_lshlrev_b64 v[19:20], 3, v[19:20]
	s_cbranch_vccnz .LBB577_215
; %bb.207:
	s_delay_alu instid0(VALU_DEP_1) | instskip(NEXT) | instid1(VALU_DEP_2)
	v_add_co_u32 v21, vcc_lo, s16, v19
	v_add_co_ci_u32_e32 v22, vcc_lo, s17, v20, vcc_lo
	v_add_co_u32 v17, vcc_lo, s16, v17
	v_add_co_ci_u32_e32 v18, vcc_lo, s17, v18, vcc_lo
	s_mov_b32 s27, -1
	s_clause 0x1
	global_load_b64 v[23:24], v[21:22], off
	global_load_b64 v[25:26], v[17:18], off
	s_mov_b32 s29, exec_lo
	s_waitcnt vmcnt(0)
	v_cmpx_eq_u64_e64 v[23:24], v[25:26]
	s_cbranch_execz .LBB577_214
; %bb.208:
	v_add_co_u32 v17, vcc_lo, v17, 8
	v_add_co_ci_u32_e32 v18, vcc_lo, 0, v18, vcc_lo
	v_add_co_u32 v21, vcc_lo, v21, 8
	v_add_co_ci_u32_e32 v22, vcc_lo, 0, v22, vcc_lo
	s_add_u32 s4, s14, -1
	s_addc_u32 s5, s15, -1
	s_mov_b64 s[6:7], 0
	s_mov_b32 s27, 0
                                        ; implicit-def: $sgpr30
	s_set_inst_prefetch_distance 0x1
	s_branch .LBB577_211
	.p2align	6
.LBB577_209:                            ;   in Loop: Header=BB577_211 Depth=1
	global_load_b64 v[23:24], v[21:22], off
	global_load_b64 v[25:26], v[17:18], off
	v_add_co_u32 v17, vcc_lo, v17, 8
	v_add_co_ci_u32_e32 v18, vcc_lo, 0, v18, vcc_lo
	v_add_co_u32 v21, s0, v21, 8
	s_delay_alu instid0(VALU_DEP_1)
	v_add_co_ci_u32_e64 v22, s0, 0, v22, s0
	s_add_u32 s6, s6, 1
	s_addc_u32 s7, s7, 0
	s_and_not1_b32 s0, s30, exec_lo
	s_waitcnt vmcnt(0)
	v_cmp_ne_u64_e32 vcc_lo, v[23:24], v[25:26]
	s_and_b32 s30, vcc_lo, exec_lo
	s_delay_alu instid0(SALU_CYCLE_1)
	s_or_b32 s30, s0, s30
.LBB577_210:                            ;   in Loop: Header=BB577_211 Depth=1
	v_dual_mov_b32 v24, s7 :: v_dual_mov_b32 v23, s6
	s_and_b32 s0, exec_lo, s30
	s_delay_alu instid0(SALU_CYCLE_1) | instskip(NEXT) | instid1(SALU_CYCLE_1)
	s_or_b32 s27, s0, s27
	s_and_not1_b32 exec_lo, exec_lo, s27
	s_cbranch_execz .LBB577_213
.LBB577_211:                            ; =>This Inner Loop Header: Depth=1
	s_or_b32 s30, s30, exec_lo
	s_cmp_eq_u64 s[4:5], s[6:7]
	s_cbranch_scc0 .LBB577_209
; %bb.212:                              ;   in Loop: Header=BB577_211 Depth=1
	s_mov_b64 s[6:7], s[14:15]
                                        ; implicit-def: $vgpr17_vgpr18
                                        ; implicit-def: $vgpr21_vgpr22
	s_branch .LBB577_210
.LBB577_213:
	s_set_inst_prefetch_distance 0x2
	s_or_b32 exec_lo, exec_lo, s27
	v_cmp_gt_i64_e32 vcc_lo, s[14:15], v[23:24]
	s_or_not1_b32 s27, vcc_lo, exec_lo
.LBB577_214:
	s_or_b32 exec_lo, exec_lo, s29
.LBB577_215:
	v_mul_lo_u32 v21, v6, s14
	v_mul_lo_u32 v22, v5, s15
	v_mad_u64_u32 v[17:18], null, v5, s14, 0
	s_mov_b32 s29, 0
	s_and_not1_b32 vcc_lo, exec_lo, s26
	s_mov_b32 s30, 0
	s_delay_alu instid0(VALU_DEP_1) | instskip(NEXT) | instid1(VALU_DEP_1)
	v_add3_u32 v18, v18, v22, v21
	v_lshlrev_b64 v[21:22], 3, v[17:18]
	s_cbranch_vccnz .LBB577_224
; %bb.216:
	s_delay_alu instid0(VALU_DEP_1) | instskip(NEXT) | instid1(VALU_DEP_2)
	v_add_co_u32 v23, vcc_lo, s16, v21
	v_add_co_ci_u32_e32 v24, vcc_lo, s17, v22, vcc_lo
	v_add_co_u32 v17, vcc_lo, s16, v19
	v_add_co_ci_u32_e32 v18, vcc_lo, s17, v20, vcc_lo
	s_mov_b32 s30, -1
	s_clause 0x1
	global_load_b64 v[19:20], v[23:24], off
	global_load_b64 v[25:26], v[17:18], off
	s_mov_b32 s31, exec_lo
	s_waitcnt vmcnt(0)
	v_cmpx_eq_u64_e64 v[19:20], v[25:26]
	s_cbranch_execz .LBB577_223
; %bb.217:
	v_add_co_u32 v17, vcc_lo, v17, 8
	v_add_co_ci_u32_e32 v18, vcc_lo, 0, v18, vcc_lo
	v_add_co_u32 v19, vcc_lo, v23, 8
	v_add_co_ci_u32_e32 v20, vcc_lo, 0, v24, vcc_lo
	s_add_u32 s4, s14, -1
	s_addc_u32 s5, s15, -1
	s_mov_b64 s[6:7], 0
	s_mov_b32 s30, 0
                                        ; implicit-def: $sgpr33
	s_set_inst_prefetch_distance 0x1
	s_branch .LBB577_220
	.p2align	6
.LBB577_218:                            ;   in Loop: Header=BB577_220 Depth=1
	global_load_b64 v[23:24], v[19:20], off
	global_load_b64 v[25:26], v[17:18], off
	v_add_co_u32 v17, vcc_lo, v17, 8
	v_add_co_ci_u32_e32 v18, vcc_lo, 0, v18, vcc_lo
	v_add_co_u32 v19, s0, v19, 8
	s_delay_alu instid0(VALU_DEP_1)
	v_add_co_ci_u32_e64 v20, s0, 0, v20, s0
	s_add_u32 s6, s6, 1
	s_addc_u32 s7, s7, 0
	s_and_not1_b32 s0, s33, exec_lo
	s_waitcnt vmcnt(0)
	v_cmp_ne_u64_e32 vcc_lo, v[23:24], v[25:26]
	s_and_b32 s33, vcc_lo, exec_lo
	s_delay_alu instid0(SALU_CYCLE_1)
	s_or_b32 s33, s0, s33
.LBB577_219:                            ;   in Loop: Header=BB577_220 Depth=1
	v_dual_mov_b32 v24, s7 :: v_dual_mov_b32 v23, s6
	s_and_b32 s0, exec_lo, s33
	s_delay_alu instid0(SALU_CYCLE_1) | instskip(NEXT) | instid1(SALU_CYCLE_1)
	s_or_b32 s30, s0, s30
	s_and_not1_b32 exec_lo, exec_lo, s30
	s_cbranch_execz .LBB577_222
.LBB577_220:                            ; =>This Inner Loop Header: Depth=1
	s_or_b32 s33, s33, exec_lo
	s_cmp_eq_u64 s[4:5], s[6:7]
	s_cbranch_scc0 .LBB577_218
; %bb.221:                              ;   in Loop: Header=BB577_220 Depth=1
	s_mov_b64 s[6:7], s[14:15]
                                        ; implicit-def: $vgpr17_vgpr18
                                        ; implicit-def: $vgpr19_vgpr20
	s_branch .LBB577_219
.LBB577_222:
	s_set_inst_prefetch_distance 0x2
	s_or_b32 exec_lo, exec_lo, s30
	v_cmp_gt_i64_e32 vcc_lo, s[14:15], v[23:24]
	s_or_not1_b32 s30, vcc_lo, exec_lo
.LBB577_223:
	s_or_b32 exec_lo, exec_lo, s31
.LBB577_224:
	v_mul_lo_u32 v19, v12, s14
	v_mul_lo_u32 v20, v11, s15
	v_mad_u64_u32 v[17:18], null, v11, s14, 0
	s_and_not1_b32 vcc_lo, exec_lo, s26
	s_delay_alu instid0(VALU_DEP_1) | instskip(NEXT) | instid1(VALU_DEP_1)
	v_add3_u32 v18, v18, v20, v19
	v_lshlrev_b64 v[17:18], 3, v[17:18]
	s_cbranch_vccnz .LBB577_233
; %bb.225:
	s_delay_alu instid0(VALU_DEP_1) | instskip(NEXT) | instid1(VALU_DEP_2)
	v_add_co_u32 v23, vcc_lo, s16, v17
	v_add_co_ci_u32_e32 v24, vcc_lo, s17, v18, vcc_lo
	v_add_co_u32 v19, vcc_lo, s16, v21
	v_add_co_ci_u32_e32 v20, vcc_lo, s17, v22, vcc_lo
	s_mov_b32 s29, -1
	s_clause 0x1
	global_load_b64 v[21:22], v[23:24], off
	global_load_b64 v[25:26], v[19:20], off
	s_mov_b32 s31, exec_lo
	s_waitcnt vmcnt(0)
	v_cmpx_eq_u64_e64 v[21:22], v[25:26]
	s_cbranch_execz .LBB577_232
; %bb.226:
	v_add_co_u32 v19, vcc_lo, v19, 8
	v_add_co_ci_u32_e32 v20, vcc_lo, 0, v20, vcc_lo
	v_add_co_u32 v21, vcc_lo, v23, 8
	v_add_co_ci_u32_e32 v22, vcc_lo, 0, v24, vcc_lo
	s_add_u32 s4, s14, -1
	s_addc_u32 s5, s15, -1
	s_mov_b64 s[6:7], 0
	s_mov_b32 s29, 0
                                        ; implicit-def: $sgpr33
	s_set_inst_prefetch_distance 0x1
	s_branch .LBB577_229
	.p2align	6
.LBB577_227:                            ;   in Loop: Header=BB577_229 Depth=1
	global_load_b64 v[23:24], v[21:22], off
	global_load_b64 v[25:26], v[19:20], off
	v_add_co_u32 v19, vcc_lo, v19, 8
	v_add_co_ci_u32_e32 v20, vcc_lo, 0, v20, vcc_lo
	v_add_co_u32 v21, s0, v21, 8
	s_delay_alu instid0(VALU_DEP_1)
	v_add_co_ci_u32_e64 v22, s0, 0, v22, s0
	s_add_u32 s6, s6, 1
	s_addc_u32 s7, s7, 0
	s_and_not1_b32 s0, s33, exec_lo
	s_waitcnt vmcnt(0)
	v_cmp_ne_u64_e32 vcc_lo, v[23:24], v[25:26]
	s_and_b32 s33, vcc_lo, exec_lo
	s_delay_alu instid0(SALU_CYCLE_1)
	s_or_b32 s33, s0, s33
.LBB577_228:                            ;   in Loop: Header=BB577_229 Depth=1
	v_dual_mov_b32 v24, s7 :: v_dual_mov_b32 v23, s6
	s_and_b32 s0, exec_lo, s33
	s_delay_alu instid0(SALU_CYCLE_1) | instskip(NEXT) | instid1(SALU_CYCLE_1)
	s_or_b32 s29, s0, s29
	s_and_not1_b32 exec_lo, exec_lo, s29
	s_cbranch_execz .LBB577_231
.LBB577_229:                            ; =>This Inner Loop Header: Depth=1
	s_or_b32 s33, s33, exec_lo
	s_cmp_eq_u64 s[4:5], s[6:7]
	s_cbranch_scc0 .LBB577_227
; %bb.230:                              ;   in Loop: Header=BB577_229 Depth=1
	s_mov_b64 s[6:7], s[14:15]
                                        ; implicit-def: $vgpr19_vgpr20
                                        ; implicit-def: $vgpr21_vgpr22
	s_branch .LBB577_228
.LBB577_231:
	s_set_inst_prefetch_distance 0x2
	s_or_b32 exec_lo, exec_lo, s29
	v_cmp_gt_i64_e32 vcc_lo, s[14:15], v[23:24]
	s_or_not1_b32 s29, vcc_lo, exec_lo
.LBB577_232:
	s_or_b32 exec_lo, exec_lo, s31
.LBB577_233:
	v_mul_lo_u32 v21, v10, s14
	v_mul_lo_u32 v22, v9, s15
	v_mad_u64_u32 v[19:20], null, v9, s14, 0
	s_mov_b32 s31, 0
	s_and_not1_b32 vcc_lo, exec_lo, s26
	s_mov_b32 s33, 0
	s_delay_alu instid0(VALU_DEP_1) | instskip(NEXT) | instid1(VALU_DEP_1)
	v_add3_u32 v20, v20, v22, v21
	v_lshlrev_b64 v[21:22], 3, v[19:20]
	s_cbranch_vccnz .LBB577_242
; %bb.234:
	s_delay_alu instid0(VALU_DEP_1) | instskip(NEXT) | instid1(VALU_DEP_2)
	v_add_co_u32 v19, vcc_lo, s16, v21
	v_add_co_ci_u32_e32 v20, vcc_lo, s17, v22, vcc_lo
	v_add_co_u32 v17, vcc_lo, s16, v17
	v_add_co_ci_u32_e32 v18, vcc_lo, s17, v18, vcc_lo
	s_mov_b32 s33, -1
	s_clause 0x1
	global_load_b64 v[23:24], v[19:20], off
	global_load_b64 v[25:26], v[17:18], off
	s_mov_b32 s34, exec_lo
	s_waitcnt vmcnt(0)
	v_cmpx_eq_u64_e64 v[23:24], v[25:26]
	s_cbranch_execz .LBB577_241
; %bb.235:
	v_add_co_u32 v17, vcc_lo, v17, 8
	v_add_co_ci_u32_e32 v18, vcc_lo, 0, v18, vcc_lo
	v_add_co_u32 v19, vcc_lo, v19, 8
	v_add_co_ci_u32_e32 v20, vcc_lo, 0, v20, vcc_lo
	s_add_u32 s4, s14, -1
	s_addc_u32 s5, s15, -1
	s_mov_b64 s[6:7], 0
	s_mov_b32 s33, 0
                                        ; implicit-def: $sgpr35
	s_set_inst_prefetch_distance 0x1
	s_branch .LBB577_238
	.p2align	6
.LBB577_236:                            ;   in Loop: Header=BB577_238 Depth=1
	global_load_b64 v[23:24], v[19:20], off
	global_load_b64 v[25:26], v[17:18], off
	v_add_co_u32 v17, vcc_lo, v17, 8
	v_add_co_ci_u32_e32 v18, vcc_lo, 0, v18, vcc_lo
	v_add_co_u32 v19, s0, v19, 8
	s_delay_alu instid0(VALU_DEP_1)
	v_add_co_ci_u32_e64 v20, s0, 0, v20, s0
	s_add_u32 s6, s6, 1
	s_addc_u32 s7, s7, 0
	s_and_not1_b32 s0, s35, exec_lo
	s_waitcnt vmcnt(0)
	v_cmp_ne_u64_e32 vcc_lo, v[23:24], v[25:26]
	s_and_b32 s35, vcc_lo, exec_lo
	s_delay_alu instid0(SALU_CYCLE_1)
	s_or_b32 s35, s0, s35
.LBB577_237:                            ;   in Loop: Header=BB577_238 Depth=1
	v_dual_mov_b32 v24, s7 :: v_dual_mov_b32 v23, s6
	s_and_b32 s0, exec_lo, s35
	s_delay_alu instid0(SALU_CYCLE_1) | instskip(NEXT) | instid1(SALU_CYCLE_1)
	s_or_b32 s33, s0, s33
	s_and_not1_b32 exec_lo, exec_lo, s33
	s_cbranch_execz .LBB577_240
.LBB577_238:                            ; =>This Inner Loop Header: Depth=1
	s_or_b32 s35, s35, exec_lo
	s_cmp_eq_u64 s[4:5], s[6:7]
	s_cbranch_scc0 .LBB577_236
; %bb.239:                              ;   in Loop: Header=BB577_238 Depth=1
	s_mov_b64 s[6:7], s[14:15]
                                        ; implicit-def: $vgpr17_vgpr18
                                        ; implicit-def: $vgpr19_vgpr20
	s_branch .LBB577_237
.LBB577_240:
	s_set_inst_prefetch_distance 0x2
	s_or_b32 exec_lo, exec_lo, s33
	v_cmp_gt_i64_e32 vcc_lo, s[14:15], v[23:24]
	s_or_not1_b32 s33, vcc_lo, exec_lo
.LBB577_241:
	s_or_b32 exec_lo, exec_lo, s34
.LBB577_242:
	v_mul_lo_u32 v19, v16, s14
	v_mul_lo_u32 v20, v15, s15
	v_mad_u64_u32 v[17:18], null, v15, s14, 0
	s_and_not1_b32 vcc_lo, exec_lo, s26
	s_delay_alu instid0(VALU_DEP_1) | instskip(NEXT) | instid1(VALU_DEP_1)
	v_add3_u32 v18, v18, v20, v19
	v_lshlrev_b64 v[19:20], 3, v[17:18]
	s_cbranch_vccnz .LBB577_251
; %bb.243:
	s_delay_alu instid0(VALU_DEP_1) | instskip(NEXT) | instid1(VALU_DEP_2)
	v_add_co_u32 v23, vcc_lo, s16, v19
	v_add_co_ci_u32_e32 v24, vcc_lo, s17, v20, vcc_lo
	v_add_co_u32 v17, vcc_lo, s16, v21
	v_add_co_ci_u32_e32 v18, vcc_lo, s17, v22, vcc_lo
	s_mov_b32 s31, -1
	s_clause 0x1
	global_load_b64 v[21:22], v[23:24], off
	global_load_b64 v[25:26], v[17:18], off
	s_mov_b32 s34, exec_lo
	s_waitcnt vmcnt(0)
	v_cmpx_eq_u64_e64 v[21:22], v[25:26]
	s_cbranch_execz .LBB577_250
; %bb.244:
	v_add_co_u32 v17, vcc_lo, v17, 8
	v_add_co_ci_u32_e32 v18, vcc_lo, 0, v18, vcc_lo
	v_add_co_u32 v21, vcc_lo, v23, 8
	v_add_co_ci_u32_e32 v22, vcc_lo, 0, v24, vcc_lo
	s_add_u32 s4, s14, -1
	s_addc_u32 s5, s15, -1
	s_mov_b64 s[6:7], 0
	s_mov_b32 s31, 0
                                        ; implicit-def: $sgpr35
	s_set_inst_prefetch_distance 0x1
	s_branch .LBB577_247
	.p2align	6
.LBB577_245:                            ;   in Loop: Header=BB577_247 Depth=1
	global_load_b64 v[23:24], v[21:22], off
	global_load_b64 v[25:26], v[17:18], off
	v_add_co_u32 v17, vcc_lo, v17, 8
	v_add_co_ci_u32_e32 v18, vcc_lo, 0, v18, vcc_lo
	v_add_co_u32 v21, s0, v21, 8
	s_delay_alu instid0(VALU_DEP_1)
	v_add_co_ci_u32_e64 v22, s0, 0, v22, s0
	s_add_u32 s6, s6, 1
	s_addc_u32 s7, s7, 0
	s_and_not1_b32 s0, s35, exec_lo
	s_waitcnt vmcnt(0)
	v_cmp_ne_u64_e32 vcc_lo, v[23:24], v[25:26]
	s_and_b32 s35, vcc_lo, exec_lo
	s_delay_alu instid0(SALU_CYCLE_1)
	s_or_b32 s35, s0, s35
.LBB577_246:                            ;   in Loop: Header=BB577_247 Depth=1
	v_dual_mov_b32 v24, s7 :: v_dual_mov_b32 v23, s6
	s_and_b32 s0, exec_lo, s35
	s_delay_alu instid0(SALU_CYCLE_1) | instskip(NEXT) | instid1(SALU_CYCLE_1)
	s_or_b32 s31, s0, s31
	s_and_not1_b32 exec_lo, exec_lo, s31
	s_cbranch_execz .LBB577_249
.LBB577_247:                            ; =>This Inner Loop Header: Depth=1
	s_or_b32 s35, s35, exec_lo
	s_cmp_eq_u64 s[4:5], s[6:7]
	s_cbranch_scc0 .LBB577_245
; %bb.248:                              ;   in Loop: Header=BB577_247 Depth=1
	s_mov_b64 s[6:7], s[14:15]
                                        ; implicit-def: $vgpr17_vgpr18
                                        ; implicit-def: $vgpr21_vgpr22
	s_branch .LBB577_246
.LBB577_249:
	s_set_inst_prefetch_distance 0x2
	s_or_b32 exec_lo, exec_lo, s31
	v_cmp_gt_i64_e32 vcc_lo, s[14:15], v[23:24]
	s_or_not1_b32 s31, vcc_lo, exec_lo
.LBB577_250:
	s_or_b32 exec_lo, exec_lo, s34
.LBB577_251:
	v_mul_lo_u32 v21, v14, s14
	v_mul_lo_u32 v22, v13, s15
	v_mad_u64_u32 v[17:18], null, v13, s14, 0
	s_and_not1_b32 vcc_lo, exec_lo, s26
	s_mov_b32 s0, 0
	s_delay_alu instid0(VALU_DEP_1)
	v_add3_u32 v18, v18, v22, v21
	s_cbranch_vccnz .LBB577_260
; %bb.252:
	s_delay_alu instid0(VALU_DEP_1) | instskip(SKIP_2) | instid1(VALU_DEP_1)
	v_lshlrev_b64 v[21:22], 3, v[17:18]
	s_mov_b32 s0, -1
	s_mov_b32 s34, exec_lo
	v_add_co_u32 v21, vcc_lo, s16, v21
	s_delay_alu instid0(VALU_DEP_2)
	v_add_co_ci_u32_e32 v22, vcc_lo, s17, v22, vcc_lo
	v_add_co_u32 v19, vcc_lo, s16, v19
	v_add_co_ci_u32_e32 v20, vcc_lo, s17, v20, vcc_lo
	s_clause 0x1
	global_load_b64 v[23:24], v[21:22], off
	global_load_b64 v[25:26], v[19:20], off
	s_waitcnt vmcnt(0)
	v_cmpx_eq_u64_e64 v[23:24], v[25:26]
	s_cbranch_execz .LBB577_259
; %bb.253:
	v_add_co_u32 v19, vcc_lo, v19, 8
	v_add_co_ci_u32_e32 v20, vcc_lo, 0, v20, vcc_lo
	v_add_co_u32 v21, vcc_lo, v21, 8
	v_add_co_ci_u32_e32 v22, vcc_lo, 0, v22, vcc_lo
	s_add_u32 s4, s14, -1
	s_addc_u32 s5, s15, -1
	s_mov_b64 s[6:7], 0
	s_mov_b32 s35, 0
                                        ; implicit-def: $sgpr36
	s_set_inst_prefetch_distance 0x1
	s_branch .LBB577_256
	.p2align	6
.LBB577_254:                            ;   in Loop: Header=BB577_256 Depth=1
	global_load_b64 v[23:24], v[21:22], off
	global_load_b64 v[25:26], v[19:20], off
	v_add_co_u32 v19, vcc_lo, v19, 8
	v_add_co_ci_u32_e32 v20, vcc_lo, 0, v20, vcc_lo
	v_add_co_u32 v21, s0, v21, 8
	s_delay_alu instid0(VALU_DEP_1)
	v_add_co_ci_u32_e64 v22, s0, 0, v22, s0
	s_add_u32 s6, s6, 1
	s_addc_u32 s7, s7, 0
	s_and_not1_b32 s0, s36, exec_lo
	s_waitcnt vmcnt(0)
	v_cmp_ne_u64_e32 vcc_lo, v[23:24], v[25:26]
	s_and_b32 s36, vcc_lo, exec_lo
	s_delay_alu instid0(SALU_CYCLE_1)
	s_or_b32 s36, s0, s36
.LBB577_255:                            ;   in Loop: Header=BB577_256 Depth=1
	v_dual_mov_b32 v24, s7 :: v_dual_mov_b32 v23, s6
	s_and_b32 s0, exec_lo, s36
	s_delay_alu instid0(SALU_CYCLE_1) | instskip(NEXT) | instid1(SALU_CYCLE_1)
	s_or_b32 s35, s0, s35
	s_and_not1_b32 exec_lo, exec_lo, s35
	s_cbranch_execz .LBB577_258
.LBB577_256:                            ; =>This Inner Loop Header: Depth=1
	s_or_b32 s36, s36, exec_lo
	s_cmp_eq_u64 s[4:5], s[6:7]
	s_cbranch_scc0 .LBB577_254
; %bb.257:                              ;   in Loop: Header=BB577_256 Depth=1
	s_mov_b64 s[6:7], s[14:15]
                                        ; implicit-def: $vgpr19_vgpr20
                                        ; implicit-def: $vgpr21_vgpr22
	s_branch .LBB577_255
.LBB577_258:
	s_set_inst_prefetch_distance 0x2
	s_or_b32 exec_lo, exec_lo, s35
	v_cmp_gt_i64_e32 vcc_lo, s[14:15], v[23:24]
	s_or_not1_b32 s0, vcc_lo, exec_lo
.LBB577_259:
	s_or_b32 exec_lo, exec_lo, s34
.LBB577_260:
	v_cndmask_b32_e64 v20, 0, 1, s33
	v_cndmask_b32_e64 v21, 0, 1, s30
	;; [unrolled: 1-line block ×7, first 2 shown]
	v_lshlrev_b16 v21, 8, v21
	v_lshlrev_b16 v22, 8, v22
	;; [unrolled: 1-line block ×4, first 2 shown]
	s_waitcnt lgkmcnt(0)
	v_or_b32_e32 v21, v24, v21
	v_or_b32_e32 v22, v25, v22
	;; [unrolled: 1-line block ×4, first 2 shown]
	s_barrier
	v_and_b32_e32 v20, 0xffff, v21
	v_lshlrev_b32_e32 v21, 16, v22
	v_and_b32_e32 v22, 0xffff, v23
	v_lshlrev_b32_e32 v19, 16, v19
	buffer_gl0_inv
                                        ; implicit-def: $sgpr0
	v_or_b32_e32 v20, v20, v21
	v_or_b32_e32 v19, v22, v19
	s_and_saveexec_b32 s4, s3
	s_delay_alu instid0(SALU_CYCLE_1)
	s_xor_b32 s27, exec_lo, s4
	s_cbranch_execz .LBB577_271
; %bb.261:
	s_and_not1_b32 vcc_lo, exec_lo, s26
	s_mov_b32 s0, 0
	s_cbranch_vccnz .LBB577_270
; %bb.262:
	v_add_nc_u32_e32 v21, -8, v39
	v_lshlrev_b64 v[17:18], 3, v[17:18]
	s_mov_b32 s0, -1
	s_mov_b32 s28, exec_lo
	ds_load_b64 v[21:22], v21
	s_waitcnt lgkmcnt(0)
	v_mul_lo_u32 v24, v22, s14
	v_mul_lo_u32 v25, v21, s15
	v_mad_u64_u32 v[22:23], null, v21, s14, 0
	s_delay_alu instid0(VALU_DEP_1) | instskip(NEXT) | instid1(VALU_DEP_1)
	v_add3_u32 v23, v23, v25, v24
	v_lshlrev_b64 v[21:22], 3, v[22:23]
	s_delay_alu instid0(VALU_DEP_1) | instskip(NEXT) | instid1(VALU_DEP_2)
	v_add_co_u32 v21, vcc_lo, s16, v21
	v_add_co_ci_u32_e32 v22, vcc_lo, s17, v22, vcc_lo
	v_add_co_u32 v17, vcc_lo, s16, v17
	v_add_co_ci_u32_e32 v18, vcc_lo, s17, v18, vcc_lo
	s_clause 0x1
	global_load_b64 v[23:24], v[21:22], off
	global_load_b64 v[25:26], v[17:18], off
	s_waitcnt vmcnt(0)
	v_cmpx_eq_u64_e64 v[23:24], v[25:26]
	s_cbranch_execz .LBB577_269
; %bb.263:
	v_add_co_u32 v17, vcc_lo, v17, 8
	v_add_co_ci_u32_e32 v18, vcc_lo, 0, v18, vcc_lo
	v_add_co_u32 v21, vcc_lo, v21, 8
	v_add_co_ci_u32_e32 v22, vcc_lo, 0, v22, vcc_lo
	s_add_u32 s4, s14, -1
	s_addc_u32 s5, s15, -1
	s_mov_b64 s[6:7], 0
	s_mov_b32 s29, 0
                                        ; implicit-def: $sgpr30
	s_set_inst_prefetch_distance 0x1
	s_branch .LBB577_266
	.p2align	6
.LBB577_264:                            ;   in Loop: Header=BB577_266 Depth=1
	global_load_b64 v[23:24], v[21:22], off
	global_load_b64 v[25:26], v[17:18], off
	v_add_co_u32 v17, vcc_lo, v17, 8
	v_add_co_ci_u32_e32 v18, vcc_lo, 0, v18, vcc_lo
	v_add_co_u32 v21, s0, v21, 8
	s_delay_alu instid0(VALU_DEP_1)
	v_add_co_ci_u32_e64 v22, s0, 0, v22, s0
	s_add_u32 s6, s6, 1
	s_addc_u32 s7, s7, 0
	s_and_not1_b32 s0, s30, exec_lo
	s_waitcnt vmcnt(0)
	v_cmp_ne_u64_e32 vcc_lo, v[23:24], v[25:26]
	s_and_b32 s30, vcc_lo, exec_lo
	s_delay_alu instid0(SALU_CYCLE_1)
	s_or_b32 s30, s0, s30
.LBB577_265:                            ;   in Loop: Header=BB577_266 Depth=1
	v_dual_mov_b32 v24, s7 :: v_dual_mov_b32 v23, s6
	s_and_b32 s0, exec_lo, s30
	s_delay_alu instid0(SALU_CYCLE_1) | instskip(NEXT) | instid1(SALU_CYCLE_1)
	s_or_b32 s29, s0, s29
	s_and_not1_b32 exec_lo, exec_lo, s29
	s_cbranch_execz .LBB577_268
.LBB577_266:                            ; =>This Inner Loop Header: Depth=1
	s_or_b32 s30, s30, exec_lo
	s_cmp_eq_u64 s[4:5], s[6:7]
	s_cbranch_scc0 .LBB577_264
; %bb.267:                              ;   in Loop: Header=BB577_266 Depth=1
	s_mov_b64 s[6:7], s[14:15]
                                        ; implicit-def: $vgpr17_vgpr18
                                        ; implicit-def: $vgpr21_vgpr22
	s_branch .LBB577_265
.LBB577_268:
	s_set_inst_prefetch_distance 0x2
	s_or_b32 exec_lo, exec_lo, s29
	v_cmp_gt_i64_e32 vcc_lo, s[14:15], v[23:24]
	s_or_not1_b32 s0, vcc_lo, exec_lo
.LBB577_269:
	s_or_b32 exec_lo, exec_lo, s28
.LBB577_270:
	s_delay_alu instid0(SALU_CYCLE_1)
	s_and_b32 s0, s0, exec_lo
	s_or_b32 s25, s25, exec_lo
.LBB577_271:
	s_or_b32 exec_lo, exec_lo, s27
	s_branch .LBB577_363
.LBB577_272:
	s_waitcnt vmcnt(0) lgkmcnt(1)
	v_or_b32_e32 v17, 7, v39
	s_mov_b32 s27, 0
	s_mov_b32 s28, 0
	s_mov_b32 s29, exec_lo
	s_delay_alu instid0(VALU_DEP_1)
	v_cmpx_gt_u32_e64 s12, v17
	s_cbranch_execz .LBB577_283
; %bb.273:
	s_and_not1_b32 vcc_lo, exec_lo, s26
	s_mov_b32 s0, 0
	s_cbranch_vccnz .LBB577_282
; %bb.274:
	v_mul_lo_u32 v21, v2, s14
	v_mul_lo_u32 v22, v1, s15
	v_mad_u64_u32 v[17:18], null, v1, s14, 0
	v_mul_lo_u32 v23, v4, s14
	v_mul_lo_u32 v24, v3, s15
	v_mad_u64_u32 v[19:20], null, v3, s14, 0
	s_mov_b32 s0, -1
	s_mov_b32 s28, exec_lo
	s_delay_alu instid0(VALU_DEP_4) | instskip(NEXT) | instid1(VALU_DEP_2)
	v_add3_u32 v18, v18, v22, v21
	v_add3_u32 v20, v20, v24, v23
	s_delay_alu instid0(VALU_DEP_2) | instskip(NEXT) | instid1(VALU_DEP_2)
	v_lshlrev_b64 v[17:18], 3, v[17:18]
	v_lshlrev_b64 v[21:22], 3, v[19:20]
	s_delay_alu instid0(VALU_DEP_2) | instskip(NEXT) | instid1(VALU_DEP_3)
	v_add_co_u32 v19, vcc_lo, s16, v17
	v_add_co_ci_u32_e32 v20, vcc_lo, s17, v18, vcc_lo
	s_delay_alu instid0(VALU_DEP_3) | instskip(NEXT) | instid1(VALU_DEP_4)
	v_add_co_u32 v17, vcc_lo, s16, v21
	v_add_co_ci_u32_e32 v18, vcc_lo, s17, v22, vcc_lo
	s_clause 0x1
	global_load_b64 v[21:22], v[19:20], off
	global_load_b64 v[23:24], v[17:18], off
	s_waitcnt vmcnt(0)
	v_cmpx_eq_u64_e64 v[21:22], v[23:24]
	s_cbranch_execz .LBB577_281
; %bb.275:
	v_add_co_u32 v17, vcc_lo, v17, 8
	v_add_co_ci_u32_e32 v18, vcc_lo, 0, v18, vcc_lo
	v_add_co_u32 v19, vcc_lo, v19, 8
	v_add_co_ci_u32_e32 v20, vcc_lo, 0, v20, vcc_lo
	s_add_u32 s4, s14, -1
	s_addc_u32 s5, s15, -1
	s_mov_b64 s[6:7], 0
	s_mov_b32 s30, 0
                                        ; implicit-def: $sgpr31
	s_set_inst_prefetch_distance 0x1
	s_branch .LBB577_278
	.p2align	6
.LBB577_276:                            ;   in Loop: Header=BB577_278 Depth=1
	global_load_b64 v[21:22], v[19:20], off
	global_load_b64 v[23:24], v[17:18], off
	v_add_co_u32 v17, vcc_lo, v17, 8
	v_add_co_ci_u32_e32 v18, vcc_lo, 0, v18, vcc_lo
	v_add_co_u32 v19, s0, v19, 8
	s_delay_alu instid0(VALU_DEP_1)
	v_add_co_ci_u32_e64 v20, s0, 0, v20, s0
	s_add_u32 s6, s6, 1
	s_addc_u32 s7, s7, 0
	s_and_not1_b32 s0, s31, exec_lo
	s_waitcnt vmcnt(0)
	v_cmp_ne_u64_e32 vcc_lo, v[21:22], v[23:24]
	s_and_b32 s31, vcc_lo, exec_lo
	s_delay_alu instid0(SALU_CYCLE_1)
	s_or_b32 s31, s0, s31
.LBB577_277:                            ;   in Loop: Header=BB577_278 Depth=1
	v_dual_mov_b32 v22, s7 :: v_dual_mov_b32 v21, s6
	s_and_b32 s0, exec_lo, s31
	s_delay_alu instid0(SALU_CYCLE_1) | instskip(NEXT) | instid1(SALU_CYCLE_1)
	s_or_b32 s30, s0, s30
	s_and_not1_b32 exec_lo, exec_lo, s30
	s_cbranch_execz .LBB577_280
.LBB577_278:                            ; =>This Inner Loop Header: Depth=1
	s_or_b32 s31, s31, exec_lo
	s_cmp_eq_u64 s[4:5], s[6:7]
	s_cbranch_scc0 .LBB577_276
; %bb.279:                              ;   in Loop: Header=BB577_278 Depth=1
	s_mov_b64 s[6:7], s[14:15]
                                        ; implicit-def: $vgpr17_vgpr18
                                        ; implicit-def: $vgpr19_vgpr20
	s_branch .LBB577_277
.LBB577_280:
	s_set_inst_prefetch_distance 0x2
	s_or_b32 exec_lo, exec_lo, s30
	v_cmp_gt_i64_e32 vcc_lo, s[14:15], v[21:22]
	s_or_not1_b32 s0, vcc_lo, exec_lo
.LBB577_281:
	s_or_b32 exec_lo, exec_lo, s28
.LBB577_282:
	s_delay_alu instid0(SALU_CYCLE_1)
	s_and_b32 s28, s0, exec_lo
.LBB577_283:
	s_or_b32 exec_lo, exec_lo, s29
	v_or_b32_e32 v17, 6, v39
	s_mov_b32 s29, exec_lo
	s_delay_alu instid0(VALU_DEP_1)
	v_cmpx_gt_u32_e64 s12, v17
	s_cbranch_execz .LBB577_294
; %bb.284:
	s_and_not1_b32 vcc_lo, exec_lo, s26
	s_mov_b32 s0, 0
	s_cbranch_vccnz .LBB577_293
; %bb.285:
	v_mul_lo_u32 v21, v8, s14
	v_mul_lo_u32 v22, v7, s15
	v_mad_u64_u32 v[17:18], null, v7, s14, 0
	v_mul_lo_u32 v23, v2, s14
	v_mul_lo_u32 v24, v1, s15
	v_mad_u64_u32 v[19:20], null, v1, s14, 0
	s_mov_b32 s0, -1
	s_mov_b32 s27, exec_lo
	s_delay_alu instid0(VALU_DEP_4) | instskip(NEXT) | instid1(VALU_DEP_2)
	v_add3_u32 v18, v18, v22, v21
	v_add3_u32 v20, v20, v24, v23
	s_delay_alu instid0(VALU_DEP_2) | instskip(NEXT) | instid1(VALU_DEP_2)
	v_lshlrev_b64 v[17:18], 3, v[17:18]
	v_lshlrev_b64 v[21:22], 3, v[19:20]
	s_delay_alu instid0(VALU_DEP_2) | instskip(NEXT) | instid1(VALU_DEP_3)
	v_add_co_u32 v19, vcc_lo, s16, v17
	v_add_co_ci_u32_e32 v20, vcc_lo, s17, v18, vcc_lo
	s_delay_alu instid0(VALU_DEP_3) | instskip(NEXT) | instid1(VALU_DEP_4)
	v_add_co_u32 v17, vcc_lo, s16, v21
	v_add_co_ci_u32_e32 v18, vcc_lo, s17, v22, vcc_lo
	s_clause 0x1
	global_load_b64 v[21:22], v[19:20], off
	global_load_b64 v[23:24], v[17:18], off
	s_waitcnt vmcnt(0)
	v_cmpx_eq_u64_e64 v[21:22], v[23:24]
	s_cbranch_execz .LBB577_292
; %bb.286:
	v_add_co_u32 v17, vcc_lo, v17, 8
	v_add_co_ci_u32_e32 v18, vcc_lo, 0, v18, vcc_lo
	v_add_co_u32 v19, vcc_lo, v19, 8
	v_add_co_ci_u32_e32 v20, vcc_lo, 0, v20, vcc_lo
	s_add_u32 s4, s14, -1
	s_addc_u32 s5, s15, -1
	s_mov_b64 s[6:7], 0
	s_mov_b32 s30, 0
                                        ; implicit-def: $sgpr31
	s_set_inst_prefetch_distance 0x1
	s_branch .LBB577_289
	.p2align	6
.LBB577_287:                            ;   in Loop: Header=BB577_289 Depth=1
	global_load_b64 v[21:22], v[19:20], off
	global_load_b64 v[23:24], v[17:18], off
	v_add_co_u32 v17, vcc_lo, v17, 8
	v_add_co_ci_u32_e32 v18, vcc_lo, 0, v18, vcc_lo
	v_add_co_u32 v19, s0, v19, 8
	s_delay_alu instid0(VALU_DEP_1)
	v_add_co_ci_u32_e64 v20, s0, 0, v20, s0
	s_add_u32 s6, s6, 1
	s_addc_u32 s7, s7, 0
	s_and_not1_b32 s0, s31, exec_lo
	s_waitcnt vmcnt(0)
	v_cmp_ne_u64_e32 vcc_lo, v[21:22], v[23:24]
	s_and_b32 s31, vcc_lo, exec_lo
	s_delay_alu instid0(SALU_CYCLE_1)
	s_or_b32 s31, s0, s31
.LBB577_288:                            ;   in Loop: Header=BB577_289 Depth=1
	v_dual_mov_b32 v22, s7 :: v_dual_mov_b32 v21, s6
	s_and_b32 s0, exec_lo, s31
	s_delay_alu instid0(SALU_CYCLE_1) | instskip(NEXT) | instid1(SALU_CYCLE_1)
	s_or_b32 s30, s0, s30
	s_and_not1_b32 exec_lo, exec_lo, s30
	s_cbranch_execz .LBB577_291
.LBB577_289:                            ; =>This Inner Loop Header: Depth=1
	s_or_b32 s31, s31, exec_lo
	s_cmp_eq_u64 s[4:5], s[6:7]
	s_cbranch_scc0 .LBB577_287
; %bb.290:                              ;   in Loop: Header=BB577_289 Depth=1
	s_mov_b64 s[6:7], s[14:15]
                                        ; implicit-def: $vgpr17_vgpr18
                                        ; implicit-def: $vgpr19_vgpr20
	s_branch .LBB577_288
.LBB577_291:
	s_set_inst_prefetch_distance 0x2
	s_or_b32 exec_lo, exec_lo, s30
	v_cmp_gt_i64_e32 vcc_lo, s[14:15], v[21:22]
	s_or_not1_b32 s0, vcc_lo, exec_lo
.LBB577_292:
	s_or_b32 exec_lo, exec_lo, s27
.LBB577_293:
	s_delay_alu instid0(SALU_CYCLE_1)
	s_and_b32 s27, s0, exec_lo
.LBB577_294:
	s_or_b32 exec_lo, exec_lo, s29
	v_or_b32_e32 v17, 5, v39
	s_mov_b32 s29, 0
	s_mov_b32 s30, 0
	s_mov_b32 s31, exec_lo
	s_delay_alu instid0(VALU_DEP_1)
	v_cmpx_gt_u32_e64 s12, v17
	s_cbranch_execz .LBB577_305
; %bb.295:
	s_and_not1_b32 vcc_lo, exec_lo, s26
	s_mov_b32 s0, 0
	s_cbranch_vccnz .LBB577_304
; %bb.296:
	v_mul_lo_u32 v21, v6, s14
	v_mul_lo_u32 v22, v5, s15
	v_mad_u64_u32 v[17:18], null, v5, s14, 0
	v_mul_lo_u32 v23, v8, s14
	v_mul_lo_u32 v24, v7, s15
	v_mad_u64_u32 v[19:20], null, v7, s14, 0
	s_mov_b32 s0, -1
	s_mov_b32 s30, exec_lo
	s_delay_alu instid0(VALU_DEP_4) | instskip(NEXT) | instid1(VALU_DEP_2)
	v_add3_u32 v18, v18, v22, v21
	v_add3_u32 v20, v20, v24, v23
	s_delay_alu instid0(VALU_DEP_2) | instskip(NEXT) | instid1(VALU_DEP_2)
	v_lshlrev_b64 v[17:18], 3, v[17:18]
	v_lshlrev_b64 v[21:22], 3, v[19:20]
	s_delay_alu instid0(VALU_DEP_2) | instskip(NEXT) | instid1(VALU_DEP_3)
	v_add_co_u32 v19, vcc_lo, s16, v17
	v_add_co_ci_u32_e32 v20, vcc_lo, s17, v18, vcc_lo
	s_delay_alu instid0(VALU_DEP_3) | instskip(NEXT) | instid1(VALU_DEP_4)
	v_add_co_u32 v17, vcc_lo, s16, v21
	v_add_co_ci_u32_e32 v18, vcc_lo, s17, v22, vcc_lo
	s_clause 0x1
	global_load_b64 v[21:22], v[19:20], off
	global_load_b64 v[23:24], v[17:18], off
	s_waitcnt vmcnt(0)
	v_cmpx_eq_u64_e64 v[21:22], v[23:24]
	s_cbranch_execz .LBB577_303
; %bb.297:
	v_add_co_u32 v17, vcc_lo, v17, 8
	v_add_co_ci_u32_e32 v18, vcc_lo, 0, v18, vcc_lo
	v_add_co_u32 v19, vcc_lo, v19, 8
	v_add_co_ci_u32_e32 v20, vcc_lo, 0, v20, vcc_lo
	s_add_u32 s4, s14, -1
	s_addc_u32 s5, s15, -1
	s_mov_b64 s[6:7], 0
	s_mov_b32 s33, 0
                                        ; implicit-def: $sgpr34
	s_set_inst_prefetch_distance 0x1
	s_branch .LBB577_300
	.p2align	6
.LBB577_298:                            ;   in Loop: Header=BB577_300 Depth=1
	global_load_b64 v[21:22], v[19:20], off
	global_load_b64 v[23:24], v[17:18], off
	v_add_co_u32 v17, vcc_lo, v17, 8
	v_add_co_ci_u32_e32 v18, vcc_lo, 0, v18, vcc_lo
	v_add_co_u32 v19, s0, v19, 8
	s_delay_alu instid0(VALU_DEP_1)
	v_add_co_ci_u32_e64 v20, s0, 0, v20, s0
	s_add_u32 s6, s6, 1
	s_addc_u32 s7, s7, 0
	s_and_not1_b32 s0, s34, exec_lo
	s_waitcnt vmcnt(0)
	v_cmp_ne_u64_e32 vcc_lo, v[21:22], v[23:24]
	s_and_b32 s34, vcc_lo, exec_lo
	s_delay_alu instid0(SALU_CYCLE_1)
	s_or_b32 s34, s0, s34
.LBB577_299:                            ;   in Loop: Header=BB577_300 Depth=1
	v_dual_mov_b32 v22, s7 :: v_dual_mov_b32 v21, s6
	s_and_b32 s0, exec_lo, s34
	s_delay_alu instid0(SALU_CYCLE_1) | instskip(NEXT) | instid1(SALU_CYCLE_1)
	s_or_b32 s33, s0, s33
	s_and_not1_b32 exec_lo, exec_lo, s33
	s_cbranch_execz .LBB577_302
.LBB577_300:                            ; =>This Inner Loop Header: Depth=1
	s_or_b32 s34, s34, exec_lo
	s_cmp_eq_u64 s[4:5], s[6:7]
	s_cbranch_scc0 .LBB577_298
; %bb.301:                              ;   in Loop: Header=BB577_300 Depth=1
	s_mov_b64 s[6:7], s[14:15]
                                        ; implicit-def: $vgpr17_vgpr18
                                        ; implicit-def: $vgpr19_vgpr20
	s_branch .LBB577_299
.LBB577_302:
	s_set_inst_prefetch_distance 0x2
	s_or_b32 exec_lo, exec_lo, s33
	v_cmp_gt_i64_e32 vcc_lo, s[14:15], v[21:22]
	s_or_not1_b32 s0, vcc_lo, exec_lo
.LBB577_303:
	s_or_b32 exec_lo, exec_lo, s30
.LBB577_304:
	s_delay_alu instid0(SALU_CYCLE_1)
	s_and_b32 s30, s0, exec_lo
.LBB577_305:
	s_or_b32 exec_lo, exec_lo, s31
	v_or_b32_e32 v17, 4, v39
	s_mov_b32 s31, exec_lo
	s_delay_alu instid0(VALU_DEP_1)
	v_cmpx_gt_u32_e64 s12, v17
	s_cbranch_execz .LBB577_316
; %bb.306:
	s_and_not1_b32 vcc_lo, exec_lo, s26
	s_mov_b32 s0, 0
	s_cbranch_vccnz .LBB577_315
; %bb.307:
	v_mul_lo_u32 v21, v12, s14
	v_mul_lo_u32 v22, v11, s15
	v_mad_u64_u32 v[17:18], null, v11, s14, 0
	v_mul_lo_u32 v23, v6, s14
	v_mul_lo_u32 v24, v5, s15
	v_mad_u64_u32 v[19:20], null, v5, s14, 0
	s_mov_b32 s0, -1
	s_mov_b32 s29, exec_lo
	s_delay_alu instid0(VALU_DEP_4) | instskip(NEXT) | instid1(VALU_DEP_2)
	v_add3_u32 v18, v18, v22, v21
	v_add3_u32 v20, v20, v24, v23
	s_delay_alu instid0(VALU_DEP_2) | instskip(NEXT) | instid1(VALU_DEP_2)
	v_lshlrev_b64 v[17:18], 3, v[17:18]
	v_lshlrev_b64 v[21:22], 3, v[19:20]
	s_delay_alu instid0(VALU_DEP_2) | instskip(NEXT) | instid1(VALU_DEP_3)
	v_add_co_u32 v19, vcc_lo, s16, v17
	v_add_co_ci_u32_e32 v20, vcc_lo, s17, v18, vcc_lo
	s_delay_alu instid0(VALU_DEP_3) | instskip(NEXT) | instid1(VALU_DEP_4)
	v_add_co_u32 v17, vcc_lo, s16, v21
	v_add_co_ci_u32_e32 v18, vcc_lo, s17, v22, vcc_lo
	s_clause 0x1
	global_load_b64 v[21:22], v[19:20], off
	global_load_b64 v[23:24], v[17:18], off
	s_waitcnt vmcnt(0)
	v_cmpx_eq_u64_e64 v[21:22], v[23:24]
	s_cbranch_execz .LBB577_314
; %bb.308:
	v_add_co_u32 v17, vcc_lo, v17, 8
	v_add_co_ci_u32_e32 v18, vcc_lo, 0, v18, vcc_lo
	v_add_co_u32 v19, vcc_lo, v19, 8
	v_add_co_ci_u32_e32 v20, vcc_lo, 0, v20, vcc_lo
	s_add_u32 s4, s14, -1
	s_addc_u32 s5, s15, -1
	s_mov_b64 s[6:7], 0
	s_mov_b32 s33, 0
                                        ; implicit-def: $sgpr34
	s_set_inst_prefetch_distance 0x1
	s_branch .LBB577_311
	.p2align	6
.LBB577_309:                            ;   in Loop: Header=BB577_311 Depth=1
	global_load_b64 v[21:22], v[19:20], off
	global_load_b64 v[23:24], v[17:18], off
	v_add_co_u32 v17, vcc_lo, v17, 8
	v_add_co_ci_u32_e32 v18, vcc_lo, 0, v18, vcc_lo
	v_add_co_u32 v19, s0, v19, 8
	s_delay_alu instid0(VALU_DEP_1)
	v_add_co_ci_u32_e64 v20, s0, 0, v20, s0
	s_add_u32 s6, s6, 1
	s_addc_u32 s7, s7, 0
	s_and_not1_b32 s0, s34, exec_lo
	s_waitcnt vmcnt(0)
	v_cmp_ne_u64_e32 vcc_lo, v[21:22], v[23:24]
	s_and_b32 s34, vcc_lo, exec_lo
	s_delay_alu instid0(SALU_CYCLE_1)
	s_or_b32 s34, s0, s34
.LBB577_310:                            ;   in Loop: Header=BB577_311 Depth=1
	v_dual_mov_b32 v22, s7 :: v_dual_mov_b32 v21, s6
	s_and_b32 s0, exec_lo, s34
	s_delay_alu instid0(SALU_CYCLE_1) | instskip(NEXT) | instid1(SALU_CYCLE_1)
	s_or_b32 s33, s0, s33
	s_and_not1_b32 exec_lo, exec_lo, s33
	s_cbranch_execz .LBB577_313
.LBB577_311:                            ; =>This Inner Loop Header: Depth=1
	s_or_b32 s34, s34, exec_lo
	s_cmp_eq_u64 s[4:5], s[6:7]
	s_cbranch_scc0 .LBB577_309
; %bb.312:                              ;   in Loop: Header=BB577_311 Depth=1
	s_mov_b64 s[6:7], s[14:15]
                                        ; implicit-def: $vgpr17_vgpr18
                                        ; implicit-def: $vgpr19_vgpr20
	s_branch .LBB577_310
.LBB577_313:
	s_set_inst_prefetch_distance 0x2
	s_or_b32 exec_lo, exec_lo, s33
	v_cmp_gt_i64_e32 vcc_lo, s[14:15], v[21:22]
	s_or_not1_b32 s0, vcc_lo, exec_lo
.LBB577_314:
	s_or_b32 exec_lo, exec_lo, s29
.LBB577_315:
	s_delay_alu instid0(SALU_CYCLE_1)
	s_and_b32 s29, s0, exec_lo
.LBB577_316:
	s_or_b32 exec_lo, exec_lo, s31
	v_or_b32_e32 v17, 3, v39
	s_mov_b32 s33, 0
	s_mov_b32 s31, 0
	s_mov_b32 s34, exec_lo
	s_delay_alu instid0(VALU_DEP_1)
	v_cmpx_gt_u32_e64 s12, v17
	s_cbranch_execz .LBB577_327
; %bb.317:
	s_and_not1_b32 vcc_lo, exec_lo, s26
	s_mov_b32 s0, 0
	s_cbranch_vccnz .LBB577_326
; %bb.318:
	v_mul_lo_u32 v21, v10, s14
	v_mul_lo_u32 v22, v9, s15
	v_mad_u64_u32 v[17:18], null, v9, s14, 0
	v_mul_lo_u32 v23, v12, s14
	v_mul_lo_u32 v24, v11, s15
	v_mad_u64_u32 v[19:20], null, v11, s14, 0
	s_mov_b32 s0, -1
	s_mov_b32 s31, exec_lo
	s_delay_alu instid0(VALU_DEP_4) | instskip(NEXT) | instid1(VALU_DEP_2)
	v_add3_u32 v18, v18, v22, v21
	v_add3_u32 v20, v20, v24, v23
	s_delay_alu instid0(VALU_DEP_2) | instskip(NEXT) | instid1(VALU_DEP_2)
	v_lshlrev_b64 v[17:18], 3, v[17:18]
	v_lshlrev_b64 v[21:22], 3, v[19:20]
	s_delay_alu instid0(VALU_DEP_2) | instskip(NEXT) | instid1(VALU_DEP_3)
	v_add_co_u32 v19, vcc_lo, s16, v17
	v_add_co_ci_u32_e32 v20, vcc_lo, s17, v18, vcc_lo
	s_delay_alu instid0(VALU_DEP_3) | instskip(NEXT) | instid1(VALU_DEP_4)
	v_add_co_u32 v17, vcc_lo, s16, v21
	v_add_co_ci_u32_e32 v18, vcc_lo, s17, v22, vcc_lo
	s_clause 0x1
	global_load_b64 v[21:22], v[19:20], off
	global_load_b64 v[23:24], v[17:18], off
	s_waitcnt vmcnt(0)
	v_cmpx_eq_u64_e64 v[21:22], v[23:24]
	s_cbranch_execz .LBB577_325
; %bb.319:
	v_add_co_u32 v17, vcc_lo, v17, 8
	v_add_co_ci_u32_e32 v18, vcc_lo, 0, v18, vcc_lo
	v_add_co_u32 v19, vcc_lo, v19, 8
	v_add_co_ci_u32_e32 v20, vcc_lo, 0, v20, vcc_lo
	s_add_u32 s4, s14, -1
	s_addc_u32 s5, s15, -1
	s_mov_b64 s[6:7], 0
	s_mov_b32 s35, 0
                                        ; implicit-def: $sgpr36
	s_set_inst_prefetch_distance 0x1
	s_branch .LBB577_322
	.p2align	6
.LBB577_320:                            ;   in Loop: Header=BB577_322 Depth=1
	global_load_b64 v[21:22], v[19:20], off
	global_load_b64 v[23:24], v[17:18], off
	v_add_co_u32 v17, vcc_lo, v17, 8
	v_add_co_ci_u32_e32 v18, vcc_lo, 0, v18, vcc_lo
	v_add_co_u32 v19, s0, v19, 8
	s_delay_alu instid0(VALU_DEP_1)
	v_add_co_ci_u32_e64 v20, s0, 0, v20, s0
	s_add_u32 s6, s6, 1
	s_addc_u32 s7, s7, 0
	s_and_not1_b32 s0, s36, exec_lo
	s_waitcnt vmcnt(0)
	v_cmp_ne_u64_e32 vcc_lo, v[21:22], v[23:24]
	s_and_b32 s36, vcc_lo, exec_lo
	s_delay_alu instid0(SALU_CYCLE_1)
	s_or_b32 s36, s0, s36
.LBB577_321:                            ;   in Loop: Header=BB577_322 Depth=1
	v_dual_mov_b32 v22, s7 :: v_dual_mov_b32 v21, s6
	s_and_b32 s0, exec_lo, s36
	s_delay_alu instid0(SALU_CYCLE_1) | instskip(NEXT) | instid1(SALU_CYCLE_1)
	s_or_b32 s35, s0, s35
	s_and_not1_b32 exec_lo, exec_lo, s35
	s_cbranch_execz .LBB577_324
.LBB577_322:                            ; =>This Inner Loop Header: Depth=1
	s_or_b32 s36, s36, exec_lo
	s_cmp_eq_u64 s[4:5], s[6:7]
	s_cbranch_scc0 .LBB577_320
; %bb.323:                              ;   in Loop: Header=BB577_322 Depth=1
	s_mov_b64 s[6:7], s[14:15]
                                        ; implicit-def: $vgpr17_vgpr18
                                        ; implicit-def: $vgpr19_vgpr20
	s_branch .LBB577_321
.LBB577_324:
	s_set_inst_prefetch_distance 0x2
	s_or_b32 exec_lo, exec_lo, s35
	v_cmp_gt_i64_e32 vcc_lo, s[14:15], v[21:22]
	s_or_not1_b32 s0, vcc_lo, exec_lo
.LBB577_325:
	s_or_b32 exec_lo, exec_lo, s31
.LBB577_326:
	s_delay_alu instid0(SALU_CYCLE_1)
	s_and_b32 s31, s0, exec_lo
.LBB577_327:
	s_or_b32 exec_lo, exec_lo, s34
	v_or_b32_e32 v17, 2, v39
	s_mov_b32 s34, exec_lo
	s_delay_alu instid0(VALU_DEP_1)
	v_cmpx_gt_u32_e64 s12, v17
	s_cbranch_execz .LBB577_338
; %bb.328:
	s_and_not1_b32 vcc_lo, exec_lo, s26
	s_mov_b32 s0, 0
	s_cbranch_vccnz .LBB577_337
; %bb.329:
	v_mul_lo_u32 v21, v16, s14
	v_mul_lo_u32 v22, v15, s15
	v_mad_u64_u32 v[17:18], null, v15, s14, 0
	v_mul_lo_u32 v23, v10, s14
	v_mul_lo_u32 v24, v9, s15
	v_mad_u64_u32 v[19:20], null, v9, s14, 0
	s_mov_b32 s0, -1
	s_mov_b32 s33, exec_lo
	s_delay_alu instid0(VALU_DEP_4) | instskip(NEXT) | instid1(VALU_DEP_2)
	v_add3_u32 v18, v18, v22, v21
	v_add3_u32 v20, v20, v24, v23
	s_delay_alu instid0(VALU_DEP_2) | instskip(NEXT) | instid1(VALU_DEP_2)
	v_lshlrev_b64 v[17:18], 3, v[17:18]
	v_lshlrev_b64 v[21:22], 3, v[19:20]
	s_delay_alu instid0(VALU_DEP_2) | instskip(NEXT) | instid1(VALU_DEP_3)
	v_add_co_u32 v19, vcc_lo, s16, v17
	v_add_co_ci_u32_e32 v20, vcc_lo, s17, v18, vcc_lo
	s_delay_alu instid0(VALU_DEP_3) | instskip(NEXT) | instid1(VALU_DEP_4)
	v_add_co_u32 v17, vcc_lo, s16, v21
	v_add_co_ci_u32_e32 v18, vcc_lo, s17, v22, vcc_lo
	s_clause 0x1
	global_load_b64 v[21:22], v[19:20], off
	global_load_b64 v[23:24], v[17:18], off
	s_waitcnt vmcnt(0)
	v_cmpx_eq_u64_e64 v[21:22], v[23:24]
	s_cbranch_execz .LBB577_336
; %bb.330:
	v_add_co_u32 v17, vcc_lo, v17, 8
	v_add_co_ci_u32_e32 v18, vcc_lo, 0, v18, vcc_lo
	v_add_co_u32 v19, vcc_lo, v19, 8
	v_add_co_ci_u32_e32 v20, vcc_lo, 0, v20, vcc_lo
	s_add_u32 s4, s14, -1
	s_addc_u32 s5, s15, -1
	s_mov_b64 s[6:7], 0
	s_mov_b32 s35, 0
                                        ; implicit-def: $sgpr36
	s_set_inst_prefetch_distance 0x1
	s_branch .LBB577_333
	.p2align	6
.LBB577_331:                            ;   in Loop: Header=BB577_333 Depth=1
	global_load_b64 v[21:22], v[19:20], off
	global_load_b64 v[23:24], v[17:18], off
	v_add_co_u32 v17, vcc_lo, v17, 8
	v_add_co_ci_u32_e32 v18, vcc_lo, 0, v18, vcc_lo
	v_add_co_u32 v19, s0, v19, 8
	s_delay_alu instid0(VALU_DEP_1)
	v_add_co_ci_u32_e64 v20, s0, 0, v20, s0
	s_add_u32 s6, s6, 1
	s_addc_u32 s7, s7, 0
	s_and_not1_b32 s0, s36, exec_lo
	s_waitcnt vmcnt(0)
	v_cmp_ne_u64_e32 vcc_lo, v[21:22], v[23:24]
	s_and_b32 s36, vcc_lo, exec_lo
	s_delay_alu instid0(SALU_CYCLE_1)
	s_or_b32 s36, s0, s36
.LBB577_332:                            ;   in Loop: Header=BB577_333 Depth=1
	v_dual_mov_b32 v22, s7 :: v_dual_mov_b32 v21, s6
	s_and_b32 s0, exec_lo, s36
	s_delay_alu instid0(SALU_CYCLE_1) | instskip(NEXT) | instid1(SALU_CYCLE_1)
	s_or_b32 s35, s0, s35
	s_and_not1_b32 exec_lo, exec_lo, s35
	s_cbranch_execz .LBB577_335
.LBB577_333:                            ; =>This Inner Loop Header: Depth=1
	s_or_b32 s36, s36, exec_lo
	s_cmp_eq_u64 s[4:5], s[6:7]
	s_cbranch_scc0 .LBB577_331
; %bb.334:                              ;   in Loop: Header=BB577_333 Depth=1
	s_mov_b64 s[6:7], s[14:15]
                                        ; implicit-def: $vgpr17_vgpr18
                                        ; implicit-def: $vgpr19_vgpr20
	s_branch .LBB577_332
.LBB577_335:
	s_set_inst_prefetch_distance 0x2
	s_or_b32 exec_lo, exec_lo, s35
	v_cmp_gt_i64_e32 vcc_lo, s[14:15], v[21:22]
	s_or_not1_b32 s0, vcc_lo, exec_lo
.LBB577_336:
	s_or_b32 exec_lo, exec_lo, s33
.LBB577_337:
	s_delay_alu instid0(SALU_CYCLE_1)
	s_and_b32 s33, s0, exec_lo
.LBB577_338:
	s_or_b32 exec_lo, exec_lo, s34
	v_or_b32_e32 v17, 1, v39
	s_mov_b32 s0, 0
	s_mov_b32 s34, exec_lo
	s_delay_alu instid0(VALU_DEP_1)
	v_cmpx_gt_u32_e64 s12, v17
	s_cbranch_execz .LBB577_349
; %bb.339:
	s_and_not1_b32 vcc_lo, exec_lo, s26
	s_cbranch_vccnz .LBB577_348
; %bb.340:
	v_mul_lo_u32 v21, v14, s14
	v_mul_lo_u32 v22, v13, s15
	v_mad_u64_u32 v[17:18], null, v13, s14, 0
	v_mul_lo_u32 v23, v16, s14
	v_mul_lo_u32 v24, v15, s15
	v_mad_u64_u32 v[19:20], null, v15, s14, 0
	s_mov_b32 s0, -1
	s_mov_b32 s35, exec_lo
	s_delay_alu instid0(VALU_DEP_4) | instskip(NEXT) | instid1(VALU_DEP_2)
	v_add3_u32 v18, v18, v22, v21
	v_add3_u32 v20, v20, v24, v23
	s_delay_alu instid0(VALU_DEP_2) | instskip(NEXT) | instid1(VALU_DEP_2)
	v_lshlrev_b64 v[17:18], 3, v[17:18]
	v_lshlrev_b64 v[21:22], 3, v[19:20]
	s_delay_alu instid0(VALU_DEP_2) | instskip(NEXT) | instid1(VALU_DEP_3)
	v_add_co_u32 v19, vcc_lo, s16, v17
	v_add_co_ci_u32_e32 v20, vcc_lo, s17, v18, vcc_lo
	s_delay_alu instid0(VALU_DEP_3) | instskip(NEXT) | instid1(VALU_DEP_4)
	v_add_co_u32 v17, vcc_lo, s16, v21
	v_add_co_ci_u32_e32 v18, vcc_lo, s17, v22, vcc_lo
	s_clause 0x1
	global_load_b64 v[21:22], v[19:20], off
	global_load_b64 v[23:24], v[17:18], off
	s_waitcnt vmcnt(0)
	v_cmpx_eq_u64_e64 v[21:22], v[23:24]
	s_cbranch_execz .LBB577_347
; %bb.341:
	v_add_co_u32 v17, vcc_lo, v17, 8
	v_add_co_ci_u32_e32 v18, vcc_lo, 0, v18, vcc_lo
	v_add_co_u32 v19, vcc_lo, v19, 8
	v_add_co_ci_u32_e32 v20, vcc_lo, 0, v20, vcc_lo
	s_add_u32 s4, s14, -1
	s_addc_u32 s5, s15, -1
	s_mov_b64 s[6:7], 0
	s_mov_b32 s36, 0
                                        ; implicit-def: $sgpr37
	s_set_inst_prefetch_distance 0x1
	s_branch .LBB577_344
	.p2align	6
.LBB577_342:                            ;   in Loop: Header=BB577_344 Depth=1
	global_load_b64 v[21:22], v[19:20], off
	global_load_b64 v[23:24], v[17:18], off
	v_add_co_u32 v17, vcc_lo, v17, 8
	v_add_co_ci_u32_e32 v18, vcc_lo, 0, v18, vcc_lo
	v_add_co_u32 v19, s0, v19, 8
	s_delay_alu instid0(VALU_DEP_1)
	v_add_co_ci_u32_e64 v20, s0, 0, v20, s0
	s_add_u32 s6, s6, 1
	s_addc_u32 s7, s7, 0
	s_and_not1_b32 s0, s37, exec_lo
	s_waitcnt vmcnt(0)
	v_cmp_ne_u64_e32 vcc_lo, v[21:22], v[23:24]
	s_and_b32 s37, vcc_lo, exec_lo
	s_delay_alu instid0(SALU_CYCLE_1)
	s_or_b32 s37, s0, s37
.LBB577_343:                            ;   in Loop: Header=BB577_344 Depth=1
	v_dual_mov_b32 v22, s7 :: v_dual_mov_b32 v21, s6
	s_and_b32 s0, exec_lo, s37
	s_delay_alu instid0(SALU_CYCLE_1) | instskip(NEXT) | instid1(SALU_CYCLE_1)
	s_or_b32 s36, s0, s36
	s_and_not1_b32 exec_lo, exec_lo, s36
	s_cbranch_execz .LBB577_346
.LBB577_344:                            ; =>This Inner Loop Header: Depth=1
	s_or_b32 s37, s37, exec_lo
	s_cmp_eq_u64 s[4:5], s[6:7]
	s_cbranch_scc0 .LBB577_342
; %bb.345:                              ;   in Loop: Header=BB577_344 Depth=1
	s_mov_b64 s[6:7], s[14:15]
                                        ; implicit-def: $vgpr17_vgpr18
                                        ; implicit-def: $vgpr19_vgpr20
	s_branch .LBB577_343
.LBB577_346:
	s_set_inst_prefetch_distance 0x2
	s_or_b32 exec_lo, exec_lo, s36
	v_cmp_gt_i64_e32 vcc_lo, s[14:15], v[21:22]
	s_or_not1_b32 s0, vcc_lo, exec_lo
.LBB577_347:
	s_or_b32 exec_lo, exec_lo, s35
.LBB577_348:
	s_delay_alu instid0(SALU_CYCLE_1)
	s_and_b32 s0, s0, exec_lo
.LBB577_349:
	s_or_b32 exec_lo, exec_lo, s34
	v_cndmask_b32_e64 v18, 0, 1, s31
	v_cndmask_b32_e64 v19, 0, 1, s30
	;; [unrolled: 1-line block ×7, first 2 shown]
	v_lshlrev_b16 v19, 8, v19
	v_lshlrev_b16 v20, 8, v20
	;; [unrolled: 1-line block ×4, first 2 shown]
	s_waitcnt lgkmcnt(0)
	v_or_b32_e32 v19, v22, v19
	v_or_b32_e32 v20, v23, v20
	;; [unrolled: 1-line block ×4, first 2 shown]
	s_barrier
	v_and_b32_e32 v18, 0xffff, v19
	v_lshlrev_b32_e32 v19, 16, v20
	v_and_b32_e32 v21, 0xffff, v21
	v_lshlrev_b32_e32 v17, 16, v17
	buffer_gl0_inv
                                        ; implicit-def: $sgpr0
	v_or_b32_e32 v20, v18, v19
	v_or_b32_e32 v19, v21, v17
	s_and_saveexec_b32 s27, s3
	s_cbranch_execz .LBB577_362
; %bb.350:
	s_mov_b32 s0, 0
	s_mov_b32 s3, exec_lo
	v_cmpx_gt_u32_e64 s12, v39
	s_cbranch_execz .LBB577_361
; %bb.351:
	s_and_not1_b32 vcc_lo, exec_lo, s26
	s_cbranch_vccnz .LBB577_360
; %bb.352:
	v_add_nc_u32_e32 v17, -8, v39
	v_mul_lo_u32 v25, v14, s14
	v_mul_lo_u32 v26, v13, s15
	s_mov_b32 s0, -1
	ds_load_b64 v[17:18], v17
	s_waitcnt lgkmcnt(0)
	v_mul_lo_u32 v23, v18, s14
	v_mul_lo_u32 v24, v17, s15
	v_mad_u64_u32 v[21:22], null, v17, s14, 0
	v_mad_u64_u32 v[17:18], null, v13, s14, 0
	s_delay_alu instid0(VALU_DEP_2) | instskip(NEXT) | instid1(VALU_DEP_2)
	v_add3_u32 v22, v22, v24, v23
	v_add3_u32 v18, v18, v26, v25
	s_delay_alu instid0(VALU_DEP_2) | instskip(NEXT) | instid1(VALU_DEP_2)
	v_lshlrev_b64 v[21:22], 3, v[21:22]
	v_lshlrev_b64 v[17:18], 3, v[17:18]
	s_delay_alu instid0(VALU_DEP_2) | instskip(NEXT) | instid1(VALU_DEP_3)
	v_add_co_u32 v21, vcc_lo, s16, v21
	v_add_co_ci_u32_e32 v22, vcc_lo, s17, v22, vcc_lo
	s_delay_alu instid0(VALU_DEP_3) | instskip(NEXT) | instid1(VALU_DEP_4)
	v_add_co_u32 v17, vcc_lo, s16, v17
	v_add_co_ci_u32_e32 v18, vcc_lo, s17, v18, vcc_lo
	s_clause 0x1
	global_load_b64 v[23:24], v[21:22], off
	global_load_b64 v[25:26], v[17:18], off
	s_mov_b32 s16, exec_lo
	s_waitcnt vmcnt(0)
	v_cmpx_eq_u64_e64 v[23:24], v[25:26]
	s_cbranch_execz .LBB577_359
; %bb.353:
	v_add_co_u32 v17, vcc_lo, v17, 8
	v_add_co_ci_u32_e32 v18, vcc_lo, 0, v18, vcc_lo
	v_add_co_u32 v21, vcc_lo, v21, 8
	v_add_co_ci_u32_e32 v22, vcc_lo, 0, v22, vcc_lo
	s_add_u32 s4, s14, -1
	s_addc_u32 s5, s15, -1
	s_mov_b64 s[6:7], 0
	s_mov_b32 s17, 0
                                        ; implicit-def: $sgpr26
	s_set_inst_prefetch_distance 0x1
	s_branch .LBB577_356
	.p2align	6
.LBB577_354:                            ;   in Loop: Header=BB577_356 Depth=1
	global_load_b64 v[23:24], v[21:22], off
	global_load_b64 v[25:26], v[17:18], off
	v_add_co_u32 v17, vcc_lo, v17, 8
	v_add_co_ci_u32_e32 v18, vcc_lo, 0, v18, vcc_lo
	v_add_co_u32 v21, s0, v21, 8
	s_delay_alu instid0(VALU_DEP_1)
	v_add_co_ci_u32_e64 v22, s0, 0, v22, s0
	s_add_u32 s6, s6, 1
	s_addc_u32 s7, s7, 0
	s_and_not1_b32 s0, s26, exec_lo
	s_waitcnt vmcnt(0)
	v_cmp_ne_u64_e32 vcc_lo, v[23:24], v[25:26]
	s_and_b32 s26, vcc_lo, exec_lo
	s_delay_alu instid0(SALU_CYCLE_1)
	s_or_b32 s26, s0, s26
.LBB577_355:                            ;   in Loop: Header=BB577_356 Depth=1
	v_dual_mov_b32 v24, s7 :: v_dual_mov_b32 v23, s6
	s_and_b32 s0, exec_lo, s26
	s_delay_alu instid0(SALU_CYCLE_1) | instskip(NEXT) | instid1(SALU_CYCLE_1)
	s_or_b32 s17, s0, s17
	s_and_not1_b32 exec_lo, exec_lo, s17
	s_cbranch_execz .LBB577_358
.LBB577_356:                            ; =>This Inner Loop Header: Depth=1
	s_or_b32 s26, s26, exec_lo
	s_cmp_eq_u64 s[4:5], s[6:7]
	s_cbranch_scc0 .LBB577_354
; %bb.357:                              ;   in Loop: Header=BB577_356 Depth=1
	s_mov_b64 s[6:7], s[14:15]
                                        ; implicit-def: $vgpr17_vgpr18
                                        ; implicit-def: $vgpr21_vgpr22
	s_branch .LBB577_355
.LBB577_358:
	s_set_inst_prefetch_distance 0x2
	s_or_b32 exec_lo, exec_lo, s17
	v_cmp_gt_i64_e32 vcc_lo, s[14:15], v[23:24]
	s_or_not1_b32 s0, vcc_lo, exec_lo
.LBB577_359:
	s_or_b32 exec_lo, exec_lo, s16
.LBB577_360:
	s_delay_alu instid0(SALU_CYCLE_1)
	s_and_b32 s0, s0, exec_lo
.LBB577_361:
	s_or_b32 exec_lo, exec_lo, s3
	s_delay_alu instid0(SALU_CYCLE_1)
	s_and_b32 s0, s0, exec_lo
	s_or_b32 s25, s25, exec_lo
.LBB577_362:
	s_or_b32 exec_lo, exec_lo, s27
.LBB577_363:
	s_and_saveexec_b32 s3, s25
	s_cbranch_execz .LBB577_365
; %bb.364:
	s_waitcnt vmcnt(0) lgkmcnt(0)
	v_and_b32_e32 v17, 0xffffff00, v19
	v_cndmask_b32_e64 v18, 0, 1, s0
	s_delay_alu instid0(VALU_DEP_1) | instskip(NEXT) | instid1(VALU_DEP_1)
	v_or_b32_e32 v17, v18, v17
	v_and_b32_e32 v17, 0xffff, v17
	s_delay_alu instid0(VALU_DEP_1)
	v_and_or_b32 v19, 0xffff0000, v19, v17
.LBB577_365:
	s_or_b32 exec_lo, exec_lo, s3
	s_delay_alu instid0(SALU_CYCLE_1)
	s_and_not1_b32 vcc_lo, exec_lo, s1
	s_cbranch_vccnz .LBB577_367
; %bb.366:
	v_cmp_gt_u32_e32 vcc_lo, s12, v39
	s_waitcnt vmcnt(0) lgkmcnt(0)
	v_or_b32_e32 v18, 1, v39
	v_and_b32_e32 v21, 0xffffff00, v20
	v_or_b32_e32 v22, 2, v39
	v_cndmask_b32_e32 v17, 0, v19, vcc_lo
	s_delay_alu instid0(VALU_DEP_4) | instskip(SKIP_1) | instid1(VALU_DEP_4)
	v_cmp_gt_u32_e32 vcc_lo, s12, v18
	v_or_b32_e32 v18, 4, v39
	v_cmp_gt_u32_e64 s0, s12, v22
	v_or_b32_e32 v22, 3, v39
	v_and_b32_e32 v17, 0xff, v17
	s_delay_alu instid0(VALU_DEP_2) | instskip(NEXT) | instid1(VALU_DEP_2)
	v_cmp_gt_u32_e64 s1, s12, v22
	v_cndmask_b32_e32 v17, v17, v19, vcc_lo
	v_cmp_gt_u32_e32 vcc_lo, s12, v18
	v_cndmask_b32_e32 v18, v21, v20, vcc_lo
	v_or_b32_e32 v21, 5, v39
	s_delay_alu instid0(VALU_DEP_2) | instskip(SKIP_1) | instid1(VALU_DEP_1)
	v_and_b32_e32 v18, 0xffff00ff, v18
	v_and_b32_e32 v17, 0xffff, v17
	v_cndmask_b32_e64 v17, v17, v19, s0
	s_delay_alu instid0(VALU_DEP_4) | instskip(SKIP_1) | instid1(VALU_DEP_3)
	v_cmp_gt_u32_e64 s0, s12, v21
	v_or_b32_e32 v21, 6, v39
	v_and_b32_e32 v17, 0xffffff, v17
	s_delay_alu instid0(VALU_DEP_3) | instskip(NEXT) | instid1(VALU_DEP_2)
	v_cndmask_b32_e64 v18, v18, v20, s0
	v_cndmask_b32_e64 v17, v17, v19, s1
	s_delay_alu instid0(VALU_DEP_1) | instskip(SKIP_2) | instid1(VALU_DEP_3)
	v_dual_cndmask_b32 v17, v17, v19 :: v_dual_and_b32 v18, 0xff00ffff, v18
	v_cmp_gt_u32_e32 vcc_lo, s12, v21
	v_or_b32_e32 v21, 7, v39
	v_cndmask_b32_e64 v17, v17, v19, s0
	s_delay_alu instid0(VALU_DEP_1) | instskip(NEXT) | instid1(VALU_DEP_1)
	v_dual_cndmask_b32 v18, v18, v20 :: v_dual_cndmask_b32 v17, v17, v19
	v_and_b32_e32 v18, 0xffffff, v18
	s_delay_alu instid0(VALU_DEP_4) | instskip(NEXT) | instid1(VALU_DEP_2)
	v_cmp_gt_u32_e32 vcc_lo, s12, v21
	v_dual_cndmask_b32 v20, v18, v20 :: v_dual_cndmask_b32 v19, v17, v19
.LBB577_367:
	s_delay_alu instid0(VALU_DEP_1) | instskip(SKIP_1) | instid1(VALU_DEP_2)
	v_and_b32_e32 v28, 0xff, v19
	s_waitcnt vmcnt(0) lgkmcnt(0)
	v_alignbit_b32 v17, v20, v19, 24
	v_bfe_u32 v30, v19, 8, 8
	v_bfe_u32 v32, v19, 16, 8
	v_and_b32_e32 v36, 0xff, v20
	v_bfe_u32 v38, v20, 8, 8
	v_and_b32_e32 v34, 0xff, v17
	v_add_nc_u32_e32 v17, v30, v28
	v_mbcnt_lo_u32_b32 v42, -1, 0
	v_bfe_u32 v41, v20, 16, 8
	v_lshrrev_b32_e32 v40, 24, v20
	v_lshrrev_b32_e32 v43, 5, v0
	v_add3_u32 v17, v17, v32, v34
	v_and_b32_e32 v18, 15, v42
	v_and_b32_e32 v21, 16, v42
	s_and_b32 vcc_lo, exec_lo, s24
	s_mov_b32 s7, -1
	v_add3_u32 v17, v17, v36, v38
	v_cmp_eq_u32_e64 s3, 0, v18
	v_cmp_lt_u32_e64 s0, 1, v18
	v_cmp_lt_u32_e64 s4, 3, v18
	;; [unrolled: 1-line block ×3, first 2 shown]
	v_add3_u32 v44, v17, v41, v40
	v_or_b32_e32 v17, 31, v0
	v_cmp_eq_u32_e64 s6, 0, v21
	s_barrier
	buffer_gl0_inv
	v_cmp_eq_u32_e64 s5, v17, v0
	s_cbranch_vccz .LBB577_398
; %bb.368:
	v_mov_b32_dpp v17, v44 row_shr:1 row_mask:0xf bank_mask:0xf
	s_delay_alu instid0(VALU_DEP_1) | instskip(NEXT) | instid1(VALU_DEP_1)
	v_cndmask_b32_e64 v17, v17, 0, s3
	v_add_nc_u32_e32 v17, v17, v44
	s_delay_alu instid0(VALU_DEP_1) | instskip(NEXT) | instid1(VALU_DEP_1)
	v_mov_b32_dpp v18, v17 row_shr:2 row_mask:0xf bank_mask:0xf
	v_cndmask_b32_e64 v18, 0, v18, s0
	s_delay_alu instid0(VALU_DEP_1) | instskip(NEXT) | instid1(VALU_DEP_1)
	v_add_nc_u32_e32 v17, v17, v18
	v_mov_b32_dpp v18, v17 row_shr:4 row_mask:0xf bank_mask:0xf
	s_delay_alu instid0(VALU_DEP_1) | instskip(NEXT) | instid1(VALU_DEP_1)
	v_cndmask_b32_e64 v18, 0, v18, s4
	v_add_nc_u32_e32 v17, v17, v18
	s_delay_alu instid0(VALU_DEP_1) | instskip(NEXT) | instid1(VALU_DEP_1)
	v_mov_b32_dpp v18, v17 row_shr:8 row_mask:0xf bank_mask:0xf
	v_cndmask_b32_e64 v18, 0, v18, s1
	s_delay_alu instid0(VALU_DEP_1) | instskip(SKIP_3) | instid1(VALU_DEP_1)
	v_add_nc_u32_e32 v17, v17, v18
	ds_swizzle_b32 v18, v17 offset:swizzle(BROADCAST,32,15)
	s_waitcnt lgkmcnt(0)
	v_cndmask_b32_e64 v18, v18, 0, s6
	v_add_nc_u32_e32 v17, v17, v18
	s_and_saveexec_b32 s7, s5
	s_cbranch_execz .LBB577_370
; %bb.369:
	v_lshlrev_b32_e32 v18, 2, v43
	ds_store_b32 v18, v17
.LBB577_370:
	s_or_b32 exec_lo, exec_lo, s7
	s_delay_alu instid0(SALU_CYCLE_1)
	s_mov_b32 s7, exec_lo
	s_waitcnt lgkmcnt(0)
	s_barrier
	buffer_gl0_inv
	v_cmpx_gt_u32_e32 16, v0
	s_cbranch_execz .LBB577_372
; %bb.371:
	v_lshlrev_b32_e32 v18, 2, v0
	ds_load_b32 v21, v18
	s_waitcnt lgkmcnt(0)
	v_mov_b32_dpp v22, v21 row_shr:1 row_mask:0xf bank_mask:0xf
	s_delay_alu instid0(VALU_DEP_1) | instskip(NEXT) | instid1(VALU_DEP_1)
	v_cndmask_b32_e64 v22, v22, 0, s3
	v_add_nc_u32_e32 v21, v22, v21
	s_delay_alu instid0(VALU_DEP_1) | instskip(NEXT) | instid1(VALU_DEP_1)
	v_mov_b32_dpp v22, v21 row_shr:2 row_mask:0xf bank_mask:0xf
	v_cndmask_b32_e64 v22, 0, v22, s0
	s_delay_alu instid0(VALU_DEP_1) | instskip(NEXT) | instid1(VALU_DEP_1)
	v_add_nc_u32_e32 v21, v21, v22
	v_mov_b32_dpp v22, v21 row_shr:4 row_mask:0xf bank_mask:0xf
	s_delay_alu instid0(VALU_DEP_1) | instskip(NEXT) | instid1(VALU_DEP_1)
	v_cndmask_b32_e64 v22, 0, v22, s4
	v_add_nc_u32_e32 v21, v21, v22
	s_delay_alu instid0(VALU_DEP_1) | instskip(NEXT) | instid1(VALU_DEP_1)
	v_mov_b32_dpp v22, v21 row_shr:8 row_mask:0xf bank_mask:0xf
	v_cndmask_b32_e64 v22, 0, v22, s1
	s_delay_alu instid0(VALU_DEP_1)
	v_add_nc_u32_e32 v21, v21, v22
	ds_store_b32 v18, v21
.LBB577_372:
	s_or_b32 exec_lo, exec_lo, s7
	v_cmp_gt_u32_e32 vcc_lo, 32, v0
	s_mov_b32 s12, exec_lo
	s_waitcnt lgkmcnt(0)
	s_barrier
	buffer_gl0_inv
                                        ; implicit-def: $vgpr27
	v_cmpx_lt_u32_e32 31, v0
	s_cbranch_execz .LBB577_374
; %bb.373:
	v_lshl_add_u32 v18, v43, 2, -4
	ds_load_b32 v27, v18
	s_waitcnt lgkmcnt(0)
	v_add_nc_u32_e32 v17, v27, v17
.LBB577_374:
	s_or_b32 exec_lo, exec_lo, s12
	v_add_nc_u32_e32 v18, -1, v42
	s_delay_alu instid0(VALU_DEP_1) | instskip(NEXT) | instid1(VALU_DEP_1)
	v_cmp_gt_i32_e64 s7, 0, v18
	v_cndmask_b32_e64 v18, v18, v42, s7
	v_cmp_eq_u32_e64 s7, 0, v42
	s_delay_alu instid0(VALU_DEP_2)
	v_lshlrev_b32_e32 v18, 2, v18
	ds_bpermute_b32 v29, v18, v17
	s_and_saveexec_b32 s12, vcc_lo
	s_cbranch_execz .LBB577_397
; %bb.375:
	v_mov_b32_e32 v23, 0
	ds_load_b32 v17, v23 offset:60
	s_and_saveexec_b32 s14, s7
	s_cbranch_execz .LBB577_377
; %bb.376:
	s_add_i32 s16, s23, 32
	s_mov_b32 s17, 0
	v_mov_b32_e32 v18, 1
	s_lshl_b64 s[16:17], s[16:17], 3
	s_delay_alu instid0(SALU_CYCLE_1)
	s_add_u32 s16, s18, s16
	s_addc_u32 s17, s19, s17
	s_waitcnt lgkmcnt(0)
	global_store_b64 v23, v[17:18], s[16:17]
.LBB577_377:
	s_or_b32 exec_lo, exec_lo, s14
	v_xad_u32 v21, v42, -1, s23
	s_mov_b32 s15, 0
	s_mov_b32 s14, exec_lo
	s_delay_alu instid0(VALU_DEP_1) | instskip(NEXT) | instid1(VALU_DEP_1)
	v_add_nc_u32_e32 v22, 32, v21
	v_lshlrev_b64 v[22:23], 3, v[22:23]
	s_delay_alu instid0(VALU_DEP_1) | instskip(NEXT) | instid1(VALU_DEP_2)
	v_add_co_u32 v25, vcc_lo, s18, v22
	v_add_co_ci_u32_e32 v26, vcc_lo, s19, v23, vcc_lo
	global_load_b64 v[23:24], v[25:26], off glc
	s_waitcnt vmcnt(0)
	v_and_b32_e32 v18, 0xff, v24
	s_delay_alu instid0(VALU_DEP_1)
	v_cmpx_eq_u16_e32 0, v18
	s_cbranch_execz .LBB577_383
; %bb.378:
	s_mov_b32 s16, 1
	.p2align	6
.LBB577_379:                            ; =>This Loop Header: Depth=1
                                        ;     Child Loop BB577_380 Depth 2
	s_delay_alu instid0(SALU_CYCLE_1)
	s_max_u32 s17, s16, 1
.LBB577_380:                            ;   Parent Loop BB577_379 Depth=1
                                        ; =>  This Inner Loop Header: Depth=2
	s_delay_alu instid0(SALU_CYCLE_1)
	s_add_i32 s17, s17, -1
	s_sleep 1
	s_cmp_eq_u32 s17, 0
	s_cbranch_scc0 .LBB577_380
; %bb.381:                              ;   in Loop: Header=BB577_379 Depth=1
	global_load_b64 v[23:24], v[25:26], off glc
	s_cmp_lt_u32 s16, 32
	s_cselect_b32 s17, -1, 0
	s_delay_alu instid0(SALU_CYCLE_1) | instskip(SKIP_3) | instid1(VALU_DEP_1)
	s_cmp_lg_u32 s17, 0
	s_addc_u32 s16, s16, 0
	s_waitcnt vmcnt(0)
	v_and_b32_e32 v18, 0xff, v24
	v_cmp_ne_u16_e32 vcc_lo, 0, v18
	s_or_b32 s15, vcc_lo, s15
	s_delay_alu instid0(SALU_CYCLE_1)
	s_and_not1_b32 exec_lo, exec_lo, s15
	s_cbranch_execnz .LBB577_379
; %bb.382:
	s_or_b32 exec_lo, exec_lo, s15
.LBB577_383:
	s_delay_alu instid0(SALU_CYCLE_1)
	s_or_b32 exec_lo, exec_lo, s14
	v_cmp_ne_u32_e32 vcc_lo, 31, v42
	v_and_b32_e32 v22, 0xff, v24
	v_lshlrev_b32_e64 v31, v42, -1
	v_add_nc_u32_e32 v35, 2, v42
	v_add_nc_u32_e32 v45, 4, v42
	v_add_co_ci_u32_e32 v18, vcc_lo, 0, v42, vcc_lo
	v_cmp_eq_u16_e32 vcc_lo, 2, v22
	v_add_nc_u32_e32 v48, 8, v42
	v_add_nc_u32_e32 v50, 16, v42
	v_and_or_b32 v22, vcc_lo, v31, 0x80000000
	v_cmp_gt_u32_e32 vcc_lo, 30, v42
	s_delay_alu instid0(VALU_DEP_2) | instskip(SKIP_1) | instid1(VALU_DEP_2)
	v_ctz_i32_b32_e32 v22, v22
	v_cndmask_b32_e64 v26, 0, 1, vcc_lo
	v_cmp_lt_u32_e32 vcc_lo, v42, v22
	v_lshlrev_b32_e32 v18, 2, v18
	s_delay_alu instid0(VALU_DEP_3)
	v_lshlrev_b32_e32 v26, 1, v26
	ds_bpermute_b32 v25, v18, v23
	v_add_lshl_u32 v33, v26, v42, 2
	s_waitcnt lgkmcnt(0)
	v_cndmask_b32_e32 v25, 0, v25, vcc_lo
	v_cmp_gt_u32_e32 vcc_lo, 28, v42
	s_delay_alu instid0(VALU_DEP_2) | instskip(SKIP_4) | instid1(VALU_DEP_1)
	v_add_nc_u32_e32 v23, v25, v23
	v_cndmask_b32_e64 v26, 0, 1, vcc_lo
	v_cmp_le_u32_e32 vcc_lo, v35, v22
	ds_bpermute_b32 v25, v33, v23
	v_lshlrev_b32_e32 v26, 2, v26
	v_add_lshl_u32 v37, v26, v42, 2
	s_waitcnt lgkmcnt(0)
	v_cndmask_b32_e32 v25, 0, v25, vcc_lo
	v_cmp_gt_u32_e32 vcc_lo, 24, v42
	s_delay_alu instid0(VALU_DEP_2) | instskip(SKIP_4) | instid1(VALU_DEP_1)
	v_add_nc_u32_e32 v23, v23, v25
	v_cndmask_b32_e64 v26, 0, 1, vcc_lo
	v_cmp_le_u32_e32 vcc_lo, v45, v22
	ds_bpermute_b32 v25, v37, v23
	v_lshlrev_b32_e32 v26, 3, v26
	;; [unrolled: 10-line block ×3, first 2 shown]
	v_add_lshl_u32 v49, v26, v42, 2
	s_waitcnt lgkmcnt(0)
	v_cndmask_b32_e32 v25, 0, v25, vcc_lo
	v_cmp_le_u32_e32 vcc_lo, v50, v22
	s_delay_alu instid0(VALU_DEP_2) | instskip(SKIP_3) | instid1(VALU_DEP_1)
	v_add_nc_u32_e32 v23, v23, v25
	ds_bpermute_b32 v25, v49, v23
	s_waitcnt lgkmcnt(0)
	v_cndmask_b32_e32 v22, 0, v25, vcc_lo
	v_dual_mov_b32 v22, 0 :: v_dual_add_nc_u32 v23, v23, v22
	s_branch .LBB577_385
.LBB577_384:                            ;   in Loop: Header=BB577_385 Depth=1
	s_or_b32 exec_lo, exec_lo, s14
	ds_bpermute_b32 v26, v18, v23
	v_and_b32_e32 v25, 0xff, v24
	v_subrev_nc_u32_e32 v21, 32, v21
	s_delay_alu instid0(VALU_DEP_2) | instskip(SKIP_1) | instid1(VALU_DEP_1)
	v_cmp_eq_u16_e32 vcc_lo, 2, v25
	v_and_or_b32 v25, vcc_lo, v31, 0x80000000
	v_ctz_i32_b32_e32 v25, v25
	s_delay_alu instid0(VALU_DEP_1) | instskip(SKIP_3) | instid1(VALU_DEP_2)
	v_cmp_lt_u32_e32 vcc_lo, v42, v25
	s_waitcnt lgkmcnt(0)
	v_cndmask_b32_e32 v26, 0, v26, vcc_lo
	v_cmp_le_u32_e32 vcc_lo, v35, v25
	v_add_nc_u32_e32 v23, v26, v23
	ds_bpermute_b32 v26, v33, v23
	s_waitcnt lgkmcnt(0)
	v_cndmask_b32_e32 v26, 0, v26, vcc_lo
	v_cmp_le_u32_e32 vcc_lo, v45, v25
	s_delay_alu instid0(VALU_DEP_2) | instskip(SKIP_4) | instid1(VALU_DEP_2)
	v_add_nc_u32_e32 v23, v23, v26
	ds_bpermute_b32 v26, v37, v23
	s_waitcnt lgkmcnt(0)
	v_cndmask_b32_e32 v26, 0, v26, vcc_lo
	v_cmp_le_u32_e32 vcc_lo, v48, v25
	v_add_nc_u32_e32 v23, v23, v26
	ds_bpermute_b32 v26, v47, v23
	s_waitcnt lgkmcnt(0)
	v_cndmask_b32_e32 v26, 0, v26, vcc_lo
	v_cmp_le_u32_e32 vcc_lo, v50, v25
	s_delay_alu instid0(VALU_DEP_2) | instskip(SKIP_3) | instid1(VALU_DEP_1)
	v_add_nc_u32_e32 v23, v23, v26
	ds_bpermute_b32 v26, v49, v23
	s_waitcnt lgkmcnt(0)
	v_cndmask_b32_e32 v25, 0, v26, vcc_lo
	v_add3_u32 v23, v25, v46, v23
.LBB577_385:                            ; =>This Loop Header: Depth=1
                                        ;     Child Loop BB577_388 Depth 2
                                        ;       Child Loop BB577_389 Depth 3
	v_and_b32_e32 v24, 0xff, v24
	s_delay_alu instid0(VALU_DEP_2) | instskip(NEXT) | instid1(VALU_DEP_2)
	v_mov_b32_e32 v46, v23
	v_cmp_ne_u16_e32 vcc_lo, 2, v24
	v_cndmask_b32_e64 v24, 0, 1, vcc_lo
	;;#ASMSTART
	;;#ASMEND
	s_delay_alu instid0(VALU_DEP_1)
	v_cmp_ne_u32_e32 vcc_lo, 0, v24
	s_cmp_lg_u32 vcc_lo, exec_lo
	s_cbranch_scc1 .LBB577_392
; %bb.386:                              ;   in Loop: Header=BB577_385 Depth=1
	v_lshlrev_b64 v[23:24], 3, v[21:22]
	s_mov_b32 s14, exec_lo
	s_delay_alu instid0(VALU_DEP_1) | instskip(NEXT) | instid1(VALU_DEP_2)
	v_add_co_u32 v25, vcc_lo, s18, v23
	v_add_co_ci_u32_e32 v26, vcc_lo, s19, v24, vcc_lo
	global_load_b64 v[23:24], v[25:26], off glc
	s_waitcnt vmcnt(0)
	v_and_b32_e32 v51, 0xff, v24
	s_delay_alu instid0(VALU_DEP_1)
	v_cmpx_eq_u16_e32 0, v51
	s_cbranch_execz .LBB577_384
; %bb.387:                              ;   in Loop: Header=BB577_385 Depth=1
	s_mov_b32 s16, 1
	s_mov_b32 s15, 0
	.p2align	6
.LBB577_388:                            ;   Parent Loop BB577_385 Depth=1
                                        ; =>  This Loop Header: Depth=2
                                        ;       Child Loop BB577_389 Depth 3
	s_max_u32 s17, s16, 1
.LBB577_389:                            ;   Parent Loop BB577_385 Depth=1
                                        ;     Parent Loop BB577_388 Depth=2
                                        ; =>    This Inner Loop Header: Depth=3
	s_delay_alu instid0(SALU_CYCLE_1)
	s_add_i32 s17, s17, -1
	s_sleep 1
	s_cmp_eq_u32 s17, 0
	s_cbranch_scc0 .LBB577_389
; %bb.390:                              ;   in Loop: Header=BB577_388 Depth=2
	global_load_b64 v[23:24], v[25:26], off glc
	s_cmp_lt_u32 s16, 32
	s_cselect_b32 s17, -1, 0
	s_delay_alu instid0(SALU_CYCLE_1) | instskip(SKIP_3) | instid1(VALU_DEP_1)
	s_cmp_lg_u32 s17, 0
	s_addc_u32 s16, s16, 0
	s_waitcnt vmcnt(0)
	v_and_b32_e32 v51, 0xff, v24
	v_cmp_ne_u16_e32 vcc_lo, 0, v51
	s_or_b32 s15, vcc_lo, s15
	s_delay_alu instid0(SALU_CYCLE_1)
	s_and_not1_b32 exec_lo, exec_lo, s15
	s_cbranch_execnz .LBB577_388
; %bb.391:                              ;   in Loop: Header=BB577_385 Depth=1
	s_or_b32 exec_lo, exec_lo, s15
	s_branch .LBB577_384
.LBB577_392:                            ;   in Loop: Header=BB577_385 Depth=1
                                        ; implicit-def: $vgpr23
                                        ; implicit-def: $vgpr24
	s_cbranch_execz .LBB577_385
; %bb.393:
	s_and_saveexec_b32 s14, s7
	s_cbranch_execz .LBB577_395
; %bb.394:
	s_add_i32 s16, s23, 32
	s_mov_b32 s17, 0
	v_dual_mov_b32 v22, 2 :: v_dual_add_nc_u32 v21, v46, v17
	s_lshl_b64 s[16:17], s[16:17], 3
	v_mov_b32_e32 v18, 0
	v_add_nc_u32_e64 v23, 0x8400, 0
	s_add_u32 s16, s18, s16
	s_addc_u32 s17, s19, s17
	global_store_b64 v18, v[21:22], s[16:17]
	ds_store_2addr_b32 v23, v17, v46 offset1:2
.LBB577_395:
	s_or_b32 exec_lo, exec_lo, s14
	s_delay_alu instid0(SALU_CYCLE_1)
	s_and_b32 exec_lo, exec_lo, s2
	s_cbranch_execz .LBB577_397
; %bb.396:
	v_mov_b32_e32 v17, 0
	ds_store_b32 v17, v46 offset:60
.LBB577_397:
	s_or_b32 exec_lo, exec_lo, s12
	v_mov_b32_e32 v17, 0
	s_waitcnt lgkmcnt(0)
	s_waitcnt_vscnt null, 0x0
	s_barrier
	buffer_gl0_inv
	v_cndmask_b32_e64 v18, v29, v27, s7
	ds_load_b32 v17, v17 offset:60
	s_waitcnt lgkmcnt(0)
	s_barrier
	buffer_gl0_inv
	v_cndmask_b32_e64 v18, v18, 0, s2
	s_delay_alu instid0(VALU_DEP_1) | instskip(SKIP_1) | instid1(VALU_DEP_2)
	v_add_nc_u32_e32 v37, v17, v18
	v_add_nc_u32_e64 v17, 0x8400, 0
	v_add_nc_u32_e32 v35, v37, v28
	ds_load_2addr_b32 v[17:18], v17 offset1:2
	v_add_nc_u32_e32 v33, v35, v30
	s_delay_alu instid0(VALU_DEP_1) | instskip(NEXT) | instid1(VALU_DEP_1)
	v_add_nc_u32_e32 v31, v33, v32
	v_add_nc_u32_e32 v29, v31, v34
	s_delay_alu instid0(VALU_DEP_1) | instskip(NEXT) | instid1(VALU_DEP_1)
	v_add_nc_u32_e32 v27, v29, v36
	v_add_nc_u32_e32 v25, v27, v38
	s_delay_alu instid0(VALU_DEP_1)
	v_add_nc_u32_e32 v23, v25, v41
	v_lshrrev_b64 v[21:22], 24, v[19:20]
	s_branch .LBB577_408
.LBB577_398:
                                        ; implicit-def: $vgpr23
                                        ; implicit-def: $vgpr25
                                        ; implicit-def: $vgpr27
                                        ; implicit-def: $vgpr29
                                        ; implicit-def: $vgpr31
                                        ; implicit-def: $vgpr33
                                        ; implicit-def: $vgpr35
                                        ; implicit-def: $vgpr37
                                        ; implicit-def: $vgpr18
	v_lshrrev_b64 v[21:22], 24, v[19:20]
	s_and_b32 vcc_lo, exec_lo, s7
	s_cbranch_vccz .LBB577_408
; %bb.399:
	s_waitcnt lgkmcnt(0)
	v_mov_b32_dpp v17, v44 row_shr:1 row_mask:0xf bank_mask:0xf
	s_delay_alu instid0(VALU_DEP_1) | instskip(NEXT) | instid1(VALU_DEP_1)
	v_cndmask_b32_e64 v17, v17, 0, s3
	v_add_nc_u32_e32 v17, v17, v44
	s_delay_alu instid0(VALU_DEP_1) | instskip(NEXT) | instid1(VALU_DEP_1)
	v_mov_b32_dpp v18, v17 row_shr:2 row_mask:0xf bank_mask:0xf
	v_cndmask_b32_e64 v18, 0, v18, s0
	s_delay_alu instid0(VALU_DEP_1) | instskip(NEXT) | instid1(VALU_DEP_1)
	v_add_nc_u32_e32 v17, v17, v18
	v_mov_b32_dpp v18, v17 row_shr:4 row_mask:0xf bank_mask:0xf
	s_delay_alu instid0(VALU_DEP_1) | instskip(NEXT) | instid1(VALU_DEP_1)
	v_cndmask_b32_e64 v18, 0, v18, s4
	v_add_nc_u32_e32 v17, v17, v18
	s_delay_alu instid0(VALU_DEP_1) | instskip(NEXT) | instid1(VALU_DEP_1)
	v_mov_b32_dpp v18, v17 row_shr:8 row_mask:0xf bank_mask:0xf
	v_cndmask_b32_e64 v18, 0, v18, s1
	s_delay_alu instid0(VALU_DEP_1) | instskip(SKIP_3) | instid1(VALU_DEP_1)
	v_add_nc_u32_e32 v17, v17, v18
	ds_swizzle_b32 v18, v17 offset:swizzle(BROADCAST,32,15)
	s_waitcnt lgkmcnt(0)
	v_cndmask_b32_e64 v18, v18, 0, s6
	v_add_nc_u32_e32 v17, v17, v18
	s_and_saveexec_b32 s6, s5
	s_cbranch_execz .LBB577_401
; %bb.400:
	v_lshlrev_b32_e32 v18, 2, v43
	ds_store_b32 v18, v17
.LBB577_401:
	s_or_b32 exec_lo, exec_lo, s6
	s_delay_alu instid0(SALU_CYCLE_1)
	s_mov_b32 s5, exec_lo
	s_waitcnt lgkmcnt(0)
	s_barrier
	buffer_gl0_inv
	v_cmpx_gt_u32_e32 16, v0
	s_cbranch_execz .LBB577_403
; %bb.402:
	v_lshlrev_b32_e32 v18, 2, v0
	ds_load_b32 v22, v18
	s_waitcnt lgkmcnt(0)
	v_mov_b32_dpp v23, v22 row_shr:1 row_mask:0xf bank_mask:0xf
	s_delay_alu instid0(VALU_DEP_1) | instskip(NEXT) | instid1(VALU_DEP_1)
	v_cndmask_b32_e64 v23, v23, 0, s3
	v_add_nc_u32_e32 v22, v23, v22
	s_delay_alu instid0(VALU_DEP_1) | instskip(NEXT) | instid1(VALU_DEP_1)
	v_mov_b32_dpp v23, v22 row_shr:2 row_mask:0xf bank_mask:0xf
	v_cndmask_b32_e64 v23, 0, v23, s0
	s_delay_alu instid0(VALU_DEP_1) | instskip(NEXT) | instid1(VALU_DEP_1)
	v_add_nc_u32_e32 v22, v22, v23
	v_mov_b32_dpp v23, v22 row_shr:4 row_mask:0xf bank_mask:0xf
	s_delay_alu instid0(VALU_DEP_1) | instskip(NEXT) | instid1(VALU_DEP_1)
	v_cndmask_b32_e64 v23, 0, v23, s4
	v_add_nc_u32_e32 v22, v22, v23
	s_delay_alu instid0(VALU_DEP_1) | instskip(NEXT) | instid1(VALU_DEP_1)
	v_mov_b32_dpp v23, v22 row_shr:8 row_mask:0xf bank_mask:0xf
	v_cndmask_b32_e64 v23, 0, v23, s1
	s_delay_alu instid0(VALU_DEP_1)
	v_add_nc_u32_e32 v22, v22, v23
	ds_store_b32 v18, v22
.LBB577_403:
	s_or_b32 exec_lo, exec_lo, s5
	v_mov_b32_e32 v18, 0
	v_mov_b32_e32 v22, 0
	s_mov_b32 s0, exec_lo
	s_waitcnt lgkmcnt(0)
	s_barrier
	buffer_gl0_inv
	v_cmpx_lt_u32_e32 31, v0
	s_cbranch_execz .LBB577_405
; %bb.404:
	v_lshl_add_u32 v22, v43, 2, -4
	ds_load_b32 v22, v22
.LBB577_405:
	s_or_b32 exec_lo, exec_lo, s0
	v_add_nc_u32_e32 v23, -1, v42
	s_waitcnt lgkmcnt(0)
	v_add_nc_u32_e32 v17, v22, v17
	s_delay_alu instid0(VALU_DEP_2) | instskip(SKIP_1) | instid1(VALU_DEP_1)
	v_cmp_gt_i32_e32 vcc_lo, 0, v23
	v_cndmask_b32_e32 v23, v23, v42, vcc_lo
	v_lshlrev_b32_e32 v23, 2, v23
	ds_bpermute_b32 v23, v23, v17
	ds_load_b32 v17, v18 offset:60
	s_and_saveexec_b32 s0, s2
	s_cbranch_execz .LBB577_407
; %bb.406:
	v_mov_b32_e32 v24, 0
	v_mov_b32_e32 v18, 2
	s_waitcnt lgkmcnt(0)
	global_store_b64 v24, v[17:18], s[18:19] offset:256
.LBB577_407:
	s_or_b32 exec_lo, exec_lo, s0
	v_cmp_eq_u32_e32 vcc_lo, 0, v42
	s_waitcnt lgkmcnt(0)
	s_waitcnt_vscnt null, 0x0
	s_barrier
	buffer_gl0_inv
	v_cndmask_b32_e32 v18, v23, v22, vcc_lo
	s_delay_alu instid0(VALU_DEP_1) | instskip(NEXT) | instid1(VALU_DEP_1)
	v_cndmask_b32_e64 v37, v18, 0, s2
	v_dual_mov_b32 v18, 0 :: v_dual_add_nc_u32 v35, v37, v28
	s_delay_alu instid0(VALU_DEP_1) | instskip(NEXT) | instid1(VALU_DEP_1)
	v_add_nc_u32_e32 v33, v35, v30
	v_add_nc_u32_e32 v31, v33, v32
	s_delay_alu instid0(VALU_DEP_1) | instskip(NEXT) | instid1(VALU_DEP_1)
	v_add_nc_u32_e32 v29, v31, v34
	v_add_nc_u32_e32 v27, v29, v36
	;; [unrolled: 3-line block ×3, first 2 shown]
.LBB577_408:
	s_waitcnt lgkmcnt(0)
	v_cmp_gt_u32_e32 vcc_lo, 0x201, v17
	v_lshrrev_b32_e32 v43, 8, v19
	v_lshrrev_b32_e32 v42, 16, v19
	v_lshrrev_b32_e32 v41, 8, v20
	v_lshrrev_b32_e32 v22, 16, v20
	s_mov_b32 s0, -1
	s_cbranch_vccnz .LBB577_412
; %bb.409:
	s_and_b32 vcc_lo, exec_lo, s0
	s_cbranch_vccnz .LBB577_437
.LBB577_410:
	s_and_b32 s0, s2, s13
	s_delay_alu instid0(SALU_CYCLE_1)
	s_and_saveexec_b32 s1, s0
	s_cbranch_execnz .LBB577_457
.LBB577_411:
	s_nop 0
	s_sendmsg sendmsg(MSG_DEALLOC_VGPRS)
	s_endpgm
.LBB577_412:
	v_add_nc_u32_e32 v24, v18, v17
	s_delay_alu instid0(VALU_DEP_1) | instskip(SKIP_1) | instid1(SALU_CYCLE_1)
	v_cmp_lt_u32_e32 vcc_lo, v37, v24
	s_or_b32 s1, s22, vcc_lo
	s_and_saveexec_b32 s0, s1
	s_cbranch_execz .LBB577_415
; %bb.413:
	v_and_b32_e32 v26, 1, v19
	s_delay_alu instid0(VALU_DEP_1)
	v_cmp_eq_u32_e32 vcc_lo, 1, v26
	s_and_b32 exec_lo, exec_lo, vcc_lo
	s_cbranch_execz .LBB577_415
; %bb.414:
	v_mov_b32_e32 v38, 0
	s_lshl_b64 s[4:5], s[10:11], 3
	s_delay_alu instid0(SALU_CYCLE_1) | instskip(SKIP_1) | instid1(VALU_DEP_1)
	s_add_u32 s1, s20, s4
	s_addc_u32 s3, s21, s5
	v_lshlrev_b64 v[44:45], 3, v[37:38]
	s_delay_alu instid0(VALU_DEP_1) | instskip(NEXT) | instid1(VALU_DEP_2)
	v_add_co_u32 v44, vcc_lo, s1, v44
	v_add_co_ci_u32_e32 v45, vcc_lo, s3, v45, vcc_lo
	global_store_b64 v[44:45], v[13:14], off
.LBB577_415:
	s_or_b32 exec_lo, exec_lo, s0
	v_cmp_lt_u32_e32 vcc_lo, v35, v24
	s_or_b32 s1, s22, vcc_lo
	s_delay_alu instid0(SALU_CYCLE_1)
	s_and_saveexec_b32 s0, s1
	s_cbranch_execz .LBB577_418
; %bb.416:
	v_and_b32_e32 v26, 1, v43
	s_delay_alu instid0(VALU_DEP_1)
	v_cmp_eq_u32_e32 vcc_lo, 1, v26
	s_and_b32 exec_lo, exec_lo, vcc_lo
	s_cbranch_execz .LBB577_418
; %bb.417:
	v_mov_b32_e32 v36, 0
	s_lshl_b64 s[4:5], s[10:11], 3
	s_delay_alu instid0(SALU_CYCLE_1) | instskip(SKIP_1) | instid1(VALU_DEP_1)
	s_add_u32 s1, s20, s4
	s_addc_u32 s3, s21, s5
	v_lshlrev_b64 v[44:45], 3, v[35:36]
	s_delay_alu instid0(VALU_DEP_1) | instskip(NEXT) | instid1(VALU_DEP_2)
	v_add_co_u32 v44, vcc_lo, s1, v44
	v_add_co_ci_u32_e32 v45, vcc_lo, s3, v45, vcc_lo
	global_store_b64 v[44:45], v[15:16], off
.LBB577_418:
	s_or_b32 exec_lo, exec_lo, s0
	v_cmp_lt_u32_e32 vcc_lo, v33, v24
	s_or_b32 s1, s22, vcc_lo
	s_delay_alu instid0(SALU_CYCLE_1)
	;; [unrolled: 24-line block ×7, first 2 shown]
	s_and_saveexec_b32 s0, s1
	s_cbranch_execz .LBB577_436
; %bb.434:
	v_and_b32_e32 v24, 1, v40
	s_delay_alu instid0(VALU_DEP_1)
	v_cmp_eq_u32_e32 vcc_lo, 1, v24
	s_and_b32 exec_lo, exec_lo, vcc_lo
	s_cbranch_execz .LBB577_436
; %bb.435:
	v_mov_b32_e32 v24, 0
	s_lshl_b64 s[4:5], s[10:11], 3
	s_delay_alu instid0(SALU_CYCLE_1) | instskip(SKIP_1) | instid1(VALU_DEP_1)
	s_add_u32 s1, s20, s4
	s_addc_u32 s3, s21, s5
	v_lshlrev_b64 v[44:45], 3, v[23:24]
	s_delay_alu instid0(VALU_DEP_1) | instskip(NEXT) | instid1(VALU_DEP_2)
	v_add_co_u32 v44, vcc_lo, s1, v44
	v_add_co_ci_u32_e32 v45, vcc_lo, s3, v45, vcc_lo
	global_store_b64 v[44:45], v[3:4], off
.LBB577_436:
	s_or_b32 exec_lo, exec_lo, s0
	s_branch .LBB577_410
.LBB577_437:
	v_and_b32_e32 v19, 1, v19
	s_mov_b32 s0, exec_lo
	s_delay_alu instid0(VALU_DEP_1)
	v_cmpx_eq_u32_e32 1, v19
	s_cbranch_execz .LBB577_439
; %bb.438:
	v_sub_nc_u32_e32 v19, v37, v18
	s_delay_alu instid0(VALU_DEP_1)
	v_lshlrev_b32_e32 v19, 3, v19
	ds_store_b64 v19, v[13:14]
.LBB577_439:
	s_or_b32 exec_lo, exec_lo, s0
	v_and_b32_e32 v13, 1, v43
	s_mov_b32 s0, exec_lo
	s_delay_alu instid0(VALU_DEP_1)
	v_cmpx_eq_u32_e32 1, v13
	s_cbranch_execz .LBB577_441
; %bb.440:
	v_sub_nc_u32_e32 v13, v35, v18
	s_delay_alu instid0(VALU_DEP_1)
	v_lshlrev_b32_e32 v13, 3, v13
	ds_store_b64 v13, v[15:16]
.LBB577_441:
	s_or_b32 exec_lo, exec_lo, s0
	;; [unrolled: 12-line block ×8, first 2 shown]
	s_delay_alu instid0(SALU_CYCLE_1)
	s_mov_b32 s1, exec_lo
	s_waitcnt lgkmcnt(0)
	s_waitcnt_vscnt null, 0x0
	s_barrier
	buffer_gl0_inv
	v_cmpx_lt_u32_e64 v0, v17
	s_cbranch_execz .LBB577_456
; %bb.454:
	v_dual_mov_b32 v2, 0 :: v_dual_mov_b32 v1, v18
	s_lshl_b64 s[4:5], s[10:11], 3
	s_mov_b32 s3, 0
	s_delay_alu instid0(VALU_DEP_1) | instskip(NEXT) | instid1(VALU_DEP_1)
	v_lshlrev_b64 v[1:2], 3, v[1:2]
	v_add_co_u32 v1, vcc_lo, s4, v1
	s_delay_alu instid0(VALU_DEP_2) | instskip(NEXT) | instid1(VALU_DEP_2)
	v_add_co_ci_u32_e32 v2, vcc_lo, s5, v2, vcc_lo
	v_add_co_u32 v1, vcc_lo, s20, v1
	s_delay_alu instid0(VALU_DEP_2) | instskip(NEXT) | instid1(VALU_DEP_2)
	v_add_co_ci_u32_e32 v2, vcc_lo, s21, v2, vcc_lo
	v_add_co_u32 v1, vcc_lo, v1, v39
	s_delay_alu instid0(VALU_DEP_2)
	v_add_co_ci_u32_e32 v2, vcc_lo, 0, v2, vcc_lo
	.p2align	6
.LBB577_455:                            ; =>This Inner Loop Header: Depth=1
	ds_load_b64 v[3:4], v39
	v_add_nc_u32_e32 v0, 0x200, v0
	v_add_nc_u32_e32 v39, 0x1000, v39
	s_delay_alu instid0(VALU_DEP_2) | instskip(SKIP_4) | instid1(VALU_DEP_1)
	v_cmp_ge_u32_e32 vcc_lo, v0, v17
	s_or_b32 s3, vcc_lo, s3
	s_waitcnt lgkmcnt(0)
	global_store_b64 v[1:2], v[3:4], off
	v_add_co_u32 v1, s0, 0x1000, v1
	v_add_co_ci_u32_e64 v2, s0, 0, v2, s0
	s_and_not1_b32 exec_lo, exec_lo, s3
	s_cbranch_execnz .LBB577_455
.LBB577_456:
	s_or_b32 exec_lo, exec_lo, s1
	s_and_b32 s0, s2, s13
	s_delay_alu instid0(SALU_CYCLE_1)
	s_and_saveexec_b32 s1, s0
	s_cbranch_execz .LBB577_411
.LBB577_457:
	v_add_co_u32 v0, s0, s10, v17
	s_delay_alu instid0(VALU_DEP_1) | instskip(SKIP_1) | instid1(VALU_DEP_3)
	v_add_co_ci_u32_e64 v1, null, s11, 0, s0
	v_mov_b32_e32 v2, 0
	v_add_co_u32 v0, vcc_lo, v0, v18
	s_delay_alu instid0(VALU_DEP_3)
	v_add_co_ci_u32_e32 v1, vcc_lo, 0, v1, vcc_lo
	global_store_b64 v2, v[0:1], s[8:9]
	s_nop 0
	s_sendmsg sendmsg(MSG_DEALLOC_VGPRS)
	s_endpgm
	.section	.rodata,"a",@progbits
	.p2align	6, 0x0
	.amdhsa_kernel _ZN7rocprim17ROCPRIM_400000_NS6detail17trampoline_kernelINS0_14default_configENS1_25partition_config_selectorILNS1_17partition_subalgoE8ElNS0_10empty_typeEbEEZZNS1_14partition_implILS5_8ELb0ES3_jPlPS6_PKS6_NS0_5tupleIJS9_S6_EEENSD_IJSA_SA_EEENS0_18inequality_wrapperIZN2at6native12_GLOBAL__N_124unique_dim_cuda_templateIlEESt5tupleIJNSH_6TensorESM_SM_EERKSM_lbbbEUlllE0_EEPmJS6_EEE10hipError_tPvRmT3_T4_T5_T6_T7_T9_mT8_P12ihipStream_tbDpT10_ENKUlT_T0_E_clISt17integral_constantIbLb1EES1C_EEDaS17_S18_EUlS17_E_NS1_11comp_targetILNS1_3genE9ELNS1_11target_archE1100ELNS1_3gpuE3ELNS1_3repE0EEENS1_30default_config_static_selectorELNS0_4arch9wavefront6targetE0EEEvT1_
		.amdhsa_group_segment_fixed_size 33804
		.amdhsa_private_segment_fixed_size 0
		.amdhsa_kernarg_size 136
		.amdhsa_user_sgpr_count 15
		.amdhsa_user_sgpr_dispatch_ptr 0
		.amdhsa_user_sgpr_queue_ptr 0
		.amdhsa_user_sgpr_kernarg_segment_ptr 1
		.amdhsa_user_sgpr_dispatch_id 0
		.amdhsa_user_sgpr_private_segment_size 0
		.amdhsa_wavefront_size32 1
		.amdhsa_uses_dynamic_stack 0
		.amdhsa_enable_private_segment 0
		.amdhsa_system_sgpr_workgroup_id_x 1
		.amdhsa_system_sgpr_workgroup_id_y 0
		.amdhsa_system_sgpr_workgroup_id_z 0
		.amdhsa_system_sgpr_workgroup_info 0
		.amdhsa_system_vgpr_workitem_id 0
		.amdhsa_next_free_vgpr 52
		.amdhsa_next_free_sgpr 38
		.amdhsa_reserve_vcc 1
		.amdhsa_float_round_mode_32 0
		.amdhsa_float_round_mode_16_64 0
		.amdhsa_float_denorm_mode_32 3
		.amdhsa_float_denorm_mode_16_64 3
		.amdhsa_dx10_clamp 1
		.amdhsa_ieee_mode 1
		.amdhsa_fp16_overflow 0
		.amdhsa_workgroup_processor_mode 1
		.amdhsa_memory_ordered 1
		.amdhsa_forward_progress 0
		.amdhsa_shared_vgpr_count 0
		.amdhsa_exception_fp_ieee_invalid_op 0
		.amdhsa_exception_fp_denorm_src 0
		.amdhsa_exception_fp_ieee_div_zero 0
		.amdhsa_exception_fp_ieee_overflow 0
		.amdhsa_exception_fp_ieee_underflow 0
		.amdhsa_exception_fp_ieee_inexact 0
		.amdhsa_exception_int_div_zero 0
	.end_amdhsa_kernel
	.section	.text._ZN7rocprim17ROCPRIM_400000_NS6detail17trampoline_kernelINS0_14default_configENS1_25partition_config_selectorILNS1_17partition_subalgoE8ElNS0_10empty_typeEbEEZZNS1_14partition_implILS5_8ELb0ES3_jPlPS6_PKS6_NS0_5tupleIJS9_S6_EEENSD_IJSA_SA_EEENS0_18inequality_wrapperIZN2at6native12_GLOBAL__N_124unique_dim_cuda_templateIlEESt5tupleIJNSH_6TensorESM_SM_EERKSM_lbbbEUlllE0_EEPmJS6_EEE10hipError_tPvRmT3_T4_T5_T6_T7_T9_mT8_P12ihipStream_tbDpT10_ENKUlT_T0_E_clISt17integral_constantIbLb1EES1C_EEDaS17_S18_EUlS17_E_NS1_11comp_targetILNS1_3genE9ELNS1_11target_archE1100ELNS1_3gpuE3ELNS1_3repE0EEENS1_30default_config_static_selectorELNS0_4arch9wavefront6targetE0EEEvT1_,"axG",@progbits,_ZN7rocprim17ROCPRIM_400000_NS6detail17trampoline_kernelINS0_14default_configENS1_25partition_config_selectorILNS1_17partition_subalgoE8ElNS0_10empty_typeEbEEZZNS1_14partition_implILS5_8ELb0ES3_jPlPS6_PKS6_NS0_5tupleIJS9_S6_EEENSD_IJSA_SA_EEENS0_18inequality_wrapperIZN2at6native12_GLOBAL__N_124unique_dim_cuda_templateIlEESt5tupleIJNSH_6TensorESM_SM_EERKSM_lbbbEUlllE0_EEPmJS6_EEE10hipError_tPvRmT3_T4_T5_T6_T7_T9_mT8_P12ihipStream_tbDpT10_ENKUlT_T0_E_clISt17integral_constantIbLb1EES1C_EEDaS17_S18_EUlS17_E_NS1_11comp_targetILNS1_3genE9ELNS1_11target_archE1100ELNS1_3gpuE3ELNS1_3repE0EEENS1_30default_config_static_selectorELNS0_4arch9wavefront6targetE0EEEvT1_,comdat
.Lfunc_end577:
	.size	_ZN7rocprim17ROCPRIM_400000_NS6detail17trampoline_kernelINS0_14default_configENS1_25partition_config_selectorILNS1_17partition_subalgoE8ElNS0_10empty_typeEbEEZZNS1_14partition_implILS5_8ELb0ES3_jPlPS6_PKS6_NS0_5tupleIJS9_S6_EEENSD_IJSA_SA_EEENS0_18inequality_wrapperIZN2at6native12_GLOBAL__N_124unique_dim_cuda_templateIlEESt5tupleIJNSH_6TensorESM_SM_EERKSM_lbbbEUlllE0_EEPmJS6_EEE10hipError_tPvRmT3_T4_T5_T6_T7_T9_mT8_P12ihipStream_tbDpT10_ENKUlT_T0_E_clISt17integral_constantIbLb1EES1C_EEDaS17_S18_EUlS17_E_NS1_11comp_targetILNS1_3genE9ELNS1_11target_archE1100ELNS1_3gpuE3ELNS1_3repE0EEENS1_30default_config_static_selectorELNS0_4arch9wavefront6targetE0EEEvT1_, .Lfunc_end577-_ZN7rocprim17ROCPRIM_400000_NS6detail17trampoline_kernelINS0_14default_configENS1_25partition_config_selectorILNS1_17partition_subalgoE8ElNS0_10empty_typeEbEEZZNS1_14partition_implILS5_8ELb0ES3_jPlPS6_PKS6_NS0_5tupleIJS9_S6_EEENSD_IJSA_SA_EEENS0_18inequality_wrapperIZN2at6native12_GLOBAL__N_124unique_dim_cuda_templateIlEESt5tupleIJNSH_6TensorESM_SM_EERKSM_lbbbEUlllE0_EEPmJS6_EEE10hipError_tPvRmT3_T4_T5_T6_T7_T9_mT8_P12ihipStream_tbDpT10_ENKUlT_T0_E_clISt17integral_constantIbLb1EES1C_EEDaS17_S18_EUlS17_E_NS1_11comp_targetILNS1_3genE9ELNS1_11target_archE1100ELNS1_3gpuE3ELNS1_3repE0EEENS1_30default_config_static_selectorELNS0_4arch9wavefront6targetE0EEEvT1_
                                        ; -- End function
	.section	.AMDGPU.csdata,"",@progbits
; Kernel info:
; codeLenInByte = 18520
; NumSgprs: 40
; NumVgprs: 52
; ScratchSize: 0
; MemoryBound: 1
; FloatMode: 240
; IeeeMode: 1
; LDSByteSize: 33804 bytes/workgroup (compile time only)
; SGPRBlocks: 4
; VGPRBlocks: 6
; NumSGPRsForWavesPerEU: 40
; NumVGPRsForWavesPerEU: 52
; Occupancy: 12
; WaveLimiterHint : 1
; COMPUTE_PGM_RSRC2:SCRATCH_EN: 0
; COMPUTE_PGM_RSRC2:USER_SGPR: 15
; COMPUTE_PGM_RSRC2:TRAP_HANDLER: 0
; COMPUTE_PGM_RSRC2:TGID_X_EN: 1
; COMPUTE_PGM_RSRC2:TGID_Y_EN: 0
; COMPUTE_PGM_RSRC2:TGID_Z_EN: 0
; COMPUTE_PGM_RSRC2:TIDIG_COMP_CNT: 0
	.section	.text._ZN7rocprim17ROCPRIM_400000_NS6detail17trampoline_kernelINS0_14default_configENS1_25partition_config_selectorILNS1_17partition_subalgoE8ElNS0_10empty_typeEbEEZZNS1_14partition_implILS5_8ELb0ES3_jPlPS6_PKS6_NS0_5tupleIJS9_S6_EEENSD_IJSA_SA_EEENS0_18inequality_wrapperIZN2at6native12_GLOBAL__N_124unique_dim_cuda_templateIlEESt5tupleIJNSH_6TensorESM_SM_EERKSM_lbbbEUlllE0_EEPmJS6_EEE10hipError_tPvRmT3_T4_T5_T6_T7_T9_mT8_P12ihipStream_tbDpT10_ENKUlT_T0_E_clISt17integral_constantIbLb1EES1C_EEDaS17_S18_EUlS17_E_NS1_11comp_targetILNS1_3genE8ELNS1_11target_archE1030ELNS1_3gpuE2ELNS1_3repE0EEENS1_30default_config_static_selectorELNS0_4arch9wavefront6targetE0EEEvT1_,"axG",@progbits,_ZN7rocprim17ROCPRIM_400000_NS6detail17trampoline_kernelINS0_14default_configENS1_25partition_config_selectorILNS1_17partition_subalgoE8ElNS0_10empty_typeEbEEZZNS1_14partition_implILS5_8ELb0ES3_jPlPS6_PKS6_NS0_5tupleIJS9_S6_EEENSD_IJSA_SA_EEENS0_18inequality_wrapperIZN2at6native12_GLOBAL__N_124unique_dim_cuda_templateIlEESt5tupleIJNSH_6TensorESM_SM_EERKSM_lbbbEUlllE0_EEPmJS6_EEE10hipError_tPvRmT3_T4_T5_T6_T7_T9_mT8_P12ihipStream_tbDpT10_ENKUlT_T0_E_clISt17integral_constantIbLb1EES1C_EEDaS17_S18_EUlS17_E_NS1_11comp_targetILNS1_3genE8ELNS1_11target_archE1030ELNS1_3gpuE2ELNS1_3repE0EEENS1_30default_config_static_selectorELNS0_4arch9wavefront6targetE0EEEvT1_,comdat
	.globl	_ZN7rocprim17ROCPRIM_400000_NS6detail17trampoline_kernelINS0_14default_configENS1_25partition_config_selectorILNS1_17partition_subalgoE8ElNS0_10empty_typeEbEEZZNS1_14partition_implILS5_8ELb0ES3_jPlPS6_PKS6_NS0_5tupleIJS9_S6_EEENSD_IJSA_SA_EEENS0_18inequality_wrapperIZN2at6native12_GLOBAL__N_124unique_dim_cuda_templateIlEESt5tupleIJNSH_6TensorESM_SM_EERKSM_lbbbEUlllE0_EEPmJS6_EEE10hipError_tPvRmT3_T4_T5_T6_T7_T9_mT8_P12ihipStream_tbDpT10_ENKUlT_T0_E_clISt17integral_constantIbLb1EES1C_EEDaS17_S18_EUlS17_E_NS1_11comp_targetILNS1_3genE8ELNS1_11target_archE1030ELNS1_3gpuE2ELNS1_3repE0EEENS1_30default_config_static_selectorELNS0_4arch9wavefront6targetE0EEEvT1_ ; -- Begin function _ZN7rocprim17ROCPRIM_400000_NS6detail17trampoline_kernelINS0_14default_configENS1_25partition_config_selectorILNS1_17partition_subalgoE8ElNS0_10empty_typeEbEEZZNS1_14partition_implILS5_8ELb0ES3_jPlPS6_PKS6_NS0_5tupleIJS9_S6_EEENSD_IJSA_SA_EEENS0_18inequality_wrapperIZN2at6native12_GLOBAL__N_124unique_dim_cuda_templateIlEESt5tupleIJNSH_6TensorESM_SM_EERKSM_lbbbEUlllE0_EEPmJS6_EEE10hipError_tPvRmT3_T4_T5_T6_T7_T9_mT8_P12ihipStream_tbDpT10_ENKUlT_T0_E_clISt17integral_constantIbLb1EES1C_EEDaS17_S18_EUlS17_E_NS1_11comp_targetILNS1_3genE8ELNS1_11target_archE1030ELNS1_3gpuE2ELNS1_3repE0EEENS1_30default_config_static_selectorELNS0_4arch9wavefront6targetE0EEEvT1_
	.p2align	8
	.type	_ZN7rocprim17ROCPRIM_400000_NS6detail17trampoline_kernelINS0_14default_configENS1_25partition_config_selectorILNS1_17partition_subalgoE8ElNS0_10empty_typeEbEEZZNS1_14partition_implILS5_8ELb0ES3_jPlPS6_PKS6_NS0_5tupleIJS9_S6_EEENSD_IJSA_SA_EEENS0_18inequality_wrapperIZN2at6native12_GLOBAL__N_124unique_dim_cuda_templateIlEESt5tupleIJNSH_6TensorESM_SM_EERKSM_lbbbEUlllE0_EEPmJS6_EEE10hipError_tPvRmT3_T4_T5_T6_T7_T9_mT8_P12ihipStream_tbDpT10_ENKUlT_T0_E_clISt17integral_constantIbLb1EES1C_EEDaS17_S18_EUlS17_E_NS1_11comp_targetILNS1_3genE8ELNS1_11target_archE1030ELNS1_3gpuE2ELNS1_3repE0EEENS1_30default_config_static_selectorELNS0_4arch9wavefront6targetE0EEEvT1_,@function
_ZN7rocprim17ROCPRIM_400000_NS6detail17trampoline_kernelINS0_14default_configENS1_25partition_config_selectorILNS1_17partition_subalgoE8ElNS0_10empty_typeEbEEZZNS1_14partition_implILS5_8ELb0ES3_jPlPS6_PKS6_NS0_5tupleIJS9_S6_EEENSD_IJSA_SA_EEENS0_18inequality_wrapperIZN2at6native12_GLOBAL__N_124unique_dim_cuda_templateIlEESt5tupleIJNSH_6TensorESM_SM_EERKSM_lbbbEUlllE0_EEPmJS6_EEE10hipError_tPvRmT3_T4_T5_T6_T7_T9_mT8_P12ihipStream_tbDpT10_ENKUlT_T0_E_clISt17integral_constantIbLb1EES1C_EEDaS17_S18_EUlS17_E_NS1_11comp_targetILNS1_3genE8ELNS1_11target_archE1030ELNS1_3gpuE2ELNS1_3repE0EEENS1_30default_config_static_selectorELNS0_4arch9wavefront6targetE0EEEvT1_: ; @_ZN7rocprim17ROCPRIM_400000_NS6detail17trampoline_kernelINS0_14default_configENS1_25partition_config_selectorILNS1_17partition_subalgoE8ElNS0_10empty_typeEbEEZZNS1_14partition_implILS5_8ELb0ES3_jPlPS6_PKS6_NS0_5tupleIJS9_S6_EEENSD_IJSA_SA_EEENS0_18inequality_wrapperIZN2at6native12_GLOBAL__N_124unique_dim_cuda_templateIlEESt5tupleIJNSH_6TensorESM_SM_EERKSM_lbbbEUlllE0_EEPmJS6_EEE10hipError_tPvRmT3_T4_T5_T6_T7_T9_mT8_P12ihipStream_tbDpT10_ENKUlT_T0_E_clISt17integral_constantIbLb1EES1C_EEDaS17_S18_EUlS17_E_NS1_11comp_targetILNS1_3genE8ELNS1_11target_archE1030ELNS1_3gpuE2ELNS1_3repE0EEENS1_30default_config_static_selectorELNS0_4arch9wavefront6targetE0EEEvT1_
; %bb.0:
	.section	.rodata,"a",@progbits
	.p2align	6, 0x0
	.amdhsa_kernel _ZN7rocprim17ROCPRIM_400000_NS6detail17trampoline_kernelINS0_14default_configENS1_25partition_config_selectorILNS1_17partition_subalgoE8ElNS0_10empty_typeEbEEZZNS1_14partition_implILS5_8ELb0ES3_jPlPS6_PKS6_NS0_5tupleIJS9_S6_EEENSD_IJSA_SA_EEENS0_18inequality_wrapperIZN2at6native12_GLOBAL__N_124unique_dim_cuda_templateIlEESt5tupleIJNSH_6TensorESM_SM_EERKSM_lbbbEUlllE0_EEPmJS6_EEE10hipError_tPvRmT3_T4_T5_T6_T7_T9_mT8_P12ihipStream_tbDpT10_ENKUlT_T0_E_clISt17integral_constantIbLb1EES1C_EEDaS17_S18_EUlS17_E_NS1_11comp_targetILNS1_3genE8ELNS1_11target_archE1030ELNS1_3gpuE2ELNS1_3repE0EEENS1_30default_config_static_selectorELNS0_4arch9wavefront6targetE0EEEvT1_
		.amdhsa_group_segment_fixed_size 0
		.amdhsa_private_segment_fixed_size 0
		.amdhsa_kernarg_size 136
		.amdhsa_user_sgpr_count 15
		.amdhsa_user_sgpr_dispatch_ptr 0
		.amdhsa_user_sgpr_queue_ptr 0
		.amdhsa_user_sgpr_kernarg_segment_ptr 1
		.amdhsa_user_sgpr_dispatch_id 0
		.amdhsa_user_sgpr_private_segment_size 0
		.amdhsa_wavefront_size32 1
		.amdhsa_uses_dynamic_stack 0
		.amdhsa_enable_private_segment 0
		.amdhsa_system_sgpr_workgroup_id_x 1
		.amdhsa_system_sgpr_workgroup_id_y 0
		.amdhsa_system_sgpr_workgroup_id_z 0
		.amdhsa_system_sgpr_workgroup_info 0
		.amdhsa_system_vgpr_workitem_id 0
		.amdhsa_next_free_vgpr 1
		.amdhsa_next_free_sgpr 1
		.amdhsa_reserve_vcc 0
		.amdhsa_float_round_mode_32 0
		.amdhsa_float_round_mode_16_64 0
		.amdhsa_float_denorm_mode_32 3
		.amdhsa_float_denorm_mode_16_64 3
		.amdhsa_dx10_clamp 1
		.amdhsa_ieee_mode 1
		.amdhsa_fp16_overflow 0
		.amdhsa_workgroup_processor_mode 1
		.amdhsa_memory_ordered 1
		.amdhsa_forward_progress 0
		.amdhsa_shared_vgpr_count 0
		.amdhsa_exception_fp_ieee_invalid_op 0
		.amdhsa_exception_fp_denorm_src 0
		.amdhsa_exception_fp_ieee_div_zero 0
		.amdhsa_exception_fp_ieee_overflow 0
		.amdhsa_exception_fp_ieee_underflow 0
		.amdhsa_exception_fp_ieee_inexact 0
		.amdhsa_exception_int_div_zero 0
	.end_amdhsa_kernel
	.section	.text._ZN7rocprim17ROCPRIM_400000_NS6detail17trampoline_kernelINS0_14default_configENS1_25partition_config_selectorILNS1_17partition_subalgoE8ElNS0_10empty_typeEbEEZZNS1_14partition_implILS5_8ELb0ES3_jPlPS6_PKS6_NS0_5tupleIJS9_S6_EEENSD_IJSA_SA_EEENS0_18inequality_wrapperIZN2at6native12_GLOBAL__N_124unique_dim_cuda_templateIlEESt5tupleIJNSH_6TensorESM_SM_EERKSM_lbbbEUlllE0_EEPmJS6_EEE10hipError_tPvRmT3_T4_T5_T6_T7_T9_mT8_P12ihipStream_tbDpT10_ENKUlT_T0_E_clISt17integral_constantIbLb1EES1C_EEDaS17_S18_EUlS17_E_NS1_11comp_targetILNS1_3genE8ELNS1_11target_archE1030ELNS1_3gpuE2ELNS1_3repE0EEENS1_30default_config_static_selectorELNS0_4arch9wavefront6targetE0EEEvT1_,"axG",@progbits,_ZN7rocprim17ROCPRIM_400000_NS6detail17trampoline_kernelINS0_14default_configENS1_25partition_config_selectorILNS1_17partition_subalgoE8ElNS0_10empty_typeEbEEZZNS1_14partition_implILS5_8ELb0ES3_jPlPS6_PKS6_NS0_5tupleIJS9_S6_EEENSD_IJSA_SA_EEENS0_18inequality_wrapperIZN2at6native12_GLOBAL__N_124unique_dim_cuda_templateIlEESt5tupleIJNSH_6TensorESM_SM_EERKSM_lbbbEUlllE0_EEPmJS6_EEE10hipError_tPvRmT3_T4_T5_T6_T7_T9_mT8_P12ihipStream_tbDpT10_ENKUlT_T0_E_clISt17integral_constantIbLb1EES1C_EEDaS17_S18_EUlS17_E_NS1_11comp_targetILNS1_3genE8ELNS1_11target_archE1030ELNS1_3gpuE2ELNS1_3repE0EEENS1_30default_config_static_selectorELNS0_4arch9wavefront6targetE0EEEvT1_,comdat
.Lfunc_end578:
	.size	_ZN7rocprim17ROCPRIM_400000_NS6detail17trampoline_kernelINS0_14default_configENS1_25partition_config_selectorILNS1_17partition_subalgoE8ElNS0_10empty_typeEbEEZZNS1_14partition_implILS5_8ELb0ES3_jPlPS6_PKS6_NS0_5tupleIJS9_S6_EEENSD_IJSA_SA_EEENS0_18inequality_wrapperIZN2at6native12_GLOBAL__N_124unique_dim_cuda_templateIlEESt5tupleIJNSH_6TensorESM_SM_EERKSM_lbbbEUlllE0_EEPmJS6_EEE10hipError_tPvRmT3_T4_T5_T6_T7_T9_mT8_P12ihipStream_tbDpT10_ENKUlT_T0_E_clISt17integral_constantIbLb1EES1C_EEDaS17_S18_EUlS17_E_NS1_11comp_targetILNS1_3genE8ELNS1_11target_archE1030ELNS1_3gpuE2ELNS1_3repE0EEENS1_30default_config_static_selectorELNS0_4arch9wavefront6targetE0EEEvT1_, .Lfunc_end578-_ZN7rocprim17ROCPRIM_400000_NS6detail17trampoline_kernelINS0_14default_configENS1_25partition_config_selectorILNS1_17partition_subalgoE8ElNS0_10empty_typeEbEEZZNS1_14partition_implILS5_8ELb0ES3_jPlPS6_PKS6_NS0_5tupleIJS9_S6_EEENSD_IJSA_SA_EEENS0_18inequality_wrapperIZN2at6native12_GLOBAL__N_124unique_dim_cuda_templateIlEESt5tupleIJNSH_6TensorESM_SM_EERKSM_lbbbEUlllE0_EEPmJS6_EEE10hipError_tPvRmT3_T4_T5_T6_T7_T9_mT8_P12ihipStream_tbDpT10_ENKUlT_T0_E_clISt17integral_constantIbLb1EES1C_EEDaS17_S18_EUlS17_E_NS1_11comp_targetILNS1_3genE8ELNS1_11target_archE1030ELNS1_3gpuE2ELNS1_3repE0EEENS1_30default_config_static_selectorELNS0_4arch9wavefront6targetE0EEEvT1_
                                        ; -- End function
	.section	.AMDGPU.csdata,"",@progbits
; Kernel info:
; codeLenInByte = 0
; NumSgprs: 0
; NumVgprs: 0
; ScratchSize: 0
; MemoryBound: 0
; FloatMode: 240
; IeeeMode: 1
; LDSByteSize: 0 bytes/workgroup (compile time only)
; SGPRBlocks: 0
; VGPRBlocks: 0
; NumSGPRsForWavesPerEU: 1
; NumVGPRsForWavesPerEU: 1
; Occupancy: 16
; WaveLimiterHint : 0
; COMPUTE_PGM_RSRC2:SCRATCH_EN: 0
; COMPUTE_PGM_RSRC2:USER_SGPR: 15
; COMPUTE_PGM_RSRC2:TRAP_HANDLER: 0
; COMPUTE_PGM_RSRC2:TGID_X_EN: 1
; COMPUTE_PGM_RSRC2:TGID_Y_EN: 0
; COMPUTE_PGM_RSRC2:TGID_Z_EN: 0
; COMPUTE_PGM_RSRC2:TIDIG_COMP_CNT: 0
	.section	.text._ZN7rocprim17ROCPRIM_400000_NS6detail17trampoline_kernelINS0_14default_configENS1_25partition_config_selectorILNS1_17partition_subalgoE8ElNS0_10empty_typeEbEEZZNS1_14partition_implILS5_8ELb0ES3_jPlPS6_PKS6_NS0_5tupleIJS9_S6_EEENSD_IJSA_SA_EEENS0_18inequality_wrapperIZN2at6native12_GLOBAL__N_124unique_dim_cuda_templateIlEESt5tupleIJNSH_6TensorESM_SM_EERKSM_lbbbEUlllE0_EEPmJS6_EEE10hipError_tPvRmT3_T4_T5_T6_T7_T9_mT8_P12ihipStream_tbDpT10_ENKUlT_T0_E_clISt17integral_constantIbLb1EES1B_IbLb0EEEEDaS17_S18_EUlS17_E_NS1_11comp_targetILNS1_3genE0ELNS1_11target_archE4294967295ELNS1_3gpuE0ELNS1_3repE0EEENS1_30default_config_static_selectorELNS0_4arch9wavefront6targetE0EEEvT1_,"axG",@progbits,_ZN7rocprim17ROCPRIM_400000_NS6detail17trampoline_kernelINS0_14default_configENS1_25partition_config_selectorILNS1_17partition_subalgoE8ElNS0_10empty_typeEbEEZZNS1_14partition_implILS5_8ELb0ES3_jPlPS6_PKS6_NS0_5tupleIJS9_S6_EEENSD_IJSA_SA_EEENS0_18inequality_wrapperIZN2at6native12_GLOBAL__N_124unique_dim_cuda_templateIlEESt5tupleIJNSH_6TensorESM_SM_EERKSM_lbbbEUlllE0_EEPmJS6_EEE10hipError_tPvRmT3_T4_T5_T6_T7_T9_mT8_P12ihipStream_tbDpT10_ENKUlT_T0_E_clISt17integral_constantIbLb1EES1B_IbLb0EEEEDaS17_S18_EUlS17_E_NS1_11comp_targetILNS1_3genE0ELNS1_11target_archE4294967295ELNS1_3gpuE0ELNS1_3repE0EEENS1_30default_config_static_selectorELNS0_4arch9wavefront6targetE0EEEvT1_,comdat
	.globl	_ZN7rocprim17ROCPRIM_400000_NS6detail17trampoline_kernelINS0_14default_configENS1_25partition_config_selectorILNS1_17partition_subalgoE8ElNS0_10empty_typeEbEEZZNS1_14partition_implILS5_8ELb0ES3_jPlPS6_PKS6_NS0_5tupleIJS9_S6_EEENSD_IJSA_SA_EEENS0_18inequality_wrapperIZN2at6native12_GLOBAL__N_124unique_dim_cuda_templateIlEESt5tupleIJNSH_6TensorESM_SM_EERKSM_lbbbEUlllE0_EEPmJS6_EEE10hipError_tPvRmT3_T4_T5_T6_T7_T9_mT8_P12ihipStream_tbDpT10_ENKUlT_T0_E_clISt17integral_constantIbLb1EES1B_IbLb0EEEEDaS17_S18_EUlS17_E_NS1_11comp_targetILNS1_3genE0ELNS1_11target_archE4294967295ELNS1_3gpuE0ELNS1_3repE0EEENS1_30default_config_static_selectorELNS0_4arch9wavefront6targetE0EEEvT1_ ; -- Begin function _ZN7rocprim17ROCPRIM_400000_NS6detail17trampoline_kernelINS0_14default_configENS1_25partition_config_selectorILNS1_17partition_subalgoE8ElNS0_10empty_typeEbEEZZNS1_14partition_implILS5_8ELb0ES3_jPlPS6_PKS6_NS0_5tupleIJS9_S6_EEENSD_IJSA_SA_EEENS0_18inequality_wrapperIZN2at6native12_GLOBAL__N_124unique_dim_cuda_templateIlEESt5tupleIJNSH_6TensorESM_SM_EERKSM_lbbbEUlllE0_EEPmJS6_EEE10hipError_tPvRmT3_T4_T5_T6_T7_T9_mT8_P12ihipStream_tbDpT10_ENKUlT_T0_E_clISt17integral_constantIbLb1EES1B_IbLb0EEEEDaS17_S18_EUlS17_E_NS1_11comp_targetILNS1_3genE0ELNS1_11target_archE4294967295ELNS1_3gpuE0ELNS1_3repE0EEENS1_30default_config_static_selectorELNS0_4arch9wavefront6targetE0EEEvT1_
	.p2align	8
	.type	_ZN7rocprim17ROCPRIM_400000_NS6detail17trampoline_kernelINS0_14default_configENS1_25partition_config_selectorILNS1_17partition_subalgoE8ElNS0_10empty_typeEbEEZZNS1_14partition_implILS5_8ELb0ES3_jPlPS6_PKS6_NS0_5tupleIJS9_S6_EEENSD_IJSA_SA_EEENS0_18inequality_wrapperIZN2at6native12_GLOBAL__N_124unique_dim_cuda_templateIlEESt5tupleIJNSH_6TensorESM_SM_EERKSM_lbbbEUlllE0_EEPmJS6_EEE10hipError_tPvRmT3_T4_T5_T6_T7_T9_mT8_P12ihipStream_tbDpT10_ENKUlT_T0_E_clISt17integral_constantIbLb1EES1B_IbLb0EEEEDaS17_S18_EUlS17_E_NS1_11comp_targetILNS1_3genE0ELNS1_11target_archE4294967295ELNS1_3gpuE0ELNS1_3repE0EEENS1_30default_config_static_selectorELNS0_4arch9wavefront6targetE0EEEvT1_,@function
_ZN7rocprim17ROCPRIM_400000_NS6detail17trampoline_kernelINS0_14default_configENS1_25partition_config_selectorILNS1_17partition_subalgoE8ElNS0_10empty_typeEbEEZZNS1_14partition_implILS5_8ELb0ES3_jPlPS6_PKS6_NS0_5tupleIJS9_S6_EEENSD_IJSA_SA_EEENS0_18inequality_wrapperIZN2at6native12_GLOBAL__N_124unique_dim_cuda_templateIlEESt5tupleIJNSH_6TensorESM_SM_EERKSM_lbbbEUlllE0_EEPmJS6_EEE10hipError_tPvRmT3_T4_T5_T6_T7_T9_mT8_P12ihipStream_tbDpT10_ENKUlT_T0_E_clISt17integral_constantIbLb1EES1B_IbLb0EEEEDaS17_S18_EUlS17_E_NS1_11comp_targetILNS1_3genE0ELNS1_11target_archE4294967295ELNS1_3gpuE0ELNS1_3repE0EEENS1_30default_config_static_selectorELNS0_4arch9wavefront6targetE0EEEvT1_: ; @_ZN7rocprim17ROCPRIM_400000_NS6detail17trampoline_kernelINS0_14default_configENS1_25partition_config_selectorILNS1_17partition_subalgoE8ElNS0_10empty_typeEbEEZZNS1_14partition_implILS5_8ELb0ES3_jPlPS6_PKS6_NS0_5tupleIJS9_S6_EEENSD_IJSA_SA_EEENS0_18inequality_wrapperIZN2at6native12_GLOBAL__N_124unique_dim_cuda_templateIlEESt5tupleIJNSH_6TensorESM_SM_EERKSM_lbbbEUlllE0_EEPmJS6_EEE10hipError_tPvRmT3_T4_T5_T6_T7_T9_mT8_P12ihipStream_tbDpT10_ENKUlT_T0_E_clISt17integral_constantIbLb1EES1B_IbLb0EEEEDaS17_S18_EUlS17_E_NS1_11comp_targetILNS1_3genE0ELNS1_11target_archE4294967295ELNS1_3gpuE0ELNS1_3repE0EEENS1_30default_config_static_selectorELNS0_4arch9wavefront6targetE0EEEvT1_
; %bb.0:
	.section	.rodata,"a",@progbits
	.p2align	6, 0x0
	.amdhsa_kernel _ZN7rocprim17ROCPRIM_400000_NS6detail17trampoline_kernelINS0_14default_configENS1_25partition_config_selectorILNS1_17partition_subalgoE8ElNS0_10empty_typeEbEEZZNS1_14partition_implILS5_8ELb0ES3_jPlPS6_PKS6_NS0_5tupleIJS9_S6_EEENSD_IJSA_SA_EEENS0_18inequality_wrapperIZN2at6native12_GLOBAL__N_124unique_dim_cuda_templateIlEESt5tupleIJNSH_6TensorESM_SM_EERKSM_lbbbEUlllE0_EEPmJS6_EEE10hipError_tPvRmT3_T4_T5_T6_T7_T9_mT8_P12ihipStream_tbDpT10_ENKUlT_T0_E_clISt17integral_constantIbLb1EES1B_IbLb0EEEEDaS17_S18_EUlS17_E_NS1_11comp_targetILNS1_3genE0ELNS1_11target_archE4294967295ELNS1_3gpuE0ELNS1_3repE0EEENS1_30default_config_static_selectorELNS0_4arch9wavefront6targetE0EEEvT1_
		.amdhsa_group_segment_fixed_size 0
		.amdhsa_private_segment_fixed_size 0
		.amdhsa_kernarg_size 120
		.amdhsa_user_sgpr_count 15
		.amdhsa_user_sgpr_dispatch_ptr 0
		.amdhsa_user_sgpr_queue_ptr 0
		.amdhsa_user_sgpr_kernarg_segment_ptr 1
		.amdhsa_user_sgpr_dispatch_id 0
		.amdhsa_user_sgpr_private_segment_size 0
		.amdhsa_wavefront_size32 1
		.amdhsa_uses_dynamic_stack 0
		.amdhsa_enable_private_segment 0
		.amdhsa_system_sgpr_workgroup_id_x 1
		.amdhsa_system_sgpr_workgroup_id_y 0
		.amdhsa_system_sgpr_workgroup_id_z 0
		.amdhsa_system_sgpr_workgroup_info 0
		.amdhsa_system_vgpr_workitem_id 0
		.amdhsa_next_free_vgpr 1
		.amdhsa_next_free_sgpr 1
		.amdhsa_reserve_vcc 0
		.amdhsa_float_round_mode_32 0
		.amdhsa_float_round_mode_16_64 0
		.amdhsa_float_denorm_mode_32 3
		.amdhsa_float_denorm_mode_16_64 3
		.amdhsa_dx10_clamp 1
		.amdhsa_ieee_mode 1
		.amdhsa_fp16_overflow 0
		.amdhsa_workgroup_processor_mode 1
		.amdhsa_memory_ordered 1
		.amdhsa_forward_progress 0
		.amdhsa_shared_vgpr_count 0
		.amdhsa_exception_fp_ieee_invalid_op 0
		.amdhsa_exception_fp_denorm_src 0
		.amdhsa_exception_fp_ieee_div_zero 0
		.amdhsa_exception_fp_ieee_overflow 0
		.amdhsa_exception_fp_ieee_underflow 0
		.amdhsa_exception_fp_ieee_inexact 0
		.amdhsa_exception_int_div_zero 0
	.end_amdhsa_kernel
	.section	.text._ZN7rocprim17ROCPRIM_400000_NS6detail17trampoline_kernelINS0_14default_configENS1_25partition_config_selectorILNS1_17partition_subalgoE8ElNS0_10empty_typeEbEEZZNS1_14partition_implILS5_8ELb0ES3_jPlPS6_PKS6_NS0_5tupleIJS9_S6_EEENSD_IJSA_SA_EEENS0_18inequality_wrapperIZN2at6native12_GLOBAL__N_124unique_dim_cuda_templateIlEESt5tupleIJNSH_6TensorESM_SM_EERKSM_lbbbEUlllE0_EEPmJS6_EEE10hipError_tPvRmT3_T4_T5_T6_T7_T9_mT8_P12ihipStream_tbDpT10_ENKUlT_T0_E_clISt17integral_constantIbLb1EES1B_IbLb0EEEEDaS17_S18_EUlS17_E_NS1_11comp_targetILNS1_3genE0ELNS1_11target_archE4294967295ELNS1_3gpuE0ELNS1_3repE0EEENS1_30default_config_static_selectorELNS0_4arch9wavefront6targetE0EEEvT1_,"axG",@progbits,_ZN7rocprim17ROCPRIM_400000_NS6detail17trampoline_kernelINS0_14default_configENS1_25partition_config_selectorILNS1_17partition_subalgoE8ElNS0_10empty_typeEbEEZZNS1_14partition_implILS5_8ELb0ES3_jPlPS6_PKS6_NS0_5tupleIJS9_S6_EEENSD_IJSA_SA_EEENS0_18inequality_wrapperIZN2at6native12_GLOBAL__N_124unique_dim_cuda_templateIlEESt5tupleIJNSH_6TensorESM_SM_EERKSM_lbbbEUlllE0_EEPmJS6_EEE10hipError_tPvRmT3_T4_T5_T6_T7_T9_mT8_P12ihipStream_tbDpT10_ENKUlT_T0_E_clISt17integral_constantIbLb1EES1B_IbLb0EEEEDaS17_S18_EUlS17_E_NS1_11comp_targetILNS1_3genE0ELNS1_11target_archE4294967295ELNS1_3gpuE0ELNS1_3repE0EEENS1_30default_config_static_selectorELNS0_4arch9wavefront6targetE0EEEvT1_,comdat
.Lfunc_end579:
	.size	_ZN7rocprim17ROCPRIM_400000_NS6detail17trampoline_kernelINS0_14default_configENS1_25partition_config_selectorILNS1_17partition_subalgoE8ElNS0_10empty_typeEbEEZZNS1_14partition_implILS5_8ELb0ES3_jPlPS6_PKS6_NS0_5tupleIJS9_S6_EEENSD_IJSA_SA_EEENS0_18inequality_wrapperIZN2at6native12_GLOBAL__N_124unique_dim_cuda_templateIlEESt5tupleIJNSH_6TensorESM_SM_EERKSM_lbbbEUlllE0_EEPmJS6_EEE10hipError_tPvRmT3_T4_T5_T6_T7_T9_mT8_P12ihipStream_tbDpT10_ENKUlT_T0_E_clISt17integral_constantIbLb1EES1B_IbLb0EEEEDaS17_S18_EUlS17_E_NS1_11comp_targetILNS1_3genE0ELNS1_11target_archE4294967295ELNS1_3gpuE0ELNS1_3repE0EEENS1_30default_config_static_selectorELNS0_4arch9wavefront6targetE0EEEvT1_, .Lfunc_end579-_ZN7rocprim17ROCPRIM_400000_NS6detail17trampoline_kernelINS0_14default_configENS1_25partition_config_selectorILNS1_17partition_subalgoE8ElNS0_10empty_typeEbEEZZNS1_14partition_implILS5_8ELb0ES3_jPlPS6_PKS6_NS0_5tupleIJS9_S6_EEENSD_IJSA_SA_EEENS0_18inequality_wrapperIZN2at6native12_GLOBAL__N_124unique_dim_cuda_templateIlEESt5tupleIJNSH_6TensorESM_SM_EERKSM_lbbbEUlllE0_EEPmJS6_EEE10hipError_tPvRmT3_T4_T5_T6_T7_T9_mT8_P12ihipStream_tbDpT10_ENKUlT_T0_E_clISt17integral_constantIbLb1EES1B_IbLb0EEEEDaS17_S18_EUlS17_E_NS1_11comp_targetILNS1_3genE0ELNS1_11target_archE4294967295ELNS1_3gpuE0ELNS1_3repE0EEENS1_30default_config_static_selectorELNS0_4arch9wavefront6targetE0EEEvT1_
                                        ; -- End function
	.section	.AMDGPU.csdata,"",@progbits
; Kernel info:
; codeLenInByte = 0
; NumSgprs: 0
; NumVgprs: 0
; ScratchSize: 0
; MemoryBound: 0
; FloatMode: 240
; IeeeMode: 1
; LDSByteSize: 0 bytes/workgroup (compile time only)
; SGPRBlocks: 0
; VGPRBlocks: 0
; NumSGPRsForWavesPerEU: 1
; NumVGPRsForWavesPerEU: 1
; Occupancy: 16
; WaveLimiterHint : 0
; COMPUTE_PGM_RSRC2:SCRATCH_EN: 0
; COMPUTE_PGM_RSRC2:USER_SGPR: 15
; COMPUTE_PGM_RSRC2:TRAP_HANDLER: 0
; COMPUTE_PGM_RSRC2:TGID_X_EN: 1
; COMPUTE_PGM_RSRC2:TGID_Y_EN: 0
; COMPUTE_PGM_RSRC2:TGID_Z_EN: 0
; COMPUTE_PGM_RSRC2:TIDIG_COMP_CNT: 0
	.section	.text._ZN7rocprim17ROCPRIM_400000_NS6detail17trampoline_kernelINS0_14default_configENS1_25partition_config_selectorILNS1_17partition_subalgoE8ElNS0_10empty_typeEbEEZZNS1_14partition_implILS5_8ELb0ES3_jPlPS6_PKS6_NS0_5tupleIJS9_S6_EEENSD_IJSA_SA_EEENS0_18inequality_wrapperIZN2at6native12_GLOBAL__N_124unique_dim_cuda_templateIlEESt5tupleIJNSH_6TensorESM_SM_EERKSM_lbbbEUlllE0_EEPmJS6_EEE10hipError_tPvRmT3_T4_T5_T6_T7_T9_mT8_P12ihipStream_tbDpT10_ENKUlT_T0_E_clISt17integral_constantIbLb1EES1B_IbLb0EEEEDaS17_S18_EUlS17_E_NS1_11comp_targetILNS1_3genE5ELNS1_11target_archE942ELNS1_3gpuE9ELNS1_3repE0EEENS1_30default_config_static_selectorELNS0_4arch9wavefront6targetE0EEEvT1_,"axG",@progbits,_ZN7rocprim17ROCPRIM_400000_NS6detail17trampoline_kernelINS0_14default_configENS1_25partition_config_selectorILNS1_17partition_subalgoE8ElNS0_10empty_typeEbEEZZNS1_14partition_implILS5_8ELb0ES3_jPlPS6_PKS6_NS0_5tupleIJS9_S6_EEENSD_IJSA_SA_EEENS0_18inequality_wrapperIZN2at6native12_GLOBAL__N_124unique_dim_cuda_templateIlEESt5tupleIJNSH_6TensorESM_SM_EERKSM_lbbbEUlllE0_EEPmJS6_EEE10hipError_tPvRmT3_T4_T5_T6_T7_T9_mT8_P12ihipStream_tbDpT10_ENKUlT_T0_E_clISt17integral_constantIbLb1EES1B_IbLb0EEEEDaS17_S18_EUlS17_E_NS1_11comp_targetILNS1_3genE5ELNS1_11target_archE942ELNS1_3gpuE9ELNS1_3repE0EEENS1_30default_config_static_selectorELNS0_4arch9wavefront6targetE0EEEvT1_,comdat
	.globl	_ZN7rocprim17ROCPRIM_400000_NS6detail17trampoline_kernelINS0_14default_configENS1_25partition_config_selectorILNS1_17partition_subalgoE8ElNS0_10empty_typeEbEEZZNS1_14partition_implILS5_8ELb0ES3_jPlPS6_PKS6_NS0_5tupleIJS9_S6_EEENSD_IJSA_SA_EEENS0_18inequality_wrapperIZN2at6native12_GLOBAL__N_124unique_dim_cuda_templateIlEESt5tupleIJNSH_6TensorESM_SM_EERKSM_lbbbEUlllE0_EEPmJS6_EEE10hipError_tPvRmT3_T4_T5_T6_T7_T9_mT8_P12ihipStream_tbDpT10_ENKUlT_T0_E_clISt17integral_constantIbLb1EES1B_IbLb0EEEEDaS17_S18_EUlS17_E_NS1_11comp_targetILNS1_3genE5ELNS1_11target_archE942ELNS1_3gpuE9ELNS1_3repE0EEENS1_30default_config_static_selectorELNS0_4arch9wavefront6targetE0EEEvT1_ ; -- Begin function _ZN7rocprim17ROCPRIM_400000_NS6detail17trampoline_kernelINS0_14default_configENS1_25partition_config_selectorILNS1_17partition_subalgoE8ElNS0_10empty_typeEbEEZZNS1_14partition_implILS5_8ELb0ES3_jPlPS6_PKS6_NS0_5tupleIJS9_S6_EEENSD_IJSA_SA_EEENS0_18inequality_wrapperIZN2at6native12_GLOBAL__N_124unique_dim_cuda_templateIlEESt5tupleIJNSH_6TensorESM_SM_EERKSM_lbbbEUlllE0_EEPmJS6_EEE10hipError_tPvRmT3_T4_T5_T6_T7_T9_mT8_P12ihipStream_tbDpT10_ENKUlT_T0_E_clISt17integral_constantIbLb1EES1B_IbLb0EEEEDaS17_S18_EUlS17_E_NS1_11comp_targetILNS1_3genE5ELNS1_11target_archE942ELNS1_3gpuE9ELNS1_3repE0EEENS1_30default_config_static_selectorELNS0_4arch9wavefront6targetE0EEEvT1_
	.p2align	8
	.type	_ZN7rocprim17ROCPRIM_400000_NS6detail17trampoline_kernelINS0_14default_configENS1_25partition_config_selectorILNS1_17partition_subalgoE8ElNS0_10empty_typeEbEEZZNS1_14partition_implILS5_8ELb0ES3_jPlPS6_PKS6_NS0_5tupleIJS9_S6_EEENSD_IJSA_SA_EEENS0_18inequality_wrapperIZN2at6native12_GLOBAL__N_124unique_dim_cuda_templateIlEESt5tupleIJNSH_6TensorESM_SM_EERKSM_lbbbEUlllE0_EEPmJS6_EEE10hipError_tPvRmT3_T4_T5_T6_T7_T9_mT8_P12ihipStream_tbDpT10_ENKUlT_T0_E_clISt17integral_constantIbLb1EES1B_IbLb0EEEEDaS17_S18_EUlS17_E_NS1_11comp_targetILNS1_3genE5ELNS1_11target_archE942ELNS1_3gpuE9ELNS1_3repE0EEENS1_30default_config_static_selectorELNS0_4arch9wavefront6targetE0EEEvT1_,@function
_ZN7rocprim17ROCPRIM_400000_NS6detail17trampoline_kernelINS0_14default_configENS1_25partition_config_selectorILNS1_17partition_subalgoE8ElNS0_10empty_typeEbEEZZNS1_14partition_implILS5_8ELb0ES3_jPlPS6_PKS6_NS0_5tupleIJS9_S6_EEENSD_IJSA_SA_EEENS0_18inequality_wrapperIZN2at6native12_GLOBAL__N_124unique_dim_cuda_templateIlEESt5tupleIJNSH_6TensorESM_SM_EERKSM_lbbbEUlllE0_EEPmJS6_EEE10hipError_tPvRmT3_T4_T5_T6_T7_T9_mT8_P12ihipStream_tbDpT10_ENKUlT_T0_E_clISt17integral_constantIbLb1EES1B_IbLb0EEEEDaS17_S18_EUlS17_E_NS1_11comp_targetILNS1_3genE5ELNS1_11target_archE942ELNS1_3gpuE9ELNS1_3repE0EEENS1_30default_config_static_selectorELNS0_4arch9wavefront6targetE0EEEvT1_: ; @_ZN7rocprim17ROCPRIM_400000_NS6detail17trampoline_kernelINS0_14default_configENS1_25partition_config_selectorILNS1_17partition_subalgoE8ElNS0_10empty_typeEbEEZZNS1_14partition_implILS5_8ELb0ES3_jPlPS6_PKS6_NS0_5tupleIJS9_S6_EEENSD_IJSA_SA_EEENS0_18inequality_wrapperIZN2at6native12_GLOBAL__N_124unique_dim_cuda_templateIlEESt5tupleIJNSH_6TensorESM_SM_EERKSM_lbbbEUlllE0_EEPmJS6_EEE10hipError_tPvRmT3_T4_T5_T6_T7_T9_mT8_P12ihipStream_tbDpT10_ENKUlT_T0_E_clISt17integral_constantIbLb1EES1B_IbLb0EEEEDaS17_S18_EUlS17_E_NS1_11comp_targetILNS1_3genE5ELNS1_11target_archE942ELNS1_3gpuE9ELNS1_3repE0EEENS1_30default_config_static_selectorELNS0_4arch9wavefront6targetE0EEEvT1_
; %bb.0:
	.section	.rodata,"a",@progbits
	.p2align	6, 0x0
	.amdhsa_kernel _ZN7rocprim17ROCPRIM_400000_NS6detail17trampoline_kernelINS0_14default_configENS1_25partition_config_selectorILNS1_17partition_subalgoE8ElNS0_10empty_typeEbEEZZNS1_14partition_implILS5_8ELb0ES3_jPlPS6_PKS6_NS0_5tupleIJS9_S6_EEENSD_IJSA_SA_EEENS0_18inequality_wrapperIZN2at6native12_GLOBAL__N_124unique_dim_cuda_templateIlEESt5tupleIJNSH_6TensorESM_SM_EERKSM_lbbbEUlllE0_EEPmJS6_EEE10hipError_tPvRmT3_T4_T5_T6_T7_T9_mT8_P12ihipStream_tbDpT10_ENKUlT_T0_E_clISt17integral_constantIbLb1EES1B_IbLb0EEEEDaS17_S18_EUlS17_E_NS1_11comp_targetILNS1_3genE5ELNS1_11target_archE942ELNS1_3gpuE9ELNS1_3repE0EEENS1_30default_config_static_selectorELNS0_4arch9wavefront6targetE0EEEvT1_
		.amdhsa_group_segment_fixed_size 0
		.amdhsa_private_segment_fixed_size 0
		.amdhsa_kernarg_size 120
		.amdhsa_user_sgpr_count 15
		.amdhsa_user_sgpr_dispatch_ptr 0
		.amdhsa_user_sgpr_queue_ptr 0
		.amdhsa_user_sgpr_kernarg_segment_ptr 1
		.amdhsa_user_sgpr_dispatch_id 0
		.amdhsa_user_sgpr_private_segment_size 0
		.amdhsa_wavefront_size32 1
		.amdhsa_uses_dynamic_stack 0
		.amdhsa_enable_private_segment 0
		.amdhsa_system_sgpr_workgroup_id_x 1
		.amdhsa_system_sgpr_workgroup_id_y 0
		.amdhsa_system_sgpr_workgroup_id_z 0
		.amdhsa_system_sgpr_workgroup_info 0
		.amdhsa_system_vgpr_workitem_id 0
		.amdhsa_next_free_vgpr 1
		.amdhsa_next_free_sgpr 1
		.amdhsa_reserve_vcc 0
		.amdhsa_float_round_mode_32 0
		.amdhsa_float_round_mode_16_64 0
		.amdhsa_float_denorm_mode_32 3
		.amdhsa_float_denorm_mode_16_64 3
		.amdhsa_dx10_clamp 1
		.amdhsa_ieee_mode 1
		.amdhsa_fp16_overflow 0
		.amdhsa_workgroup_processor_mode 1
		.amdhsa_memory_ordered 1
		.amdhsa_forward_progress 0
		.amdhsa_shared_vgpr_count 0
		.amdhsa_exception_fp_ieee_invalid_op 0
		.amdhsa_exception_fp_denorm_src 0
		.amdhsa_exception_fp_ieee_div_zero 0
		.amdhsa_exception_fp_ieee_overflow 0
		.amdhsa_exception_fp_ieee_underflow 0
		.amdhsa_exception_fp_ieee_inexact 0
		.amdhsa_exception_int_div_zero 0
	.end_amdhsa_kernel
	.section	.text._ZN7rocprim17ROCPRIM_400000_NS6detail17trampoline_kernelINS0_14default_configENS1_25partition_config_selectorILNS1_17partition_subalgoE8ElNS0_10empty_typeEbEEZZNS1_14partition_implILS5_8ELb0ES3_jPlPS6_PKS6_NS0_5tupleIJS9_S6_EEENSD_IJSA_SA_EEENS0_18inequality_wrapperIZN2at6native12_GLOBAL__N_124unique_dim_cuda_templateIlEESt5tupleIJNSH_6TensorESM_SM_EERKSM_lbbbEUlllE0_EEPmJS6_EEE10hipError_tPvRmT3_T4_T5_T6_T7_T9_mT8_P12ihipStream_tbDpT10_ENKUlT_T0_E_clISt17integral_constantIbLb1EES1B_IbLb0EEEEDaS17_S18_EUlS17_E_NS1_11comp_targetILNS1_3genE5ELNS1_11target_archE942ELNS1_3gpuE9ELNS1_3repE0EEENS1_30default_config_static_selectorELNS0_4arch9wavefront6targetE0EEEvT1_,"axG",@progbits,_ZN7rocprim17ROCPRIM_400000_NS6detail17trampoline_kernelINS0_14default_configENS1_25partition_config_selectorILNS1_17partition_subalgoE8ElNS0_10empty_typeEbEEZZNS1_14partition_implILS5_8ELb0ES3_jPlPS6_PKS6_NS0_5tupleIJS9_S6_EEENSD_IJSA_SA_EEENS0_18inequality_wrapperIZN2at6native12_GLOBAL__N_124unique_dim_cuda_templateIlEESt5tupleIJNSH_6TensorESM_SM_EERKSM_lbbbEUlllE0_EEPmJS6_EEE10hipError_tPvRmT3_T4_T5_T6_T7_T9_mT8_P12ihipStream_tbDpT10_ENKUlT_T0_E_clISt17integral_constantIbLb1EES1B_IbLb0EEEEDaS17_S18_EUlS17_E_NS1_11comp_targetILNS1_3genE5ELNS1_11target_archE942ELNS1_3gpuE9ELNS1_3repE0EEENS1_30default_config_static_selectorELNS0_4arch9wavefront6targetE0EEEvT1_,comdat
.Lfunc_end580:
	.size	_ZN7rocprim17ROCPRIM_400000_NS6detail17trampoline_kernelINS0_14default_configENS1_25partition_config_selectorILNS1_17partition_subalgoE8ElNS0_10empty_typeEbEEZZNS1_14partition_implILS5_8ELb0ES3_jPlPS6_PKS6_NS0_5tupleIJS9_S6_EEENSD_IJSA_SA_EEENS0_18inequality_wrapperIZN2at6native12_GLOBAL__N_124unique_dim_cuda_templateIlEESt5tupleIJNSH_6TensorESM_SM_EERKSM_lbbbEUlllE0_EEPmJS6_EEE10hipError_tPvRmT3_T4_T5_T6_T7_T9_mT8_P12ihipStream_tbDpT10_ENKUlT_T0_E_clISt17integral_constantIbLb1EES1B_IbLb0EEEEDaS17_S18_EUlS17_E_NS1_11comp_targetILNS1_3genE5ELNS1_11target_archE942ELNS1_3gpuE9ELNS1_3repE0EEENS1_30default_config_static_selectorELNS0_4arch9wavefront6targetE0EEEvT1_, .Lfunc_end580-_ZN7rocprim17ROCPRIM_400000_NS6detail17trampoline_kernelINS0_14default_configENS1_25partition_config_selectorILNS1_17partition_subalgoE8ElNS0_10empty_typeEbEEZZNS1_14partition_implILS5_8ELb0ES3_jPlPS6_PKS6_NS0_5tupleIJS9_S6_EEENSD_IJSA_SA_EEENS0_18inequality_wrapperIZN2at6native12_GLOBAL__N_124unique_dim_cuda_templateIlEESt5tupleIJNSH_6TensorESM_SM_EERKSM_lbbbEUlllE0_EEPmJS6_EEE10hipError_tPvRmT3_T4_T5_T6_T7_T9_mT8_P12ihipStream_tbDpT10_ENKUlT_T0_E_clISt17integral_constantIbLb1EES1B_IbLb0EEEEDaS17_S18_EUlS17_E_NS1_11comp_targetILNS1_3genE5ELNS1_11target_archE942ELNS1_3gpuE9ELNS1_3repE0EEENS1_30default_config_static_selectorELNS0_4arch9wavefront6targetE0EEEvT1_
                                        ; -- End function
	.section	.AMDGPU.csdata,"",@progbits
; Kernel info:
; codeLenInByte = 0
; NumSgprs: 0
; NumVgprs: 0
; ScratchSize: 0
; MemoryBound: 0
; FloatMode: 240
; IeeeMode: 1
; LDSByteSize: 0 bytes/workgroup (compile time only)
; SGPRBlocks: 0
; VGPRBlocks: 0
; NumSGPRsForWavesPerEU: 1
; NumVGPRsForWavesPerEU: 1
; Occupancy: 16
; WaveLimiterHint : 0
; COMPUTE_PGM_RSRC2:SCRATCH_EN: 0
; COMPUTE_PGM_RSRC2:USER_SGPR: 15
; COMPUTE_PGM_RSRC2:TRAP_HANDLER: 0
; COMPUTE_PGM_RSRC2:TGID_X_EN: 1
; COMPUTE_PGM_RSRC2:TGID_Y_EN: 0
; COMPUTE_PGM_RSRC2:TGID_Z_EN: 0
; COMPUTE_PGM_RSRC2:TIDIG_COMP_CNT: 0
	.section	.text._ZN7rocprim17ROCPRIM_400000_NS6detail17trampoline_kernelINS0_14default_configENS1_25partition_config_selectorILNS1_17partition_subalgoE8ElNS0_10empty_typeEbEEZZNS1_14partition_implILS5_8ELb0ES3_jPlPS6_PKS6_NS0_5tupleIJS9_S6_EEENSD_IJSA_SA_EEENS0_18inequality_wrapperIZN2at6native12_GLOBAL__N_124unique_dim_cuda_templateIlEESt5tupleIJNSH_6TensorESM_SM_EERKSM_lbbbEUlllE0_EEPmJS6_EEE10hipError_tPvRmT3_T4_T5_T6_T7_T9_mT8_P12ihipStream_tbDpT10_ENKUlT_T0_E_clISt17integral_constantIbLb1EES1B_IbLb0EEEEDaS17_S18_EUlS17_E_NS1_11comp_targetILNS1_3genE4ELNS1_11target_archE910ELNS1_3gpuE8ELNS1_3repE0EEENS1_30default_config_static_selectorELNS0_4arch9wavefront6targetE0EEEvT1_,"axG",@progbits,_ZN7rocprim17ROCPRIM_400000_NS6detail17trampoline_kernelINS0_14default_configENS1_25partition_config_selectorILNS1_17partition_subalgoE8ElNS0_10empty_typeEbEEZZNS1_14partition_implILS5_8ELb0ES3_jPlPS6_PKS6_NS0_5tupleIJS9_S6_EEENSD_IJSA_SA_EEENS0_18inequality_wrapperIZN2at6native12_GLOBAL__N_124unique_dim_cuda_templateIlEESt5tupleIJNSH_6TensorESM_SM_EERKSM_lbbbEUlllE0_EEPmJS6_EEE10hipError_tPvRmT3_T4_T5_T6_T7_T9_mT8_P12ihipStream_tbDpT10_ENKUlT_T0_E_clISt17integral_constantIbLb1EES1B_IbLb0EEEEDaS17_S18_EUlS17_E_NS1_11comp_targetILNS1_3genE4ELNS1_11target_archE910ELNS1_3gpuE8ELNS1_3repE0EEENS1_30default_config_static_selectorELNS0_4arch9wavefront6targetE0EEEvT1_,comdat
	.globl	_ZN7rocprim17ROCPRIM_400000_NS6detail17trampoline_kernelINS0_14default_configENS1_25partition_config_selectorILNS1_17partition_subalgoE8ElNS0_10empty_typeEbEEZZNS1_14partition_implILS5_8ELb0ES3_jPlPS6_PKS6_NS0_5tupleIJS9_S6_EEENSD_IJSA_SA_EEENS0_18inequality_wrapperIZN2at6native12_GLOBAL__N_124unique_dim_cuda_templateIlEESt5tupleIJNSH_6TensorESM_SM_EERKSM_lbbbEUlllE0_EEPmJS6_EEE10hipError_tPvRmT3_T4_T5_T6_T7_T9_mT8_P12ihipStream_tbDpT10_ENKUlT_T0_E_clISt17integral_constantIbLb1EES1B_IbLb0EEEEDaS17_S18_EUlS17_E_NS1_11comp_targetILNS1_3genE4ELNS1_11target_archE910ELNS1_3gpuE8ELNS1_3repE0EEENS1_30default_config_static_selectorELNS0_4arch9wavefront6targetE0EEEvT1_ ; -- Begin function _ZN7rocprim17ROCPRIM_400000_NS6detail17trampoline_kernelINS0_14default_configENS1_25partition_config_selectorILNS1_17partition_subalgoE8ElNS0_10empty_typeEbEEZZNS1_14partition_implILS5_8ELb0ES3_jPlPS6_PKS6_NS0_5tupleIJS9_S6_EEENSD_IJSA_SA_EEENS0_18inequality_wrapperIZN2at6native12_GLOBAL__N_124unique_dim_cuda_templateIlEESt5tupleIJNSH_6TensorESM_SM_EERKSM_lbbbEUlllE0_EEPmJS6_EEE10hipError_tPvRmT3_T4_T5_T6_T7_T9_mT8_P12ihipStream_tbDpT10_ENKUlT_T0_E_clISt17integral_constantIbLb1EES1B_IbLb0EEEEDaS17_S18_EUlS17_E_NS1_11comp_targetILNS1_3genE4ELNS1_11target_archE910ELNS1_3gpuE8ELNS1_3repE0EEENS1_30default_config_static_selectorELNS0_4arch9wavefront6targetE0EEEvT1_
	.p2align	8
	.type	_ZN7rocprim17ROCPRIM_400000_NS6detail17trampoline_kernelINS0_14default_configENS1_25partition_config_selectorILNS1_17partition_subalgoE8ElNS0_10empty_typeEbEEZZNS1_14partition_implILS5_8ELb0ES3_jPlPS6_PKS6_NS0_5tupleIJS9_S6_EEENSD_IJSA_SA_EEENS0_18inequality_wrapperIZN2at6native12_GLOBAL__N_124unique_dim_cuda_templateIlEESt5tupleIJNSH_6TensorESM_SM_EERKSM_lbbbEUlllE0_EEPmJS6_EEE10hipError_tPvRmT3_T4_T5_T6_T7_T9_mT8_P12ihipStream_tbDpT10_ENKUlT_T0_E_clISt17integral_constantIbLb1EES1B_IbLb0EEEEDaS17_S18_EUlS17_E_NS1_11comp_targetILNS1_3genE4ELNS1_11target_archE910ELNS1_3gpuE8ELNS1_3repE0EEENS1_30default_config_static_selectorELNS0_4arch9wavefront6targetE0EEEvT1_,@function
_ZN7rocprim17ROCPRIM_400000_NS6detail17trampoline_kernelINS0_14default_configENS1_25partition_config_selectorILNS1_17partition_subalgoE8ElNS0_10empty_typeEbEEZZNS1_14partition_implILS5_8ELb0ES3_jPlPS6_PKS6_NS0_5tupleIJS9_S6_EEENSD_IJSA_SA_EEENS0_18inequality_wrapperIZN2at6native12_GLOBAL__N_124unique_dim_cuda_templateIlEESt5tupleIJNSH_6TensorESM_SM_EERKSM_lbbbEUlllE0_EEPmJS6_EEE10hipError_tPvRmT3_T4_T5_T6_T7_T9_mT8_P12ihipStream_tbDpT10_ENKUlT_T0_E_clISt17integral_constantIbLb1EES1B_IbLb0EEEEDaS17_S18_EUlS17_E_NS1_11comp_targetILNS1_3genE4ELNS1_11target_archE910ELNS1_3gpuE8ELNS1_3repE0EEENS1_30default_config_static_selectorELNS0_4arch9wavefront6targetE0EEEvT1_: ; @_ZN7rocprim17ROCPRIM_400000_NS6detail17trampoline_kernelINS0_14default_configENS1_25partition_config_selectorILNS1_17partition_subalgoE8ElNS0_10empty_typeEbEEZZNS1_14partition_implILS5_8ELb0ES3_jPlPS6_PKS6_NS0_5tupleIJS9_S6_EEENSD_IJSA_SA_EEENS0_18inequality_wrapperIZN2at6native12_GLOBAL__N_124unique_dim_cuda_templateIlEESt5tupleIJNSH_6TensorESM_SM_EERKSM_lbbbEUlllE0_EEPmJS6_EEE10hipError_tPvRmT3_T4_T5_T6_T7_T9_mT8_P12ihipStream_tbDpT10_ENKUlT_T0_E_clISt17integral_constantIbLb1EES1B_IbLb0EEEEDaS17_S18_EUlS17_E_NS1_11comp_targetILNS1_3genE4ELNS1_11target_archE910ELNS1_3gpuE8ELNS1_3repE0EEENS1_30default_config_static_selectorELNS0_4arch9wavefront6targetE0EEEvT1_
; %bb.0:
	.section	.rodata,"a",@progbits
	.p2align	6, 0x0
	.amdhsa_kernel _ZN7rocprim17ROCPRIM_400000_NS6detail17trampoline_kernelINS0_14default_configENS1_25partition_config_selectorILNS1_17partition_subalgoE8ElNS0_10empty_typeEbEEZZNS1_14partition_implILS5_8ELb0ES3_jPlPS6_PKS6_NS0_5tupleIJS9_S6_EEENSD_IJSA_SA_EEENS0_18inequality_wrapperIZN2at6native12_GLOBAL__N_124unique_dim_cuda_templateIlEESt5tupleIJNSH_6TensorESM_SM_EERKSM_lbbbEUlllE0_EEPmJS6_EEE10hipError_tPvRmT3_T4_T5_T6_T7_T9_mT8_P12ihipStream_tbDpT10_ENKUlT_T0_E_clISt17integral_constantIbLb1EES1B_IbLb0EEEEDaS17_S18_EUlS17_E_NS1_11comp_targetILNS1_3genE4ELNS1_11target_archE910ELNS1_3gpuE8ELNS1_3repE0EEENS1_30default_config_static_selectorELNS0_4arch9wavefront6targetE0EEEvT1_
		.amdhsa_group_segment_fixed_size 0
		.amdhsa_private_segment_fixed_size 0
		.amdhsa_kernarg_size 120
		.amdhsa_user_sgpr_count 15
		.amdhsa_user_sgpr_dispatch_ptr 0
		.amdhsa_user_sgpr_queue_ptr 0
		.amdhsa_user_sgpr_kernarg_segment_ptr 1
		.amdhsa_user_sgpr_dispatch_id 0
		.amdhsa_user_sgpr_private_segment_size 0
		.amdhsa_wavefront_size32 1
		.amdhsa_uses_dynamic_stack 0
		.amdhsa_enable_private_segment 0
		.amdhsa_system_sgpr_workgroup_id_x 1
		.amdhsa_system_sgpr_workgroup_id_y 0
		.amdhsa_system_sgpr_workgroup_id_z 0
		.amdhsa_system_sgpr_workgroup_info 0
		.amdhsa_system_vgpr_workitem_id 0
		.amdhsa_next_free_vgpr 1
		.amdhsa_next_free_sgpr 1
		.amdhsa_reserve_vcc 0
		.amdhsa_float_round_mode_32 0
		.amdhsa_float_round_mode_16_64 0
		.amdhsa_float_denorm_mode_32 3
		.amdhsa_float_denorm_mode_16_64 3
		.amdhsa_dx10_clamp 1
		.amdhsa_ieee_mode 1
		.amdhsa_fp16_overflow 0
		.amdhsa_workgroup_processor_mode 1
		.amdhsa_memory_ordered 1
		.amdhsa_forward_progress 0
		.amdhsa_shared_vgpr_count 0
		.amdhsa_exception_fp_ieee_invalid_op 0
		.amdhsa_exception_fp_denorm_src 0
		.amdhsa_exception_fp_ieee_div_zero 0
		.amdhsa_exception_fp_ieee_overflow 0
		.amdhsa_exception_fp_ieee_underflow 0
		.amdhsa_exception_fp_ieee_inexact 0
		.amdhsa_exception_int_div_zero 0
	.end_amdhsa_kernel
	.section	.text._ZN7rocprim17ROCPRIM_400000_NS6detail17trampoline_kernelINS0_14default_configENS1_25partition_config_selectorILNS1_17partition_subalgoE8ElNS0_10empty_typeEbEEZZNS1_14partition_implILS5_8ELb0ES3_jPlPS6_PKS6_NS0_5tupleIJS9_S6_EEENSD_IJSA_SA_EEENS0_18inequality_wrapperIZN2at6native12_GLOBAL__N_124unique_dim_cuda_templateIlEESt5tupleIJNSH_6TensorESM_SM_EERKSM_lbbbEUlllE0_EEPmJS6_EEE10hipError_tPvRmT3_T4_T5_T6_T7_T9_mT8_P12ihipStream_tbDpT10_ENKUlT_T0_E_clISt17integral_constantIbLb1EES1B_IbLb0EEEEDaS17_S18_EUlS17_E_NS1_11comp_targetILNS1_3genE4ELNS1_11target_archE910ELNS1_3gpuE8ELNS1_3repE0EEENS1_30default_config_static_selectorELNS0_4arch9wavefront6targetE0EEEvT1_,"axG",@progbits,_ZN7rocprim17ROCPRIM_400000_NS6detail17trampoline_kernelINS0_14default_configENS1_25partition_config_selectorILNS1_17partition_subalgoE8ElNS0_10empty_typeEbEEZZNS1_14partition_implILS5_8ELb0ES3_jPlPS6_PKS6_NS0_5tupleIJS9_S6_EEENSD_IJSA_SA_EEENS0_18inequality_wrapperIZN2at6native12_GLOBAL__N_124unique_dim_cuda_templateIlEESt5tupleIJNSH_6TensorESM_SM_EERKSM_lbbbEUlllE0_EEPmJS6_EEE10hipError_tPvRmT3_T4_T5_T6_T7_T9_mT8_P12ihipStream_tbDpT10_ENKUlT_T0_E_clISt17integral_constantIbLb1EES1B_IbLb0EEEEDaS17_S18_EUlS17_E_NS1_11comp_targetILNS1_3genE4ELNS1_11target_archE910ELNS1_3gpuE8ELNS1_3repE0EEENS1_30default_config_static_selectorELNS0_4arch9wavefront6targetE0EEEvT1_,comdat
.Lfunc_end581:
	.size	_ZN7rocprim17ROCPRIM_400000_NS6detail17trampoline_kernelINS0_14default_configENS1_25partition_config_selectorILNS1_17partition_subalgoE8ElNS0_10empty_typeEbEEZZNS1_14partition_implILS5_8ELb0ES3_jPlPS6_PKS6_NS0_5tupleIJS9_S6_EEENSD_IJSA_SA_EEENS0_18inequality_wrapperIZN2at6native12_GLOBAL__N_124unique_dim_cuda_templateIlEESt5tupleIJNSH_6TensorESM_SM_EERKSM_lbbbEUlllE0_EEPmJS6_EEE10hipError_tPvRmT3_T4_T5_T6_T7_T9_mT8_P12ihipStream_tbDpT10_ENKUlT_T0_E_clISt17integral_constantIbLb1EES1B_IbLb0EEEEDaS17_S18_EUlS17_E_NS1_11comp_targetILNS1_3genE4ELNS1_11target_archE910ELNS1_3gpuE8ELNS1_3repE0EEENS1_30default_config_static_selectorELNS0_4arch9wavefront6targetE0EEEvT1_, .Lfunc_end581-_ZN7rocprim17ROCPRIM_400000_NS6detail17trampoline_kernelINS0_14default_configENS1_25partition_config_selectorILNS1_17partition_subalgoE8ElNS0_10empty_typeEbEEZZNS1_14partition_implILS5_8ELb0ES3_jPlPS6_PKS6_NS0_5tupleIJS9_S6_EEENSD_IJSA_SA_EEENS0_18inequality_wrapperIZN2at6native12_GLOBAL__N_124unique_dim_cuda_templateIlEESt5tupleIJNSH_6TensorESM_SM_EERKSM_lbbbEUlllE0_EEPmJS6_EEE10hipError_tPvRmT3_T4_T5_T6_T7_T9_mT8_P12ihipStream_tbDpT10_ENKUlT_T0_E_clISt17integral_constantIbLb1EES1B_IbLb0EEEEDaS17_S18_EUlS17_E_NS1_11comp_targetILNS1_3genE4ELNS1_11target_archE910ELNS1_3gpuE8ELNS1_3repE0EEENS1_30default_config_static_selectorELNS0_4arch9wavefront6targetE0EEEvT1_
                                        ; -- End function
	.section	.AMDGPU.csdata,"",@progbits
; Kernel info:
; codeLenInByte = 0
; NumSgprs: 0
; NumVgprs: 0
; ScratchSize: 0
; MemoryBound: 0
; FloatMode: 240
; IeeeMode: 1
; LDSByteSize: 0 bytes/workgroup (compile time only)
; SGPRBlocks: 0
; VGPRBlocks: 0
; NumSGPRsForWavesPerEU: 1
; NumVGPRsForWavesPerEU: 1
; Occupancy: 16
; WaveLimiterHint : 0
; COMPUTE_PGM_RSRC2:SCRATCH_EN: 0
; COMPUTE_PGM_RSRC2:USER_SGPR: 15
; COMPUTE_PGM_RSRC2:TRAP_HANDLER: 0
; COMPUTE_PGM_RSRC2:TGID_X_EN: 1
; COMPUTE_PGM_RSRC2:TGID_Y_EN: 0
; COMPUTE_PGM_RSRC2:TGID_Z_EN: 0
; COMPUTE_PGM_RSRC2:TIDIG_COMP_CNT: 0
	.section	.text._ZN7rocprim17ROCPRIM_400000_NS6detail17trampoline_kernelINS0_14default_configENS1_25partition_config_selectorILNS1_17partition_subalgoE8ElNS0_10empty_typeEbEEZZNS1_14partition_implILS5_8ELb0ES3_jPlPS6_PKS6_NS0_5tupleIJS9_S6_EEENSD_IJSA_SA_EEENS0_18inequality_wrapperIZN2at6native12_GLOBAL__N_124unique_dim_cuda_templateIlEESt5tupleIJNSH_6TensorESM_SM_EERKSM_lbbbEUlllE0_EEPmJS6_EEE10hipError_tPvRmT3_T4_T5_T6_T7_T9_mT8_P12ihipStream_tbDpT10_ENKUlT_T0_E_clISt17integral_constantIbLb1EES1B_IbLb0EEEEDaS17_S18_EUlS17_E_NS1_11comp_targetILNS1_3genE3ELNS1_11target_archE908ELNS1_3gpuE7ELNS1_3repE0EEENS1_30default_config_static_selectorELNS0_4arch9wavefront6targetE0EEEvT1_,"axG",@progbits,_ZN7rocprim17ROCPRIM_400000_NS6detail17trampoline_kernelINS0_14default_configENS1_25partition_config_selectorILNS1_17partition_subalgoE8ElNS0_10empty_typeEbEEZZNS1_14partition_implILS5_8ELb0ES3_jPlPS6_PKS6_NS0_5tupleIJS9_S6_EEENSD_IJSA_SA_EEENS0_18inequality_wrapperIZN2at6native12_GLOBAL__N_124unique_dim_cuda_templateIlEESt5tupleIJNSH_6TensorESM_SM_EERKSM_lbbbEUlllE0_EEPmJS6_EEE10hipError_tPvRmT3_T4_T5_T6_T7_T9_mT8_P12ihipStream_tbDpT10_ENKUlT_T0_E_clISt17integral_constantIbLb1EES1B_IbLb0EEEEDaS17_S18_EUlS17_E_NS1_11comp_targetILNS1_3genE3ELNS1_11target_archE908ELNS1_3gpuE7ELNS1_3repE0EEENS1_30default_config_static_selectorELNS0_4arch9wavefront6targetE0EEEvT1_,comdat
	.globl	_ZN7rocprim17ROCPRIM_400000_NS6detail17trampoline_kernelINS0_14default_configENS1_25partition_config_selectorILNS1_17partition_subalgoE8ElNS0_10empty_typeEbEEZZNS1_14partition_implILS5_8ELb0ES3_jPlPS6_PKS6_NS0_5tupleIJS9_S6_EEENSD_IJSA_SA_EEENS0_18inequality_wrapperIZN2at6native12_GLOBAL__N_124unique_dim_cuda_templateIlEESt5tupleIJNSH_6TensorESM_SM_EERKSM_lbbbEUlllE0_EEPmJS6_EEE10hipError_tPvRmT3_T4_T5_T6_T7_T9_mT8_P12ihipStream_tbDpT10_ENKUlT_T0_E_clISt17integral_constantIbLb1EES1B_IbLb0EEEEDaS17_S18_EUlS17_E_NS1_11comp_targetILNS1_3genE3ELNS1_11target_archE908ELNS1_3gpuE7ELNS1_3repE0EEENS1_30default_config_static_selectorELNS0_4arch9wavefront6targetE0EEEvT1_ ; -- Begin function _ZN7rocprim17ROCPRIM_400000_NS6detail17trampoline_kernelINS0_14default_configENS1_25partition_config_selectorILNS1_17partition_subalgoE8ElNS0_10empty_typeEbEEZZNS1_14partition_implILS5_8ELb0ES3_jPlPS6_PKS6_NS0_5tupleIJS9_S6_EEENSD_IJSA_SA_EEENS0_18inequality_wrapperIZN2at6native12_GLOBAL__N_124unique_dim_cuda_templateIlEESt5tupleIJNSH_6TensorESM_SM_EERKSM_lbbbEUlllE0_EEPmJS6_EEE10hipError_tPvRmT3_T4_T5_T6_T7_T9_mT8_P12ihipStream_tbDpT10_ENKUlT_T0_E_clISt17integral_constantIbLb1EES1B_IbLb0EEEEDaS17_S18_EUlS17_E_NS1_11comp_targetILNS1_3genE3ELNS1_11target_archE908ELNS1_3gpuE7ELNS1_3repE0EEENS1_30default_config_static_selectorELNS0_4arch9wavefront6targetE0EEEvT1_
	.p2align	8
	.type	_ZN7rocprim17ROCPRIM_400000_NS6detail17trampoline_kernelINS0_14default_configENS1_25partition_config_selectorILNS1_17partition_subalgoE8ElNS0_10empty_typeEbEEZZNS1_14partition_implILS5_8ELb0ES3_jPlPS6_PKS6_NS0_5tupleIJS9_S6_EEENSD_IJSA_SA_EEENS0_18inequality_wrapperIZN2at6native12_GLOBAL__N_124unique_dim_cuda_templateIlEESt5tupleIJNSH_6TensorESM_SM_EERKSM_lbbbEUlllE0_EEPmJS6_EEE10hipError_tPvRmT3_T4_T5_T6_T7_T9_mT8_P12ihipStream_tbDpT10_ENKUlT_T0_E_clISt17integral_constantIbLb1EES1B_IbLb0EEEEDaS17_S18_EUlS17_E_NS1_11comp_targetILNS1_3genE3ELNS1_11target_archE908ELNS1_3gpuE7ELNS1_3repE0EEENS1_30default_config_static_selectorELNS0_4arch9wavefront6targetE0EEEvT1_,@function
_ZN7rocprim17ROCPRIM_400000_NS6detail17trampoline_kernelINS0_14default_configENS1_25partition_config_selectorILNS1_17partition_subalgoE8ElNS0_10empty_typeEbEEZZNS1_14partition_implILS5_8ELb0ES3_jPlPS6_PKS6_NS0_5tupleIJS9_S6_EEENSD_IJSA_SA_EEENS0_18inequality_wrapperIZN2at6native12_GLOBAL__N_124unique_dim_cuda_templateIlEESt5tupleIJNSH_6TensorESM_SM_EERKSM_lbbbEUlllE0_EEPmJS6_EEE10hipError_tPvRmT3_T4_T5_T6_T7_T9_mT8_P12ihipStream_tbDpT10_ENKUlT_T0_E_clISt17integral_constantIbLb1EES1B_IbLb0EEEEDaS17_S18_EUlS17_E_NS1_11comp_targetILNS1_3genE3ELNS1_11target_archE908ELNS1_3gpuE7ELNS1_3repE0EEENS1_30default_config_static_selectorELNS0_4arch9wavefront6targetE0EEEvT1_: ; @_ZN7rocprim17ROCPRIM_400000_NS6detail17trampoline_kernelINS0_14default_configENS1_25partition_config_selectorILNS1_17partition_subalgoE8ElNS0_10empty_typeEbEEZZNS1_14partition_implILS5_8ELb0ES3_jPlPS6_PKS6_NS0_5tupleIJS9_S6_EEENSD_IJSA_SA_EEENS0_18inequality_wrapperIZN2at6native12_GLOBAL__N_124unique_dim_cuda_templateIlEESt5tupleIJNSH_6TensorESM_SM_EERKSM_lbbbEUlllE0_EEPmJS6_EEE10hipError_tPvRmT3_T4_T5_T6_T7_T9_mT8_P12ihipStream_tbDpT10_ENKUlT_T0_E_clISt17integral_constantIbLb1EES1B_IbLb0EEEEDaS17_S18_EUlS17_E_NS1_11comp_targetILNS1_3genE3ELNS1_11target_archE908ELNS1_3gpuE7ELNS1_3repE0EEENS1_30default_config_static_selectorELNS0_4arch9wavefront6targetE0EEEvT1_
; %bb.0:
	.section	.rodata,"a",@progbits
	.p2align	6, 0x0
	.amdhsa_kernel _ZN7rocprim17ROCPRIM_400000_NS6detail17trampoline_kernelINS0_14default_configENS1_25partition_config_selectorILNS1_17partition_subalgoE8ElNS0_10empty_typeEbEEZZNS1_14partition_implILS5_8ELb0ES3_jPlPS6_PKS6_NS0_5tupleIJS9_S6_EEENSD_IJSA_SA_EEENS0_18inequality_wrapperIZN2at6native12_GLOBAL__N_124unique_dim_cuda_templateIlEESt5tupleIJNSH_6TensorESM_SM_EERKSM_lbbbEUlllE0_EEPmJS6_EEE10hipError_tPvRmT3_T4_T5_T6_T7_T9_mT8_P12ihipStream_tbDpT10_ENKUlT_T0_E_clISt17integral_constantIbLb1EES1B_IbLb0EEEEDaS17_S18_EUlS17_E_NS1_11comp_targetILNS1_3genE3ELNS1_11target_archE908ELNS1_3gpuE7ELNS1_3repE0EEENS1_30default_config_static_selectorELNS0_4arch9wavefront6targetE0EEEvT1_
		.amdhsa_group_segment_fixed_size 0
		.amdhsa_private_segment_fixed_size 0
		.amdhsa_kernarg_size 120
		.amdhsa_user_sgpr_count 15
		.amdhsa_user_sgpr_dispatch_ptr 0
		.amdhsa_user_sgpr_queue_ptr 0
		.amdhsa_user_sgpr_kernarg_segment_ptr 1
		.amdhsa_user_sgpr_dispatch_id 0
		.amdhsa_user_sgpr_private_segment_size 0
		.amdhsa_wavefront_size32 1
		.amdhsa_uses_dynamic_stack 0
		.amdhsa_enable_private_segment 0
		.amdhsa_system_sgpr_workgroup_id_x 1
		.amdhsa_system_sgpr_workgroup_id_y 0
		.amdhsa_system_sgpr_workgroup_id_z 0
		.amdhsa_system_sgpr_workgroup_info 0
		.amdhsa_system_vgpr_workitem_id 0
		.amdhsa_next_free_vgpr 1
		.amdhsa_next_free_sgpr 1
		.amdhsa_reserve_vcc 0
		.amdhsa_float_round_mode_32 0
		.amdhsa_float_round_mode_16_64 0
		.amdhsa_float_denorm_mode_32 3
		.amdhsa_float_denorm_mode_16_64 3
		.amdhsa_dx10_clamp 1
		.amdhsa_ieee_mode 1
		.amdhsa_fp16_overflow 0
		.amdhsa_workgroup_processor_mode 1
		.amdhsa_memory_ordered 1
		.amdhsa_forward_progress 0
		.amdhsa_shared_vgpr_count 0
		.amdhsa_exception_fp_ieee_invalid_op 0
		.amdhsa_exception_fp_denorm_src 0
		.amdhsa_exception_fp_ieee_div_zero 0
		.amdhsa_exception_fp_ieee_overflow 0
		.amdhsa_exception_fp_ieee_underflow 0
		.amdhsa_exception_fp_ieee_inexact 0
		.amdhsa_exception_int_div_zero 0
	.end_amdhsa_kernel
	.section	.text._ZN7rocprim17ROCPRIM_400000_NS6detail17trampoline_kernelINS0_14default_configENS1_25partition_config_selectorILNS1_17partition_subalgoE8ElNS0_10empty_typeEbEEZZNS1_14partition_implILS5_8ELb0ES3_jPlPS6_PKS6_NS0_5tupleIJS9_S6_EEENSD_IJSA_SA_EEENS0_18inequality_wrapperIZN2at6native12_GLOBAL__N_124unique_dim_cuda_templateIlEESt5tupleIJNSH_6TensorESM_SM_EERKSM_lbbbEUlllE0_EEPmJS6_EEE10hipError_tPvRmT3_T4_T5_T6_T7_T9_mT8_P12ihipStream_tbDpT10_ENKUlT_T0_E_clISt17integral_constantIbLb1EES1B_IbLb0EEEEDaS17_S18_EUlS17_E_NS1_11comp_targetILNS1_3genE3ELNS1_11target_archE908ELNS1_3gpuE7ELNS1_3repE0EEENS1_30default_config_static_selectorELNS0_4arch9wavefront6targetE0EEEvT1_,"axG",@progbits,_ZN7rocprim17ROCPRIM_400000_NS6detail17trampoline_kernelINS0_14default_configENS1_25partition_config_selectorILNS1_17partition_subalgoE8ElNS0_10empty_typeEbEEZZNS1_14partition_implILS5_8ELb0ES3_jPlPS6_PKS6_NS0_5tupleIJS9_S6_EEENSD_IJSA_SA_EEENS0_18inequality_wrapperIZN2at6native12_GLOBAL__N_124unique_dim_cuda_templateIlEESt5tupleIJNSH_6TensorESM_SM_EERKSM_lbbbEUlllE0_EEPmJS6_EEE10hipError_tPvRmT3_T4_T5_T6_T7_T9_mT8_P12ihipStream_tbDpT10_ENKUlT_T0_E_clISt17integral_constantIbLb1EES1B_IbLb0EEEEDaS17_S18_EUlS17_E_NS1_11comp_targetILNS1_3genE3ELNS1_11target_archE908ELNS1_3gpuE7ELNS1_3repE0EEENS1_30default_config_static_selectorELNS0_4arch9wavefront6targetE0EEEvT1_,comdat
.Lfunc_end582:
	.size	_ZN7rocprim17ROCPRIM_400000_NS6detail17trampoline_kernelINS0_14default_configENS1_25partition_config_selectorILNS1_17partition_subalgoE8ElNS0_10empty_typeEbEEZZNS1_14partition_implILS5_8ELb0ES3_jPlPS6_PKS6_NS0_5tupleIJS9_S6_EEENSD_IJSA_SA_EEENS0_18inequality_wrapperIZN2at6native12_GLOBAL__N_124unique_dim_cuda_templateIlEESt5tupleIJNSH_6TensorESM_SM_EERKSM_lbbbEUlllE0_EEPmJS6_EEE10hipError_tPvRmT3_T4_T5_T6_T7_T9_mT8_P12ihipStream_tbDpT10_ENKUlT_T0_E_clISt17integral_constantIbLb1EES1B_IbLb0EEEEDaS17_S18_EUlS17_E_NS1_11comp_targetILNS1_3genE3ELNS1_11target_archE908ELNS1_3gpuE7ELNS1_3repE0EEENS1_30default_config_static_selectorELNS0_4arch9wavefront6targetE0EEEvT1_, .Lfunc_end582-_ZN7rocprim17ROCPRIM_400000_NS6detail17trampoline_kernelINS0_14default_configENS1_25partition_config_selectorILNS1_17partition_subalgoE8ElNS0_10empty_typeEbEEZZNS1_14partition_implILS5_8ELb0ES3_jPlPS6_PKS6_NS0_5tupleIJS9_S6_EEENSD_IJSA_SA_EEENS0_18inequality_wrapperIZN2at6native12_GLOBAL__N_124unique_dim_cuda_templateIlEESt5tupleIJNSH_6TensorESM_SM_EERKSM_lbbbEUlllE0_EEPmJS6_EEE10hipError_tPvRmT3_T4_T5_T6_T7_T9_mT8_P12ihipStream_tbDpT10_ENKUlT_T0_E_clISt17integral_constantIbLb1EES1B_IbLb0EEEEDaS17_S18_EUlS17_E_NS1_11comp_targetILNS1_3genE3ELNS1_11target_archE908ELNS1_3gpuE7ELNS1_3repE0EEENS1_30default_config_static_selectorELNS0_4arch9wavefront6targetE0EEEvT1_
                                        ; -- End function
	.section	.AMDGPU.csdata,"",@progbits
; Kernel info:
; codeLenInByte = 0
; NumSgprs: 0
; NumVgprs: 0
; ScratchSize: 0
; MemoryBound: 0
; FloatMode: 240
; IeeeMode: 1
; LDSByteSize: 0 bytes/workgroup (compile time only)
; SGPRBlocks: 0
; VGPRBlocks: 0
; NumSGPRsForWavesPerEU: 1
; NumVGPRsForWavesPerEU: 1
; Occupancy: 16
; WaveLimiterHint : 0
; COMPUTE_PGM_RSRC2:SCRATCH_EN: 0
; COMPUTE_PGM_RSRC2:USER_SGPR: 15
; COMPUTE_PGM_RSRC2:TRAP_HANDLER: 0
; COMPUTE_PGM_RSRC2:TGID_X_EN: 1
; COMPUTE_PGM_RSRC2:TGID_Y_EN: 0
; COMPUTE_PGM_RSRC2:TGID_Z_EN: 0
; COMPUTE_PGM_RSRC2:TIDIG_COMP_CNT: 0
	.section	.text._ZN7rocprim17ROCPRIM_400000_NS6detail17trampoline_kernelINS0_14default_configENS1_25partition_config_selectorILNS1_17partition_subalgoE8ElNS0_10empty_typeEbEEZZNS1_14partition_implILS5_8ELb0ES3_jPlPS6_PKS6_NS0_5tupleIJS9_S6_EEENSD_IJSA_SA_EEENS0_18inequality_wrapperIZN2at6native12_GLOBAL__N_124unique_dim_cuda_templateIlEESt5tupleIJNSH_6TensorESM_SM_EERKSM_lbbbEUlllE0_EEPmJS6_EEE10hipError_tPvRmT3_T4_T5_T6_T7_T9_mT8_P12ihipStream_tbDpT10_ENKUlT_T0_E_clISt17integral_constantIbLb1EES1B_IbLb0EEEEDaS17_S18_EUlS17_E_NS1_11comp_targetILNS1_3genE2ELNS1_11target_archE906ELNS1_3gpuE6ELNS1_3repE0EEENS1_30default_config_static_selectorELNS0_4arch9wavefront6targetE0EEEvT1_,"axG",@progbits,_ZN7rocprim17ROCPRIM_400000_NS6detail17trampoline_kernelINS0_14default_configENS1_25partition_config_selectorILNS1_17partition_subalgoE8ElNS0_10empty_typeEbEEZZNS1_14partition_implILS5_8ELb0ES3_jPlPS6_PKS6_NS0_5tupleIJS9_S6_EEENSD_IJSA_SA_EEENS0_18inequality_wrapperIZN2at6native12_GLOBAL__N_124unique_dim_cuda_templateIlEESt5tupleIJNSH_6TensorESM_SM_EERKSM_lbbbEUlllE0_EEPmJS6_EEE10hipError_tPvRmT3_T4_T5_T6_T7_T9_mT8_P12ihipStream_tbDpT10_ENKUlT_T0_E_clISt17integral_constantIbLb1EES1B_IbLb0EEEEDaS17_S18_EUlS17_E_NS1_11comp_targetILNS1_3genE2ELNS1_11target_archE906ELNS1_3gpuE6ELNS1_3repE0EEENS1_30default_config_static_selectorELNS0_4arch9wavefront6targetE0EEEvT1_,comdat
	.globl	_ZN7rocprim17ROCPRIM_400000_NS6detail17trampoline_kernelINS0_14default_configENS1_25partition_config_selectorILNS1_17partition_subalgoE8ElNS0_10empty_typeEbEEZZNS1_14partition_implILS5_8ELb0ES3_jPlPS6_PKS6_NS0_5tupleIJS9_S6_EEENSD_IJSA_SA_EEENS0_18inequality_wrapperIZN2at6native12_GLOBAL__N_124unique_dim_cuda_templateIlEESt5tupleIJNSH_6TensorESM_SM_EERKSM_lbbbEUlllE0_EEPmJS6_EEE10hipError_tPvRmT3_T4_T5_T6_T7_T9_mT8_P12ihipStream_tbDpT10_ENKUlT_T0_E_clISt17integral_constantIbLb1EES1B_IbLb0EEEEDaS17_S18_EUlS17_E_NS1_11comp_targetILNS1_3genE2ELNS1_11target_archE906ELNS1_3gpuE6ELNS1_3repE0EEENS1_30default_config_static_selectorELNS0_4arch9wavefront6targetE0EEEvT1_ ; -- Begin function _ZN7rocprim17ROCPRIM_400000_NS6detail17trampoline_kernelINS0_14default_configENS1_25partition_config_selectorILNS1_17partition_subalgoE8ElNS0_10empty_typeEbEEZZNS1_14partition_implILS5_8ELb0ES3_jPlPS6_PKS6_NS0_5tupleIJS9_S6_EEENSD_IJSA_SA_EEENS0_18inequality_wrapperIZN2at6native12_GLOBAL__N_124unique_dim_cuda_templateIlEESt5tupleIJNSH_6TensorESM_SM_EERKSM_lbbbEUlllE0_EEPmJS6_EEE10hipError_tPvRmT3_T4_T5_T6_T7_T9_mT8_P12ihipStream_tbDpT10_ENKUlT_T0_E_clISt17integral_constantIbLb1EES1B_IbLb0EEEEDaS17_S18_EUlS17_E_NS1_11comp_targetILNS1_3genE2ELNS1_11target_archE906ELNS1_3gpuE6ELNS1_3repE0EEENS1_30default_config_static_selectorELNS0_4arch9wavefront6targetE0EEEvT1_
	.p2align	8
	.type	_ZN7rocprim17ROCPRIM_400000_NS6detail17trampoline_kernelINS0_14default_configENS1_25partition_config_selectorILNS1_17partition_subalgoE8ElNS0_10empty_typeEbEEZZNS1_14partition_implILS5_8ELb0ES3_jPlPS6_PKS6_NS0_5tupleIJS9_S6_EEENSD_IJSA_SA_EEENS0_18inequality_wrapperIZN2at6native12_GLOBAL__N_124unique_dim_cuda_templateIlEESt5tupleIJNSH_6TensorESM_SM_EERKSM_lbbbEUlllE0_EEPmJS6_EEE10hipError_tPvRmT3_T4_T5_T6_T7_T9_mT8_P12ihipStream_tbDpT10_ENKUlT_T0_E_clISt17integral_constantIbLb1EES1B_IbLb0EEEEDaS17_S18_EUlS17_E_NS1_11comp_targetILNS1_3genE2ELNS1_11target_archE906ELNS1_3gpuE6ELNS1_3repE0EEENS1_30default_config_static_selectorELNS0_4arch9wavefront6targetE0EEEvT1_,@function
_ZN7rocprim17ROCPRIM_400000_NS6detail17trampoline_kernelINS0_14default_configENS1_25partition_config_selectorILNS1_17partition_subalgoE8ElNS0_10empty_typeEbEEZZNS1_14partition_implILS5_8ELb0ES3_jPlPS6_PKS6_NS0_5tupleIJS9_S6_EEENSD_IJSA_SA_EEENS0_18inequality_wrapperIZN2at6native12_GLOBAL__N_124unique_dim_cuda_templateIlEESt5tupleIJNSH_6TensorESM_SM_EERKSM_lbbbEUlllE0_EEPmJS6_EEE10hipError_tPvRmT3_T4_T5_T6_T7_T9_mT8_P12ihipStream_tbDpT10_ENKUlT_T0_E_clISt17integral_constantIbLb1EES1B_IbLb0EEEEDaS17_S18_EUlS17_E_NS1_11comp_targetILNS1_3genE2ELNS1_11target_archE906ELNS1_3gpuE6ELNS1_3repE0EEENS1_30default_config_static_selectorELNS0_4arch9wavefront6targetE0EEEvT1_: ; @_ZN7rocprim17ROCPRIM_400000_NS6detail17trampoline_kernelINS0_14default_configENS1_25partition_config_selectorILNS1_17partition_subalgoE8ElNS0_10empty_typeEbEEZZNS1_14partition_implILS5_8ELb0ES3_jPlPS6_PKS6_NS0_5tupleIJS9_S6_EEENSD_IJSA_SA_EEENS0_18inequality_wrapperIZN2at6native12_GLOBAL__N_124unique_dim_cuda_templateIlEESt5tupleIJNSH_6TensorESM_SM_EERKSM_lbbbEUlllE0_EEPmJS6_EEE10hipError_tPvRmT3_T4_T5_T6_T7_T9_mT8_P12ihipStream_tbDpT10_ENKUlT_T0_E_clISt17integral_constantIbLb1EES1B_IbLb0EEEEDaS17_S18_EUlS17_E_NS1_11comp_targetILNS1_3genE2ELNS1_11target_archE906ELNS1_3gpuE6ELNS1_3repE0EEENS1_30default_config_static_selectorELNS0_4arch9wavefront6targetE0EEEvT1_
; %bb.0:
	.section	.rodata,"a",@progbits
	.p2align	6, 0x0
	.amdhsa_kernel _ZN7rocprim17ROCPRIM_400000_NS6detail17trampoline_kernelINS0_14default_configENS1_25partition_config_selectorILNS1_17partition_subalgoE8ElNS0_10empty_typeEbEEZZNS1_14partition_implILS5_8ELb0ES3_jPlPS6_PKS6_NS0_5tupleIJS9_S6_EEENSD_IJSA_SA_EEENS0_18inequality_wrapperIZN2at6native12_GLOBAL__N_124unique_dim_cuda_templateIlEESt5tupleIJNSH_6TensorESM_SM_EERKSM_lbbbEUlllE0_EEPmJS6_EEE10hipError_tPvRmT3_T4_T5_T6_T7_T9_mT8_P12ihipStream_tbDpT10_ENKUlT_T0_E_clISt17integral_constantIbLb1EES1B_IbLb0EEEEDaS17_S18_EUlS17_E_NS1_11comp_targetILNS1_3genE2ELNS1_11target_archE906ELNS1_3gpuE6ELNS1_3repE0EEENS1_30default_config_static_selectorELNS0_4arch9wavefront6targetE0EEEvT1_
		.amdhsa_group_segment_fixed_size 0
		.amdhsa_private_segment_fixed_size 0
		.amdhsa_kernarg_size 120
		.amdhsa_user_sgpr_count 15
		.amdhsa_user_sgpr_dispatch_ptr 0
		.amdhsa_user_sgpr_queue_ptr 0
		.amdhsa_user_sgpr_kernarg_segment_ptr 1
		.amdhsa_user_sgpr_dispatch_id 0
		.amdhsa_user_sgpr_private_segment_size 0
		.amdhsa_wavefront_size32 1
		.amdhsa_uses_dynamic_stack 0
		.amdhsa_enable_private_segment 0
		.amdhsa_system_sgpr_workgroup_id_x 1
		.amdhsa_system_sgpr_workgroup_id_y 0
		.amdhsa_system_sgpr_workgroup_id_z 0
		.amdhsa_system_sgpr_workgroup_info 0
		.amdhsa_system_vgpr_workitem_id 0
		.amdhsa_next_free_vgpr 1
		.amdhsa_next_free_sgpr 1
		.amdhsa_reserve_vcc 0
		.amdhsa_float_round_mode_32 0
		.amdhsa_float_round_mode_16_64 0
		.amdhsa_float_denorm_mode_32 3
		.amdhsa_float_denorm_mode_16_64 3
		.amdhsa_dx10_clamp 1
		.amdhsa_ieee_mode 1
		.amdhsa_fp16_overflow 0
		.amdhsa_workgroup_processor_mode 1
		.amdhsa_memory_ordered 1
		.amdhsa_forward_progress 0
		.amdhsa_shared_vgpr_count 0
		.amdhsa_exception_fp_ieee_invalid_op 0
		.amdhsa_exception_fp_denorm_src 0
		.amdhsa_exception_fp_ieee_div_zero 0
		.amdhsa_exception_fp_ieee_overflow 0
		.amdhsa_exception_fp_ieee_underflow 0
		.amdhsa_exception_fp_ieee_inexact 0
		.amdhsa_exception_int_div_zero 0
	.end_amdhsa_kernel
	.section	.text._ZN7rocprim17ROCPRIM_400000_NS6detail17trampoline_kernelINS0_14default_configENS1_25partition_config_selectorILNS1_17partition_subalgoE8ElNS0_10empty_typeEbEEZZNS1_14partition_implILS5_8ELb0ES3_jPlPS6_PKS6_NS0_5tupleIJS9_S6_EEENSD_IJSA_SA_EEENS0_18inequality_wrapperIZN2at6native12_GLOBAL__N_124unique_dim_cuda_templateIlEESt5tupleIJNSH_6TensorESM_SM_EERKSM_lbbbEUlllE0_EEPmJS6_EEE10hipError_tPvRmT3_T4_T5_T6_T7_T9_mT8_P12ihipStream_tbDpT10_ENKUlT_T0_E_clISt17integral_constantIbLb1EES1B_IbLb0EEEEDaS17_S18_EUlS17_E_NS1_11comp_targetILNS1_3genE2ELNS1_11target_archE906ELNS1_3gpuE6ELNS1_3repE0EEENS1_30default_config_static_selectorELNS0_4arch9wavefront6targetE0EEEvT1_,"axG",@progbits,_ZN7rocprim17ROCPRIM_400000_NS6detail17trampoline_kernelINS0_14default_configENS1_25partition_config_selectorILNS1_17partition_subalgoE8ElNS0_10empty_typeEbEEZZNS1_14partition_implILS5_8ELb0ES3_jPlPS6_PKS6_NS0_5tupleIJS9_S6_EEENSD_IJSA_SA_EEENS0_18inequality_wrapperIZN2at6native12_GLOBAL__N_124unique_dim_cuda_templateIlEESt5tupleIJNSH_6TensorESM_SM_EERKSM_lbbbEUlllE0_EEPmJS6_EEE10hipError_tPvRmT3_T4_T5_T6_T7_T9_mT8_P12ihipStream_tbDpT10_ENKUlT_T0_E_clISt17integral_constantIbLb1EES1B_IbLb0EEEEDaS17_S18_EUlS17_E_NS1_11comp_targetILNS1_3genE2ELNS1_11target_archE906ELNS1_3gpuE6ELNS1_3repE0EEENS1_30default_config_static_selectorELNS0_4arch9wavefront6targetE0EEEvT1_,comdat
.Lfunc_end583:
	.size	_ZN7rocprim17ROCPRIM_400000_NS6detail17trampoline_kernelINS0_14default_configENS1_25partition_config_selectorILNS1_17partition_subalgoE8ElNS0_10empty_typeEbEEZZNS1_14partition_implILS5_8ELb0ES3_jPlPS6_PKS6_NS0_5tupleIJS9_S6_EEENSD_IJSA_SA_EEENS0_18inequality_wrapperIZN2at6native12_GLOBAL__N_124unique_dim_cuda_templateIlEESt5tupleIJNSH_6TensorESM_SM_EERKSM_lbbbEUlllE0_EEPmJS6_EEE10hipError_tPvRmT3_T4_T5_T6_T7_T9_mT8_P12ihipStream_tbDpT10_ENKUlT_T0_E_clISt17integral_constantIbLb1EES1B_IbLb0EEEEDaS17_S18_EUlS17_E_NS1_11comp_targetILNS1_3genE2ELNS1_11target_archE906ELNS1_3gpuE6ELNS1_3repE0EEENS1_30default_config_static_selectorELNS0_4arch9wavefront6targetE0EEEvT1_, .Lfunc_end583-_ZN7rocprim17ROCPRIM_400000_NS6detail17trampoline_kernelINS0_14default_configENS1_25partition_config_selectorILNS1_17partition_subalgoE8ElNS0_10empty_typeEbEEZZNS1_14partition_implILS5_8ELb0ES3_jPlPS6_PKS6_NS0_5tupleIJS9_S6_EEENSD_IJSA_SA_EEENS0_18inequality_wrapperIZN2at6native12_GLOBAL__N_124unique_dim_cuda_templateIlEESt5tupleIJNSH_6TensorESM_SM_EERKSM_lbbbEUlllE0_EEPmJS6_EEE10hipError_tPvRmT3_T4_T5_T6_T7_T9_mT8_P12ihipStream_tbDpT10_ENKUlT_T0_E_clISt17integral_constantIbLb1EES1B_IbLb0EEEEDaS17_S18_EUlS17_E_NS1_11comp_targetILNS1_3genE2ELNS1_11target_archE906ELNS1_3gpuE6ELNS1_3repE0EEENS1_30default_config_static_selectorELNS0_4arch9wavefront6targetE0EEEvT1_
                                        ; -- End function
	.section	.AMDGPU.csdata,"",@progbits
; Kernel info:
; codeLenInByte = 0
; NumSgprs: 0
; NumVgprs: 0
; ScratchSize: 0
; MemoryBound: 0
; FloatMode: 240
; IeeeMode: 1
; LDSByteSize: 0 bytes/workgroup (compile time only)
; SGPRBlocks: 0
; VGPRBlocks: 0
; NumSGPRsForWavesPerEU: 1
; NumVGPRsForWavesPerEU: 1
; Occupancy: 16
; WaveLimiterHint : 0
; COMPUTE_PGM_RSRC2:SCRATCH_EN: 0
; COMPUTE_PGM_RSRC2:USER_SGPR: 15
; COMPUTE_PGM_RSRC2:TRAP_HANDLER: 0
; COMPUTE_PGM_RSRC2:TGID_X_EN: 1
; COMPUTE_PGM_RSRC2:TGID_Y_EN: 0
; COMPUTE_PGM_RSRC2:TGID_Z_EN: 0
; COMPUTE_PGM_RSRC2:TIDIG_COMP_CNT: 0
	.section	.text._ZN7rocprim17ROCPRIM_400000_NS6detail17trampoline_kernelINS0_14default_configENS1_25partition_config_selectorILNS1_17partition_subalgoE8ElNS0_10empty_typeEbEEZZNS1_14partition_implILS5_8ELb0ES3_jPlPS6_PKS6_NS0_5tupleIJS9_S6_EEENSD_IJSA_SA_EEENS0_18inequality_wrapperIZN2at6native12_GLOBAL__N_124unique_dim_cuda_templateIlEESt5tupleIJNSH_6TensorESM_SM_EERKSM_lbbbEUlllE0_EEPmJS6_EEE10hipError_tPvRmT3_T4_T5_T6_T7_T9_mT8_P12ihipStream_tbDpT10_ENKUlT_T0_E_clISt17integral_constantIbLb1EES1B_IbLb0EEEEDaS17_S18_EUlS17_E_NS1_11comp_targetILNS1_3genE10ELNS1_11target_archE1200ELNS1_3gpuE4ELNS1_3repE0EEENS1_30default_config_static_selectorELNS0_4arch9wavefront6targetE0EEEvT1_,"axG",@progbits,_ZN7rocprim17ROCPRIM_400000_NS6detail17trampoline_kernelINS0_14default_configENS1_25partition_config_selectorILNS1_17partition_subalgoE8ElNS0_10empty_typeEbEEZZNS1_14partition_implILS5_8ELb0ES3_jPlPS6_PKS6_NS0_5tupleIJS9_S6_EEENSD_IJSA_SA_EEENS0_18inequality_wrapperIZN2at6native12_GLOBAL__N_124unique_dim_cuda_templateIlEESt5tupleIJNSH_6TensorESM_SM_EERKSM_lbbbEUlllE0_EEPmJS6_EEE10hipError_tPvRmT3_T4_T5_T6_T7_T9_mT8_P12ihipStream_tbDpT10_ENKUlT_T0_E_clISt17integral_constantIbLb1EES1B_IbLb0EEEEDaS17_S18_EUlS17_E_NS1_11comp_targetILNS1_3genE10ELNS1_11target_archE1200ELNS1_3gpuE4ELNS1_3repE0EEENS1_30default_config_static_selectorELNS0_4arch9wavefront6targetE0EEEvT1_,comdat
	.globl	_ZN7rocprim17ROCPRIM_400000_NS6detail17trampoline_kernelINS0_14default_configENS1_25partition_config_selectorILNS1_17partition_subalgoE8ElNS0_10empty_typeEbEEZZNS1_14partition_implILS5_8ELb0ES3_jPlPS6_PKS6_NS0_5tupleIJS9_S6_EEENSD_IJSA_SA_EEENS0_18inequality_wrapperIZN2at6native12_GLOBAL__N_124unique_dim_cuda_templateIlEESt5tupleIJNSH_6TensorESM_SM_EERKSM_lbbbEUlllE0_EEPmJS6_EEE10hipError_tPvRmT3_T4_T5_T6_T7_T9_mT8_P12ihipStream_tbDpT10_ENKUlT_T0_E_clISt17integral_constantIbLb1EES1B_IbLb0EEEEDaS17_S18_EUlS17_E_NS1_11comp_targetILNS1_3genE10ELNS1_11target_archE1200ELNS1_3gpuE4ELNS1_3repE0EEENS1_30default_config_static_selectorELNS0_4arch9wavefront6targetE0EEEvT1_ ; -- Begin function _ZN7rocprim17ROCPRIM_400000_NS6detail17trampoline_kernelINS0_14default_configENS1_25partition_config_selectorILNS1_17partition_subalgoE8ElNS0_10empty_typeEbEEZZNS1_14partition_implILS5_8ELb0ES3_jPlPS6_PKS6_NS0_5tupleIJS9_S6_EEENSD_IJSA_SA_EEENS0_18inequality_wrapperIZN2at6native12_GLOBAL__N_124unique_dim_cuda_templateIlEESt5tupleIJNSH_6TensorESM_SM_EERKSM_lbbbEUlllE0_EEPmJS6_EEE10hipError_tPvRmT3_T4_T5_T6_T7_T9_mT8_P12ihipStream_tbDpT10_ENKUlT_T0_E_clISt17integral_constantIbLb1EES1B_IbLb0EEEEDaS17_S18_EUlS17_E_NS1_11comp_targetILNS1_3genE10ELNS1_11target_archE1200ELNS1_3gpuE4ELNS1_3repE0EEENS1_30default_config_static_selectorELNS0_4arch9wavefront6targetE0EEEvT1_
	.p2align	8
	.type	_ZN7rocprim17ROCPRIM_400000_NS6detail17trampoline_kernelINS0_14default_configENS1_25partition_config_selectorILNS1_17partition_subalgoE8ElNS0_10empty_typeEbEEZZNS1_14partition_implILS5_8ELb0ES3_jPlPS6_PKS6_NS0_5tupleIJS9_S6_EEENSD_IJSA_SA_EEENS0_18inequality_wrapperIZN2at6native12_GLOBAL__N_124unique_dim_cuda_templateIlEESt5tupleIJNSH_6TensorESM_SM_EERKSM_lbbbEUlllE0_EEPmJS6_EEE10hipError_tPvRmT3_T4_T5_T6_T7_T9_mT8_P12ihipStream_tbDpT10_ENKUlT_T0_E_clISt17integral_constantIbLb1EES1B_IbLb0EEEEDaS17_S18_EUlS17_E_NS1_11comp_targetILNS1_3genE10ELNS1_11target_archE1200ELNS1_3gpuE4ELNS1_3repE0EEENS1_30default_config_static_selectorELNS0_4arch9wavefront6targetE0EEEvT1_,@function
_ZN7rocprim17ROCPRIM_400000_NS6detail17trampoline_kernelINS0_14default_configENS1_25partition_config_selectorILNS1_17partition_subalgoE8ElNS0_10empty_typeEbEEZZNS1_14partition_implILS5_8ELb0ES3_jPlPS6_PKS6_NS0_5tupleIJS9_S6_EEENSD_IJSA_SA_EEENS0_18inequality_wrapperIZN2at6native12_GLOBAL__N_124unique_dim_cuda_templateIlEESt5tupleIJNSH_6TensorESM_SM_EERKSM_lbbbEUlllE0_EEPmJS6_EEE10hipError_tPvRmT3_T4_T5_T6_T7_T9_mT8_P12ihipStream_tbDpT10_ENKUlT_T0_E_clISt17integral_constantIbLb1EES1B_IbLb0EEEEDaS17_S18_EUlS17_E_NS1_11comp_targetILNS1_3genE10ELNS1_11target_archE1200ELNS1_3gpuE4ELNS1_3repE0EEENS1_30default_config_static_selectorELNS0_4arch9wavefront6targetE0EEEvT1_: ; @_ZN7rocprim17ROCPRIM_400000_NS6detail17trampoline_kernelINS0_14default_configENS1_25partition_config_selectorILNS1_17partition_subalgoE8ElNS0_10empty_typeEbEEZZNS1_14partition_implILS5_8ELb0ES3_jPlPS6_PKS6_NS0_5tupleIJS9_S6_EEENSD_IJSA_SA_EEENS0_18inequality_wrapperIZN2at6native12_GLOBAL__N_124unique_dim_cuda_templateIlEESt5tupleIJNSH_6TensorESM_SM_EERKSM_lbbbEUlllE0_EEPmJS6_EEE10hipError_tPvRmT3_T4_T5_T6_T7_T9_mT8_P12ihipStream_tbDpT10_ENKUlT_T0_E_clISt17integral_constantIbLb1EES1B_IbLb0EEEEDaS17_S18_EUlS17_E_NS1_11comp_targetILNS1_3genE10ELNS1_11target_archE1200ELNS1_3gpuE4ELNS1_3repE0EEENS1_30default_config_static_selectorELNS0_4arch9wavefront6targetE0EEEvT1_
; %bb.0:
	.section	.rodata,"a",@progbits
	.p2align	6, 0x0
	.amdhsa_kernel _ZN7rocprim17ROCPRIM_400000_NS6detail17trampoline_kernelINS0_14default_configENS1_25partition_config_selectorILNS1_17partition_subalgoE8ElNS0_10empty_typeEbEEZZNS1_14partition_implILS5_8ELb0ES3_jPlPS6_PKS6_NS0_5tupleIJS9_S6_EEENSD_IJSA_SA_EEENS0_18inequality_wrapperIZN2at6native12_GLOBAL__N_124unique_dim_cuda_templateIlEESt5tupleIJNSH_6TensorESM_SM_EERKSM_lbbbEUlllE0_EEPmJS6_EEE10hipError_tPvRmT3_T4_T5_T6_T7_T9_mT8_P12ihipStream_tbDpT10_ENKUlT_T0_E_clISt17integral_constantIbLb1EES1B_IbLb0EEEEDaS17_S18_EUlS17_E_NS1_11comp_targetILNS1_3genE10ELNS1_11target_archE1200ELNS1_3gpuE4ELNS1_3repE0EEENS1_30default_config_static_selectorELNS0_4arch9wavefront6targetE0EEEvT1_
		.amdhsa_group_segment_fixed_size 0
		.amdhsa_private_segment_fixed_size 0
		.amdhsa_kernarg_size 120
		.amdhsa_user_sgpr_count 15
		.amdhsa_user_sgpr_dispatch_ptr 0
		.amdhsa_user_sgpr_queue_ptr 0
		.amdhsa_user_sgpr_kernarg_segment_ptr 1
		.amdhsa_user_sgpr_dispatch_id 0
		.amdhsa_user_sgpr_private_segment_size 0
		.amdhsa_wavefront_size32 1
		.amdhsa_uses_dynamic_stack 0
		.amdhsa_enable_private_segment 0
		.amdhsa_system_sgpr_workgroup_id_x 1
		.amdhsa_system_sgpr_workgroup_id_y 0
		.amdhsa_system_sgpr_workgroup_id_z 0
		.amdhsa_system_sgpr_workgroup_info 0
		.amdhsa_system_vgpr_workitem_id 0
		.amdhsa_next_free_vgpr 1
		.amdhsa_next_free_sgpr 1
		.amdhsa_reserve_vcc 0
		.amdhsa_float_round_mode_32 0
		.amdhsa_float_round_mode_16_64 0
		.amdhsa_float_denorm_mode_32 3
		.amdhsa_float_denorm_mode_16_64 3
		.amdhsa_dx10_clamp 1
		.amdhsa_ieee_mode 1
		.amdhsa_fp16_overflow 0
		.amdhsa_workgroup_processor_mode 1
		.amdhsa_memory_ordered 1
		.amdhsa_forward_progress 0
		.amdhsa_shared_vgpr_count 0
		.amdhsa_exception_fp_ieee_invalid_op 0
		.amdhsa_exception_fp_denorm_src 0
		.amdhsa_exception_fp_ieee_div_zero 0
		.amdhsa_exception_fp_ieee_overflow 0
		.amdhsa_exception_fp_ieee_underflow 0
		.amdhsa_exception_fp_ieee_inexact 0
		.amdhsa_exception_int_div_zero 0
	.end_amdhsa_kernel
	.section	.text._ZN7rocprim17ROCPRIM_400000_NS6detail17trampoline_kernelINS0_14default_configENS1_25partition_config_selectorILNS1_17partition_subalgoE8ElNS0_10empty_typeEbEEZZNS1_14partition_implILS5_8ELb0ES3_jPlPS6_PKS6_NS0_5tupleIJS9_S6_EEENSD_IJSA_SA_EEENS0_18inequality_wrapperIZN2at6native12_GLOBAL__N_124unique_dim_cuda_templateIlEESt5tupleIJNSH_6TensorESM_SM_EERKSM_lbbbEUlllE0_EEPmJS6_EEE10hipError_tPvRmT3_T4_T5_T6_T7_T9_mT8_P12ihipStream_tbDpT10_ENKUlT_T0_E_clISt17integral_constantIbLb1EES1B_IbLb0EEEEDaS17_S18_EUlS17_E_NS1_11comp_targetILNS1_3genE10ELNS1_11target_archE1200ELNS1_3gpuE4ELNS1_3repE0EEENS1_30default_config_static_selectorELNS0_4arch9wavefront6targetE0EEEvT1_,"axG",@progbits,_ZN7rocprim17ROCPRIM_400000_NS6detail17trampoline_kernelINS0_14default_configENS1_25partition_config_selectorILNS1_17partition_subalgoE8ElNS0_10empty_typeEbEEZZNS1_14partition_implILS5_8ELb0ES3_jPlPS6_PKS6_NS0_5tupleIJS9_S6_EEENSD_IJSA_SA_EEENS0_18inequality_wrapperIZN2at6native12_GLOBAL__N_124unique_dim_cuda_templateIlEESt5tupleIJNSH_6TensorESM_SM_EERKSM_lbbbEUlllE0_EEPmJS6_EEE10hipError_tPvRmT3_T4_T5_T6_T7_T9_mT8_P12ihipStream_tbDpT10_ENKUlT_T0_E_clISt17integral_constantIbLb1EES1B_IbLb0EEEEDaS17_S18_EUlS17_E_NS1_11comp_targetILNS1_3genE10ELNS1_11target_archE1200ELNS1_3gpuE4ELNS1_3repE0EEENS1_30default_config_static_selectorELNS0_4arch9wavefront6targetE0EEEvT1_,comdat
.Lfunc_end584:
	.size	_ZN7rocprim17ROCPRIM_400000_NS6detail17trampoline_kernelINS0_14default_configENS1_25partition_config_selectorILNS1_17partition_subalgoE8ElNS0_10empty_typeEbEEZZNS1_14partition_implILS5_8ELb0ES3_jPlPS6_PKS6_NS0_5tupleIJS9_S6_EEENSD_IJSA_SA_EEENS0_18inequality_wrapperIZN2at6native12_GLOBAL__N_124unique_dim_cuda_templateIlEESt5tupleIJNSH_6TensorESM_SM_EERKSM_lbbbEUlllE0_EEPmJS6_EEE10hipError_tPvRmT3_T4_T5_T6_T7_T9_mT8_P12ihipStream_tbDpT10_ENKUlT_T0_E_clISt17integral_constantIbLb1EES1B_IbLb0EEEEDaS17_S18_EUlS17_E_NS1_11comp_targetILNS1_3genE10ELNS1_11target_archE1200ELNS1_3gpuE4ELNS1_3repE0EEENS1_30default_config_static_selectorELNS0_4arch9wavefront6targetE0EEEvT1_, .Lfunc_end584-_ZN7rocprim17ROCPRIM_400000_NS6detail17trampoline_kernelINS0_14default_configENS1_25partition_config_selectorILNS1_17partition_subalgoE8ElNS0_10empty_typeEbEEZZNS1_14partition_implILS5_8ELb0ES3_jPlPS6_PKS6_NS0_5tupleIJS9_S6_EEENSD_IJSA_SA_EEENS0_18inequality_wrapperIZN2at6native12_GLOBAL__N_124unique_dim_cuda_templateIlEESt5tupleIJNSH_6TensorESM_SM_EERKSM_lbbbEUlllE0_EEPmJS6_EEE10hipError_tPvRmT3_T4_T5_T6_T7_T9_mT8_P12ihipStream_tbDpT10_ENKUlT_T0_E_clISt17integral_constantIbLb1EES1B_IbLb0EEEEDaS17_S18_EUlS17_E_NS1_11comp_targetILNS1_3genE10ELNS1_11target_archE1200ELNS1_3gpuE4ELNS1_3repE0EEENS1_30default_config_static_selectorELNS0_4arch9wavefront6targetE0EEEvT1_
                                        ; -- End function
	.section	.AMDGPU.csdata,"",@progbits
; Kernel info:
; codeLenInByte = 0
; NumSgprs: 0
; NumVgprs: 0
; ScratchSize: 0
; MemoryBound: 0
; FloatMode: 240
; IeeeMode: 1
; LDSByteSize: 0 bytes/workgroup (compile time only)
; SGPRBlocks: 0
; VGPRBlocks: 0
; NumSGPRsForWavesPerEU: 1
; NumVGPRsForWavesPerEU: 1
; Occupancy: 15
; WaveLimiterHint : 0
; COMPUTE_PGM_RSRC2:SCRATCH_EN: 0
; COMPUTE_PGM_RSRC2:USER_SGPR: 15
; COMPUTE_PGM_RSRC2:TRAP_HANDLER: 0
; COMPUTE_PGM_RSRC2:TGID_X_EN: 1
; COMPUTE_PGM_RSRC2:TGID_Y_EN: 0
; COMPUTE_PGM_RSRC2:TGID_Z_EN: 0
; COMPUTE_PGM_RSRC2:TIDIG_COMP_CNT: 0
	.section	.text._ZN7rocprim17ROCPRIM_400000_NS6detail17trampoline_kernelINS0_14default_configENS1_25partition_config_selectorILNS1_17partition_subalgoE8ElNS0_10empty_typeEbEEZZNS1_14partition_implILS5_8ELb0ES3_jPlPS6_PKS6_NS0_5tupleIJS9_S6_EEENSD_IJSA_SA_EEENS0_18inequality_wrapperIZN2at6native12_GLOBAL__N_124unique_dim_cuda_templateIlEESt5tupleIJNSH_6TensorESM_SM_EERKSM_lbbbEUlllE0_EEPmJS6_EEE10hipError_tPvRmT3_T4_T5_T6_T7_T9_mT8_P12ihipStream_tbDpT10_ENKUlT_T0_E_clISt17integral_constantIbLb1EES1B_IbLb0EEEEDaS17_S18_EUlS17_E_NS1_11comp_targetILNS1_3genE9ELNS1_11target_archE1100ELNS1_3gpuE3ELNS1_3repE0EEENS1_30default_config_static_selectorELNS0_4arch9wavefront6targetE0EEEvT1_,"axG",@progbits,_ZN7rocprim17ROCPRIM_400000_NS6detail17trampoline_kernelINS0_14default_configENS1_25partition_config_selectorILNS1_17partition_subalgoE8ElNS0_10empty_typeEbEEZZNS1_14partition_implILS5_8ELb0ES3_jPlPS6_PKS6_NS0_5tupleIJS9_S6_EEENSD_IJSA_SA_EEENS0_18inequality_wrapperIZN2at6native12_GLOBAL__N_124unique_dim_cuda_templateIlEESt5tupleIJNSH_6TensorESM_SM_EERKSM_lbbbEUlllE0_EEPmJS6_EEE10hipError_tPvRmT3_T4_T5_T6_T7_T9_mT8_P12ihipStream_tbDpT10_ENKUlT_T0_E_clISt17integral_constantIbLb1EES1B_IbLb0EEEEDaS17_S18_EUlS17_E_NS1_11comp_targetILNS1_3genE9ELNS1_11target_archE1100ELNS1_3gpuE3ELNS1_3repE0EEENS1_30default_config_static_selectorELNS0_4arch9wavefront6targetE0EEEvT1_,comdat
	.globl	_ZN7rocprim17ROCPRIM_400000_NS6detail17trampoline_kernelINS0_14default_configENS1_25partition_config_selectorILNS1_17partition_subalgoE8ElNS0_10empty_typeEbEEZZNS1_14partition_implILS5_8ELb0ES3_jPlPS6_PKS6_NS0_5tupleIJS9_S6_EEENSD_IJSA_SA_EEENS0_18inequality_wrapperIZN2at6native12_GLOBAL__N_124unique_dim_cuda_templateIlEESt5tupleIJNSH_6TensorESM_SM_EERKSM_lbbbEUlllE0_EEPmJS6_EEE10hipError_tPvRmT3_T4_T5_T6_T7_T9_mT8_P12ihipStream_tbDpT10_ENKUlT_T0_E_clISt17integral_constantIbLb1EES1B_IbLb0EEEEDaS17_S18_EUlS17_E_NS1_11comp_targetILNS1_3genE9ELNS1_11target_archE1100ELNS1_3gpuE3ELNS1_3repE0EEENS1_30default_config_static_selectorELNS0_4arch9wavefront6targetE0EEEvT1_ ; -- Begin function _ZN7rocprim17ROCPRIM_400000_NS6detail17trampoline_kernelINS0_14default_configENS1_25partition_config_selectorILNS1_17partition_subalgoE8ElNS0_10empty_typeEbEEZZNS1_14partition_implILS5_8ELb0ES3_jPlPS6_PKS6_NS0_5tupleIJS9_S6_EEENSD_IJSA_SA_EEENS0_18inequality_wrapperIZN2at6native12_GLOBAL__N_124unique_dim_cuda_templateIlEESt5tupleIJNSH_6TensorESM_SM_EERKSM_lbbbEUlllE0_EEPmJS6_EEE10hipError_tPvRmT3_T4_T5_T6_T7_T9_mT8_P12ihipStream_tbDpT10_ENKUlT_T0_E_clISt17integral_constantIbLb1EES1B_IbLb0EEEEDaS17_S18_EUlS17_E_NS1_11comp_targetILNS1_3genE9ELNS1_11target_archE1100ELNS1_3gpuE3ELNS1_3repE0EEENS1_30default_config_static_selectorELNS0_4arch9wavefront6targetE0EEEvT1_
	.p2align	8
	.type	_ZN7rocprim17ROCPRIM_400000_NS6detail17trampoline_kernelINS0_14default_configENS1_25partition_config_selectorILNS1_17partition_subalgoE8ElNS0_10empty_typeEbEEZZNS1_14partition_implILS5_8ELb0ES3_jPlPS6_PKS6_NS0_5tupleIJS9_S6_EEENSD_IJSA_SA_EEENS0_18inequality_wrapperIZN2at6native12_GLOBAL__N_124unique_dim_cuda_templateIlEESt5tupleIJNSH_6TensorESM_SM_EERKSM_lbbbEUlllE0_EEPmJS6_EEE10hipError_tPvRmT3_T4_T5_T6_T7_T9_mT8_P12ihipStream_tbDpT10_ENKUlT_T0_E_clISt17integral_constantIbLb1EES1B_IbLb0EEEEDaS17_S18_EUlS17_E_NS1_11comp_targetILNS1_3genE9ELNS1_11target_archE1100ELNS1_3gpuE3ELNS1_3repE0EEENS1_30default_config_static_selectorELNS0_4arch9wavefront6targetE0EEEvT1_,@function
_ZN7rocprim17ROCPRIM_400000_NS6detail17trampoline_kernelINS0_14default_configENS1_25partition_config_selectorILNS1_17partition_subalgoE8ElNS0_10empty_typeEbEEZZNS1_14partition_implILS5_8ELb0ES3_jPlPS6_PKS6_NS0_5tupleIJS9_S6_EEENSD_IJSA_SA_EEENS0_18inequality_wrapperIZN2at6native12_GLOBAL__N_124unique_dim_cuda_templateIlEESt5tupleIJNSH_6TensorESM_SM_EERKSM_lbbbEUlllE0_EEPmJS6_EEE10hipError_tPvRmT3_T4_T5_T6_T7_T9_mT8_P12ihipStream_tbDpT10_ENKUlT_T0_E_clISt17integral_constantIbLb1EES1B_IbLb0EEEEDaS17_S18_EUlS17_E_NS1_11comp_targetILNS1_3genE9ELNS1_11target_archE1100ELNS1_3gpuE3ELNS1_3repE0EEENS1_30default_config_static_selectorELNS0_4arch9wavefront6targetE0EEEvT1_: ; @_ZN7rocprim17ROCPRIM_400000_NS6detail17trampoline_kernelINS0_14default_configENS1_25partition_config_selectorILNS1_17partition_subalgoE8ElNS0_10empty_typeEbEEZZNS1_14partition_implILS5_8ELb0ES3_jPlPS6_PKS6_NS0_5tupleIJS9_S6_EEENSD_IJSA_SA_EEENS0_18inequality_wrapperIZN2at6native12_GLOBAL__N_124unique_dim_cuda_templateIlEESt5tupleIJNSH_6TensorESM_SM_EERKSM_lbbbEUlllE0_EEPmJS6_EEE10hipError_tPvRmT3_T4_T5_T6_T7_T9_mT8_P12ihipStream_tbDpT10_ENKUlT_T0_E_clISt17integral_constantIbLb1EES1B_IbLb0EEEEDaS17_S18_EUlS17_E_NS1_11comp_targetILNS1_3genE9ELNS1_11target_archE1100ELNS1_3gpuE3ELNS1_3repE0EEENS1_30default_config_static_selectorELNS0_4arch9wavefront6targetE0EEEvT1_
; %bb.0:
	s_clause 0x3
	s_load_b128 s[4:7], s[0:1], 0x8
	s_load_b256 s[16:23], s[0:1], 0x40
	s_load_b32 s14, s[0:1], 0x70
	s_load_b128 s[8:11], s[0:1], 0x60
	s_mov_b32 s3, 0
	v_lshlrev_b32_e32 v39, 3, v0
	v_lshrrev_b32_e32 v17, 2, v0
	v_or_b32_e32 v24, 0x200, v0
	v_or_b32_e32 v22, 0x400, v0
	;; [unrolled: 1-line block ×7, first 2 shown]
	s_waitcnt lgkmcnt(0)
	s_lshl_b64 s[24:25], s[6:7], 3
	s_load_b64 s[12:13], s[18:19], 0x0
	s_add_u32 s26, s4, s24
	s_addc_u32 s5, s5, s25
	s_add_i32 s24, s14, -1
	s_lshl_b32 s14, s14, 12
	s_lshl_b32 s4, s24, 12
	s_lshl_b32 s2, s15, 12
	s_add_i32 s4, s6, s4
	s_add_u32 s18, s6, s14
	s_addc_u32 s19, s7, 0
	s_cmp_eq_u32 s15, s24
	v_cmp_ge_u64_e64 s18, s[18:19], s[20:21]
	s_cselect_b32 s14, -1, 0
	s_lshl_b64 s[2:3], s[2:3], 3
	s_delay_alu instid0(VALU_DEP_1) | instskip(NEXT) | instid1(SALU_CYCLE_1)
	s_and_b32 s24, s14, s18
	s_xor_b32 s21, s24, -1
	s_add_u32 s2, s26, s2
	s_addc_u32 s3, s5, s3
	s_and_b32 vcc_lo, exec_lo, s21
	s_mov_b32 s5, -1
	s_cbranch_vccz .LBB585_2
; %bb.1:
	v_add_co_u32 v9, s5, s2, v39
	s_delay_alu instid0(VALU_DEP_1)
	v_add_co_ci_u32_e64 v10, null, s3, 0, s5
	global_load_b64 v[1:2], v39, s[2:3]
	v_add_co_u32 v3, vcc_lo, v9, 0x2000
	v_add_co_ci_u32_e32 v4, vcc_lo, 0, v10, vcc_lo
	v_add_co_u32 v5, vcc_lo, v9, 0x4000
	v_add_co_ci_u32_e32 v6, vcc_lo, 0, v10, vcc_lo
	;; [unrolled: 2-line block ×4, first 2 shown]
	s_clause 0x6
	global_load_b64 v[11:12], v[3:4], off offset:-4096
	global_load_b64 v[3:4], v[3:4], off
	global_load_b64 v[13:14], v[5:6], off offset:-4096
	global_load_b64 v[5:6], v[5:6], off
	;; [unrolled: 2-line block ×3, first 2 shown]
	global_load_b64 v[9:10], v[9:10], off
	v_lshrrev_b32_e32 v26, 2, v24
	v_lshrrev_b32_e32 v27, 2, v22
	;; [unrolled: 1-line block ×4, first 2 shown]
	v_and_b32_e32 v25, 0x78, v17
	v_lshrrev_b32_e32 v30, 2, v20
	v_lshrrev_b32_e32 v31, 2, v19
	;; [unrolled: 1-line block ×3, first 2 shown]
	v_and_b32_e32 v26, 0xf8, v26
	v_and_b32_e32 v27, 0x178, v27
	;; [unrolled: 1-line block ×4, first 2 shown]
	v_add_nc_u32_e32 v25, v25, v39
	v_and_b32_e32 v30, 0x2f8, v30
	v_and_b32_e32 v31, 0x378, v31
	;; [unrolled: 1-line block ×3, first 2 shown]
	v_add_nc_u32_e32 v26, v26, v39
	v_add_nc_u32_e32 v27, v27, v39
	;; [unrolled: 1-line block ×4, first 2 shown]
	s_mov_b32 s5, 0
	v_add_nc_u32_e32 v30, v30, v39
	v_add_nc_u32_e32 v31, v31, v39
	v_add_nc_u32_e32 v32, v32, v39
	s_waitcnt vmcnt(7)
	ds_store_b64 v25, v[1:2]
	s_waitcnt vmcnt(6)
	ds_store_b64 v26, v[11:12] offset:4096
	s_waitcnt vmcnt(5)
	ds_store_b64 v27, v[3:4] offset:8192
	;; [unrolled: 2-line block ×7, first 2 shown]
	s_waitcnt lgkmcnt(0)
	s_barrier
.LBB585_2:
	s_and_not1_b32 vcc_lo, exec_lo, s5
	s_sub_i32 s20, s20, s4
	s_cbranch_vccnz .LBB585_13
; %bb.3:
	s_mov_b32 s4, exec_lo
                                        ; implicit-def: $vgpr1_vgpr2_vgpr3_vgpr4_vgpr5_vgpr6_vgpr7_vgpr8_vgpr9_vgpr10_vgpr11_vgpr12_vgpr13_vgpr14_vgpr15_vgpr16
	v_cmpx_gt_u32_e64 s20, v0
	s_cbranch_execnz .LBB585_23
; %bb.4:
	s_or_b32 exec_lo, exec_lo, s4
	s_delay_alu instid0(SALU_CYCLE_1)
	s_mov_b32 s4, exec_lo
	v_cmpx_gt_u32_e64 s20, v24
	s_cbranch_execnz .LBB585_24
.LBB585_5:
	s_or_b32 exec_lo, exec_lo, s4
	s_delay_alu instid0(SALU_CYCLE_1)
	s_mov_b32 s4, exec_lo
	v_cmpx_gt_u32_e64 s20, v22
	s_cbranch_execnz .LBB585_25
.LBB585_6:
	s_or_b32 exec_lo, exec_lo, s4
	s_delay_alu instid0(SALU_CYCLE_1)
	s_mov_b32 s4, exec_lo
	v_cmpx_gt_u32_e64 s20, v23
	s_cbranch_execnz .LBB585_26
.LBB585_7:
	s_or_b32 exec_lo, exec_lo, s4
	s_delay_alu instid0(SALU_CYCLE_1)
	s_mov_b32 s4, exec_lo
	v_cmpx_gt_u32_e64 s20, v21
	s_cbranch_execnz .LBB585_27
.LBB585_8:
	s_or_b32 exec_lo, exec_lo, s4
	s_delay_alu instid0(SALU_CYCLE_1)
	s_mov_b32 s4, exec_lo
	v_cmpx_gt_u32_e64 s20, v20
	s_cbranch_execnz .LBB585_28
.LBB585_9:
	s_or_b32 exec_lo, exec_lo, s4
	s_delay_alu instid0(SALU_CYCLE_1)
	s_mov_b32 s4, exec_lo
	v_cmpx_gt_u32_e64 s20, v19
	s_cbranch_execnz .LBB585_29
.LBB585_10:
	s_or_b32 exec_lo, exec_lo, s4
	s_delay_alu instid0(SALU_CYCLE_1)
	s_mov_b32 s4, exec_lo
	v_cmpx_gt_u32_e64 s20, v18
	s_cbranch_execz .LBB585_12
.LBB585_11:
	v_lshlrev_b32_e32 v15, 3, v18
	global_load_b64 v[15:16], v15, s[2:3]
.LBB585_12:
	s_or_b32 exec_lo, exec_lo, s4
	v_lshrrev_b32_e32 v24, 2, v24
	v_lshrrev_b32_e32 v22, 2, v22
	;; [unrolled: 1-line block ×4, first 2 shown]
	v_and_b32_e32 v25, 0x78, v17
	v_lshrrev_b32_e32 v20, 2, v20
	v_lshrrev_b32_e32 v19, 2, v19
	;; [unrolled: 1-line block ×3, first 2 shown]
	v_and_b32_e32 v24, 0xf8, v24
	v_and_b32_e32 v22, 0x1f8, v22
	;; [unrolled: 1-line block ×4, first 2 shown]
	v_add_nc_u32_e32 v25, v25, v39
	v_and_b32_e32 v20, 0x3f8, v20
	v_and_b32_e32 v19, 0x3f8, v19
	;; [unrolled: 1-line block ×3, first 2 shown]
	v_add_nc_u32_e32 v24, v24, v39
	v_add_nc_u32_e32 v22, v22, v39
	v_add_nc_u32_e32 v23, v23, v39
	v_add_nc_u32_e32 v21, v21, v39
	v_add_nc_u32_e32 v20, v20, v39
	v_add_nc_u32_e32 v19, v19, v39
	v_add_nc_u32_e32 v18, v18, v39
	s_waitcnt vmcnt(0)
	ds_store_b64 v25, v[1:2]
	ds_store_b64 v24, v[3:4] offset:4096
	ds_store_b64 v22, v[5:6] offset:8192
	;; [unrolled: 1-line block ×7, first 2 shown]
	s_waitcnt lgkmcnt(0)
	s_barrier
.LBB585_13:
	v_add_lshl_u32 v1, v17, v39, 3
	s_waitcnt lgkmcnt(0)
	buffer_gl0_inv
	s_cmp_lg_u32 s15, 0
	v_cmp_gt_i64_e64 s26, s[22:23], 0
	s_cselect_b32 s25, -1, 0
	ds_load_2addr_b64 v[13:16], v1 offset1:1
	ds_load_2addr_b64 v[9:12], v1 offset0:2 offset1:3
	ds_load_2addr_b64 v[5:8], v1 offset0:4 offset1:5
	;; [unrolled: 1-line block ×3, first 2 shown]
	s_cmp_lg_u64 s[6:7], 0
	s_mov_b32 s18, 0
	s_cselect_b32 s4, -1, 0
	s_waitcnt lgkmcnt(0)
	s_or_b32 s4, s25, s4
	s_barrier
	s_and_b32 vcc_lo, exec_lo, s4
	buffer_gl0_inv
	s_cbranch_vccz .LBB585_22
; %bb.14:
	s_add_u32 s2, s2, -8
	s_addc_u32 s3, s3, -1
	v_cndmask_b32_e64 v25, 0, 1, s26
	s_load_b64 s[4:5], s[2:3], 0x0
	s_and_b32 vcc_lo, exec_lo, s21
	ds_store_b64 v39, v[3:4]
	v_cmp_ne_u32_e64 s2, 1, v25
	s_cbranch_vccz .LBB585_30
; %bb.15:
	v_mul_lo_u32 v19, v2, s22
	v_mul_lo_u32 v20, v1, s23
	v_mad_u64_u32 v[17:18], null, v1, s22, 0
	s_mov_b32 s3, 0
	s_and_b32 vcc_lo, exec_lo, s2
	s_mov_b32 s27, 0
	s_delay_alu instid0(VALU_DEP_1) | instskip(NEXT) | instid1(VALU_DEP_1)
	v_add3_u32 v18, v18, v20, v19
	v_lshlrev_b64 v[17:18], 3, v[17:18]
	s_cbranch_vccnz .LBB585_33
; %bb.16:
	v_mul_lo_u32 v21, v4, s22
	v_mul_lo_u32 v22, v3, s23
	v_mad_u64_u32 v[19:20], null, v3, s22, 0
	s_mov_b32 s27, -1
	s_mov_b32 s28, exec_lo
	s_delay_alu instid0(VALU_DEP_1) | instskip(SKIP_2) | instid1(VALU_DEP_3)
	v_add3_u32 v20, v20, v22, v21
	v_add_co_u32 v21, vcc_lo, s8, v17
	v_add_co_ci_u32_e32 v22, vcc_lo, s9, v18, vcc_lo
	v_lshlrev_b64 v[19:20], 3, v[19:20]
	s_delay_alu instid0(VALU_DEP_1) | instskip(NEXT) | instid1(VALU_DEP_2)
	v_add_co_u32 v19, vcc_lo, s8, v19
	v_add_co_ci_u32_e32 v20, vcc_lo, s9, v20, vcc_lo
	s_clause 0x1
	global_load_b64 v[23:24], v[21:22], off
	global_load_b64 v[26:27], v[19:20], off
	s_waitcnt vmcnt(0)
	v_cmpx_eq_u64_e64 v[23:24], v[26:27]
	s_cbranch_execz .LBB585_32
; %bb.17:
	v_add_co_u32 v19, vcc_lo, v19, 8
	v_add_co_ci_u32_e32 v20, vcc_lo, 0, v20, vcc_lo
	v_add_co_u32 v21, vcc_lo, v21, 8
	v_add_co_ci_u32_e32 v22, vcc_lo, 0, v22, vcc_lo
	s_add_u32 s6, s22, -1
	s_addc_u32 s7, s23, -1
	s_mov_b64 s[18:19], 0
	s_mov_b32 s27, 0
                                        ; implicit-def: $sgpr29
	s_set_inst_prefetch_distance 0x1
	s_branch .LBB585_20
	.p2align	6
.LBB585_18:                             ;   in Loop: Header=BB585_20 Depth=1
	global_load_b64 v[23:24], v[21:22], off
	global_load_b64 v[26:27], v[19:20], off
	v_add_co_u32 v19, vcc_lo, v19, 8
	v_add_co_ci_u32_e32 v20, vcc_lo, 0, v20, vcc_lo
	v_add_co_u32 v21, s2, v21, 8
	s_delay_alu instid0(VALU_DEP_1)
	v_add_co_ci_u32_e64 v22, s2, 0, v22, s2
	s_add_u32 s18, s18, 1
	s_addc_u32 s19, s19, 0
	s_and_not1_b32 s2, s29, exec_lo
	s_waitcnt vmcnt(0)
	v_cmp_ne_u64_e32 vcc_lo, v[23:24], v[26:27]
	s_and_b32 s29, vcc_lo, exec_lo
	s_delay_alu instid0(SALU_CYCLE_1)
	s_or_b32 s29, s2, s29
.LBB585_19:                             ;   in Loop: Header=BB585_20 Depth=1
	v_dual_mov_b32 v24, s19 :: v_dual_mov_b32 v23, s18
	s_and_b32 s2, exec_lo, s29
	s_delay_alu instid0(SALU_CYCLE_1) | instskip(NEXT) | instid1(SALU_CYCLE_1)
	s_or_b32 s27, s2, s27
	s_and_not1_b32 exec_lo, exec_lo, s27
	s_cbranch_execz .LBB585_31
.LBB585_20:                             ; =>This Inner Loop Header: Depth=1
	s_or_b32 s29, s29, exec_lo
	s_cmp_eq_u64 s[6:7], s[18:19]
	s_cbranch_scc0 .LBB585_18
; %bb.21:                               ;   in Loop: Header=BB585_20 Depth=1
	s_mov_b64 s[18:19], s[22:23]
                                        ; implicit-def: $vgpr19_vgpr20
                                        ; implicit-def: $vgpr21_vgpr22
	s_branch .LBB585_19
.LBB585_22:
                                        ; implicit-def: $sgpr2
                                        ; implicit-def: $vgpr18
	s_branch .LBB585_191
.LBB585_23:
	global_load_b64 v[1:2], v39, s[2:3]
	s_or_b32 exec_lo, exec_lo, s4
	s_delay_alu instid0(SALU_CYCLE_1)
	s_mov_b32 s4, exec_lo
	v_cmpx_gt_u32_e64 s20, v24
	s_cbranch_execz .LBB585_5
.LBB585_24:
	v_lshlrev_b32_e32 v3, 3, v24
	global_load_b64 v[3:4], v3, s[2:3]
	s_or_b32 exec_lo, exec_lo, s4
	s_delay_alu instid0(SALU_CYCLE_1)
	s_mov_b32 s4, exec_lo
	v_cmpx_gt_u32_e64 s20, v22
	s_cbranch_execz .LBB585_6
.LBB585_25:
	v_lshlrev_b32_e32 v5, 3, v22
	global_load_b64 v[5:6], v5, s[2:3]
	s_or_b32 exec_lo, exec_lo, s4
	s_delay_alu instid0(SALU_CYCLE_1)
	s_mov_b32 s4, exec_lo
	v_cmpx_gt_u32_e64 s20, v23
	s_cbranch_execz .LBB585_7
.LBB585_26:
	v_lshlrev_b32_e32 v7, 3, v23
	global_load_b64 v[7:8], v7, s[2:3]
	s_or_b32 exec_lo, exec_lo, s4
	s_delay_alu instid0(SALU_CYCLE_1)
	s_mov_b32 s4, exec_lo
	v_cmpx_gt_u32_e64 s20, v21
	s_cbranch_execz .LBB585_8
.LBB585_27:
	v_lshlrev_b32_e32 v9, 3, v21
	global_load_b64 v[9:10], v9, s[2:3]
	s_or_b32 exec_lo, exec_lo, s4
	s_delay_alu instid0(SALU_CYCLE_1)
	s_mov_b32 s4, exec_lo
	v_cmpx_gt_u32_e64 s20, v20
	s_cbranch_execz .LBB585_9
.LBB585_28:
	v_lshlrev_b32_e32 v11, 3, v20
	global_load_b64 v[11:12], v11, s[2:3]
	s_or_b32 exec_lo, exec_lo, s4
	s_delay_alu instid0(SALU_CYCLE_1)
	s_mov_b32 s4, exec_lo
	v_cmpx_gt_u32_e64 s20, v19
	s_cbranch_execz .LBB585_10
.LBB585_29:
	v_lshlrev_b32_e32 v13, 3, v19
	global_load_b64 v[13:14], v13, s[2:3]
	s_or_b32 exec_lo, exec_lo, s4
	s_delay_alu instid0(SALU_CYCLE_1)
	s_mov_b32 s4, exec_lo
	v_cmpx_gt_u32_e64 s20, v18
	s_cbranch_execnz .LBB585_11
	s_branch .LBB585_12
.LBB585_30:
                                        ; implicit-def: $sgpr2
                                        ; implicit-def: $vgpr18
	s_cbranch_execnz .LBB585_99
	s_branch .LBB585_190
.LBB585_31:
	s_set_inst_prefetch_distance 0x2
	s_or_b32 exec_lo, exec_lo, s27
	v_cmp_gt_i64_e32 vcc_lo, s[22:23], v[23:24]
	s_or_not1_b32 s27, vcc_lo, exec_lo
.LBB585_32:
	s_or_b32 exec_lo, exec_lo, s28
.LBB585_33:
	v_mul_lo_u32 v21, v8, s22
	v_mul_lo_u32 v22, v7, s23
	v_mad_u64_u32 v[19:20], null, v7, s22, 0
	s_and_not1_b32 vcc_lo, exec_lo, s26
	s_delay_alu instid0(VALU_DEP_1) | instskip(NEXT) | instid1(VALU_DEP_1)
	v_add3_u32 v20, v20, v22, v21
	v_lshlrev_b64 v[19:20], 3, v[19:20]
	s_cbranch_vccnz .LBB585_42
; %bb.34:
	s_delay_alu instid0(VALU_DEP_1) | instskip(NEXT) | instid1(VALU_DEP_2)
	v_add_co_u32 v21, vcc_lo, s8, v19
	v_add_co_ci_u32_e32 v22, vcc_lo, s9, v20, vcc_lo
	v_add_co_u32 v17, vcc_lo, s8, v17
	v_add_co_ci_u32_e32 v18, vcc_lo, s9, v18, vcc_lo
	s_mov_b32 s3, -1
	s_clause 0x1
	global_load_b64 v[23:24], v[21:22], off
	global_load_b64 v[26:27], v[17:18], off
	s_mov_b32 s28, exec_lo
	s_waitcnt vmcnt(0)
	v_cmpx_eq_u64_e64 v[23:24], v[26:27]
	s_cbranch_execz .LBB585_41
; %bb.35:
	v_add_co_u32 v17, vcc_lo, v17, 8
	v_add_co_ci_u32_e32 v18, vcc_lo, 0, v18, vcc_lo
	v_add_co_u32 v21, vcc_lo, v21, 8
	v_add_co_ci_u32_e32 v22, vcc_lo, 0, v22, vcc_lo
	s_add_u32 s6, s22, -1
	s_addc_u32 s7, s23, -1
	s_mov_b64 s[18:19], 0
	s_mov_b32 s3, 0
                                        ; implicit-def: $sgpr29
	s_set_inst_prefetch_distance 0x1
	s_branch .LBB585_38
	.p2align	6
.LBB585_36:                             ;   in Loop: Header=BB585_38 Depth=1
	global_load_b64 v[23:24], v[21:22], off
	global_load_b64 v[26:27], v[17:18], off
	v_add_co_u32 v17, vcc_lo, v17, 8
	v_add_co_ci_u32_e32 v18, vcc_lo, 0, v18, vcc_lo
	v_add_co_u32 v21, s2, v21, 8
	s_delay_alu instid0(VALU_DEP_1)
	v_add_co_ci_u32_e64 v22, s2, 0, v22, s2
	s_add_u32 s18, s18, 1
	s_addc_u32 s19, s19, 0
	s_and_not1_b32 s2, s29, exec_lo
	s_waitcnt vmcnt(0)
	v_cmp_ne_u64_e32 vcc_lo, v[23:24], v[26:27]
	s_and_b32 s29, vcc_lo, exec_lo
	s_delay_alu instid0(SALU_CYCLE_1)
	s_or_b32 s29, s2, s29
.LBB585_37:                             ;   in Loop: Header=BB585_38 Depth=1
	v_dual_mov_b32 v24, s19 :: v_dual_mov_b32 v23, s18
	s_and_b32 s2, exec_lo, s29
	s_delay_alu instid0(SALU_CYCLE_1) | instskip(NEXT) | instid1(SALU_CYCLE_1)
	s_or_b32 s3, s2, s3
	s_and_not1_b32 exec_lo, exec_lo, s3
	s_cbranch_execz .LBB585_40
.LBB585_38:                             ; =>This Inner Loop Header: Depth=1
	s_or_b32 s29, s29, exec_lo
	s_cmp_eq_u64 s[6:7], s[18:19]
	s_cbranch_scc0 .LBB585_36
; %bb.39:                               ;   in Loop: Header=BB585_38 Depth=1
	s_mov_b64 s[18:19], s[22:23]
                                        ; implicit-def: $vgpr17_vgpr18
                                        ; implicit-def: $vgpr21_vgpr22
	s_branch .LBB585_37
.LBB585_40:
	s_set_inst_prefetch_distance 0x2
	s_or_b32 exec_lo, exec_lo, s3
	v_cmp_gt_i64_e32 vcc_lo, s[22:23], v[23:24]
	s_or_not1_b32 s3, vcc_lo, exec_lo
.LBB585_41:
	s_or_b32 exec_lo, exec_lo, s28
.LBB585_42:
	v_mul_lo_u32 v21, v6, s22
	v_mul_lo_u32 v22, v5, s23
	v_mad_u64_u32 v[17:18], null, v5, s22, 0
	s_mov_b32 s28, 0
	s_and_not1_b32 vcc_lo, exec_lo, s26
	s_mov_b32 s29, 0
	s_delay_alu instid0(VALU_DEP_1) | instskip(NEXT) | instid1(VALU_DEP_1)
	v_add3_u32 v18, v18, v22, v21
	v_lshlrev_b64 v[21:22], 3, v[17:18]
	s_cbranch_vccnz .LBB585_51
; %bb.43:
	s_delay_alu instid0(VALU_DEP_1) | instskip(NEXT) | instid1(VALU_DEP_2)
	v_add_co_u32 v23, vcc_lo, s8, v21
	v_add_co_ci_u32_e32 v24, vcc_lo, s9, v22, vcc_lo
	v_add_co_u32 v17, vcc_lo, s8, v19
	v_add_co_ci_u32_e32 v18, vcc_lo, s9, v20, vcc_lo
	s_mov_b32 s29, -1
	s_clause 0x1
	global_load_b64 v[19:20], v[23:24], off
	global_load_b64 v[26:27], v[17:18], off
	s_mov_b32 s30, exec_lo
	s_waitcnt vmcnt(0)
	v_cmpx_eq_u64_e64 v[19:20], v[26:27]
	s_cbranch_execz .LBB585_50
; %bb.44:
	v_add_co_u32 v17, vcc_lo, v17, 8
	v_add_co_ci_u32_e32 v18, vcc_lo, 0, v18, vcc_lo
	v_add_co_u32 v19, vcc_lo, v23, 8
	v_add_co_ci_u32_e32 v20, vcc_lo, 0, v24, vcc_lo
	s_add_u32 s6, s22, -1
	s_addc_u32 s7, s23, -1
	s_mov_b64 s[18:19], 0
	s_mov_b32 s29, 0
                                        ; implicit-def: $sgpr31
	s_set_inst_prefetch_distance 0x1
	s_branch .LBB585_47
	.p2align	6
.LBB585_45:                             ;   in Loop: Header=BB585_47 Depth=1
	global_load_b64 v[23:24], v[19:20], off
	global_load_b64 v[26:27], v[17:18], off
	v_add_co_u32 v17, vcc_lo, v17, 8
	v_add_co_ci_u32_e32 v18, vcc_lo, 0, v18, vcc_lo
	v_add_co_u32 v19, s2, v19, 8
	s_delay_alu instid0(VALU_DEP_1)
	v_add_co_ci_u32_e64 v20, s2, 0, v20, s2
	s_add_u32 s18, s18, 1
	s_addc_u32 s19, s19, 0
	s_and_not1_b32 s2, s31, exec_lo
	s_waitcnt vmcnt(0)
	v_cmp_ne_u64_e32 vcc_lo, v[23:24], v[26:27]
	s_and_b32 s31, vcc_lo, exec_lo
	s_delay_alu instid0(SALU_CYCLE_1)
	s_or_b32 s31, s2, s31
.LBB585_46:                             ;   in Loop: Header=BB585_47 Depth=1
	v_dual_mov_b32 v24, s19 :: v_dual_mov_b32 v23, s18
	s_and_b32 s2, exec_lo, s31
	s_delay_alu instid0(SALU_CYCLE_1) | instskip(NEXT) | instid1(SALU_CYCLE_1)
	s_or_b32 s29, s2, s29
	s_and_not1_b32 exec_lo, exec_lo, s29
	s_cbranch_execz .LBB585_49
.LBB585_47:                             ; =>This Inner Loop Header: Depth=1
	s_or_b32 s31, s31, exec_lo
	s_cmp_eq_u64 s[6:7], s[18:19]
	s_cbranch_scc0 .LBB585_45
; %bb.48:                               ;   in Loop: Header=BB585_47 Depth=1
	s_mov_b64 s[18:19], s[22:23]
                                        ; implicit-def: $vgpr17_vgpr18
                                        ; implicit-def: $vgpr19_vgpr20
	s_branch .LBB585_46
.LBB585_49:
	s_set_inst_prefetch_distance 0x2
	s_or_b32 exec_lo, exec_lo, s29
	v_cmp_gt_i64_e32 vcc_lo, s[22:23], v[23:24]
	s_or_not1_b32 s29, vcc_lo, exec_lo
.LBB585_50:
	s_or_b32 exec_lo, exec_lo, s30
.LBB585_51:
	v_mul_lo_u32 v19, v12, s22
	v_mul_lo_u32 v20, v11, s23
	v_mad_u64_u32 v[17:18], null, v11, s22, 0
	s_and_not1_b32 vcc_lo, exec_lo, s26
	s_delay_alu instid0(VALU_DEP_1) | instskip(NEXT) | instid1(VALU_DEP_1)
	v_add3_u32 v18, v18, v20, v19
	v_lshlrev_b64 v[17:18], 3, v[17:18]
	s_cbranch_vccnz .LBB585_60
; %bb.52:
	s_delay_alu instid0(VALU_DEP_1) | instskip(NEXT) | instid1(VALU_DEP_2)
	v_add_co_u32 v23, vcc_lo, s8, v17
	v_add_co_ci_u32_e32 v24, vcc_lo, s9, v18, vcc_lo
	v_add_co_u32 v19, vcc_lo, s8, v21
	v_add_co_ci_u32_e32 v20, vcc_lo, s9, v22, vcc_lo
	s_mov_b32 s28, -1
	s_clause 0x1
	global_load_b64 v[21:22], v[23:24], off
	global_load_b64 v[26:27], v[19:20], off
	s_mov_b32 s30, exec_lo
	s_waitcnt vmcnt(0)
	v_cmpx_eq_u64_e64 v[21:22], v[26:27]
	s_cbranch_execz .LBB585_59
; %bb.53:
	v_add_co_u32 v19, vcc_lo, v19, 8
	v_add_co_ci_u32_e32 v20, vcc_lo, 0, v20, vcc_lo
	v_add_co_u32 v21, vcc_lo, v23, 8
	v_add_co_ci_u32_e32 v22, vcc_lo, 0, v24, vcc_lo
	s_add_u32 s6, s22, -1
	s_addc_u32 s7, s23, -1
	s_mov_b64 s[18:19], 0
	s_mov_b32 s28, 0
                                        ; implicit-def: $sgpr31
	s_set_inst_prefetch_distance 0x1
	s_branch .LBB585_56
	.p2align	6
.LBB585_54:                             ;   in Loop: Header=BB585_56 Depth=1
	global_load_b64 v[23:24], v[21:22], off
	global_load_b64 v[26:27], v[19:20], off
	v_add_co_u32 v19, vcc_lo, v19, 8
	v_add_co_ci_u32_e32 v20, vcc_lo, 0, v20, vcc_lo
	v_add_co_u32 v21, s2, v21, 8
	s_delay_alu instid0(VALU_DEP_1)
	v_add_co_ci_u32_e64 v22, s2, 0, v22, s2
	s_add_u32 s18, s18, 1
	s_addc_u32 s19, s19, 0
	s_and_not1_b32 s2, s31, exec_lo
	s_waitcnt vmcnt(0)
	v_cmp_ne_u64_e32 vcc_lo, v[23:24], v[26:27]
	s_and_b32 s31, vcc_lo, exec_lo
	s_delay_alu instid0(SALU_CYCLE_1)
	s_or_b32 s31, s2, s31
.LBB585_55:                             ;   in Loop: Header=BB585_56 Depth=1
	v_dual_mov_b32 v24, s19 :: v_dual_mov_b32 v23, s18
	s_and_b32 s2, exec_lo, s31
	s_delay_alu instid0(SALU_CYCLE_1) | instskip(NEXT) | instid1(SALU_CYCLE_1)
	s_or_b32 s28, s2, s28
	s_and_not1_b32 exec_lo, exec_lo, s28
	s_cbranch_execz .LBB585_58
.LBB585_56:                             ; =>This Inner Loop Header: Depth=1
	s_or_b32 s31, s31, exec_lo
	s_cmp_eq_u64 s[6:7], s[18:19]
	s_cbranch_scc0 .LBB585_54
; %bb.57:                               ;   in Loop: Header=BB585_56 Depth=1
	s_mov_b64 s[18:19], s[22:23]
                                        ; implicit-def: $vgpr19_vgpr20
                                        ; implicit-def: $vgpr21_vgpr22
	s_branch .LBB585_55
.LBB585_58:
	s_set_inst_prefetch_distance 0x2
	s_or_b32 exec_lo, exec_lo, s28
	v_cmp_gt_i64_e32 vcc_lo, s[22:23], v[23:24]
	s_or_not1_b32 s28, vcc_lo, exec_lo
.LBB585_59:
	s_or_b32 exec_lo, exec_lo, s30
.LBB585_60:
	v_mul_lo_u32 v21, v10, s22
	v_mul_lo_u32 v22, v9, s23
	v_mad_u64_u32 v[19:20], null, v9, s22, 0
	s_mov_b32 s30, 0
	s_and_not1_b32 vcc_lo, exec_lo, s26
	s_mov_b32 s31, 0
	s_delay_alu instid0(VALU_DEP_1) | instskip(NEXT) | instid1(VALU_DEP_1)
	v_add3_u32 v20, v20, v22, v21
	v_lshlrev_b64 v[21:22], 3, v[19:20]
	s_cbranch_vccnz .LBB585_69
; %bb.61:
	s_delay_alu instid0(VALU_DEP_1) | instskip(NEXT) | instid1(VALU_DEP_2)
	v_add_co_u32 v19, vcc_lo, s8, v21
	v_add_co_ci_u32_e32 v20, vcc_lo, s9, v22, vcc_lo
	v_add_co_u32 v17, vcc_lo, s8, v17
	v_add_co_ci_u32_e32 v18, vcc_lo, s9, v18, vcc_lo
	s_mov_b32 s31, -1
	s_clause 0x1
	global_load_b64 v[23:24], v[19:20], off
	global_load_b64 v[26:27], v[17:18], off
	s_mov_b32 s33, exec_lo
	s_waitcnt vmcnt(0)
	v_cmpx_eq_u64_e64 v[23:24], v[26:27]
	s_cbranch_execz .LBB585_68
; %bb.62:
	v_add_co_u32 v17, vcc_lo, v17, 8
	v_add_co_ci_u32_e32 v18, vcc_lo, 0, v18, vcc_lo
	v_add_co_u32 v19, vcc_lo, v19, 8
	v_add_co_ci_u32_e32 v20, vcc_lo, 0, v20, vcc_lo
	s_add_u32 s6, s22, -1
	s_addc_u32 s7, s23, -1
	s_mov_b64 s[18:19], 0
	s_mov_b32 s31, 0
                                        ; implicit-def: $sgpr34
	s_set_inst_prefetch_distance 0x1
	s_branch .LBB585_65
	.p2align	6
.LBB585_63:                             ;   in Loop: Header=BB585_65 Depth=1
	global_load_b64 v[23:24], v[19:20], off
	global_load_b64 v[26:27], v[17:18], off
	v_add_co_u32 v17, vcc_lo, v17, 8
	v_add_co_ci_u32_e32 v18, vcc_lo, 0, v18, vcc_lo
	v_add_co_u32 v19, s2, v19, 8
	s_delay_alu instid0(VALU_DEP_1)
	v_add_co_ci_u32_e64 v20, s2, 0, v20, s2
	s_add_u32 s18, s18, 1
	s_addc_u32 s19, s19, 0
	s_and_not1_b32 s2, s34, exec_lo
	s_waitcnt vmcnt(0)
	v_cmp_ne_u64_e32 vcc_lo, v[23:24], v[26:27]
	s_and_b32 s34, vcc_lo, exec_lo
	s_delay_alu instid0(SALU_CYCLE_1)
	s_or_b32 s34, s2, s34
.LBB585_64:                             ;   in Loop: Header=BB585_65 Depth=1
	v_dual_mov_b32 v24, s19 :: v_dual_mov_b32 v23, s18
	s_and_b32 s2, exec_lo, s34
	s_delay_alu instid0(SALU_CYCLE_1) | instskip(NEXT) | instid1(SALU_CYCLE_1)
	s_or_b32 s31, s2, s31
	s_and_not1_b32 exec_lo, exec_lo, s31
	s_cbranch_execz .LBB585_67
.LBB585_65:                             ; =>This Inner Loop Header: Depth=1
	s_or_b32 s34, s34, exec_lo
	s_cmp_eq_u64 s[6:7], s[18:19]
	s_cbranch_scc0 .LBB585_63
; %bb.66:                               ;   in Loop: Header=BB585_65 Depth=1
	s_mov_b64 s[18:19], s[22:23]
                                        ; implicit-def: $vgpr17_vgpr18
                                        ; implicit-def: $vgpr19_vgpr20
	s_branch .LBB585_64
.LBB585_67:
	s_set_inst_prefetch_distance 0x2
	s_or_b32 exec_lo, exec_lo, s31
	v_cmp_gt_i64_e32 vcc_lo, s[22:23], v[23:24]
	s_or_not1_b32 s31, vcc_lo, exec_lo
.LBB585_68:
	s_or_b32 exec_lo, exec_lo, s33
.LBB585_69:
	v_mul_lo_u32 v19, v16, s22
	v_mul_lo_u32 v20, v15, s23
	v_mad_u64_u32 v[17:18], null, v15, s22, 0
	s_and_not1_b32 vcc_lo, exec_lo, s26
	s_delay_alu instid0(VALU_DEP_1) | instskip(NEXT) | instid1(VALU_DEP_1)
	v_add3_u32 v18, v18, v20, v19
	v_lshlrev_b64 v[19:20], 3, v[17:18]
	s_cbranch_vccnz .LBB585_78
; %bb.70:
	s_delay_alu instid0(VALU_DEP_1) | instskip(NEXT) | instid1(VALU_DEP_2)
	v_add_co_u32 v23, vcc_lo, s8, v19
	v_add_co_ci_u32_e32 v24, vcc_lo, s9, v20, vcc_lo
	v_add_co_u32 v17, vcc_lo, s8, v21
	v_add_co_ci_u32_e32 v18, vcc_lo, s9, v22, vcc_lo
	s_mov_b32 s30, -1
	s_clause 0x1
	global_load_b64 v[21:22], v[23:24], off
	global_load_b64 v[26:27], v[17:18], off
	s_mov_b32 s33, exec_lo
	s_waitcnt vmcnt(0)
	v_cmpx_eq_u64_e64 v[21:22], v[26:27]
	s_cbranch_execz .LBB585_77
; %bb.71:
	v_add_co_u32 v17, vcc_lo, v17, 8
	v_add_co_ci_u32_e32 v18, vcc_lo, 0, v18, vcc_lo
	v_add_co_u32 v21, vcc_lo, v23, 8
	v_add_co_ci_u32_e32 v22, vcc_lo, 0, v24, vcc_lo
	s_add_u32 s6, s22, -1
	s_addc_u32 s7, s23, -1
	s_mov_b64 s[18:19], 0
	s_mov_b32 s30, 0
                                        ; implicit-def: $sgpr34
	s_set_inst_prefetch_distance 0x1
	s_branch .LBB585_74
	.p2align	6
.LBB585_72:                             ;   in Loop: Header=BB585_74 Depth=1
	global_load_b64 v[23:24], v[21:22], off
	global_load_b64 v[26:27], v[17:18], off
	v_add_co_u32 v17, vcc_lo, v17, 8
	v_add_co_ci_u32_e32 v18, vcc_lo, 0, v18, vcc_lo
	v_add_co_u32 v21, s2, v21, 8
	s_delay_alu instid0(VALU_DEP_1)
	v_add_co_ci_u32_e64 v22, s2, 0, v22, s2
	s_add_u32 s18, s18, 1
	s_addc_u32 s19, s19, 0
	s_and_not1_b32 s2, s34, exec_lo
	s_waitcnt vmcnt(0)
	v_cmp_ne_u64_e32 vcc_lo, v[23:24], v[26:27]
	s_and_b32 s34, vcc_lo, exec_lo
	s_delay_alu instid0(SALU_CYCLE_1)
	s_or_b32 s34, s2, s34
.LBB585_73:                             ;   in Loop: Header=BB585_74 Depth=1
	v_dual_mov_b32 v24, s19 :: v_dual_mov_b32 v23, s18
	s_and_b32 s2, exec_lo, s34
	s_delay_alu instid0(SALU_CYCLE_1) | instskip(NEXT) | instid1(SALU_CYCLE_1)
	s_or_b32 s30, s2, s30
	s_and_not1_b32 exec_lo, exec_lo, s30
	s_cbranch_execz .LBB585_76
.LBB585_74:                             ; =>This Inner Loop Header: Depth=1
	s_or_b32 s34, s34, exec_lo
	s_cmp_eq_u64 s[6:7], s[18:19]
	s_cbranch_scc0 .LBB585_72
; %bb.75:                               ;   in Loop: Header=BB585_74 Depth=1
	s_mov_b64 s[18:19], s[22:23]
                                        ; implicit-def: $vgpr17_vgpr18
                                        ; implicit-def: $vgpr21_vgpr22
	s_branch .LBB585_73
.LBB585_76:
	s_set_inst_prefetch_distance 0x2
	s_or_b32 exec_lo, exec_lo, s30
	v_cmp_gt_i64_e32 vcc_lo, s[22:23], v[23:24]
	s_or_not1_b32 s30, vcc_lo, exec_lo
.LBB585_77:
	s_or_b32 exec_lo, exec_lo, s33
.LBB585_78:
	v_mul_lo_u32 v21, v14, s22
	v_mul_lo_u32 v22, v13, s23
	v_mad_u64_u32 v[17:18], null, v13, s22, 0
	s_and_not1_b32 vcc_lo, exec_lo, s26
	s_mov_b32 s2, 0
	s_delay_alu instid0(VALU_DEP_1) | instskip(NEXT) | instid1(VALU_DEP_1)
	v_add3_u32 v18, v18, v22, v21
	v_lshlrev_b64 v[17:18], 3, v[17:18]
	s_cbranch_vccnz .LBB585_87
; %bb.79:
	s_delay_alu instid0(VALU_DEP_1) | instskip(NEXT) | instid1(VALU_DEP_2)
	v_add_co_u32 v21, vcc_lo, s8, v17
	v_add_co_ci_u32_e32 v22, vcc_lo, s9, v18, vcc_lo
	v_add_co_u32 v19, vcc_lo, s8, v19
	v_add_co_ci_u32_e32 v20, vcc_lo, s9, v20, vcc_lo
	s_mov_b32 s2, -1
	s_clause 0x1
	global_load_b64 v[23:24], v[21:22], off
	global_load_b64 v[26:27], v[19:20], off
	s_mov_b32 s33, exec_lo
	s_waitcnt vmcnt(0)
	v_cmpx_eq_u64_e64 v[23:24], v[26:27]
	s_cbranch_execz .LBB585_86
; %bb.80:
	v_add_co_u32 v19, vcc_lo, v19, 8
	v_add_co_ci_u32_e32 v20, vcc_lo, 0, v20, vcc_lo
	v_add_co_u32 v21, vcc_lo, v21, 8
	v_add_co_ci_u32_e32 v22, vcc_lo, 0, v22, vcc_lo
	s_add_u32 s6, s22, -1
	s_addc_u32 s7, s23, -1
	s_mov_b64 s[18:19], 0
	s_mov_b32 s34, 0
                                        ; implicit-def: $sgpr35
	s_set_inst_prefetch_distance 0x1
	s_branch .LBB585_83
	.p2align	6
.LBB585_81:                             ;   in Loop: Header=BB585_83 Depth=1
	global_load_b64 v[23:24], v[21:22], off
	global_load_b64 v[26:27], v[19:20], off
	v_add_co_u32 v19, vcc_lo, v19, 8
	v_add_co_ci_u32_e32 v20, vcc_lo, 0, v20, vcc_lo
	v_add_co_u32 v21, s2, v21, 8
	s_delay_alu instid0(VALU_DEP_1)
	v_add_co_ci_u32_e64 v22, s2, 0, v22, s2
	s_add_u32 s18, s18, 1
	s_addc_u32 s19, s19, 0
	s_and_not1_b32 s2, s35, exec_lo
	s_waitcnt vmcnt(0)
	v_cmp_ne_u64_e32 vcc_lo, v[23:24], v[26:27]
	s_and_b32 s35, vcc_lo, exec_lo
	s_delay_alu instid0(SALU_CYCLE_1)
	s_or_b32 s35, s2, s35
.LBB585_82:                             ;   in Loop: Header=BB585_83 Depth=1
	v_dual_mov_b32 v24, s19 :: v_dual_mov_b32 v23, s18
	s_and_b32 s2, exec_lo, s35
	s_delay_alu instid0(SALU_CYCLE_1) | instskip(NEXT) | instid1(SALU_CYCLE_1)
	s_or_b32 s34, s2, s34
	s_and_not1_b32 exec_lo, exec_lo, s34
	s_cbranch_execz .LBB585_85
.LBB585_83:                             ; =>This Inner Loop Header: Depth=1
	s_or_b32 s35, s35, exec_lo
	s_cmp_eq_u64 s[6:7], s[18:19]
	s_cbranch_scc0 .LBB585_81
; %bb.84:                               ;   in Loop: Header=BB585_83 Depth=1
	s_mov_b64 s[18:19], s[22:23]
                                        ; implicit-def: $vgpr19_vgpr20
                                        ; implicit-def: $vgpr21_vgpr22
	s_branch .LBB585_82
.LBB585_85:
	s_set_inst_prefetch_distance 0x2
	s_or_b32 exec_lo, exec_lo, s34
	v_cmp_gt_i64_e32 vcc_lo, s[22:23], v[23:24]
	s_or_not1_b32 s2, vcc_lo, exec_lo
.LBB585_86:
	s_or_b32 exec_lo, exec_lo, s33
.LBB585_87:
	s_waitcnt lgkmcnt(0)
	v_dual_mov_b32 v20, s5 :: v_dual_mov_b32 v19, s4
	s_mov_b32 s6, exec_lo
	s_barrier
	buffer_gl0_inv
	v_cmpx_ne_u32_e32 0, v0
	s_cbranch_execz .LBB585_89
; %bb.88:
	v_add_nc_u32_e32 v19, -8, v39
	ds_load_b64 v[19:20], v19
.LBB585_89:
	s_or_b32 exec_lo, exec_lo, s6
	v_cndmask_b32_e64 v22, 0, 1, s31
	v_cndmask_b32_e64 v24, 0, 1, s29
	;; [unrolled: 1-line block ×7, first 2 shown]
	v_lshlrev_b16 v22, 8, v22
	v_lshlrev_b16 v24, 8, v24
	;; [unrolled: 1-line block ×4, first 2 shown]
	s_mov_b32 s3, 0
	v_or_b32_e32 v21, v21, v22
	v_or_b32_e32 v22, v23, v24
	v_or_b32_e32 v28, v28, v26
	v_and_b32_e32 v23, 0xffff, v27
	s_and_not1_b32 vcc_lo, exec_lo, s26
	v_lshlrev_b32_e32 v24, 16, v21
	v_and_b32_e32 v26, 0xffff, v22
	v_lshlrev_b32_e32 v27, 16, v28
	s_mov_b32 s2, 0
	s_cbranch_vccnz .LBB585_98
; %bb.90:
	s_waitcnt lgkmcnt(0)
	v_mul_lo_u32 v22, v20, s22
	v_mul_lo_u32 v28, v19, s23
	v_mad_u64_u32 v[20:21], null, v19, s22, 0
	s_mov_b32 s2, -1
	s_mov_b32 s27, exec_lo
	s_delay_alu instid0(VALU_DEP_1) | instskip(NEXT) | instid1(VALU_DEP_1)
	v_add3_u32 v21, v21, v28, v22
	v_lshlrev_b64 v[19:20], 3, v[20:21]
	s_delay_alu instid0(VALU_DEP_1) | instskip(NEXT) | instid1(VALU_DEP_2)
	v_add_co_u32 v19, vcc_lo, s8, v19
	v_add_co_ci_u32_e32 v20, vcc_lo, s9, v20, vcc_lo
	v_add_co_u32 v17, vcc_lo, s8, v17
	v_add_co_ci_u32_e32 v18, vcc_lo, s9, v18, vcc_lo
	s_clause 0x1
	global_load_b64 v[21:22], v[19:20], off
	global_load_b64 v[28:29], v[17:18], off
	s_waitcnt vmcnt(0)
	v_cmpx_eq_u64_e64 v[21:22], v[28:29]
	s_cbranch_execz .LBB585_97
; %bb.91:
	v_add_co_u32 v17, vcc_lo, v17, 8
	v_add_co_ci_u32_e32 v18, vcc_lo, 0, v18, vcc_lo
	v_add_co_u32 v19, vcc_lo, v19, 8
	v_add_co_ci_u32_e32 v20, vcc_lo, 0, v20, vcc_lo
	s_add_u32 s6, s22, -1
	s_addc_u32 s7, s23, -1
	s_mov_b64 s[18:19], 0
	s_mov_b32 s28, 0
                                        ; implicit-def: $sgpr29
	s_set_inst_prefetch_distance 0x1
	s_branch .LBB585_94
	.p2align	6
.LBB585_92:                             ;   in Loop: Header=BB585_94 Depth=1
	global_load_b64 v[21:22], v[19:20], off
	global_load_b64 v[28:29], v[17:18], off
	v_add_co_u32 v17, vcc_lo, v17, 8
	v_add_co_ci_u32_e32 v18, vcc_lo, 0, v18, vcc_lo
	v_add_co_u32 v19, s2, v19, 8
	s_delay_alu instid0(VALU_DEP_1)
	v_add_co_ci_u32_e64 v20, s2, 0, v20, s2
	s_add_u32 s18, s18, 1
	s_addc_u32 s19, s19, 0
	s_and_not1_b32 s2, s29, exec_lo
	s_waitcnt vmcnt(0)
	v_cmp_ne_u64_e32 vcc_lo, v[21:22], v[28:29]
	s_and_b32 s29, vcc_lo, exec_lo
	s_delay_alu instid0(SALU_CYCLE_1)
	s_or_b32 s29, s2, s29
.LBB585_93:                             ;   in Loop: Header=BB585_94 Depth=1
	v_dual_mov_b32 v22, s19 :: v_dual_mov_b32 v21, s18
	s_and_b32 s2, exec_lo, s29
	s_delay_alu instid0(SALU_CYCLE_1) | instskip(NEXT) | instid1(SALU_CYCLE_1)
	s_or_b32 s28, s2, s28
	s_and_not1_b32 exec_lo, exec_lo, s28
	s_cbranch_execz .LBB585_96
.LBB585_94:                             ; =>This Inner Loop Header: Depth=1
	s_or_b32 s29, s29, exec_lo
	s_cmp_eq_u64 s[6:7], s[18:19]
	s_cbranch_scc0 .LBB585_92
; %bb.95:                               ;   in Loop: Header=BB585_94 Depth=1
	s_mov_b64 s[18:19], s[22:23]
                                        ; implicit-def: $vgpr17_vgpr18
                                        ; implicit-def: $vgpr19_vgpr20
	s_branch .LBB585_93
.LBB585_96:
	s_set_inst_prefetch_distance 0x2
	s_or_b32 exec_lo, exec_lo, s28
	v_cmp_gt_i64_e32 vcc_lo, s[22:23], v[21:22]
	s_or_not1_b32 s2, vcc_lo, exec_lo
.LBB585_97:
	s_or_b32 exec_lo, exec_lo, s27
.LBB585_98:
	v_or_b32_e32 v17, v23, v24
	s_delay_alu instid0(VALU_DEP_2)
	v_or_b32_e32 v18, v26, v27
	s_and_b32 vcc_lo, exec_lo, s3
	s_cbranch_vccz .LBB585_190
.LBB585_99:
	v_or_b32_e32 v17, 7, v39
	s_mov_b32 s3, 0
	s_mov_b32 s27, 0
	s_mov_b32 s28, exec_lo
	s_delay_alu instid0(VALU_DEP_1)
	v_cmpx_gt_u32_e64 s20, v17
	s_cbranch_execz .LBB585_110
; %bb.100:
	s_and_not1_b32 vcc_lo, exec_lo, s26
	s_mov_b32 s2, 0
	s_cbranch_vccnz .LBB585_109
; %bb.101:
	v_mul_lo_u32 v21, v2, s22
	v_mul_lo_u32 v22, v1, s23
	v_mad_u64_u32 v[17:18], null, v1, s22, 0
	v_mul_lo_u32 v23, v4, s22
	v_mul_lo_u32 v24, v3, s23
	s_waitcnt lgkmcnt(0)
	v_mad_u64_u32 v[19:20], null, v3, s22, 0
	s_mov_b32 s2, -1
	s_mov_b32 s26, exec_lo
	s_delay_alu instid0(VALU_DEP_4) | instskip(NEXT) | instid1(VALU_DEP_2)
	v_add3_u32 v18, v18, v22, v21
	v_add3_u32 v20, v20, v24, v23
	s_delay_alu instid0(VALU_DEP_2) | instskip(NEXT) | instid1(VALU_DEP_2)
	v_lshlrev_b64 v[17:18], 3, v[17:18]
	v_lshlrev_b64 v[21:22], 3, v[19:20]
	s_delay_alu instid0(VALU_DEP_2) | instskip(NEXT) | instid1(VALU_DEP_3)
	v_add_co_u32 v19, vcc_lo, s8, v17
	v_add_co_ci_u32_e32 v20, vcc_lo, s9, v18, vcc_lo
	s_delay_alu instid0(VALU_DEP_3) | instskip(NEXT) | instid1(VALU_DEP_4)
	v_add_co_u32 v17, vcc_lo, s8, v21
	v_add_co_ci_u32_e32 v18, vcc_lo, s9, v22, vcc_lo
	s_clause 0x1
	global_load_b64 v[21:22], v[19:20], off
	global_load_b64 v[23:24], v[17:18], off
	s_waitcnt vmcnt(0)
	v_cmpx_eq_u64_e64 v[21:22], v[23:24]
	s_cbranch_execz .LBB585_108
; %bb.102:
	v_add_co_u32 v17, vcc_lo, v17, 8
	v_add_co_ci_u32_e32 v18, vcc_lo, 0, v18, vcc_lo
	v_add_co_u32 v19, vcc_lo, v19, 8
	v_add_co_ci_u32_e32 v20, vcc_lo, 0, v20, vcc_lo
	s_add_u32 s6, s22, -1
	s_addc_u32 s7, s23, -1
	s_mov_b64 s[18:19], 0
                                        ; implicit-def: $sgpr29
	s_set_inst_prefetch_distance 0x1
	s_branch .LBB585_105
	.p2align	6
.LBB585_103:                            ;   in Loop: Header=BB585_105 Depth=1
	global_load_b64 v[21:22], v[19:20], off
	global_load_b64 v[23:24], v[17:18], off
	v_add_co_u32 v17, vcc_lo, v17, 8
	v_add_co_ci_u32_e32 v18, vcc_lo, 0, v18, vcc_lo
	v_add_co_u32 v19, s2, v19, 8
	s_delay_alu instid0(VALU_DEP_1)
	v_add_co_ci_u32_e64 v20, s2, 0, v20, s2
	s_add_u32 s18, s18, 1
	s_addc_u32 s19, s19, 0
	s_and_not1_b32 s2, s29, exec_lo
	s_waitcnt vmcnt(0)
	v_cmp_ne_u64_e32 vcc_lo, v[21:22], v[23:24]
	s_and_b32 s29, vcc_lo, exec_lo
	s_delay_alu instid0(SALU_CYCLE_1)
	s_or_b32 s29, s2, s29
.LBB585_104:                            ;   in Loop: Header=BB585_105 Depth=1
	v_dual_mov_b32 v22, s19 :: v_dual_mov_b32 v21, s18
	s_and_b32 s2, exec_lo, s29
	s_delay_alu instid0(SALU_CYCLE_1) | instskip(NEXT) | instid1(SALU_CYCLE_1)
	s_or_b32 s27, s2, s27
	s_and_not1_b32 exec_lo, exec_lo, s27
	s_cbranch_execz .LBB585_107
.LBB585_105:                            ; =>This Inner Loop Header: Depth=1
	s_or_b32 s29, s29, exec_lo
	s_cmp_eq_u64 s[6:7], s[18:19]
	s_cbranch_scc0 .LBB585_103
; %bb.106:                              ;   in Loop: Header=BB585_105 Depth=1
	s_mov_b64 s[18:19], s[22:23]
                                        ; implicit-def: $vgpr17_vgpr18
                                        ; implicit-def: $vgpr19_vgpr20
	s_branch .LBB585_104
.LBB585_107:
	s_set_inst_prefetch_distance 0x2
	s_or_b32 exec_lo, exec_lo, s27
	v_cmp_gt_i64_e32 vcc_lo, s[22:23], v[21:22]
	s_or_not1_b32 s2, vcc_lo, exec_lo
.LBB585_108:
	s_or_b32 exec_lo, exec_lo, s26
.LBB585_109:
	s_delay_alu instid0(SALU_CYCLE_1)
	s_and_b32 s27, s2, exec_lo
.LBB585_110:
	s_or_b32 exec_lo, exec_lo, s28
	v_or_b32_e32 v17, 6, v39
	s_mov_b32 s26, exec_lo
	s_delay_alu instid0(VALU_DEP_1)
	v_cmpx_gt_u32_e64 s20, v17
	s_cbranch_execz .LBB585_121
; %bb.111:
	v_cmp_ne_u32_e32 vcc_lo, 1, v25
	s_mov_b32 s2, 0
	s_cbranch_vccnz .LBB585_120
; %bb.112:
	v_mul_lo_u32 v21, v8, s22
	v_mul_lo_u32 v22, v7, s23
	v_mad_u64_u32 v[17:18], null, v7, s22, 0
	v_mul_lo_u32 v23, v2, s22
	v_mul_lo_u32 v24, v1, s23
	s_waitcnt lgkmcnt(0)
	v_mad_u64_u32 v[19:20], null, v1, s22, 0
	s_mov_b32 s2, -1
	s_mov_b32 s3, exec_lo
	s_delay_alu instid0(VALU_DEP_4) | instskip(NEXT) | instid1(VALU_DEP_2)
	v_add3_u32 v18, v18, v22, v21
	v_add3_u32 v20, v20, v24, v23
	s_delay_alu instid0(VALU_DEP_2) | instskip(NEXT) | instid1(VALU_DEP_2)
	v_lshlrev_b64 v[17:18], 3, v[17:18]
	v_lshlrev_b64 v[21:22], 3, v[19:20]
	s_delay_alu instid0(VALU_DEP_2) | instskip(NEXT) | instid1(VALU_DEP_3)
	v_add_co_u32 v19, vcc_lo, s8, v17
	v_add_co_ci_u32_e32 v20, vcc_lo, s9, v18, vcc_lo
	s_delay_alu instid0(VALU_DEP_3) | instskip(NEXT) | instid1(VALU_DEP_4)
	v_add_co_u32 v17, vcc_lo, s8, v21
	v_add_co_ci_u32_e32 v18, vcc_lo, s9, v22, vcc_lo
	s_clause 0x1
	global_load_b64 v[21:22], v[19:20], off
	global_load_b64 v[23:24], v[17:18], off
	s_waitcnt vmcnt(0)
	v_cmpx_eq_u64_e64 v[21:22], v[23:24]
	s_cbranch_execz .LBB585_119
; %bb.113:
	v_add_co_u32 v17, vcc_lo, v17, 8
	v_add_co_ci_u32_e32 v18, vcc_lo, 0, v18, vcc_lo
	v_add_co_u32 v19, vcc_lo, v19, 8
	v_add_co_ci_u32_e32 v20, vcc_lo, 0, v20, vcc_lo
	s_add_u32 s6, s22, -1
	s_addc_u32 s7, s23, -1
	s_mov_b64 s[18:19], 0
	s_mov_b32 s28, 0
                                        ; implicit-def: $sgpr29
	s_set_inst_prefetch_distance 0x1
	s_branch .LBB585_116
	.p2align	6
.LBB585_114:                            ;   in Loop: Header=BB585_116 Depth=1
	global_load_b64 v[21:22], v[19:20], off
	global_load_b64 v[23:24], v[17:18], off
	v_add_co_u32 v17, vcc_lo, v17, 8
	v_add_co_ci_u32_e32 v18, vcc_lo, 0, v18, vcc_lo
	v_add_co_u32 v19, s2, v19, 8
	s_delay_alu instid0(VALU_DEP_1)
	v_add_co_ci_u32_e64 v20, s2, 0, v20, s2
	s_add_u32 s18, s18, 1
	s_addc_u32 s19, s19, 0
	s_and_not1_b32 s2, s29, exec_lo
	s_waitcnt vmcnt(0)
	v_cmp_ne_u64_e32 vcc_lo, v[21:22], v[23:24]
	s_and_b32 s29, vcc_lo, exec_lo
	s_delay_alu instid0(SALU_CYCLE_1)
	s_or_b32 s29, s2, s29
.LBB585_115:                            ;   in Loop: Header=BB585_116 Depth=1
	v_dual_mov_b32 v22, s19 :: v_dual_mov_b32 v21, s18
	s_and_b32 s2, exec_lo, s29
	s_delay_alu instid0(SALU_CYCLE_1) | instskip(NEXT) | instid1(SALU_CYCLE_1)
	s_or_b32 s28, s2, s28
	s_and_not1_b32 exec_lo, exec_lo, s28
	s_cbranch_execz .LBB585_118
.LBB585_116:                            ; =>This Inner Loop Header: Depth=1
	s_or_b32 s29, s29, exec_lo
	s_cmp_eq_u64 s[6:7], s[18:19]
	s_cbranch_scc0 .LBB585_114
; %bb.117:                              ;   in Loop: Header=BB585_116 Depth=1
	s_mov_b64 s[18:19], s[22:23]
                                        ; implicit-def: $vgpr17_vgpr18
                                        ; implicit-def: $vgpr19_vgpr20
	s_branch .LBB585_115
.LBB585_118:
	s_set_inst_prefetch_distance 0x2
	s_or_b32 exec_lo, exec_lo, s28
	v_cmp_gt_i64_e32 vcc_lo, s[22:23], v[21:22]
	s_or_not1_b32 s2, vcc_lo, exec_lo
.LBB585_119:
	s_or_b32 exec_lo, exec_lo, s3
.LBB585_120:
	s_delay_alu instid0(SALU_CYCLE_1)
	s_and_b32 s3, s2, exec_lo
.LBB585_121:
	s_or_b32 exec_lo, exec_lo, s26
	v_or_b32_e32 v17, 5, v39
	s_mov_b32 s28, 0
	s_mov_b32 s26, 0
	s_mov_b32 s29, exec_lo
	s_delay_alu instid0(VALU_DEP_1)
	v_cmpx_gt_u32_e64 s20, v17
	s_cbranch_execz .LBB585_132
; %bb.122:
	v_cmp_ne_u32_e32 vcc_lo, 1, v25
	s_mov_b32 s2, 0
	s_cbranch_vccnz .LBB585_131
; %bb.123:
	v_mul_lo_u32 v21, v6, s22
	v_mul_lo_u32 v22, v5, s23
	v_mad_u64_u32 v[17:18], null, v5, s22, 0
	v_mul_lo_u32 v23, v8, s22
	v_mul_lo_u32 v24, v7, s23
	s_waitcnt lgkmcnt(0)
	v_mad_u64_u32 v[19:20], null, v7, s22, 0
	s_mov_b32 s2, -1
	s_mov_b32 s26, exec_lo
	s_delay_alu instid0(VALU_DEP_4) | instskip(NEXT) | instid1(VALU_DEP_2)
	v_add3_u32 v18, v18, v22, v21
	v_add3_u32 v20, v20, v24, v23
	s_delay_alu instid0(VALU_DEP_2) | instskip(NEXT) | instid1(VALU_DEP_2)
	v_lshlrev_b64 v[17:18], 3, v[17:18]
	v_lshlrev_b64 v[21:22], 3, v[19:20]
	s_delay_alu instid0(VALU_DEP_2) | instskip(NEXT) | instid1(VALU_DEP_3)
	v_add_co_u32 v19, vcc_lo, s8, v17
	v_add_co_ci_u32_e32 v20, vcc_lo, s9, v18, vcc_lo
	s_delay_alu instid0(VALU_DEP_3) | instskip(NEXT) | instid1(VALU_DEP_4)
	v_add_co_u32 v17, vcc_lo, s8, v21
	v_add_co_ci_u32_e32 v18, vcc_lo, s9, v22, vcc_lo
	s_clause 0x1
	global_load_b64 v[21:22], v[19:20], off
	global_load_b64 v[23:24], v[17:18], off
	s_waitcnt vmcnt(0)
	v_cmpx_eq_u64_e64 v[21:22], v[23:24]
	s_cbranch_execz .LBB585_130
; %bb.124:
	v_add_co_u32 v17, vcc_lo, v17, 8
	v_add_co_ci_u32_e32 v18, vcc_lo, 0, v18, vcc_lo
	v_add_co_u32 v19, vcc_lo, v19, 8
	v_add_co_ci_u32_e32 v20, vcc_lo, 0, v20, vcc_lo
	s_add_u32 s6, s22, -1
	s_addc_u32 s7, s23, -1
	s_mov_b64 s[18:19], 0
	s_mov_b32 s30, 0
                                        ; implicit-def: $sgpr31
	s_set_inst_prefetch_distance 0x1
	s_branch .LBB585_127
	.p2align	6
.LBB585_125:                            ;   in Loop: Header=BB585_127 Depth=1
	global_load_b64 v[21:22], v[19:20], off
	global_load_b64 v[23:24], v[17:18], off
	v_add_co_u32 v17, vcc_lo, v17, 8
	v_add_co_ci_u32_e32 v18, vcc_lo, 0, v18, vcc_lo
	v_add_co_u32 v19, s2, v19, 8
	s_delay_alu instid0(VALU_DEP_1)
	v_add_co_ci_u32_e64 v20, s2, 0, v20, s2
	s_add_u32 s18, s18, 1
	s_addc_u32 s19, s19, 0
	s_and_not1_b32 s2, s31, exec_lo
	s_waitcnt vmcnt(0)
	v_cmp_ne_u64_e32 vcc_lo, v[21:22], v[23:24]
	s_and_b32 s31, vcc_lo, exec_lo
	s_delay_alu instid0(SALU_CYCLE_1)
	s_or_b32 s31, s2, s31
.LBB585_126:                            ;   in Loop: Header=BB585_127 Depth=1
	v_dual_mov_b32 v22, s19 :: v_dual_mov_b32 v21, s18
	s_and_b32 s2, exec_lo, s31
	s_delay_alu instid0(SALU_CYCLE_1) | instskip(NEXT) | instid1(SALU_CYCLE_1)
	s_or_b32 s30, s2, s30
	s_and_not1_b32 exec_lo, exec_lo, s30
	s_cbranch_execz .LBB585_129
.LBB585_127:                            ; =>This Inner Loop Header: Depth=1
	s_or_b32 s31, s31, exec_lo
	s_cmp_eq_u64 s[6:7], s[18:19]
	s_cbranch_scc0 .LBB585_125
; %bb.128:                              ;   in Loop: Header=BB585_127 Depth=1
	s_mov_b64 s[18:19], s[22:23]
                                        ; implicit-def: $vgpr17_vgpr18
                                        ; implicit-def: $vgpr19_vgpr20
	s_branch .LBB585_126
.LBB585_129:
	s_set_inst_prefetch_distance 0x2
	s_or_b32 exec_lo, exec_lo, s30
	v_cmp_gt_i64_e32 vcc_lo, s[22:23], v[21:22]
	s_or_not1_b32 s2, vcc_lo, exec_lo
.LBB585_130:
	s_or_b32 exec_lo, exec_lo, s26
.LBB585_131:
	s_delay_alu instid0(SALU_CYCLE_1)
	s_and_b32 s26, s2, exec_lo
.LBB585_132:
	s_or_b32 exec_lo, exec_lo, s29
	v_or_b32_e32 v17, 4, v39
	s_mov_b32 s29, exec_lo
	s_delay_alu instid0(VALU_DEP_1)
	v_cmpx_gt_u32_e64 s20, v17
	s_cbranch_execz .LBB585_143
; %bb.133:
	v_cmp_ne_u32_e32 vcc_lo, 1, v25
	s_mov_b32 s2, 0
	s_cbranch_vccnz .LBB585_142
; %bb.134:
	v_mul_lo_u32 v21, v12, s22
	v_mul_lo_u32 v22, v11, s23
	v_mad_u64_u32 v[17:18], null, v11, s22, 0
	v_mul_lo_u32 v23, v6, s22
	v_mul_lo_u32 v24, v5, s23
	s_waitcnt lgkmcnt(0)
	v_mad_u64_u32 v[19:20], null, v5, s22, 0
	s_mov_b32 s2, -1
	s_mov_b32 s28, exec_lo
	s_delay_alu instid0(VALU_DEP_4) | instskip(NEXT) | instid1(VALU_DEP_2)
	v_add3_u32 v18, v18, v22, v21
	v_add3_u32 v20, v20, v24, v23
	s_delay_alu instid0(VALU_DEP_2) | instskip(NEXT) | instid1(VALU_DEP_2)
	v_lshlrev_b64 v[17:18], 3, v[17:18]
	v_lshlrev_b64 v[21:22], 3, v[19:20]
	s_delay_alu instid0(VALU_DEP_2) | instskip(NEXT) | instid1(VALU_DEP_3)
	v_add_co_u32 v19, vcc_lo, s8, v17
	v_add_co_ci_u32_e32 v20, vcc_lo, s9, v18, vcc_lo
	s_delay_alu instid0(VALU_DEP_3) | instskip(NEXT) | instid1(VALU_DEP_4)
	v_add_co_u32 v17, vcc_lo, s8, v21
	v_add_co_ci_u32_e32 v18, vcc_lo, s9, v22, vcc_lo
	s_clause 0x1
	global_load_b64 v[21:22], v[19:20], off
	global_load_b64 v[23:24], v[17:18], off
	s_waitcnt vmcnt(0)
	v_cmpx_eq_u64_e64 v[21:22], v[23:24]
	s_cbranch_execz .LBB585_141
; %bb.135:
	v_add_co_u32 v17, vcc_lo, v17, 8
	v_add_co_ci_u32_e32 v18, vcc_lo, 0, v18, vcc_lo
	v_add_co_u32 v19, vcc_lo, v19, 8
	v_add_co_ci_u32_e32 v20, vcc_lo, 0, v20, vcc_lo
	s_add_u32 s6, s22, -1
	s_addc_u32 s7, s23, -1
	s_mov_b64 s[18:19], 0
	s_mov_b32 s30, 0
                                        ; implicit-def: $sgpr31
	s_set_inst_prefetch_distance 0x1
	s_branch .LBB585_138
	.p2align	6
.LBB585_136:                            ;   in Loop: Header=BB585_138 Depth=1
	global_load_b64 v[21:22], v[19:20], off
	global_load_b64 v[23:24], v[17:18], off
	v_add_co_u32 v17, vcc_lo, v17, 8
	v_add_co_ci_u32_e32 v18, vcc_lo, 0, v18, vcc_lo
	v_add_co_u32 v19, s2, v19, 8
	s_delay_alu instid0(VALU_DEP_1)
	v_add_co_ci_u32_e64 v20, s2, 0, v20, s2
	s_add_u32 s18, s18, 1
	s_addc_u32 s19, s19, 0
	s_and_not1_b32 s2, s31, exec_lo
	s_waitcnt vmcnt(0)
	v_cmp_ne_u64_e32 vcc_lo, v[21:22], v[23:24]
	s_and_b32 s31, vcc_lo, exec_lo
	s_delay_alu instid0(SALU_CYCLE_1)
	s_or_b32 s31, s2, s31
.LBB585_137:                            ;   in Loop: Header=BB585_138 Depth=1
	v_dual_mov_b32 v22, s19 :: v_dual_mov_b32 v21, s18
	s_and_b32 s2, exec_lo, s31
	s_delay_alu instid0(SALU_CYCLE_1) | instskip(NEXT) | instid1(SALU_CYCLE_1)
	s_or_b32 s30, s2, s30
	s_and_not1_b32 exec_lo, exec_lo, s30
	s_cbranch_execz .LBB585_140
.LBB585_138:                            ; =>This Inner Loop Header: Depth=1
	s_or_b32 s31, s31, exec_lo
	s_cmp_eq_u64 s[6:7], s[18:19]
	s_cbranch_scc0 .LBB585_136
; %bb.139:                              ;   in Loop: Header=BB585_138 Depth=1
	s_mov_b64 s[18:19], s[22:23]
                                        ; implicit-def: $vgpr17_vgpr18
                                        ; implicit-def: $vgpr19_vgpr20
	s_branch .LBB585_137
.LBB585_140:
	s_set_inst_prefetch_distance 0x2
	s_or_b32 exec_lo, exec_lo, s30
	v_cmp_gt_i64_e32 vcc_lo, s[22:23], v[21:22]
	s_or_not1_b32 s2, vcc_lo, exec_lo
.LBB585_141:
	s_or_b32 exec_lo, exec_lo, s28
.LBB585_142:
	s_delay_alu instid0(SALU_CYCLE_1)
	s_and_b32 s28, s2, exec_lo
.LBB585_143:
	s_or_b32 exec_lo, exec_lo, s29
	v_or_b32_e32 v17, 3, v39
	s_mov_b32 s30, 0
	s_mov_b32 s29, 0
	s_mov_b32 s31, exec_lo
	s_delay_alu instid0(VALU_DEP_1)
	v_cmpx_gt_u32_e64 s20, v17
	s_cbranch_execz .LBB585_154
; %bb.144:
	v_cmp_ne_u32_e32 vcc_lo, 1, v25
	s_mov_b32 s2, 0
	s_cbranch_vccnz .LBB585_153
; %bb.145:
	v_mul_lo_u32 v21, v10, s22
	v_mul_lo_u32 v22, v9, s23
	v_mad_u64_u32 v[17:18], null, v9, s22, 0
	v_mul_lo_u32 v23, v12, s22
	v_mul_lo_u32 v24, v11, s23
	s_waitcnt lgkmcnt(0)
	v_mad_u64_u32 v[19:20], null, v11, s22, 0
	s_mov_b32 s2, -1
	s_mov_b32 s29, exec_lo
	s_delay_alu instid0(VALU_DEP_4) | instskip(NEXT) | instid1(VALU_DEP_2)
	v_add3_u32 v18, v18, v22, v21
	v_add3_u32 v20, v20, v24, v23
	s_delay_alu instid0(VALU_DEP_2) | instskip(NEXT) | instid1(VALU_DEP_2)
	v_lshlrev_b64 v[17:18], 3, v[17:18]
	v_lshlrev_b64 v[21:22], 3, v[19:20]
	s_delay_alu instid0(VALU_DEP_2) | instskip(NEXT) | instid1(VALU_DEP_3)
	v_add_co_u32 v19, vcc_lo, s8, v17
	v_add_co_ci_u32_e32 v20, vcc_lo, s9, v18, vcc_lo
	s_delay_alu instid0(VALU_DEP_3) | instskip(NEXT) | instid1(VALU_DEP_4)
	v_add_co_u32 v17, vcc_lo, s8, v21
	v_add_co_ci_u32_e32 v18, vcc_lo, s9, v22, vcc_lo
	s_clause 0x1
	global_load_b64 v[21:22], v[19:20], off
	global_load_b64 v[23:24], v[17:18], off
	s_waitcnt vmcnt(0)
	v_cmpx_eq_u64_e64 v[21:22], v[23:24]
	s_cbranch_execz .LBB585_152
; %bb.146:
	v_add_co_u32 v17, vcc_lo, v17, 8
	v_add_co_ci_u32_e32 v18, vcc_lo, 0, v18, vcc_lo
	v_add_co_u32 v19, vcc_lo, v19, 8
	v_add_co_ci_u32_e32 v20, vcc_lo, 0, v20, vcc_lo
	s_add_u32 s6, s22, -1
	s_addc_u32 s7, s23, -1
	s_mov_b64 s[18:19], 0
	s_mov_b32 s33, 0
                                        ; implicit-def: $sgpr34
	s_set_inst_prefetch_distance 0x1
	s_branch .LBB585_149
	.p2align	6
.LBB585_147:                            ;   in Loop: Header=BB585_149 Depth=1
	global_load_b64 v[21:22], v[19:20], off
	global_load_b64 v[23:24], v[17:18], off
	v_add_co_u32 v17, vcc_lo, v17, 8
	v_add_co_ci_u32_e32 v18, vcc_lo, 0, v18, vcc_lo
	v_add_co_u32 v19, s2, v19, 8
	s_delay_alu instid0(VALU_DEP_1)
	v_add_co_ci_u32_e64 v20, s2, 0, v20, s2
	s_add_u32 s18, s18, 1
	s_addc_u32 s19, s19, 0
	s_and_not1_b32 s2, s34, exec_lo
	s_waitcnt vmcnt(0)
	v_cmp_ne_u64_e32 vcc_lo, v[21:22], v[23:24]
	s_and_b32 s34, vcc_lo, exec_lo
	s_delay_alu instid0(SALU_CYCLE_1)
	s_or_b32 s34, s2, s34
.LBB585_148:                            ;   in Loop: Header=BB585_149 Depth=1
	v_dual_mov_b32 v22, s19 :: v_dual_mov_b32 v21, s18
	s_and_b32 s2, exec_lo, s34
	s_delay_alu instid0(SALU_CYCLE_1) | instskip(NEXT) | instid1(SALU_CYCLE_1)
	s_or_b32 s33, s2, s33
	s_and_not1_b32 exec_lo, exec_lo, s33
	s_cbranch_execz .LBB585_151
.LBB585_149:                            ; =>This Inner Loop Header: Depth=1
	s_or_b32 s34, s34, exec_lo
	s_cmp_eq_u64 s[6:7], s[18:19]
	s_cbranch_scc0 .LBB585_147
; %bb.150:                              ;   in Loop: Header=BB585_149 Depth=1
	s_mov_b64 s[18:19], s[22:23]
                                        ; implicit-def: $vgpr17_vgpr18
                                        ; implicit-def: $vgpr19_vgpr20
	s_branch .LBB585_148
.LBB585_151:
	s_set_inst_prefetch_distance 0x2
	s_or_b32 exec_lo, exec_lo, s33
	v_cmp_gt_i64_e32 vcc_lo, s[22:23], v[21:22]
	s_or_not1_b32 s2, vcc_lo, exec_lo
.LBB585_152:
	s_or_b32 exec_lo, exec_lo, s29
.LBB585_153:
	s_delay_alu instid0(SALU_CYCLE_1)
	s_and_b32 s29, s2, exec_lo
.LBB585_154:
	s_or_b32 exec_lo, exec_lo, s31
	v_or_b32_e32 v17, 2, v39
	s_mov_b32 s31, exec_lo
	s_delay_alu instid0(VALU_DEP_1)
	v_cmpx_gt_u32_e64 s20, v17
	s_cbranch_execz .LBB585_165
; %bb.155:
	v_cmp_ne_u32_e32 vcc_lo, 1, v25
	s_mov_b32 s2, 0
	s_cbranch_vccnz .LBB585_164
; %bb.156:
	v_mul_lo_u32 v21, v16, s22
	v_mul_lo_u32 v22, v15, s23
	v_mad_u64_u32 v[17:18], null, v15, s22, 0
	v_mul_lo_u32 v23, v10, s22
	v_mul_lo_u32 v24, v9, s23
	s_waitcnt lgkmcnt(0)
	v_mad_u64_u32 v[19:20], null, v9, s22, 0
	s_mov_b32 s2, -1
	s_mov_b32 s30, exec_lo
	s_delay_alu instid0(VALU_DEP_4) | instskip(NEXT) | instid1(VALU_DEP_2)
	v_add3_u32 v18, v18, v22, v21
	v_add3_u32 v20, v20, v24, v23
	s_delay_alu instid0(VALU_DEP_2) | instskip(NEXT) | instid1(VALU_DEP_2)
	v_lshlrev_b64 v[17:18], 3, v[17:18]
	v_lshlrev_b64 v[21:22], 3, v[19:20]
	s_delay_alu instid0(VALU_DEP_2) | instskip(NEXT) | instid1(VALU_DEP_3)
	v_add_co_u32 v19, vcc_lo, s8, v17
	v_add_co_ci_u32_e32 v20, vcc_lo, s9, v18, vcc_lo
	s_delay_alu instid0(VALU_DEP_3) | instskip(NEXT) | instid1(VALU_DEP_4)
	v_add_co_u32 v17, vcc_lo, s8, v21
	v_add_co_ci_u32_e32 v18, vcc_lo, s9, v22, vcc_lo
	s_clause 0x1
	global_load_b64 v[21:22], v[19:20], off
	global_load_b64 v[23:24], v[17:18], off
	s_waitcnt vmcnt(0)
	v_cmpx_eq_u64_e64 v[21:22], v[23:24]
	s_cbranch_execz .LBB585_163
; %bb.157:
	v_add_co_u32 v17, vcc_lo, v17, 8
	v_add_co_ci_u32_e32 v18, vcc_lo, 0, v18, vcc_lo
	v_add_co_u32 v19, vcc_lo, v19, 8
	v_add_co_ci_u32_e32 v20, vcc_lo, 0, v20, vcc_lo
	s_add_u32 s6, s22, -1
	s_addc_u32 s7, s23, -1
	s_mov_b64 s[18:19], 0
	s_mov_b32 s33, 0
                                        ; implicit-def: $sgpr34
	s_set_inst_prefetch_distance 0x1
	s_branch .LBB585_160
	.p2align	6
.LBB585_158:                            ;   in Loop: Header=BB585_160 Depth=1
	global_load_b64 v[21:22], v[19:20], off
	global_load_b64 v[23:24], v[17:18], off
	v_add_co_u32 v17, vcc_lo, v17, 8
	v_add_co_ci_u32_e32 v18, vcc_lo, 0, v18, vcc_lo
	v_add_co_u32 v19, s2, v19, 8
	s_delay_alu instid0(VALU_DEP_1)
	v_add_co_ci_u32_e64 v20, s2, 0, v20, s2
	s_add_u32 s18, s18, 1
	s_addc_u32 s19, s19, 0
	s_and_not1_b32 s2, s34, exec_lo
	s_waitcnt vmcnt(0)
	v_cmp_ne_u64_e32 vcc_lo, v[21:22], v[23:24]
	s_and_b32 s34, vcc_lo, exec_lo
	s_delay_alu instid0(SALU_CYCLE_1)
	s_or_b32 s34, s2, s34
.LBB585_159:                            ;   in Loop: Header=BB585_160 Depth=1
	v_dual_mov_b32 v22, s19 :: v_dual_mov_b32 v21, s18
	s_and_b32 s2, exec_lo, s34
	s_delay_alu instid0(SALU_CYCLE_1) | instskip(NEXT) | instid1(SALU_CYCLE_1)
	s_or_b32 s33, s2, s33
	s_and_not1_b32 exec_lo, exec_lo, s33
	s_cbranch_execz .LBB585_162
.LBB585_160:                            ; =>This Inner Loop Header: Depth=1
	s_or_b32 s34, s34, exec_lo
	s_cmp_eq_u64 s[6:7], s[18:19]
	s_cbranch_scc0 .LBB585_158
; %bb.161:                              ;   in Loop: Header=BB585_160 Depth=1
	s_mov_b64 s[18:19], s[22:23]
                                        ; implicit-def: $vgpr17_vgpr18
                                        ; implicit-def: $vgpr19_vgpr20
	s_branch .LBB585_159
.LBB585_162:
	s_set_inst_prefetch_distance 0x2
	s_or_b32 exec_lo, exec_lo, s33
	v_cmp_gt_i64_e32 vcc_lo, s[22:23], v[21:22]
	s_or_not1_b32 s2, vcc_lo, exec_lo
.LBB585_163:
	s_or_b32 exec_lo, exec_lo, s30
.LBB585_164:
	s_delay_alu instid0(SALU_CYCLE_1)
	s_and_b32 s30, s2, exec_lo
.LBB585_165:
	s_or_b32 exec_lo, exec_lo, s31
	v_or_b32_e32 v17, 1, v39
	s_mov_b32 s2, 0
	s_mov_b32 s31, exec_lo
	s_delay_alu instid0(VALU_DEP_1)
	v_cmpx_gt_u32_e64 s20, v17
	s_cbranch_execz .LBB585_176
; %bb.166:
	v_cmp_ne_u32_e32 vcc_lo, 1, v25
	s_cbranch_vccnz .LBB585_175
; %bb.167:
	v_mul_lo_u32 v21, v14, s22
	v_mul_lo_u32 v22, v13, s23
	v_mad_u64_u32 v[17:18], null, v13, s22, 0
	v_mul_lo_u32 v23, v16, s22
	v_mul_lo_u32 v24, v15, s23
	s_waitcnt lgkmcnt(0)
	v_mad_u64_u32 v[19:20], null, v15, s22, 0
	s_mov_b32 s2, -1
	s_mov_b32 s33, exec_lo
	s_delay_alu instid0(VALU_DEP_4) | instskip(NEXT) | instid1(VALU_DEP_2)
	v_add3_u32 v18, v18, v22, v21
	v_add3_u32 v20, v20, v24, v23
	s_delay_alu instid0(VALU_DEP_2) | instskip(NEXT) | instid1(VALU_DEP_2)
	v_lshlrev_b64 v[17:18], 3, v[17:18]
	v_lshlrev_b64 v[21:22], 3, v[19:20]
	s_delay_alu instid0(VALU_DEP_2) | instskip(NEXT) | instid1(VALU_DEP_3)
	v_add_co_u32 v19, vcc_lo, s8, v17
	v_add_co_ci_u32_e32 v20, vcc_lo, s9, v18, vcc_lo
	s_delay_alu instid0(VALU_DEP_3) | instskip(NEXT) | instid1(VALU_DEP_4)
	v_add_co_u32 v17, vcc_lo, s8, v21
	v_add_co_ci_u32_e32 v18, vcc_lo, s9, v22, vcc_lo
	s_clause 0x1
	global_load_b64 v[21:22], v[19:20], off
	global_load_b64 v[23:24], v[17:18], off
	s_waitcnt vmcnt(0)
	v_cmpx_eq_u64_e64 v[21:22], v[23:24]
	s_cbranch_execz .LBB585_174
; %bb.168:
	v_add_co_u32 v17, vcc_lo, v17, 8
	v_add_co_ci_u32_e32 v18, vcc_lo, 0, v18, vcc_lo
	v_add_co_u32 v19, vcc_lo, v19, 8
	v_add_co_ci_u32_e32 v20, vcc_lo, 0, v20, vcc_lo
	s_add_u32 s6, s22, -1
	s_addc_u32 s7, s23, -1
	s_mov_b64 s[18:19], 0
	s_mov_b32 s34, 0
                                        ; implicit-def: $sgpr35
	s_set_inst_prefetch_distance 0x1
	s_branch .LBB585_171
	.p2align	6
.LBB585_169:                            ;   in Loop: Header=BB585_171 Depth=1
	global_load_b64 v[21:22], v[19:20], off
	global_load_b64 v[23:24], v[17:18], off
	v_add_co_u32 v17, vcc_lo, v17, 8
	v_add_co_ci_u32_e32 v18, vcc_lo, 0, v18, vcc_lo
	v_add_co_u32 v19, s2, v19, 8
	s_delay_alu instid0(VALU_DEP_1)
	v_add_co_ci_u32_e64 v20, s2, 0, v20, s2
	s_add_u32 s18, s18, 1
	s_addc_u32 s19, s19, 0
	s_and_not1_b32 s2, s35, exec_lo
	s_waitcnt vmcnt(0)
	v_cmp_ne_u64_e32 vcc_lo, v[21:22], v[23:24]
	s_and_b32 s35, vcc_lo, exec_lo
	s_delay_alu instid0(SALU_CYCLE_1)
	s_or_b32 s35, s2, s35
.LBB585_170:                            ;   in Loop: Header=BB585_171 Depth=1
	v_dual_mov_b32 v22, s19 :: v_dual_mov_b32 v21, s18
	s_and_b32 s2, exec_lo, s35
	s_delay_alu instid0(SALU_CYCLE_1) | instskip(NEXT) | instid1(SALU_CYCLE_1)
	s_or_b32 s34, s2, s34
	s_and_not1_b32 exec_lo, exec_lo, s34
	s_cbranch_execz .LBB585_173
.LBB585_171:                            ; =>This Inner Loop Header: Depth=1
	s_or_b32 s35, s35, exec_lo
	s_cmp_eq_u64 s[6:7], s[18:19]
	s_cbranch_scc0 .LBB585_169
; %bb.172:                              ;   in Loop: Header=BB585_171 Depth=1
	s_mov_b64 s[18:19], s[22:23]
                                        ; implicit-def: $vgpr17_vgpr18
                                        ; implicit-def: $vgpr19_vgpr20
	s_branch .LBB585_170
.LBB585_173:
	s_set_inst_prefetch_distance 0x2
	s_or_b32 exec_lo, exec_lo, s34
	v_cmp_gt_i64_e32 vcc_lo, s[22:23], v[21:22]
	s_or_not1_b32 s2, vcc_lo, exec_lo
.LBB585_174:
	s_or_b32 exec_lo, exec_lo, s33
.LBB585_175:
	s_delay_alu instid0(SALU_CYCLE_1)
	s_and_b32 s2, s2, exec_lo
.LBB585_176:
	s_or_b32 exec_lo, exec_lo, s31
	s_waitcnt lgkmcnt(0)
	v_dual_mov_b32 v18, s5 :: v_dual_mov_b32 v17, s4
	s_mov_b32 s4, exec_lo
	s_barrier
	buffer_gl0_inv
	v_cmpx_ne_u32_e32 0, v0
	s_cbranch_execz .LBB585_178
; %bb.177:
	v_add_nc_u32_e32 v17, -8, v39
	ds_load_b64 v[17:18], v17
.LBB585_178:
	s_or_b32 exec_lo, exec_lo, s4
	v_cndmask_b32_e64 v20, 0, 1, s29
	v_cndmask_b32_e64 v22, 0, 1, s26
	;; [unrolled: 1-line block ×7, first 2 shown]
	v_lshlrev_b16 v20, 8, v20
	v_lshlrev_b16 v22, 8, v22
	;; [unrolled: 1-line block ×3, first 2 shown]
	s_mov_b32 s2, 0
	v_lshlrev_b16 v26, 8, v26
	v_or_b32_e32 v19, v19, v20
	v_or_b32_e32 v20, v21, v22
	;; [unrolled: 1-line block ×3, first 2 shown]
	s_mov_b32 s3, exec_lo
	v_and_b32_e32 v23, 0xffff, v26
	v_lshlrev_b32_e32 v24, 16, v19
	v_and_b32_e32 v26, 0xffff, v20
	v_lshlrev_b32_e32 v27, 16, v21
	v_cmpx_gt_u32_e64 s20, v39
	s_cbranch_execz .LBB585_189
; %bb.179:
	v_cmp_ne_u32_e32 vcc_lo, 1, v25
	s_cbranch_vccnz .LBB585_188
; %bb.180:
	s_waitcnt lgkmcnt(0)
	v_mul_lo_u32 v22, v18, s22
	v_mul_lo_u32 v25, v17, s23
	v_mad_u64_u32 v[18:19], null, v17, s22, 0
	v_mul_lo_u32 v17, v14, s22
	v_mul_lo_u32 v28, v13, s23
	v_mad_u64_u32 v[20:21], null, v13, s22, 0
	s_mov_b32 s2, -1
	s_mov_b32 s18, exec_lo
	s_delay_alu instid0(VALU_DEP_4) | instskip(NEXT) | instid1(VALU_DEP_2)
	v_add3_u32 v19, v19, v25, v22
	v_add3_u32 v21, v21, v28, v17
	s_delay_alu instid0(VALU_DEP_2) | instskip(NEXT) | instid1(VALU_DEP_2)
	v_lshlrev_b64 v[17:18], 3, v[18:19]
	v_lshlrev_b64 v[21:22], 3, v[20:21]
	s_delay_alu instid0(VALU_DEP_2) | instskip(NEXT) | instid1(VALU_DEP_3)
	v_add_co_u32 v19, vcc_lo, s8, v17
	v_add_co_ci_u32_e32 v20, vcc_lo, s9, v18, vcc_lo
	s_delay_alu instid0(VALU_DEP_3) | instskip(NEXT) | instid1(VALU_DEP_4)
	v_add_co_u32 v17, vcc_lo, s8, v21
	v_add_co_ci_u32_e32 v18, vcc_lo, s9, v22, vcc_lo
	s_clause 0x1
	global_load_b64 v[21:22], v[19:20], off
	global_load_b64 v[28:29], v[17:18], off
	s_waitcnt vmcnt(0)
	v_cmpx_eq_u64_e64 v[21:22], v[28:29]
	s_cbranch_execz .LBB585_187
; %bb.181:
	v_add_co_u32 v17, vcc_lo, v17, 8
	v_add_co_ci_u32_e32 v18, vcc_lo, 0, v18, vcc_lo
	v_add_co_u32 v19, vcc_lo, v19, 8
	v_add_co_ci_u32_e32 v20, vcc_lo, 0, v20, vcc_lo
	s_add_u32 s4, s22, -1
	s_addc_u32 s5, s23, -1
	s_mov_b64 s[6:7], 0
	s_mov_b32 s19, 0
                                        ; implicit-def: $sgpr26
	s_set_inst_prefetch_distance 0x1
	s_branch .LBB585_184
	.p2align	6
.LBB585_182:                            ;   in Loop: Header=BB585_184 Depth=1
	global_load_b64 v[21:22], v[19:20], off
	global_load_b64 v[28:29], v[17:18], off
	v_add_co_u32 v17, vcc_lo, v17, 8
	v_add_co_ci_u32_e32 v18, vcc_lo, 0, v18, vcc_lo
	v_add_co_u32 v19, s2, v19, 8
	s_delay_alu instid0(VALU_DEP_1)
	v_add_co_ci_u32_e64 v20, s2, 0, v20, s2
	s_add_u32 s6, s6, 1
	s_addc_u32 s7, s7, 0
	s_and_not1_b32 s2, s26, exec_lo
	s_waitcnt vmcnt(0)
	v_cmp_ne_u64_e32 vcc_lo, v[21:22], v[28:29]
	s_and_b32 s26, vcc_lo, exec_lo
	s_delay_alu instid0(SALU_CYCLE_1)
	s_or_b32 s26, s2, s26
.LBB585_183:                            ;   in Loop: Header=BB585_184 Depth=1
	v_dual_mov_b32 v22, s7 :: v_dual_mov_b32 v21, s6
	s_and_b32 s2, exec_lo, s26
	s_delay_alu instid0(SALU_CYCLE_1) | instskip(NEXT) | instid1(SALU_CYCLE_1)
	s_or_b32 s19, s2, s19
	s_and_not1_b32 exec_lo, exec_lo, s19
	s_cbranch_execz .LBB585_186
.LBB585_184:                            ; =>This Inner Loop Header: Depth=1
	s_or_b32 s26, s26, exec_lo
	s_cmp_eq_u64 s[4:5], s[6:7]
	s_cbranch_scc0 .LBB585_182
; %bb.185:                              ;   in Loop: Header=BB585_184 Depth=1
	s_mov_b64 s[6:7], s[22:23]
                                        ; implicit-def: $vgpr17_vgpr18
                                        ; implicit-def: $vgpr19_vgpr20
	s_branch .LBB585_183
.LBB585_186:
	s_set_inst_prefetch_distance 0x2
	s_or_b32 exec_lo, exec_lo, s19
	v_cmp_gt_i64_e32 vcc_lo, s[22:23], v[21:22]
	s_or_not1_b32 s2, vcc_lo, exec_lo
.LBB585_187:
	s_or_b32 exec_lo, exec_lo, s18
.LBB585_188:
	s_delay_alu instid0(SALU_CYCLE_1)
	s_and_b32 s2, s2, exec_lo
.LBB585_189:
	s_or_b32 exec_lo, exec_lo, s3
	s_waitcnt lgkmcnt(0)
	v_or_b32_e32 v17, v23, v24
	v_or_b32_e32 v18, v26, v27
.LBB585_190:
	s_mov_b32 s18, -1
	s_cbranch_execnz .LBB585_359
.LBB585_191:
	v_cmp_gt_i64_e64 s3, s[22:23], 0
	s_and_b32 vcc_lo, exec_lo, s21
	ds_store_b64 v39, v[3:4]
	s_cbranch_vccz .LBB585_199
; %bb.192:
	s_waitcnt lgkmcnt(0)
	v_mul_lo_u32 v19, v2, s22
	v_mul_lo_u32 v20, v1, s23
	v_mad_u64_u32 v[17:18], null, v1, s22, 0
	s_mov_b32 s19, 0
	s_and_not1_b32 vcc_lo, exec_lo, s3
	s_mov_b32 s26, 0
	s_delay_alu instid0(VALU_DEP_1) | instskip(NEXT) | instid1(VALU_DEP_1)
	v_add3_u32 v18, v18, v20, v19
	v_lshlrev_b64 v[17:18], 3, v[17:18]
	s_cbranch_vccnz .LBB585_202
; %bb.193:
	v_mul_lo_u32 v21, v4, s22
	v_mul_lo_u32 v22, v3, s23
	v_mad_u64_u32 v[19:20], null, v3, s22, 0
	s_mov_b32 s26, -1
	s_mov_b32 s27, exec_lo
	s_delay_alu instid0(VALU_DEP_1) | instskip(SKIP_2) | instid1(VALU_DEP_3)
	v_add3_u32 v20, v20, v22, v21
	v_add_co_u32 v21, vcc_lo, s8, v17
	v_add_co_ci_u32_e32 v22, vcc_lo, s9, v18, vcc_lo
	v_lshlrev_b64 v[19:20], 3, v[19:20]
	s_delay_alu instid0(VALU_DEP_1) | instskip(NEXT) | instid1(VALU_DEP_2)
	v_add_co_u32 v19, vcc_lo, s8, v19
	v_add_co_ci_u32_e32 v20, vcc_lo, s9, v20, vcc_lo
	s_clause 0x1
	global_load_b64 v[23:24], v[21:22], off
	global_load_b64 v[25:26], v[19:20], off
	s_waitcnt vmcnt(0)
	v_cmpx_eq_u64_e64 v[23:24], v[25:26]
	s_cbranch_execz .LBB585_201
; %bb.194:
	v_add_co_u32 v19, vcc_lo, v19, 8
	v_add_co_ci_u32_e32 v20, vcc_lo, 0, v20, vcc_lo
	v_add_co_u32 v21, vcc_lo, v21, 8
	v_add_co_ci_u32_e32 v22, vcc_lo, 0, v22, vcc_lo
	s_add_u32 s4, s22, -1
	s_addc_u32 s5, s23, -1
	s_mov_b64 s[6:7], 0
	s_mov_b32 s26, 0
                                        ; implicit-def: $sgpr28
	s_set_inst_prefetch_distance 0x1
	s_branch .LBB585_197
	.p2align	6
.LBB585_195:                            ;   in Loop: Header=BB585_197 Depth=1
	global_load_b64 v[23:24], v[21:22], off
	global_load_b64 v[25:26], v[19:20], off
	v_add_co_u32 v19, vcc_lo, v19, 8
	v_add_co_ci_u32_e32 v20, vcc_lo, 0, v20, vcc_lo
	v_add_co_u32 v21, s2, v21, 8
	s_delay_alu instid0(VALU_DEP_1)
	v_add_co_ci_u32_e64 v22, s2, 0, v22, s2
	s_add_u32 s6, s6, 1
	s_addc_u32 s7, s7, 0
	s_and_not1_b32 s2, s28, exec_lo
	s_waitcnt vmcnt(0)
	v_cmp_ne_u64_e32 vcc_lo, v[23:24], v[25:26]
	s_and_b32 s28, vcc_lo, exec_lo
	s_delay_alu instid0(SALU_CYCLE_1)
	s_or_b32 s28, s2, s28
.LBB585_196:                            ;   in Loop: Header=BB585_197 Depth=1
	v_dual_mov_b32 v24, s7 :: v_dual_mov_b32 v23, s6
	s_and_b32 s2, exec_lo, s28
	s_delay_alu instid0(SALU_CYCLE_1) | instskip(NEXT) | instid1(SALU_CYCLE_1)
	s_or_b32 s26, s2, s26
	s_and_not1_b32 exec_lo, exec_lo, s26
	s_cbranch_execz .LBB585_200
.LBB585_197:                            ; =>This Inner Loop Header: Depth=1
	s_or_b32 s28, s28, exec_lo
	s_cmp_eq_u64 s[4:5], s[6:7]
	s_cbranch_scc0 .LBB585_195
; %bb.198:                              ;   in Loop: Header=BB585_197 Depth=1
	s_mov_b64 s[6:7], s[22:23]
                                        ; implicit-def: $vgpr19_vgpr20
                                        ; implicit-def: $vgpr21_vgpr22
	s_branch .LBB585_196
.LBB585_199:
	s_waitcnt lgkmcnt(0)
                                        ; implicit-def: $sgpr2
                                        ; implicit-def: $vgpr18
	s_cbranch_execnz .LBB585_268
	s_branch .LBB585_359
.LBB585_200:
	s_set_inst_prefetch_distance 0x2
	s_or_b32 exec_lo, exec_lo, s26
	v_cmp_gt_i64_e32 vcc_lo, s[22:23], v[23:24]
	s_or_not1_b32 s26, vcc_lo, exec_lo
.LBB585_201:
	s_or_b32 exec_lo, exec_lo, s27
.LBB585_202:
	v_mul_lo_u32 v21, v8, s22
	v_mul_lo_u32 v22, v7, s23
	v_mad_u64_u32 v[19:20], null, v7, s22, 0
	s_and_not1_b32 vcc_lo, exec_lo, s3
	s_delay_alu instid0(VALU_DEP_1) | instskip(NEXT) | instid1(VALU_DEP_1)
	v_add3_u32 v20, v20, v22, v21
	v_lshlrev_b64 v[19:20], 3, v[19:20]
	s_cbranch_vccnz .LBB585_211
; %bb.203:
	s_delay_alu instid0(VALU_DEP_1) | instskip(NEXT) | instid1(VALU_DEP_2)
	v_add_co_u32 v21, vcc_lo, s8, v19
	v_add_co_ci_u32_e32 v22, vcc_lo, s9, v20, vcc_lo
	v_add_co_u32 v17, vcc_lo, s8, v17
	v_add_co_ci_u32_e32 v18, vcc_lo, s9, v18, vcc_lo
	s_mov_b32 s19, -1
	s_clause 0x1
	global_load_b64 v[23:24], v[21:22], off
	global_load_b64 v[25:26], v[17:18], off
	s_mov_b32 s27, exec_lo
	s_waitcnt vmcnt(0)
	v_cmpx_eq_u64_e64 v[23:24], v[25:26]
	s_cbranch_execz .LBB585_210
; %bb.204:
	v_add_co_u32 v17, vcc_lo, v17, 8
	v_add_co_ci_u32_e32 v18, vcc_lo, 0, v18, vcc_lo
	v_add_co_u32 v21, vcc_lo, v21, 8
	v_add_co_ci_u32_e32 v22, vcc_lo, 0, v22, vcc_lo
	s_add_u32 s4, s22, -1
	s_addc_u32 s5, s23, -1
	s_mov_b64 s[6:7], 0
	s_mov_b32 s19, 0
                                        ; implicit-def: $sgpr28
	s_set_inst_prefetch_distance 0x1
	s_branch .LBB585_207
	.p2align	6
.LBB585_205:                            ;   in Loop: Header=BB585_207 Depth=1
	global_load_b64 v[23:24], v[21:22], off
	global_load_b64 v[25:26], v[17:18], off
	v_add_co_u32 v17, vcc_lo, v17, 8
	v_add_co_ci_u32_e32 v18, vcc_lo, 0, v18, vcc_lo
	v_add_co_u32 v21, s2, v21, 8
	s_delay_alu instid0(VALU_DEP_1)
	v_add_co_ci_u32_e64 v22, s2, 0, v22, s2
	s_add_u32 s6, s6, 1
	s_addc_u32 s7, s7, 0
	s_and_not1_b32 s2, s28, exec_lo
	s_waitcnt vmcnt(0)
	v_cmp_ne_u64_e32 vcc_lo, v[23:24], v[25:26]
	s_and_b32 s28, vcc_lo, exec_lo
	s_delay_alu instid0(SALU_CYCLE_1)
	s_or_b32 s28, s2, s28
.LBB585_206:                            ;   in Loop: Header=BB585_207 Depth=1
	v_dual_mov_b32 v24, s7 :: v_dual_mov_b32 v23, s6
	s_and_b32 s2, exec_lo, s28
	s_delay_alu instid0(SALU_CYCLE_1) | instskip(NEXT) | instid1(SALU_CYCLE_1)
	s_or_b32 s19, s2, s19
	s_and_not1_b32 exec_lo, exec_lo, s19
	s_cbranch_execz .LBB585_209
.LBB585_207:                            ; =>This Inner Loop Header: Depth=1
	s_or_b32 s28, s28, exec_lo
	s_cmp_eq_u64 s[4:5], s[6:7]
	s_cbranch_scc0 .LBB585_205
; %bb.208:                              ;   in Loop: Header=BB585_207 Depth=1
	s_mov_b64 s[6:7], s[22:23]
                                        ; implicit-def: $vgpr17_vgpr18
                                        ; implicit-def: $vgpr21_vgpr22
	s_branch .LBB585_206
.LBB585_209:
	s_set_inst_prefetch_distance 0x2
	s_or_b32 exec_lo, exec_lo, s19
	v_cmp_gt_i64_e32 vcc_lo, s[22:23], v[23:24]
	s_or_not1_b32 s19, vcc_lo, exec_lo
.LBB585_210:
	s_or_b32 exec_lo, exec_lo, s27
.LBB585_211:
	v_mul_lo_u32 v21, v6, s22
	v_mul_lo_u32 v22, v5, s23
	v_mad_u64_u32 v[17:18], null, v5, s22, 0
	s_mov_b32 s27, 0
	s_and_not1_b32 vcc_lo, exec_lo, s3
	s_mov_b32 s28, 0
	s_delay_alu instid0(VALU_DEP_1) | instskip(NEXT) | instid1(VALU_DEP_1)
	v_add3_u32 v18, v18, v22, v21
	v_lshlrev_b64 v[21:22], 3, v[17:18]
	s_cbranch_vccnz .LBB585_220
; %bb.212:
	s_delay_alu instid0(VALU_DEP_1) | instskip(NEXT) | instid1(VALU_DEP_2)
	v_add_co_u32 v23, vcc_lo, s8, v21
	v_add_co_ci_u32_e32 v24, vcc_lo, s9, v22, vcc_lo
	v_add_co_u32 v17, vcc_lo, s8, v19
	v_add_co_ci_u32_e32 v18, vcc_lo, s9, v20, vcc_lo
	s_mov_b32 s28, -1
	s_clause 0x1
	global_load_b64 v[19:20], v[23:24], off
	global_load_b64 v[25:26], v[17:18], off
	s_mov_b32 s29, exec_lo
	s_waitcnt vmcnt(0)
	v_cmpx_eq_u64_e64 v[19:20], v[25:26]
	s_cbranch_execz .LBB585_219
; %bb.213:
	v_add_co_u32 v17, vcc_lo, v17, 8
	v_add_co_ci_u32_e32 v18, vcc_lo, 0, v18, vcc_lo
	v_add_co_u32 v19, vcc_lo, v23, 8
	v_add_co_ci_u32_e32 v20, vcc_lo, 0, v24, vcc_lo
	s_add_u32 s4, s22, -1
	s_addc_u32 s5, s23, -1
	s_mov_b64 s[6:7], 0
	s_mov_b32 s28, 0
                                        ; implicit-def: $sgpr30
	s_set_inst_prefetch_distance 0x1
	s_branch .LBB585_216
	.p2align	6
.LBB585_214:                            ;   in Loop: Header=BB585_216 Depth=1
	global_load_b64 v[23:24], v[19:20], off
	global_load_b64 v[25:26], v[17:18], off
	v_add_co_u32 v17, vcc_lo, v17, 8
	v_add_co_ci_u32_e32 v18, vcc_lo, 0, v18, vcc_lo
	v_add_co_u32 v19, s2, v19, 8
	s_delay_alu instid0(VALU_DEP_1)
	v_add_co_ci_u32_e64 v20, s2, 0, v20, s2
	s_add_u32 s6, s6, 1
	s_addc_u32 s7, s7, 0
	s_and_not1_b32 s2, s30, exec_lo
	s_waitcnt vmcnt(0)
	v_cmp_ne_u64_e32 vcc_lo, v[23:24], v[25:26]
	s_and_b32 s30, vcc_lo, exec_lo
	s_delay_alu instid0(SALU_CYCLE_1)
	s_or_b32 s30, s2, s30
.LBB585_215:                            ;   in Loop: Header=BB585_216 Depth=1
	v_dual_mov_b32 v24, s7 :: v_dual_mov_b32 v23, s6
	s_and_b32 s2, exec_lo, s30
	s_delay_alu instid0(SALU_CYCLE_1) | instskip(NEXT) | instid1(SALU_CYCLE_1)
	s_or_b32 s28, s2, s28
	s_and_not1_b32 exec_lo, exec_lo, s28
	s_cbranch_execz .LBB585_218
.LBB585_216:                            ; =>This Inner Loop Header: Depth=1
	s_or_b32 s30, s30, exec_lo
	s_cmp_eq_u64 s[4:5], s[6:7]
	s_cbranch_scc0 .LBB585_214
; %bb.217:                              ;   in Loop: Header=BB585_216 Depth=1
	s_mov_b64 s[6:7], s[22:23]
                                        ; implicit-def: $vgpr17_vgpr18
                                        ; implicit-def: $vgpr19_vgpr20
	s_branch .LBB585_215
.LBB585_218:
	s_set_inst_prefetch_distance 0x2
	s_or_b32 exec_lo, exec_lo, s28
	v_cmp_gt_i64_e32 vcc_lo, s[22:23], v[23:24]
	s_or_not1_b32 s28, vcc_lo, exec_lo
.LBB585_219:
	s_or_b32 exec_lo, exec_lo, s29
.LBB585_220:
	v_mul_lo_u32 v19, v12, s22
	v_mul_lo_u32 v20, v11, s23
	v_mad_u64_u32 v[17:18], null, v11, s22, 0
	s_and_not1_b32 vcc_lo, exec_lo, s3
	s_delay_alu instid0(VALU_DEP_1) | instskip(NEXT) | instid1(VALU_DEP_1)
	v_add3_u32 v18, v18, v20, v19
	v_lshlrev_b64 v[17:18], 3, v[17:18]
	s_cbranch_vccnz .LBB585_229
; %bb.221:
	s_delay_alu instid0(VALU_DEP_1) | instskip(NEXT) | instid1(VALU_DEP_2)
	v_add_co_u32 v23, vcc_lo, s8, v17
	v_add_co_ci_u32_e32 v24, vcc_lo, s9, v18, vcc_lo
	v_add_co_u32 v19, vcc_lo, s8, v21
	v_add_co_ci_u32_e32 v20, vcc_lo, s9, v22, vcc_lo
	s_mov_b32 s27, -1
	s_clause 0x1
	global_load_b64 v[21:22], v[23:24], off
	global_load_b64 v[25:26], v[19:20], off
	s_mov_b32 s29, exec_lo
	s_waitcnt vmcnt(0)
	v_cmpx_eq_u64_e64 v[21:22], v[25:26]
	s_cbranch_execz .LBB585_228
; %bb.222:
	v_add_co_u32 v19, vcc_lo, v19, 8
	v_add_co_ci_u32_e32 v20, vcc_lo, 0, v20, vcc_lo
	v_add_co_u32 v21, vcc_lo, v23, 8
	v_add_co_ci_u32_e32 v22, vcc_lo, 0, v24, vcc_lo
	s_add_u32 s4, s22, -1
	s_addc_u32 s5, s23, -1
	s_mov_b64 s[6:7], 0
	s_mov_b32 s27, 0
                                        ; implicit-def: $sgpr30
	s_set_inst_prefetch_distance 0x1
	s_branch .LBB585_225
	.p2align	6
.LBB585_223:                            ;   in Loop: Header=BB585_225 Depth=1
	global_load_b64 v[23:24], v[21:22], off
	global_load_b64 v[25:26], v[19:20], off
	v_add_co_u32 v19, vcc_lo, v19, 8
	v_add_co_ci_u32_e32 v20, vcc_lo, 0, v20, vcc_lo
	v_add_co_u32 v21, s2, v21, 8
	s_delay_alu instid0(VALU_DEP_1)
	v_add_co_ci_u32_e64 v22, s2, 0, v22, s2
	s_add_u32 s6, s6, 1
	s_addc_u32 s7, s7, 0
	s_and_not1_b32 s2, s30, exec_lo
	s_waitcnt vmcnt(0)
	v_cmp_ne_u64_e32 vcc_lo, v[23:24], v[25:26]
	s_and_b32 s30, vcc_lo, exec_lo
	s_delay_alu instid0(SALU_CYCLE_1)
	s_or_b32 s30, s2, s30
.LBB585_224:                            ;   in Loop: Header=BB585_225 Depth=1
	v_dual_mov_b32 v24, s7 :: v_dual_mov_b32 v23, s6
	s_and_b32 s2, exec_lo, s30
	s_delay_alu instid0(SALU_CYCLE_1) | instskip(NEXT) | instid1(SALU_CYCLE_1)
	s_or_b32 s27, s2, s27
	s_and_not1_b32 exec_lo, exec_lo, s27
	s_cbranch_execz .LBB585_227
.LBB585_225:                            ; =>This Inner Loop Header: Depth=1
	s_or_b32 s30, s30, exec_lo
	s_cmp_eq_u64 s[4:5], s[6:7]
	s_cbranch_scc0 .LBB585_223
; %bb.226:                              ;   in Loop: Header=BB585_225 Depth=1
	s_mov_b64 s[6:7], s[22:23]
                                        ; implicit-def: $vgpr19_vgpr20
                                        ; implicit-def: $vgpr21_vgpr22
	s_branch .LBB585_224
.LBB585_227:
	s_set_inst_prefetch_distance 0x2
	s_or_b32 exec_lo, exec_lo, s27
	v_cmp_gt_i64_e32 vcc_lo, s[22:23], v[23:24]
	s_or_not1_b32 s27, vcc_lo, exec_lo
.LBB585_228:
	s_or_b32 exec_lo, exec_lo, s29
.LBB585_229:
	v_mul_lo_u32 v21, v10, s22
	v_mul_lo_u32 v22, v9, s23
	v_mad_u64_u32 v[19:20], null, v9, s22, 0
	s_mov_b32 s29, 0
	s_and_not1_b32 vcc_lo, exec_lo, s3
	s_mov_b32 s30, 0
	s_delay_alu instid0(VALU_DEP_1) | instskip(NEXT) | instid1(VALU_DEP_1)
	v_add3_u32 v20, v20, v22, v21
	v_lshlrev_b64 v[19:20], 3, v[19:20]
	s_cbranch_vccnz .LBB585_238
; %bb.230:
	s_delay_alu instid0(VALU_DEP_1) | instskip(NEXT) | instid1(VALU_DEP_2)
	v_add_co_u32 v21, vcc_lo, s8, v19
	v_add_co_ci_u32_e32 v22, vcc_lo, s9, v20, vcc_lo
	v_add_co_u32 v17, vcc_lo, s8, v17
	v_add_co_ci_u32_e32 v18, vcc_lo, s9, v18, vcc_lo
	s_mov_b32 s30, -1
	s_clause 0x1
	global_load_b64 v[23:24], v[21:22], off
	global_load_b64 v[25:26], v[17:18], off
	s_mov_b32 s31, exec_lo
	s_waitcnt vmcnt(0)
	v_cmpx_eq_u64_e64 v[23:24], v[25:26]
	s_cbranch_execz .LBB585_237
; %bb.231:
	v_add_co_u32 v17, vcc_lo, v17, 8
	v_add_co_ci_u32_e32 v18, vcc_lo, 0, v18, vcc_lo
	v_add_co_u32 v21, vcc_lo, v21, 8
	v_add_co_ci_u32_e32 v22, vcc_lo, 0, v22, vcc_lo
	s_add_u32 s4, s22, -1
	s_addc_u32 s5, s23, -1
	s_mov_b64 s[6:7], 0
	s_mov_b32 s30, 0
                                        ; implicit-def: $sgpr33
	s_set_inst_prefetch_distance 0x1
	s_branch .LBB585_234
	.p2align	6
.LBB585_232:                            ;   in Loop: Header=BB585_234 Depth=1
	global_load_b64 v[23:24], v[21:22], off
	global_load_b64 v[25:26], v[17:18], off
	v_add_co_u32 v17, vcc_lo, v17, 8
	v_add_co_ci_u32_e32 v18, vcc_lo, 0, v18, vcc_lo
	v_add_co_u32 v21, s2, v21, 8
	s_delay_alu instid0(VALU_DEP_1)
	v_add_co_ci_u32_e64 v22, s2, 0, v22, s2
	s_add_u32 s6, s6, 1
	s_addc_u32 s7, s7, 0
	s_and_not1_b32 s2, s33, exec_lo
	s_waitcnt vmcnt(0)
	v_cmp_ne_u64_e32 vcc_lo, v[23:24], v[25:26]
	s_and_b32 s33, vcc_lo, exec_lo
	s_delay_alu instid0(SALU_CYCLE_1)
	s_or_b32 s33, s2, s33
.LBB585_233:                            ;   in Loop: Header=BB585_234 Depth=1
	v_dual_mov_b32 v24, s7 :: v_dual_mov_b32 v23, s6
	s_and_b32 s2, exec_lo, s33
	s_delay_alu instid0(SALU_CYCLE_1) | instskip(NEXT) | instid1(SALU_CYCLE_1)
	s_or_b32 s30, s2, s30
	s_and_not1_b32 exec_lo, exec_lo, s30
	s_cbranch_execz .LBB585_236
.LBB585_234:                            ; =>This Inner Loop Header: Depth=1
	s_or_b32 s33, s33, exec_lo
	s_cmp_eq_u64 s[4:5], s[6:7]
	s_cbranch_scc0 .LBB585_232
; %bb.235:                              ;   in Loop: Header=BB585_234 Depth=1
	s_mov_b64 s[6:7], s[22:23]
                                        ; implicit-def: $vgpr17_vgpr18
                                        ; implicit-def: $vgpr21_vgpr22
	s_branch .LBB585_233
.LBB585_236:
	s_set_inst_prefetch_distance 0x2
	s_or_b32 exec_lo, exec_lo, s30
	v_cmp_gt_i64_e32 vcc_lo, s[22:23], v[23:24]
	s_or_not1_b32 s30, vcc_lo, exec_lo
.LBB585_237:
	s_or_b32 exec_lo, exec_lo, s31
.LBB585_238:
	v_mul_lo_u32 v21, v16, s22
	v_mul_lo_u32 v22, v15, s23
	v_mad_u64_u32 v[17:18], null, v15, s22, 0
	s_and_not1_b32 vcc_lo, exec_lo, s3
	s_delay_alu instid0(VALU_DEP_1) | instskip(NEXT) | instid1(VALU_DEP_1)
	v_add3_u32 v18, v18, v22, v21
	v_lshlrev_b64 v[17:18], 3, v[17:18]
	s_cbranch_vccnz .LBB585_247
; %bb.239:
	s_delay_alu instid0(VALU_DEP_1) | instskip(NEXT) | instid1(VALU_DEP_2)
	v_add_co_u32 v21, vcc_lo, s8, v17
	v_add_co_ci_u32_e32 v22, vcc_lo, s9, v18, vcc_lo
	v_add_co_u32 v19, vcc_lo, s8, v19
	v_add_co_ci_u32_e32 v20, vcc_lo, s9, v20, vcc_lo
	s_mov_b32 s29, -1
	s_clause 0x1
	global_load_b64 v[23:24], v[21:22], off
	global_load_b64 v[25:26], v[19:20], off
	s_mov_b32 s31, exec_lo
	s_waitcnt vmcnt(0)
	v_cmpx_eq_u64_e64 v[23:24], v[25:26]
	s_cbranch_execz .LBB585_246
; %bb.240:
	v_add_co_u32 v19, vcc_lo, v19, 8
	v_add_co_ci_u32_e32 v20, vcc_lo, 0, v20, vcc_lo
	v_add_co_u32 v21, vcc_lo, v21, 8
	v_add_co_ci_u32_e32 v22, vcc_lo, 0, v22, vcc_lo
	s_add_u32 s4, s22, -1
	s_addc_u32 s5, s23, -1
	s_mov_b64 s[6:7], 0
	s_mov_b32 s29, 0
                                        ; implicit-def: $sgpr33
	s_set_inst_prefetch_distance 0x1
	s_branch .LBB585_243
	.p2align	6
.LBB585_241:                            ;   in Loop: Header=BB585_243 Depth=1
	global_load_b64 v[23:24], v[21:22], off
	global_load_b64 v[25:26], v[19:20], off
	v_add_co_u32 v19, vcc_lo, v19, 8
	v_add_co_ci_u32_e32 v20, vcc_lo, 0, v20, vcc_lo
	v_add_co_u32 v21, s2, v21, 8
	s_delay_alu instid0(VALU_DEP_1)
	v_add_co_ci_u32_e64 v22, s2, 0, v22, s2
	s_add_u32 s6, s6, 1
	s_addc_u32 s7, s7, 0
	s_and_not1_b32 s2, s33, exec_lo
	s_waitcnt vmcnt(0)
	v_cmp_ne_u64_e32 vcc_lo, v[23:24], v[25:26]
	s_and_b32 s33, vcc_lo, exec_lo
	s_delay_alu instid0(SALU_CYCLE_1)
	s_or_b32 s33, s2, s33
.LBB585_242:                            ;   in Loop: Header=BB585_243 Depth=1
	v_dual_mov_b32 v24, s7 :: v_dual_mov_b32 v23, s6
	s_and_b32 s2, exec_lo, s33
	s_delay_alu instid0(SALU_CYCLE_1) | instskip(NEXT) | instid1(SALU_CYCLE_1)
	s_or_b32 s29, s2, s29
	s_and_not1_b32 exec_lo, exec_lo, s29
	s_cbranch_execz .LBB585_245
.LBB585_243:                            ; =>This Inner Loop Header: Depth=1
	s_or_b32 s33, s33, exec_lo
	s_cmp_eq_u64 s[4:5], s[6:7]
	s_cbranch_scc0 .LBB585_241
; %bb.244:                              ;   in Loop: Header=BB585_243 Depth=1
	s_mov_b64 s[6:7], s[22:23]
                                        ; implicit-def: $vgpr19_vgpr20
                                        ; implicit-def: $vgpr21_vgpr22
	s_branch .LBB585_242
.LBB585_245:
	s_set_inst_prefetch_distance 0x2
	s_or_b32 exec_lo, exec_lo, s29
	v_cmp_gt_i64_e32 vcc_lo, s[22:23], v[23:24]
	s_or_not1_b32 s29, vcc_lo, exec_lo
.LBB585_246:
	s_or_b32 exec_lo, exec_lo, s31
.LBB585_247:
	v_mul_lo_u32 v21, v14, s22
	v_mul_lo_u32 v22, v13, s23
	v_mad_u64_u32 v[19:20], null, v13, s22, 0
	s_and_not1_b32 vcc_lo, exec_lo, s3
	s_mov_b32 s2, 0
	s_delay_alu instid0(VALU_DEP_1)
	v_add3_u32 v20, v20, v22, v21
	s_cbranch_vccnz .LBB585_256
; %bb.248:
	s_delay_alu instid0(VALU_DEP_1) | instskip(SKIP_2) | instid1(VALU_DEP_1)
	v_lshlrev_b64 v[21:22], 3, v[19:20]
	s_mov_b32 s2, -1
	s_mov_b32 s31, exec_lo
	v_add_co_u32 v21, vcc_lo, s8, v21
	s_delay_alu instid0(VALU_DEP_2)
	v_add_co_ci_u32_e32 v22, vcc_lo, s9, v22, vcc_lo
	v_add_co_u32 v17, vcc_lo, s8, v17
	v_add_co_ci_u32_e32 v18, vcc_lo, s9, v18, vcc_lo
	s_clause 0x1
	global_load_b64 v[23:24], v[21:22], off
	global_load_b64 v[25:26], v[17:18], off
	s_waitcnt vmcnt(0)
	v_cmpx_eq_u64_e64 v[23:24], v[25:26]
	s_cbranch_execz .LBB585_255
; %bb.249:
	v_add_co_u32 v17, vcc_lo, v17, 8
	v_add_co_ci_u32_e32 v18, vcc_lo, 0, v18, vcc_lo
	v_add_co_u32 v21, vcc_lo, v21, 8
	v_add_co_ci_u32_e32 v22, vcc_lo, 0, v22, vcc_lo
	s_add_u32 s4, s22, -1
	s_addc_u32 s5, s23, -1
	s_mov_b64 s[6:7], 0
	s_mov_b32 s33, 0
                                        ; implicit-def: $sgpr34
	s_set_inst_prefetch_distance 0x1
	s_branch .LBB585_252
	.p2align	6
.LBB585_250:                            ;   in Loop: Header=BB585_252 Depth=1
	global_load_b64 v[23:24], v[21:22], off
	global_load_b64 v[25:26], v[17:18], off
	v_add_co_u32 v17, vcc_lo, v17, 8
	v_add_co_ci_u32_e32 v18, vcc_lo, 0, v18, vcc_lo
	v_add_co_u32 v21, s2, v21, 8
	s_delay_alu instid0(VALU_DEP_1)
	v_add_co_ci_u32_e64 v22, s2, 0, v22, s2
	s_add_u32 s6, s6, 1
	s_addc_u32 s7, s7, 0
	s_and_not1_b32 s2, s34, exec_lo
	s_waitcnt vmcnt(0)
	v_cmp_ne_u64_e32 vcc_lo, v[23:24], v[25:26]
	s_and_b32 s34, vcc_lo, exec_lo
	s_delay_alu instid0(SALU_CYCLE_1)
	s_or_b32 s34, s2, s34
.LBB585_251:                            ;   in Loop: Header=BB585_252 Depth=1
	v_dual_mov_b32 v24, s7 :: v_dual_mov_b32 v23, s6
	s_and_b32 s2, exec_lo, s34
	s_delay_alu instid0(SALU_CYCLE_1) | instskip(NEXT) | instid1(SALU_CYCLE_1)
	s_or_b32 s33, s2, s33
	s_and_not1_b32 exec_lo, exec_lo, s33
	s_cbranch_execz .LBB585_254
.LBB585_252:                            ; =>This Inner Loop Header: Depth=1
	s_or_b32 s34, s34, exec_lo
	s_cmp_eq_u64 s[4:5], s[6:7]
	s_cbranch_scc0 .LBB585_250
; %bb.253:                              ;   in Loop: Header=BB585_252 Depth=1
	s_mov_b64 s[6:7], s[22:23]
                                        ; implicit-def: $vgpr17_vgpr18
                                        ; implicit-def: $vgpr21_vgpr22
	s_branch .LBB585_251
.LBB585_254:
	s_set_inst_prefetch_distance 0x2
	s_or_b32 exec_lo, exec_lo, s33
	v_cmp_gt_i64_e32 vcc_lo, s[22:23], v[23:24]
	s_or_not1_b32 s2, vcc_lo, exec_lo
.LBB585_255:
	s_or_b32 exec_lo, exec_lo, s31
.LBB585_256:
	v_cndmask_b32_e64 v18, 0, 1, s30
	v_cndmask_b32_e64 v21, 0, 1, s28
	v_cndmask_b32_e64 v22, 0, 1, s26
	v_cndmask_b32_e64 v23, 0, 1, s2
	v_cndmask_b32_e64 v17, 0, 1, s29
	v_cndmask_b32_e64 v24, 0, 1, s27
	v_cndmask_b32_e64 v25, 0, 1, s19
	v_lshlrev_b16 v21, 8, v21
	v_lshlrev_b16 v22, 8, v22
	;; [unrolled: 1-line block ×4, first 2 shown]
	s_delay_alu instid0(VALU_DEP_4) | instskip(NEXT) | instid1(VALU_DEP_4)
	v_or_b32_e32 v21, v24, v21
	v_or_b32_e32 v22, v25, v22
	s_delay_alu instid0(VALU_DEP_4) | instskip(NEXT) | instid1(VALU_DEP_4)
	v_or_b32_e32 v23, 1, v23
	v_or_b32_e32 v17, v17, v18
	s_barrier
	v_and_b32_e32 v18, 0xffff, v21
	v_lshlrev_b32_e32 v21, 16, v22
	v_and_b32_e32 v22, 0xffff, v23
	v_lshlrev_b32_e32 v17, 16, v17
	buffer_gl0_inv
                                        ; implicit-def: $sgpr2
	s_mov_b32 s4, exec_lo
	v_or_b32_e32 v18, v18, v21
	v_or_b32_e32 v17, v22, v17
	v_cmpx_ne_u32_e32 0, v0
	s_xor_b32 s19, exec_lo, s4
	s_cbranch_execz .LBB585_267
; %bb.257:
	s_and_not1_b32 vcc_lo, exec_lo, s3
	s_mov_b32 s2, 0
	s_cbranch_vccnz .LBB585_266
; %bb.258:
	v_add_nc_u32_e32 v21, -8, v39
	v_lshlrev_b64 v[19:20], 3, v[19:20]
	s_mov_b32 s2, -1
	s_mov_b32 s26, exec_lo
	ds_load_b64 v[21:22], v21
	s_waitcnt lgkmcnt(0)
	v_mul_lo_u32 v24, v22, s22
	v_mul_lo_u32 v25, v21, s23
	v_mad_u64_u32 v[22:23], null, v21, s22, 0
	s_delay_alu instid0(VALU_DEP_1) | instskip(NEXT) | instid1(VALU_DEP_1)
	v_add3_u32 v23, v23, v25, v24
	v_lshlrev_b64 v[21:22], 3, v[22:23]
	s_delay_alu instid0(VALU_DEP_1) | instskip(NEXT) | instid1(VALU_DEP_2)
	v_add_co_u32 v21, vcc_lo, s8, v21
	v_add_co_ci_u32_e32 v22, vcc_lo, s9, v22, vcc_lo
	v_add_co_u32 v19, vcc_lo, s8, v19
	v_add_co_ci_u32_e32 v20, vcc_lo, s9, v20, vcc_lo
	s_clause 0x1
	global_load_b64 v[23:24], v[21:22], off
	global_load_b64 v[25:26], v[19:20], off
	s_waitcnt vmcnt(0)
	v_cmpx_eq_u64_e64 v[23:24], v[25:26]
	s_cbranch_execz .LBB585_265
; %bb.259:
	v_add_co_u32 v19, vcc_lo, v19, 8
	v_add_co_ci_u32_e32 v20, vcc_lo, 0, v20, vcc_lo
	v_add_co_u32 v21, vcc_lo, v21, 8
	v_add_co_ci_u32_e32 v22, vcc_lo, 0, v22, vcc_lo
	s_add_u32 s4, s22, -1
	s_addc_u32 s5, s23, -1
	s_mov_b64 s[6:7], 0
	s_mov_b32 s27, 0
                                        ; implicit-def: $sgpr28
	s_set_inst_prefetch_distance 0x1
	s_branch .LBB585_262
	.p2align	6
.LBB585_260:                            ;   in Loop: Header=BB585_262 Depth=1
	global_load_b64 v[23:24], v[21:22], off
	global_load_b64 v[25:26], v[19:20], off
	v_add_co_u32 v19, vcc_lo, v19, 8
	v_add_co_ci_u32_e32 v20, vcc_lo, 0, v20, vcc_lo
	v_add_co_u32 v21, s2, v21, 8
	s_delay_alu instid0(VALU_DEP_1)
	v_add_co_ci_u32_e64 v22, s2, 0, v22, s2
	s_add_u32 s6, s6, 1
	s_addc_u32 s7, s7, 0
	s_and_not1_b32 s2, s28, exec_lo
	s_waitcnt vmcnt(0)
	v_cmp_ne_u64_e32 vcc_lo, v[23:24], v[25:26]
	s_and_b32 s28, vcc_lo, exec_lo
	s_delay_alu instid0(SALU_CYCLE_1)
	s_or_b32 s28, s2, s28
.LBB585_261:                            ;   in Loop: Header=BB585_262 Depth=1
	v_dual_mov_b32 v24, s7 :: v_dual_mov_b32 v23, s6
	s_and_b32 s2, exec_lo, s28
	s_delay_alu instid0(SALU_CYCLE_1) | instskip(NEXT) | instid1(SALU_CYCLE_1)
	s_or_b32 s27, s2, s27
	s_and_not1_b32 exec_lo, exec_lo, s27
	s_cbranch_execz .LBB585_264
.LBB585_262:                            ; =>This Inner Loop Header: Depth=1
	s_or_b32 s28, s28, exec_lo
	s_cmp_eq_u64 s[4:5], s[6:7]
	s_cbranch_scc0 .LBB585_260
; %bb.263:                              ;   in Loop: Header=BB585_262 Depth=1
	s_mov_b64 s[6:7], s[22:23]
                                        ; implicit-def: $vgpr19_vgpr20
                                        ; implicit-def: $vgpr21_vgpr22
	s_branch .LBB585_261
.LBB585_264:
	s_set_inst_prefetch_distance 0x2
	s_or_b32 exec_lo, exec_lo, s27
	v_cmp_gt_i64_e32 vcc_lo, s[22:23], v[23:24]
	s_or_not1_b32 s2, vcc_lo, exec_lo
.LBB585_265:
	s_or_b32 exec_lo, exec_lo, s26
.LBB585_266:
	s_delay_alu instid0(SALU_CYCLE_1)
	s_and_b32 s2, s2, exec_lo
	s_or_b32 s18, s18, exec_lo
.LBB585_267:
	s_or_b32 exec_lo, exec_lo, s19
	s_branch .LBB585_359
.LBB585_268:
	v_or_b32_e32 v17, 7, v39
	s_mov_b32 s19, 0
	s_mov_b32 s26, 0
	s_mov_b32 s27, exec_lo
	s_delay_alu instid0(VALU_DEP_1)
	v_cmpx_gt_u32_e64 s20, v17
	s_cbranch_execz .LBB585_279
; %bb.269:
	s_and_not1_b32 vcc_lo, exec_lo, s3
	s_mov_b32 s2, 0
	s_cbranch_vccnz .LBB585_278
; %bb.270:
	v_mul_lo_u32 v21, v2, s22
	v_mul_lo_u32 v22, v1, s23
	v_mad_u64_u32 v[17:18], null, v1, s22, 0
	v_mul_lo_u32 v23, v4, s22
	v_mul_lo_u32 v24, v3, s23
	v_mad_u64_u32 v[19:20], null, v3, s22, 0
	s_mov_b32 s2, -1
	s_mov_b32 s26, exec_lo
	s_delay_alu instid0(VALU_DEP_4) | instskip(NEXT) | instid1(VALU_DEP_2)
	v_add3_u32 v18, v18, v22, v21
	v_add3_u32 v20, v20, v24, v23
	s_delay_alu instid0(VALU_DEP_2) | instskip(NEXT) | instid1(VALU_DEP_2)
	v_lshlrev_b64 v[17:18], 3, v[17:18]
	v_lshlrev_b64 v[21:22], 3, v[19:20]
	s_delay_alu instid0(VALU_DEP_2) | instskip(NEXT) | instid1(VALU_DEP_3)
	v_add_co_u32 v19, vcc_lo, s8, v17
	v_add_co_ci_u32_e32 v20, vcc_lo, s9, v18, vcc_lo
	s_delay_alu instid0(VALU_DEP_3) | instskip(NEXT) | instid1(VALU_DEP_4)
	v_add_co_u32 v17, vcc_lo, s8, v21
	v_add_co_ci_u32_e32 v18, vcc_lo, s9, v22, vcc_lo
	s_clause 0x1
	global_load_b64 v[21:22], v[19:20], off
	global_load_b64 v[23:24], v[17:18], off
	s_waitcnt vmcnt(0)
	v_cmpx_eq_u64_e64 v[21:22], v[23:24]
	s_cbranch_execz .LBB585_277
; %bb.271:
	v_add_co_u32 v17, vcc_lo, v17, 8
	v_add_co_ci_u32_e32 v18, vcc_lo, 0, v18, vcc_lo
	v_add_co_u32 v19, vcc_lo, v19, 8
	v_add_co_ci_u32_e32 v20, vcc_lo, 0, v20, vcc_lo
	s_add_u32 s4, s22, -1
	s_addc_u32 s5, s23, -1
	s_mov_b64 s[6:7], 0
	s_mov_b32 s28, 0
                                        ; implicit-def: $sgpr29
	s_set_inst_prefetch_distance 0x1
	s_branch .LBB585_274
	.p2align	6
.LBB585_272:                            ;   in Loop: Header=BB585_274 Depth=1
	global_load_b64 v[21:22], v[19:20], off
	global_load_b64 v[23:24], v[17:18], off
	v_add_co_u32 v17, vcc_lo, v17, 8
	v_add_co_ci_u32_e32 v18, vcc_lo, 0, v18, vcc_lo
	v_add_co_u32 v19, s2, v19, 8
	s_delay_alu instid0(VALU_DEP_1)
	v_add_co_ci_u32_e64 v20, s2, 0, v20, s2
	s_add_u32 s6, s6, 1
	s_addc_u32 s7, s7, 0
	s_and_not1_b32 s2, s29, exec_lo
	s_waitcnt vmcnt(0)
	v_cmp_ne_u64_e32 vcc_lo, v[21:22], v[23:24]
	s_and_b32 s29, vcc_lo, exec_lo
	s_delay_alu instid0(SALU_CYCLE_1)
	s_or_b32 s29, s2, s29
.LBB585_273:                            ;   in Loop: Header=BB585_274 Depth=1
	v_dual_mov_b32 v22, s7 :: v_dual_mov_b32 v21, s6
	s_and_b32 s2, exec_lo, s29
	s_delay_alu instid0(SALU_CYCLE_1) | instskip(NEXT) | instid1(SALU_CYCLE_1)
	s_or_b32 s28, s2, s28
	s_and_not1_b32 exec_lo, exec_lo, s28
	s_cbranch_execz .LBB585_276
.LBB585_274:                            ; =>This Inner Loop Header: Depth=1
	s_or_b32 s29, s29, exec_lo
	s_cmp_eq_u64 s[4:5], s[6:7]
	s_cbranch_scc0 .LBB585_272
; %bb.275:                              ;   in Loop: Header=BB585_274 Depth=1
	s_mov_b64 s[6:7], s[22:23]
                                        ; implicit-def: $vgpr17_vgpr18
                                        ; implicit-def: $vgpr19_vgpr20
	s_branch .LBB585_273
.LBB585_276:
	s_set_inst_prefetch_distance 0x2
	s_or_b32 exec_lo, exec_lo, s28
	v_cmp_gt_i64_e32 vcc_lo, s[22:23], v[21:22]
	s_or_not1_b32 s2, vcc_lo, exec_lo
.LBB585_277:
	s_or_b32 exec_lo, exec_lo, s26
.LBB585_278:
	s_delay_alu instid0(SALU_CYCLE_1)
	s_and_b32 s26, s2, exec_lo
.LBB585_279:
	s_or_b32 exec_lo, exec_lo, s27
	v_or_b32_e32 v17, 6, v39
	s_mov_b32 s27, exec_lo
	s_delay_alu instid0(VALU_DEP_1)
	v_cmpx_gt_u32_e64 s20, v17
	s_cbranch_execz .LBB585_290
; %bb.280:
	s_and_not1_b32 vcc_lo, exec_lo, s3
	s_mov_b32 s2, 0
	s_cbranch_vccnz .LBB585_289
; %bb.281:
	v_mul_lo_u32 v21, v8, s22
	v_mul_lo_u32 v22, v7, s23
	v_mad_u64_u32 v[17:18], null, v7, s22, 0
	v_mul_lo_u32 v23, v2, s22
	v_mul_lo_u32 v24, v1, s23
	v_mad_u64_u32 v[19:20], null, v1, s22, 0
	s_mov_b32 s2, -1
	s_mov_b32 s19, exec_lo
	s_delay_alu instid0(VALU_DEP_4) | instskip(NEXT) | instid1(VALU_DEP_2)
	v_add3_u32 v18, v18, v22, v21
	v_add3_u32 v20, v20, v24, v23
	s_delay_alu instid0(VALU_DEP_2) | instskip(NEXT) | instid1(VALU_DEP_2)
	v_lshlrev_b64 v[17:18], 3, v[17:18]
	v_lshlrev_b64 v[21:22], 3, v[19:20]
	s_delay_alu instid0(VALU_DEP_2) | instskip(NEXT) | instid1(VALU_DEP_3)
	v_add_co_u32 v19, vcc_lo, s8, v17
	v_add_co_ci_u32_e32 v20, vcc_lo, s9, v18, vcc_lo
	s_delay_alu instid0(VALU_DEP_3) | instskip(NEXT) | instid1(VALU_DEP_4)
	v_add_co_u32 v17, vcc_lo, s8, v21
	v_add_co_ci_u32_e32 v18, vcc_lo, s9, v22, vcc_lo
	s_clause 0x1
	global_load_b64 v[21:22], v[19:20], off
	global_load_b64 v[23:24], v[17:18], off
	s_waitcnt vmcnt(0)
	v_cmpx_eq_u64_e64 v[21:22], v[23:24]
	s_cbranch_execz .LBB585_288
; %bb.282:
	v_add_co_u32 v17, vcc_lo, v17, 8
	v_add_co_ci_u32_e32 v18, vcc_lo, 0, v18, vcc_lo
	v_add_co_u32 v19, vcc_lo, v19, 8
	v_add_co_ci_u32_e32 v20, vcc_lo, 0, v20, vcc_lo
	s_add_u32 s4, s22, -1
	s_addc_u32 s5, s23, -1
	s_mov_b64 s[6:7], 0
	s_mov_b32 s28, 0
                                        ; implicit-def: $sgpr29
	s_set_inst_prefetch_distance 0x1
	s_branch .LBB585_285
	.p2align	6
.LBB585_283:                            ;   in Loop: Header=BB585_285 Depth=1
	global_load_b64 v[21:22], v[19:20], off
	global_load_b64 v[23:24], v[17:18], off
	v_add_co_u32 v17, vcc_lo, v17, 8
	v_add_co_ci_u32_e32 v18, vcc_lo, 0, v18, vcc_lo
	v_add_co_u32 v19, s2, v19, 8
	s_delay_alu instid0(VALU_DEP_1)
	v_add_co_ci_u32_e64 v20, s2, 0, v20, s2
	s_add_u32 s6, s6, 1
	s_addc_u32 s7, s7, 0
	s_and_not1_b32 s2, s29, exec_lo
	s_waitcnt vmcnt(0)
	v_cmp_ne_u64_e32 vcc_lo, v[21:22], v[23:24]
	s_and_b32 s29, vcc_lo, exec_lo
	s_delay_alu instid0(SALU_CYCLE_1)
	s_or_b32 s29, s2, s29
.LBB585_284:                            ;   in Loop: Header=BB585_285 Depth=1
	v_dual_mov_b32 v22, s7 :: v_dual_mov_b32 v21, s6
	s_and_b32 s2, exec_lo, s29
	s_delay_alu instid0(SALU_CYCLE_1) | instskip(NEXT) | instid1(SALU_CYCLE_1)
	s_or_b32 s28, s2, s28
	s_and_not1_b32 exec_lo, exec_lo, s28
	s_cbranch_execz .LBB585_287
.LBB585_285:                            ; =>This Inner Loop Header: Depth=1
	s_or_b32 s29, s29, exec_lo
	s_cmp_eq_u64 s[4:5], s[6:7]
	s_cbranch_scc0 .LBB585_283
; %bb.286:                              ;   in Loop: Header=BB585_285 Depth=1
	s_mov_b64 s[6:7], s[22:23]
                                        ; implicit-def: $vgpr17_vgpr18
                                        ; implicit-def: $vgpr19_vgpr20
	s_branch .LBB585_284
.LBB585_287:
	s_set_inst_prefetch_distance 0x2
	s_or_b32 exec_lo, exec_lo, s28
	v_cmp_gt_i64_e32 vcc_lo, s[22:23], v[21:22]
	s_or_not1_b32 s2, vcc_lo, exec_lo
.LBB585_288:
	s_or_b32 exec_lo, exec_lo, s19
.LBB585_289:
	s_delay_alu instid0(SALU_CYCLE_1)
	s_and_b32 s19, s2, exec_lo
.LBB585_290:
	s_or_b32 exec_lo, exec_lo, s27
	v_or_b32_e32 v17, 5, v39
	s_mov_b32 s27, 0
	s_mov_b32 s28, 0
	s_mov_b32 s29, exec_lo
	s_delay_alu instid0(VALU_DEP_1)
	v_cmpx_gt_u32_e64 s20, v17
	s_cbranch_execz .LBB585_301
; %bb.291:
	s_and_not1_b32 vcc_lo, exec_lo, s3
	s_mov_b32 s2, 0
	s_cbranch_vccnz .LBB585_300
; %bb.292:
	v_mul_lo_u32 v21, v6, s22
	v_mul_lo_u32 v22, v5, s23
	v_mad_u64_u32 v[17:18], null, v5, s22, 0
	v_mul_lo_u32 v23, v8, s22
	v_mul_lo_u32 v24, v7, s23
	v_mad_u64_u32 v[19:20], null, v7, s22, 0
	s_mov_b32 s2, -1
	s_mov_b32 s28, exec_lo
	s_delay_alu instid0(VALU_DEP_4) | instskip(NEXT) | instid1(VALU_DEP_2)
	v_add3_u32 v18, v18, v22, v21
	v_add3_u32 v20, v20, v24, v23
	s_delay_alu instid0(VALU_DEP_2) | instskip(NEXT) | instid1(VALU_DEP_2)
	v_lshlrev_b64 v[17:18], 3, v[17:18]
	v_lshlrev_b64 v[21:22], 3, v[19:20]
	s_delay_alu instid0(VALU_DEP_2) | instskip(NEXT) | instid1(VALU_DEP_3)
	v_add_co_u32 v19, vcc_lo, s8, v17
	v_add_co_ci_u32_e32 v20, vcc_lo, s9, v18, vcc_lo
	s_delay_alu instid0(VALU_DEP_3) | instskip(NEXT) | instid1(VALU_DEP_4)
	v_add_co_u32 v17, vcc_lo, s8, v21
	v_add_co_ci_u32_e32 v18, vcc_lo, s9, v22, vcc_lo
	s_clause 0x1
	global_load_b64 v[21:22], v[19:20], off
	global_load_b64 v[23:24], v[17:18], off
	s_waitcnt vmcnt(0)
	v_cmpx_eq_u64_e64 v[21:22], v[23:24]
	s_cbranch_execz .LBB585_299
; %bb.293:
	v_add_co_u32 v17, vcc_lo, v17, 8
	v_add_co_ci_u32_e32 v18, vcc_lo, 0, v18, vcc_lo
	v_add_co_u32 v19, vcc_lo, v19, 8
	v_add_co_ci_u32_e32 v20, vcc_lo, 0, v20, vcc_lo
	s_add_u32 s4, s22, -1
	s_addc_u32 s5, s23, -1
	s_mov_b64 s[6:7], 0
	s_mov_b32 s30, 0
                                        ; implicit-def: $sgpr31
	s_set_inst_prefetch_distance 0x1
	s_branch .LBB585_296
	.p2align	6
.LBB585_294:                            ;   in Loop: Header=BB585_296 Depth=1
	global_load_b64 v[21:22], v[19:20], off
	global_load_b64 v[23:24], v[17:18], off
	v_add_co_u32 v17, vcc_lo, v17, 8
	v_add_co_ci_u32_e32 v18, vcc_lo, 0, v18, vcc_lo
	v_add_co_u32 v19, s2, v19, 8
	s_delay_alu instid0(VALU_DEP_1)
	v_add_co_ci_u32_e64 v20, s2, 0, v20, s2
	s_add_u32 s6, s6, 1
	s_addc_u32 s7, s7, 0
	s_and_not1_b32 s2, s31, exec_lo
	s_waitcnt vmcnt(0)
	v_cmp_ne_u64_e32 vcc_lo, v[21:22], v[23:24]
	s_and_b32 s31, vcc_lo, exec_lo
	s_delay_alu instid0(SALU_CYCLE_1)
	s_or_b32 s31, s2, s31
.LBB585_295:                            ;   in Loop: Header=BB585_296 Depth=1
	v_dual_mov_b32 v22, s7 :: v_dual_mov_b32 v21, s6
	s_and_b32 s2, exec_lo, s31
	s_delay_alu instid0(SALU_CYCLE_1) | instskip(NEXT) | instid1(SALU_CYCLE_1)
	s_or_b32 s30, s2, s30
	s_and_not1_b32 exec_lo, exec_lo, s30
	s_cbranch_execz .LBB585_298
.LBB585_296:                            ; =>This Inner Loop Header: Depth=1
	s_or_b32 s31, s31, exec_lo
	s_cmp_eq_u64 s[4:5], s[6:7]
	s_cbranch_scc0 .LBB585_294
; %bb.297:                              ;   in Loop: Header=BB585_296 Depth=1
	s_mov_b64 s[6:7], s[22:23]
                                        ; implicit-def: $vgpr17_vgpr18
                                        ; implicit-def: $vgpr19_vgpr20
	s_branch .LBB585_295
.LBB585_298:
	s_set_inst_prefetch_distance 0x2
	s_or_b32 exec_lo, exec_lo, s30
	v_cmp_gt_i64_e32 vcc_lo, s[22:23], v[21:22]
	s_or_not1_b32 s2, vcc_lo, exec_lo
.LBB585_299:
	s_or_b32 exec_lo, exec_lo, s28
.LBB585_300:
	s_delay_alu instid0(SALU_CYCLE_1)
	s_and_b32 s28, s2, exec_lo
.LBB585_301:
	s_or_b32 exec_lo, exec_lo, s29
	v_or_b32_e32 v17, 4, v39
	s_mov_b32 s29, exec_lo
	s_delay_alu instid0(VALU_DEP_1)
	v_cmpx_gt_u32_e64 s20, v17
	s_cbranch_execz .LBB585_312
; %bb.302:
	s_and_not1_b32 vcc_lo, exec_lo, s3
	s_mov_b32 s2, 0
	s_cbranch_vccnz .LBB585_311
; %bb.303:
	v_mul_lo_u32 v21, v12, s22
	v_mul_lo_u32 v22, v11, s23
	v_mad_u64_u32 v[17:18], null, v11, s22, 0
	v_mul_lo_u32 v23, v6, s22
	v_mul_lo_u32 v24, v5, s23
	v_mad_u64_u32 v[19:20], null, v5, s22, 0
	s_mov_b32 s2, -1
	s_mov_b32 s27, exec_lo
	s_delay_alu instid0(VALU_DEP_4) | instskip(NEXT) | instid1(VALU_DEP_2)
	v_add3_u32 v18, v18, v22, v21
	v_add3_u32 v20, v20, v24, v23
	s_delay_alu instid0(VALU_DEP_2) | instskip(NEXT) | instid1(VALU_DEP_2)
	v_lshlrev_b64 v[17:18], 3, v[17:18]
	v_lshlrev_b64 v[21:22], 3, v[19:20]
	s_delay_alu instid0(VALU_DEP_2) | instskip(NEXT) | instid1(VALU_DEP_3)
	v_add_co_u32 v19, vcc_lo, s8, v17
	v_add_co_ci_u32_e32 v20, vcc_lo, s9, v18, vcc_lo
	s_delay_alu instid0(VALU_DEP_3) | instskip(NEXT) | instid1(VALU_DEP_4)
	v_add_co_u32 v17, vcc_lo, s8, v21
	v_add_co_ci_u32_e32 v18, vcc_lo, s9, v22, vcc_lo
	s_clause 0x1
	global_load_b64 v[21:22], v[19:20], off
	global_load_b64 v[23:24], v[17:18], off
	s_waitcnt vmcnt(0)
	v_cmpx_eq_u64_e64 v[21:22], v[23:24]
	s_cbranch_execz .LBB585_310
; %bb.304:
	v_add_co_u32 v17, vcc_lo, v17, 8
	v_add_co_ci_u32_e32 v18, vcc_lo, 0, v18, vcc_lo
	v_add_co_u32 v19, vcc_lo, v19, 8
	v_add_co_ci_u32_e32 v20, vcc_lo, 0, v20, vcc_lo
	s_add_u32 s4, s22, -1
	s_addc_u32 s5, s23, -1
	s_mov_b64 s[6:7], 0
	s_mov_b32 s30, 0
                                        ; implicit-def: $sgpr31
	s_set_inst_prefetch_distance 0x1
	s_branch .LBB585_307
	.p2align	6
.LBB585_305:                            ;   in Loop: Header=BB585_307 Depth=1
	global_load_b64 v[21:22], v[19:20], off
	global_load_b64 v[23:24], v[17:18], off
	v_add_co_u32 v17, vcc_lo, v17, 8
	v_add_co_ci_u32_e32 v18, vcc_lo, 0, v18, vcc_lo
	v_add_co_u32 v19, s2, v19, 8
	s_delay_alu instid0(VALU_DEP_1)
	v_add_co_ci_u32_e64 v20, s2, 0, v20, s2
	s_add_u32 s6, s6, 1
	s_addc_u32 s7, s7, 0
	s_and_not1_b32 s2, s31, exec_lo
	s_waitcnt vmcnt(0)
	v_cmp_ne_u64_e32 vcc_lo, v[21:22], v[23:24]
	s_and_b32 s31, vcc_lo, exec_lo
	s_delay_alu instid0(SALU_CYCLE_1)
	s_or_b32 s31, s2, s31
.LBB585_306:                            ;   in Loop: Header=BB585_307 Depth=1
	v_dual_mov_b32 v22, s7 :: v_dual_mov_b32 v21, s6
	s_and_b32 s2, exec_lo, s31
	s_delay_alu instid0(SALU_CYCLE_1) | instskip(NEXT) | instid1(SALU_CYCLE_1)
	s_or_b32 s30, s2, s30
	s_and_not1_b32 exec_lo, exec_lo, s30
	s_cbranch_execz .LBB585_309
.LBB585_307:                            ; =>This Inner Loop Header: Depth=1
	s_or_b32 s31, s31, exec_lo
	s_cmp_eq_u64 s[4:5], s[6:7]
	s_cbranch_scc0 .LBB585_305
; %bb.308:                              ;   in Loop: Header=BB585_307 Depth=1
	s_mov_b64 s[6:7], s[22:23]
                                        ; implicit-def: $vgpr17_vgpr18
                                        ; implicit-def: $vgpr19_vgpr20
	s_branch .LBB585_306
.LBB585_309:
	s_set_inst_prefetch_distance 0x2
	s_or_b32 exec_lo, exec_lo, s30
	v_cmp_gt_i64_e32 vcc_lo, s[22:23], v[21:22]
	s_or_not1_b32 s2, vcc_lo, exec_lo
.LBB585_310:
	s_or_b32 exec_lo, exec_lo, s27
.LBB585_311:
	s_delay_alu instid0(SALU_CYCLE_1)
	s_and_b32 s27, s2, exec_lo
.LBB585_312:
	s_or_b32 exec_lo, exec_lo, s29
	v_or_b32_e32 v17, 3, v39
	s_mov_b32 s30, 0
	s_mov_b32 s29, 0
	s_mov_b32 s31, exec_lo
	s_delay_alu instid0(VALU_DEP_1)
	v_cmpx_gt_u32_e64 s20, v17
	s_cbranch_execz .LBB585_323
; %bb.313:
	s_and_not1_b32 vcc_lo, exec_lo, s3
	s_mov_b32 s2, 0
	s_cbranch_vccnz .LBB585_322
; %bb.314:
	v_mul_lo_u32 v21, v10, s22
	v_mul_lo_u32 v22, v9, s23
	v_mad_u64_u32 v[17:18], null, v9, s22, 0
	v_mul_lo_u32 v23, v12, s22
	v_mul_lo_u32 v24, v11, s23
	v_mad_u64_u32 v[19:20], null, v11, s22, 0
	s_mov_b32 s2, -1
	s_mov_b32 s29, exec_lo
	s_delay_alu instid0(VALU_DEP_4) | instskip(NEXT) | instid1(VALU_DEP_2)
	v_add3_u32 v18, v18, v22, v21
	v_add3_u32 v20, v20, v24, v23
	s_delay_alu instid0(VALU_DEP_2) | instskip(NEXT) | instid1(VALU_DEP_2)
	v_lshlrev_b64 v[17:18], 3, v[17:18]
	v_lshlrev_b64 v[21:22], 3, v[19:20]
	s_delay_alu instid0(VALU_DEP_2) | instskip(NEXT) | instid1(VALU_DEP_3)
	v_add_co_u32 v19, vcc_lo, s8, v17
	v_add_co_ci_u32_e32 v20, vcc_lo, s9, v18, vcc_lo
	s_delay_alu instid0(VALU_DEP_3) | instskip(NEXT) | instid1(VALU_DEP_4)
	v_add_co_u32 v17, vcc_lo, s8, v21
	v_add_co_ci_u32_e32 v18, vcc_lo, s9, v22, vcc_lo
	s_clause 0x1
	global_load_b64 v[21:22], v[19:20], off
	global_load_b64 v[23:24], v[17:18], off
	s_waitcnt vmcnt(0)
	v_cmpx_eq_u64_e64 v[21:22], v[23:24]
	s_cbranch_execz .LBB585_321
; %bb.315:
	v_add_co_u32 v17, vcc_lo, v17, 8
	v_add_co_ci_u32_e32 v18, vcc_lo, 0, v18, vcc_lo
	v_add_co_u32 v19, vcc_lo, v19, 8
	v_add_co_ci_u32_e32 v20, vcc_lo, 0, v20, vcc_lo
	s_add_u32 s4, s22, -1
	s_addc_u32 s5, s23, -1
	s_mov_b64 s[6:7], 0
	s_mov_b32 s33, 0
                                        ; implicit-def: $sgpr34
	s_set_inst_prefetch_distance 0x1
	s_branch .LBB585_318
	.p2align	6
.LBB585_316:                            ;   in Loop: Header=BB585_318 Depth=1
	global_load_b64 v[21:22], v[19:20], off
	global_load_b64 v[23:24], v[17:18], off
	v_add_co_u32 v17, vcc_lo, v17, 8
	v_add_co_ci_u32_e32 v18, vcc_lo, 0, v18, vcc_lo
	v_add_co_u32 v19, s2, v19, 8
	s_delay_alu instid0(VALU_DEP_1)
	v_add_co_ci_u32_e64 v20, s2, 0, v20, s2
	s_add_u32 s6, s6, 1
	s_addc_u32 s7, s7, 0
	s_and_not1_b32 s2, s34, exec_lo
	s_waitcnt vmcnt(0)
	v_cmp_ne_u64_e32 vcc_lo, v[21:22], v[23:24]
	s_and_b32 s34, vcc_lo, exec_lo
	s_delay_alu instid0(SALU_CYCLE_1)
	s_or_b32 s34, s2, s34
.LBB585_317:                            ;   in Loop: Header=BB585_318 Depth=1
	v_dual_mov_b32 v22, s7 :: v_dual_mov_b32 v21, s6
	s_and_b32 s2, exec_lo, s34
	s_delay_alu instid0(SALU_CYCLE_1) | instskip(NEXT) | instid1(SALU_CYCLE_1)
	s_or_b32 s33, s2, s33
	s_and_not1_b32 exec_lo, exec_lo, s33
	s_cbranch_execz .LBB585_320
.LBB585_318:                            ; =>This Inner Loop Header: Depth=1
	s_or_b32 s34, s34, exec_lo
	s_cmp_eq_u64 s[4:5], s[6:7]
	s_cbranch_scc0 .LBB585_316
; %bb.319:                              ;   in Loop: Header=BB585_318 Depth=1
	s_mov_b64 s[6:7], s[22:23]
                                        ; implicit-def: $vgpr17_vgpr18
                                        ; implicit-def: $vgpr19_vgpr20
	s_branch .LBB585_317
.LBB585_320:
	s_set_inst_prefetch_distance 0x2
	s_or_b32 exec_lo, exec_lo, s33
	v_cmp_gt_i64_e32 vcc_lo, s[22:23], v[21:22]
	s_or_not1_b32 s2, vcc_lo, exec_lo
.LBB585_321:
	s_or_b32 exec_lo, exec_lo, s29
.LBB585_322:
	s_delay_alu instid0(SALU_CYCLE_1)
	s_and_b32 s29, s2, exec_lo
.LBB585_323:
	s_or_b32 exec_lo, exec_lo, s31
	v_or_b32_e32 v17, 2, v39
	s_mov_b32 s31, exec_lo
	s_delay_alu instid0(VALU_DEP_1)
	v_cmpx_gt_u32_e64 s20, v17
	s_cbranch_execz .LBB585_334
; %bb.324:
	s_and_not1_b32 vcc_lo, exec_lo, s3
	s_mov_b32 s2, 0
	s_cbranch_vccnz .LBB585_333
; %bb.325:
	v_mul_lo_u32 v21, v16, s22
	v_mul_lo_u32 v22, v15, s23
	v_mad_u64_u32 v[17:18], null, v15, s22, 0
	v_mul_lo_u32 v23, v10, s22
	v_mul_lo_u32 v24, v9, s23
	v_mad_u64_u32 v[19:20], null, v9, s22, 0
	s_mov_b32 s2, -1
	s_mov_b32 s30, exec_lo
	s_delay_alu instid0(VALU_DEP_4) | instskip(NEXT) | instid1(VALU_DEP_2)
	v_add3_u32 v18, v18, v22, v21
	v_add3_u32 v20, v20, v24, v23
	s_delay_alu instid0(VALU_DEP_2) | instskip(NEXT) | instid1(VALU_DEP_2)
	v_lshlrev_b64 v[17:18], 3, v[17:18]
	v_lshlrev_b64 v[21:22], 3, v[19:20]
	s_delay_alu instid0(VALU_DEP_2) | instskip(NEXT) | instid1(VALU_DEP_3)
	v_add_co_u32 v19, vcc_lo, s8, v17
	v_add_co_ci_u32_e32 v20, vcc_lo, s9, v18, vcc_lo
	s_delay_alu instid0(VALU_DEP_3) | instskip(NEXT) | instid1(VALU_DEP_4)
	v_add_co_u32 v17, vcc_lo, s8, v21
	v_add_co_ci_u32_e32 v18, vcc_lo, s9, v22, vcc_lo
	s_clause 0x1
	global_load_b64 v[21:22], v[19:20], off
	global_load_b64 v[23:24], v[17:18], off
	s_waitcnt vmcnt(0)
	v_cmpx_eq_u64_e64 v[21:22], v[23:24]
	s_cbranch_execz .LBB585_332
; %bb.326:
	v_add_co_u32 v17, vcc_lo, v17, 8
	v_add_co_ci_u32_e32 v18, vcc_lo, 0, v18, vcc_lo
	v_add_co_u32 v19, vcc_lo, v19, 8
	v_add_co_ci_u32_e32 v20, vcc_lo, 0, v20, vcc_lo
	s_add_u32 s4, s22, -1
	s_addc_u32 s5, s23, -1
	s_mov_b64 s[6:7], 0
	s_mov_b32 s33, 0
                                        ; implicit-def: $sgpr34
	s_set_inst_prefetch_distance 0x1
	s_branch .LBB585_329
	.p2align	6
.LBB585_327:                            ;   in Loop: Header=BB585_329 Depth=1
	global_load_b64 v[21:22], v[19:20], off
	global_load_b64 v[23:24], v[17:18], off
	v_add_co_u32 v17, vcc_lo, v17, 8
	v_add_co_ci_u32_e32 v18, vcc_lo, 0, v18, vcc_lo
	v_add_co_u32 v19, s2, v19, 8
	s_delay_alu instid0(VALU_DEP_1)
	v_add_co_ci_u32_e64 v20, s2, 0, v20, s2
	s_add_u32 s6, s6, 1
	s_addc_u32 s7, s7, 0
	s_and_not1_b32 s2, s34, exec_lo
	s_waitcnt vmcnt(0)
	v_cmp_ne_u64_e32 vcc_lo, v[21:22], v[23:24]
	s_and_b32 s34, vcc_lo, exec_lo
	s_delay_alu instid0(SALU_CYCLE_1)
	s_or_b32 s34, s2, s34
.LBB585_328:                            ;   in Loop: Header=BB585_329 Depth=1
	v_dual_mov_b32 v22, s7 :: v_dual_mov_b32 v21, s6
	s_and_b32 s2, exec_lo, s34
	s_delay_alu instid0(SALU_CYCLE_1) | instskip(NEXT) | instid1(SALU_CYCLE_1)
	s_or_b32 s33, s2, s33
	s_and_not1_b32 exec_lo, exec_lo, s33
	s_cbranch_execz .LBB585_331
.LBB585_329:                            ; =>This Inner Loop Header: Depth=1
	s_or_b32 s34, s34, exec_lo
	s_cmp_eq_u64 s[4:5], s[6:7]
	s_cbranch_scc0 .LBB585_327
; %bb.330:                              ;   in Loop: Header=BB585_329 Depth=1
	s_mov_b64 s[6:7], s[22:23]
                                        ; implicit-def: $vgpr17_vgpr18
                                        ; implicit-def: $vgpr19_vgpr20
	s_branch .LBB585_328
.LBB585_331:
	s_set_inst_prefetch_distance 0x2
	s_or_b32 exec_lo, exec_lo, s33
	v_cmp_gt_i64_e32 vcc_lo, s[22:23], v[21:22]
	s_or_not1_b32 s2, vcc_lo, exec_lo
.LBB585_332:
	s_or_b32 exec_lo, exec_lo, s30
.LBB585_333:
	s_delay_alu instid0(SALU_CYCLE_1)
	s_and_b32 s30, s2, exec_lo
.LBB585_334:
	s_or_b32 exec_lo, exec_lo, s31
	v_or_b32_e32 v17, 1, v39
	s_mov_b32 s2, 0
	s_mov_b32 s31, exec_lo
	s_delay_alu instid0(VALU_DEP_1)
	v_cmpx_gt_u32_e64 s20, v17
	s_cbranch_execz .LBB585_345
; %bb.335:
	s_and_not1_b32 vcc_lo, exec_lo, s3
	s_cbranch_vccnz .LBB585_344
; %bb.336:
	v_mul_lo_u32 v21, v14, s22
	v_mul_lo_u32 v22, v13, s23
	v_mad_u64_u32 v[17:18], null, v13, s22, 0
	v_mul_lo_u32 v23, v16, s22
	v_mul_lo_u32 v24, v15, s23
	v_mad_u64_u32 v[19:20], null, v15, s22, 0
	s_mov_b32 s2, -1
	s_mov_b32 s33, exec_lo
	s_delay_alu instid0(VALU_DEP_4) | instskip(NEXT) | instid1(VALU_DEP_2)
	v_add3_u32 v18, v18, v22, v21
	v_add3_u32 v20, v20, v24, v23
	s_delay_alu instid0(VALU_DEP_2) | instskip(NEXT) | instid1(VALU_DEP_2)
	v_lshlrev_b64 v[17:18], 3, v[17:18]
	v_lshlrev_b64 v[21:22], 3, v[19:20]
	s_delay_alu instid0(VALU_DEP_2) | instskip(NEXT) | instid1(VALU_DEP_3)
	v_add_co_u32 v19, vcc_lo, s8, v17
	v_add_co_ci_u32_e32 v20, vcc_lo, s9, v18, vcc_lo
	s_delay_alu instid0(VALU_DEP_3) | instskip(NEXT) | instid1(VALU_DEP_4)
	v_add_co_u32 v17, vcc_lo, s8, v21
	v_add_co_ci_u32_e32 v18, vcc_lo, s9, v22, vcc_lo
	s_clause 0x1
	global_load_b64 v[21:22], v[19:20], off
	global_load_b64 v[23:24], v[17:18], off
	s_waitcnt vmcnt(0)
	v_cmpx_eq_u64_e64 v[21:22], v[23:24]
	s_cbranch_execz .LBB585_343
; %bb.337:
	v_add_co_u32 v17, vcc_lo, v17, 8
	v_add_co_ci_u32_e32 v18, vcc_lo, 0, v18, vcc_lo
	v_add_co_u32 v19, vcc_lo, v19, 8
	v_add_co_ci_u32_e32 v20, vcc_lo, 0, v20, vcc_lo
	s_add_u32 s4, s22, -1
	s_addc_u32 s5, s23, -1
	s_mov_b64 s[6:7], 0
	s_mov_b32 s34, 0
                                        ; implicit-def: $sgpr35
	s_set_inst_prefetch_distance 0x1
	s_branch .LBB585_340
	.p2align	6
.LBB585_338:                            ;   in Loop: Header=BB585_340 Depth=1
	global_load_b64 v[21:22], v[19:20], off
	global_load_b64 v[23:24], v[17:18], off
	v_add_co_u32 v17, vcc_lo, v17, 8
	v_add_co_ci_u32_e32 v18, vcc_lo, 0, v18, vcc_lo
	v_add_co_u32 v19, s2, v19, 8
	s_delay_alu instid0(VALU_DEP_1)
	v_add_co_ci_u32_e64 v20, s2, 0, v20, s2
	s_add_u32 s6, s6, 1
	s_addc_u32 s7, s7, 0
	s_and_not1_b32 s2, s35, exec_lo
	s_waitcnt vmcnt(0)
	v_cmp_ne_u64_e32 vcc_lo, v[21:22], v[23:24]
	s_and_b32 s35, vcc_lo, exec_lo
	s_delay_alu instid0(SALU_CYCLE_1)
	s_or_b32 s35, s2, s35
.LBB585_339:                            ;   in Loop: Header=BB585_340 Depth=1
	v_dual_mov_b32 v22, s7 :: v_dual_mov_b32 v21, s6
	s_and_b32 s2, exec_lo, s35
	s_delay_alu instid0(SALU_CYCLE_1) | instskip(NEXT) | instid1(SALU_CYCLE_1)
	s_or_b32 s34, s2, s34
	s_and_not1_b32 exec_lo, exec_lo, s34
	s_cbranch_execz .LBB585_342
.LBB585_340:                            ; =>This Inner Loop Header: Depth=1
	s_or_b32 s35, s35, exec_lo
	s_cmp_eq_u64 s[4:5], s[6:7]
	s_cbranch_scc0 .LBB585_338
; %bb.341:                              ;   in Loop: Header=BB585_340 Depth=1
	s_mov_b64 s[6:7], s[22:23]
                                        ; implicit-def: $vgpr17_vgpr18
                                        ; implicit-def: $vgpr19_vgpr20
	s_branch .LBB585_339
.LBB585_342:
	s_set_inst_prefetch_distance 0x2
	s_or_b32 exec_lo, exec_lo, s34
	v_cmp_gt_i64_e32 vcc_lo, s[22:23], v[21:22]
	s_or_not1_b32 s2, vcc_lo, exec_lo
.LBB585_343:
	s_or_b32 exec_lo, exec_lo, s33
.LBB585_344:
	s_delay_alu instid0(SALU_CYCLE_1)
	s_and_b32 s2, s2, exec_lo
.LBB585_345:
	s_or_b32 exec_lo, exec_lo, s31
	v_cndmask_b32_e64 v18, 0, 1, s29
	v_cndmask_b32_e64 v19, 0, 1, s28
	;; [unrolled: 1-line block ×7, first 2 shown]
	v_lshlrev_b16 v19, 8, v19
	v_lshlrev_b16 v20, 8, v20
	;; [unrolled: 1-line block ×4, first 2 shown]
	s_mov_b32 s19, exec_lo
	v_or_b32_e32 v19, v22, v19
	v_or_b32_e32 v20, v23, v20
	;; [unrolled: 1-line block ×4, first 2 shown]
	s_delay_alu instid0(VALU_DEP_4) | instskip(NEXT) | instid1(VALU_DEP_4)
	v_and_b32_e32 v18, 0xffff, v19
	v_lshlrev_b32_e32 v19, 16, v20
	s_delay_alu instid0(VALU_DEP_4) | instskip(NEXT) | instid1(VALU_DEP_4)
	v_and_b32_e32 v20, 0xffff, v21
	v_lshlrev_b32_e32 v17, 16, v17
	s_barrier
	buffer_gl0_inv
	v_or_b32_e32 v18, v18, v19
                                        ; implicit-def: $sgpr2
	v_or_b32_e32 v17, v20, v17
	v_cmpx_ne_u32_e32 0, v0
	s_cbranch_execz .LBB585_358
; %bb.346:
	s_mov_b32 s2, 0
	s_mov_b32 s26, exec_lo
	v_cmpx_gt_u32_e64 s20, v39
	s_cbranch_execz .LBB585_357
; %bb.347:
	s_and_not1_b32 vcc_lo, exec_lo, s3
	s_cbranch_vccnz .LBB585_356
; %bb.348:
	v_add_nc_u32_e32 v19, -8, v39
	v_mul_lo_u32 v26, v13, s23
	v_mad_u64_u32 v[22:23], null, v13, s22, 0
	s_mov_b32 s2, -1
	ds_load_b64 v[19:20], v19
	s_mov_b32 s3, exec_lo
	s_waitcnt lgkmcnt(0)
	v_mul_lo_u32 v24, v20, s22
	v_mul_lo_u32 v25, v19, s23
	v_mad_u64_u32 v[20:21], null, v19, s22, 0
	v_mul_lo_u32 v19, v14, s22
	s_delay_alu instid0(VALU_DEP_2) | instskip(NEXT) | instid1(VALU_DEP_2)
	v_add3_u32 v21, v21, v25, v24
	v_add3_u32 v23, v23, v26, v19
	s_delay_alu instid0(VALU_DEP_2) | instskip(NEXT) | instid1(VALU_DEP_2)
	v_lshlrev_b64 v[19:20], 3, v[20:21]
	v_lshlrev_b64 v[23:24], 3, v[22:23]
	s_delay_alu instid0(VALU_DEP_2) | instskip(NEXT) | instid1(VALU_DEP_3)
	v_add_co_u32 v21, vcc_lo, s8, v19
	v_add_co_ci_u32_e32 v22, vcc_lo, s9, v20, vcc_lo
	s_delay_alu instid0(VALU_DEP_3) | instskip(NEXT) | instid1(VALU_DEP_4)
	v_add_co_u32 v19, vcc_lo, s8, v23
	v_add_co_ci_u32_e32 v20, vcc_lo, s9, v24, vcc_lo
	s_clause 0x1
	global_load_b64 v[23:24], v[21:22], off
	global_load_b64 v[25:26], v[19:20], off
	s_waitcnt vmcnt(0)
	v_cmpx_eq_u64_e64 v[23:24], v[25:26]
	s_cbranch_execz .LBB585_355
; %bb.349:
	v_add_co_u32 v19, vcc_lo, v19, 8
	v_add_co_ci_u32_e32 v20, vcc_lo, 0, v20, vcc_lo
	v_add_co_u32 v21, vcc_lo, v21, 8
	v_add_co_ci_u32_e32 v22, vcc_lo, 0, v22, vcc_lo
	s_add_u32 s4, s22, -1
	s_addc_u32 s5, s23, -1
	s_mov_b64 s[6:7], 0
	s_mov_b32 s8, 0
                                        ; implicit-def: $sgpr9
	s_set_inst_prefetch_distance 0x1
	s_branch .LBB585_352
	.p2align	6
.LBB585_350:                            ;   in Loop: Header=BB585_352 Depth=1
	global_load_b64 v[23:24], v[21:22], off
	global_load_b64 v[25:26], v[19:20], off
	v_add_co_u32 v19, vcc_lo, v19, 8
	v_add_co_ci_u32_e32 v20, vcc_lo, 0, v20, vcc_lo
	v_add_co_u32 v21, s2, v21, 8
	s_delay_alu instid0(VALU_DEP_1)
	v_add_co_ci_u32_e64 v22, s2, 0, v22, s2
	s_add_u32 s6, s6, 1
	s_addc_u32 s7, s7, 0
	s_and_not1_b32 s2, s9, exec_lo
	s_waitcnt vmcnt(0)
	v_cmp_ne_u64_e32 vcc_lo, v[23:24], v[25:26]
	s_and_b32 s9, vcc_lo, exec_lo
	s_delay_alu instid0(SALU_CYCLE_1)
	s_or_b32 s9, s2, s9
.LBB585_351:                            ;   in Loop: Header=BB585_352 Depth=1
	v_dual_mov_b32 v24, s7 :: v_dual_mov_b32 v23, s6
	s_and_b32 s2, exec_lo, s9
	s_delay_alu instid0(SALU_CYCLE_1) | instskip(NEXT) | instid1(SALU_CYCLE_1)
	s_or_b32 s8, s2, s8
	s_and_not1_b32 exec_lo, exec_lo, s8
	s_cbranch_execz .LBB585_354
.LBB585_352:                            ; =>This Inner Loop Header: Depth=1
	s_or_b32 s9, s9, exec_lo
	s_cmp_eq_u64 s[4:5], s[6:7]
	s_cbranch_scc0 .LBB585_350
; %bb.353:                              ;   in Loop: Header=BB585_352 Depth=1
	s_mov_b64 s[6:7], s[22:23]
                                        ; implicit-def: $vgpr19_vgpr20
                                        ; implicit-def: $vgpr21_vgpr22
	s_branch .LBB585_351
.LBB585_354:
	s_set_inst_prefetch_distance 0x2
	s_or_b32 exec_lo, exec_lo, s8
	v_cmp_gt_i64_e32 vcc_lo, s[22:23], v[23:24]
	s_or_not1_b32 s2, vcc_lo, exec_lo
.LBB585_355:
	s_or_b32 exec_lo, exec_lo, s3
.LBB585_356:
	s_delay_alu instid0(SALU_CYCLE_1)
	s_and_b32 s2, s2, exec_lo
.LBB585_357:
	s_or_b32 exec_lo, exec_lo, s26
	s_delay_alu instid0(SALU_CYCLE_1)
	s_and_b32 s2, s2, exec_lo
	s_or_b32 s18, s18, exec_lo
.LBB585_358:
	s_or_b32 exec_lo, exec_lo, s19
.LBB585_359:
	s_and_saveexec_b32 s3, s18
	s_cbranch_execz .LBB585_361
; %bb.360:
	s_waitcnt lgkmcnt(0)
	v_and_b32_e32 v19, 0xffffff00, v17
	v_cndmask_b32_e64 v20, 0, 1, s2
	s_delay_alu instid0(VALU_DEP_1) | instskip(NEXT) | instid1(VALU_DEP_1)
	v_or_b32_e32 v19, v20, v19
	v_and_b32_e32 v19, 0xffff, v19
	s_delay_alu instid0(VALU_DEP_1)
	v_and_or_b32 v17, 0xffff0000, v17, v19
.LBB585_361:
	s_or_b32 exec_lo, exec_lo, s3
	s_delay_alu instid0(SALU_CYCLE_1)
	s_and_not1_b32 vcc_lo, exec_lo, s24
	s_cbranch_vccnz .LBB585_363
; %bb.362:
	v_cmp_gt_u32_e32 vcc_lo, s20, v39
	s_waitcnt lgkmcnt(0)
	v_or_b32_e32 v20, 1, v39
	v_and_b32_e32 v21, 0xffffff00, v18
	v_or_b32_e32 v22, 2, v39
	v_cndmask_b32_e32 v19, 0, v17, vcc_lo
	s_delay_alu instid0(VALU_DEP_4) | instskip(SKIP_1) | instid1(VALU_DEP_4)
	v_cmp_gt_u32_e32 vcc_lo, s20, v20
	v_or_b32_e32 v20, 4, v39
	v_cmp_gt_u32_e64 s2, s20, v22
	v_or_b32_e32 v22, 3, v39
	v_and_b32_e32 v19, 0xff, v19
	s_delay_alu instid0(VALU_DEP_2) | instskip(NEXT) | instid1(VALU_DEP_2)
	v_cmp_gt_u32_e64 s3, s20, v22
	v_cndmask_b32_e32 v19, v19, v17, vcc_lo
	v_cmp_gt_u32_e32 vcc_lo, s20, v20
	v_cndmask_b32_e32 v20, v21, v18, vcc_lo
	v_or_b32_e32 v21, 5, v39
	s_delay_alu instid0(VALU_DEP_2) | instskip(SKIP_1) | instid1(VALU_DEP_1)
	v_and_b32_e32 v20, 0xffff00ff, v20
	v_and_b32_e32 v19, 0xffff, v19
	v_cndmask_b32_e64 v19, v19, v17, s2
	s_delay_alu instid0(VALU_DEP_4) | instskip(SKIP_1) | instid1(VALU_DEP_3)
	v_cmp_gt_u32_e64 s2, s20, v21
	v_or_b32_e32 v21, 6, v39
	v_and_b32_e32 v19, 0xffffff, v19
	s_delay_alu instid0(VALU_DEP_3) | instskip(NEXT) | instid1(VALU_DEP_2)
	v_cndmask_b32_e64 v20, v20, v18, s2
	v_cndmask_b32_e64 v19, v19, v17, s3
	s_delay_alu instid0(VALU_DEP_1) | instskip(SKIP_2) | instid1(VALU_DEP_3)
	v_dual_cndmask_b32 v19, v19, v17 :: v_dual_and_b32 v20, 0xff00ffff, v20
	v_cmp_gt_u32_e32 vcc_lo, s20, v21
	v_or_b32_e32 v21, 7, v39
	v_cndmask_b32_e64 v19, v19, v17, s2
	s_delay_alu instid0(VALU_DEP_1) | instskip(NEXT) | instid1(VALU_DEP_1)
	v_dual_cndmask_b32 v20, v20, v18 :: v_dual_cndmask_b32 v19, v19, v17
	v_and_b32_e32 v20, 0xffffff, v20
	s_delay_alu instid0(VALU_DEP_4) | instskip(NEXT) | instid1(VALU_DEP_2)
	v_cmp_gt_u32_e32 vcc_lo, s20, v21
	v_dual_cndmask_b32 v18, v20, v18 :: v_dual_cndmask_b32 v17, v19, v17
.LBB585_363:
	s_delay_alu instid0(VALU_DEP_1) | instskip(SKIP_1) | instid1(VALU_DEP_2)
	v_and_b32_e32 v26, 0xff, v17
	s_waitcnt lgkmcnt(0)
	v_alignbit_b32 v19, v18, v17, 24
	v_bfe_u32 v28, v17, 8, 8
	v_bfe_u32 v30, v17, 16, 8
	v_and_b32_e32 v34, 0xff, v18
	v_bfe_u32 v36, v18, 8, 8
	v_and_b32_e32 v32, 0xff, v19
	v_add_nc_u32_e32 v19, v28, v26
	v_mbcnt_lo_u32_b32 v41, -1, 0
	v_bfe_u32 v38, v18, 16, 8
	v_lshrrev_b32_e32 v40, 24, v18
	v_lshrrev_b32_e32 v42, 5, v0
	v_add3_u32 v19, v19, v30, v32
	v_and_b32_e32 v20, 15, v41
	v_and_b32_e32 v21, 16, v41
	s_and_b32 vcc_lo, exec_lo, s25
	s_mov_b32 s18, -1
	v_add3_u32 v19, v19, v34, v36
	v_cmp_eq_u32_e64 s4, 0, v20
	v_cmp_lt_u32_e64 s2, 1, v20
	v_cmp_lt_u32_e64 s5, 3, v20
	;; [unrolled: 1-line block ×3, first 2 shown]
	v_add3_u32 v43, v19, v38, v40
	v_or_b32_e32 v19, 31, v0
	v_cmp_eq_u32_e64 s7, 0, v21
	s_barrier
	buffer_gl0_inv
	v_cmp_eq_u32_e64 s6, v19, v0
	s_cbranch_vccz .LBB585_394
; %bb.364:
	v_mov_b32_dpp v19, v43 row_shr:1 row_mask:0xf bank_mask:0xf
	s_delay_alu instid0(VALU_DEP_1) | instskip(NEXT) | instid1(VALU_DEP_1)
	v_cndmask_b32_e64 v19, v19, 0, s4
	v_add_nc_u32_e32 v19, v19, v43
	s_delay_alu instid0(VALU_DEP_1) | instskip(NEXT) | instid1(VALU_DEP_1)
	v_mov_b32_dpp v20, v19 row_shr:2 row_mask:0xf bank_mask:0xf
	v_cndmask_b32_e64 v20, 0, v20, s2
	s_delay_alu instid0(VALU_DEP_1) | instskip(NEXT) | instid1(VALU_DEP_1)
	v_add_nc_u32_e32 v19, v19, v20
	v_mov_b32_dpp v20, v19 row_shr:4 row_mask:0xf bank_mask:0xf
	s_delay_alu instid0(VALU_DEP_1) | instskip(NEXT) | instid1(VALU_DEP_1)
	v_cndmask_b32_e64 v20, 0, v20, s5
	v_add_nc_u32_e32 v19, v19, v20
	s_delay_alu instid0(VALU_DEP_1) | instskip(NEXT) | instid1(VALU_DEP_1)
	v_mov_b32_dpp v20, v19 row_shr:8 row_mask:0xf bank_mask:0xf
	v_cndmask_b32_e64 v20, 0, v20, s3
	s_delay_alu instid0(VALU_DEP_1) | instskip(SKIP_3) | instid1(VALU_DEP_1)
	v_add_nc_u32_e32 v19, v19, v20
	ds_swizzle_b32 v20, v19 offset:swizzle(BROADCAST,32,15)
	s_waitcnt lgkmcnt(0)
	v_cndmask_b32_e64 v20, v20, 0, s7
	v_add_nc_u32_e32 v19, v19, v20
	s_and_saveexec_b32 s8, s6
	s_cbranch_execz .LBB585_366
; %bb.365:
	v_lshlrev_b32_e32 v20, 2, v42
	ds_store_b32 v20, v19
.LBB585_366:
	s_or_b32 exec_lo, exec_lo, s8
	s_delay_alu instid0(SALU_CYCLE_1)
	s_mov_b32 s8, exec_lo
	s_waitcnt lgkmcnt(0)
	s_barrier
	buffer_gl0_inv
	v_cmpx_gt_u32_e32 16, v0
	s_cbranch_execz .LBB585_368
; %bb.367:
	v_lshlrev_b32_e32 v20, 2, v0
	ds_load_b32 v21, v20
	s_waitcnt lgkmcnt(0)
	v_mov_b32_dpp v22, v21 row_shr:1 row_mask:0xf bank_mask:0xf
	s_delay_alu instid0(VALU_DEP_1) | instskip(NEXT) | instid1(VALU_DEP_1)
	v_cndmask_b32_e64 v22, v22, 0, s4
	v_add_nc_u32_e32 v21, v22, v21
	s_delay_alu instid0(VALU_DEP_1) | instskip(NEXT) | instid1(VALU_DEP_1)
	v_mov_b32_dpp v22, v21 row_shr:2 row_mask:0xf bank_mask:0xf
	v_cndmask_b32_e64 v22, 0, v22, s2
	s_delay_alu instid0(VALU_DEP_1) | instskip(NEXT) | instid1(VALU_DEP_1)
	v_add_nc_u32_e32 v21, v21, v22
	v_mov_b32_dpp v22, v21 row_shr:4 row_mask:0xf bank_mask:0xf
	s_delay_alu instid0(VALU_DEP_1) | instskip(NEXT) | instid1(VALU_DEP_1)
	v_cndmask_b32_e64 v22, 0, v22, s5
	v_add_nc_u32_e32 v21, v21, v22
	s_delay_alu instid0(VALU_DEP_1) | instskip(NEXT) | instid1(VALU_DEP_1)
	v_mov_b32_dpp v22, v21 row_shr:8 row_mask:0xf bank_mask:0xf
	v_cndmask_b32_e64 v22, 0, v22, s3
	s_delay_alu instid0(VALU_DEP_1)
	v_add_nc_u32_e32 v21, v21, v22
	ds_store_b32 v20, v21
.LBB585_368:
	s_or_b32 exec_lo, exec_lo, s8
	v_cmp_gt_u32_e32 vcc_lo, 32, v0
	s_mov_b32 s9, exec_lo
	s_waitcnt lgkmcnt(0)
	s_barrier
	buffer_gl0_inv
                                        ; implicit-def: $vgpr27
	v_cmpx_lt_u32_e32 31, v0
	s_cbranch_execz .LBB585_370
; %bb.369:
	v_lshl_add_u32 v20, v42, 2, -4
	ds_load_b32 v27, v20
	s_waitcnt lgkmcnt(0)
	v_add_nc_u32_e32 v19, v27, v19
.LBB585_370:
	s_or_b32 exec_lo, exec_lo, s9
	v_add_nc_u32_e32 v20, -1, v41
	s_delay_alu instid0(VALU_DEP_1) | instskip(NEXT) | instid1(VALU_DEP_1)
	v_cmp_gt_i32_e64 s8, 0, v20
	v_cndmask_b32_e64 v20, v20, v41, s8
	v_cmp_eq_u32_e64 s8, 0, v41
	s_delay_alu instid0(VALU_DEP_2)
	v_lshlrev_b32_e32 v20, 2, v20
	ds_bpermute_b32 v29, v20, v19
	s_and_saveexec_b32 s9, vcc_lo
	s_cbranch_execz .LBB585_393
; %bb.371:
	v_mov_b32_e32 v22, 0
	ds_load_b32 v19, v22 offset:60
	s_and_saveexec_b32 s18, s8
	s_cbranch_execz .LBB585_373
; %bb.372:
	s_add_i32 s22, s15, 32
	s_mov_b32 s23, 0
	v_mov_b32_e32 v20, 1
	s_lshl_b64 s[22:23], s[22:23], 3
	s_delay_alu instid0(SALU_CYCLE_1)
	s_add_u32 s22, s10, s22
	s_addc_u32 s23, s11, s23
	s_waitcnt lgkmcnt(0)
	global_store_b64 v22, v[19:20], s[22:23]
.LBB585_373:
	s_or_b32 exec_lo, exec_lo, s18
	v_xad_u32 v20, v41, -1, s15
	s_mov_b32 s19, 0
	s_mov_b32 s18, exec_lo
	s_delay_alu instid0(VALU_DEP_1) | instskip(NEXT) | instid1(VALU_DEP_1)
	v_add_nc_u32_e32 v21, 32, v20
	v_lshlrev_b64 v[21:22], 3, v[21:22]
	s_delay_alu instid0(VALU_DEP_1) | instskip(NEXT) | instid1(VALU_DEP_2)
	v_add_co_u32 v24, vcc_lo, s10, v21
	v_add_co_ci_u32_e32 v25, vcc_lo, s11, v22, vcc_lo
	global_load_b64 v[22:23], v[24:25], off glc
	s_waitcnt vmcnt(0)
	v_and_b32_e32 v21, 0xff, v23
	s_delay_alu instid0(VALU_DEP_1)
	v_cmpx_eq_u16_e32 0, v21
	s_cbranch_execz .LBB585_379
; %bb.374:
	s_mov_b32 s20, 1
	.p2align	6
.LBB585_375:                            ; =>This Loop Header: Depth=1
                                        ;     Child Loop BB585_376 Depth 2
	s_delay_alu instid0(SALU_CYCLE_1)
	s_max_u32 s22, s20, 1
.LBB585_376:                            ;   Parent Loop BB585_375 Depth=1
                                        ; =>  This Inner Loop Header: Depth=2
	s_delay_alu instid0(SALU_CYCLE_1)
	s_add_i32 s22, s22, -1
	s_sleep 1
	s_cmp_eq_u32 s22, 0
	s_cbranch_scc0 .LBB585_376
; %bb.377:                              ;   in Loop: Header=BB585_375 Depth=1
	global_load_b64 v[22:23], v[24:25], off glc
	s_cmp_lt_u32 s20, 32
	s_cselect_b32 s22, -1, 0
	s_delay_alu instid0(SALU_CYCLE_1) | instskip(SKIP_3) | instid1(VALU_DEP_1)
	s_cmp_lg_u32 s22, 0
	s_addc_u32 s20, s20, 0
	s_waitcnt vmcnt(0)
	v_and_b32_e32 v21, 0xff, v23
	v_cmp_ne_u16_e32 vcc_lo, 0, v21
	s_or_b32 s19, vcc_lo, s19
	s_delay_alu instid0(SALU_CYCLE_1)
	s_and_not1_b32 exec_lo, exec_lo, s19
	s_cbranch_execnz .LBB585_375
; %bb.378:
	s_or_b32 exec_lo, exec_lo, s19
.LBB585_379:
	s_delay_alu instid0(SALU_CYCLE_1)
	s_or_b32 exec_lo, exec_lo, s18
	v_cmp_ne_u32_e32 vcc_lo, 31, v41
	v_lshlrev_b32_e64 v33, v41, -1
	v_add_nc_u32_e32 v37, 2, v41
	v_add_nc_u32_e32 v46, 4, v41
	;; [unrolled: 1-line block ×3, first 2 shown]
	v_add_co_ci_u32_e32 v21, vcc_lo, 0, v41, vcc_lo
	v_add_nc_u32_e32 v50, 16, v41
	s_delay_alu instid0(VALU_DEP_2)
	v_lshlrev_b32_e32 v31, 2, v21
	v_and_b32_e32 v21, 0xff, v23
	ds_bpermute_b32 v24, v31, v22
	v_cmp_eq_u16_e32 vcc_lo, 2, v21
	v_and_or_b32 v21, vcc_lo, v33, 0x80000000
	v_cmp_gt_u32_e32 vcc_lo, 30, v41
	s_delay_alu instid0(VALU_DEP_2) | instskip(SKIP_1) | instid1(VALU_DEP_2)
	v_ctz_i32_b32_e32 v21, v21
	v_cndmask_b32_e64 v25, 0, 1, vcc_lo
	v_cmp_lt_u32_e32 vcc_lo, v41, v21
	s_waitcnt lgkmcnt(0)
	s_delay_alu instid0(VALU_DEP_2) | instskip(NEXT) | instid1(VALU_DEP_1)
	v_dual_cndmask_b32 v24, 0, v24 :: v_dual_lshlrev_b32 v25, 1, v25
	v_add_lshl_u32 v35, v25, v41, 2
	v_cmp_gt_u32_e32 vcc_lo, 28, v41
	s_delay_alu instid0(VALU_DEP_3) | instskip(SKIP_4) | instid1(VALU_DEP_1)
	v_add_nc_u32_e32 v22, v24, v22
	v_cndmask_b32_e64 v25, 0, 1, vcc_lo
	v_cmp_le_u32_e32 vcc_lo, v37, v21
	ds_bpermute_b32 v24, v35, v22
	v_lshlrev_b32_e32 v25, 2, v25
	v_add_lshl_u32 v44, v25, v41, 2
	s_waitcnt lgkmcnt(0)
	v_cndmask_b32_e32 v24, 0, v24, vcc_lo
	v_cmp_gt_u32_e32 vcc_lo, 24, v41
	s_delay_alu instid0(VALU_DEP_2) | instskip(SKIP_4) | instid1(VALU_DEP_1)
	v_add_nc_u32_e32 v22, v22, v24
	v_cndmask_b32_e64 v25, 0, 1, vcc_lo
	v_cmp_le_u32_e32 vcc_lo, v46, v21
	ds_bpermute_b32 v24, v44, v22
	v_lshlrev_b32_e32 v25, 3, v25
	v_add_lshl_u32 v47, v25, v41, 2
	s_waitcnt lgkmcnt(0)
	v_cndmask_b32_e32 v24, 0, v24, vcc_lo
	v_cmp_gt_u32_e32 vcc_lo, 16, v41
	s_delay_alu instid0(VALU_DEP_2) | instskip(SKIP_4) | instid1(VALU_DEP_1)
	v_add_nc_u32_e32 v22, v22, v24
	v_cndmask_b32_e64 v25, 0, 1, vcc_lo
	v_cmp_le_u32_e32 vcc_lo, v48, v21
	ds_bpermute_b32 v24, v47, v22
	v_lshlrev_b32_e32 v25, 4, v25
	v_add_lshl_u32 v49, v25, v41, 2
	s_waitcnt lgkmcnt(0)
	v_cndmask_b32_e32 v24, 0, v24, vcc_lo
	v_cmp_le_u32_e32 vcc_lo, v50, v21
	s_delay_alu instid0(VALU_DEP_2) | instskip(SKIP_3) | instid1(VALU_DEP_1)
	v_add_nc_u32_e32 v22, v22, v24
	ds_bpermute_b32 v24, v49, v22
	s_waitcnt lgkmcnt(0)
	v_cndmask_b32_e32 v21, 0, v24, vcc_lo
	v_dual_mov_b32 v21, 0 :: v_dual_add_nc_u32 v22, v22, v21
	s_branch .LBB585_381
.LBB585_380:                            ;   in Loop: Header=BB585_381 Depth=1
	s_or_b32 exec_lo, exec_lo, s18
	ds_bpermute_b32 v25, v31, v22
	v_and_b32_e32 v24, 0xff, v23
	v_subrev_nc_u32_e32 v20, 32, v20
	s_delay_alu instid0(VALU_DEP_2) | instskip(SKIP_1) | instid1(VALU_DEP_1)
	v_cmp_eq_u16_e32 vcc_lo, 2, v24
	v_and_or_b32 v24, vcc_lo, v33, 0x80000000
	v_ctz_i32_b32_e32 v24, v24
	s_delay_alu instid0(VALU_DEP_1) | instskip(SKIP_3) | instid1(VALU_DEP_2)
	v_cmp_lt_u32_e32 vcc_lo, v41, v24
	s_waitcnt lgkmcnt(0)
	v_cndmask_b32_e32 v25, 0, v25, vcc_lo
	v_cmp_le_u32_e32 vcc_lo, v37, v24
	v_add_nc_u32_e32 v22, v25, v22
	ds_bpermute_b32 v25, v35, v22
	s_waitcnt lgkmcnt(0)
	v_cndmask_b32_e32 v25, 0, v25, vcc_lo
	v_cmp_le_u32_e32 vcc_lo, v46, v24
	s_delay_alu instid0(VALU_DEP_2) | instskip(SKIP_4) | instid1(VALU_DEP_2)
	v_add_nc_u32_e32 v22, v22, v25
	ds_bpermute_b32 v25, v44, v22
	s_waitcnt lgkmcnt(0)
	v_cndmask_b32_e32 v25, 0, v25, vcc_lo
	v_cmp_le_u32_e32 vcc_lo, v48, v24
	v_add_nc_u32_e32 v22, v22, v25
	ds_bpermute_b32 v25, v47, v22
	s_waitcnt lgkmcnt(0)
	v_cndmask_b32_e32 v25, 0, v25, vcc_lo
	v_cmp_le_u32_e32 vcc_lo, v50, v24
	s_delay_alu instid0(VALU_DEP_2) | instskip(SKIP_3) | instid1(VALU_DEP_1)
	v_add_nc_u32_e32 v22, v22, v25
	ds_bpermute_b32 v25, v49, v22
	s_waitcnt lgkmcnt(0)
	v_cndmask_b32_e32 v24, 0, v25, vcc_lo
	v_add3_u32 v22, v24, v45, v22
.LBB585_381:                            ; =>This Loop Header: Depth=1
                                        ;     Child Loop BB585_384 Depth 2
                                        ;       Child Loop BB585_385 Depth 3
	v_and_b32_e32 v23, 0xff, v23
	s_delay_alu instid0(VALU_DEP_2) | instskip(NEXT) | instid1(VALU_DEP_2)
	v_mov_b32_e32 v45, v22
	v_cmp_ne_u16_e32 vcc_lo, 2, v23
	v_cndmask_b32_e64 v23, 0, 1, vcc_lo
	;;#ASMSTART
	;;#ASMEND
	s_delay_alu instid0(VALU_DEP_1)
	v_cmp_ne_u32_e32 vcc_lo, 0, v23
	s_cmp_lg_u32 vcc_lo, exec_lo
	s_cbranch_scc1 .LBB585_388
; %bb.382:                              ;   in Loop: Header=BB585_381 Depth=1
	v_lshlrev_b64 v[22:23], 3, v[20:21]
	s_mov_b32 s18, exec_lo
	s_delay_alu instid0(VALU_DEP_1) | instskip(NEXT) | instid1(VALU_DEP_2)
	v_add_co_u32 v24, vcc_lo, s10, v22
	v_add_co_ci_u32_e32 v25, vcc_lo, s11, v23, vcc_lo
	global_load_b64 v[22:23], v[24:25], off glc
	s_waitcnt vmcnt(0)
	v_and_b32_e32 v51, 0xff, v23
	s_delay_alu instid0(VALU_DEP_1)
	v_cmpx_eq_u16_e32 0, v51
	s_cbranch_execz .LBB585_380
; %bb.383:                              ;   in Loop: Header=BB585_381 Depth=1
	s_mov_b32 s20, 1
	s_mov_b32 s19, 0
	.p2align	6
.LBB585_384:                            ;   Parent Loop BB585_381 Depth=1
                                        ; =>  This Loop Header: Depth=2
                                        ;       Child Loop BB585_385 Depth 3
	s_max_u32 s22, s20, 1
.LBB585_385:                            ;   Parent Loop BB585_381 Depth=1
                                        ;     Parent Loop BB585_384 Depth=2
                                        ; =>    This Inner Loop Header: Depth=3
	s_delay_alu instid0(SALU_CYCLE_1)
	s_add_i32 s22, s22, -1
	s_sleep 1
	s_cmp_eq_u32 s22, 0
	s_cbranch_scc0 .LBB585_385
; %bb.386:                              ;   in Loop: Header=BB585_384 Depth=2
	global_load_b64 v[22:23], v[24:25], off glc
	s_cmp_lt_u32 s20, 32
	s_cselect_b32 s22, -1, 0
	s_delay_alu instid0(SALU_CYCLE_1) | instskip(SKIP_3) | instid1(VALU_DEP_1)
	s_cmp_lg_u32 s22, 0
	s_addc_u32 s20, s20, 0
	s_waitcnt vmcnt(0)
	v_and_b32_e32 v51, 0xff, v23
	v_cmp_ne_u16_e32 vcc_lo, 0, v51
	s_or_b32 s19, vcc_lo, s19
	s_delay_alu instid0(SALU_CYCLE_1)
	s_and_not1_b32 exec_lo, exec_lo, s19
	s_cbranch_execnz .LBB585_384
; %bb.387:                              ;   in Loop: Header=BB585_381 Depth=1
	s_or_b32 exec_lo, exec_lo, s19
	s_branch .LBB585_380
.LBB585_388:                            ;   in Loop: Header=BB585_381 Depth=1
                                        ; implicit-def: $vgpr22
                                        ; implicit-def: $vgpr23
	s_cbranch_execz .LBB585_381
; %bb.389:
	s_and_saveexec_b32 s18, s8
	s_cbranch_execz .LBB585_391
; %bb.390:
	s_add_i32 s22, s15, 32
	s_mov_b32 s23, 0
	v_dual_mov_b32 v21, 2 :: v_dual_add_nc_u32 v20, v45, v19
	s_lshl_b64 s[22:23], s[22:23], 3
	v_mov_b32_e32 v22, 0
	v_add_nc_u32_e64 v23, 0x8400, 0
	s_add_u32 s22, s10, s22
	s_addc_u32 s23, s11, s23
	global_store_b64 v22, v[20:21], s[22:23]
	ds_store_2addr_b32 v23, v19, v45 offset1:2
.LBB585_391:
	s_or_b32 exec_lo, exec_lo, s18
	v_cmp_eq_u32_e32 vcc_lo, 0, v0
	s_and_b32 exec_lo, exec_lo, vcc_lo
	s_cbranch_execz .LBB585_393
; %bb.392:
	v_mov_b32_e32 v19, 0
	ds_store_b32 v19, v45 offset:60
.LBB585_393:
	s_or_b32 exec_lo, exec_lo, s9
	s_waitcnt lgkmcnt(0)
	v_cndmask_b32_e64 v20, v29, v27, s8
	v_cmp_ne_u32_e32 vcc_lo, 0, v0
	v_mov_b32_e32 v19, 0
	s_waitcnt_vscnt null, 0x0
	s_barrier
	buffer_gl0_inv
	v_cndmask_b32_e32 v20, 0, v20, vcc_lo
	ds_load_b32 v19, v19 offset:60
	s_waitcnt lgkmcnt(0)
	s_barrier
	buffer_gl0_inv
	v_add_nc_u32_e32 v37, v19, v20
	v_add_nc_u32_e64 v19, 0x8400, 0
	s_delay_alu instid0(VALU_DEP_2) | instskip(SKIP_2) | instid1(VALU_DEP_1)
	v_add_nc_u32_e32 v35, v37, v26
	ds_load_2addr_b32 v[19:20], v19 offset1:2
	v_add_nc_u32_e32 v33, v35, v28
	v_add_nc_u32_e32 v31, v33, v30
	s_delay_alu instid0(VALU_DEP_1) | instskip(NEXT) | instid1(VALU_DEP_1)
	v_add_nc_u32_e32 v29, v31, v32
	v_add_nc_u32_e32 v27, v29, v34
	s_delay_alu instid0(VALU_DEP_1) | instskip(NEXT) | instid1(VALU_DEP_1)
	v_add_nc_u32_e32 v25, v27, v36
	v_add_nc_u32_e32 v23, v25, v38
	s_load_b64 s[8:9], s[0:1], 0x28
	v_lshrrev_b64 v[21:22], 24, v[17:18]
	s_branch .LBB585_404
.LBB585_394:
                                        ; implicit-def: $vgpr23
                                        ; implicit-def: $vgpr25
                                        ; implicit-def: $vgpr27
                                        ; implicit-def: $vgpr29
                                        ; implicit-def: $vgpr31
                                        ; implicit-def: $vgpr33
                                        ; implicit-def: $vgpr35
                                        ; implicit-def: $vgpr37
                                        ; implicit-def: $vgpr20
	s_load_b64 s[8:9], s[0:1], 0x28
	v_lshrrev_b64 v[21:22], 24, v[17:18]
	s_and_b32 vcc_lo, exec_lo, s18
	s_cbranch_vccz .LBB585_404
; %bb.395:
	s_waitcnt lgkmcnt(0)
	v_mov_b32_dpp v19, v43 row_shr:1 row_mask:0xf bank_mask:0xf
	s_delay_alu instid0(VALU_DEP_1) | instskip(NEXT) | instid1(VALU_DEP_1)
	v_cndmask_b32_e64 v19, v19, 0, s4
	v_add_nc_u32_e32 v19, v19, v43
	s_delay_alu instid0(VALU_DEP_1) | instskip(NEXT) | instid1(VALU_DEP_1)
	v_mov_b32_dpp v20, v19 row_shr:2 row_mask:0xf bank_mask:0xf
	v_cndmask_b32_e64 v20, 0, v20, s2
	s_delay_alu instid0(VALU_DEP_1) | instskip(NEXT) | instid1(VALU_DEP_1)
	v_add_nc_u32_e32 v19, v19, v20
	v_mov_b32_dpp v20, v19 row_shr:4 row_mask:0xf bank_mask:0xf
	s_delay_alu instid0(VALU_DEP_1) | instskip(NEXT) | instid1(VALU_DEP_1)
	v_cndmask_b32_e64 v20, 0, v20, s5
	v_add_nc_u32_e32 v19, v19, v20
	s_delay_alu instid0(VALU_DEP_1) | instskip(NEXT) | instid1(VALU_DEP_1)
	v_mov_b32_dpp v20, v19 row_shr:8 row_mask:0xf bank_mask:0xf
	v_cndmask_b32_e64 v20, 0, v20, s3
	s_delay_alu instid0(VALU_DEP_1) | instskip(SKIP_3) | instid1(VALU_DEP_1)
	v_add_nc_u32_e32 v19, v19, v20
	ds_swizzle_b32 v20, v19 offset:swizzle(BROADCAST,32,15)
	s_waitcnt lgkmcnt(0)
	v_cndmask_b32_e64 v20, v20, 0, s7
	v_add_nc_u32_e32 v19, v19, v20
	s_and_saveexec_b32 s0, s6
	s_cbranch_execz .LBB585_397
; %bb.396:
	v_lshlrev_b32_e32 v20, 2, v42
	ds_store_b32 v20, v19
.LBB585_397:
	s_or_b32 exec_lo, exec_lo, s0
	s_delay_alu instid0(SALU_CYCLE_1)
	s_mov_b32 s0, exec_lo
	s_waitcnt lgkmcnt(0)
	s_barrier
	buffer_gl0_inv
	v_cmpx_gt_u32_e32 16, v0
	s_cbranch_execz .LBB585_399
; %bb.398:
	v_lshlrev_b32_e32 v20, 2, v0
	ds_load_b32 v22, v20
	s_waitcnt lgkmcnt(0)
	v_mov_b32_dpp v23, v22 row_shr:1 row_mask:0xf bank_mask:0xf
	s_delay_alu instid0(VALU_DEP_1) | instskip(NEXT) | instid1(VALU_DEP_1)
	v_cndmask_b32_e64 v23, v23, 0, s4
	v_add_nc_u32_e32 v22, v23, v22
	s_delay_alu instid0(VALU_DEP_1) | instskip(NEXT) | instid1(VALU_DEP_1)
	v_mov_b32_dpp v23, v22 row_shr:2 row_mask:0xf bank_mask:0xf
	v_cndmask_b32_e64 v23, 0, v23, s2
	s_delay_alu instid0(VALU_DEP_1) | instskip(NEXT) | instid1(VALU_DEP_1)
	v_add_nc_u32_e32 v22, v22, v23
	v_mov_b32_dpp v23, v22 row_shr:4 row_mask:0xf bank_mask:0xf
	s_delay_alu instid0(VALU_DEP_1) | instskip(NEXT) | instid1(VALU_DEP_1)
	v_cndmask_b32_e64 v23, 0, v23, s5
	v_add_nc_u32_e32 v22, v22, v23
	s_delay_alu instid0(VALU_DEP_1) | instskip(NEXT) | instid1(VALU_DEP_1)
	v_mov_b32_dpp v23, v22 row_shr:8 row_mask:0xf bank_mask:0xf
	v_cndmask_b32_e64 v23, 0, v23, s3
	s_delay_alu instid0(VALU_DEP_1)
	v_add_nc_u32_e32 v22, v22, v23
	ds_store_b32 v20, v22
.LBB585_399:
	s_or_b32 exec_lo, exec_lo, s0
	v_mov_b32_e32 v20, 0
	v_mov_b32_e32 v22, 0
	s_mov_b32 s0, exec_lo
	s_waitcnt lgkmcnt(0)
	s_barrier
	buffer_gl0_inv
	v_cmpx_lt_u32_e32 31, v0
	s_cbranch_execz .LBB585_401
; %bb.400:
	v_lshl_add_u32 v22, v42, 2, -4
	ds_load_b32 v22, v22
.LBB585_401:
	s_or_b32 exec_lo, exec_lo, s0
	v_add_nc_u32_e32 v23, -1, v41
	s_waitcnt lgkmcnt(0)
	v_add_nc_u32_e32 v19, v22, v19
	s_delay_alu instid0(VALU_DEP_2) | instskip(SKIP_2) | instid1(VALU_DEP_2)
	v_cmp_gt_i32_e32 vcc_lo, 0, v23
	v_cndmask_b32_e32 v23, v23, v41, vcc_lo
	v_cmp_eq_u32_e32 vcc_lo, 0, v0
	v_lshlrev_b32_e32 v23, 2, v23
	ds_bpermute_b32 v23, v23, v19
	ds_load_b32 v19, v20 offset:60
	s_and_saveexec_b32 s0, vcc_lo
	s_cbranch_execz .LBB585_403
; %bb.402:
	v_mov_b32_e32 v24, 0
	v_mov_b32_e32 v20, 2
	s_waitcnt lgkmcnt(0)
	global_store_b64 v24, v[19:20], s[10:11] offset:256
.LBB585_403:
	s_or_b32 exec_lo, exec_lo, s0
	v_cmp_eq_u32_e64 s0, 0, v41
	s_waitcnt lgkmcnt(0)
	s_waitcnt_vscnt null, 0x0
	s_barrier
	buffer_gl0_inv
	v_cndmask_b32_e64 v20, v23, v22, s0
	s_delay_alu instid0(VALU_DEP_1) | instskip(NEXT) | instid1(VALU_DEP_1)
	v_cndmask_b32_e64 v37, v20, 0, vcc_lo
	v_dual_mov_b32 v20, 0 :: v_dual_add_nc_u32 v35, v37, v26
	s_delay_alu instid0(VALU_DEP_1) | instskip(NEXT) | instid1(VALU_DEP_1)
	v_add_nc_u32_e32 v33, v35, v28
	v_add_nc_u32_e32 v31, v33, v30
	s_delay_alu instid0(VALU_DEP_1) | instskip(NEXT) | instid1(VALU_DEP_1)
	v_add_nc_u32_e32 v29, v31, v32
	v_add_nc_u32_e32 v27, v29, v34
	s_delay_alu instid0(VALU_DEP_1) | instskip(NEXT) | instid1(VALU_DEP_1)
	v_add_nc_u32_e32 v25, v27, v36
	v_add_nc_u32_e32 v23, v25, v38
.LBB585_404:
	s_waitcnt lgkmcnt(0)
	v_cmp_gt_u32_e32 vcc_lo, 0x201, v19
	v_lshrrev_b32_e32 v43, 8, v17
	v_lshrrev_b32_e32 v42, 16, v17
	;; [unrolled: 1-line block ×4, first 2 shown]
	s_mov_b32 s0, -1
	s_cbranch_vccnz .LBB585_408
; %bb.405:
	s_and_b32 vcc_lo, exec_lo, s0
	s_cbranch_vccnz .LBB585_433
.LBB585_406:
	v_cmp_eq_u32_e32 vcc_lo, 0, v0
	s_and_b32 s0, vcc_lo, s14
	s_delay_alu instid0(SALU_CYCLE_1)
	s_and_saveexec_b32 s1, s0
	s_cbranch_execnz .LBB585_453
.LBB585_407:
	s_nop 0
	s_sendmsg sendmsg(MSG_DEALLOC_VGPRS)
	s_endpgm
.LBB585_408:
	v_add_nc_u32_e32 v24, v20, v19
	s_delay_alu instid0(VALU_DEP_1) | instskip(SKIP_1) | instid1(SALU_CYCLE_1)
	v_cmp_lt_u32_e32 vcc_lo, v37, v24
	s_or_b32 s1, s21, vcc_lo
	s_and_saveexec_b32 s0, s1
	s_cbranch_execz .LBB585_411
; %bb.409:
	v_and_b32_e32 v26, 1, v17
	s_delay_alu instid0(VALU_DEP_1)
	v_cmp_eq_u32_e32 vcc_lo, 1, v26
	s_and_b32 exec_lo, exec_lo, vcc_lo
	s_cbranch_execz .LBB585_411
; %bb.410:
	v_mov_b32_e32 v38, 0
	s_lshl_b64 s[2:3], s[12:13], 3
	s_delay_alu instid0(SALU_CYCLE_1) | instskip(SKIP_1) | instid1(VALU_DEP_1)
	s_add_u32 s1, s8, s2
	s_addc_u32 s2, s9, s3
	v_lshlrev_b64 v[44:45], 3, v[37:38]
	s_delay_alu instid0(VALU_DEP_1) | instskip(NEXT) | instid1(VALU_DEP_2)
	v_add_co_u32 v44, vcc_lo, s1, v44
	v_add_co_ci_u32_e32 v45, vcc_lo, s2, v45, vcc_lo
	global_store_b64 v[44:45], v[13:14], off
.LBB585_411:
	s_or_b32 exec_lo, exec_lo, s0
	v_cmp_lt_u32_e32 vcc_lo, v35, v24
	s_or_b32 s1, s21, vcc_lo
	s_delay_alu instid0(SALU_CYCLE_1)
	s_and_saveexec_b32 s0, s1
	s_cbranch_execz .LBB585_414
; %bb.412:
	v_and_b32_e32 v26, 1, v43
	s_delay_alu instid0(VALU_DEP_1)
	v_cmp_eq_u32_e32 vcc_lo, 1, v26
	s_and_b32 exec_lo, exec_lo, vcc_lo
	s_cbranch_execz .LBB585_414
; %bb.413:
	v_mov_b32_e32 v36, 0
	s_lshl_b64 s[2:3], s[12:13], 3
	s_delay_alu instid0(SALU_CYCLE_1) | instskip(SKIP_1) | instid1(VALU_DEP_1)
	s_add_u32 s1, s8, s2
	s_addc_u32 s2, s9, s3
	v_lshlrev_b64 v[44:45], 3, v[35:36]
	s_delay_alu instid0(VALU_DEP_1) | instskip(NEXT) | instid1(VALU_DEP_2)
	v_add_co_u32 v44, vcc_lo, s1, v44
	v_add_co_ci_u32_e32 v45, vcc_lo, s2, v45, vcc_lo
	global_store_b64 v[44:45], v[15:16], off
.LBB585_414:
	s_or_b32 exec_lo, exec_lo, s0
	v_cmp_lt_u32_e32 vcc_lo, v33, v24
	s_or_b32 s1, s21, vcc_lo
	s_delay_alu instid0(SALU_CYCLE_1)
	;; [unrolled: 24-line block ×7, first 2 shown]
	s_and_saveexec_b32 s0, s1
	s_cbranch_execz .LBB585_432
; %bb.430:
	v_and_b32_e32 v24, 1, v40
	s_delay_alu instid0(VALU_DEP_1)
	v_cmp_eq_u32_e32 vcc_lo, 1, v24
	s_and_b32 exec_lo, exec_lo, vcc_lo
	s_cbranch_execz .LBB585_432
; %bb.431:
	v_mov_b32_e32 v24, 0
	s_lshl_b64 s[2:3], s[12:13], 3
	s_delay_alu instid0(SALU_CYCLE_1) | instskip(SKIP_1) | instid1(VALU_DEP_1)
	s_add_u32 s1, s8, s2
	s_addc_u32 s2, s9, s3
	v_lshlrev_b64 v[44:45], 3, v[23:24]
	s_delay_alu instid0(VALU_DEP_1) | instskip(NEXT) | instid1(VALU_DEP_2)
	v_add_co_u32 v44, vcc_lo, s1, v44
	v_add_co_ci_u32_e32 v45, vcc_lo, s2, v45, vcc_lo
	global_store_b64 v[44:45], v[3:4], off
.LBB585_432:
	s_or_b32 exec_lo, exec_lo, s0
	s_branch .LBB585_406
.LBB585_433:
	v_and_b32_e32 v17, 1, v17
	s_mov_b32 s0, exec_lo
	s_delay_alu instid0(VALU_DEP_1)
	v_cmpx_eq_u32_e32 1, v17
	s_cbranch_execz .LBB585_435
; %bb.434:
	v_sub_nc_u32_e32 v17, v37, v20
	s_delay_alu instid0(VALU_DEP_1)
	v_lshlrev_b32_e32 v17, 3, v17
	ds_store_b64 v17, v[13:14]
.LBB585_435:
	s_or_b32 exec_lo, exec_lo, s0
	v_and_b32_e32 v13, 1, v43
	s_mov_b32 s0, exec_lo
	s_delay_alu instid0(VALU_DEP_1)
	v_cmpx_eq_u32_e32 1, v13
	s_cbranch_execz .LBB585_437
; %bb.436:
	v_sub_nc_u32_e32 v13, v35, v20
	s_delay_alu instid0(VALU_DEP_1)
	v_lshlrev_b32_e32 v13, 3, v13
	ds_store_b64 v13, v[15:16]
.LBB585_437:
	s_or_b32 exec_lo, exec_lo, s0
	;; [unrolled: 12-line block ×8, first 2 shown]
	s_delay_alu instid0(SALU_CYCLE_1)
	s_mov_b32 s1, exec_lo
	s_waitcnt lgkmcnt(0)
	s_waitcnt_vscnt null, 0x0
	s_barrier
	buffer_gl0_inv
	v_cmpx_lt_u32_e64 v0, v19
	s_cbranch_execz .LBB585_452
; %bb.450:
	v_dual_mov_b32 v2, 0 :: v_dual_mov_b32 v1, v20
	s_lshl_b64 s[2:3], s[12:13], 3
	v_mov_b32_e32 v3, v0
	s_delay_alu instid0(VALU_DEP_2) | instskip(NEXT) | instid1(VALU_DEP_1)
	v_lshlrev_b64 v[1:2], 3, v[1:2]
	v_add_co_u32 v1, vcc_lo, s2, v1
	s_delay_alu instid0(VALU_DEP_2) | instskip(SKIP_1) | instid1(VALU_DEP_2)
	v_add_co_ci_u32_e32 v2, vcc_lo, s3, v2, vcc_lo
	s_mov_b32 s2, 0
	v_add_co_u32 v1, vcc_lo, s8, v1
	s_delay_alu instid0(VALU_DEP_2) | instskip(NEXT) | instid1(VALU_DEP_2)
	v_add_co_ci_u32_e32 v2, vcc_lo, s9, v2, vcc_lo
	v_add_co_u32 v1, vcc_lo, v1, v39
	s_delay_alu instid0(VALU_DEP_2)
	v_add_co_ci_u32_e32 v2, vcc_lo, 0, v2, vcc_lo
	.p2align	6
.LBB585_451:                            ; =>This Inner Loop Header: Depth=1
	ds_load_b64 v[4:5], v39
	v_add_nc_u32_e32 v3, 0x200, v3
	v_add_nc_u32_e32 v39, 0x1000, v39
	s_delay_alu instid0(VALU_DEP_2) | instskip(SKIP_4) | instid1(VALU_DEP_1)
	v_cmp_ge_u32_e32 vcc_lo, v3, v19
	s_or_b32 s2, vcc_lo, s2
	s_waitcnt lgkmcnt(0)
	global_store_b64 v[1:2], v[4:5], off
	v_add_co_u32 v1, s0, 0x1000, v1
	v_add_co_ci_u32_e64 v2, s0, 0, v2, s0
	s_and_not1_b32 exec_lo, exec_lo, s2
	s_cbranch_execnz .LBB585_451
.LBB585_452:
	s_or_b32 exec_lo, exec_lo, s1
	v_cmp_eq_u32_e32 vcc_lo, 0, v0
	s_and_b32 s0, vcc_lo, s14
	s_delay_alu instid0(SALU_CYCLE_1)
	s_and_saveexec_b32 s1, s0
	s_cbranch_execz .LBB585_407
.LBB585_453:
	v_add_co_u32 v0, s0, s12, v19
	s_delay_alu instid0(VALU_DEP_1) | instskip(SKIP_1) | instid1(VALU_DEP_3)
	v_add_co_ci_u32_e64 v1, null, s13, 0, s0
	v_mov_b32_e32 v2, 0
	v_add_co_u32 v0, vcc_lo, v0, v20
	s_delay_alu instid0(VALU_DEP_3)
	v_add_co_ci_u32_e32 v1, vcc_lo, 0, v1, vcc_lo
	global_store_b64 v2, v[0:1], s[16:17]
	s_nop 0
	s_sendmsg sendmsg(MSG_DEALLOC_VGPRS)
	s_endpgm
	.section	.rodata,"a",@progbits
	.p2align	6, 0x0
	.amdhsa_kernel _ZN7rocprim17ROCPRIM_400000_NS6detail17trampoline_kernelINS0_14default_configENS1_25partition_config_selectorILNS1_17partition_subalgoE8ElNS0_10empty_typeEbEEZZNS1_14partition_implILS5_8ELb0ES3_jPlPS6_PKS6_NS0_5tupleIJS9_S6_EEENSD_IJSA_SA_EEENS0_18inequality_wrapperIZN2at6native12_GLOBAL__N_124unique_dim_cuda_templateIlEESt5tupleIJNSH_6TensorESM_SM_EERKSM_lbbbEUlllE0_EEPmJS6_EEE10hipError_tPvRmT3_T4_T5_T6_T7_T9_mT8_P12ihipStream_tbDpT10_ENKUlT_T0_E_clISt17integral_constantIbLb1EES1B_IbLb0EEEEDaS17_S18_EUlS17_E_NS1_11comp_targetILNS1_3genE9ELNS1_11target_archE1100ELNS1_3gpuE3ELNS1_3repE0EEENS1_30default_config_static_selectorELNS0_4arch9wavefront6targetE0EEEvT1_
		.amdhsa_group_segment_fixed_size 33804
		.amdhsa_private_segment_fixed_size 0
		.amdhsa_kernarg_size 120
		.amdhsa_user_sgpr_count 15
		.amdhsa_user_sgpr_dispatch_ptr 0
		.amdhsa_user_sgpr_queue_ptr 0
		.amdhsa_user_sgpr_kernarg_segment_ptr 1
		.amdhsa_user_sgpr_dispatch_id 0
		.amdhsa_user_sgpr_private_segment_size 0
		.amdhsa_wavefront_size32 1
		.amdhsa_uses_dynamic_stack 0
		.amdhsa_enable_private_segment 0
		.amdhsa_system_sgpr_workgroup_id_x 1
		.amdhsa_system_sgpr_workgroup_id_y 0
		.amdhsa_system_sgpr_workgroup_id_z 0
		.amdhsa_system_sgpr_workgroup_info 0
		.amdhsa_system_vgpr_workitem_id 0
		.amdhsa_next_free_vgpr 52
		.amdhsa_next_free_sgpr 36
		.amdhsa_reserve_vcc 1
		.amdhsa_float_round_mode_32 0
		.amdhsa_float_round_mode_16_64 0
		.amdhsa_float_denorm_mode_32 3
		.amdhsa_float_denorm_mode_16_64 3
		.amdhsa_dx10_clamp 1
		.amdhsa_ieee_mode 1
		.amdhsa_fp16_overflow 0
		.amdhsa_workgroup_processor_mode 1
		.amdhsa_memory_ordered 1
		.amdhsa_forward_progress 0
		.amdhsa_shared_vgpr_count 0
		.amdhsa_exception_fp_ieee_invalid_op 0
		.amdhsa_exception_fp_denorm_src 0
		.amdhsa_exception_fp_ieee_div_zero 0
		.amdhsa_exception_fp_ieee_overflow 0
		.amdhsa_exception_fp_ieee_underflow 0
		.amdhsa_exception_fp_ieee_inexact 0
		.amdhsa_exception_int_div_zero 0
	.end_amdhsa_kernel
	.section	.text._ZN7rocprim17ROCPRIM_400000_NS6detail17trampoline_kernelINS0_14default_configENS1_25partition_config_selectorILNS1_17partition_subalgoE8ElNS0_10empty_typeEbEEZZNS1_14partition_implILS5_8ELb0ES3_jPlPS6_PKS6_NS0_5tupleIJS9_S6_EEENSD_IJSA_SA_EEENS0_18inequality_wrapperIZN2at6native12_GLOBAL__N_124unique_dim_cuda_templateIlEESt5tupleIJNSH_6TensorESM_SM_EERKSM_lbbbEUlllE0_EEPmJS6_EEE10hipError_tPvRmT3_T4_T5_T6_T7_T9_mT8_P12ihipStream_tbDpT10_ENKUlT_T0_E_clISt17integral_constantIbLb1EES1B_IbLb0EEEEDaS17_S18_EUlS17_E_NS1_11comp_targetILNS1_3genE9ELNS1_11target_archE1100ELNS1_3gpuE3ELNS1_3repE0EEENS1_30default_config_static_selectorELNS0_4arch9wavefront6targetE0EEEvT1_,"axG",@progbits,_ZN7rocprim17ROCPRIM_400000_NS6detail17trampoline_kernelINS0_14default_configENS1_25partition_config_selectorILNS1_17partition_subalgoE8ElNS0_10empty_typeEbEEZZNS1_14partition_implILS5_8ELb0ES3_jPlPS6_PKS6_NS0_5tupleIJS9_S6_EEENSD_IJSA_SA_EEENS0_18inequality_wrapperIZN2at6native12_GLOBAL__N_124unique_dim_cuda_templateIlEESt5tupleIJNSH_6TensorESM_SM_EERKSM_lbbbEUlllE0_EEPmJS6_EEE10hipError_tPvRmT3_T4_T5_T6_T7_T9_mT8_P12ihipStream_tbDpT10_ENKUlT_T0_E_clISt17integral_constantIbLb1EES1B_IbLb0EEEEDaS17_S18_EUlS17_E_NS1_11comp_targetILNS1_3genE9ELNS1_11target_archE1100ELNS1_3gpuE3ELNS1_3repE0EEENS1_30default_config_static_selectorELNS0_4arch9wavefront6targetE0EEEvT1_,comdat
.Lfunc_end585:
	.size	_ZN7rocprim17ROCPRIM_400000_NS6detail17trampoline_kernelINS0_14default_configENS1_25partition_config_selectorILNS1_17partition_subalgoE8ElNS0_10empty_typeEbEEZZNS1_14partition_implILS5_8ELb0ES3_jPlPS6_PKS6_NS0_5tupleIJS9_S6_EEENSD_IJSA_SA_EEENS0_18inequality_wrapperIZN2at6native12_GLOBAL__N_124unique_dim_cuda_templateIlEESt5tupleIJNSH_6TensorESM_SM_EERKSM_lbbbEUlllE0_EEPmJS6_EEE10hipError_tPvRmT3_T4_T5_T6_T7_T9_mT8_P12ihipStream_tbDpT10_ENKUlT_T0_E_clISt17integral_constantIbLb1EES1B_IbLb0EEEEDaS17_S18_EUlS17_E_NS1_11comp_targetILNS1_3genE9ELNS1_11target_archE1100ELNS1_3gpuE3ELNS1_3repE0EEENS1_30default_config_static_selectorELNS0_4arch9wavefront6targetE0EEEvT1_, .Lfunc_end585-_ZN7rocprim17ROCPRIM_400000_NS6detail17trampoline_kernelINS0_14default_configENS1_25partition_config_selectorILNS1_17partition_subalgoE8ElNS0_10empty_typeEbEEZZNS1_14partition_implILS5_8ELb0ES3_jPlPS6_PKS6_NS0_5tupleIJS9_S6_EEENSD_IJSA_SA_EEENS0_18inequality_wrapperIZN2at6native12_GLOBAL__N_124unique_dim_cuda_templateIlEESt5tupleIJNSH_6TensorESM_SM_EERKSM_lbbbEUlllE0_EEPmJS6_EEE10hipError_tPvRmT3_T4_T5_T6_T7_T9_mT8_P12ihipStream_tbDpT10_ENKUlT_T0_E_clISt17integral_constantIbLb1EES1B_IbLb0EEEEDaS17_S18_EUlS17_E_NS1_11comp_targetILNS1_3genE9ELNS1_11target_archE1100ELNS1_3gpuE3ELNS1_3repE0EEENS1_30default_config_static_selectorELNS0_4arch9wavefront6targetE0EEEvT1_
                                        ; -- End function
	.section	.AMDGPU.csdata,"",@progbits
; Kernel info:
; codeLenInByte = 18332
; NumSgprs: 38
; NumVgprs: 52
; ScratchSize: 0
; MemoryBound: 1
; FloatMode: 240
; IeeeMode: 1
; LDSByteSize: 33804 bytes/workgroup (compile time only)
; SGPRBlocks: 4
; VGPRBlocks: 6
; NumSGPRsForWavesPerEU: 38
; NumVGPRsForWavesPerEU: 52
; Occupancy: 12
; WaveLimiterHint : 1
; COMPUTE_PGM_RSRC2:SCRATCH_EN: 0
; COMPUTE_PGM_RSRC2:USER_SGPR: 15
; COMPUTE_PGM_RSRC2:TRAP_HANDLER: 0
; COMPUTE_PGM_RSRC2:TGID_X_EN: 1
; COMPUTE_PGM_RSRC2:TGID_Y_EN: 0
; COMPUTE_PGM_RSRC2:TGID_Z_EN: 0
; COMPUTE_PGM_RSRC2:TIDIG_COMP_CNT: 0
	.section	.text._ZN7rocprim17ROCPRIM_400000_NS6detail17trampoline_kernelINS0_14default_configENS1_25partition_config_selectorILNS1_17partition_subalgoE8ElNS0_10empty_typeEbEEZZNS1_14partition_implILS5_8ELb0ES3_jPlPS6_PKS6_NS0_5tupleIJS9_S6_EEENSD_IJSA_SA_EEENS0_18inequality_wrapperIZN2at6native12_GLOBAL__N_124unique_dim_cuda_templateIlEESt5tupleIJNSH_6TensorESM_SM_EERKSM_lbbbEUlllE0_EEPmJS6_EEE10hipError_tPvRmT3_T4_T5_T6_T7_T9_mT8_P12ihipStream_tbDpT10_ENKUlT_T0_E_clISt17integral_constantIbLb1EES1B_IbLb0EEEEDaS17_S18_EUlS17_E_NS1_11comp_targetILNS1_3genE8ELNS1_11target_archE1030ELNS1_3gpuE2ELNS1_3repE0EEENS1_30default_config_static_selectorELNS0_4arch9wavefront6targetE0EEEvT1_,"axG",@progbits,_ZN7rocprim17ROCPRIM_400000_NS6detail17trampoline_kernelINS0_14default_configENS1_25partition_config_selectorILNS1_17partition_subalgoE8ElNS0_10empty_typeEbEEZZNS1_14partition_implILS5_8ELb0ES3_jPlPS6_PKS6_NS0_5tupleIJS9_S6_EEENSD_IJSA_SA_EEENS0_18inequality_wrapperIZN2at6native12_GLOBAL__N_124unique_dim_cuda_templateIlEESt5tupleIJNSH_6TensorESM_SM_EERKSM_lbbbEUlllE0_EEPmJS6_EEE10hipError_tPvRmT3_T4_T5_T6_T7_T9_mT8_P12ihipStream_tbDpT10_ENKUlT_T0_E_clISt17integral_constantIbLb1EES1B_IbLb0EEEEDaS17_S18_EUlS17_E_NS1_11comp_targetILNS1_3genE8ELNS1_11target_archE1030ELNS1_3gpuE2ELNS1_3repE0EEENS1_30default_config_static_selectorELNS0_4arch9wavefront6targetE0EEEvT1_,comdat
	.globl	_ZN7rocprim17ROCPRIM_400000_NS6detail17trampoline_kernelINS0_14default_configENS1_25partition_config_selectorILNS1_17partition_subalgoE8ElNS0_10empty_typeEbEEZZNS1_14partition_implILS5_8ELb0ES3_jPlPS6_PKS6_NS0_5tupleIJS9_S6_EEENSD_IJSA_SA_EEENS0_18inequality_wrapperIZN2at6native12_GLOBAL__N_124unique_dim_cuda_templateIlEESt5tupleIJNSH_6TensorESM_SM_EERKSM_lbbbEUlllE0_EEPmJS6_EEE10hipError_tPvRmT3_T4_T5_T6_T7_T9_mT8_P12ihipStream_tbDpT10_ENKUlT_T0_E_clISt17integral_constantIbLb1EES1B_IbLb0EEEEDaS17_S18_EUlS17_E_NS1_11comp_targetILNS1_3genE8ELNS1_11target_archE1030ELNS1_3gpuE2ELNS1_3repE0EEENS1_30default_config_static_selectorELNS0_4arch9wavefront6targetE0EEEvT1_ ; -- Begin function _ZN7rocprim17ROCPRIM_400000_NS6detail17trampoline_kernelINS0_14default_configENS1_25partition_config_selectorILNS1_17partition_subalgoE8ElNS0_10empty_typeEbEEZZNS1_14partition_implILS5_8ELb0ES3_jPlPS6_PKS6_NS0_5tupleIJS9_S6_EEENSD_IJSA_SA_EEENS0_18inequality_wrapperIZN2at6native12_GLOBAL__N_124unique_dim_cuda_templateIlEESt5tupleIJNSH_6TensorESM_SM_EERKSM_lbbbEUlllE0_EEPmJS6_EEE10hipError_tPvRmT3_T4_T5_T6_T7_T9_mT8_P12ihipStream_tbDpT10_ENKUlT_T0_E_clISt17integral_constantIbLb1EES1B_IbLb0EEEEDaS17_S18_EUlS17_E_NS1_11comp_targetILNS1_3genE8ELNS1_11target_archE1030ELNS1_3gpuE2ELNS1_3repE0EEENS1_30default_config_static_selectorELNS0_4arch9wavefront6targetE0EEEvT1_
	.p2align	8
	.type	_ZN7rocprim17ROCPRIM_400000_NS6detail17trampoline_kernelINS0_14default_configENS1_25partition_config_selectorILNS1_17partition_subalgoE8ElNS0_10empty_typeEbEEZZNS1_14partition_implILS5_8ELb0ES3_jPlPS6_PKS6_NS0_5tupleIJS9_S6_EEENSD_IJSA_SA_EEENS0_18inequality_wrapperIZN2at6native12_GLOBAL__N_124unique_dim_cuda_templateIlEESt5tupleIJNSH_6TensorESM_SM_EERKSM_lbbbEUlllE0_EEPmJS6_EEE10hipError_tPvRmT3_T4_T5_T6_T7_T9_mT8_P12ihipStream_tbDpT10_ENKUlT_T0_E_clISt17integral_constantIbLb1EES1B_IbLb0EEEEDaS17_S18_EUlS17_E_NS1_11comp_targetILNS1_3genE8ELNS1_11target_archE1030ELNS1_3gpuE2ELNS1_3repE0EEENS1_30default_config_static_selectorELNS0_4arch9wavefront6targetE0EEEvT1_,@function
_ZN7rocprim17ROCPRIM_400000_NS6detail17trampoline_kernelINS0_14default_configENS1_25partition_config_selectorILNS1_17partition_subalgoE8ElNS0_10empty_typeEbEEZZNS1_14partition_implILS5_8ELb0ES3_jPlPS6_PKS6_NS0_5tupleIJS9_S6_EEENSD_IJSA_SA_EEENS0_18inequality_wrapperIZN2at6native12_GLOBAL__N_124unique_dim_cuda_templateIlEESt5tupleIJNSH_6TensorESM_SM_EERKSM_lbbbEUlllE0_EEPmJS6_EEE10hipError_tPvRmT3_T4_T5_T6_T7_T9_mT8_P12ihipStream_tbDpT10_ENKUlT_T0_E_clISt17integral_constantIbLb1EES1B_IbLb0EEEEDaS17_S18_EUlS17_E_NS1_11comp_targetILNS1_3genE8ELNS1_11target_archE1030ELNS1_3gpuE2ELNS1_3repE0EEENS1_30default_config_static_selectorELNS0_4arch9wavefront6targetE0EEEvT1_: ; @_ZN7rocprim17ROCPRIM_400000_NS6detail17trampoline_kernelINS0_14default_configENS1_25partition_config_selectorILNS1_17partition_subalgoE8ElNS0_10empty_typeEbEEZZNS1_14partition_implILS5_8ELb0ES3_jPlPS6_PKS6_NS0_5tupleIJS9_S6_EEENSD_IJSA_SA_EEENS0_18inequality_wrapperIZN2at6native12_GLOBAL__N_124unique_dim_cuda_templateIlEESt5tupleIJNSH_6TensorESM_SM_EERKSM_lbbbEUlllE0_EEPmJS6_EEE10hipError_tPvRmT3_T4_T5_T6_T7_T9_mT8_P12ihipStream_tbDpT10_ENKUlT_T0_E_clISt17integral_constantIbLb1EES1B_IbLb0EEEEDaS17_S18_EUlS17_E_NS1_11comp_targetILNS1_3genE8ELNS1_11target_archE1030ELNS1_3gpuE2ELNS1_3repE0EEENS1_30default_config_static_selectorELNS0_4arch9wavefront6targetE0EEEvT1_
; %bb.0:
	.section	.rodata,"a",@progbits
	.p2align	6, 0x0
	.amdhsa_kernel _ZN7rocprim17ROCPRIM_400000_NS6detail17trampoline_kernelINS0_14default_configENS1_25partition_config_selectorILNS1_17partition_subalgoE8ElNS0_10empty_typeEbEEZZNS1_14partition_implILS5_8ELb0ES3_jPlPS6_PKS6_NS0_5tupleIJS9_S6_EEENSD_IJSA_SA_EEENS0_18inequality_wrapperIZN2at6native12_GLOBAL__N_124unique_dim_cuda_templateIlEESt5tupleIJNSH_6TensorESM_SM_EERKSM_lbbbEUlllE0_EEPmJS6_EEE10hipError_tPvRmT3_T4_T5_T6_T7_T9_mT8_P12ihipStream_tbDpT10_ENKUlT_T0_E_clISt17integral_constantIbLb1EES1B_IbLb0EEEEDaS17_S18_EUlS17_E_NS1_11comp_targetILNS1_3genE8ELNS1_11target_archE1030ELNS1_3gpuE2ELNS1_3repE0EEENS1_30default_config_static_selectorELNS0_4arch9wavefront6targetE0EEEvT1_
		.amdhsa_group_segment_fixed_size 0
		.amdhsa_private_segment_fixed_size 0
		.amdhsa_kernarg_size 120
		.amdhsa_user_sgpr_count 15
		.amdhsa_user_sgpr_dispatch_ptr 0
		.amdhsa_user_sgpr_queue_ptr 0
		.amdhsa_user_sgpr_kernarg_segment_ptr 1
		.amdhsa_user_sgpr_dispatch_id 0
		.amdhsa_user_sgpr_private_segment_size 0
		.amdhsa_wavefront_size32 1
		.amdhsa_uses_dynamic_stack 0
		.amdhsa_enable_private_segment 0
		.amdhsa_system_sgpr_workgroup_id_x 1
		.amdhsa_system_sgpr_workgroup_id_y 0
		.amdhsa_system_sgpr_workgroup_id_z 0
		.amdhsa_system_sgpr_workgroup_info 0
		.amdhsa_system_vgpr_workitem_id 0
		.amdhsa_next_free_vgpr 1
		.amdhsa_next_free_sgpr 1
		.amdhsa_reserve_vcc 0
		.amdhsa_float_round_mode_32 0
		.amdhsa_float_round_mode_16_64 0
		.amdhsa_float_denorm_mode_32 3
		.amdhsa_float_denorm_mode_16_64 3
		.amdhsa_dx10_clamp 1
		.amdhsa_ieee_mode 1
		.amdhsa_fp16_overflow 0
		.amdhsa_workgroup_processor_mode 1
		.amdhsa_memory_ordered 1
		.amdhsa_forward_progress 0
		.amdhsa_shared_vgpr_count 0
		.amdhsa_exception_fp_ieee_invalid_op 0
		.amdhsa_exception_fp_denorm_src 0
		.amdhsa_exception_fp_ieee_div_zero 0
		.amdhsa_exception_fp_ieee_overflow 0
		.amdhsa_exception_fp_ieee_underflow 0
		.amdhsa_exception_fp_ieee_inexact 0
		.amdhsa_exception_int_div_zero 0
	.end_amdhsa_kernel
	.section	.text._ZN7rocprim17ROCPRIM_400000_NS6detail17trampoline_kernelINS0_14default_configENS1_25partition_config_selectorILNS1_17partition_subalgoE8ElNS0_10empty_typeEbEEZZNS1_14partition_implILS5_8ELb0ES3_jPlPS6_PKS6_NS0_5tupleIJS9_S6_EEENSD_IJSA_SA_EEENS0_18inequality_wrapperIZN2at6native12_GLOBAL__N_124unique_dim_cuda_templateIlEESt5tupleIJNSH_6TensorESM_SM_EERKSM_lbbbEUlllE0_EEPmJS6_EEE10hipError_tPvRmT3_T4_T5_T6_T7_T9_mT8_P12ihipStream_tbDpT10_ENKUlT_T0_E_clISt17integral_constantIbLb1EES1B_IbLb0EEEEDaS17_S18_EUlS17_E_NS1_11comp_targetILNS1_3genE8ELNS1_11target_archE1030ELNS1_3gpuE2ELNS1_3repE0EEENS1_30default_config_static_selectorELNS0_4arch9wavefront6targetE0EEEvT1_,"axG",@progbits,_ZN7rocprim17ROCPRIM_400000_NS6detail17trampoline_kernelINS0_14default_configENS1_25partition_config_selectorILNS1_17partition_subalgoE8ElNS0_10empty_typeEbEEZZNS1_14partition_implILS5_8ELb0ES3_jPlPS6_PKS6_NS0_5tupleIJS9_S6_EEENSD_IJSA_SA_EEENS0_18inequality_wrapperIZN2at6native12_GLOBAL__N_124unique_dim_cuda_templateIlEESt5tupleIJNSH_6TensorESM_SM_EERKSM_lbbbEUlllE0_EEPmJS6_EEE10hipError_tPvRmT3_T4_T5_T6_T7_T9_mT8_P12ihipStream_tbDpT10_ENKUlT_T0_E_clISt17integral_constantIbLb1EES1B_IbLb0EEEEDaS17_S18_EUlS17_E_NS1_11comp_targetILNS1_3genE8ELNS1_11target_archE1030ELNS1_3gpuE2ELNS1_3repE0EEENS1_30default_config_static_selectorELNS0_4arch9wavefront6targetE0EEEvT1_,comdat
.Lfunc_end586:
	.size	_ZN7rocprim17ROCPRIM_400000_NS6detail17trampoline_kernelINS0_14default_configENS1_25partition_config_selectorILNS1_17partition_subalgoE8ElNS0_10empty_typeEbEEZZNS1_14partition_implILS5_8ELb0ES3_jPlPS6_PKS6_NS0_5tupleIJS9_S6_EEENSD_IJSA_SA_EEENS0_18inequality_wrapperIZN2at6native12_GLOBAL__N_124unique_dim_cuda_templateIlEESt5tupleIJNSH_6TensorESM_SM_EERKSM_lbbbEUlllE0_EEPmJS6_EEE10hipError_tPvRmT3_T4_T5_T6_T7_T9_mT8_P12ihipStream_tbDpT10_ENKUlT_T0_E_clISt17integral_constantIbLb1EES1B_IbLb0EEEEDaS17_S18_EUlS17_E_NS1_11comp_targetILNS1_3genE8ELNS1_11target_archE1030ELNS1_3gpuE2ELNS1_3repE0EEENS1_30default_config_static_selectorELNS0_4arch9wavefront6targetE0EEEvT1_, .Lfunc_end586-_ZN7rocprim17ROCPRIM_400000_NS6detail17trampoline_kernelINS0_14default_configENS1_25partition_config_selectorILNS1_17partition_subalgoE8ElNS0_10empty_typeEbEEZZNS1_14partition_implILS5_8ELb0ES3_jPlPS6_PKS6_NS0_5tupleIJS9_S6_EEENSD_IJSA_SA_EEENS0_18inequality_wrapperIZN2at6native12_GLOBAL__N_124unique_dim_cuda_templateIlEESt5tupleIJNSH_6TensorESM_SM_EERKSM_lbbbEUlllE0_EEPmJS6_EEE10hipError_tPvRmT3_T4_T5_T6_T7_T9_mT8_P12ihipStream_tbDpT10_ENKUlT_T0_E_clISt17integral_constantIbLb1EES1B_IbLb0EEEEDaS17_S18_EUlS17_E_NS1_11comp_targetILNS1_3genE8ELNS1_11target_archE1030ELNS1_3gpuE2ELNS1_3repE0EEENS1_30default_config_static_selectorELNS0_4arch9wavefront6targetE0EEEvT1_
                                        ; -- End function
	.section	.AMDGPU.csdata,"",@progbits
; Kernel info:
; codeLenInByte = 0
; NumSgprs: 0
; NumVgprs: 0
; ScratchSize: 0
; MemoryBound: 0
; FloatMode: 240
; IeeeMode: 1
; LDSByteSize: 0 bytes/workgroup (compile time only)
; SGPRBlocks: 0
; VGPRBlocks: 0
; NumSGPRsForWavesPerEU: 1
; NumVGPRsForWavesPerEU: 1
; Occupancy: 16
; WaveLimiterHint : 0
; COMPUTE_PGM_RSRC2:SCRATCH_EN: 0
; COMPUTE_PGM_RSRC2:USER_SGPR: 15
; COMPUTE_PGM_RSRC2:TRAP_HANDLER: 0
; COMPUTE_PGM_RSRC2:TGID_X_EN: 1
; COMPUTE_PGM_RSRC2:TGID_Y_EN: 0
; COMPUTE_PGM_RSRC2:TGID_Z_EN: 0
; COMPUTE_PGM_RSRC2:TIDIG_COMP_CNT: 0
	.section	.text._ZN7rocprim17ROCPRIM_400000_NS6detail17trampoline_kernelINS0_14default_configENS1_25partition_config_selectorILNS1_17partition_subalgoE8ElNS0_10empty_typeEbEEZZNS1_14partition_implILS5_8ELb0ES3_jPlPS6_PKS6_NS0_5tupleIJS9_S6_EEENSD_IJSA_SA_EEENS0_18inequality_wrapperIZN2at6native12_GLOBAL__N_124unique_dim_cuda_templateIlEESt5tupleIJNSH_6TensorESM_SM_EERKSM_lbbbEUlllE0_EEPmJS6_EEE10hipError_tPvRmT3_T4_T5_T6_T7_T9_mT8_P12ihipStream_tbDpT10_ENKUlT_T0_E_clISt17integral_constantIbLb0EES1B_IbLb1EEEEDaS17_S18_EUlS17_E_NS1_11comp_targetILNS1_3genE0ELNS1_11target_archE4294967295ELNS1_3gpuE0ELNS1_3repE0EEENS1_30default_config_static_selectorELNS0_4arch9wavefront6targetE0EEEvT1_,"axG",@progbits,_ZN7rocprim17ROCPRIM_400000_NS6detail17trampoline_kernelINS0_14default_configENS1_25partition_config_selectorILNS1_17partition_subalgoE8ElNS0_10empty_typeEbEEZZNS1_14partition_implILS5_8ELb0ES3_jPlPS6_PKS6_NS0_5tupleIJS9_S6_EEENSD_IJSA_SA_EEENS0_18inequality_wrapperIZN2at6native12_GLOBAL__N_124unique_dim_cuda_templateIlEESt5tupleIJNSH_6TensorESM_SM_EERKSM_lbbbEUlllE0_EEPmJS6_EEE10hipError_tPvRmT3_T4_T5_T6_T7_T9_mT8_P12ihipStream_tbDpT10_ENKUlT_T0_E_clISt17integral_constantIbLb0EES1B_IbLb1EEEEDaS17_S18_EUlS17_E_NS1_11comp_targetILNS1_3genE0ELNS1_11target_archE4294967295ELNS1_3gpuE0ELNS1_3repE0EEENS1_30default_config_static_selectorELNS0_4arch9wavefront6targetE0EEEvT1_,comdat
	.globl	_ZN7rocprim17ROCPRIM_400000_NS6detail17trampoline_kernelINS0_14default_configENS1_25partition_config_selectorILNS1_17partition_subalgoE8ElNS0_10empty_typeEbEEZZNS1_14partition_implILS5_8ELb0ES3_jPlPS6_PKS6_NS0_5tupleIJS9_S6_EEENSD_IJSA_SA_EEENS0_18inequality_wrapperIZN2at6native12_GLOBAL__N_124unique_dim_cuda_templateIlEESt5tupleIJNSH_6TensorESM_SM_EERKSM_lbbbEUlllE0_EEPmJS6_EEE10hipError_tPvRmT3_T4_T5_T6_T7_T9_mT8_P12ihipStream_tbDpT10_ENKUlT_T0_E_clISt17integral_constantIbLb0EES1B_IbLb1EEEEDaS17_S18_EUlS17_E_NS1_11comp_targetILNS1_3genE0ELNS1_11target_archE4294967295ELNS1_3gpuE0ELNS1_3repE0EEENS1_30default_config_static_selectorELNS0_4arch9wavefront6targetE0EEEvT1_ ; -- Begin function _ZN7rocprim17ROCPRIM_400000_NS6detail17trampoline_kernelINS0_14default_configENS1_25partition_config_selectorILNS1_17partition_subalgoE8ElNS0_10empty_typeEbEEZZNS1_14partition_implILS5_8ELb0ES3_jPlPS6_PKS6_NS0_5tupleIJS9_S6_EEENSD_IJSA_SA_EEENS0_18inequality_wrapperIZN2at6native12_GLOBAL__N_124unique_dim_cuda_templateIlEESt5tupleIJNSH_6TensorESM_SM_EERKSM_lbbbEUlllE0_EEPmJS6_EEE10hipError_tPvRmT3_T4_T5_T6_T7_T9_mT8_P12ihipStream_tbDpT10_ENKUlT_T0_E_clISt17integral_constantIbLb0EES1B_IbLb1EEEEDaS17_S18_EUlS17_E_NS1_11comp_targetILNS1_3genE0ELNS1_11target_archE4294967295ELNS1_3gpuE0ELNS1_3repE0EEENS1_30default_config_static_selectorELNS0_4arch9wavefront6targetE0EEEvT1_
	.p2align	8
	.type	_ZN7rocprim17ROCPRIM_400000_NS6detail17trampoline_kernelINS0_14default_configENS1_25partition_config_selectorILNS1_17partition_subalgoE8ElNS0_10empty_typeEbEEZZNS1_14partition_implILS5_8ELb0ES3_jPlPS6_PKS6_NS0_5tupleIJS9_S6_EEENSD_IJSA_SA_EEENS0_18inequality_wrapperIZN2at6native12_GLOBAL__N_124unique_dim_cuda_templateIlEESt5tupleIJNSH_6TensorESM_SM_EERKSM_lbbbEUlllE0_EEPmJS6_EEE10hipError_tPvRmT3_T4_T5_T6_T7_T9_mT8_P12ihipStream_tbDpT10_ENKUlT_T0_E_clISt17integral_constantIbLb0EES1B_IbLb1EEEEDaS17_S18_EUlS17_E_NS1_11comp_targetILNS1_3genE0ELNS1_11target_archE4294967295ELNS1_3gpuE0ELNS1_3repE0EEENS1_30default_config_static_selectorELNS0_4arch9wavefront6targetE0EEEvT1_,@function
_ZN7rocprim17ROCPRIM_400000_NS6detail17trampoline_kernelINS0_14default_configENS1_25partition_config_selectorILNS1_17partition_subalgoE8ElNS0_10empty_typeEbEEZZNS1_14partition_implILS5_8ELb0ES3_jPlPS6_PKS6_NS0_5tupleIJS9_S6_EEENSD_IJSA_SA_EEENS0_18inequality_wrapperIZN2at6native12_GLOBAL__N_124unique_dim_cuda_templateIlEESt5tupleIJNSH_6TensorESM_SM_EERKSM_lbbbEUlllE0_EEPmJS6_EEE10hipError_tPvRmT3_T4_T5_T6_T7_T9_mT8_P12ihipStream_tbDpT10_ENKUlT_T0_E_clISt17integral_constantIbLb0EES1B_IbLb1EEEEDaS17_S18_EUlS17_E_NS1_11comp_targetILNS1_3genE0ELNS1_11target_archE4294967295ELNS1_3gpuE0ELNS1_3repE0EEENS1_30default_config_static_selectorELNS0_4arch9wavefront6targetE0EEEvT1_: ; @_ZN7rocprim17ROCPRIM_400000_NS6detail17trampoline_kernelINS0_14default_configENS1_25partition_config_selectorILNS1_17partition_subalgoE8ElNS0_10empty_typeEbEEZZNS1_14partition_implILS5_8ELb0ES3_jPlPS6_PKS6_NS0_5tupleIJS9_S6_EEENSD_IJSA_SA_EEENS0_18inequality_wrapperIZN2at6native12_GLOBAL__N_124unique_dim_cuda_templateIlEESt5tupleIJNSH_6TensorESM_SM_EERKSM_lbbbEUlllE0_EEPmJS6_EEE10hipError_tPvRmT3_T4_T5_T6_T7_T9_mT8_P12ihipStream_tbDpT10_ENKUlT_T0_E_clISt17integral_constantIbLb0EES1B_IbLb1EEEEDaS17_S18_EUlS17_E_NS1_11comp_targetILNS1_3genE0ELNS1_11target_archE4294967295ELNS1_3gpuE0ELNS1_3repE0EEENS1_30default_config_static_selectorELNS0_4arch9wavefront6targetE0EEEvT1_
; %bb.0:
	.section	.rodata,"a",@progbits
	.p2align	6, 0x0
	.amdhsa_kernel _ZN7rocprim17ROCPRIM_400000_NS6detail17trampoline_kernelINS0_14default_configENS1_25partition_config_selectorILNS1_17partition_subalgoE8ElNS0_10empty_typeEbEEZZNS1_14partition_implILS5_8ELb0ES3_jPlPS6_PKS6_NS0_5tupleIJS9_S6_EEENSD_IJSA_SA_EEENS0_18inequality_wrapperIZN2at6native12_GLOBAL__N_124unique_dim_cuda_templateIlEESt5tupleIJNSH_6TensorESM_SM_EERKSM_lbbbEUlllE0_EEPmJS6_EEE10hipError_tPvRmT3_T4_T5_T6_T7_T9_mT8_P12ihipStream_tbDpT10_ENKUlT_T0_E_clISt17integral_constantIbLb0EES1B_IbLb1EEEEDaS17_S18_EUlS17_E_NS1_11comp_targetILNS1_3genE0ELNS1_11target_archE4294967295ELNS1_3gpuE0ELNS1_3repE0EEENS1_30default_config_static_selectorELNS0_4arch9wavefront6targetE0EEEvT1_
		.amdhsa_group_segment_fixed_size 0
		.amdhsa_private_segment_fixed_size 0
		.amdhsa_kernarg_size 136
		.amdhsa_user_sgpr_count 15
		.amdhsa_user_sgpr_dispatch_ptr 0
		.amdhsa_user_sgpr_queue_ptr 0
		.amdhsa_user_sgpr_kernarg_segment_ptr 1
		.amdhsa_user_sgpr_dispatch_id 0
		.amdhsa_user_sgpr_private_segment_size 0
		.amdhsa_wavefront_size32 1
		.amdhsa_uses_dynamic_stack 0
		.amdhsa_enable_private_segment 0
		.amdhsa_system_sgpr_workgroup_id_x 1
		.amdhsa_system_sgpr_workgroup_id_y 0
		.amdhsa_system_sgpr_workgroup_id_z 0
		.amdhsa_system_sgpr_workgroup_info 0
		.amdhsa_system_vgpr_workitem_id 0
		.amdhsa_next_free_vgpr 1
		.amdhsa_next_free_sgpr 1
		.amdhsa_reserve_vcc 0
		.amdhsa_float_round_mode_32 0
		.amdhsa_float_round_mode_16_64 0
		.amdhsa_float_denorm_mode_32 3
		.amdhsa_float_denorm_mode_16_64 3
		.amdhsa_dx10_clamp 1
		.amdhsa_ieee_mode 1
		.amdhsa_fp16_overflow 0
		.amdhsa_workgroup_processor_mode 1
		.amdhsa_memory_ordered 1
		.amdhsa_forward_progress 0
		.amdhsa_shared_vgpr_count 0
		.amdhsa_exception_fp_ieee_invalid_op 0
		.amdhsa_exception_fp_denorm_src 0
		.amdhsa_exception_fp_ieee_div_zero 0
		.amdhsa_exception_fp_ieee_overflow 0
		.amdhsa_exception_fp_ieee_underflow 0
		.amdhsa_exception_fp_ieee_inexact 0
		.amdhsa_exception_int_div_zero 0
	.end_amdhsa_kernel
	.section	.text._ZN7rocprim17ROCPRIM_400000_NS6detail17trampoline_kernelINS0_14default_configENS1_25partition_config_selectorILNS1_17partition_subalgoE8ElNS0_10empty_typeEbEEZZNS1_14partition_implILS5_8ELb0ES3_jPlPS6_PKS6_NS0_5tupleIJS9_S6_EEENSD_IJSA_SA_EEENS0_18inequality_wrapperIZN2at6native12_GLOBAL__N_124unique_dim_cuda_templateIlEESt5tupleIJNSH_6TensorESM_SM_EERKSM_lbbbEUlllE0_EEPmJS6_EEE10hipError_tPvRmT3_T4_T5_T6_T7_T9_mT8_P12ihipStream_tbDpT10_ENKUlT_T0_E_clISt17integral_constantIbLb0EES1B_IbLb1EEEEDaS17_S18_EUlS17_E_NS1_11comp_targetILNS1_3genE0ELNS1_11target_archE4294967295ELNS1_3gpuE0ELNS1_3repE0EEENS1_30default_config_static_selectorELNS0_4arch9wavefront6targetE0EEEvT1_,"axG",@progbits,_ZN7rocprim17ROCPRIM_400000_NS6detail17trampoline_kernelINS0_14default_configENS1_25partition_config_selectorILNS1_17partition_subalgoE8ElNS0_10empty_typeEbEEZZNS1_14partition_implILS5_8ELb0ES3_jPlPS6_PKS6_NS0_5tupleIJS9_S6_EEENSD_IJSA_SA_EEENS0_18inequality_wrapperIZN2at6native12_GLOBAL__N_124unique_dim_cuda_templateIlEESt5tupleIJNSH_6TensorESM_SM_EERKSM_lbbbEUlllE0_EEPmJS6_EEE10hipError_tPvRmT3_T4_T5_T6_T7_T9_mT8_P12ihipStream_tbDpT10_ENKUlT_T0_E_clISt17integral_constantIbLb0EES1B_IbLb1EEEEDaS17_S18_EUlS17_E_NS1_11comp_targetILNS1_3genE0ELNS1_11target_archE4294967295ELNS1_3gpuE0ELNS1_3repE0EEENS1_30default_config_static_selectorELNS0_4arch9wavefront6targetE0EEEvT1_,comdat
.Lfunc_end587:
	.size	_ZN7rocprim17ROCPRIM_400000_NS6detail17trampoline_kernelINS0_14default_configENS1_25partition_config_selectorILNS1_17partition_subalgoE8ElNS0_10empty_typeEbEEZZNS1_14partition_implILS5_8ELb0ES3_jPlPS6_PKS6_NS0_5tupleIJS9_S6_EEENSD_IJSA_SA_EEENS0_18inequality_wrapperIZN2at6native12_GLOBAL__N_124unique_dim_cuda_templateIlEESt5tupleIJNSH_6TensorESM_SM_EERKSM_lbbbEUlllE0_EEPmJS6_EEE10hipError_tPvRmT3_T4_T5_T6_T7_T9_mT8_P12ihipStream_tbDpT10_ENKUlT_T0_E_clISt17integral_constantIbLb0EES1B_IbLb1EEEEDaS17_S18_EUlS17_E_NS1_11comp_targetILNS1_3genE0ELNS1_11target_archE4294967295ELNS1_3gpuE0ELNS1_3repE0EEENS1_30default_config_static_selectorELNS0_4arch9wavefront6targetE0EEEvT1_, .Lfunc_end587-_ZN7rocprim17ROCPRIM_400000_NS6detail17trampoline_kernelINS0_14default_configENS1_25partition_config_selectorILNS1_17partition_subalgoE8ElNS0_10empty_typeEbEEZZNS1_14partition_implILS5_8ELb0ES3_jPlPS6_PKS6_NS0_5tupleIJS9_S6_EEENSD_IJSA_SA_EEENS0_18inequality_wrapperIZN2at6native12_GLOBAL__N_124unique_dim_cuda_templateIlEESt5tupleIJNSH_6TensorESM_SM_EERKSM_lbbbEUlllE0_EEPmJS6_EEE10hipError_tPvRmT3_T4_T5_T6_T7_T9_mT8_P12ihipStream_tbDpT10_ENKUlT_T0_E_clISt17integral_constantIbLb0EES1B_IbLb1EEEEDaS17_S18_EUlS17_E_NS1_11comp_targetILNS1_3genE0ELNS1_11target_archE4294967295ELNS1_3gpuE0ELNS1_3repE0EEENS1_30default_config_static_selectorELNS0_4arch9wavefront6targetE0EEEvT1_
                                        ; -- End function
	.section	.AMDGPU.csdata,"",@progbits
; Kernel info:
; codeLenInByte = 0
; NumSgprs: 0
; NumVgprs: 0
; ScratchSize: 0
; MemoryBound: 0
; FloatMode: 240
; IeeeMode: 1
; LDSByteSize: 0 bytes/workgroup (compile time only)
; SGPRBlocks: 0
; VGPRBlocks: 0
; NumSGPRsForWavesPerEU: 1
; NumVGPRsForWavesPerEU: 1
; Occupancy: 16
; WaveLimiterHint : 0
; COMPUTE_PGM_RSRC2:SCRATCH_EN: 0
; COMPUTE_PGM_RSRC2:USER_SGPR: 15
; COMPUTE_PGM_RSRC2:TRAP_HANDLER: 0
; COMPUTE_PGM_RSRC2:TGID_X_EN: 1
; COMPUTE_PGM_RSRC2:TGID_Y_EN: 0
; COMPUTE_PGM_RSRC2:TGID_Z_EN: 0
; COMPUTE_PGM_RSRC2:TIDIG_COMP_CNT: 0
	.section	.text._ZN7rocprim17ROCPRIM_400000_NS6detail17trampoline_kernelINS0_14default_configENS1_25partition_config_selectorILNS1_17partition_subalgoE8ElNS0_10empty_typeEbEEZZNS1_14partition_implILS5_8ELb0ES3_jPlPS6_PKS6_NS0_5tupleIJS9_S6_EEENSD_IJSA_SA_EEENS0_18inequality_wrapperIZN2at6native12_GLOBAL__N_124unique_dim_cuda_templateIlEESt5tupleIJNSH_6TensorESM_SM_EERKSM_lbbbEUlllE0_EEPmJS6_EEE10hipError_tPvRmT3_T4_T5_T6_T7_T9_mT8_P12ihipStream_tbDpT10_ENKUlT_T0_E_clISt17integral_constantIbLb0EES1B_IbLb1EEEEDaS17_S18_EUlS17_E_NS1_11comp_targetILNS1_3genE5ELNS1_11target_archE942ELNS1_3gpuE9ELNS1_3repE0EEENS1_30default_config_static_selectorELNS0_4arch9wavefront6targetE0EEEvT1_,"axG",@progbits,_ZN7rocprim17ROCPRIM_400000_NS6detail17trampoline_kernelINS0_14default_configENS1_25partition_config_selectorILNS1_17partition_subalgoE8ElNS0_10empty_typeEbEEZZNS1_14partition_implILS5_8ELb0ES3_jPlPS6_PKS6_NS0_5tupleIJS9_S6_EEENSD_IJSA_SA_EEENS0_18inequality_wrapperIZN2at6native12_GLOBAL__N_124unique_dim_cuda_templateIlEESt5tupleIJNSH_6TensorESM_SM_EERKSM_lbbbEUlllE0_EEPmJS6_EEE10hipError_tPvRmT3_T4_T5_T6_T7_T9_mT8_P12ihipStream_tbDpT10_ENKUlT_T0_E_clISt17integral_constantIbLb0EES1B_IbLb1EEEEDaS17_S18_EUlS17_E_NS1_11comp_targetILNS1_3genE5ELNS1_11target_archE942ELNS1_3gpuE9ELNS1_3repE0EEENS1_30default_config_static_selectorELNS0_4arch9wavefront6targetE0EEEvT1_,comdat
	.globl	_ZN7rocprim17ROCPRIM_400000_NS6detail17trampoline_kernelINS0_14default_configENS1_25partition_config_selectorILNS1_17partition_subalgoE8ElNS0_10empty_typeEbEEZZNS1_14partition_implILS5_8ELb0ES3_jPlPS6_PKS6_NS0_5tupleIJS9_S6_EEENSD_IJSA_SA_EEENS0_18inequality_wrapperIZN2at6native12_GLOBAL__N_124unique_dim_cuda_templateIlEESt5tupleIJNSH_6TensorESM_SM_EERKSM_lbbbEUlllE0_EEPmJS6_EEE10hipError_tPvRmT3_T4_T5_T6_T7_T9_mT8_P12ihipStream_tbDpT10_ENKUlT_T0_E_clISt17integral_constantIbLb0EES1B_IbLb1EEEEDaS17_S18_EUlS17_E_NS1_11comp_targetILNS1_3genE5ELNS1_11target_archE942ELNS1_3gpuE9ELNS1_3repE0EEENS1_30default_config_static_selectorELNS0_4arch9wavefront6targetE0EEEvT1_ ; -- Begin function _ZN7rocprim17ROCPRIM_400000_NS6detail17trampoline_kernelINS0_14default_configENS1_25partition_config_selectorILNS1_17partition_subalgoE8ElNS0_10empty_typeEbEEZZNS1_14partition_implILS5_8ELb0ES3_jPlPS6_PKS6_NS0_5tupleIJS9_S6_EEENSD_IJSA_SA_EEENS0_18inequality_wrapperIZN2at6native12_GLOBAL__N_124unique_dim_cuda_templateIlEESt5tupleIJNSH_6TensorESM_SM_EERKSM_lbbbEUlllE0_EEPmJS6_EEE10hipError_tPvRmT3_T4_T5_T6_T7_T9_mT8_P12ihipStream_tbDpT10_ENKUlT_T0_E_clISt17integral_constantIbLb0EES1B_IbLb1EEEEDaS17_S18_EUlS17_E_NS1_11comp_targetILNS1_3genE5ELNS1_11target_archE942ELNS1_3gpuE9ELNS1_3repE0EEENS1_30default_config_static_selectorELNS0_4arch9wavefront6targetE0EEEvT1_
	.p2align	8
	.type	_ZN7rocprim17ROCPRIM_400000_NS6detail17trampoline_kernelINS0_14default_configENS1_25partition_config_selectorILNS1_17partition_subalgoE8ElNS0_10empty_typeEbEEZZNS1_14partition_implILS5_8ELb0ES3_jPlPS6_PKS6_NS0_5tupleIJS9_S6_EEENSD_IJSA_SA_EEENS0_18inequality_wrapperIZN2at6native12_GLOBAL__N_124unique_dim_cuda_templateIlEESt5tupleIJNSH_6TensorESM_SM_EERKSM_lbbbEUlllE0_EEPmJS6_EEE10hipError_tPvRmT3_T4_T5_T6_T7_T9_mT8_P12ihipStream_tbDpT10_ENKUlT_T0_E_clISt17integral_constantIbLb0EES1B_IbLb1EEEEDaS17_S18_EUlS17_E_NS1_11comp_targetILNS1_3genE5ELNS1_11target_archE942ELNS1_3gpuE9ELNS1_3repE0EEENS1_30default_config_static_selectorELNS0_4arch9wavefront6targetE0EEEvT1_,@function
_ZN7rocprim17ROCPRIM_400000_NS6detail17trampoline_kernelINS0_14default_configENS1_25partition_config_selectorILNS1_17partition_subalgoE8ElNS0_10empty_typeEbEEZZNS1_14partition_implILS5_8ELb0ES3_jPlPS6_PKS6_NS0_5tupleIJS9_S6_EEENSD_IJSA_SA_EEENS0_18inequality_wrapperIZN2at6native12_GLOBAL__N_124unique_dim_cuda_templateIlEESt5tupleIJNSH_6TensorESM_SM_EERKSM_lbbbEUlllE0_EEPmJS6_EEE10hipError_tPvRmT3_T4_T5_T6_T7_T9_mT8_P12ihipStream_tbDpT10_ENKUlT_T0_E_clISt17integral_constantIbLb0EES1B_IbLb1EEEEDaS17_S18_EUlS17_E_NS1_11comp_targetILNS1_3genE5ELNS1_11target_archE942ELNS1_3gpuE9ELNS1_3repE0EEENS1_30default_config_static_selectorELNS0_4arch9wavefront6targetE0EEEvT1_: ; @_ZN7rocprim17ROCPRIM_400000_NS6detail17trampoline_kernelINS0_14default_configENS1_25partition_config_selectorILNS1_17partition_subalgoE8ElNS0_10empty_typeEbEEZZNS1_14partition_implILS5_8ELb0ES3_jPlPS6_PKS6_NS0_5tupleIJS9_S6_EEENSD_IJSA_SA_EEENS0_18inequality_wrapperIZN2at6native12_GLOBAL__N_124unique_dim_cuda_templateIlEESt5tupleIJNSH_6TensorESM_SM_EERKSM_lbbbEUlllE0_EEPmJS6_EEE10hipError_tPvRmT3_T4_T5_T6_T7_T9_mT8_P12ihipStream_tbDpT10_ENKUlT_T0_E_clISt17integral_constantIbLb0EES1B_IbLb1EEEEDaS17_S18_EUlS17_E_NS1_11comp_targetILNS1_3genE5ELNS1_11target_archE942ELNS1_3gpuE9ELNS1_3repE0EEENS1_30default_config_static_selectorELNS0_4arch9wavefront6targetE0EEEvT1_
; %bb.0:
	.section	.rodata,"a",@progbits
	.p2align	6, 0x0
	.amdhsa_kernel _ZN7rocprim17ROCPRIM_400000_NS6detail17trampoline_kernelINS0_14default_configENS1_25partition_config_selectorILNS1_17partition_subalgoE8ElNS0_10empty_typeEbEEZZNS1_14partition_implILS5_8ELb0ES3_jPlPS6_PKS6_NS0_5tupleIJS9_S6_EEENSD_IJSA_SA_EEENS0_18inequality_wrapperIZN2at6native12_GLOBAL__N_124unique_dim_cuda_templateIlEESt5tupleIJNSH_6TensorESM_SM_EERKSM_lbbbEUlllE0_EEPmJS6_EEE10hipError_tPvRmT3_T4_T5_T6_T7_T9_mT8_P12ihipStream_tbDpT10_ENKUlT_T0_E_clISt17integral_constantIbLb0EES1B_IbLb1EEEEDaS17_S18_EUlS17_E_NS1_11comp_targetILNS1_3genE5ELNS1_11target_archE942ELNS1_3gpuE9ELNS1_3repE0EEENS1_30default_config_static_selectorELNS0_4arch9wavefront6targetE0EEEvT1_
		.amdhsa_group_segment_fixed_size 0
		.amdhsa_private_segment_fixed_size 0
		.amdhsa_kernarg_size 136
		.amdhsa_user_sgpr_count 15
		.amdhsa_user_sgpr_dispatch_ptr 0
		.amdhsa_user_sgpr_queue_ptr 0
		.amdhsa_user_sgpr_kernarg_segment_ptr 1
		.amdhsa_user_sgpr_dispatch_id 0
		.amdhsa_user_sgpr_private_segment_size 0
		.amdhsa_wavefront_size32 1
		.amdhsa_uses_dynamic_stack 0
		.amdhsa_enable_private_segment 0
		.amdhsa_system_sgpr_workgroup_id_x 1
		.amdhsa_system_sgpr_workgroup_id_y 0
		.amdhsa_system_sgpr_workgroup_id_z 0
		.amdhsa_system_sgpr_workgroup_info 0
		.amdhsa_system_vgpr_workitem_id 0
		.amdhsa_next_free_vgpr 1
		.amdhsa_next_free_sgpr 1
		.amdhsa_reserve_vcc 0
		.amdhsa_float_round_mode_32 0
		.amdhsa_float_round_mode_16_64 0
		.amdhsa_float_denorm_mode_32 3
		.amdhsa_float_denorm_mode_16_64 3
		.amdhsa_dx10_clamp 1
		.amdhsa_ieee_mode 1
		.amdhsa_fp16_overflow 0
		.amdhsa_workgroup_processor_mode 1
		.amdhsa_memory_ordered 1
		.amdhsa_forward_progress 0
		.amdhsa_shared_vgpr_count 0
		.amdhsa_exception_fp_ieee_invalid_op 0
		.amdhsa_exception_fp_denorm_src 0
		.amdhsa_exception_fp_ieee_div_zero 0
		.amdhsa_exception_fp_ieee_overflow 0
		.amdhsa_exception_fp_ieee_underflow 0
		.amdhsa_exception_fp_ieee_inexact 0
		.amdhsa_exception_int_div_zero 0
	.end_amdhsa_kernel
	.section	.text._ZN7rocprim17ROCPRIM_400000_NS6detail17trampoline_kernelINS0_14default_configENS1_25partition_config_selectorILNS1_17partition_subalgoE8ElNS0_10empty_typeEbEEZZNS1_14partition_implILS5_8ELb0ES3_jPlPS6_PKS6_NS0_5tupleIJS9_S6_EEENSD_IJSA_SA_EEENS0_18inequality_wrapperIZN2at6native12_GLOBAL__N_124unique_dim_cuda_templateIlEESt5tupleIJNSH_6TensorESM_SM_EERKSM_lbbbEUlllE0_EEPmJS6_EEE10hipError_tPvRmT3_T4_T5_T6_T7_T9_mT8_P12ihipStream_tbDpT10_ENKUlT_T0_E_clISt17integral_constantIbLb0EES1B_IbLb1EEEEDaS17_S18_EUlS17_E_NS1_11comp_targetILNS1_3genE5ELNS1_11target_archE942ELNS1_3gpuE9ELNS1_3repE0EEENS1_30default_config_static_selectorELNS0_4arch9wavefront6targetE0EEEvT1_,"axG",@progbits,_ZN7rocprim17ROCPRIM_400000_NS6detail17trampoline_kernelINS0_14default_configENS1_25partition_config_selectorILNS1_17partition_subalgoE8ElNS0_10empty_typeEbEEZZNS1_14partition_implILS5_8ELb0ES3_jPlPS6_PKS6_NS0_5tupleIJS9_S6_EEENSD_IJSA_SA_EEENS0_18inequality_wrapperIZN2at6native12_GLOBAL__N_124unique_dim_cuda_templateIlEESt5tupleIJNSH_6TensorESM_SM_EERKSM_lbbbEUlllE0_EEPmJS6_EEE10hipError_tPvRmT3_T4_T5_T6_T7_T9_mT8_P12ihipStream_tbDpT10_ENKUlT_T0_E_clISt17integral_constantIbLb0EES1B_IbLb1EEEEDaS17_S18_EUlS17_E_NS1_11comp_targetILNS1_3genE5ELNS1_11target_archE942ELNS1_3gpuE9ELNS1_3repE0EEENS1_30default_config_static_selectorELNS0_4arch9wavefront6targetE0EEEvT1_,comdat
.Lfunc_end588:
	.size	_ZN7rocprim17ROCPRIM_400000_NS6detail17trampoline_kernelINS0_14default_configENS1_25partition_config_selectorILNS1_17partition_subalgoE8ElNS0_10empty_typeEbEEZZNS1_14partition_implILS5_8ELb0ES3_jPlPS6_PKS6_NS0_5tupleIJS9_S6_EEENSD_IJSA_SA_EEENS0_18inequality_wrapperIZN2at6native12_GLOBAL__N_124unique_dim_cuda_templateIlEESt5tupleIJNSH_6TensorESM_SM_EERKSM_lbbbEUlllE0_EEPmJS6_EEE10hipError_tPvRmT3_T4_T5_T6_T7_T9_mT8_P12ihipStream_tbDpT10_ENKUlT_T0_E_clISt17integral_constantIbLb0EES1B_IbLb1EEEEDaS17_S18_EUlS17_E_NS1_11comp_targetILNS1_3genE5ELNS1_11target_archE942ELNS1_3gpuE9ELNS1_3repE0EEENS1_30default_config_static_selectorELNS0_4arch9wavefront6targetE0EEEvT1_, .Lfunc_end588-_ZN7rocprim17ROCPRIM_400000_NS6detail17trampoline_kernelINS0_14default_configENS1_25partition_config_selectorILNS1_17partition_subalgoE8ElNS0_10empty_typeEbEEZZNS1_14partition_implILS5_8ELb0ES3_jPlPS6_PKS6_NS0_5tupleIJS9_S6_EEENSD_IJSA_SA_EEENS0_18inequality_wrapperIZN2at6native12_GLOBAL__N_124unique_dim_cuda_templateIlEESt5tupleIJNSH_6TensorESM_SM_EERKSM_lbbbEUlllE0_EEPmJS6_EEE10hipError_tPvRmT3_T4_T5_T6_T7_T9_mT8_P12ihipStream_tbDpT10_ENKUlT_T0_E_clISt17integral_constantIbLb0EES1B_IbLb1EEEEDaS17_S18_EUlS17_E_NS1_11comp_targetILNS1_3genE5ELNS1_11target_archE942ELNS1_3gpuE9ELNS1_3repE0EEENS1_30default_config_static_selectorELNS0_4arch9wavefront6targetE0EEEvT1_
                                        ; -- End function
	.section	.AMDGPU.csdata,"",@progbits
; Kernel info:
; codeLenInByte = 0
; NumSgprs: 0
; NumVgprs: 0
; ScratchSize: 0
; MemoryBound: 0
; FloatMode: 240
; IeeeMode: 1
; LDSByteSize: 0 bytes/workgroup (compile time only)
; SGPRBlocks: 0
; VGPRBlocks: 0
; NumSGPRsForWavesPerEU: 1
; NumVGPRsForWavesPerEU: 1
; Occupancy: 16
; WaveLimiterHint : 0
; COMPUTE_PGM_RSRC2:SCRATCH_EN: 0
; COMPUTE_PGM_RSRC2:USER_SGPR: 15
; COMPUTE_PGM_RSRC2:TRAP_HANDLER: 0
; COMPUTE_PGM_RSRC2:TGID_X_EN: 1
; COMPUTE_PGM_RSRC2:TGID_Y_EN: 0
; COMPUTE_PGM_RSRC2:TGID_Z_EN: 0
; COMPUTE_PGM_RSRC2:TIDIG_COMP_CNT: 0
	.section	.text._ZN7rocprim17ROCPRIM_400000_NS6detail17trampoline_kernelINS0_14default_configENS1_25partition_config_selectorILNS1_17partition_subalgoE8ElNS0_10empty_typeEbEEZZNS1_14partition_implILS5_8ELb0ES3_jPlPS6_PKS6_NS0_5tupleIJS9_S6_EEENSD_IJSA_SA_EEENS0_18inequality_wrapperIZN2at6native12_GLOBAL__N_124unique_dim_cuda_templateIlEESt5tupleIJNSH_6TensorESM_SM_EERKSM_lbbbEUlllE0_EEPmJS6_EEE10hipError_tPvRmT3_T4_T5_T6_T7_T9_mT8_P12ihipStream_tbDpT10_ENKUlT_T0_E_clISt17integral_constantIbLb0EES1B_IbLb1EEEEDaS17_S18_EUlS17_E_NS1_11comp_targetILNS1_3genE4ELNS1_11target_archE910ELNS1_3gpuE8ELNS1_3repE0EEENS1_30default_config_static_selectorELNS0_4arch9wavefront6targetE0EEEvT1_,"axG",@progbits,_ZN7rocprim17ROCPRIM_400000_NS6detail17trampoline_kernelINS0_14default_configENS1_25partition_config_selectorILNS1_17partition_subalgoE8ElNS0_10empty_typeEbEEZZNS1_14partition_implILS5_8ELb0ES3_jPlPS6_PKS6_NS0_5tupleIJS9_S6_EEENSD_IJSA_SA_EEENS0_18inequality_wrapperIZN2at6native12_GLOBAL__N_124unique_dim_cuda_templateIlEESt5tupleIJNSH_6TensorESM_SM_EERKSM_lbbbEUlllE0_EEPmJS6_EEE10hipError_tPvRmT3_T4_T5_T6_T7_T9_mT8_P12ihipStream_tbDpT10_ENKUlT_T0_E_clISt17integral_constantIbLb0EES1B_IbLb1EEEEDaS17_S18_EUlS17_E_NS1_11comp_targetILNS1_3genE4ELNS1_11target_archE910ELNS1_3gpuE8ELNS1_3repE0EEENS1_30default_config_static_selectorELNS0_4arch9wavefront6targetE0EEEvT1_,comdat
	.globl	_ZN7rocprim17ROCPRIM_400000_NS6detail17trampoline_kernelINS0_14default_configENS1_25partition_config_selectorILNS1_17partition_subalgoE8ElNS0_10empty_typeEbEEZZNS1_14partition_implILS5_8ELb0ES3_jPlPS6_PKS6_NS0_5tupleIJS9_S6_EEENSD_IJSA_SA_EEENS0_18inequality_wrapperIZN2at6native12_GLOBAL__N_124unique_dim_cuda_templateIlEESt5tupleIJNSH_6TensorESM_SM_EERKSM_lbbbEUlllE0_EEPmJS6_EEE10hipError_tPvRmT3_T4_T5_T6_T7_T9_mT8_P12ihipStream_tbDpT10_ENKUlT_T0_E_clISt17integral_constantIbLb0EES1B_IbLb1EEEEDaS17_S18_EUlS17_E_NS1_11comp_targetILNS1_3genE4ELNS1_11target_archE910ELNS1_3gpuE8ELNS1_3repE0EEENS1_30default_config_static_selectorELNS0_4arch9wavefront6targetE0EEEvT1_ ; -- Begin function _ZN7rocprim17ROCPRIM_400000_NS6detail17trampoline_kernelINS0_14default_configENS1_25partition_config_selectorILNS1_17partition_subalgoE8ElNS0_10empty_typeEbEEZZNS1_14partition_implILS5_8ELb0ES3_jPlPS6_PKS6_NS0_5tupleIJS9_S6_EEENSD_IJSA_SA_EEENS0_18inequality_wrapperIZN2at6native12_GLOBAL__N_124unique_dim_cuda_templateIlEESt5tupleIJNSH_6TensorESM_SM_EERKSM_lbbbEUlllE0_EEPmJS6_EEE10hipError_tPvRmT3_T4_T5_T6_T7_T9_mT8_P12ihipStream_tbDpT10_ENKUlT_T0_E_clISt17integral_constantIbLb0EES1B_IbLb1EEEEDaS17_S18_EUlS17_E_NS1_11comp_targetILNS1_3genE4ELNS1_11target_archE910ELNS1_3gpuE8ELNS1_3repE0EEENS1_30default_config_static_selectorELNS0_4arch9wavefront6targetE0EEEvT1_
	.p2align	8
	.type	_ZN7rocprim17ROCPRIM_400000_NS6detail17trampoline_kernelINS0_14default_configENS1_25partition_config_selectorILNS1_17partition_subalgoE8ElNS0_10empty_typeEbEEZZNS1_14partition_implILS5_8ELb0ES3_jPlPS6_PKS6_NS0_5tupleIJS9_S6_EEENSD_IJSA_SA_EEENS0_18inequality_wrapperIZN2at6native12_GLOBAL__N_124unique_dim_cuda_templateIlEESt5tupleIJNSH_6TensorESM_SM_EERKSM_lbbbEUlllE0_EEPmJS6_EEE10hipError_tPvRmT3_T4_T5_T6_T7_T9_mT8_P12ihipStream_tbDpT10_ENKUlT_T0_E_clISt17integral_constantIbLb0EES1B_IbLb1EEEEDaS17_S18_EUlS17_E_NS1_11comp_targetILNS1_3genE4ELNS1_11target_archE910ELNS1_3gpuE8ELNS1_3repE0EEENS1_30default_config_static_selectorELNS0_4arch9wavefront6targetE0EEEvT1_,@function
_ZN7rocprim17ROCPRIM_400000_NS6detail17trampoline_kernelINS0_14default_configENS1_25partition_config_selectorILNS1_17partition_subalgoE8ElNS0_10empty_typeEbEEZZNS1_14partition_implILS5_8ELb0ES3_jPlPS6_PKS6_NS0_5tupleIJS9_S6_EEENSD_IJSA_SA_EEENS0_18inequality_wrapperIZN2at6native12_GLOBAL__N_124unique_dim_cuda_templateIlEESt5tupleIJNSH_6TensorESM_SM_EERKSM_lbbbEUlllE0_EEPmJS6_EEE10hipError_tPvRmT3_T4_T5_T6_T7_T9_mT8_P12ihipStream_tbDpT10_ENKUlT_T0_E_clISt17integral_constantIbLb0EES1B_IbLb1EEEEDaS17_S18_EUlS17_E_NS1_11comp_targetILNS1_3genE4ELNS1_11target_archE910ELNS1_3gpuE8ELNS1_3repE0EEENS1_30default_config_static_selectorELNS0_4arch9wavefront6targetE0EEEvT1_: ; @_ZN7rocprim17ROCPRIM_400000_NS6detail17trampoline_kernelINS0_14default_configENS1_25partition_config_selectorILNS1_17partition_subalgoE8ElNS0_10empty_typeEbEEZZNS1_14partition_implILS5_8ELb0ES3_jPlPS6_PKS6_NS0_5tupleIJS9_S6_EEENSD_IJSA_SA_EEENS0_18inequality_wrapperIZN2at6native12_GLOBAL__N_124unique_dim_cuda_templateIlEESt5tupleIJNSH_6TensorESM_SM_EERKSM_lbbbEUlllE0_EEPmJS6_EEE10hipError_tPvRmT3_T4_T5_T6_T7_T9_mT8_P12ihipStream_tbDpT10_ENKUlT_T0_E_clISt17integral_constantIbLb0EES1B_IbLb1EEEEDaS17_S18_EUlS17_E_NS1_11comp_targetILNS1_3genE4ELNS1_11target_archE910ELNS1_3gpuE8ELNS1_3repE0EEENS1_30default_config_static_selectorELNS0_4arch9wavefront6targetE0EEEvT1_
; %bb.0:
	.section	.rodata,"a",@progbits
	.p2align	6, 0x0
	.amdhsa_kernel _ZN7rocprim17ROCPRIM_400000_NS6detail17trampoline_kernelINS0_14default_configENS1_25partition_config_selectorILNS1_17partition_subalgoE8ElNS0_10empty_typeEbEEZZNS1_14partition_implILS5_8ELb0ES3_jPlPS6_PKS6_NS0_5tupleIJS9_S6_EEENSD_IJSA_SA_EEENS0_18inequality_wrapperIZN2at6native12_GLOBAL__N_124unique_dim_cuda_templateIlEESt5tupleIJNSH_6TensorESM_SM_EERKSM_lbbbEUlllE0_EEPmJS6_EEE10hipError_tPvRmT3_T4_T5_T6_T7_T9_mT8_P12ihipStream_tbDpT10_ENKUlT_T0_E_clISt17integral_constantIbLb0EES1B_IbLb1EEEEDaS17_S18_EUlS17_E_NS1_11comp_targetILNS1_3genE4ELNS1_11target_archE910ELNS1_3gpuE8ELNS1_3repE0EEENS1_30default_config_static_selectorELNS0_4arch9wavefront6targetE0EEEvT1_
		.amdhsa_group_segment_fixed_size 0
		.amdhsa_private_segment_fixed_size 0
		.amdhsa_kernarg_size 136
		.amdhsa_user_sgpr_count 15
		.amdhsa_user_sgpr_dispatch_ptr 0
		.amdhsa_user_sgpr_queue_ptr 0
		.amdhsa_user_sgpr_kernarg_segment_ptr 1
		.amdhsa_user_sgpr_dispatch_id 0
		.amdhsa_user_sgpr_private_segment_size 0
		.amdhsa_wavefront_size32 1
		.amdhsa_uses_dynamic_stack 0
		.amdhsa_enable_private_segment 0
		.amdhsa_system_sgpr_workgroup_id_x 1
		.amdhsa_system_sgpr_workgroup_id_y 0
		.amdhsa_system_sgpr_workgroup_id_z 0
		.amdhsa_system_sgpr_workgroup_info 0
		.amdhsa_system_vgpr_workitem_id 0
		.amdhsa_next_free_vgpr 1
		.amdhsa_next_free_sgpr 1
		.amdhsa_reserve_vcc 0
		.amdhsa_float_round_mode_32 0
		.amdhsa_float_round_mode_16_64 0
		.amdhsa_float_denorm_mode_32 3
		.amdhsa_float_denorm_mode_16_64 3
		.amdhsa_dx10_clamp 1
		.amdhsa_ieee_mode 1
		.amdhsa_fp16_overflow 0
		.amdhsa_workgroup_processor_mode 1
		.amdhsa_memory_ordered 1
		.amdhsa_forward_progress 0
		.amdhsa_shared_vgpr_count 0
		.amdhsa_exception_fp_ieee_invalid_op 0
		.amdhsa_exception_fp_denorm_src 0
		.amdhsa_exception_fp_ieee_div_zero 0
		.amdhsa_exception_fp_ieee_overflow 0
		.amdhsa_exception_fp_ieee_underflow 0
		.amdhsa_exception_fp_ieee_inexact 0
		.amdhsa_exception_int_div_zero 0
	.end_amdhsa_kernel
	.section	.text._ZN7rocprim17ROCPRIM_400000_NS6detail17trampoline_kernelINS0_14default_configENS1_25partition_config_selectorILNS1_17partition_subalgoE8ElNS0_10empty_typeEbEEZZNS1_14partition_implILS5_8ELb0ES3_jPlPS6_PKS6_NS0_5tupleIJS9_S6_EEENSD_IJSA_SA_EEENS0_18inequality_wrapperIZN2at6native12_GLOBAL__N_124unique_dim_cuda_templateIlEESt5tupleIJNSH_6TensorESM_SM_EERKSM_lbbbEUlllE0_EEPmJS6_EEE10hipError_tPvRmT3_T4_T5_T6_T7_T9_mT8_P12ihipStream_tbDpT10_ENKUlT_T0_E_clISt17integral_constantIbLb0EES1B_IbLb1EEEEDaS17_S18_EUlS17_E_NS1_11comp_targetILNS1_3genE4ELNS1_11target_archE910ELNS1_3gpuE8ELNS1_3repE0EEENS1_30default_config_static_selectorELNS0_4arch9wavefront6targetE0EEEvT1_,"axG",@progbits,_ZN7rocprim17ROCPRIM_400000_NS6detail17trampoline_kernelINS0_14default_configENS1_25partition_config_selectorILNS1_17partition_subalgoE8ElNS0_10empty_typeEbEEZZNS1_14partition_implILS5_8ELb0ES3_jPlPS6_PKS6_NS0_5tupleIJS9_S6_EEENSD_IJSA_SA_EEENS0_18inequality_wrapperIZN2at6native12_GLOBAL__N_124unique_dim_cuda_templateIlEESt5tupleIJNSH_6TensorESM_SM_EERKSM_lbbbEUlllE0_EEPmJS6_EEE10hipError_tPvRmT3_T4_T5_T6_T7_T9_mT8_P12ihipStream_tbDpT10_ENKUlT_T0_E_clISt17integral_constantIbLb0EES1B_IbLb1EEEEDaS17_S18_EUlS17_E_NS1_11comp_targetILNS1_3genE4ELNS1_11target_archE910ELNS1_3gpuE8ELNS1_3repE0EEENS1_30default_config_static_selectorELNS0_4arch9wavefront6targetE0EEEvT1_,comdat
.Lfunc_end589:
	.size	_ZN7rocprim17ROCPRIM_400000_NS6detail17trampoline_kernelINS0_14default_configENS1_25partition_config_selectorILNS1_17partition_subalgoE8ElNS0_10empty_typeEbEEZZNS1_14partition_implILS5_8ELb0ES3_jPlPS6_PKS6_NS0_5tupleIJS9_S6_EEENSD_IJSA_SA_EEENS0_18inequality_wrapperIZN2at6native12_GLOBAL__N_124unique_dim_cuda_templateIlEESt5tupleIJNSH_6TensorESM_SM_EERKSM_lbbbEUlllE0_EEPmJS6_EEE10hipError_tPvRmT3_T4_T5_T6_T7_T9_mT8_P12ihipStream_tbDpT10_ENKUlT_T0_E_clISt17integral_constantIbLb0EES1B_IbLb1EEEEDaS17_S18_EUlS17_E_NS1_11comp_targetILNS1_3genE4ELNS1_11target_archE910ELNS1_3gpuE8ELNS1_3repE0EEENS1_30default_config_static_selectorELNS0_4arch9wavefront6targetE0EEEvT1_, .Lfunc_end589-_ZN7rocprim17ROCPRIM_400000_NS6detail17trampoline_kernelINS0_14default_configENS1_25partition_config_selectorILNS1_17partition_subalgoE8ElNS0_10empty_typeEbEEZZNS1_14partition_implILS5_8ELb0ES3_jPlPS6_PKS6_NS0_5tupleIJS9_S6_EEENSD_IJSA_SA_EEENS0_18inequality_wrapperIZN2at6native12_GLOBAL__N_124unique_dim_cuda_templateIlEESt5tupleIJNSH_6TensorESM_SM_EERKSM_lbbbEUlllE0_EEPmJS6_EEE10hipError_tPvRmT3_T4_T5_T6_T7_T9_mT8_P12ihipStream_tbDpT10_ENKUlT_T0_E_clISt17integral_constantIbLb0EES1B_IbLb1EEEEDaS17_S18_EUlS17_E_NS1_11comp_targetILNS1_3genE4ELNS1_11target_archE910ELNS1_3gpuE8ELNS1_3repE0EEENS1_30default_config_static_selectorELNS0_4arch9wavefront6targetE0EEEvT1_
                                        ; -- End function
	.section	.AMDGPU.csdata,"",@progbits
; Kernel info:
; codeLenInByte = 0
; NumSgprs: 0
; NumVgprs: 0
; ScratchSize: 0
; MemoryBound: 0
; FloatMode: 240
; IeeeMode: 1
; LDSByteSize: 0 bytes/workgroup (compile time only)
; SGPRBlocks: 0
; VGPRBlocks: 0
; NumSGPRsForWavesPerEU: 1
; NumVGPRsForWavesPerEU: 1
; Occupancy: 16
; WaveLimiterHint : 0
; COMPUTE_PGM_RSRC2:SCRATCH_EN: 0
; COMPUTE_PGM_RSRC2:USER_SGPR: 15
; COMPUTE_PGM_RSRC2:TRAP_HANDLER: 0
; COMPUTE_PGM_RSRC2:TGID_X_EN: 1
; COMPUTE_PGM_RSRC2:TGID_Y_EN: 0
; COMPUTE_PGM_RSRC2:TGID_Z_EN: 0
; COMPUTE_PGM_RSRC2:TIDIG_COMP_CNT: 0
	.section	.text._ZN7rocprim17ROCPRIM_400000_NS6detail17trampoline_kernelINS0_14default_configENS1_25partition_config_selectorILNS1_17partition_subalgoE8ElNS0_10empty_typeEbEEZZNS1_14partition_implILS5_8ELb0ES3_jPlPS6_PKS6_NS0_5tupleIJS9_S6_EEENSD_IJSA_SA_EEENS0_18inequality_wrapperIZN2at6native12_GLOBAL__N_124unique_dim_cuda_templateIlEESt5tupleIJNSH_6TensorESM_SM_EERKSM_lbbbEUlllE0_EEPmJS6_EEE10hipError_tPvRmT3_T4_T5_T6_T7_T9_mT8_P12ihipStream_tbDpT10_ENKUlT_T0_E_clISt17integral_constantIbLb0EES1B_IbLb1EEEEDaS17_S18_EUlS17_E_NS1_11comp_targetILNS1_3genE3ELNS1_11target_archE908ELNS1_3gpuE7ELNS1_3repE0EEENS1_30default_config_static_selectorELNS0_4arch9wavefront6targetE0EEEvT1_,"axG",@progbits,_ZN7rocprim17ROCPRIM_400000_NS6detail17trampoline_kernelINS0_14default_configENS1_25partition_config_selectorILNS1_17partition_subalgoE8ElNS0_10empty_typeEbEEZZNS1_14partition_implILS5_8ELb0ES3_jPlPS6_PKS6_NS0_5tupleIJS9_S6_EEENSD_IJSA_SA_EEENS0_18inequality_wrapperIZN2at6native12_GLOBAL__N_124unique_dim_cuda_templateIlEESt5tupleIJNSH_6TensorESM_SM_EERKSM_lbbbEUlllE0_EEPmJS6_EEE10hipError_tPvRmT3_T4_T5_T6_T7_T9_mT8_P12ihipStream_tbDpT10_ENKUlT_T0_E_clISt17integral_constantIbLb0EES1B_IbLb1EEEEDaS17_S18_EUlS17_E_NS1_11comp_targetILNS1_3genE3ELNS1_11target_archE908ELNS1_3gpuE7ELNS1_3repE0EEENS1_30default_config_static_selectorELNS0_4arch9wavefront6targetE0EEEvT1_,comdat
	.globl	_ZN7rocprim17ROCPRIM_400000_NS6detail17trampoline_kernelINS0_14default_configENS1_25partition_config_selectorILNS1_17partition_subalgoE8ElNS0_10empty_typeEbEEZZNS1_14partition_implILS5_8ELb0ES3_jPlPS6_PKS6_NS0_5tupleIJS9_S6_EEENSD_IJSA_SA_EEENS0_18inequality_wrapperIZN2at6native12_GLOBAL__N_124unique_dim_cuda_templateIlEESt5tupleIJNSH_6TensorESM_SM_EERKSM_lbbbEUlllE0_EEPmJS6_EEE10hipError_tPvRmT3_T4_T5_T6_T7_T9_mT8_P12ihipStream_tbDpT10_ENKUlT_T0_E_clISt17integral_constantIbLb0EES1B_IbLb1EEEEDaS17_S18_EUlS17_E_NS1_11comp_targetILNS1_3genE3ELNS1_11target_archE908ELNS1_3gpuE7ELNS1_3repE0EEENS1_30default_config_static_selectorELNS0_4arch9wavefront6targetE0EEEvT1_ ; -- Begin function _ZN7rocprim17ROCPRIM_400000_NS6detail17trampoline_kernelINS0_14default_configENS1_25partition_config_selectorILNS1_17partition_subalgoE8ElNS0_10empty_typeEbEEZZNS1_14partition_implILS5_8ELb0ES3_jPlPS6_PKS6_NS0_5tupleIJS9_S6_EEENSD_IJSA_SA_EEENS0_18inequality_wrapperIZN2at6native12_GLOBAL__N_124unique_dim_cuda_templateIlEESt5tupleIJNSH_6TensorESM_SM_EERKSM_lbbbEUlllE0_EEPmJS6_EEE10hipError_tPvRmT3_T4_T5_T6_T7_T9_mT8_P12ihipStream_tbDpT10_ENKUlT_T0_E_clISt17integral_constantIbLb0EES1B_IbLb1EEEEDaS17_S18_EUlS17_E_NS1_11comp_targetILNS1_3genE3ELNS1_11target_archE908ELNS1_3gpuE7ELNS1_3repE0EEENS1_30default_config_static_selectorELNS0_4arch9wavefront6targetE0EEEvT1_
	.p2align	8
	.type	_ZN7rocprim17ROCPRIM_400000_NS6detail17trampoline_kernelINS0_14default_configENS1_25partition_config_selectorILNS1_17partition_subalgoE8ElNS0_10empty_typeEbEEZZNS1_14partition_implILS5_8ELb0ES3_jPlPS6_PKS6_NS0_5tupleIJS9_S6_EEENSD_IJSA_SA_EEENS0_18inequality_wrapperIZN2at6native12_GLOBAL__N_124unique_dim_cuda_templateIlEESt5tupleIJNSH_6TensorESM_SM_EERKSM_lbbbEUlllE0_EEPmJS6_EEE10hipError_tPvRmT3_T4_T5_T6_T7_T9_mT8_P12ihipStream_tbDpT10_ENKUlT_T0_E_clISt17integral_constantIbLb0EES1B_IbLb1EEEEDaS17_S18_EUlS17_E_NS1_11comp_targetILNS1_3genE3ELNS1_11target_archE908ELNS1_3gpuE7ELNS1_3repE0EEENS1_30default_config_static_selectorELNS0_4arch9wavefront6targetE0EEEvT1_,@function
_ZN7rocprim17ROCPRIM_400000_NS6detail17trampoline_kernelINS0_14default_configENS1_25partition_config_selectorILNS1_17partition_subalgoE8ElNS0_10empty_typeEbEEZZNS1_14partition_implILS5_8ELb0ES3_jPlPS6_PKS6_NS0_5tupleIJS9_S6_EEENSD_IJSA_SA_EEENS0_18inequality_wrapperIZN2at6native12_GLOBAL__N_124unique_dim_cuda_templateIlEESt5tupleIJNSH_6TensorESM_SM_EERKSM_lbbbEUlllE0_EEPmJS6_EEE10hipError_tPvRmT3_T4_T5_T6_T7_T9_mT8_P12ihipStream_tbDpT10_ENKUlT_T0_E_clISt17integral_constantIbLb0EES1B_IbLb1EEEEDaS17_S18_EUlS17_E_NS1_11comp_targetILNS1_3genE3ELNS1_11target_archE908ELNS1_3gpuE7ELNS1_3repE0EEENS1_30default_config_static_selectorELNS0_4arch9wavefront6targetE0EEEvT1_: ; @_ZN7rocprim17ROCPRIM_400000_NS6detail17trampoline_kernelINS0_14default_configENS1_25partition_config_selectorILNS1_17partition_subalgoE8ElNS0_10empty_typeEbEEZZNS1_14partition_implILS5_8ELb0ES3_jPlPS6_PKS6_NS0_5tupleIJS9_S6_EEENSD_IJSA_SA_EEENS0_18inequality_wrapperIZN2at6native12_GLOBAL__N_124unique_dim_cuda_templateIlEESt5tupleIJNSH_6TensorESM_SM_EERKSM_lbbbEUlllE0_EEPmJS6_EEE10hipError_tPvRmT3_T4_T5_T6_T7_T9_mT8_P12ihipStream_tbDpT10_ENKUlT_T0_E_clISt17integral_constantIbLb0EES1B_IbLb1EEEEDaS17_S18_EUlS17_E_NS1_11comp_targetILNS1_3genE3ELNS1_11target_archE908ELNS1_3gpuE7ELNS1_3repE0EEENS1_30default_config_static_selectorELNS0_4arch9wavefront6targetE0EEEvT1_
; %bb.0:
	.section	.rodata,"a",@progbits
	.p2align	6, 0x0
	.amdhsa_kernel _ZN7rocprim17ROCPRIM_400000_NS6detail17trampoline_kernelINS0_14default_configENS1_25partition_config_selectorILNS1_17partition_subalgoE8ElNS0_10empty_typeEbEEZZNS1_14partition_implILS5_8ELb0ES3_jPlPS6_PKS6_NS0_5tupleIJS9_S6_EEENSD_IJSA_SA_EEENS0_18inequality_wrapperIZN2at6native12_GLOBAL__N_124unique_dim_cuda_templateIlEESt5tupleIJNSH_6TensorESM_SM_EERKSM_lbbbEUlllE0_EEPmJS6_EEE10hipError_tPvRmT3_T4_T5_T6_T7_T9_mT8_P12ihipStream_tbDpT10_ENKUlT_T0_E_clISt17integral_constantIbLb0EES1B_IbLb1EEEEDaS17_S18_EUlS17_E_NS1_11comp_targetILNS1_3genE3ELNS1_11target_archE908ELNS1_3gpuE7ELNS1_3repE0EEENS1_30default_config_static_selectorELNS0_4arch9wavefront6targetE0EEEvT1_
		.amdhsa_group_segment_fixed_size 0
		.amdhsa_private_segment_fixed_size 0
		.amdhsa_kernarg_size 136
		.amdhsa_user_sgpr_count 15
		.amdhsa_user_sgpr_dispatch_ptr 0
		.amdhsa_user_sgpr_queue_ptr 0
		.amdhsa_user_sgpr_kernarg_segment_ptr 1
		.amdhsa_user_sgpr_dispatch_id 0
		.amdhsa_user_sgpr_private_segment_size 0
		.amdhsa_wavefront_size32 1
		.amdhsa_uses_dynamic_stack 0
		.amdhsa_enable_private_segment 0
		.amdhsa_system_sgpr_workgroup_id_x 1
		.amdhsa_system_sgpr_workgroup_id_y 0
		.amdhsa_system_sgpr_workgroup_id_z 0
		.amdhsa_system_sgpr_workgroup_info 0
		.amdhsa_system_vgpr_workitem_id 0
		.amdhsa_next_free_vgpr 1
		.amdhsa_next_free_sgpr 1
		.amdhsa_reserve_vcc 0
		.amdhsa_float_round_mode_32 0
		.amdhsa_float_round_mode_16_64 0
		.amdhsa_float_denorm_mode_32 3
		.amdhsa_float_denorm_mode_16_64 3
		.amdhsa_dx10_clamp 1
		.amdhsa_ieee_mode 1
		.amdhsa_fp16_overflow 0
		.amdhsa_workgroup_processor_mode 1
		.amdhsa_memory_ordered 1
		.amdhsa_forward_progress 0
		.amdhsa_shared_vgpr_count 0
		.amdhsa_exception_fp_ieee_invalid_op 0
		.amdhsa_exception_fp_denorm_src 0
		.amdhsa_exception_fp_ieee_div_zero 0
		.amdhsa_exception_fp_ieee_overflow 0
		.amdhsa_exception_fp_ieee_underflow 0
		.amdhsa_exception_fp_ieee_inexact 0
		.amdhsa_exception_int_div_zero 0
	.end_amdhsa_kernel
	.section	.text._ZN7rocprim17ROCPRIM_400000_NS6detail17trampoline_kernelINS0_14default_configENS1_25partition_config_selectorILNS1_17partition_subalgoE8ElNS0_10empty_typeEbEEZZNS1_14partition_implILS5_8ELb0ES3_jPlPS6_PKS6_NS0_5tupleIJS9_S6_EEENSD_IJSA_SA_EEENS0_18inequality_wrapperIZN2at6native12_GLOBAL__N_124unique_dim_cuda_templateIlEESt5tupleIJNSH_6TensorESM_SM_EERKSM_lbbbEUlllE0_EEPmJS6_EEE10hipError_tPvRmT3_T4_T5_T6_T7_T9_mT8_P12ihipStream_tbDpT10_ENKUlT_T0_E_clISt17integral_constantIbLb0EES1B_IbLb1EEEEDaS17_S18_EUlS17_E_NS1_11comp_targetILNS1_3genE3ELNS1_11target_archE908ELNS1_3gpuE7ELNS1_3repE0EEENS1_30default_config_static_selectorELNS0_4arch9wavefront6targetE0EEEvT1_,"axG",@progbits,_ZN7rocprim17ROCPRIM_400000_NS6detail17trampoline_kernelINS0_14default_configENS1_25partition_config_selectorILNS1_17partition_subalgoE8ElNS0_10empty_typeEbEEZZNS1_14partition_implILS5_8ELb0ES3_jPlPS6_PKS6_NS0_5tupleIJS9_S6_EEENSD_IJSA_SA_EEENS0_18inequality_wrapperIZN2at6native12_GLOBAL__N_124unique_dim_cuda_templateIlEESt5tupleIJNSH_6TensorESM_SM_EERKSM_lbbbEUlllE0_EEPmJS6_EEE10hipError_tPvRmT3_T4_T5_T6_T7_T9_mT8_P12ihipStream_tbDpT10_ENKUlT_T0_E_clISt17integral_constantIbLb0EES1B_IbLb1EEEEDaS17_S18_EUlS17_E_NS1_11comp_targetILNS1_3genE3ELNS1_11target_archE908ELNS1_3gpuE7ELNS1_3repE0EEENS1_30default_config_static_selectorELNS0_4arch9wavefront6targetE0EEEvT1_,comdat
.Lfunc_end590:
	.size	_ZN7rocprim17ROCPRIM_400000_NS6detail17trampoline_kernelINS0_14default_configENS1_25partition_config_selectorILNS1_17partition_subalgoE8ElNS0_10empty_typeEbEEZZNS1_14partition_implILS5_8ELb0ES3_jPlPS6_PKS6_NS0_5tupleIJS9_S6_EEENSD_IJSA_SA_EEENS0_18inequality_wrapperIZN2at6native12_GLOBAL__N_124unique_dim_cuda_templateIlEESt5tupleIJNSH_6TensorESM_SM_EERKSM_lbbbEUlllE0_EEPmJS6_EEE10hipError_tPvRmT3_T4_T5_T6_T7_T9_mT8_P12ihipStream_tbDpT10_ENKUlT_T0_E_clISt17integral_constantIbLb0EES1B_IbLb1EEEEDaS17_S18_EUlS17_E_NS1_11comp_targetILNS1_3genE3ELNS1_11target_archE908ELNS1_3gpuE7ELNS1_3repE0EEENS1_30default_config_static_selectorELNS0_4arch9wavefront6targetE0EEEvT1_, .Lfunc_end590-_ZN7rocprim17ROCPRIM_400000_NS6detail17trampoline_kernelINS0_14default_configENS1_25partition_config_selectorILNS1_17partition_subalgoE8ElNS0_10empty_typeEbEEZZNS1_14partition_implILS5_8ELb0ES3_jPlPS6_PKS6_NS0_5tupleIJS9_S6_EEENSD_IJSA_SA_EEENS0_18inequality_wrapperIZN2at6native12_GLOBAL__N_124unique_dim_cuda_templateIlEESt5tupleIJNSH_6TensorESM_SM_EERKSM_lbbbEUlllE0_EEPmJS6_EEE10hipError_tPvRmT3_T4_T5_T6_T7_T9_mT8_P12ihipStream_tbDpT10_ENKUlT_T0_E_clISt17integral_constantIbLb0EES1B_IbLb1EEEEDaS17_S18_EUlS17_E_NS1_11comp_targetILNS1_3genE3ELNS1_11target_archE908ELNS1_3gpuE7ELNS1_3repE0EEENS1_30default_config_static_selectorELNS0_4arch9wavefront6targetE0EEEvT1_
                                        ; -- End function
	.section	.AMDGPU.csdata,"",@progbits
; Kernel info:
; codeLenInByte = 0
; NumSgprs: 0
; NumVgprs: 0
; ScratchSize: 0
; MemoryBound: 0
; FloatMode: 240
; IeeeMode: 1
; LDSByteSize: 0 bytes/workgroup (compile time only)
; SGPRBlocks: 0
; VGPRBlocks: 0
; NumSGPRsForWavesPerEU: 1
; NumVGPRsForWavesPerEU: 1
; Occupancy: 16
; WaveLimiterHint : 0
; COMPUTE_PGM_RSRC2:SCRATCH_EN: 0
; COMPUTE_PGM_RSRC2:USER_SGPR: 15
; COMPUTE_PGM_RSRC2:TRAP_HANDLER: 0
; COMPUTE_PGM_RSRC2:TGID_X_EN: 1
; COMPUTE_PGM_RSRC2:TGID_Y_EN: 0
; COMPUTE_PGM_RSRC2:TGID_Z_EN: 0
; COMPUTE_PGM_RSRC2:TIDIG_COMP_CNT: 0
	.section	.text._ZN7rocprim17ROCPRIM_400000_NS6detail17trampoline_kernelINS0_14default_configENS1_25partition_config_selectorILNS1_17partition_subalgoE8ElNS0_10empty_typeEbEEZZNS1_14partition_implILS5_8ELb0ES3_jPlPS6_PKS6_NS0_5tupleIJS9_S6_EEENSD_IJSA_SA_EEENS0_18inequality_wrapperIZN2at6native12_GLOBAL__N_124unique_dim_cuda_templateIlEESt5tupleIJNSH_6TensorESM_SM_EERKSM_lbbbEUlllE0_EEPmJS6_EEE10hipError_tPvRmT3_T4_T5_T6_T7_T9_mT8_P12ihipStream_tbDpT10_ENKUlT_T0_E_clISt17integral_constantIbLb0EES1B_IbLb1EEEEDaS17_S18_EUlS17_E_NS1_11comp_targetILNS1_3genE2ELNS1_11target_archE906ELNS1_3gpuE6ELNS1_3repE0EEENS1_30default_config_static_selectorELNS0_4arch9wavefront6targetE0EEEvT1_,"axG",@progbits,_ZN7rocprim17ROCPRIM_400000_NS6detail17trampoline_kernelINS0_14default_configENS1_25partition_config_selectorILNS1_17partition_subalgoE8ElNS0_10empty_typeEbEEZZNS1_14partition_implILS5_8ELb0ES3_jPlPS6_PKS6_NS0_5tupleIJS9_S6_EEENSD_IJSA_SA_EEENS0_18inequality_wrapperIZN2at6native12_GLOBAL__N_124unique_dim_cuda_templateIlEESt5tupleIJNSH_6TensorESM_SM_EERKSM_lbbbEUlllE0_EEPmJS6_EEE10hipError_tPvRmT3_T4_T5_T6_T7_T9_mT8_P12ihipStream_tbDpT10_ENKUlT_T0_E_clISt17integral_constantIbLb0EES1B_IbLb1EEEEDaS17_S18_EUlS17_E_NS1_11comp_targetILNS1_3genE2ELNS1_11target_archE906ELNS1_3gpuE6ELNS1_3repE0EEENS1_30default_config_static_selectorELNS0_4arch9wavefront6targetE0EEEvT1_,comdat
	.globl	_ZN7rocprim17ROCPRIM_400000_NS6detail17trampoline_kernelINS0_14default_configENS1_25partition_config_selectorILNS1_17partition_subalgoE8ElNS0_10empty_typeEbEEZZNS1_14partition_implILS5_8ELb0ES3_jPlPS6_PKS6_NS0_5tupleIJS9_S6_EEENSD_IJSA_SA_EEENS0_18inequality_wrapperIZN2at6native12_GLOBAL__N_124unique_dim_cuda_templateIlEESt5tupleIJNSH_6TensorESM_SM_EERKSM_lbbbEUlllE0_EEPmJS6_EEE10hipError_tPvRmT3_T4_T5_T6_T7_T9_mT8_P12ihipStream_tbDpT10_ENKUlT_T0_E_clISt17integral_constantIbLb0EES1B_IbLb1EEEEDaS17_S18_EUlS17_E_NS1_11comp_targetILNS1_3genE2ELNS1_11target_archE906ELNS1_3gpuE6ELNS1_3repE0EEENS1_30default_config_static_selectorELNS0_4arch9wavefront6targetE0EEEvT1_ ; -- Begin function _ZN7rocprim17ROCPRIM_400000_NS6detail17trampoline_kernelINS0_14default_configENS1_25partition_config_selectorILNS1_17partition_subalgoE8ElNS0_10empty_typeEbEEZZNS1_14partition_implILS5_8ELb0ES3_jPlPS6_PKS6_NS0_5tupleIJS9_S6_EEENSD_IJSA_SA_EEENS0_18inequality_wrapperIZN2at6native12_GLOBAL__N_124unique_dim_cuda_templateIlEESt5tupleIJNSH_6TensorESM_SM_EERKSM_lbbbEUlllE0_EEPmJS6_EEE10hipError_tPvRmT3_T4_T5_T6_T7_T9_mT8_P12ihipStream_tbDpT10_ENKUlT_T0_E_clISt17integral_constantIbLb0EES1B_IbLb1EEEEDaS17_S18_EUlS17_E_NS1_11comp_targetILNS1_3genE2ELNS1_11target_archE906ELNS1_3gpuE6ELNS1_3repE0EEENS1_30default_config_static_selectorELNS0_4arch9wavefront6targetE0EEEvT1_
	.p2align	8
	.type	_ZN7rocprim17ROCPRIM_400000_NS6detail17trampoline_kernelINS0_14default_configENS1_25partition_config_selectorILNS1_17partition_subalgoE8ElNS0_10empty_typeEbEEZZNS1_14partition_implILS5_8ELb0ES3_jPlPS6_PKS6_NS0_5tupleIJS9_S6_EEENSD_IJSA_SA_EEENS0_18inequality_wrapperIZN2at6native12_GLOBAL__N_124unique_dim_cuda_templateIlEESt5tupleIJNSH_6TensorESM_SM_EERKSM_lbbbEUlllE0_EEPmJS6_EEE10hipError_tPvRmT3_T4_T5_T6_T7_T9_mT8_P12ihipStream_tbDpT10_ENKUlT_T0_E_clISt17integral_constantIbLb0EES1B_IbLb1EEEEDaS17_S18_EUlS17_E_NS1_11comp_targetILNS1_3genE2ELNS1_11target_archE906ELNS1_3gpuE6ELNS1_3repE0EEENS1_30default_config_static_selectorELNS0_4arch9wavefront6targetE0EEEvT1_,@function
_ZN7rocprim17ROCPRIM_400000_NS6detail17trampoline_kernelINS0_14default_configENS1_25partition_config_selectorILNS1_17partition_subalgoE8ElNS0_10empty_typeEbEEZZNS1_14partition_implILS5_8ELb0ES3_jPlPS6_PKS6_NS0_5tupleIJS9_S6_EEENSD_IJSA_SA_EEENS0_18inequality_wrapperIZN2at6native12_GLOBAL__N_124unique_dim_cuda_templateIlEESt5tupleIJNSH_6TensorESM_SM_EERKSM_lbbbEUlllE0_EEPmJS6_EEE10hipError_tPvRmT3_T4_T5_T6_T7_T9_mT8_P12ihipStream_tbDpT10_ENKUlT_T0_E_clISt17integral_constantIbLb0EES1B_IbLb1EEEEDaS17_S18_EUlS17_E_NS1_11comp_targetILNS1_3genE2ELNS1_11target_archE906ELNS1_3gpuE6ELNS1_3repE0EEENS1_30default_config_static_selectorELNS0_4arch9wavefront6targetE0EEEvT1_: ; @_ZN7rocprim17ROCPRIM_400000_NS6detail17trampoline_kernelINS0_14default_configENS1_25partition_config_selectorILNS1_17partition_subalgoE8ElNS0_10empty_typeEbEEZZNS1_14partition_implILS5_8ELb0ES3_jPlPS6_PKS6_NS0_5tupleIJS9_S6_EEENSD_IJSA_SA_EEENS0_18inequality_wrapperIZN2at6native12_GLOBAL__N_124unique_dim_cuda_templateIlEESt5tupleIJNSH_6TensorESM_SM_EERKSM_lbbbEUlllE0_EEPmJS6_EEE10hipError_tPvRmT3_T4_T5_T6_T7_T9_mT8_P12ihipStream_tbDpT10_ENKUlT_T0_E_clISt17integral_constantIbLb0EES1B_IbLb1EEEEDaS17_S18_EUlS17_E_NS1_11comp_targetILNS1_3genE2ELNS1_11target_archE906ELNS1_3gpuE6ELNS1_3repE0EEENS1_30default_config_static_selectorELNS0_4arch9wavefront6targetE0EEEvT1_
; %bb.0:
	.section	.rodata,"a",@progbits
	.p2align	6, 0x0
	.amdhsa_kernel _ZN7rocprim17ROCPRIM_400000_NS6detail17trampoline_kernelINS0_14default_configENS1_25partition_config_selectorILNS1_17partition_subalgoE8ElNS0_10empty_typeEbEEZZNS1_14partition_implILS5_8ELb0ES3_jPlPS6_PKS6_NS0_5tupleIJS9_S6_EEENSD_IJSA_SA_EEENS0_18inequality_wrapperIZN2at6native12_GLOBAL__N_124unique_dim_cuda_templateIlEESt5tupleIJNSH_6TensorESM_SM_EERKSM_lbbbEUlllE0_EEPmJS6_EEE10hipError_tPvRmT3_T4_T5_T6_T7_T9_mT8_P12ihipStream_tbDpT10_ENKUlT_T0_E_clISt17integral_constantIbLb0EES1B_IbLb1EEEEDaS17_S18_EUlS17_E_NS1_11comp_targetILNS1_3genE2ELNS1_11target_archE906ELNS1_3gpuE6ELNS1_3repE0EEENS1_30default_config_static_selectorELNS0_4arch9wavefront6targetE0EEEvT1_
		.amdhsa_group_segment_fixed_size 0
		.amdhsa_private_segment_fixed_size 0
		.amdhsa_kernarg_size 136
		.amdhsa_user_sgpr_count 15
		.amdhsa_user_sgpr_dispatch_ptr 0
		.amdhsa_user_sgpr_queue_ptr 0
		.amdhsa_user_sgpr_kernarg_segment_ptr 1
		.amdhsa_user_sgpr_dispatch_id 0
		.amdhsa_user_sgpr_private_segment_size 0
		.amdhsa_wavefront_size32 1
		.amdhsa_uses_dynamic_stack 0
		.amdhsa_enable_private_segment 0
		.amdhsa_system_sgpr_workgroup_id_x 1
		.amdhsa_system_sgpr_workgroup_id_y 0
		.amdhsa_system_sgpr_workgroup_id_z 0
		.amdhsa_system_sgpr_workgroup_info 0
		.amdhsa_system_vgpr_workitem_id 0
		.amdhsa_next_free_vgpr 1
		.amdhsa_next_free_sgpr 1
		.amdhsa_reserve_vcc 0
		.amdhsa_float_round_mode_32 0
		.amdhsa_float_round_mode_16_64 0
		.amdhsa_float_denorm_mode_32 3
		.amdhsa_float_denorm_mode_16_64 3
		.amdhsa_dx10_clamp 1
		.amdhsa_ieee_mode 1
		.amdhsa_fp16_overflow 0
		.amdhsa_workgroup_processor_mode 1
		.amdhsa_memory_ordered 1
		.amdhsa_forward_progress 0
		.amdhsa_shared_vgpr_count 0
		.amdhsa_exception_fp_ieee_invalid_op 0
		.amdhsa_exception_fp_denorm_src 0
		.amdhsa_exception_fp_ieee_div_zero 0
		.amdhsa_exception_fp_ieee_overflow 0
		.amdhsa_exception_fp_ieee_underflow 0
		.amdhsa_exception_fp_ieee_inexact 0
		.amdhsa_exception_int_div_zero 0
	.end_amdhsa_kernel
	.section	.text._ZN7rocprim17ROCPRIM_400000_NS6detail17trampoline_kernelINS0_14default_configENS1_25partition_config_selectorILNS1_17partition_subalgoE8ElNS0_10empty_typeEbEEZZNS1_14partition_implILS5_8ELb0ES3_jPlPS6_PKS6_NS0_5tupleIJS9_S6_EEENSD_IJSA_SA_EEENS0_18inequality_wrapperIZN2at6native12_GLOBAL__N_124unique_dim_cuda_templateIlEESt5tupleIJNSH_6TensorESM_SM_EERKSM_lbbbEUlllE0_EEPmJS6_EEE10hipError_tPvRmT3_T4_T5_T6_T7_T9_mT8_P12ihipStream_tbDpT10_ENKUlT_T0_E_clISt17integral_constantIbLb0EES1B_IbLb1EEEEDaS17_S18_EUlS17_E_NS1_11comp_targetILNS1_3genE2ELNS1_11target_archE906ELNS1_3gpuE6ELNS1_3repE0EEENS1_30default_config_static_selectorELNS0_4arch9wavefront6targetE0EEEvT1_,"axG",@progbits,_ZN7rocprim17ROCPRIM_400000_NS6detail17trampoline_kernelINS0_14default_configENS1_25partition_config_selectorILNS1_17partition_subalgoE8ElNS0_10empty_typeEbEEZZNS1_14partition_implILS5_8ELb0ES3_jPlPS6_PKS6_NS0_5tupleIJS9_S6_EEENSD_IJSA_SA_EEENS0_18inequality_wrapperIZN2at6native12_GLOBAL__N_124unique_dim_cuda_templateIlEESt5tupleIJNSH_6TensorESM_SM_EERKSM_lbbbEUlllE0_EEPmJS6_EEE10hipError_tPvRmT3_T4_T5_T6_T7_T9_mT8_P12ihipStream_tbDpT10_ENKUlT_T0_E_clISt17integral_constantIbLb0EES1B_IbLb1EEEEDaS17_S18_EUlS17_E_NS1_11comp_targetILNS1_3genE2ELNS1_11target_archE906ELNS1_3gpuE6ELNS1_3repE0EEENS1_30default_config_static_selectorELNS0_4arch9wavefront6targetE0EEEvT1_,comdat
.Lfunc_end591:
	.size	_ZN7rocprim17ROCPRIM_400000_NS6detail17trampoline_kernelINS0_14default_configENS1_25partition_config_selectorILNS1_17partition_subalgoE8ElNS0_10empty_typeEbEEZZNS1_14partition_implILS5_8ELb0ES3_jPlPS6_PKS6_NS0_5tupleIJS9_S6_EEENSD_IJSA_SA_EEENS0_18inequality_wrapperIZN2at6native12_GLOBAL__N_124unique_dim_cuda_templateIlEESt5tupleIJNSH_6TensorESM_SM_EERKSM_lbbbEUlllE0_EEPmJS6_EEE10hipError_tPvRmT3_T4_T5_T6_T7_T9_mT8_P12ihipStream_tbDpT10_ENKUlT_T0_E_clISt17integral_constantIbLb0EES1B_IbLb1EEEEDaS17_S18_EUlS17_E_NS1_11comp_targetILNS1_3genE2ELNS1_11target_archE906ELNS1_3gpuE6ELNS1_3repE0EEENS1_30default_config_static_selectorELNS0_4arch9wavefront6targetE0EEEvT1_, .Lfunc_end591-_ZN7rocprim17ROCPRIM_400000_NS6detail17trampoline_kernelINS0_14default_configENS1_25partition_config_selectorILNS1_17partition_subalgoE8ElNS0_10empty_typeEbEEZZNS1_14partition_implILS5_8ELb0ES3_jPlPS6_PKS6_NS0_5tupleIJS9_S6_EEENSD_IJSA_SA_EEENS0_18inequality_wrapperIZN2at6native12_GLOBAL__N_124unique_dim_cuda_templateIlEESt5tupleIJNSH_6TensorESM_SM_EERKSM_lbbbEUlllE0_EEPmJS6_EEE10hipError_tPvRmT3_T4_T5_T6_T7_T9_mT8_P12ihipStream_tbDpT10_ENKUlT_T0_E_clISt17integral_constantIbLb0EES1B_IbLb1EEEEDaS17_S18_EUlS17_E_NS1_11comp_targetILNS1_3genE2ELNS1_11target_archE906ELNS1_3gpuE6ELNS1_3repE0EEENS1_30default_config_static_selectorELNS0_4arch9wavefront6targetE0EEEvT1_
                                        ; -- End function
	.section	.AMDGPU.csdata,"",@progbits
; Kernel info:
; codeLenInByte = 0
; NumSgprs: 0
; NumVgprs: 0
; ScratchSize: 0
; MemoryBound: 0
; FloatMode: 240
; IeeeMode: 1
; LDSByteSize: 0 bytes/workgroup (compile time only)
; SGPRBlocks: 0
; VGPRBlocks: 0
; NumSGPRsForWavesPerEU: 1
; NumVGPRsForWavesPerEU: 1
; Occupancy: 16
; WaveLimiterHint : 0
; COMPUTE_PGM_RSRC2:SCRATCH_EN: 0
; COMPUTE_PGM_RSRC2:USER_SGPR: 15
; COMPUTE_PGM_RSRC2:TRAP_HANDLER: 0
; COMPUTE_PGM_RSRC2:TGID_X_EN: 1
; COMPUTE_PGM_RSRC2:TGID_Y_EN: 0
; COMPUTE_PGM_RSRC2:TGID_Z_EN: 0
; COMPUTE_PGM_RSRC2:TIDIG_COMP_CNT: 0
	.section	.text._ZN7rocprim17ROCPRIM_400000_NS6detail17trampoline_kernelINS0_14default_configENS1_25partition_config_selectorILNS1_17partition_subalgoE8ElNS0_10empty_typeEbEEZZNS1_14partition_implILS5_8ELb0ES3_jPlPS6_PKS6_NS0_5tupleIJS9_S6_EEENSD_IJSA_SA_EEENS0_18inequality_wrapperIZN2at6native12_GLOBAL__N_124unique_dim_cuda_templateIlEESt5tupleIJNSH_6TensorESM_SM_EERKSM_lbbbEUlllE0_EEPmJS6_EEE10hipError_tPvRmT3_T4_T5_T6_T7_T9_mT8_P12ihipStream_tbDpT10_ENKUlT_T0_E_clISt17integral_constantIbLb0EES1B_IbLb1EEEEDaS17_S18_EUlS17_E_NS1_11comp_targetILNS1_3genE10ELNS1_11target_archE1200ELNS1_3gpuE4ELNS1_3repE0EEENS1_30default_config_static_selectorELNS0_4arch9wavefront6targetE0EEEvT1_,"axG",@progbits,_ZN7rocprim17ROCPRIM_400000_NS6detail17trampoline_kernelINS0_14default_configENS1_25partition_config_selectorILNS1_17partition_subalgoE8ElNS0_10empty_typeEbEEZZNS1_14partition_implILS5_8ELb0ES3_jPlPS6_PKS6_NS0_5tupleIJS9_S6_EEENSD_IJSA_SA_EEENS0_18inequality_wrapperIZN2at6native12_GLOBAL__N_124unique_dim_cuda_templateIlEESt5tupleIJNSH_6TensorESM_SM_EERKSM_lbbbEUlllE0_EEPmJS6_EEE10hipError_tPvRmT3_T4_T5_T6_T7_T9_mT8_P12ihipStream_tbDpT10_ENKUlT_T0_E_clISt17integral_constantIbLb0EES1B_IbLb1EEEEDaS17_S18_EUlS17_E_NS1_11comp_targetILNS1_3genE10ELNS1_11target_archE1200ELNS1_3gpuE4ELNS1_3repE0EEENS1_30default_config_static_selectorELNS0_4arch9wavefront6targetE0EEEvT1_,comdat
	.globl	_ZN7rocprim17ROCPRIM_400000_NS6detail17trampoline_kernelINS0_14default_configENS1_25partition_config_selectorILNS1_17partition_subalgoE8ElNS0_10empty_typeEbEEZZNS1_14partition_implILS5_8ELb0ES3_jPlPS6_PKS6_NS0_5tupleIJS9_S6_EEENSD_IJSA_SA_EEENS0_18inequality_wrapperIZN2at6native12_GLOBAL__N_124unique_dim_cuda_templateIlEESt5tupleIJNSH_6TensorESM_SM_EERKSM_lbbbEUlllE0_EEPmJS6_EEE10hipError_tPvRmT3_T4_T5_T6_T7_T9_mT8_P12ihipStream_tbDpT10_ENKUlT_T0_E_clISt17integral_constantIbLb0EES1B_IbLb1EEEEDaS17_S18_EUlS17_E_NS1_11comp_targetILNS1_3genE10ELNS1_11target_archE1200ELNS1_3gpuE4ELNS1_3repE0EEENS1_30default_config_static_selectorELNS0_4arch9wavefront6targetE0EEEvT1_ ; -- Begin function _ZN7rocprim17ROCPRIM_400000_NS6detail17trampoline_kernelINS0_14default_configENS1_25partition_config_selectorILNS1_17partition_subalgoE8ElNS0_10empty_typeEbEEZZNS1_14partition_implILS5_8ELb0ES3_jPlPS6_PKS6_NS0_5tupleIJS9_S6_EEENSD_IJSA_SA_EEENS0_18inequality_wrapperIZN2at6native12_GLOBAL__N_124unique_dim_cuda_templateIlEESt5tupleIJNSH_6TensorESM_SM_EERKSM_lbbbEUlllE0_EEPmJS6_EEE10hipError_tPvRmT3_T4_T5_T6_T7_T9_mT8_P12ihipStream_tbDpT10_ENKUlT_T0_E_clISt17integral_constantIbLb0EES1B_IbLb1EEEEDaS17_S18_EUlS17_E_NS1_11comp_targetILNS1_3genE10ELNS1_11target_archE1200ELNS1_3gpuE4ELNS1_3repE0EEENS1_30default_config_static_selectorELNS0_4arch9wavefront6targetE0EEEvT1_
	.p2align	8
	.type	_ZN7rocprim17ROCPRIM_400000_NS6detail17trampoline_kernelINS0_14default_configENS1_25partition_config_selectorILNS1_17partition_subalgoE8ElNS0_10empty_typeEbEEZZNS1_14partition_implILS5_8ELb0ES3_jPlPS6_PKS6_NS0_5tupleIJS9_S6_EEENSD_IJSA_SA_EEENS0_18inequality_wrapperIZN2at6native12_GLOBAL__N_124unique_dim_cuda_templateIlEESt5tupleIJNSH_6TensorESM_SM_EERKSM_lbbbEUlllE0_EEPmJS6_EEE10hipError_tPvRmT3_T4_T5_T6_T7_T9_mT8_P12ihipStream_tbDpT10_ENKUlT_T0_E_clISt17integral_constantIbLb0EES1B_IbLb1EEEEDaS17_S18_EUlS17_E_NS1_11comp_targetILNS1_3genE10ELNS1_11target_archE1200ELNS1_3gpuE4ELNS1_3repE0EEENS1_30default_config_static_selectorELNS0_4arch9wavefront6targetE0EEEvT1_,@function
_ZN7rocprim17ROCPRIM_400000_NS6detail17trampoline_kernelINS0_14default_configENS1_25partition_config_selectorILNS1_17partition_subalgoE8ElNS0_10empty_typeEbEEZZNS1_14partition_implILS5_8ELb0ES3_jPlPS6_PKS6_NS0_5tupleIJS9_S6_EEENSD_IJSA_SA_EEENS0_18inequality_wrapperIZN2at6native12_GLOBAL__N_124unique_dim_cuda_templateIlEESt5tupleIJNSH_6TensorESM_SM_EERKSM_lbbbEUlllE0_EEPmJS6_EEE10hipError_tPvRmT3_T4_T5_T6_T7_T9_mT8_P12ihipStream_tbDpT10_ENKUlT_T0_E_clISt17integral_constantIbLb0EES1B_IbLb1EEEEDaS17_S18_EUlS17_E_NS1_11comp_targetILNS1_3genE10ELNS1_11target_archE1200ELNS1_3gpuE4ELNS1_3repE0EEENS1_30default_config_static_selectorELNS0_4arch9wavefront6targetE0EEEvT1_: ; @_ZN7rocprim17ROCPRIM_400000_NS6detail17trampoline_kernelINS0_14default_configENS1_25partition_config_selectorILNS1_17partition_subalgoE8ElNS0_10empty_typeEbEEZZNS1_14partition_implILS5_8ELb0ES3_jPlPS6_PKS6_NS0_5tupleIJS9_S6_EEENSD_IJSA_SA_EEENS0_18inequality_wrapperIZN2at6native12_GLOBAL__N_124unique_dim_cuda_templateIlEESt5tupleIJNSH_6TensorESM_SM_EERKSM_lbbbEUlllE0_EEPmJS6_EEE10hipError_tPvRmT3_T4_T5_T6_T7_T9_mT8_P12ihipStream_tbDpT10_ENKUlT_T0_E_clISt17integral_constantIbLb0EES1B_IbLb1EEEEDaS17_S18_EUlS17_E_NS1_11comp_targetILNS1_3genE10ELNS1_11target_archE1200ELNS1_3gpuE4ELNS1_3repE0EEENS1_30default_config_static_selectorELNS0_4arch9wavefront6targetE0EEEvT1_
; %bb.0:
	.section	.rodata,"a",@progbits
	.p2align	6, 0x0
	.amdhsa_kernel _ZN7rocprim17ROCPRIM_400000_NS6detail17trampoline_kernelINS0_14default_configENS1_25partition_config_selectorILNS1_17partition_subalgoE8ElNS0_10empty_typeEbEEZZNS1_14partition_implILS5_8ELb0ES3_jPlPS6_PKS6_NS0_5tupleIJS9_S6_EEENSD_IJSA_SA_EEENS0_18inequality_wrapperIZN2at6native12_GLOBAL__N_124unique_dim_cuda_templateIlEESt5tupleIJNSH_6TensorESM_SM_EERKSM_lbbbEUlllE0_EEPmJS6_EEE10hipError_tPvRmT3_T4_T5_T6_T7_T9_mT8_P12ihipStream_tbDpT10_ENKUlT_T0_E_clISt17integral_constantIbLb0EES1B_IbLb1EEEEDaS17_S18_EUlS17_E_NS1_11comp_targetILNS1_3genE10ELNS1_11target_archE1200ELNS1_3gpuE4ELNS1_3repE0EEENS1_30default_config_static_selectorELNS0_4arch9wavefront6targetE0EEEvT1_
		.amdhsa_group_segment_fixed_size 0
		.amdhsa_private_segment_fixed_size 0
		.amdhsa_kernarg_size 136
		.amdhsa_user_sgpr_count 15
		.amdhsa_user_sgpr_dispatch_ptr 0
		.amdhsa_user_sgpr_queue_ptr 0
		.amdhsa_user_sgpr_kernarg_segment_ptr 1
		.amdhsa_user_sgpr_dispatch_id 0
		.amdhsa_user_sgpr_private_segment_size 0
		.amdhsa_wavefront_size32 1
		.amdhsa_uses_dynamic_stack 0
		.amdhsa_enable_private_segment 0
		.amdhsa_system_sgpr_workgroup_id_x 1
		.amdhsa_system_sgpr_workgroup_id_y 0
		.amdhsa_system_sgpr_workgroup_id_z 0
		.amdhsa_system_sgpr_workgroup_info 0
		.amdhsa_system_vgpr_workitem_id 0
		.amdhsa_next_free_vgpr 1
		.amdhsa_next_free_sgpr 1
		.amdhsa_reserve_vcc 0
		.amdhsa_float_round_mode_32 0
		.amdhsa_float_round_mode_16_64 0
		.amdhsa_float_denorm_mode_32 3
		.amdhsa_float_denorm_mode_16_64 3
		.amdhsa_dx10_clamp 1
		.amdhsa_ieee_mode 1
		.amdhsa_fp16_overflow 0
		.amdhsa_workgroup_processor_mode 1
		.amdhsa_memory_ordered 1
		.amdhsa_forward_progress 0
		.amdhsa_shared_vgpr_count 0
		.amdhsa_exception_fp_ieee_invalid_op 0
		.amdhsa_exception_fp_denorm_src 0
		.amdhsa_exception_fp_ieee_div_zero 0
		.amdhsa_exception_fp_ieee_overflow 0
		.amdhsa_exception_fp_ieee_underflow 0
		.amdhsa_exception_fp_ieee_inexact 0
		.amdhsa_exception_int_div_zero 0
	.end_amdhsa_kernel
	.section	.text._ZN7rocprim17ROCPRIM_400000_NS6detail17trampoline_kernelINS0_14default_configENS1_25partition_config_selectorILNS1_17partition_subalgoE8ElNS0_10empty_typeEbEEZZNS1_14partition_implILS5_8ELb0ES3_jPlPS6_PKS6_NS0_5tupleIJS9_S6_EEENSD_IJSA_SA_EEENS0_18inequality_wrapperIZN2at6native12_GLOBAL__N_124unique_dim_cuda_templateIlEESt5tupleIJNSH_6TensorESM_SM_EERKSM_lbbbEUlllE0_EEPmJS6_EEE10hipError_tPvRmT3_T4_T5_T6_T7_T9_mT8_P12ihipStream_tbDpT10_ENKUlT_T0_E_clISt17integral_constantIbLb0EES1B_IbLb1EEEEDaS17_S18_EUlS17_E_NS1_11comp_targetILNS1_3genE10ELNS1_11target_archE1200ELNS1_3gpuE4ELNS1_3repE0EEENS1_30default_config_static_selectorELNS0_4arch9wavefront6targetE0EEEvT1_,"axG",@progbits,_ZN7rocprim17ROCPRIM_400000_NS6detail17trampoline_kernelINS0_14default_configENS1_25partition_config_selectorILNS1_17partition_subalgoE8ElNS0_10empty_typeEbEEZZNS1_14partition_implILS5_8ELb0ES3_jPlPS6_PKS6_NS0_5tupleIJS9_S6_EEENSD_IJSA_SA_EEENS0_18inequality_wrapperIZN2at6native12_GLOBAL__N_124unique_dim_cuda_templateIlEESt5tupleIJNSH_6TensorESM_SM_EERKSM_lbbbEUlllE0_EEPmJS6_EEE10hipError_tPvRmT3_T4_T5_T6_T7_T9_mT8_P12ihipStream_tbDpT10_ENKUlT_T0_E_clISt17integral_constantIbLb0EES1B_IbLb1EEEEDaS17_S18_EUlS17_E_NS1_11comp_targetILNS1_3genE10ELNS1_11target_archE1200ELNS1_3gpuE4ELNS1_3repE0EEENS1_30default_config_static_selectorELNS0_4arch9wavefront6targetE0EEEvT1_,comdat
.Lfunc_end592:
	.size	_ZN7rocprim17ROCPRIM_400000_NS6detail17trampoline_kernelINS0_14default_configENS1_25partition_config_selectorILNS1_17partition_subalgoE8ElNS0_10empty_typeEbEEZZNS1_14partition_implILS5_8ELb0ES3_jPlPS6_PKS6_NS0_5tupleIJS9_S6_EEENSD_IJSA_SA_EEENS0_18inequality_wrapperIZN2at6native12_GLOBAL__N_124unique_dim_cuda_templateIlEESt5tupleIJNSH_6TensorESM_SM_EERKSM_lbbbEUlllE0_EEPmJS6_EEE10hipError_tPvRmT3_T4_T5_T6_T7_T9_mT8_P12ihipStream_tbDpT10_ENKUlT_T0_E_clISt17integral_constantIbLb0EES1B_IbLb1EEEEDaS17_S18_EUlS17_E_NS1_11comp_targetILNS1_3genE10ELNS1_11target_archE1200ELNS1_3gpuE4ELNS1_3repE0EEENS1_30default_config_static_selectorELNS0_4arch9wavefront6targetE0EEEvT1_, .Lfunc_end592-_ZN7rocprim17ROCPRIM_400000_NS6detail17trampoline_kernelINS0_14default_configENS1_25partition_config_selectorILNS1_17partition_subalgoE8ElNS0_10empty_typeEbEEZZNS1_14partition_implILS5_8ELb0ES3_jPlPS6_PKS6_NS0_5tupleIJS9_S6_EEENSD_IJSA_SA_EEENS0_18inequality_wrapperIZN2at6native12_GLOBAL__N_124unique_dim_cuda_templateIlEESt5tupleIJNSH_6TensorESM_SM_EERKSM_lbbbEUlllE0_EEPmJS6_EEE10hipError_tPvRmT3_T4_T5_T6_T7_T9_mT8_P12ihipStream_tbDpT10_ENKUlT_T0_E_clISt17integral_constantIbLb0EES1B_IbLb1EEEEDaS17_S18_EUlS17_E_NS1_11comp_targetILNS1_3genE10ELNS1_11target_archE1200ELNS1_3gpuE4ELNS1_3repE0EEENS1_30default_config_static_selectorELNS0_4arch9wavefront6targetE0EEEvT1_
                                        ; -- End function
	.section	.AMDGPU.csdata,"",@progbits
; Kernel info:
; codeLenInByte = 0
; NumSgprs: 0
; NumVgprs: 0
; ScratchSize: 0
; MemoryBound: 0
; FloatMode: 240
; IeeeMode: 1
; LDSByteSize: 0 bytes/workgroup (compile time only)
; SGPRBlocks: 0
; VGPRBlocks: 0
; NumSGPRsForWavesPerEU: 1
; NumVGPRsForWavesPerEU: 1
; Occupancy: 15
; WaveLimiterHint : 0
; COMPUTE_PGM_RSRC2:SCRATCH_EN: 0
; COMPUTE_PGM_RSRC2:USER_SGPR: 15
; COMPUTE_PGM_RSRC2:TRAP_HANDLER: 0
; COMPUTE_PGM_RSRC2:TGID_X_EN: 1
; COMPUTE_PGM_RSRC2:TGID_Y_EN: 0
; COMPUTE_PGM_RSRC2:TGID_Z_EN: 0
; COMPUTE_PGM_RSRC2:TIDIG_COMP_CNT: 0
	.section	.text._ZN7rocprim17ROCPRIM_400000_NS6detail17trampoline_kernelINS0_14default_configENS1_25partition_config_selectorILNS1_17partition_subalgoE8ElNS0_10empty_typeEbEEZZNS1_14partition_implILS5_8ELb0ES3_jPlPS6_PKS6_NS0_5tupleIJS9_S6_EEENSD_IJSA_SA_EEENS0_18inequality_wrapperIZN2at6native12_GLOBAL__N_124unique_dim_cuda_templateIlEESt5tupleIJNSH_6TensorESM_SM_EERKSM_lbbbEUlllE0_EEPmJS6_EEE10hipError_tPvRmT3_T4_T5_T6_T7_T9_mT8_P12ihipStream_tbDpT10_ENKUlT_T0_E_clISt17integral_constantIbLb0EES1B_IbLb1EEEEDaS17_S18_EUlS17_E_NS1_11comp_targetILNS1_3genE9ELNS1_11target_archE1100ELNS1_3gpuE3ELNS1_3repE0EEENS1_30default_config_static_selectorELNS0_4arch9wavefront6targetE0EEEvT1_,"axG",@progbits,_ZN7rocprim17ROCPRIM_400000_NS6detail17trampoline_kernelINS0_14default_configENS1_25partition_config_selectorILNS1_17partition_subalgoE8ElNS0_10empty_typeEbEEZZNS1_14partition_implILS5_8ELb0ES3_jPlPS6_PKS6_NS0_5tupleIJS9_S6_EEENSD_IJSA_SA_EEENS0_18inequality_wrapperIZN2at6native12_GLOBAL__N_124unique_dim_cuda_templateIlEESt5tupleIJNSH_6TensorESM_SM_EERKSM_lbbbEUlllE0_EEPmJS6_EEE10hipError_tPvRmT3_T4_T5_T6_T7_T9_mT8_P12ihipStream_tbDpT10_ENKUlT_T0_E_clISt17integral_constantIbLb0EES1B_IbLb1EEEEDaS17_S18_EUlS17_E_NS1_11comp_targetILNS1_3genE9ELNS1_11target_archE1100ELNS1_3gpuE3ELNS1_3repE0EEENS1_30default_config_static_selectorELNS0_4arch9wavefront6targetE0EEEvT1_,comdat
	.globl	_ZN7rocprim17ROCPRIM_400000_NS6detail17trampoline_kernelINS0_14default_configENS1_25partition_config_selectorILNS1_17partition_subalgoE8ElNS0_10empty_typeEbEEZZNS1_14partition_implILS5_8ELb0ES3_jPlPS6_PKS6_NS0_5tupleIJS9_S6_EEENSD_IJSA_SA_EEENS0_18inequality_wrapperIZN2at6native12_GLOBAL__N_124unique_dim_cuda_templateIlEESt5tupleIJNSH_6TensorESM_SM_EERKSM_lbbbEUlllE0_EEPmJS6_EEE10hipError_tPvRmT3_T4_T5_T6_T7_T9_mT8_P12ihipStream_tbDpT10_ENKUlT_T0_E_clISt17integral_constantIbLb0EES1B_IbLb1EEEEDaS17_S18_EUlS17_E_NS1_11comp_targetILNS1_3genE9ELNS1_11target_archE1100ELNS1_3gpuE3ELNS1_3repE0EEENS1_30default_config_static_selectorELNS0_4arch9wavefront6targetE0EEEvT1_ ; -- Begin function _ZN7rocprim17ROCPRIM_400000_NS6detail17trampoline_kernelINS0_14default_configENS1_25partition_config_selectorILNS1_17partition_subalgoE8ElNS0_10empty_typeEbEEZZNS1_14partition_implILS5_8ELb0ES3_jPlPS6_PKS6_NS0_5tupleIJS9_S6_EEENSD_IJSA_SA_EEENS0_18inequality_wrapperIZN2at6native12_GLOBAL__N_124unique_dim_cuda_templateIlEESt5tupleIJNSH_6TensorESM_SM_EERKSM_lbbbEUlllE0_EEPmJS6_EEE10hipError_tPvRmT3_T4_T5_T6_T7_T9_mT8_P12ihipStream_tbDpT10_ENKUlT_T0_E_clISt17integral_constantIbLb0EES1B_IbLb1EEEEDaS17_S18_EUlS17_E_NS1_11comp_targetILNS1_3genE9ELNS1_11target_archE1100ELNS1_3gpuE3ELNS1_3repE0EEENS1_30default_config_static_selectorELNS0_4arch9wavefront6targetE0EEEvT1_
	.p2align	8
	.type	_ZN7rocprim17ROCPRIM_400000_NS6detail17trampoline_kernelINS0_14default_configENS1_25partition_config_selectorILNS1_17partition_subalgoE8ElNS0_10empty_typeEbEEZZNS1_14partition_implILS5_8ELb0ES3_jPlPS6_PKS6_NS0_5tupleIJS9_S6_EEENSD_IJSA_SA_EEENS0_18inequality_wrapperIZN2at6native12_GLOBAL__N_124unique_dim_cuda_templateIlEESt5tupleIJNSH_6TensorESM_SM_EERKSM_lbbbEUlllE0_EEPmJS6_EEE10hipError_tPvRmT3_T4_T5_T6_T7_T9_mT8_P12ihipStream_tbDpT10_ENKUlT_T0_E_clISt17integral_constantIbLb0EES1B_IbLb1EEEEDaS17_S18_EUlS17_E_NS1_11comp_targetILNS1_3genE9ELNS1_11target_archE1100ELNS1_3gpuE3ELNS1_3repE0EEENS1_30default_config_static_selectorELNS0_4arch9wavefront6targetE0EEEvT1_,@function
_ZN7rocprim17ROCPRIM_400000_NS6detail17trampoline_kernelINS0_14default_configENS1_25partition_config_selectorILNS1_17partition_subalgoE8ElNS0_10empty_typeEbEEZZNS1_14partition_implILS5_8ELb0ES3_jPlPS6_PKS6_NS0_5tupleIJS9_S6_EEENSD_IJSA_SA_EEENS0_18inequality_wrapperIZN2at6native12_GLOBAL__N_124unique_dim_cuda_templateIlEESt5tupleIJNSH_6TensorESM_SM_EERKSM_lbbbEUlllE0_EEPmJS6_EEE10hipError_tPvRmT3_T4_T5_T6_T7_T9_mT8_P12ihipStream_tbDpT10_ENKUlT_T0_E_clISt17integral_constantIbLb0EES1B_IbLb1EEEEDaS17_S18_EUlS17_E_NS1_11comp_targetILNS1_3genE9ELNS1_11target_archE1100ELNS1_3gpuE3ELNS1_3repE0EEENS1_30default_config_static_selectorELNS0_4arch9wavefront6targetE0EEEvT1_: ; @_ZN7rocprim17ROCPRIM_400000_NS6detail17trampoline_kernelINS0_14default_configENS1_25partition_config_selectorILNS1_17partition_subalgoE8ElNS0_10empty_typeEbEEZZNS1_14partition_implILS5_8ELb0ES3_jPlPS6_PKS6_NS0_5tupleIJS9_S6_EEENSD_IJSA_SA_EEENS0_18inequality_wrapperIZN2at6native12_GLOBAL__N_124unique_dim_cuda_templateIlEESt5tupleIJNSH_6TensorESM_SM_EERKSM_lbbbEUlllE0_EEPmJS6_EEE10hipError_tPvRmT3_T4_T5_T6_T7_T9_mT8_P12ihipStream_tbDpT10_ENKUlT_T0_E_clISt17integral_constantIbLb0EES1B_IbLb1EEEEDaS17_S18_EUlS17_E_NS1_11comp_targetILNS1_3genE9ELNS1_11target_archE1100ELNS1_3gpuE3ELNS1_3repE0EEENS1_30default_config_static_selectorELNS0_4arch9wavefront6targetE0EEEvT1_
; %bb.0:
	s_clause 0x2
	s_load_b64 s[20:21], s[0:1], 0x28
	s_load_b256 s[8:15], s[0:1], 0x40
	s_load_b128 s[16:19], s[0:1], 0x60
	v_cmp_ne_u32_e64 s3, 0, v0
	v_cmp_eq_u32_e64 s2, 0, v0
	s_delay_alu instid0(VALU_DEP_1)
	s_and_saveexec_b32 s4, s2
	s_cbranch_execz .LBB593_4
; %bb.1:
	s_mov_b32 s6, exec_lo
	s_mov_b32 s5, exec_lo
	v_mbcnt_lo_u32_b32 v1, s6, 0
                                        ; implicit-def: $vgpr2
	s_delay_alu instid0(VALU_DEP_1)
	v_cmpx_eq_u32_e32 0, v1
	s_cbranch_execz .LBB593_3
; %bb.2:
	s_load_b64 s[22:23], s[0:1], 0x78
	s_bcnt1_i32_b32 s6, s6
	s_delay_alu instid0(SALU_CYCLE_1)
	v_dual_mov_b32 v2, 0 :: v_dual_mov_b32 v3, s6
	s_waitcnt lgkmcnt(0)
	global_atomic_add_u32 v2, v2, v3, s[22:23] glc
.LBB593_3:
	s_or_b32 exec_lo, exec_lo, s5
	s_waitcnt vmcnt(0)
	v_readfirstlane_b32 s5, v2
	s_delay_alu instid0(VALU_DEP_1)
	v_dual_mov_b32 v2, 0 :: v_dual_add_nc_u32 v1, s5, v1
	ds_store_b32 v2, v1
.LBB593_4:
	s_or_b32 exec_lo, exec_lo, s4
	v_dual_mov_b32 v2, 0 :: v_dual_lshlrev_b32 v39, 3, v0
	s_clause 0x1
	s_load_b128 s[4:7], s[0:1], 0x8
	s_load_b32 s0, s[0:1], 0x70
	s_waitcnt lgkmcnt(0)
	s_barrier
	buffer_gl0_inv
	ds_load_b32 v1, v2
	s_waitcnt lgkmcnt(0)
	s_barrier
	buffer_gl0_inv
	global_load_b64 v[3:4], v2, s[10:11]
	v_lshrrev_b32_e32 v19, 2, v0
	v_or_b32_e32 v26, 0x200, v0
	v_or_b32_e32 v25, 0x400, v0
	;; [unrolled: 1-line block ×7, first 2 shown]
	s_lshl_b64 s[10:11], s[6:7], 3
	s_delay_alu instid0(SALU_CYCLE_1)
	s_add_u32 s10, s4, s10
	s_addc_u32 s11, s5, s11
	s_add_i32 s1, s0, -1
	v_readfirstlane_b32 s23, v1
	s_lshl_b32 s4, s1, 12
	v_lshlrev_b32_e32 v1, 12, v1
	s_lshl_b32 s5, s0, 12
	s_add_i32 s0, s6, s4
	s_add_u32 s4, s6, s5
	s_addc_u32 s5, s7, 0
	v_lshlrev_b64 v[1:2], 3, v[1:2]
	v_cmp_ge_u64_e64 s4, s[4:5], s[12:13]
	s_cmp_eq_u32 s23, s1
	s_cselect_b32 s13, -1, 0
	s_delay_alu instid0(VALU_DEP_2) | instskip(NEXT) | instid1(VALU_DEP_2)
	v_add_co_u32 v17, vcc_lo, s10, v1
	s_and_b32 s1, s4, s13
	v_add_co_ci_u32_e32 v18, vcc_lo, s11, v2, vcc_lo
	s_xor_b32 s22, s1, -1
	s_mov_b32 s4, -1
	s_and_b32 vcc_lo, exec_lo, s22
	s_waitcnt vmcnt(0)
	v_readfirstlane_b32 s10, v3
	v_readfirstlane_b32 s11, v4
	s_cbranch_vccz .LBB593_6
; %bb.5:
	v_add_co_u32 v9, vcc_lo, v17, v39
	v_add_co_ci_u32_e32 v10, vcc_lo, 0, v18, vcc_lo
	v_readfirstlane_b32 s4, v17
	s_delay_alu instid0(VALU_DEP_3) | instskip(NEXT) | instid1(VALU_DEP_3)
	v_add_co_u32 v3, vcc_lo, v9, 0x2000
	v_add_co_ci_u32_e32 v4, vcc_lo, 0, v10, vcc_lo
	v_add_co_u32 v5, vcc_lo, v9, 0x4000
	v_add_co_ci_u32_e32 v6, vcc_lo, 0, v10, vcc_lo
	v_add_co_u32 v7, vcc_lo, v9, 0x6000
	v_readfirstlane_b32 s5, v18
	v_add_co_ci_u32_e32 v8, vcc_lo, 0, v10, vcc_lo
	v_add_co_u32 v9, vcc_lo, 0x7000, v9
	v_add_co_ci_u32_e32 v10, vcc_lo, 0, v10, vcc_lo
	s_clause 0x7
	global_load_b64 v[1:2], v39, s[4:5]
	global_load_b64 v[11:12], v[3:4], off offset:-4096
	global_load_b64 v[3:4], v[3:4], off
	global_load_b64 v[13:14], v[5:6], off offset:-4096
	global_load_b64 v[5:6], v[5:6], off
	;; [unrolled: 2-line block ×3, first 2 shown]
	global_load_b64 v[9:10], v[9:10], off
	v_lshrrev_b32_e32 v28, 2, v26
	v_lshrrev_b32_e32 v29, 2, v25
	;; [unrolled: 1-line block ×4, first 2 shown]
	v_and_b32_e32 v27, 0x78, v19
	v_lshrrev_b32_e32 v32, 2, v22
	v_lshrrev_b32_e32 v33, 2, v21
	;; [unrolled: 1-line block ×3, first 2 shown]
	v_and_b32_e32 v28, 0xf8, v28
	v_and_b32_e32 v29, 0x178, v29
	;; [unrolled: 1-line block ×4, first 2 shown]
	v_add_nc_u32_e32 v27, v27, v39
	v_and_b32_e32 v32, 0x2f8, v32
	v_and_b32_e32 v33, 0x378, v33
	;; [unrolled: 1-line block ×3, first 2 shown]
	v_add_nc_u32_e32 v28, v28, v39
	v_add_nc_u32_e32 v29, v29, v39
	;; [unrolled: 1-line block ×4, first 2 shown]
	s_mov_b32 s4, 0
	v_add_nc_u32_e32 v32, v32, v39
	v_add_nc_u32_e32 v33, v33, v39
	;; [unrolled: 1-line block ×3, first 2 shown]
	s_waitcnt vmcnt(7)
	ds_store_b64 v27, v[1:2]
	s_waitcnt vmcnt(6)
	ds_store_b64 v28, v[11:12] offset:4096
	s_waitcnt vmcnt(5)
	ds_store_b64 v29, v[3:4] offset:8192
	;; [unrolled: 2-line block ×7, first 2 shown]
	s_waitcnt lgkmcnt(0)
	s_barrier
.LBB593_6:
	s_and_not1_b32 vcc_lo, exec_lo, s4
	s_sub_i32 s12, s12, s0
	s_cbranch_vccnz .LBB593_17
; %bb.7:
	s_mov_b32 s0, exec_lo
                                        ; implicit-def: $vgpr1_vgpr2_vgpr3_vgpr4_vgpr5_vgpr6_vgpr7_vgpr8_vgpr9_vgpr10_vgpr11_vgpr12_vgpr13_vgpr14_vgpr15_vgpr16
	v_cmpx_gt_u32_e64 s12, v0
	s_cbranch_execnz .LBB593_27
; %bb.8:
	s_or_b32 exec_lo, exec_lo, s0
	s_delay_alu instid0(SALU_CYCLE_1)
	s_mov_b32 s0, exec_lo
	v_cmpx_gt_u32_e64 s12, v26
	s_cbranch_execnz .LBB593_28
.LBB593_9:
	s_or_b32 exec_lo, exec_lo, s0
	s_delay_alu instid0(SALU_CYCLE_1)
	s_mov_b32 s0, exec_lo
	v_cmpx_gt_u32_e64 s12, v25
	s_cbranch_execnz .LBB593_29
.LBB593_10:
	s_or_b32 exec_lo, exec_lo, s0
	s_delay_alu instid0(SALU_CYCLE_1)
	s_mov_b32 s0, exec_lo
	v_cmpx_gt_u32_e64 s12, v24
	s_cbranch_execnz .LBB593_30
.LBB593_11:
	s_or_b32 exec_lo, exec_lo, s0
	s_delay_alu instid0(SALU_CYCLE_1)
	s_mov_b32 s0, exec_lo
	v_cmpx_gt_u32_e64 s12, v23
	s_cbranch_execnz .LBB593_31
.LBB593_12:
	s_or_b32 exec_lo, exec_lo, s0
	s_delay_alu instid0(SALU_CYCLE_1)
	s_mov_b32 s0, exec_lo
	v_cmpx_gt_u32_e64 s12, v22
	s_cbranch_execnz .LBB593_32
.LBB593_13:
	s_or_b32 exec_lo, exec_lo, s0
	s_delay_alu instid0(SALU_CYCLE_1)
	s_mov_b32 s0, exec_lo
	v_cmpx_gt_u32_e64 s12, v21
	s_cbranch_execnz .LBB593_33
.LBB593_14:
	s_or_b32 exec_lo, exec_lo, s0
	s_delay_alu instid0(SALU_CYCLE_1)
	s_mov_b32 s0, exec_lo
	v_cmpx_gt_u32_e64 s12, v20
	s_cbranch_execz .LBB593_16
.LBB593_15:
	v_lshlrev_b32_e32 v15, 3, v20
	v_readfirstlane_b32 s4, v17
	v_readfirstlane_b32 s5, v18
	global_load_b64 v[15:16], v15, s[4:5]
.LBB593_16:
	s_or_b32 exec_lo, exec_lo, s0
	v_lshrrev_b32_e32 v26, 2, v26
	v_lshrrev_b32_e32 v25, 2, v25
	v_lshrrev_b32_e32 v24, 2, v24
	v_lshrrev_b32_e32 v23, 2, v23
	v_and_b32_e32 v27, 0x78, v19
	v_lshrrev_b32_e32 v22, 2, v22
	v_lshrrev_b32_e32 v21, 2, v21
	v_lshrrev_b32_e32 v20, 2, v20
	v_and_b32_e32 v26, 0xf8, v26
	v_and_b32_e32 v25, 0x1f8, v25
	;; [unrolled: 1-line block ×4, first 2 shown]
	v_add_nc_u32_e32 v27, v27, v39
	v_and_b32_e32 v22, 0x3f8, v22
	v_and_b32_e32 v21, 0x3f8, v21
	;; [unrolled: 1-line block ×3, first 2 shown]
	v_add_nc_u32_e32 v26, v26, v39
	v_add_nc_u32_e32 v25, v25, v39
	;; [unrolled: 1-line block ×7, first 2 shown]
	s_waitcnt vmcnt(0)
	ds_store_b64 v27, v[1:2]
	ds_store_b64 v26, v[3:4] offset:4096
	ds_store_b64 v25, v[5:6] offset:8192
	;; [unrolled: 1-line block ×7, first 2 shown]
	s_waitcnt lgkmcnt(0)
	s_barrier
.LBB593_17:
	v_add_lshl_u32 v1, v19, v39, 3
	buffer_gl0_inv
	s_cmp_lg_u32 s23, 0
	v_cmp_gt_i64_e64 s26, s[14:15], 0
	s_cselect_b32 s24, -1, 0
	ds_load_2addr_b64 v[13:16], v1 offset1:1
	ds_load_2addr_b64 v[9:12], v1 offset0:2 offset1:3
	ds_load_2addr_b64 v[5:8], v1 offset0:4 offset1:5
	;; [unrolled: 1-line block ×3, first 2 shown]
	s_cmp_lg_u64 s[6:7], 0
	s_mov_b32 s25, 0
	s_cselect_b32 s0, -1, 0
	s_waitcnt lgkmcnt(0)
	s_or_b32 s0, s0, s24
	s_barrier
	s_and_b32 vcc_lo, exec_lo, s0
	buffer_gl0_inv
	s_cbranch_vccz .LBB593_26
; %bb.18:
	global_load_b64 v[17:18], v[17:18], off offset:-8
	v_cndmask_b32_e64 v27, 0, 1, s26
	s_and_b32 vcc_lo, exec_lo, s22
	ds_store_b64 v39, v[3:4]
	v_cmp_ne_u32_e64 s0, 1, v27
	s_cbranch_vccz .LBB593_34
; %bb.19:
	v_mul_lo_u32 v21, v2, s14
	v_mul_lo_u32 v22, v1, s15
	v_mad_u64_u32 v[19:20], null, v1, s14, 0
	s_and_b32 vcc_lo, exec_lo, s0
	s_mov_b32 s27, 0
	s_delay_alu instid0(VALU_DEP_1) | instskip(NEXT) | instid1(VALU_DEP_1)
	v_add3_u32 v20, v20, v22, v21
	v_lshlrev_b64 v[19:20], 3, v[19:20]
	s_cbranch_vccnz .LBB593_37
; %bb.20:
	v_mul_lo_u32 v23, v4, s14
	v_mul_lo_u32 v24, v3, s15
	v_mad_u64_u32 v[21:22], null, v3, s14, 0
	s_mov_b32 s27, -1
	s_mov_b32 s28, exec_lo
	s_delay_alu instid0(VALU_DEP_1) | instskip(SKIP_2) | instid1(VALU_DEP_3)
	v_add3_u32 v22, v22, v24, v23
	v_add_co_u32 v23, vcc_lo, s16, v19
	v_add_co_ci_u32_e32 v24, vcc_lo, s17, v20, vcc_lo
	v_lshlrev_b64 v[21:22], 3, v[21:22]
	s_delay_alu instid0(VALU_DEP_1) | instskip(NEXT) | instid1(VALU_DEP_2)
	v_add_co_u32 v21, vcc_lo, s16, v21
	v_add_co_ci_u32_e32 v22, vcc_lo, s17, v22, vcc_lo
	s_clause 0x1
	global_load_b64 v[25:26], v[23:24], off
	global_load_b64 v[28:29], v[21:22], off
	s_waitcnt vmcnt(0)
	v_cmpx_eq_u64_e64 v[25:26], v[28:29]
	s_cbranch_execz .LBB593_36
; %bb.21:
	v_add_co_u32 v21, vcc_lo, v21, 8
	v_add_co_ci_u32_e32 v22, vcc_lo, 0, v22, vcc_lo
	v_add_co_u32 v23, vcc_lo, v23, 8
	v_add_co_ci_u32_e32 v24, vcc_lo, 0, v24, vcc_lo
	s_add_u32 s4, s14, -1
	s_addc_u32 s5, s15, -1
	s_mov_b64 s[6:7], 0
	s_mov_b32 s27, 0
                                        ; implicit-def: $sgpr29
	s_set_inst_prefetch_distance 0x1
	s_branch .LBB593_24
	.p2align	6
.LBB593_22:                             ;   in Loop: Header=BB593_24 Depth=1
	global_load_b64 v[25:26], v[23:24], off
	global_load_b64 v[28:29], v[21:22], off
	v_add_co_u32 v21, vcc_lo, v21, 8
	v_add_co_ci_u32_e32 v22, vcc_lo, 0, v22, vcc_lo
	v_add_co_u32 v23, s0, v23, 8
	s_delay_alu instid0(VALU_DEP_1)
	v_add_co_ci_u32_e64 v24, s0, 0, v24, s0
	s_add_u32 s6, s6, 1
	s_addc_u32 s7, s7, 0
	s_and_not1_b32 s0, s29, exec_lo
	s_waitcnt vmcnt(0)
	v_cmp_ne_u64_e32 vcc_lo, v[25:26], v[28:29]
	s_and_b32 s29, vcc_lo, exec_lo
	s_delay_alu instid0(SALU_CYCLE_1)
	s_or_b32 s29, s0, s29
.LBB593_23:                             ;   in Loop: Header=BB593_24 Depth=1
	v_dual_mov_b32 v26, s7 :: v_dual_mov_b32 v25, s6
	s_and_b32 s0, exec_lo, s29
	s_delay_alu instid0(SALU_CYCLE_1) | instskip(NEXT) | instid1(SALU_CYCLE_1)
	s_or_b32 s27, s0, s27
	s_and_not1_b32 exec_lo, exec_lo, s27
	s_cbranch_execz .LBB593_35
.LBB593_24:                             ; =>This Inner Loop Header: Depth=1
	s_or_b32 s29, s29, exec_lo
	s_cmp_eq_u64 s[4:5], s[6:7]
	s_cbranch_scc0 .LBB593_22
; %bb.25:                               ;   in Loop: Header=BB593_24 Depth=1
	s_mov_b64 s[6:7], s[14:15]
                                        ; implicit-def: $vgpr21_vgpr22
                                        ; implicit-def: $vgpr23_vgpr24
	s_branch .LBB593_23
.LBB593_26:
                                        ; implicit-def: $sgpr0
                                        ; implicit-def: $vgpr20
	s_branch .LBB593_195
.LBB593_27:
	v_readfirstlane_b32 s4, v17
	v_readfirstlane_b32 s5, v18
	global_load_b64 v[1:2], v39, s[4:5]
	s_or_b32 exec_lo, exec_lo, s0
	s_delay_alu instid0(SALU_CYCLE_1)
	s_mov_b32 s0, exec_lo
	v_cmpx_gt_u32_e64 s12, v26
	s_cbranch_execz .LBB593_9
.LBB593_28:
	v_lshlrev_b32_e32 v3, 3, v26
	v_readfirstlane_b32 s4, v17
	v_readfirstlane_b32 s5, v18
	global_load_b64 v[3:4], v3, s[4:5]
	s_or_b32 exec_lo, exec_lo, s0
	s_delay_alu instid0(SALU_CYCLE_1)
	s_mov_b32 s0, exec_lo
	v_cmpx_gt_u32_e64 s12, v25
	s_cbranch_execz .LBB593_10
.LBB593_29:
	v_lshlrev_b32_e32 v5, 3, v25
	v_readfirstlane_b32 s4, v17
	v_readfirstlane_b32 s5, v18
	global_load_b64 v[5:6], v5, s[4:5]
	s_or_b32 exec_lo, exec_lo, s0
	s_delay_alu instid0(SALU_CYCLE_1)
	s_mov_b32 s0, exec_lo
	v_cmpx_gt_u32_e64 s12, v24
	s_cbranch_execz .LBB593_11
.LBB593_30:
	v_lshlrev_b32_e32 v7, 3, v24
	v_readfirstlane_b32 s4, v17
	v_readfirstlane_b32 s5, v18
	global_load_b64 v[7:8], v7, s[4:5]
	s_or_b32 exec_lo, exec_lo, s0
	s_delay_alu instid0(SALU_CYCLE_1)
	s_mov_b32 s0, exec_lo
	v_cmpx_gt_u32_e64 s12, v23
	s_cbranch_execz .LBB593_12
.LBB593_31:
	v_lshlrev_b32_e32 v9, 3, v23
	v_readfirstlane_b32 s4, v17
	v_readfirstlane_b32 s5, v18
	global_load_b64 v[9:10], v9, s[4:5]
	s_or_b32 exec_lo, exec_lo, s0
	s_delay_alu instid0(SALU_CYCLE_1)
	s_mov_b32 s0, exec_lo
	v_cmpx_gt_u32_e64 s12, v22
	s_cbranch_execz .LBB593_13
.LBB593_32:
	v_lshlrev_b32_e32 v11, 3, v22
	v_readfirstlane_b32 s4, v17
	v_readfirstlane_b32 s5, v18
	global_load_b64 v[11:12], v11, s[4:5]
	s_or_b32 exec_lo, exec_lo, s0
	s_delay_alu instid0(SALU_CYCLE_1)
	s_mov_b32 s0, exec_lo
	v_cmpx_gt_u32_e64 s12, v21
	s_cbranch_execz .LBB593_14
.LBB593_33:
	v_lshlrev_b32_e32 v13, 3, v21
	v_readfirstlane_b32 s4, v17
	v_readfirstlane_b32 s5, v18
	global_load_b64 v[13:14], v13, s[4:5]
	s_or_b32 exec_lo, exec_lo, s0
	s_delay_alu instid0(SALU_CYCLE_1)
	s_mov_b32 s0, exec_lo
	v_cmpx_gt_u32_e64 s12, v20
	s_cbranch_execnz .LBB593_15
	s_branch .LBB593_16
.LBB593_34:
                                        ; implicit-def: $sgpr0
                                        ; implicit-def: $vgpr20
	s_cbranch_execnz .LBB593_103
	s_branch .LBB593_194
.LBB593_35:
	s_set_inst_prefetch_distance 0x2
	s_or_b32 exec_lo, exec_lo, s27
	v_cmp_gt_i64_e32 vcc_lo, s[14:15], v[25:26]
	s_or_not1_b32 s27, vcc_lo, exec_lo
.LBB593_36:
	s_or_b32 exec_lo, exec_lo, s28
.LBB593_37:
	v_mul_lo_u32 v23, v8, s14
	v_mul_lo_u32 v24, v7, s15
	v_mad_u64_u32 v[21:22], null, v7, s14, 0
	s_and_not1_b32 vcc_lo, exec_lo, s26
	s_delay_alu instid0(VALU_DEP_1) | instskip(NEXT) | instid1(VALU_DEP_1)
	v_add3_u32 v22, v22, v24, v23
	v_lshlrev_b64 v[21:22], 3, v[21:22]
	s_cbranch_vccnz .LBB593_46
; %bb.38:
	s_delay_alu instid0(VALU_DEP_1) | instskip(NEXT) | instid1(VALU_DEP_2)
	v_add_co_u32 v23, vcc_lo, s16, v21
	v_add_co_ci_u32_e32 v24, vcc_lo, s17, v22, vcc_lo
	v_add_co_u32 v19, vcc_lo, s16, v19
	v_add_co_ci_u32_e32 v20, vcc_lo, s17, v20, vcc_lo
	s_mov_b32 s25, -1
	s_clause 0x1
	global_load_b64 v[25:26], v[23:24], off
	global_load_b64 v[28:29], v[19:20], off
	s_mov_b32 s28, exec_lo
	s_waitcnt vmcnt(0)
	v_cmpx_eq_u64_e64 v[25:26], v[28:29]
	s_cbranch_execz .LBB593_45
; %bb.39:
	v_add_co_u32 v19, vcc_lo, v19, 8
	v_add_co_ci_u32_e32 v20, vcc_lo, 0, v20, vcc_lo
	v_add_co_u32 v23, vcc_lo, v23, 8
	v_add_co_ci_u32_e32 v24, vcc_lo, 0, v24, vcc_lo
	s_add_u32 s4, s14, -1
	s_addc_u32 s5, s15, -1
	s_mov_b64 s[6:7], 0
	s_mov_b32 s25, 0
                                        ; implicit-def: $sgpr29
	s_set_inst_prefetch_distance 0x1
	s_branch .LBB593_42
	.p2align	6
.LBB593_40:                             ;   in Loop: Header=BB593_42 Depth=1
	global_load_b64 v[25:26], v[23:24], off
	global_load_b64 v[28:29], v[19:20], off
	v_add_co_u32 v19, vcc_lo, v19, 8
	v_add_co_ci_u32_e32 v20, vcc_lo, 0, v20, vcc_lo
	v_add_co_u32 v23, s0, v23, 8
	s_delay_alu instid0(VALU_DEP_1)
	v_add_co_ci_u32_e64 v24, s0, 0, v24, s0
	s_add_u32 s6, s6, 1
	s_addc_u32 s7, s7, 0
	s_and_not1_b32 s0, s29, exec_lo
	s_waitcnt vmcnt(0)
	v_cmp_ne_u64_e32 vcc_lo, v[25:26], v[28:29]
	s_and_b32 s29, vcc_lo, exec_lo
	s_delay_alu instid0(SALU_CYCLE_1)
	s_or_b32 s29, s0, s29
.LBB593_41:                             ;   in Loop: Header=BB593_42 Depth=1
	v_dual_mov_b32 v26, s7 :: v_dual_mov_b32 v25, s6
	s_and_b32 s0, exec_lo, s29
	s_delay_alu instid0(SALU_CYCLE_1) | instskip(NEXT) | instid1(SALU_CYCLE_1)
	s_or_b32 s25, s0, s25
	s_and_not1_b32 exec_lo, exec_lo, s25
	s_cbranch_execz .LBB593_44
.LBB593_42:                             ; =>This Inner Loop Header: Depth=1
	s_or_b32 s29, s29, exec_lo
	s_cmp_eq_u64 s[4:5], s[6:7]
	s_cbranch_scc0 .LBB593_40
; %bb.43:                               ;   in Loop: Header=BB593_42 Depth=1
	s_mov_b64 s[6:7], s[14:15]
                                        ; implicit-def: $vgpr19_vgpr20
                                        ; implicit-def: $vgpr23_vgpr24
	s_branch .LBB593_41
.LBB593_44:
	s_set_inst_prefetch_distance 0x2
	s_or_b32 exec_lo, exec_lo, s25
	v_cmp_gt_i64_e32 vcc_lo, s[14:15], v[25:26]
	s_or_not1_b32 s25, vcc_lo, exec_lo
.LBB593_45:
	s_or_b32 exec_lo, exec_lo, s28
.LBB593_46:
	v_mul_lo_u32 v23, v6, s14
	v_mul_lo_u32 v24, v5, s15
	v_mad_u64_u32 v[19:20], null, v5, s14, 0
	s_mov_b32 s28, 0
	s_and_not1_b32 vcc_lo, exec_lo, s26
	s_mov_b32 s29, 0
	s_delay_alu instid0(VALU_DEP_1) | instskip(NEXT) | instid1(VALU_DEP_1)
	v_add3_u32 v20, v20, v24, v23
	v_lshlrev_b64 v[23:24], 3, v[19:20]
	s_cbranch_vccnz .LBB593_55
; %bb.47:
	s_delay_alu instid0(VALU_DEP_1) | instskip(NEXT) | instid1(VALU_DEP_2)
	v_add_co_u32 v25, vcc_lo, s16, v23
	v_add_co_ci_u32_e32 v26, vcc_lo, s17, v24, vcc_lo
	v_add_co_u32 v19, vcc_lo, s16, v21
	v_add_co_ci_u32_e32 v20, vcc_lo, s17, v22, vcc_lo
	s_mov_b32 s29, -1
	s_clause 0x1
	global_load_b64 v[21:22], v[25:26], off
	global_load_b64 v[28:29], v[19:20], off
	s_mov_b32 s30, exec_lo
	s_waitcnt vmcnt(0)
	v_cmpx_eq_u64_e64 v[21:22], v[28:29]
	s_cbranch_execz .LBB593_54
; %bb.48:
	v_add_co_u32 v19, vcc_lo, v19, 8
	v_add_co_ci_u32_e32 v20, vcc_lo, 0, v20, vcc_lo
	v_add_co_u32 v21, vcc_lo, v25, 8
	v_add_co_ci_u32_e32 v22, vcc_lo, 0, v26, vcc_lo
	s_add_u32 s4, s14, -1
	s_addc_u32 s5, s15, -1
	s_mov_b64 s[6:7], 0
	s_mov_b32 s29, 0
                                        ; implicit-def: $sgpr31
	s_set_inst_prefetch_distance 0x1
	s_branch .LBB593_51
	.p2align	6
.LBB593_49:                             ;   in Loop: Header=BB593_51 Depth=1
	global_load_b64 v[25:26], v[21:22], off
	global_load_b64 v[28:29], v[19:20], off
	v_add_co_u32 v19, vcc_lo, v19, 8
	v_add_co_ci_u32_e32 v20, vcc_lo, 0, v20, vcc_lo
	v_add_co_u32 v21, s0, v21, 8
	s_delay_alu instid0(VALU_DEP_1)
	v_add_co_ci_u32_e64 v22, s0, 0, v22, s0
	s_add_u32 s6, s6, 1
	s_addc_u32 s7, s7, 0
	s_and_not1_b32 s0, s31, exec_lo
	s_waitcnt vmcnt(0)
	v_cmp_ne_u64_e32 vcc_lo, v[25:26], v[28:29]
	s_and_b32 s31, vcc_lo, exec_lo
	s_delay_alu instid0(SALU_CYCLE_1)
	s_or_b32 s31, s0, s31
.LBB593_50:                             ;   in Loop: Header=BB593_51 Depth=1
	v_dual_mov_b32 v26, s7 :: v_dual_mov_b32 v25, s6
	s_and_b32 s0, exec_lo, s31
	s_delay_alu instid0(SALU_CYCLE_1) | instskip(NEXT) | instid1(SALU_CYCLE_1)
	s_or_b32 s29, s0, s29
	s_and_not1_b32 exec_lo, exec_lo, s29
	s_cbranch_execz .LBB593_53
.LBB593_51:                             ; =>This Inner Loop Header: Depth=1
	s_or_b32 s31, s31, exec_lo
	s_cmp_eq_u64 s[4:5], s[6:7]
	s_cbranch_scc0 .LBB593_49
; %bb.52:                               ;   in Loop: Header=BB593_51 Depth=1
	s_mov_b64 s[6:7], s[14:15]
                                        ; implicit-def: $vgpr19_vgpr20
                                        ; implicit-def: $vgpr21_vgpr22
	s_branch .LBB593_50
.LBB593_53:
	s_set_inst_prefetch_distance 0x2
	s_or_b32 exec_lo, exec_lo, s29
	v_cmp_gt_i64_e32 vcc_lo, s[14:15], v[25:26]
	s_or_not1_b32 s29, vcc_lo, exec_lo
.LBB593_54:
	s_or_b32 exec_lo, exec_lo, s30
.LBB593_55:
	v_mul_lo_u32 v21, v12, s14
	v_mul_lo_u32 v22, v11, s15
	v_mad_u64_u32 v[19:20], null, v11, s14, 0
	s_and_not1_b32 vcc_lo, exec_lo, s26
	s_delay_alu instid0(VALU_DEP_1) | instskip(NEXT) | instid1(VALU_DEP_1)
	v_add3_u32 v20, v20, v22, v21
	v_lshlrev_b64 v[19:20], 3, v[19:20]
	s_cbranch_vccnz .LBB593_64
; %bb.56:
	s_delay_alu instid0(VALU_DEP_1) | instskip(NEXT) | instid1(VALU_DEP_2)
	v_add_co_u32 v25, vcc_lo, s16, v19
	v_add_co_ci_u32_e32 v26, vcc_lo, s17, v20, vcc_lo
	v_add_co_u32 v21, vcc_lo, s16, v23
	v_add_co_ci_u32_e32 v22, vcc_lo, s17, v24, vcc_lo
	s_mov_b32 s28, -1
	s_clause 0x1
	global_load_b64 v[23:24], v[25:26], off
	global_load_b64 v[28:29], v[21:22], off
	s_mov_b32 s30, exec_lo
	s_waitcnt vmcnt(0)
	v_cmpx_eq_u64_e64 v[23:24], v[28:29]
	s_cbranch_execz .LBB593_63
; %bb.57:
	v_add_co_u32 v21, vcc_lo, v21, 8
	v_add_co_ci_u32_e32 v22, vcc_lo, 0, v22, vcc_lo
	v_add_co_u32 v23, vcc_lo, v25, 8
	v_add_co_ci_u32_e32 v24, vcc_lo, 0, v26, vcc_lo
	s_add_u32 s4, s14, -1
	s_addc_u32 s5, s15, -1
	s_mov_b64 s[6:7], 0
	s_mov_b32 s28, 0
                                        ; implicit-def: $sgpr31
	s_set_inst_prefetch_distance 0x1
	s_branch .LBB593_60
	.p2align	6
.LBB593_58:                             ;   in Loop: Header=BB593_60 Depth=1
	global_load_b64 v[25:26], v[23:24], off
	global_load_b64 v[28:29], v[21:22], off
	v_add_co_u32 v21, vcc_lo, v21, 8
	v_add_co_ci_u32_e32 v22, vcc_lo, 0, v22, vcc_lo
	v_add_co_u32 v23, s0, v23, 8
	s_delay_alu instid0(VALU_DEP_1)
	v_add_co_ci_u32_e64 v24, s0, 0, v24, s0
	s_add_u32 s6, s6, 1
	s_addc_u32 s7, s7, 0
	s_and_not1_b32 s0, s31, exec_lo
	s_waitcnt vmcnt(0)
	v_cmp_ne_u64_e32 vcc_lo, v[25:26], v[28:29]
	s_and_b32 s31, vcc_lo, exec_lo
	s_delay_alu instid0(SALU_CYCLE_1)
	s_or_b32 s31, s0, s31
.LBB593_59:                             ;   in Loop: Header=BB593_60 Depth=1
	v_dual_mov_b32 v26, s7 :: v_dual_mov_b32 v25, s6
	s_and_b32 s0, exec_lo, s31
	s_delay_alu instid0(SALU_CYCLE_1) | instskip(NEXT) | instid1(SALU_CYCLE_1)
	s_or_b32 s28, s0, s28
	s_and_not1_b32 exec_lo, exec_lo, s28
	s_cbranch_execz .LBB593_62
.LBB593_60:                             ; =>This Inner Loop Header: Depth=1
	s_or_b32 s31, s31, exec_lo
	s_cmp_eq_u64 s[4:5], s[6:7]
	s_cbranch_scc0 .LBB593_58
; %bb.61:                               ;   in Loop: Header=BB593_60 Depth=1
	s_mov_b64 s[6:7], s[14:15]
                                        ; implicit-def: $vgpr21_vgpr22
                                        ; implicit-def: $vgpr23_vgpr24
	s_branch .LBB593_59
.LBB593_62:
	s_set_inst_prefetch_distance 0x2
	s_or_b32 exec_lo, exec_lo, s28
	v_cmp_gt_i64_e32 vcc_lo, s[14:15], v[25:26]
	s_or_not1_b32 s28, vcc_lo, exec_lo
.LBB593_63:
	s_or_b32 exec_lo, exec_lo, s30
.LBB593_64:
	v_mul_lo_u32 v23, v10, s14
	v_mul_lo_u32 v24, v9, s15
	v_mad_u64_u32 v[21:22], null, v9, s14, 0
	s_mov_b32 s30, 0
	s_and_not1_b32 vcc_lo, exec_lo, s26
	s_mov_b32 s31, 0
	s_delay_alu instid0(VALU_DEP_1) | instskip(NEXT) | instid1(VALU_DEP_1)
	v_add3_u32 v22, v22, v24, v23
	v_lshlrev_b64 v[23:24], 3, v[21:22]
	s_cbranch_vccnz .LBB593_73
; %bb.65:
	s_delay_alu instid0(VALU_DEP_1) | instskip(NEXT) | instid1(VALU_DEP_2)
	v_add_co_u32 v21, vcc_lo, s16, v23
	v_add_co_ci_u32_e32 v22, vcc_lo, s17, v24, vcc_lo
	v_add_co_u32 v19, vcc_lo, s16, v19
	v_add_co_ci_u32_e32 v20, vcc_lo, s17, v20, vcc_lo
	s_mov_b32 s31, -1
	s_clause 0x1
	global_load_b64 v[25:26], v[21:22], off
	global_load_b64 v[28:29], v[19:20], off
	s_mov_b32 s33, exec_lo
	s_waitcnt vmcnt(0)
	v_cmpx_eq_u64_e64 v[25:26], v[28:29]
	s_cbranch_execz .LBB593_72
; %bb.66:
	v_add_co_u32 v19, vcc_lo, v19, 8
	v_add_co_ci_u32_e32 v20, vcc_lo, 0, v20, vcc_lo
	v_add_co_u32 v21, vcc_lo, v21, 8
	v_add_co_ci_u32_e32 v22, vcc_lo, 0, v22, vcc_lo
	s_add_u32 s4, s14, -1
	s_addc_u32 s5, s15, -1
	s_mov_b64 s[6:7], 0
	s_mov_b32 s31, 0
                                        ; implicit-def: $sgpr34
	s_set_inst_prefetch_distance 0x1
	s_branch .LBB593_69
	.p2align	6
.LBB593_67:                             ;   in Loop: Header=BB593_69 Depth=1
	global_load_b64 v[25:26], v[21:22], off
	global_load_b64 v[28:29], v[19:20], off
	v_add_co_u32 v19, vcc_lo, v19, 8
	v_add_co_ci_u32_e32 v20, vcc_lo, 0, v20, vcc_lo
	v_add_co_u32 v21, s0, v21, 8
	s_delay_alu instid0(VALU_DEP_1)
	v_add_co_ci_u32_e64 v22, s0, 0, v22, s0
	s_add_u32 s6, s6, 1
	s_addc_u32 s7, s7, 0
	s_and_not1_b32 s0, s34, exec_lo
	s_waitcnt vmcnt(0)
	v_cmp_ne_u64_e32 vcc_lo, v[25:26], v[28:29]
	s_and_b32 s34, vcc_lo, exec_lo
	s_delay_alu instid0(SALU_CYCLE_1)
	s_or_b32 s34, s0, s34
.LBB593_68:                             ;   in Loop: Header=BB593_69 Depth=1
	v_dual_mov_b32 v26, s7 :: v_dual_mov_b32 v25, s6
	s_and_b32 s0, exec_lo, s34
	s_delay_alu instid0(SALU_CYCLE_1) | instskip(NEXT) | instid1(SALU_CYCLE_1)
	s_or_b32 s31, s0, s31
	s_and_not1_b32 exec_lo, exec_lo, s31
	s_cbranch_execz .LBB593_71
.LBB593_69:                             ; =>This Inner Loop Header: Depth=1
	s_or_b32 s34, s34, exec_lo
	s_cmp_eq_u64 s[4:5], s[6:7]
	s_cbranch_scc0 .LBB593_67
; %bb.70:                               ;   in Loop: Header=BB593_69 Depth=1
	s_mov_b64 s[6:7], s[14:15]
                                        ; implicit-def: $vgpr19_vgpr20
                                        ; implicit-def: $vgpr21_vgpr22
	s_branch .LBB593_68
.LBB593_71:
	s_set_inst_prefetch_distance 0x2
	s_or_b32 exec_lo, exec_lo, s31
	v_cmp_gt_i64_e32 vcc_lo, s[14:15], v[25:26]
	s_or_not1_b32 s31, vcc_lo, exec_lo
.LBB593_72:
	s_or_b32 exec_lo, exec_lo, s33
.LBB593_73:
	v_mul_lo_u32 v21, v16, s14
	v_mul_lo_u32 v22, v15, s15
	v_mad_u64_u32 v[19:20], null, v15, s14, 0
	s_and_not1_b32 vcc_lo, exec_lo, s26
	s_delay_alu instid0(VALU_DEP_1) | instskip(NEXT) | instid1(VALU_DEP_1)
	v_add3_u32 v20, v20, v22, v21
	v_lshlrev_b64 v[21:22], 3, v[19:20]
	s_cbranch_vccnz .LBB593_82
; %bb.74:
	s_delay_alu instid0(VALU_DEP_1) | instskip(NEXT) | instid1(VALU_DEP_2)
	v_add_co_u32 v25, vcc_lo, s16, v21
	v_add_co_ci_u32_e32 v26, vcc_lo, s17, v22, vcc_lo
	v_add_co_u32 v19, vcc_lo, s16, v23
	v_add_co_ci_u32_e32 v20, vcc_lo, s17, v24, vcc_lo
	s_mov_b32 s30, -1
	s_clause 0x1
	global_load_b64 v[23:24], v[25:26], off
	global_load_b64 v[28:29], v[19:20], off
	s_mov_b32 s33, exec_lo
	s_waitcnt vmcnt(0)
	v_cmpx_eq_u64_e64 v[23:24], v[28:29]
	s_cbranch_execz .LBB593_81
; %bb.75:
	v_add_co_u32 v19, vcc_lo, v19, 8
	v_add_co_ci_u32_e32 v20, vcc_lo, 0, v20, vcc_lo
	v_add_co_u32 v23, vcc_lo, v25, 8
	v_add_co_ci_u32_e32 v24, vcc_lo, 0, v26, vcc_lo
	s_add_u32 s4, s14, -1
	s_addc_u32 s5, s15, -1
	s_mov_b64 s[6:7], 0
	s_mov_b32 s30, 0
                                        ; implicit-def: $sgpr34
	s_set_inst_prefetch_distance 0x1
	s_branch .LBB593_78
	.p2align	6
.LBB593_76:                             ;   in Loop: Header=BB593_78 Depth=1
	global_load_b64 v[25:26], v[23:24], off
	global_load_b64 v[28:29], v[19:20], off
	v_add_co_u32 v19, vcc_lo, v19, 8
	v_add_co_ci_u32_e32 v20, vcc_lo, 0, v20, vcc_lo
	v_add_co_u32 v23, s0, v23, 8
	s_delay_alu instid0(VALU_DEP_1)
	v_add_co_ci_u32_e64 v24, s0, 0, v24, s0
	s_add_u32 s6, s6, 1
	s_addc_u32 s7, s7, 0
	s_and_not1_b32 s0, s34, exec_lo
	s_waitcnt vmcnt(0)
	v_cmp_ne_u64_e32 vcc_lo, v[25:26], v[28:29]
	s_and_b32 s34, vcc_lo, exec_lo
	s_delay_alu instid0(SALU_CYCLE_1)
	s_or_b32 s34, s0, s34
.LBB593_77:                             ;   in Loop: Header=BB593_78 Depth=1
	v_dual_mov_b32 v26, s7 :: v_dual_mov_b32 v25, s6
	s_and_b32 s0, exec_lo, s34
	s_delay_alu instid0(SALU_CYCLE_1) | instskip(NEXT) | instid1(SALU_CYCLE_1)
	s_or_b32 s30, s0, s30
	s_and_not1_b32 exec_lo, exec_lo, s30
	s_cbranch_execz .LBB593_80
.LBB593_78:                             ; =>This Inner Loop Header: Depth=1
	s_or_b32 s34, s34, exec_lo
	s_cmp_eq_u64 s[4:5], s[6:7]
	s_cbranch_scc0 .LBB593_76
; %bb.79:                               ;   in Loop: Header=BB593_78 Depth=1
	s_mov_b64 s[6:7], s[14:15]
                                        ; implicit-def: $vgpr19_vgpr20
                                        ; implicit-def: $vgpr23_vgpr24
	s_branch .LBB593_77
.LBB593_80:
	s_set_inst_prefetch_distance 0x2
	s_or_b32 exec_lo, exec_lo, s30
	v_cmp_gt_i64_e32 vcc_lo, s[14:15], v[25:26]
	s_or_not1_b32 s30, vcc_lo, exec_lo
.LBB593_81:
	s_or_b32 exec_lo, exec_lo, s33
.LBB593_82:
	v_mul_lo_u32 v23, v14, s14
	v_mul_lo_u32 v24, v13, s15
	v_mad_u64_u32 v[19:20], null, v13, s14, 0
	s_and_not1_b32 vcc_lo, exec_lo, s26
	s_mov_b32 s0, 0
	s_delay_alu instid0(VALU_DEP_1) | instskip(NEXT) | instid1(VALU_DEP_1)
	v_add3_u32 v20, v20, v24, v23
	v_lshlrev_b64 v[19:20], 3, v[19:20]
	s_cbranch_vccnz .LBB593_91
; %bb.83:
	s_delay_alu instid0(VALU_DEP_1) | instskip(NEXT) | instid1(VALU_DEP_2)
	v_add_co_u32 v23, vcc_lo, s16, v19
	v_add_co_ci_u32_e32 v24, vcc_lo, s17, v20, vcc_lo
	v_add_co_u32 v21, vcc_lo, s16, v21
	v_add_co_ci_u32_e32 v22, vcc_lo, s17, v22, vcc_lo
	s_mov_b32 s0, -1
	s_clause 0x1
	global_load_b64 v[25:26], v[23:24], off
	global_load_b64 v[28:29], v[21:22], off
	s_mov_b32 s33, exec_lo
	s_waitcnt vmcnt(0)
	v_cmpx_eq_u64_e64 v[25:26], v[28:29]
	s_cbranch_execz .LBB593_90
; %bb.84:
	v_add_co_u32 v21, vcc_lo, v21, 8
	v_add_co_ci_u32_e32 v22, vcc_lo, 0, v22, vcc_lo
	v_add_co_u32 v23, vcc_lo, v23, 8
	v_add_co_ci_u32_e32 v24, vcc_lo, 0, v24, vcc_lo
	s_add_u32 s4, s14, -1
	s_addc_u32 s5, s15, -1
	s_mov_b64 s[6:7], 0
	s_mov_b32 s34, 0
                                        ; implicit-def: $sgpr35
	s_set_inst_prefetch_distance 0x1
	s_branch .LBB593_87
	.p2align	6
.LBB593_85:                             ;   in Loop: Header=BB593_87 Depth=1
	global_load_b64 v[25:26], v[23:24], off
	global_load_b64 v[28:29], v[21:22], off
	v_add_co_u32 v21, vcc_lo, v21, 8
	v_add_co_ci_u32_e32 v22, vcc_lo, 0, v22, vcc_lo
	v_add_co_u32 v23, s0, v23, 8
	s_delay_alu instid0(VALU_DEP_1)
	v_add_co_ci_u32_e64 v24, s0, 0, v24, s0
	s_add_u32 s6, s6, 1
	s_addc_u32 s7, s7, 0
	s_and_not1_b32 s0, s35, exec_lo
	s_waitcnt vmcnt(0)
	v_cmp_ne_u64_e32 vcc_lo, v[25:26], v[28:29]
	s_and_b32 s35, vcc_lo, exec_lo
	s_delay_alu instid0(SALU_CYCLE_1)
	s_or_b32 s35, s0, s35
.LBB593_86:                             ;   in Loop: Header=BB593_87 Depth=1
	v_dual_mov_b32 v26, s7 :: v_dual_mov_b32 v25, s6
	s_and_b32 s0, exec_lo, s35
	s_delay_alu instid0(SALU_CYCLE_1) | instskip(NEXT) | instid1(SALU_CYCLE_1)
	s_or_b32 s34, s0, s34
	s_and_not1_b32 exec_lo, exec_lo, s34
	s_cbranch_execz .LBB593_89
.LBB593_87:                             ; =>This Inner Loop Header: Depth=1
	s_or_b32 s35, s35, exec_lo
	s_cmp_eq_u64 s[4:5], s[6:7]
	s_cbranch_scc0 .LBB593_85
; %bb.88:                               ;   in Loop: Header=BB593_87 Depth=1
	s_mov_b64 s[6:7], s[14:15]
                                        ; implicit-def: $vgpr21_vgpr22
                                        ; implicit-def: $vgpr23_vgpr24
	s_branch .LBB593_86
.LBB593_89:
	s_set_inst_prefetch_distance 0x2
	s_or_b32 exec_lo, exec_lo, s34
	v_cmp_gt_i64_e32 vcc_lo, s[14:15], v[25:26]
	s_or_not1_b32 s0, vcc_lo, exec_lo
.LBB593_90:
	s_or_b32 exec_lo, exec_lo, s33
.LBB593_91:
	s_waitcnt vmcnt(0)
	v_dual_mov_b32 v22, v18 :: v_dual_mov_b32 v21, v17
	s_waitcnt lgkmcnt(0)
	s_barrier
	buffer_gl0_inv
	s_and_saveexec_b32 s4, s3
	s_cbranch_execz .LBB593_93
; %bb.92:
	v_add_nc_u32_e32 v21, -8, v39
	ds_load_b64 v[21:22], v21
.LBB593_93:
	s_or_b32 exec_lo, exec_lo, s4
	v_cndmask_b32_e64 v24, 0, 1, s31
	v_cndmask_b32_e64 v26, 0, 1, s29
	;; [unrolled: 1-line block ×7, first 2 shown]
	v_lshlrev_b16 v24, 8, v24
	v_lshlrev_b16 v26, 8, v26
	;; [unrolled: 1-line block ×4, first 2 shown]
	s_mov_b32 s25, 0
	v_or_b32_e32 v23, v23, v24
	v_or_b32_e32 v24, v25, v26
	;; [unrolled: 1-line block ×3, first 2 shown]
	v_and_b32_e32 v25, 0xffff, v29
	s_and_not1_b32 vcc_lo, exec_lo, s26
	v_lshlrev_b32_e32 v26, 16, v23
	v_and_b32_e32 v28, 0xffff, v24
	v_lshlrev_b32_e32 v29, 16, v30
	s_mov_b32 s0, 0
	s_cbranch_vccnz .LBB593_102
; %bb.94:
	s_waitcnt lgkmcnt(0)
	v_mul_lo_u32 v24, v22, s14
	v_mul_lo_u32 v30, v21, s15
	v_mad_u64_u32 v[22:23], null, v21, s14, 0
	s_mov_b32 s0, -1
	s_mov_b32 s27, exec_lo
	s_delay_alu instid0(VALU_DEP_1) | instskip(NEXT) | instid1(VALU_DEP_1)
	v_add3_u32 v23, v23, v30, v24
	v_lshlrev_b64 v[21:22], 3, v[22:23]
	s_delay_alu instid0(VALU_DEP_1) | instskip(NEXT) | instid1(VALU_DEP_2)
	v_add_co_u32 v21, vcc_lo, s16, v21
	v_add_co_ci_u32_e32 v22, vcc_lo, s17, v22, vcc_lo
	v_add_co_u32 v19, vcc_lo, s16, v19
	v_add_co_ci_u32_e32 v20, vcc_lo, s17, v20, vcc_lo
	s_clause 0x1
	global_load_b64 v[23:24], v[21:22], off
	global_load_b64 v[30:31], v[19:20], off
	s_waitcnt vmcnt(0)
	v_cmpx_eq_u64_e64 v[23:24], v[30:31]
	s_cbranch_execz .LBB593_101
; %bb.95:
	v_add_co_u32 v19, vcc_lo, v19, 8
	v_add_co_ci_u32_e32 v20, vcc_lo, 0, v20, vcc_lo
	v_add_co_u32 v21, vcc_lo, v21, 8
	v_add_co_ci_u32_e32 v22, vcc_lo, 0, v22, vcc_lo
	s_add_u32 s4, s14, -1
	s_addc_u32 s5, s15, -1
	s_mov_b64 s[6:7], 0
	s_mov_b32 s28, 0
                                        ; implicit-def: $sgpr29
	s_set_inst_prefetch_distance 0x1
	s_branch .LBB593_98
	.p2align	6
.LBB593_96:                             ;   in Loop: Header=BB593_98 Depth=1
	global_load_b64 v[23:24], v[21:22], off
	global_load_b64 v[30:31], v[19:20], off
	v_add_co_u32 v19, vcc_lo, v19, 8
	v_add_co_ci_u32_e32 v20, vcc_lo, 0, v20, vcc_lo
	v_add_co_u32 v21, s0, v21, 8
	s_delay_alu instid0(VALU_DEP_1)
	v_add_co_ci_u32_e64 v22, s0, 0, v22, s0
	s_add_u32 s6, s6, 1
	s_addc_u32 s7, s7, 0
	s_and_not1_b32 s0, s29, exec_lo
	s_waitcnt vmcnt(0)
	v_cmp_ne_u64_e32 vcc_lo, v[23:24], v[30:31]
	s_and_b32 s29, vcc_lo, exec_lo
	s_delay_alu instid0(SALU_CYCLE_1)
	s_or_b32 s29, s0, s29
.LBB593_97:                             ;   in Loop: Header=BB593_98 Depth=1
	v_dual_mov_b32 v24, s7 :: v_dual_mov_b32 v23, s6
	s_and_b32 s0, exec_lo, s29
	s_delay_alu instid0(SALU_CYCLE_1) | instskip(NEXT) | instid1(SALU_CYCLE_1)
	s_or_b32 s28, s0, s28
	s_and_not1_b32 exec_lo, exec_lo, s28
	s_cbranch_execz .LBB593_100
.LBB593_98:                             ; =>This Inner Loop Header: Depth=1
	s_or_b32 s29, s29, exec_lo
	s_cmp_eq_u64 s[4:5], s[6:7]
	s_cbranch_scc0 .LBB593_96
; %bb.99:                               ;   in Loop: Header=BB593_98 Depth=1
	s_mov_b64 s[6:7], s[14:15]
                                        ; implicit-def: $vgpr19_vgpr20
                                        ; implicit-def: $vgpr21_vgpr22
	s_branch .LBB593_97
.LBB593_100:
	s_set_inst_prefetch_distance 0x2
	s_or_b32 exec_lo, exec_lo, s28
	v_cmp_gt_i64_e32 vcc_lo, s[14:15], v[23:24]
	s_or_not1_b32 s0, vcc_lo, exec_lo
.LBB593_101:
	s_or_b32 exec_lo, exec_lo, s27
.LBB593_102:
	v_or_b32_e32 v19, v25, v26
	s_delay_alu instid0(VALU_DEP_2)
	v_or_b32_e32 v20, v28, v29
	s_and_b32 vcc_lo, exec_lo, s25
	s_cbranch_vccz .LBB593_194
.LBB593_103:
	v_or_b32_e32 v19, 7, v39
	s_mov_b32 s25, 0
	s_mov_b32 s27, 0
	s_mov_b32 s28, exec_lo
	s_delay_alu instid0(VALU_DEP_1)
	v_cmpx_gt_u32_e64 s12, v19
	s_cbranch_execz .LBB593_114
; %bb.104:
	s_and_not1_b32 vcc_lo, exec_lo, s26
	s_mov_b32 s0, 0
	s_cbranch_vccnz .LBB593_113
; %bb.105:
	v_mul_lo_u32 v23, v2, s14
	v_mul_lo_u32 v24, v1, s15
	v_mad_u64_u32 v[19:20], null, v1, s14, 0
	v_mul_lo_u32 v25, v4, s14
	v_mul_lo_u32 v26, v3, s15
	s_waitcnt lgkmcnt(0)
	v_mad_u64_u32 v[21:22], null, v3, s14, 0
	s_mov_b32 s0, -1
	s_mov_b32 s26, exec_lo
	s_delay_alu instid0(VALU_DEP_4) | instskip(NEXT) | instid1(VALU_DEP_2)
	v_add3_u32 v20, v20, v24, v23
	v_add3_u32 v22, v22, v26, v25
	s_delay_alu instid0(VALU_DEP_2) | instskip(NEXT) | instid1(VALU_DEP_2)
	v_lshlrev_b64 v[19:20], 3, v[19:20]
	v_lshlrev_b64 v[23:24], 3, v[21:22]
	s_delay_alu instid0(VALU_DEP_2) | instskip(NEXT) | instid1(VALU_DEP_3)
	v_add_co_u32 v21, vcc_lo, s16, v19
	v_add_co_ci_u32_e32 v22, vcc_lo, s17, v20, vcc_lo
	s_delay_alu instid0(VALU_DEP_3) | instskip(NEXT) | instid1(VALU_DEP_4)
	v_add_co_u32 v19, vcc_lo, s16, v23
	v_add_co_ci_u32_e32 v20, vcc_lo, s17, v24, vcc_lo
	s_clause 0x1
	global_load_b64 v[23:24], v[21:22], off
	global_load_b64 v[25:26], v[19:20], off
	s_waitcnt vmcnt(0)
	v_cmpx_eq_u64_e64 v[23:24], v[25:26]
	s_cbranch_execz .LBB593_112
; %bb.106:
	v_add_co_u32 v19, vcc_lo, v19, 8
	v_add_co_ci_u32_e32 v20, vcc_lo, 0, v20, vcc_lo
	v_add_co_u32 v21, vcc_lo, v21, 8
	v_add_co_ci_u32_e32 v22, vcc_lo, 0, v22, vcc_lo
	s_add_u32 s4, s14, -1
	s_addc_u32 s5, s15, -1
	s_mov_b64 s[6:7], 0
                                        ; implicit-def: $sgpr29
	s_set_inst_prefetch_distance 0x1
	s_branch .LBB593_109
	.p2align	6
.LBB593_107:                            ;   in Loop: Header=BB593_109 Depth=1
	global_load_b64 v[23:24], v[21:22], off
	global_load_b64 v[25:26], v[19:20], off
	v_add_co_u32 v19, vcc_lo, v19, 8
	v_add_co_ci_u32_e32 v20, vcc_lo, 0, v20, vcc_lo
	v_add_co_u32 v21, s0, v21, 8
	s_delay_alu instid0(VALU_DEP_1)
	v_add_co_ci_u32_e64 v22, s0, 0, v22, s0
	s_add_u32 s6, s6, 1
	s_addc_u32 s7, s7, 0
	s_and_not1_b32 s0, s29, exec_lo
	s_waitcnt vmcnt(0)
	v_cmp_ne_u64_e32 vcc_lo, v[23:24], v[25:26]
	s_and_b32 s29, vcc_lo, exec_lo
	s_delay_alu instid0(SALU_CYCLE_1)
	s_or_b32 s29, s0, s29
.LBB593_108:                            ;   in Loop: Header=BB593_109 Depth=1
	v_dual_mov_b32 v24, s7 :: v_dual_mov_b32 v23, s6
	s_and_b32 s0, exec_lo, s29
	s_delay_alu instid0(SALU_CYCLE_1) | instskip(NEXT) | instid1(SALU_CYCLE_1)
	s_or_b32 s27, s0, s27
	s_and_not1_b32 exec_lo, exec_lo, s27
	s_cbranch_execz .LBB593_111
.LBB593_109:                            ; =>This Inner Loop Header: Depth=1
	s_or_b32 s29, s29, exec_lo
	s_cmp_eq_u64 s[4:5], s[6:7]
	s_cbranch_scc0 .LBB593_107
; %bb.110:                              ;   in Loop: Header=BB593_109 Depth=1
	s_mov_b64 s[6:7], s[14:15]
                                        ; implicit-def: $vgpr19_vgpr20
                                        ; implicit-def: $vgpr21_vgpr22
	s_branch .LBB593_108
.LBB593_111:
	s_set_inst_prefetch_distance 0x2
	s_or_b32 exec_lo, exec_lo, s27
	v_cmp_gt_i64_e32 vcc_lo, s[14:15], v[23:24]
	s_or_not1_b32 s0, vcc_lo, exec_lo
.LBB593_112:
	s_or_b32 exec_lo, exec_lo, s26
.LBB593_113:
	s_delay_alu instid0(SALU_CYCLE_1)
	s_and_b32 s27, s0, exec_lo
.LBB593_114:
	s_or_b32 exec_lo, exec_lo, s28
	v_or_b32_e32 v19, 6, v39
	s_mov_b32 s26, exec_lo
	s_delay_alu instid0(VALU_DEP_1)
	v_cmpx_gt_u32_e64 s12, v19
	s_cbranch_execz .LBB593_125
; %bb.115:
	v_cmp_ne_u32_e32 vcc_lo, 1, v27
	s_mov_b32 s0, 0
	s_cbranch_vccnz .LBB593_124
; %bb.116:
	v_mul_lo_u32 v23, v8, s14
	v_mul_lo_u32 v24, v7, s15
	v_mad_u64_u32 v[19:20], null, v7, s14, 0
	v_mul_lo_u32 v25, v2, s14
	v_mul_lo_u32 v26, v1, s15
	s_waitcnt lgkmcnt(0)
	v_mad_u64_u32 v[21:22], null, v1, s14, 0
	s_mov_b32 s0, -1
	s_mov_b32 s25, exec_lo
	s_delay_alu instid0(VALU_DEP_4) | instskip(NEXT) | instid1(VALU_DEP_2)
	v_add3_u32 v20, v20, v24, v23
	v_add3_u32 v22, v22, v26, v25
	s_delay_alu instid0(VALU_DEP_2) | instskip(NEXT) | instid1(VALU_DEP_2)
	v_lshlrev_b64 v[19:20], 3, v[19:20]
	v_lshlrev_b64 v[23:24], 3, v[21:22]
	s_delay_alu instid0(VALU_DEP_2) | instskip(NEXT) | instid1(VALU_DEP_3)
	v_add_co_u32 v21, vcc_lo, s16, v19
	v_add_co_ci_u32_e32 v22, vcc_lo, s17, v20, vcc_lo
	s_delay_alu instid0(VALU_DEP_3) | instskip(NEXT) | instid1(VALU_DEP_4)
	v_add_co_u32 v19, vcc_lo, s16, v23
	v_add_co_ci_u32_e32 v20, vcc_lo, s17, v24, vcc_lo
	s_clause 0x1
	global_load_b64 v[23:24], v[21:22], off
	global_load_b64 v[25:26], v[19:20], off
	s_waitcnt vmcnt(0)
	v_cmpx_eq_u64_e64 v[23:24], v[25:26]
	s_cbranch_execz .LBB593_123
; %bb.117:
	v_add_co_u32 v19, vcc_lo, v19, 8
	v_add_co_ci_u32_e32 v20, vcc_lo, 0, v20, vcc_lo
	v_add_co_u32 v21, vcc_lo, v21, 8
	v_add_co_ci_u32_e32 v22, vcc_lo, 0, v22, vcc_lo
	s_add_u32 s4, s14, -1
	s_addc_u32 s5, s15, -1
	s_mov_b64 s[6:7], 0
	s_mov_b32 s28, 0
                                        ; implicit-def: $sgpr29
	s_set_inst_prefetch_distance 0x1
	s_branch .LBB593_120
	.p2align	6
.LBB593_118:                            ;   in Loop: Header=BB593_120 Depth=1
	global_load_b64 v[23:24], v[21:22], off
	global_load_b64 v[25:26], v[19:20], off
	v_add_co_u32 v19, vcc_lo, v19, 8
	v_add_co_ci_u32_e32 v20, vcc_lo, 0, v20, vcc_lo
	v_add_co_u32 v21, s0, v21, 8
	s_delay_alu instid0(VALU_DEP_1)
	v_add_co_ci_u32_e64 v22, s0, 0, v22, s0
	s_add_u32 s6, s6, 1
	s_addc_u32 s7, s7, 0
	s_and_not1_b32 s0, s29, exec_lo
	s_waitcnt vmcnt(0)
	v_cmp_ne_u64_e32 vcc_lo, v[23:24], v[25:26]
	s_and_b32 s29, vcc_lo, exec_lo
	s_delay_alu instid0(SALU_CYCLE_1)
	s_or_b32 s29, s0, s29
.LBB593_119:                            ;   in Loop: Header=BB593_120 Depth=1
	v_dual_mov_b32 v24, s7 :: v_dual_mov_b32 v23, s6
	s_and_b32 s0, exec_lo, s29
	s_delay_alu instid0(SALU_CYCLE_1) | instskip(NEXT) | instid1(SALU_CYCLE_1)
	s_or_b32 s28, s0, s28
	s_and_not1_b32 exec_lo, exec_lo, s28
	s_cbranch_execz .LBB593_122
.LBB593_120:                            ; =>This Inner Loop Header: Depth=1
	s_or_b32 s29, s29, exec_lo
	s_cmp_eq_u64 s[4:5], s[6:7]
	s_cbranch_scc0 .LBB593_118
; %bb.121:                              ;   in Loop: Header=BB593_120 Depth=1
	s_mov_b64 s[6:7], s[14:15]
                                        ; implicit-def: $vgpr19_vgpr20
                                        ; implicit-def: $vgpr21_vgpr22
	s_branch .LBB593_119
.LBB593_122:
	s_set_inst_prefetch_distance 0x2
	s_or_b32 exec_lo, exec_lo, s28
	v_cmp_gt_i64_e32 vcc_lo, s[14:15], v[23:24]
	s_or_not1_b32 s0, vcc_lo, exec_lo
.LBB593_123:
	s_or_b32 exec_lo, exec_lo, s25
.LBB593_124:
	s_delay_alu instid0(SALU_CYCLE_1)
	s_and_b32 s25, s0, exec_lo
.LBB593_125:
	s_or_b32 exec_lo, exec_lo, s26
	v_or_b32_e32 v19, 5, v39
	s_mov_b32 s28, 0
	s_mov_b32 s26, 0
	s_mov_b32 s29, exec_lo
	s_delay_alu instid0(VALU_DEP_1)
	v_cmpx_gt_u32_e64 s12, v19
	s_cbranch_execz .LBB593_136
; %bb.126:
	v_cmp_ne_u32_e32 vcc_lo, 1, v27
	s_mov_b32 s0, 0
	s_cbranch_vccnz .LBB593_135
; %bb.127:
	v_mul_lo_u32 v23, v6, s14
	v_mul_lo_u32 v24, v5, s15
	v_mad_u64_u32 v[19:20], null, v5, s14, 0
	v_mul_lo_u32 v25, v8, s14
	v_mul_lo_u32 v26, v7, s15
	s_waitcnt lgkmcnt(0)
	v_mad_u64_u32 v[21:22], null, v7, s14, 0
	s_mov_b32 s0, -1
	s_mov_b32 s26, exec_lo
	s_delay_alu instid0(VALU_DEP_4) | instskip(NEXT) | instid1(VALU_DEP_2)
	v_add3_u32 v20, v20, v24, v23
	v_add3_u32 v22, v22, v26, v25
	s_delay_alu instid0(VALU_DEP_2) | instskip(NEXT) | instid1(VALU_DEP_2)
	v_lshlrev_b64 v[19:20], 3, v[19:20]
	v_lshlrev_b64 v[23:24], 3, v[21:22]
	s_delay_alu instid0(VALU_DEP_2) | instskip(NEXT) | instid1(VALU_DEP_3)
	v_add_co_u32 v21, vcc_lo, s16, v19
	v_add_co_ci_u32_e32 v22, vcc_lo, s17, v20, vcc_lo
	s_delay_alu instid0(VALU_DEP_3) | instskip(NEXT) | instid1(VALU_DEP_4)
	v_add_co_u32 v19, vcc_lo, s16, v23
	v_add_co_ci_u32_e32 v20, vcc_lo, s17, v24, vcc_lo
	s_clause 0x1
	global_load_b64 v[23:24], v[21:22], off
	global_load_b64 v[25:26], v[19:20], off
	s_waitcnt vmcnt(0)
	v_cmpx_eq_u64_e64 v[23:24], v[25:26]
	s_cbranch_execz .LBB593_134
; %bb.128:
	v_add_co_u32 v19, vcc_lo, v19, 8
	v_add_co_ci_u32_e32 v20, vcc_lo, 0, v20, vcc_lo
	v_add_co_u32 v21, vcc_lo, v21, 8
	v_add_co_ci_u32_e32 v22, vcc_lo, 0, v22, vcc_lo
	s_add_u32 s4, s14, -1
	s_addc_u32 s5, s15, -1
	s_mov_b64 s[6:7], 0
	s_mov_b32 s30, 0
                                        ; implicit-def: $sgpr31
	s_set_inst_prefetch_distance 0x1
	s_branch .LBB593_131
	.p2align	6
.LBB593_129:                            ;   in Loop: Header=BB593_131 Depth=1
	global_load_b64 v[23:24], v[21:22], off
	global_load_b64 v[25:26], v[19:20], off
	v_add_co_u32 v19, vcc_lo, v19, 8
	v_add_co_ci_u32_e32 v20, vcc_lo, 0, v20, vcc_lo
	v_add_co_u32 v21, s0, v21, 8
	s_delay_alu instid0(VALU_DEP_1)
	v_add_co_ci_u32_e64 v22, s0, 0, v22, s0
	s_add_u32 s6, s6, 1
	s_addc_u32 s7, s7, 0
	s_and_not1_b32 s0, s31, exec_lo
	s_waitcnt vmcnt(0)
	v_cmp_ne_u64_e32 vcc_lo, v[23:24], v[25:26]
	s_and_b32 s31, vcc_lo, exec_lo
	s_delay_alu instid0(SALU_CYCLE_1)
	s_or_b32 s31, s0, s31
.LBB593_130:                            ;   in Loop: Header=BB593_131 Depth=1
	v_dual_mov_b32 v24, s7 :: v_dual_mov_b32 v23, s6
	s_and_b32 s0, exec_lo, s31
	s_delay_alu instid0(SALU_CYCLE_1) | instskip(NEXT) | instid1(SALU_CYCLE_1)
	s_or_b32 s30, s0, s30
	s_and_not1_b32 exec_lo, exec_lo, s30
	s_cbranch_execz .LBB593_133
.LBB593_131:                            ; =>This Inner Loop Header: Depth=1
	s_or_b32 s31, s31, exec_lo
	s_cmp_eq_u64 s[4:5], s[6:7]
	s_cbranch_scc0 .LBB593_129
; %bb.132:                              ;   in Loop: Header=BB593_131 Depth=1
	s_mov_b64 s[6:7], s[14:15]
                                        ; implicit-def: $vgpr19_vgpr20
                                        ; implicit-def: $vgpr21_vgpr22
	s_branch .LBB593_130
.LBB593_133:
	s_set_inst_prefetch_distance 0x2
	s_or_b32 exec_lo, exec_lo, s30
	v_cmp_gt_i64_e32 vcc_lo, s[14:15], v[23:24]
	s_or_not1_b32 s0, vcc_lo, exec_lo
.LBB593_134:
	s_or_b32 exec_lo, exec_lo, s26
.LBB593_135:
	s_delay_alu instid0(SALU_CYCLE_1)
	s_and_b32 s26, s0, exec_lo
.LBB593_136:
	s_or_b32 exec_lo, exec_lo, s29
	v_or_b32_e32 v19, 4, v39
	s_mov_b32 s29, exec_lo
	s_delay_alu instid0(VALU_DEP_1)
	v_cmpx_gt_u32_e64 s12, v19
	s_cbranch_execz .LBB593_147
; %bb.137:
	v_cmp_ne_u32_e32 vcc_lo, 1, v27
	s_mov_b32 s0, 0
	s_cbranch_vccnz .LBB593_146
; %bb.138:
	v_mul_lo_u32 v23, v12, s14
	v_mul_lo_u32 v24, v11, s15
	v_mad_u64_u32 v[19:20], null, v11, s14, 0
	v_mul_lo_u32 v25, v6, s14
	v_mul_lo_u32 v26, v5, s15
	s_waitcnt lgkmcnt(0)
	v_mad_u64_u32 v[21:22], null, v5, s14, 0
	s_mov_b32 s0, -1
	s_mov_b32 s28, exec_lo
	s_delay_alu instid0(VALU_DEP_4) | instskip(NEXT) | instid1(VALU_DEP_2)
	v_add3_u32 v20, v20, v24, v23
	v_add3_u32 v22, v22, v26, v25
	s_delay_alu instid0(VALU_DEP_2) | instskip(NEXT) | instid1(VALU_DEP_2)
	v_lshlrev_b64 v[19:20], 3, v[19:20]
	v_lshlrev_b64 v[23:24], 3, v[21:22]
	s_delay_alu instid0(VALU_DEP_2) | instskip(NEXT) | instid1(VALU_DEP_3)
	v_add_co_u32 v21, vcc_lo, s16, v19
	v_add_co_ci_u32_e32 v22, vcc_lo, s17, v20, vcc_lo
	s_delay_alu instid0(VALU_DEP_3) | instskip(NEXT) | instid1(VALU_DEP_4)
	v_add_co_u32 v19, vcc_lo, s16, v23
	v_add_co_ci_u32_e32 v20, vcc_lo, s17, v24, vcc_lo
	s_clause 0x1
	global_load_b64 v[23:24], v[21:22], off
	global_load_b64 v[25:26], v[19:20], off
	s_waitcnt vmcnt(0)
	v_cmpx_eq_u64_e64 v[23:24], v[25:26]
	s_cbranch_execz .LBB593_145
; %bb.139:
	v_add_co_u32 v19, vcc_lo, v19, 8
	v_add_co_ci_u32_e32 v20, vcc_lo, 0, v20, vcc_lo
	v_add_co_u32 v21, vcc_lo, v21, 8
	v_add_co_ci_u32_e32 v22, vcc_lo, 0, v22, vcc_lo
	s_add_u32 s4, s14, -1
	s_addc_u32 s5, s15, -1
	s_mov_b64 s[6:7], 0
	s_mov_b32 s30, 0
                                        ; implicit-def: $sgpr31
	s_set_inst_prefetch_distance 0x1
	s_branch .LBB593_142
	.p2align	6
.LBB593_140:                            ;   in Loop: Header=BB593_142 Depth=1
	global_load_b64 v[23:24], v[21:22], off
	global_load_b64 v[25:26], v[19:20], off
	v_add_co_u32 v19, vcc_lo, v19, 8
	v_add_co_ci_u32_e32 v20, vcc_lo, 0, v20, vcc_lo
	v_add_co_u32 v21, s0, v21, 8
	s_delay_alu instid0(VALU_DEP_1)
	v_add_co_ci_u32_e64 v22, s0, 0, v22, s0
	s_add_u32 s6, s6, 1
	s_addc_u32 s7, s7, 0
	s_and_not1_b32 s0, s31, exec_lo
	s_waitcnt vmcnt(0)
	v_cmp_ne_u64_e32 vcc_lo, v[23:24], v[25:26]
	s_and_b32 s31, vcc_lo, exec_lo
	s_delay_alu instid0(SALU_CYCLE_1)
	s_or_b32 s31, s0, s31
.LBB593_141:                            ;   in Loop: Header=BB593_142 Depth=1
	v_dual_mov_b32 v24, s7 :: v_dual_mov_b32 v23, s6
	s_and_b32 s0, exec_lo, s31
	s_delay_alu instid0(SALU_CYCLE_1) | instskip(NEXT) | instid1(SALU_CYCLE_1)
	s_or_b32 s30, s0, s30
	s_and_not1_b32 exec_lo, exec_lo, s30
	s_cbranch_execz .LBB593_144
.LBB593_142:                            ; =>This Inner Loop Header: Depth=1
	s_or_b32 s31, s31, exec_lo
	s_cmp_eq_u64 s[4:5], s[6:7]
	s_cbranch_scc0 .LBB593_140
; %bb.143:                              ;   in Loop: Header=BB593_142 Depth=1
	s_mov_b64 s[6:7], s[14:15]
                                        ; implicit-def: $vgpr19_vgpr20
                                        ; implicit-def: $vgpr21_vgpr22
	s_branch .LBB593_141
.LBB593_144:
	s_set_inst_prefetch_distance 0x2
	s_or_b32 exec_lo, exec_lo, s30
	v_cmp_gt_i64_e32 vcc_lo, s[14:15], v[23:24]
	s_or_not1_b32 s0, vcc_lo, exec_lo
.LBB593_145:
	s_or_b32 exec_lo, exec_lo, s28
.LBB593_146:
	s_delay_alu instid0(SALU_CYCLE_1)
	s_and_b32 s28, s0, exec_lo
.LBB593_147:
	s_or_b32 exec_lo, exec_lo, s29
	v_or_b32_e32 v19, 3, v39
	s_mov_b32 s30, 0
	s_mov_b32 s29, 0
	s_mov_b32 s31, exec_lo
	s_delay_alu instid0(VALU_DEP_1)
	v_cmpx_gt_u32_e64 s12, v19
	s_cbranch_execz .LBB593_158
; %bb.148:
	v_cmp_ne_u32_e32 vcc_lo, 1, v27
	s_mov_b32 s0, 0
	s_cbranch_vccnz .LBB593_157
; %bb.149:
	v_mul_lo_u32 v23, v10, s14
	v_mul_lo_u32 v24, v9, s15
	v_mad_u64_u32 v[19:20], null, v9, s14, 0
	v_mul_lo_u32 v25, v12, s14
	v_mul_lo_u32 v26, v11, s15
	s_waitcnt lgkmcnt(0)
	v_mad_u64_u32 v[21:22], null, v11, s14, 0
	s_mov_b32 s0, -1
	s_mov_b32 s29, exec_lo
	s_delay_alu instid0(VALU_DEP_4) | instskip(NEXT) | instid1(VALU_DEP_2)
	v_add3_u32 v20, v20, v24, v23
	v_add3_u32 v22, v22, v26, v25
	s_delay_alu instid0(VALU_DEP_2) | instskip(NEXT) | instid1(VALU_DEP_2)
	v_lshlrev_b64 v[19:20], 3, v[19:20]
	v_lshlrev_b64 v[23:24], 3, v[21:22]
	s_delay_alu instid0(VALU_DEP_2) | instskip(NEXT) | instid1(VALU_DEP_3)
	v_add_co_u32 v21, vcc_lo, s16, v19
	v_add_co_ci_u32_e32 v22, vcc_lo, s17, v20, vcc_lo
	s_delay_alu instid0(VALU_DEP_3) | instskip(NEXT) | instid1(VALU_DEP_4)
	v_add_co_u32 v19, vcc_lo, s16, v23
	v_add_co_ci_u32_e32 v20, vcc_lo, s17, v24, vcc_lo
	s_clause 0x1
	global_load_b64 v[23:24], v[21:22], off
	global_load_b64 v[25:26], v[19:20], off
	s_waitcnt vmcnt(0)
	v_cmpx_eq_u64_e64 v[23:24], v[25:26]
	s_cbranch_execz .LBB593_156
; %bb.150:
	v_add_co_u32 v19, vcc_lo, v19, 8
	v_add_co_ci_u32_e32 v20, vcc_lo, 0, v20, vcc_lo
	v_add_co_u32 v21, vcc_lo, v21, 8
	v_add_co_ci_u32_e32 v22, vcc_lo, 0, v22, vcc_lo
	s_add_u32 s4, s14, -1
	s_addc_u32 s5, s15, -1
	s_mov_b64 s[6:7], 0
	s_mov_b32 s33, 0
                                        ; implicit-def: $sgpr34
	s_set_inst_prefetch_distance 0x1
	s_branch .LBB593_153
	.p2align	6
.LBB593_151:                            ;   in Loop: Header=BB593_153 Depth=1
	global_load_b64 v[23:24], v[21:22], off
	global_load_b64 v[25:26], v[19:20], off
	v_add_co_u32 v19, vcc_lo, v19, 8
	v_add_co_ci_u32_e32 v20, vcc_lo, 0, v20, vcc_lo
	v_add_co_u32 v21, s0, v21, 8
	s_delay_alu instid0(VALU_DEP_1)
	v_add_co_ci_u32_e64 v22, s0, 0, v22, s0
	s_add_u32 s6, s6, 1
	s_addc_u32 s7, s7, 0
	s_and_not1_b32 s0, s34, exec_lo
	s_waitcnt vmcnt(0)
	v_cmp_ne_u64_e32 vcc_lo, v[23:24], v[25:26]
	s_and_b32 s34, vcc_lo, exec_lo
	s_delay_alu instid0(SALU_CYCLE_1)
	s_or_b32 s34, s0, s34
.LBB593_152:                            ;   in Loop: Header=BB593_153 Depth=1
	v_dual_mov_b32 v24, s7 :: v_dual_mov_b32 v23, s6
	s_and_b32 s0, exec_lo, s34
	s_delay_alu instid0(SALU_CYCLE_1) | instskip(NEXT) | instid1(SALU_CYCLE_1)
	s_or_b32 s33, s0, s33
	s_and_not1_b32 exec_lo, exec_lo, s33
	s_cbranch_execz .LBB593_155
.LBB593_153:                            ; =>This Inner Loop Header: Depth=1
	s_or_b32 s34, s34, exec_lo
	s_cmp_eq_u64 s[4:5], s[6:7]
	s_cbranch_scc0 .LBB593_151
; %bb.154:                              ;   in Loop: Header=BB593_153 Depth=1
	s_mov_b64 s[6:7], s[14:15]
                                        ; implicit-def: $vgpr19_vgpr20
                                        ; implicit-def: $vgpr21_vgpr22
	s_branch .LBB593_152
.LBB593_155:
	s_set_inst_prefetch_distance 0x2
	s_or_b32 exec_lo, exec_lo, s33
	v_cmp_gt_i64_e32 vcc_lo, s[14:15], v[23:24]
	s_or_not1_b32 s0, vcc_lo, exec_lo
.LBB593_156:
	s_or_b32 exec_lo, exec_lo, s29
.LBB593_157:
	s_delay_alu instid0(SALU_CYCLE_1)
	s_and_b32 s29, s0, exec_lo
.LBB593_158:
	s_or_b32 exec_lo, exec_lo, s31
	v_or_b32_e32 v19, 2, v39
	s_mov_b32 s31, exec_lo
	s_delay_alu instid0(VALU_DEP_1)
	v_cmpx_gt_u32_e64 s12, v19
	s_cbranch_execz .LBB593_169
; %bb.159:
	v_cmp_ne_u32_e32 vcc_lo, 1, v27
	s_mov_b32 s0, 0
	s_cbranch_vccnz .LBB593_168
; %bb.160:
	v_mul_lo_u32 v23, v16, s14
	v_mul_lo_u32 v24, v15, s15
	v_mad_u64_u32 v[19:20], null, v15, s14, 0
	v_mul_lo_u32 v25, v10, s14
	v_mul_lo_u32 v26, v9, s15
	s_waitcnt lgkmcnt(0)
	v_mad_u64_u32 v[21:22], null, v9, s14, 0
	s_mov_b32 s0, -1
	s_mov_b32 s30, exec_lo
	s_delay_alu instid0(VALU_DEP_4) | instskip(NEXT) | instid1(VALU_DEP_2)
	v_add3_u32 v20, v20, v24, v23
	v_add3_u32 v22, v22, v26, v25
	s_delay_alu instid0(VALU_DEP_2) | instskip(NEXT) | instid1(VALU_DEP_2)
	v_lshlrev_b64 v[19:20], 3, v[19:20]
	v_lshlrev_b64 v[23:24], 3, v[21:22]
	s_delay_alu instid0(VALU_DEP_2) | instskip(NEXT) | instid1(VALU_DEP_3)
	v_add_co_u32 v21, vcc_lo, s16, v19
	v_add_co_ci_u32_e32 v22, vcc_lo, s17, v20, vcc_lo
	s_delay_alu instid0(VALU_DEP_3) | instskip(NEXT) | instid1(VALU_DEP_4)
	v_add_co_u32 v19, vcc_lo, s16, v23
	v_add_co_ci_u32_e32 v20, vcc_lo, s17, v24, vcc_lo
	s_clause 0x1
	global_load_b64 v[23:24], v[21:22], off
	global_load_b64 v[25:26], v[19:20], off
	s_waitcnt vmcnt(0)
	v_cmpx_eq_u64_e64 v[23:24], v[25:26]
	s_cbranch_execz .LBB593_167
; %bb.161:
	v_add_co_u32 v19, vcc_lo, v19, 8
	v_add_co_ci_u32_e32 v20, vcc_lo, 0, v20, vcc_lo
	v_add_co_u32 v21, vcc_lo, v21, 8
	v_add_co_ci_u32_e32 v22, vcc_lo, 0, v22, vcc_lo
	s_add_u32 s4, s14, -1
	s_addc_u32 s5, s15, -1
	s_mov_b64 s[6:7], 0
	s_mov_b32 s33, 0
                                        ; implicit-def: $sgpr34
	s_set_inst_prefetch_distance 0x1
	s_branch .LBB593_164
	.p2align	6
.LBB593_162:                            ;   in Loop: Header=BB593_164 Depth=1
	global_load_b64 v[23:24], v[21:22], off
	global_load_b64 v[25:26], v[19:20], off
	v_add_co_u32 v19, vcc_lo, v19, 8
	v_add_co_ci_u32_e32 v20, vcc_lo, 0, v20, vcc_lo
	v_add_co_u32 v21, s0, v21, 8
	s_delay_alu instid0(VALU_DEP_1)
	v_add_co_ci_u32_e64 v22, s0, 0, v22, s0
	s_add_u32 s6, s6, 1
	s_addc_u32 s7, s7, 0
	s_and_not1_b32 s0, s34, exec_lo
	s_waitcnt vmcnt(0)
	v_cmp_ne_u64_e32 vcc_lo, v[23:24], v[25:26]
	s_and_b32 s34, vcc_lo, exec_lo
	s_delay_alu instid0(SALU_CYCLE_1)
	s_or_b32 s34, s0, s34
.LBB593_163:                            ;   in Loop: Header=BB593_164 Depth=1
	v_dual_mov_b32 v24, s7 :: v_dual_mov_b32 v23, s6
	s_and_b32 s0, exec_lo, s34
	s_delay_alu instid0(SALU_CYCLE_1) | instskip(NEXT) | instid1(SALU_CYCLE_1)
	s_or_b32 s33, s0, s33
	s_and_not1_b32 exec_lo, exec_lo, s33
	s_cbranch_execz .LBB593_166
.LBB593_164:                            ; =>This Inner Loop Header: Depth=1
	s_or_b32 s34, s34, exec_lo
	s_cmp_eq_u64 s[4:5], s[6:7]
	s_cbranch_scc0 .LBB593_162
; %bb.165:                              ;   in Loop: Header=BB593_164 Depth=1
	s_mov_b64 s[6:7], s[14:15]
                                        ; implicit-def: $vgpr19_vgpr20
                                        ; implicit-def: $vgpr21_vgpr22
	s_branch .LBB593_163
.LBB593_166:
	s_set_inst_prefetch_distance 0x2
	s_or_b32 exec_lo, exec_lo, s33
	v_cmp_gt_i64_e32 vcc_lo, s[14:15], v[23:24]
	s_or_not1_b32 s0, vcc_lo, exec_lo
.LBB593_167:
	s_or_b32 exec_lo, exec_lo, s30
.LBB593_168:
	s_delay_alu instid0(SALU_CYCLE_1)
	s_and_b32 s30, s0, exec_lo
.LBB593_169:
	s_or_b32 exec_lo, exec_lo, s31
	v_or_b32_e32 v19, 1, v39
	s_mov_b32 s0, 0
	s_mov_b32 s31, exec_lo
	s_delay_alu instid0(VALU_DEP_1)
	v_cmpx_gt_u32_e64 s12, v19
	s_cbranch_execz .LBB593_180
; %bb.170:
	v_cmp_ne_u32_e32 vcc_lo, 1, v27
	s_cbranch_vccnz .LBB593_179
; %bb.171:
	v_mul_lo_u32 v23, v14, s14
	v_mul_lo_u32 v24, v13, s15
	v_mad_u64_u32 v[19:20], null, v13, s14, 0
	v_mul_lo_u32 v25, v16, s14
	v_mul_lo_u32 v26, v15, s15
	s_waitcnt lgkmcnt(0)
	v_mad_u64_u32 v[21:22], null, v15, s14, 0
	s_mov_b32 s0, -1
	s_mov_b32 s33, exec_lo
	s_delay_alu instid0(VALU_DEP_4) | instskip(NEXT) | instid1(VALU_DEP_2)
	v_add3_u32 v20, v20, v24, v23
	v_add3_u32 v22, v22, v26, v25
	s_delay_alu instid0(VALU_DEP_2) | instskip(NEXT) | instid1(VALU_DEP_2)
	v_lshlrev_b64 v[19:20], 3, v[19:20]
	v_lshlrev_b64 v[23:24], 3, v[21:22]
	s_delay_alu instid0(VALU_DEP_2) | instskip(NEXT) | instid1(VALU_DEP_3)
	v_add_co_u32 v21, vcc_lo, s16, v19
	v_add_co_ci_u32_e32 v22, vcc_lo, s17, v20, vcc_lo
	s_delay_alu instid0(VALU_DEP_3) | instskip(NEXT) | instid1(VALU_DEP_4)
	v_add_co_u32 v19, vcc_lo, s16, v23
	v_add_co_ci_u32_e32 v20, vcc_lo, s17, v24, vcc_lo
	s_clause 0x1
	global_load_b64 v[23:24], v[21:22], off
	global_load_b64 v[25:26], v[19:20], off
	s_waitcnt vmcnt(0)
	v_cmpx_eq_u64_e64 v[23:24], v[25:26]
	s_cbranch_execz .LBB593_178
; %bb.172:
	v_add_co_u32 v19, vcc_lo, v19, 8
	v_add_co_ci_u32_e32 v20, vcc_lo, 0, v20, vcc_lo
	v_add_co_u32 v21, vcc_lo, v21, 8
	v_add_co_ci_u32_e32 v22, vcc_lo, 0, v22, vcc_lo
	s_add_u32 s4, s14, -1
	s_addc_u32 s5, s15, -1
	s_mov_b64 s[6:7], 0
	s_mov_b32 s34, 0
                                        ; implicit-def: $sgpr35
	s_set_inst_prefetch_distance 0x1
	s_branch .LBB593_175
	.p2align	6
.LBB593_173:                            ;   in Loop: Header=BB593_175 Depth=1
	global_load_b64 v[23:24], v[21:22], off
	global_load_b64 v[25:26], v[19:20], off
	v_add_co_u32 v19, vcc_lo, v19, 8
	v_add_co_ci_u32_e32 v20, vcc_lo, 0, v20, vcc_lo
	v_add_co_u32 v21, s0, v21, 8
	s_delay_alu instid0(VALU_DEP_1)
	v_add_co_ci_u32_e64 v22, s0, 0, v22, s0
	s_add_u32 s6, s6, 1
	s_addc_u32 s7, s7, 0
	s_and_not1_b32 s0, s35, exec_lo
	s_waitcnt vmcnt(0)
	v_cmp_ne_u64_e32 vcc_lo, v[23:24], v[25:26]
	s_and_b32 s35, vcc_lo, exec_lo
	s_delay_alu instid0(SALU_CYCLE_1)
	s_or_b32 s35, s0, s35
.LBB593_174:                            ;   in Loop: Header=BB593_175 Depth=1
	v_dual_mov_b32 v24, s7 :: v_dual_mov_b32 v23, s6
	s_and_b32 s0, exec_lo, s35
	s_delay_alu instid0(SALU_CYCLE_1) | instskip(NEXT) | instid1(SALU_CYCLE_1)
	s_or_b32 s34, s0, s34
	s_and_not1_b32 exec_lo, exec_lo, s34
	s_cbranch_execz .LBB593_177
.LBB593_175:                            ; =>This Inner Loop Header: Depth=1
	s_or_b32 s35, s35, exec_lo
	s_cmp_eq_u64 s[4:5], s[6:7]
	s_cbranch_scc0 .LBB593_173
; %bb.176:                              ;   in Loop: Header=BB593_175 Depth=1
	s_mov_b64 s[6:7], s[14:15]
                                        ; implicit-def: $vgpr19_vgpr20
                                        ; implicit-def: $vgpr21_vgpr22
	s_branch .LBB593_174
.LBB593_177:
	s_set_inst_prefetch_distance 0x2
	s_or_b32 exec_lo, exec_lo, s34
	v_cmp_gt_i64_e32 vcc_lo, s[14:15], v[23:24]
	s_or_not1_b32 s0, vcc_lo, exec_lo
.LBB593_178:
	s_or_b32 exec_lo, exec_lo, s33
.LBB593_179:
	s_delay_alu instid0(SALU_CYCLE_1)
	s_and_b32 s0, s0, exec_lo
.LBB593_180:
	s_or_b32 exec_lo, exec_lo, s31
	s_waitcnt vmcnt(0) lgkmcnt(0)
	s_barrier
	buffer_gl0_inv
	s_and_saveexec_b32 s4, s3
	s_cbranch_execz .LBB593_182
; %bb.181:
	v_add_nc_u32_e32 v17, -8, v39
	ds_load_b64 v[17:18], v17
.LBB593_182:
	s_or_b32 exec_lo, exec_lo, s4
	v_cndmask_b32_e64 v20, 0, 1, s29
	v_cndmask_b32_e64 v22, 0, 1, s26
	;; [unrolled: 1-line block ×7, first 2 shown]
	v_lshlrev_b16 v20, 8, v20
	v_lshlrev_b16 v22, 8, v22
	;; [unrolled: 1-line block ×3, first 2 shown]
	s_mov_b32 s0, 0
	v_lshlrev_b16 v25, 8, v25
	v_or_b32_e32 v19, v19, v20
	v_or_b32_e32 v20, v21, v22
	;; [unrolled: 1-line block ×3, first 2 shown]
	s_mov_b32 s25, exec_lo
	v_and_b32_e32 v23, 0xffff, v25
	v_lshlrev_b32_e32 v24, 16, v19
	v_and_b32_e32 v25, 0xffff, v20
	v_lshlrev_b32_e32 v26, 16, v21
	v_cmpx_gt_u32_e64 s12, v39
	s_cbranch_execz .LBB593_193
; %bb.183:
	v_cmp_ne_u32_e32 vcc_lo, 1, v27
	s_cbranch_vccnz .LBB593_192
; %bb.184:
	s_waitcnt lgkmcnt(0)
	v_mul_lo_u32 v22, v18, s14
	v_mul_lo_u32 v27, v17, s15
	v_mad_u64_u32 v[18:19], null, v17, s14, 0
	v_mul_lo_u32 v17, v14, s14
	v_mul_lo_u32 v28, v13, s15
	v_mad_u64_u32 v[20:21], null, v13, s14, 0
	s_mov_b32 s0, -1
	s_mov_b32 s26, exec_lo
	s_delay_alu instid0(VALU_DEP_4) | instskip(NEXT) | instid1(VALU_DEP_2)
	v_add3_u32 v19, v19, v27, v22
	v_add3_u32 v21, v21, v28, v17
	s_delay_alu instid0(VALU_DEP_2) | instskip(NEXT) | instid1(VALU_DEP_2)
	v_lshlrev_b64 v[17:18], 3, v[18:19]
	v_lshlrev_b64 v[21:22], 3, v[20:21]
	s_delay_alu instid0(VALU_DEP_2) | instskip(NEXT) | instid1(VALU_DEP_3)
	v_add_co_u32 v19, vcc_lo, s16, v17
	v_add_co_ci_u32_e32 v20, vcc_lo, s17, v18, vcc_lo
	s_delay_alu instid0(VALU_DEP_3) | instskip(NEXT) | instid1(VALU_DEP_4)
	v_add_co_u32 v17, vcc_lo, s16, v21
	v_add_co_ci_u32_e32 v18, vcc_lo, s17, v22, vcc_lo
	s_clause 0x1
	global_load_b64 v[21:22], v[19:20], off
	global_load_b64 v[27:28], v[17:18], off
	s_waitcnt vmcnt(0)
	v_cmpx_eq_u64_e64 v[21:22], v[27:28]
	s_cbranch_execz .LBB593_191
; %bb.185:
	v_add_co_u32 v17, vcc_lo, v17, 8
	v_add_co_ci_u32_e32 v18, vcc_lo, 0, v18, vcc_lo
	v_add_co_u32 v19, vcc_lo, v19, 8
	v_add_co_ci_u32_e32 v20, vcc_lo, 0, v20, vcc_lo
	s_add_u32 s4, s14, -1
	s_addc_u32 s5, s15, -1
	s_mov_b64 s[6:7], 0
	s_mov_b32 s27, 0
                                        ; implicit-def: $sgpr28
	s_set_inst_prefetch_distance 0x1
	s_branch .LBB593_188
	.p2align	6
.LBB593_186:                            ;   in Loop: Header=BB593_188 Depth=1
	global_load_b64 v[21:22], v[19:20], off
	global_load_b64 v[27:28], v[17:18], off
	v_add_co_u32 v17, vcc_lo, v17, 8
	v_add_co_ci_u32_e32 v18, vcc_lo, 0, v18, vcc_lo
	v_add_co_u32 v19, s0, v19, 8
	s_delay_alu instid0(VALU_DEP_1)
	v_add_co_ci_u32_e64 v20, s0, 0, v20, s0
	s_add_u32 s6, s6, 1
	s_addc_u32 s7, s7, 0
	s_and_not1_b32 s0, s28, exec_lo
	s_waitcnt vmcnt(0)
	v_cmp_ne_u64_e32 vcc_lo, v[21:22], v[27:28]
	s_and_b32 s28, vcc_lo, exec_lo
	s_delay_alu instid0(SALU_CYCLE_1)
	s_or_b32 s28, s0, s28
.LBB593_187:                            ;   in Loop: Header=BB593_188 Depth=1
	v_dual_mov_b32 v22, s7 :: v_dual_mov_b32 v21, s6
	s_and_b32 s0, exec_lo, s28
	s_delay_alu instid0(SALU_CYCLE_1) | instskip(NEXT) | instid1(SALU_CYCLE_1)
	s_or_b32 s27, s0, s27
	s_and_not1_b32 exec_lo, exec_lo, s27
	s_cbranch_execz .LBB593_190
.LBB593_188:                            ; =>This Inner Loop Header: Depth=1
	s_or_b32 s28, s28, exec_lo
	s_cmp_eq_u64 s[4:5], s[6:7]
	s_cbranch_scc0 .LBB593_186
; %bb.189:                              ;   in Loop: Header=BB593_188 Depth=1
	s_mov_b64 s[6:7], s[14:15]
                                        ; implicit-def: $vgpr17_vgpr18
                                        ; implicit-def: $vgpr19_vgpr20
	s_branch .LBB593_187
.LBB593_190:
	s_set_inst_prefetch_distance 0x2
	s_or_b32 exec_lo, exec_lo, s27
	v_cmp_gt_i64_e32 vcc_lo, s[14:15], v[21:22]
	s_or_not1_b32 s0, vcc_lo, exec_lo
.LBB593_191:
	s_or_b32 exec_lo, exec_lo, s26
.LBB593_192:
	s_delay_alu instid0(SALU_CYCLE_1)
	s_and_b32 s0, s0, exec_lo
.LBB593_193:
	s_or_b32 exec_lo, exec_lo, s25
	v_or_b32_e32 v19, v23, v24
	v_or_b32_e32 v20, v25, v26
.LBB593_194:
	s_mov_b32 s25, -1
	s_cbranch_execnz .LBB593_363
.LBB593_195:
	v_cmp_gt_i64_e64 s26, s[14:15], 0
	s_and_b32 vcc_lo, exec_lo, s22
	ds_store_b64 v39, v[3:4]
	s_cbranch_vccz .LBB593_203
; %bb.196:
	v_mul_lo_u32 v19, v2, s14
	v_mul_lo_u32 v20, v1, s15
	s_waitcnt vmcnt(0) lgkmcnt(1)
	v_mad_u64_u32 v[17:18], null, v1, s14, 0
	s_mov_b32 s27, 0
	s_and_not1_b32 vcc_lo, exec_lo, s26
	s_mov_b32 s28, 0
	s_delay_alu instid0(VALU_DEP_1) | instskip(NEXT) | instid1(VALU_DEP_1)
	v_add3_u32 v18, v18, v20, v19
	v_lshlrev_b64 v[17:18], 3, v[17:18]
	s_cbranch_vccnz .LBB593_206
; %bb.197:
	v_mul_lo_u32 v21, v4, s14
	v_mul_lo_u32 v22, v3, s15
	v_mad_u64_u32 v[19:20], null, v3, s14, 0
	s_mov_b32 s28, -1
	s_mov_b32 s29, exec_lo
	s_delay_alu instid0(VALU_DEP_1) | instskip(SKIP_2) | instid1(VALU_DEP_3)
	v_add3_u32 v20, v20, v22, v21
	v_add_co_u32 v21, vcc_lo, s16, v17
	v_add_co_ci_u32_e32 v22, vcc_lo, s17, v18, vcc_lo
	v_lshlrev_b64 v[19:20], 3, v[19:20]
	s_delay_alu instid0(VALU_DEP_1) | instskip(NEXT) | instid1(VALU_DEP_2)
	v_add_co_u32 v19, vcc_lo, s16, v19
	v_add_co_ci_u32_e32 v20, vcc_lo, s17, v20, vcc_lo
	s_clause 0x1
	global_load_b64 v[23:24], v[21:22], off
	global_load_b64 v[25:26], v[19:20], off
	s_waitcnt vmcnt(0)
	v_cmpx_eq_u64_e64 v[23:24], v[25:26]
	s_cbranch_execz .LBB593_205
; %bb.198:
	v_add_co_u32 v19, vcc_lo, v19, 8
	v_add_co_ci_u32_e32 v20, vcc_lo, 0, v20, vcc_lo
	v_add_co_u32 v21, vcc_lo, v21, 8
	v_add_co_ci_u32_e32 v22, vcc_lo, 0, v22, vcc_lo
	s_add_u32 s4, s14, -1
	s_addc_u32 s5, s15, -1
	s_mov_b64 s[6:7], 0
	s_mov_b32 s28, 0
                                        ; implicit-def: $sgpr30
	s_set_inst_prefetch_distance 0x1
	s_branch .LBB593_201
	.p2align	6
.LBB593_199:                            ;   in Loop: Header=BB593_201 Depth=1
	global_load_b64 v[23:24], v[21:22], off
	global_load_b64 v[25:26], v[19:20], off
	v_add_co_u32 v19, vcc_lo, v19, 8
	v_add_co_ci_u32_e32 v20, vcc_lo, 0, v20, vcc_lo
	v_add_co_u32 v21, s0, v21, 8
	s_delay_alu instid0(VALU_DEP_1)
	v_add_co_ci_u32_e64 v22, s0, 0, v22, s0
	s_add_u32 s6, s6, 1
	s_addc_u32 s7, s7, 0
	s_and_not1_b32 s0, s30, exec_lo
	s_waitcnt vmcnt(0)
	v_cmp_ne_u64_e32 vcc_lo, v[23:24], v[25:26]
	s_and_b32 s30, vcc_lo, exec_lo
	s_delay_alu instid0(SALU_CYCLE_1)
	s_or_b32 s30, s0, s30
.LBB593_200:                            ;   in Loop: Header=BB593_201 Depth=1
	v_dual_mov_b32 v24, s7 :: v_dual_mov_b32 v23, s6
	s_and_b32 s0, exec_lo, s30
	s_delay_alu instid0(SALU_CYCLE_1) | instskip(NEXT) | instid1(SALU_CYCLE_1)
	s_or_b32 s28, s0, s28
	s_and_not1_b32 exec_lo, exec_lo, s28
	s_cbranch_execz .LBB593_204
.LBB593_201:                            ; =>This Inner Loop Header: Depth=1
	s_or_b32 s30, s30, exec_lo
	s_cmp_eq_u64 s[4:5], s[6:7]
	s_cbranch_scc0 .LBB593_199
; %bb.202:                              ;   in Loop: Header=BB593_201 Depth=1
	s_mov_b64 s[6:7], s[14:15]
                                        ; implicit-def: $vgpr19_vgpr20
                                        ; implicit-def: $vgpr21_vgpr22
	s_branch .LBB593_200
.LBB593_203:
                                        ; implicit-def: $sgpr0
                                        ; implicit-def: $vgpr20
	s_cbranch_execnz .LBB593_272
	s_branch .LBB593_363
.LBB593_204:
	s_set_inst_prefetch_distance 0x2
	s_or_b32 exec_lo, exec_lo, s28
	v_cmp_gt_i64_e32 vcc_lo, s[14:15], v[23:24]
	s_or_not1_b32 s28, vcc_lo, exec_lo
.LBB593_205:
	s_or_b32 exec_lo, exec_lo, s29
.LBB593_206:
	v_mul_lo_u32 v21, v8, s14
	v_mul_lo_u32 v22, v7, s15
	v_mad_u64_u32 v[19:20], null, v7, s14, 0
	s_and_not1_b32 vcc_lo, exec_lo, s26
	s_delay_alu instid0(VALU_DEP_1) | instskip(NEXT) | instid1(VALU_DEP_1)
	v_add3_u32 v20, v20, v22, v21
	v_lshlrev_b64 v[19:20], 3, v[19:20]
	s_cbranch_vccnz .LBB593_215
; %bb.207:
	s_delay_alu instid0(VALU_DEP_1) | instskip(NEXT) | instid1(VALU_DEP_2)
	v_add_co_u32 v21, vcc_lo, s16, v19
	v_add_co_ci_u32_e32 v22, vcc_lo, s17, v20, vcc_lo
	v_add_co_u32 v17, vcc_lo, s16, v17
	v_add_co_ci_u32_e32 v18, vcc_lo, s17, v18, vcc_lo
	s_mov_b32 s27, -1
	s_clause 0x1
	global_load_b64 v[23:24], v[21:22], off
	global_load_b64 v[25:26], v[17:18], off
	s_mov_b32 s29, exec_lo
	s_waitcnt vmcnt(0)
	v_cmpx_eq_u64_e64 v[23:24], v[25:26]
	s_cbranch_execz .LBB593_214
; %bb.208:
	v_add_co_u32 v17, vcc_lo, v17, 8
	v_add_co_ci_u32_e32 v18, vcc_lo, 0, v18, vcc_lo
	v_add_co_u32 v21, vcc_lo, v21, 8
	v_add_co_ci_u32_e32 v22, vcc_lo, 0, v22, vcc_lo
	s_add_u32 s4, s14, -1
	s_addc_u32 s5, s15, -1
	s_mov_b64 s[6:7], 0
	s_mov_b32 s27, 0
                                        ; implicit-def: $sgpr30
	s_set_inst_prefetch_distance 0x1
	s_branch .LBB593_211
	.p2align	6
.LBB593_209:                            ;   in Loop: Header=BB593_211 Depth=1
	global_load_b64 v[23:24], v[21:22], off
	global_load_b64 v[25:26], v[17:18], off
	v_add_co_u32 v17, vcc_lo, v17, 8
	v_add_co_ci_u32_e32 v18, vcc_lo, 0, v18, vcc_lo
	v_add_co_u32 v21, s0, v21, 8
	s_delay_alu instid0(VALU_DEP_1)
	v_add_co_ci_u32_e64 v22, s0, 0, v22, s0
	s_add_u32 s6, s6, 1
	s_addc_u32 s7, s7, 0
	s_and_not1_b32 s0, s30, exec_lo
	s_waitcnt vmcnt(0)
	v_cmp_ne_u64_e32 vcc_lo, v[23:24], v[25:26]
	s_and_b32 s30, vcc_lo, exec_lo
	s_delay_alu instid0(SALU_CYCLE_1)
	s_or_b32 s30, s0, s30
.LBB593_210:                            ;   in Loop: Header=BB593_211 Depth=1
	v_dual_mov_b32 v24, s7 :: v_dual_mov_b32 v23, s6
	s_and_b32 s0, exec_lo, s30
	s_delay_alu instid0(SALU_CYCLE_1) | instskip(NEXT) | instid1(SALU_CYCLE_1)
	s_or_b32 s27, s0, s27
	s_and_not1_b32 exec_lo, exec_lo, s27
	s_cbranch_execz .LBB593_213
.LBB593_211:                            ; =>This Inner Loop Header: Depth=1
	s_or_b32 s30, s30, exec_lo
	s_cmp_eq_u64 s[4:5], s[6:7]
	s_cbranch_scc0 .LBB593_209
; %bb.212:                              ;   in Loop: Header=BB593_211 Depth=1
	s_mov_b64 s[6:7], s[14:15]
                                        ; implicit-def: $vgpr17_vgpr18
                                        ; implicit-def: $vgpr21_vgpr22
	s_branch .LBB593_210
.LBB593_213:
	s_set_inst_prefetch_distance 0x2
	s_or_b32 exec_lo, exec_lo, s27
	v_cmp_gt_i64_e32 vcc_lo, s[14:15], v[23:24]
	s_or_not1_b32 s27, vcc_lo, exec_lo
.LBB593_214:
	s_or_b32 exec_lo, exec_lo, s29
.LBB593_215:
	v_mul_lo_u32 v21, v6, s14
	v_mul_lo_u32 v22, v5, s15
	v_mad_u64_u32 v[17:18], null, v5, s14, 0
	s_mov_b32 s29, 0
	s_and_not1_b32 vcc_lo, exec_lo, s26
	s_mov_b32 s30, 0
	s_delay_alu instid0(VALU_DEP_1) | instskip(NEXT) | instid1(VALU_DEP_1)
	v_add3_u32 v18, v18, v22, v21
	v_lshlrev_b64 v[21:22], 3, v[17:18]
	s_cbranch_vccnz .LBB593_224
; %bb.216:
	s_delay_alu instid0(VALU_DEP_1) | instskip(NEXT) | instid1(VALU_DEP_2)
	v_add_co_u32 v23, vcc_lo, s16, v21
	v_add_co_ci_u32_e32 v24, vcc_lo, s17, v22, vcc_lo
	v_add_co_u32 v17, vcc_lo, s16, v19
	v_add_co_ci_u32_e32 v18, vcc_lo, s17, v20, vcc_lo
	s_mov_b32 s30, -1
	s_clause 0x1
	global_load_b64 v[19:20], v[23:24], off
	global_load_b64 v[25:26], v[17:18], off
	s_mov_b32 s31, exec_lo
	s_waitcnt vmcnt(0)
	v_cmpx_eq_u64_e64 v[19:20], v[25:26]
	s_cbranch_execz .LBB593_223
; %bb.217:
	v_add_co_u32 v17, vcc_lo, v17, 8
	v_add_co_ci_u32_e32 v18, vcc_lo, 0, v18, vcc_lo
	v_add_co_u32 v19, vcc_lo, v23, 8
	v_add_co_ci_u32_e32 v20, vcc_lo, 0, v24, vcc_lo
	s_add_u32 s4, s14, -1
	s_addc_u32 s5, s15, -1
	s_mov_b64 s[6:7], 0
	s_mov_b32 s30, 0
                                        ; implicit-def: $sgpr33
	s_set_inst_prefetch_distance 0x1
	s_branch .LBB593_220
	.p2align	6
.LBB593_218:                            ;   in Loop: Header=BB593_220 Depth=1
	global_load_b64 v[23:24], v[19:20], off
	global_load_b64 v[25:26], v[17:18], off
	v_add_co_u32 v17, vcc_lo, v17, 8
	v_add_co_ci_u32_e32 v18, vcc_lo, 0, v18, vcc_lo
	v_add_co_u32 v19, s0, v19, 8
	s_delay_alu instid0(VALU_DEP_1)
	v_add_co_ci_u32_e64 v20, s0, 0, v20, s0
	s_add_u32 s6, s6, 1
	s_addc_u32 s7, s7, 0
	s_and_not1_b32 s0, s33, exec_lo
	s_waitcnt vmcnt(0)
	v_cmp_ne_u64_e32 vcc_lo, v[23:24], v[25:26]
	s_and_b32 s33, vcc_lo, exec_lo
	s_delay_alu instid0(SALU_CYCLE_1)
	s_or_b32 s33, s0, s33
.LBB593_219:                            ;   in Loop: Header=BB593_220 Depth=1
	v_dual_mov_b32 v24, s7 :: v_dual_mov_b32 v23, s6
	s_and_b32 s0, exec_lo, s33
	s_delay_alu instid0(SALU_CYCLE_1) | instskip(NEXT) | instid1(SALU_CYCLE_1)
	s_or_b32 s30, s0, s30
	s_and_not1_b32 exec_lo, exec_lo, s30
	s_cbranch_execz .LBB593_222
.LBB593_220:                            ; =>This Inner Loop Header: Depth=1
	s_or_b32 s33, s33, exec_lo
	s_cmp_eq_u64 s[4:5], s[6:7]
	s_cbranch_scc0 .LBB593_218
; %bb.221:                              ;   in Loop: Header=BB593_220 Depth=1
	s_mov_b64 s[6:7], s[14:15]
                                        ; implicit-def: $vgpr17_vgpr18
                                        ; implicit-def: $vgpr19_vgpr20
	s_branch .LBB593_219
.LBB593_222:
	s_set_inst_prefetch_distance 0x2
	s_or_b32 exec_lo, exec_lo, s30
	v_cmp_gt_i64_e32 vcc_lo, s[14:15], v[23:24]
	s_or_not1_b32 s30, vcc_lo, exec_lo
.LBB593_223:
	s_or_b32 exec_lo, exec_lo, s31
.LBB593_224:
	v_mul_lo_u32 v19, v12, s14
	v_mul_lo_u32 v20, v11, s15
	v_mad_u64_u32 v[17:18], null, v11, s14, 0
	s_and_not1_b32 vcc_lo, exec_lo, s26
	s_delay_alu instid0(VALU_DEP_1) | instskip(NEXT) | instid1(VALU_DEP_1)
	v_add3_u32 v18, v18, v20, v19
	v_lshlrev_b64 v[17:18], 3, v[17:18]
	s_cbranch_vccnz .LBB593_233
; %bb.225:
	s_delay_alu instid0(VALU_DEP_1) | instskip(NEXT) | instid1(VALU_DEP_2)
	v_add_co_u32 v23, vcc_lo, s16, v17
	v_add_co_ci_u32_e32 v24, vcc_lo, s17, v18, vcc_lo
	v_add_co_u32 v19, vcc_lo, s16, v21
	v_add_co_ci_u32_e32 v20, vcc_lo, s17, v22, vcc_lo
	s_mov_b32 s29, -1
	s_clause 0x1
	global_load_b64 v[21:22], v[23:24], off
	global_load_b64 v[25:26], v[19:20], off
	s_mov_b32 s31, exec_lo
	s_waitcnt vmcnt(0)
	v_cmpx_eq_u64_e64 v[21:22], v[25:26]
	s_cbranch_execz .LBB593_232
; %bb.226:
	v_add_co_u32 v19, vcc_lo, v19, 8
	v_add_co_ci_u32_e32 v20, vcc_lo, 0, v20, vcc_lo
	v_add_co_u32 v21, vcc_lo, v23, 8
	v_add_co_ci_u32_e32 v22, vcc_lo, 0, v24, vcc_lo
	s_add_u32 s4, s14, -1
	s_addc_u32 s5, s15, -1
	s_mov_b64 s[6:7], 0
	s_mov_b32 s29, 0
                                        ; implicit-def: $sgpr33
	s_set_inst_prefetch_distance 0x1
	s_branch .LBB593_229
	.p2align	6
.LBB593_227:                            ;   in Loop: Header=BB593_229 Depth=1
	global_load_b64 v[23:24], v[21:22], off
	global_load_b64 v[25:26], v[19:20], off
	v_add_co_u32 v19, vcc_lo, v19, 8
	v_add_co_ci_u32_e32 v20, vcc_lo, 0, v20, vcc_lo
	v_add_co_u32 v21, s0, v21, 8
	s_delay_alu instid0(VALU_DEP_1)
	v_add_co_ci_u32_e64 v22, s0, 0, v22, s0
	s_add_u32 s6, s6, 1
	s_addc_u32 s7, s7, 0
	s_and_not1_b32 s0, s33, exec_lo
	s_waitcnt vmcnt(0)
	v_cmp_ne_u64_e32 vcc_lo, v[23:24], v[25:26]
	s_and_b32 s33, vcc_lo, exec_lo
	s_delay_alu instid0(SALU_CYCLE_1)
	s_or_b32 s33, s0, s33
.LBB593_228:                            ;   in Loop: Header=BB593_229 Depth=1
	v_dual_mov_b32 v24, s7 :: v_dual_mov_b32 v23, s6
	s_and_b32 s0, exec_lo, s33
	s_delay_alu instid0(SALU_CYCLE_1) | instskip(NEXT) | instid1(SALU_CYCLE_1)
	s_or_b32 s29, s0, s29
	s_and_not1_b32 exec_lo, exec_lo, s29
	s_cbranch_execz .LBB593_231
.LBB593_229:                            ; =>This Inner Loop Header: Depth=1
	s_or_b32 s33, s33, exec_lo
	s_cmp_eq_u64 s[4:5], s[6:7]
	s_cbranch_scc0 .LBB593_227
; %bb.230:                              ;   in Loop: Header=BB593_229 Depth=1
	s_mov_b64 s[6:7], s[14:15]
                                        ; implicit-def: $vgpr19_vgpr20
                                        ; implicit-def: $vgpr21_vgpr22
	s_branch .LBB593_228
.LBB593_231:
	s_set_inst_prefetch_distance 0x2
	s_or_b32 exec_lo, exec_lo, s29
	v_cmp_gt_i64_e32 vcc_lo, s[14:15], v[23:24]
	s_or_not1_b32 s29, vcc_lo, exec_lo
.LBB593_232:
	s_or_b32 exec_lo, exec_lo, s31
.LBB593_233:
	v_mul_lo_u32 v21, v10, s14
	v_mul_lo_u32 v22, v9, s15
	v_mad_u64_u32 v[19:20], null, v9, s14, 0
	s_mov_b32 s31, 0
	s_and_not1_b32 vcc_lo, exec_lo, s26
	s_mov_b32 s33, 0
	s_delay_alu instid0(VALU_DEP_1) | instskip(NEXT) | instid1(VALU_DEP_1)
	v_add3_u32 v20, v20, v22, v21
	v_lshlrev_b64 v[21:22], 3, v[19:20]
	s_cbranch_vccnz .LBB593_242
; %bb.234:
	s_delay_alu instid0(VALU_DEP_1) | instskip(NEXT) | instid1(VALU_DEP_2)
	v_add_co_u32 v19, vcc_lo, s16, v21
	v_add_co_ci_u32_e32 v20, vcc_lo, s17, v22, vcc_lo
	v_add_co_u32 v17, vcc_lo, s16, v17
	v_add_co_ci_u32_e32 v18, vcc_lo, s17, v18, vcc_lo
	s_mov_b32 s33, -1
	s_clause 0x1
	global_load_b64 v[23:24], v[19:20], off
	global_load_b64 v[25:26], v[17:18], off
	s_mov_b32 s34, exec_lo
	s_waitcnt vmcnt(0)
	v_cmpx_eq_u64_e64 v[23:24], v[25:26]
	s_cbranch_execz .LBB593_241
; %bb.235:
	v_add_co_u32 v17, vcc_lo, v17, 8
	v_add_co_ci_u32_e32 v18, vcc_lo, 0, v18, vcc_lo
	v_add_co_u32 v19, vcc_lo, v19, 8
	v_add_co_ci_u32_e32 v20, vcc_lo, 0, v20, vcc_lo
	s_add_u32 s4, s14, -1
	s_addc_u32 s5, s15, -1
	s_mov_b64 s[6:7], 0
	s_mov_b32 s33, 0
                                        ; implicit-def: $sgpr35
	s_set_inst_prefetch_distance 0x1
	s_branch .LBB593_238
	.p2align	6
.LBB593_236:                            ;   in Loop: Header=BB593_238 Depth=1
	global_load_b64 v[23:24], v[19:20], off
	global_load_b64 v[25:26], v[17:18], off
	v_add_co_u32 v17, vcc_lo, v17, 8
	v_add_co_ci_u32_e32 v18, vcc_lo, 0, v18, vcc_lo
	v_add_co_u32 v19, s0, v19, 8
	s_delay_alu instid0(VALU_DEP_1)
	v_add_co_ci_u32_e64 v20, s0, 0, v20, s0
	s_add_u32 s6, s6, 1
	s_addc_u32 s7, s7, 0
	s_and_not1_b32 s0, s35, exec_lo
	s_waitcnt vmcnt(0)
	v_cmp_ne_u64_e32 vcc_lo, v[23:24], v[25:26]
	s_and_b32 s35, vcc_lo, exec_lo
	s_delay_alu instid0(SALU_CYCLE_1)
	s_or_b32 s35, s0, s35
.LBB593_237:                            ;   in Loop: Header=BB593_238 Depth=1
	v_dual_mov_b32 v24, s7 :: v_dual_mov_b32 v23, s6
	s_and_b32 s0, exec_lo, s35
	s_delay_alu instid0(SALU_CYCLE_1) | instskip(NEXT) | instid1(SALU_CYCLE_1)
	s_or_b32 s33, s0, s33
	s_and_not1_b32 exec_lo, exec_lo, s33
	s_cbranch_execz .LBB593_240
.LBB593_238:                            ; =>This Inner Loop Header: Depth=1
	s_or_b32 s35, s35, exec_lo
	s_cmp_eq_u64 s[4:5], s[6:7]
	s_cbranch_scc0 .LBB593_236
; %bb.239:                              ;   in Loop: Header=BB593_238 Depth=1
	s_mov_b64 s[6:7], s[14:15]
                                        ; implicit-def: $vgpr17_vgpr18
                                        ; implicit-def: $vgpr19_vgpr20
	s_branch .LBB593_237
.LBB593_240:
	s_set_inst_prefetch_distance 0x2
	s_or_b32 exec_lo, exec_lo, s33
	v_cmp_gt_i64_e32 vcc_lo, s[14:15], v[23:24]
	s_or_not1_b32 s33, vcc_lo, exec_lo
.LBB593_241:
	s_or_b32 exec_lo, exec_lo, s34
.LBB593_242:
	v_mul_lo_u32 v19, v16, s14
	v_mul_lo_u32 v20, v15, s15
	v_mad_u64_u32 v[17:18], null, v15, s14, 0
	s_and_not1_b32 vcc_lo, exec_lo, s26
	s_delay_alu instid0(VALU_DEP_1) | instskip(NEXT) | instid1(VALU_DEP_1)
	v_add3_u32 v18, v18, v20, v19
	v_lshlrev_b64 v[19:20], 3, v[17:18]
	s_cbranch_vccnz .LBB593_251
; %bb.243:
	s_delay_alu instid0(VALU_DEP_1) | instskip(NEXT) | instid1(VALU_DEP_2)
	v_add_co_u32 v23, vcc_lo, s16, v19
	v_add_co_ci_u32_e32 v24, vcc_lo, s17, v20, vcc_lo
	v_add_co_u32 v17, vcc_lo, s16, v21
	v_add_co_ci_u32_e32 v18, vcc_lo, s17, v22, vcc_lo
	s_mov_b32 s31, -1
	s_clause 0x1
	global_load_b64 v[21:22], v[23:24], off
	global_load_b64 v[25:26], v[17:18], off
	s_mov_b32 s34, exec_lo
	s_waitcnt vmcnt(0)
	v_cmpx_eq_u64_e64 v[21:22], v[25:26]
	s_cbranch_execz .LBB593_250
; %bb.244:
	v_add_co_u32 v17, vcc_lo, v17, 8
	v_add_co_ci_u32_e32 v18, vcc_lo, 0, v18, vcc_lo
	v_add_co_u32 v21, vcc_lo, v23, 8
	v_add_co_ci_u32_e32 v22, vcc_lo, 0, v24, vcc_lo
	s_add_u32 s4, s14, -1
	s_addc_u32 s5, s15, -1
	s_mov_b64 s[6:7], 0
	s_mov_b32 s31, 0
                                        ; implicit-def: $sgpr35
	s_set_inst_prefetch_distance 0x1
	s_branch .LBB593_247
	.p2align	6
.LBB593_245:                            ;   in Loop: Header=BB593_247 Depth=1
	global_load_b64 v[23:24], v[21:22], off
	global_load_b64 v[25:26], v[17:18], off
	v_add_co_u32 v17, vcc_lo, v17, 8
	v_add_co_ci_u32_e32 v18, vcc_lo, 0, v18, vcc_lo
	v_add_co_u32 v21, s0, v21, 8
	s_delay_alu instid0(VALU_DEP_1)
	v_add_co_ci_u32_e64 v22, s0, 0, v22, s0
	s_add_u32 s6, s6, 1
	s_addc_u32 s7, s7, 0
	s_and_not1_b32 s0, s35, exec_lo
	s_waitcnt vmcnt(0)
	v_cmp_ne_u64_e32 vcc_lo, v[23:24], v[25:26]
	s_and_b32 s35, vcc_lo, exec_lo
	s_delay_alu instid0(SALU_CYCLE_1)
	s_or_b32 s35, s0, s35
.LBB593_246:                            ;   in Loop: Header=BB593_247 Depth=1
	v_dual_mov_b32 v24, s7 :: v_dual_mov_b32 v23, s6
	s_and_b32 s0, exec_lo, s35
	s_delay_alu instid0(SALU_CYCLE_1) | instskip(NEXT) | instid1(SALU_CYCLE_1)
	s_or_b32 s31, s0, s31
	s_and_not1_b32 exec_lo, exec_lo, s31
	s_cbranch_execz .LBB593_249
.LBB593_247:                            ; =>This Inner Loop Header: Depth=1
	s_or_b32 s35, s35, exec_lo
	s_cmp_eq_u64 s[4:5], s[6:7]
	s_cbranch_scc0 .LBB593_245
; %bb.248:                              ;   in Loop: Header=BB593_247 Depth=1
	s_mov_b64 s[6:7], s[14:15]
                                        ; implicit-def: $vgpr17_vgpr18
                                        ; implicit-def: $vgpr21_vgpr22
	s_branch .LBB593_246
.LBB593_249:
	s_set_inst_prefetch_distance 0x2
	s_or_b32 exec_lo, exec_lo, s31
	v_cmp_gt_i64_e32 vcc_lo, s[14:15], v[23:24]
	s_or_not1_b32 s31, vcc_lo, exec_lo
.LBB593_250:
	s_or_b32 exec_lo, exec_lo, s34
.LBB593_251:
	v_mul_lo_u32 v21, v14, s14
	v_mul_lo_u32 v22, v13, s15
	v_mad_u64_u32 v[17:18], null, v13, s14, 0
	s_and_not1_b32 vcc_lo, exec_lo, s26
	s_mov_b32 s0, 0
	s_delay_alu instid0(VALU_DEP_1)
	v_add3_u32 v18, v18, v22, v21
	s_cbranch_vccnz .LBB593_260
; %bb.252:
	s_delay_alu instid0(VALU_DEP_1) | instskip(SKIP_2) | instid1(VALU_DEP_1)
	v_lshlrev_b64 v[21:22], 3, v[17:18]
	s_mov_b32 s0, -1
	s_mov_b32 s34, exec_lo
	v_add_co_u32 v21, vcc_lo, s16, v21
	s_delay_alu instid0(VALU_DEP_2)
	v_add_co_ci_u32_e32 v22, vcc_lo, s17, v22, vcc_lo
	v_add_co_u32 v19, vcc_lo, s16, v19
	v_add_co_ci_u32_e32 v20, vcc_lo, s17, v20, vcc_lo
	s_clause 0x1
	global_load_b64 v[23:24], v[21:22], off
	global_load_b64 v[25:26], v[19:20], off
	s_waitcnt vmcnt(0)
	v_cmpx_eq_u64_e64 v[23:24], v[25:26]
	s_cbranch_execz .LBB593_259
; %bb.253:
	v_add_co_u32 v19, vcc_lo, v19, 8
	v_add_co_ci_u32_e32 v20, vcc_lo, 0, v20, vcc_lo
	v_add_co_u32 v21, vcc_lo, v21, 8
	v_add_co_ci_u32_e32 v22, vcc_lo, 0, v22, vcc_lo
	s_add_u32 s4, s14, -1
	s_addc_u32 s5, s15, -1
	s_mov_b64 s[6:7], 0
	s_mov_b32 s35, 0
                                        ; implicit-def: $sgpr36
	s_set_inst_prefetch_distance 0x1
	s_branch .LBB593_256
	.p2align	6
.LBB593_254:                            ;   in Loop: Header=BB593_256 Depth=1
	global_load_b64 v[23:24], v[21:22], off
	global_load_b64 v[25:26], v[19:20], off
	v_add_co_u32 v19, vcc_lo, v19, 8
	v_add_co_ci_u32_e32 v20, vcc_lo, 0, v20, vcc_lo
	v_add_co_u32 v21, s0, v21, 8
	s_delay_alu instid0(VALU_DEP_1)
	v_add_co_ci_u32_e64 v22, s0, 0, v22, s0
	s_add_u32 s6, s6, 1
	s_addc_u32 s7, s7, 0
	s_and_not1_b32 s0, s36, exec_lo
	s_waitcnt vmcnt(0)
	v_cmp_ne_u64_e32 vcc_lo, v[23:24], v[25:26]
	s_and_b32 s36, vcc_lo, exec_lo
	s_delay_alu instid0(SALU_CYCLE_1)
	s_or_b32 s36, s0, s36
.LBB593_255:                            ;   in Loop: Header=BB593_256 Depth=1
	v_dual_mov_b32 v24, s7 :: v_dual_mov_b32 v23, s6
	s_and_b32 s0, exec_lo, s36
	s_delay_alu instid0(SALU_CYCLE_1) | instskip(NEXT) | instid1(SALU_CYCLE_1)
	s_or_b32 s35, s0, s35
	s_and_not1_b32 exec_lo, exec_lo, s35
	s_cbranch_execz .LBB593_258
.LBB593_256:                            ; =>This Inner Loop Header: Depth=1
	s_or_b32 s36, s36, exec_lo
	s_cmp_eq_u64 s[4:5], s[6:7]
	s_cbranch_scc0 .LBB593_254
; %bb.257:                              ;   in Loop: Header=BB593_256 Depth=1
	s_mov_b64 s[6:7], s[14:15]
                                        ; implicit-def: $vgpr19_vgpr20
                                        ; implicit-def: $vgpr21_vgpr22
	s_branch .LBB593_255
.LBB593_258:
	s_set_inst_prefetch_distance 0x2
	s_or_b32 exec_lo, exec_lo, s35
	v_cmp_gt_i64_e32 vcc_lo, s[14:15], v[23:24]
	s_or_not1_b32 s0, vcc_lo, exec_lo
.LBB593_259:
	s_or_b32 exec_lo, exec_lo, s34
.LBB593_260:
	v_cndmask_b32_e64 v20, 0, 1, s33
	v_cndmask_b32_e64 v21, 0, 1, s30
	v_cndmask_b32_e64 v22, 0, 1, s28
	v_cndmask_b32_e64 v23, 0, 1, s0
	v_cndmask_b32_e64 v19, 0, 1, s31
	v_cndmask_b32_e64 v24, 0, 1, s29
	v_cndmask_b32_e64 v25, 0, 1, s27
	v_lshlrev_b16 v21, 8, v21
	v_lshlrev_b16 v22, 8, v22
	;; [unrolled: 1-line block ×4, first 2 shown]
	s_waitcnt lgkmcnt(0)
	v_or_b32_e32 v21, v24, v21
	v_or_b32_e32 v22, v25, v22
	v_or_b32_e32 v23, 1, v23
	v_or_b32_e32 v19, v19, v20
	s_barrier
	v_and_b32_e32 v20, 0xffff, v21
	v_lshlrev_b32_e32 v21, 16, v22
	v_and_b32_e32 v22, 0xffff, v23
	v_lshlrev_b32_e32 v19, 16, v19
	buffer_gl0_inv
                                        ; implicit-def: $sgpr0
	v_or_b32_e32 v20, v20, v21
	v_or_b32_e32 v19, v22, v19
	s_and_saveexec_b32 s4, s3
	s_delay_alu instid0(SALU_CYCLE_1)
	s_xor_b32 s27, exec_lo, s4
	s_cbranch_execz .LBB593_271
; %bb.261:
	s_and_not1_b32 vcc_lo, exec_lo, s26
	s_mov_b32 s0, 0
	s_cbranch_vccnz .LBB593_270
; %bb.262:
	v_add_nc_u32_e32 v21, -8, v39
	v_lshlrev_b64 v[17:18], 3, v[17:18]
	s_mov_b32 s0, -1
	s_mov_b32 s28, exec_lo
	ds_load_b64 v[21:22], v21
	s_waitcnt lgkmcnt(0)
	v_mul_lo_u32 v24, v22, s14
	v_mul_lo_u32 v25, v21, s15
	v_mad_u64_u32 v[22:23], null, v21, s14, 0
	s_delay_alu instid0(VALU_DEP_1) | instskip(NEXT) | instid1(VALU_DEP_1)
	v_add3_u32 v23, v23, v25, v24
	v_lshlrev_b64 v[21:22], 3, v[22:23]
	s_delay_alu instid0(VALU_DEP_1) | instskip(NEXT) | instid1(VALU_DEP_2)
	v_add_co_u32 v21, vcc_lo, s16, v21
	v_add_co_ci_u32_e32 v22, vcc_lo, s17, v22, vcc_lo
	v_add_co_u32 v17, vcc_lo, s16, v17
	v_add_co_ci_u32_e32 v18, vcc_lo, s17, v18, vcc_lo
	s_clause 0x1
	global_load_b64 v[23:24], v[21:22], off
	global_load_b64 v[25:26], v[17:18], off
	s_waitcnt vmcnt(0)
	v_cmpx_eq_u64_e64 v[23:24], v[25:26]
	s_cbranch_execz .LBB593_269
; %bb.263:
	v_add_co_u32 v17, vcc_lo, v17, 8
	v_add_co_ci_u32_e32 v18, vcc_lo, 0, v18, vcc_lo
	v_add_co_u32 v21, vcc_lo, v21, 8
	v_add_co_ci_u32_e32 v22, vcc_lo, 0, v22, vcc_lo
	s_add_u32 s4, s14, -1
	s_addc_u32 s5, s15, -1
	s_mov_b64 s[6:7], 0
	s_mov_b32 s29, 0
                                        ; implicit-def: $sgpr30
	s_set_inst_prefetch_distance 0x1
	s_branch .LBB593_266
	.p2align	6
.LBB593_264:                            ;   in Loop: Header=BB593_266 Depth=1
	global_load_b64 v[23:24], v[21:22], off
	global_load_b64 v[25:26], v[17:18], off
	v_add_co_u32 v17, vcc_lo, v17, 8
	v_add_co_ci_u32_e32 v18, vcc_lo, 0, v18, vcc_lo
	v_add_co_u32 v21, s0, v21, 8
	s_delay_alu instid0(VALU_DEP_1)
	v_add_co_ci_u32_e64 v22, s0, 0, v22, s0
	s_add_u32 s6, s6, 1
	s_addc_u32 s7, s7, 0
	s_and_not1_b32 s0, s30, exec_lo
	s_waitcnt vmcnt(0)
	v_cmp_ne_u64_e32 vcc_lo, v[23:24], v[25:26]
	s_and_b32 s30, vcc_lo, exec_lo
	s_delay_alu instid0(SALU_CYCLE_1)
	s_or_b32 s30, s0, s30
.LBB593_265:                            ;   in Loop: Header=BB593_266 Depth=1
	v_dual_mov_b32 v24, s7 :: v_dual_mov_b32 v23, s6
	s_and_b32 s0, exec_lo, s30
	s_delay_alu instid0(SALU_CYCLE_1) | instskip(NEXT) | instid1(SALU_CYCLE_1)
	s_or_b32 s29, s0, s29
	s_and_not1_b32 exec_lo, exec_lo, s29
	s_cbranch_execz .LBB593_268
.LBB593_266:                            ; =>This Inner Loop Header: Depth=1
	s_or_b32 s30, s30, exec_lo
	s_cmp_eq_u64 s[4:5], s[6:7]
	s_cbranch_scc0 .LBB593_264
; %bb.267:                              ;   in Loop: Header=BB593_266 Depth=1
	s_mov_b64 s[6:7], s[14:15]
                                        ; implicit-def: $vgpr17_vgpr18
                                        ; implicit-def: $vgpr21_vgpr22
	s_branch .LBB593_265
.LBB593_268:
	s_set_inst_prefetch_distance 0x2
	s_or_b32 exec_lo, exec_lo, s29
	v_cmp_gt_i64_e32 vcc_lo, s[14:15], v[23:24]
	s_or_not1_b32 s0, vcc_lo, exec_lo
.LBB593_269:
	s_or_b32 exec_lo, exec_lo, s28
.LBB593_270:
	s_delay_alu instid0(SALU_CYCLE_1)
	s_and_b32 s0, s0, exec_lo
	s_or_b32 s25, s25, exec_lo
.LBB593_271:
	s_or_b32 exec_lo, exec_lo, s27
	s_branch .LBB593_363
.LBB593_272:
	s_waitcnt vmcnt(0) lgkmcnt(1)
	v_or_b32_e32 v17, 7, v39
	s_mov_b32 s27, 0
	s_mov_b32 s28, 0
	s_mov_b32 s29, exec_lo
	s_delay_alu instid0(VALU_DEP_1)
	v_cmpx_gt_u32_e64 s12, v17
	s_cbranch_execz .LBB593_283
; %bb.273:
	s_and_not1_b32 vcc_lo, exec_lo, s26
	s_mov_b32 s0, 0
	s_cbranch_vccnz .LBB593_282
; %bb.274:
	v_mul_lo_u32 v21, v2, s14
	v_mul_lo_u32 v22, v1, s15
	v_mad_u64_u32 v[17:18], null, v1, s14, 0
	v_mul_lo_u32 v23, v4, s14
	v_mul_lo_u32 v24, v3, s15
	v_mad_u64_u32 v[19:20], null, v3, s14, 0
	s_mov_b32 s0, -1
	s_mov_b32 s28, exec_lo
	s_delay_alu instid0(VALU_DEP_4) | instskip(NEXT) | instid1(VALU_DEP_2)
	v_add3_u32 v18, v18, v22, v21
	v_add3_u32 v20, v20, v24, v23
	s_delay_alu instid0(VALU_DEP_2) | instskip(NEXT) | instid1(VALU_DEP_2)
	v_lshlrev_b64 v[17:18], 3, v[17:18]
	v_lshlrev_b64 v[21:22], 3, v[19:20]
	s_delay_alu instid0(VALU_DEP_2) | instskip(NEXT) | instid1(VALU_DEP_3)
	v_add_co_u32 v19, vcc_lo, s16, v17
	v_add_co_ci_u32_e32 v20, vcc_lo, s17, v18, vcc_lo
	s_delay_alu instid0(VALU_DEP_3) | instskip(NEXT) | instid1(VALU_DEP_4)
	v_add_co_u32 v17, vcc_lo, s16, v21
	v_add_co_ci_u32_e32 v18, vcc_lo, s17, v22, vcc_lo
	s_clause 0x1
	global_load_b64 v[21:22], v[19:20], off
	global_load_b64 v[23:24], v[17:18], off
	s_waitcnt vmcnt(0)
	v_cmpx_eq_u64_e64 v[21:22], v[23:24]
	s_cbranch_execz .LBB593_281
; %bb.275:
	v_add_co_u32 v17, vcc_lo, v17, 8
	v_add_co_ci_u32_e32 v18, vcc_lo, 0, v18, vcc_lo
	v_add_co_u32 v19, vcc_lo, v19, 8
	v_add_co_ci_u32_e32 v20, vcc_lo, 0, v20, vcc_lo
	s_add_u32 s4, s14, -1
	s_addc_u32 s5, s15, -1
	s_mov_b64 s[6:7], 0
	s_mov_b32 s30, 0
                                        ; implicit-def: $sgpr31
	s_set_inst_prefetch_distance 0x1
	s_branch .LBB593_278
	.p2align	6
.LBB593_276:                            ;   in Loop: Header=BB593_278 Depth=1
	global_load_b64 v[21:22], v[19:20], off
	global_load_b64 v[23:24], v[17:18], off
	v_add_co_u32 v17, vcc_lo, v17, 8
	v_add_co_ci_u32_e32 v18, vcc_lo, 0, v18, vcc_lo
	v_add_co_u32 v19, s0, v19, 8
	s_delay_alu instid0(VALU_DEP_1)
	v_add_co_ci_u32_e64 v20, s0, 0, v20, s0
	s_add_u32 s6, s6, 1
	s_addc_u32 s7, s7, 0
	s_and_not1_b32 s0, s31, exec_lo
	s_waitcnt vmcnt(0)
	v_cmp_ne_u64_e32 vcc_lo, v[21:22], v[23:24]
	s_and_b32 s31, vcc_lo, exec_lo
	s_delay_alu instid0(SALU_CYCLE_1)
	s_or_b32 s31, s0, s31
.LBB593_277:                            ;   in Loop: Header=BB593_278 Depth=1
	v_dual_mov_b32 v22, s7 :: v_dual_mov_b32 v21, s6
	s_and_b32 s0, exec_lo, s31
	s_delay_alu instid0(SALU_CYCLE_1) | instskip(NEXT) | instid1(SALU_CYCLE_1)
	s_or_b32 s30, s0, s30
	s_and_not1_b32 exec_lo, exec_lo, s30
	s_cbranch_execz .LBB593_280
.LBB593_278:                            ; =>This Inner Loop Header: Depth=1
	s_or_b32 s31, s31, exec_lo
	s_cmp_eq_u64 s[4:5], s[6:7]
	s_cbranch_scc0 .LBB593_276
; %bb.279:                              ;   in Loop: Header=BB593_278 Depth=1
	s_mov_b64 s[6:7], s[14:15]
                                        ; implicit-def: $vgpr17_vgpr18
                                        ; implicit-def: $vgpr19_vgpr20
	s_branch .LBB593_277
.LBB593_280:
	s_set_inst_prefetch_distance 0x2
	s_or_b32 exec_lo, exec_lo, s30
	v_cmp_gt_i64_e32 vcc_lo, s[14:15], v[21:22]
	s_or_not1_b32 s0, vcc_lo, exec_lo
.LBB593_281:
	s_or_b32 exec_lo, exec_lo, s28
.LBB593_282:
	s_delay_alu instid0(SALU_CYCLE_1)
	s_and_b32 s28, s0, exec_lo
.LBB593_283:
	s_or_b32 exec_lo, exec_lo, s29
	v_or_b32_e32 v17, 6, v39
	s_mov_b32 s29, exec_lo
	s_delay_alu instid0(VALU_DEP_1)
	v_cmpx_gt_u32_e64 s12, v17
	s_cbranch_execz .LBB593_294
; %bb.284:
	s_and_not1_b32 vcc_lo, exec_lo, s26
	s_mov_b32 s0, 0
	s_cbranch_vccnz .LBB593_293
; %bb.285:
	v_mul_lo_u32 v21, v8, s14
	v_mul_lo_u32 v22, v7, s15
	v_mad_u64_u32 v[17:18], null, v7, s14, 0
	v_mul_lo_u32 v23, v2, s14
	v_mul_lo_u32 v24, v1, s15
	v_mad_u64_u32 v[19:20], null, v1, s14, 0
	s_mov_b32 s0, -1
	s_mov_b32 s27, exec_lo
	s_delay_alu instid0(VALU_DEP_4) | instskip(NEXT) | instid1(VALU_DEP_2)
	v_add3_u32 v18, v18, v22, v21
	v_add3_u32 v20, v20, v24, v23
	s_delay_alu instid0(VALU_DEP_2) | instskip(NEXT) | instid1(VALU_DEP_2)
	v_lshlrev_b64 v[17:18], 3, v[17:18]
	v_lshlrev_b64 v[21:22], 3, v[19:20]
	s_delay_alu instid0(VALU_DEP_2) | instskip(NEXT) | instid1(VALU_DEP_3)
	v_add_co_u32 v19, vcc_lo, s16, v17
	v_add_co_ci_u32_e32 v20, vcc_lo, s17, v18, vcc_lo
	s_delay_alu instid0(VALU_DEP_3) | instskip(NEXT) | instid1(VALU_DEP_4)
	v_add_co_u32 v17, vcc_lo, s16, v21
	v_add_co_ci_u32_e32 v18, vcc_lo, s17, v22, vcc_lo
	s_clause 0x1
	global_load_b64 v[21:22], v[19:20], off
	global_load_b64 v[23:24], v[17:18], off
	s_waitcnt vmcnt(0)
	v_cmpx_eq_u64_e64 v[21:22], v[23:24]
	s_cbranch_execz .LBB593_292
; %bb.286:
	v_add_co_u32 v17, vcc_lo, v17, 8
	v_add_co_ci_u32_e32 v18, vcc_lo, 0, v18, vcc_lo
	v_add_co_u32 v19, vcc_lo, v19, 8
	v_add_co_ci_u32_e32 v20, vcc_lo, 0, v20, vcc_lo
	s_add_u32 s4, s14, -1
	s_addc_u32 s5, s15, -1
	s_mov_b64 s[6:7], 0
	s_mov_b32 s30, 0
                                        ; implicit-def: $sgpr31
	s_set_inst_prefetch_distance 0x1
	s_branch .LBB593_289
	.p2align	6
.LBB593_287:                            ;   in Loop: Header=BB593_289 Depth=1
	global_load_b64 v[21:22], v[19:20], off
	global_load_b64 v[23:24], v[17:18], off
	v_add_co_u32 v17, vcc_lo, v17, 8
	v_add_co_ci_u32_e32 v18, vcc_lo, 0, v18, vcc_lo
	v_add_co_u32 v19, s0, v19, 8
	s_delay_alu instid0(VALU_DEP_1)
	v_add_co_ci_u32_e64 v20, s0, 0, v20, s0
	s_add_u32 s6, s6, 1
	s_addc_u32 s7, s7, 0
	s_and_not1_b32 s0, s31, exec_lo
	s_waitcnt vmcnt(0)
	v_cmp_ne_u64_e32 vcc_lo, v[21:22], v[23:24]
	s_and_b32 s31, vcc_lo, exec_lo
	s_delay_alu instid0(SALU_CYCLE_1)
	s_or_b32 s31, s0, s31
.LBB593_288:                            ;   in Loop: Header=BB593_289 Depth=1
	v_dual_mov_b32 v22, s7 :: v_dual_mov_b32 v21, s6
	s_and_b32 s0, exec_lo, s31
	s_delay_alu instid0(SALU_CYCLE_1) | instskip(NEXT) | instid1(SALU_CYCLE_1)
	s_or_b32 s30, s0, s30
	s_and_not1_b32 exec_lo, exec_lo, s30
	s_cbranch_execz .LBB593_291
.LBB593_289:                            ; =>This Inner Loop Header: Depth=1
	s_or_b32 s31, s31, exec_lo
	s_cmp_eq_u64 s[4:5], s[6:7]
	s_cbranch_scc0 .LBB593_287
; %bb.290:                              ;   in Loop: Header=BB593_289 Depth=1
	s_mov_b64 s[6:7], s[14:15]
                                        ; implicit-def: $vgpr17_vgpr18
                                        ; implicit-def: $vgpr19_vgpr20
	s_branch .LBB593_288
.LBB593_291:
	s_set_inst_prefetch_distance 0x2
	s_or_b32 exec_lo, exec_lo, s30
	v_cmp_gt_i64_e32 vcc_lo, s[14:15], v[21:22]
	s_or_not1_b32 s0, vcc_lo, exec_lo
.LBB593_292:
	s_or_b32 exec_lo, exec_lo, s27
.LBB593_293:
	s_delay_alu instid0(SALU_CYCLE_1)
	s_and_b32 s27, s0, exec_lo
.LBB593_294:
	s_or_b32 exec_lo, exec_lo, s29
	v_or_b32_e32 v17, 5, v39
	s_mov_b32 s29, 0
	s_mov_b32 s30, 0
	s_mov_b32 s31, exec_lo
	s_delay_alu instid0(VALU_DEP_1)
	v_cmpx_gt_u32_e64 s12, v17
	s_cbranch_execz .LBB593_305
; %bb.295:
	s_and_not1_b32 vcc_lo, exec_lo, s26
	s_mov_b32 s0, 0
	s_cbranch_vccnz .LBB593_304
; %bb.296:
	v_mul_lo_u32 v21, v6, s14
	v_mul_lo_u32 v22, v5, s15
	v_mad_u64_u32 v[17:18], null, v5, s14, 0
	v_mul_lo_u32 v23, v8, s14
	v_mul_lo_u32 v24, v7, s15
	v_mad_u64_u32 v[19:20], null, v7, s14, 0
	s_mov_b32 s0, -1
	s_mov_b32 s30, exec_lo
	s_delay_alu instid0(VALU_DEP_4) | instskip(NEXT) | instid1(VALU_DEP_2)
	v_add3_u32 v18, v18, v22, v21
	v_add3_u32 v20, v20, v24, v23
	s_delay_alu instid0(VALU_DEP_2) | instskip(NEXT) | instid1(VALU_DEP_2)
	v_lshlrev_b64 v[17:18], 3, v[17:18]
	v_lshlrev_b64 v[21:22], 3, v[19:20]
	s_delay_alu instid0(VALU_DEP_2) | instskip(NEXT) | instid1(VALU_DEP_3)
	v_add_co_u32 v19, vcc_lo, s16, v17
	v_add_co_ci_u32_e32 v20, vcc_lo, s17, v18, vcc_lo
	s_delay_alu instid0(VALU_DEP_3) | instskip(NEXT) | instid1(VALU_DEP_4)
	v_add_co_u32 v17, vcc_lo, s16, v21
	v_add_co_ci_u32_e32 v18, vcc_lo, s17, v22, vcc_lo
	s_clause 0x1
	global_load_b64 v[21:22], v[19:20], off
	global_load_b64 v[23:24], v[17:18], off
	s_waitcnt vmcnt(0)
	v_cmpx_eq_u64_e64 v[21:22], v[23:24]
	s_cbranch_execz .LBB593_303
; %bb.297:
	v_add_co_u32 v17, vcc_lo, v17, 8
	v_add_co_ci_u32_e32 v18, vcc_lo, 0, v18, vcc_lo
	v_add_co_u32 v19, vcc_lo, v19, 8
	v_add_co_ci_u32_e32 v20, vcc_lo, 0, v20, vcc_lo
	s_add_u32 s4, s14, -1
	s_addc_u32 s5, s15, -1
	s_mov_b64 s[6:7], 0
	s_mov_b32 s33, 0
                                        ; implicit-def: $sgpr34
	s_set_inst_prefetch_distance 0x1
	s_branch .LBB593_300
	.p2align	6
.LBB593_298:                            ;   in Loop: Header=BB593_300 Depth=1
	global_load_b64 v[21:22], v[19:20], off
	global_load_b64 v[23:24], v[17:18], off
	v_add_co_u32 v17, vcc_lo, v17, 8
	v_add_co_ci_u32_e32 v18, vcc_lo, 0, v18, vcc_lo
	v_add_co_u32 v19, s0, v19, 8
	s_delay_alu instid0(VALU_DEP_1)
	v_add_co_ci_u32_e64 v20, s0, 0, v20, s0
	s_add_u32 s6, s6, 1
	s_addc_u32 s7, s7, 0
	s_and_not1_b32 s0, s34, exec_lo
	s_waitcnt vmcnt(0)
	v_cmp_ne_u64_e32 vcc_lo, v[21:22], v[23:24]
	s_and_b32 s34, vcc_lo, exec_lo
	s_delay_alu instid0(SALU_CYCLE_1)
	s_or_b32 s34, s0, s34
.LBB593_299:                            ;   in Loop: Header=BB593_300 Depth=1
	v_dual_mov_b32 v22, s7 :: v_dual_mov_b32 v21, s6
	s_and_b32 s0, exec_lo, s34
	s_delay_alu instid0(SALU_CYCLE_1) | instskip(NEXT) | instid1(SALU_CYCLE_1)
	s_or_b32 s33, s0, s33
	s_and_not1_b32 exec_lo, exec_lo, s33
	s_cbranch_execz .LBB593_302
.LBB593_300:                            ; =>This Inner Loop Header: Depth=1
	s_or_b32 s34, s34, exec_lo
	s_cmp_eq_u64 s[4:5], s[6:7]
	s_cbranch_scc0 .LBB593_298
; %bb.301:                              ;   in Loop: Header=BB593_300 Depth=1
	s_mov_b64 s[6:7], s[14:15]
                                        ; implicit-def: $vgpr17_vgpr18
                                        ; implicit-def: $vgpr19_vgpr20
	s_branch .LBB593_299
.LBB593_302:
	s_set_inst_prefetch_distance 0x2
	s_or_b32 exec_lo, exec_lo, s33
	v_cmp_gt_i64_e32 vcc_lo, s[14:15], v[21:22]
	s_or_not1_b32 s0, vcc_lo, exec_lo
.LBB593_303:
	s_or_b32 exec_lo, exec_lo, s30
.LBB593_304:
	s_delay_alu instid0(SALU_CYCLE_1)
	s_and_b32 s30, s0, exec_lo
.LBB593_305:
	s_or_b32 exec_lo, exec_lo, s31
	v_or_b32_e32 v17, 4, v39
	s_mov_b32 s31, exec_lo
	s_delay_alu instid0(VALU_DEP_1)
	v_cmpx_gt_u32_e64 s12, v17
	s_cbranch_execz .LBB593_316
; %bb.306:
	s_and_not1_b32 vcc_lo, exec_lo, s26
	s_mov_b32 s0, 0
	s_cbranch_vccnz .LBB593_315
; %bb.307:
	v_mul_lo_u32 v21, v12, s14
	v_mul_lo_u32 v22, v11, s15
	v_mad_u64_u32 v[17:18], null, v11, s14, 0
	v_mul_lo_u32 v23, v6, s14
	v_mul_lo_u32 v24, v5, s15
	v_mad_u64_u32 v[19:20], null, v5, s14, 0
	s_mov_b32 s0, -1
	s_mov_b32 s29, exec_lo
	s_delay_alu instid0(VALU_DEP_4) | instskip(NEXT) | instid1(VALU_DEP_2)
	v_add3_u32 v18, v18, v22, v21
	v_add3_u32 v20, v20, v24, v23
	s_delay_alu instid0(VALU_DEP_2) | instskip(NEXT) | instid1(VALU_DEP_2)
	v_lshlrev_b64 v[17:18], 3, v[17:18]
	v_lshlrev_b64 v[21:22], 3, v[19:20]
	s_delay_alu instid0(VALU_DEP_2) | instskip(NEXT) | instid1(VALU_DEP_3)
	v_add_co_u32 v19, vcc_lo, s16, v17
	v_add_co_ci_u32_e32 v20, vcc_lo, s17, v18, vcc_lo
	s_delay_alu instid0(VALU_DEP_3) | instskip(NEXT) | instid1(VALU_DEP_4)
	v_add_co_u32 v17, vcc_lo, s16, v21
	v_add_co_ci_u32_e32 v18, vcc_lo, s17, v22, vcc_lo
	s_clause 0x1
	global_load_b64 v[21:22], v[19:20], off
	global_load_b64 v[23:24], v[17:18], off
	s_waitcnt vmcnt(0)
	v_cmpx_eq_u64_e64 v[21:22], v[23:24]
	s_cbranch_execz .LBB593_314
; %bb.308:
	v_add_co_u32 v17, vcc_lo, v17, 8
	v_add_co_ci_u32_e32 v18, vcc_lo, 0, v18, vcc_lo
	v_add_co_u32 v19, vcc_lo, v19, 8
	v_add_co_ci_u32_e32 v20, vcc_lo, 0, v20, vcc_lo
	s_add_u32 s4, s14, -1
	s_addc_u32 s5, s15, -1
	s_mov_b64 s[6:7], 0
	s_mov_b32 s33, 0
                                        ; implicit-def: $sgpr34
	s_set_inst_prefetch_distance 0x1
	s_branch .LBB593_311
	.p2align	6
.LBB593_309:                            ;   in Loop: Header=BB593_311 Depth=1
	global_load_b64 v[21:22], v[19:20], off
	global_load_b64 v[23:24], v[17:18], off
	v_add_co_u32 v17, vcc_lo, v17, 8
	v_add_co_ci_u32_e32 v18, vcc_lo, 0, v18, vcc_lo
	v_add_co_u32 v19, s0, v19, 8
	s_delay_alu instid0(VALU_DEP_1)
	v_add_co_ci_u32_e64 v20, s0, 0, v20, s0
	s_add_u32 s6, s6, 1
	s_addc_u32 s7, s7, 0
	s_and_not1_b32 s0, s34, exec_lo
	s_waitcnt vmcnt(0)
	v_cmp_ne_u64_e32 vcc_lo, v[21:22], v[23:24]
	s_and_b32 s34, vcc_lo, exec_lo
	s_delay_alu instid0(SALU_CYCLE_1)
	s_or_b32 s34, s0, s34
.LBB593_310:                            ;   in Loop: Header=BB593_311 Depth=1
	v_dual_mov_b32 v22, s7 :: v_dual_mov_b32 v21, s6
	s_and_b32 s0, exec_lo, s34
	s_delay_alu instid0(SALU_CYCLE_1) | instskip(NEXT) | instid1(SALU_CYCLE_1)
	s_or_b32 s33, s0, s33
	s_and_not1_b32 exec_lo, exec_lo, s33
	s_cbranch_execz .LBB593_313
.LBB593_311:                            ; =>This Inner Loop Header: Depth=1
	s_or_b32 s34, s34, exec_lo
	s_cmp_eq_u64 s[4:5], s[6:7]
	s_cbranch_scc0 .LBB593_309
; %bb.312:                              ;   in Loop: Header=BB593_311 Depth=1
	s_mov_b64 s[6:7], s[14:15]
                                        ; implicit-def: $vgpr17_vgpr18
                                        ; implicit-def: $vgpr19_vgpr20
	s_branch .LBB593_310
.LBB593_313:
	s_set_inst_prefetch_distance 0x2
	s_or_b32 exec_lo, exec_lo, s33
	v_cmp_gt_i64_e32 vcc_lo, s[14:15], v[21:22]
	s_or_not1_b32 s0, vcc_lo, exec_lo
.LBB593_314:
	s_or_b32 exec_lo, exec_lo, s29
.LBB593_315:
	s_delay_alu instid0(SALU_CYCLE_1)
	s_and_b32 s29, s0, exec_lo
.LBB593_316:
	s_or_b32 exec_lo, exec_lo, s31
	v_or_b32_e32 v17, 3, v39
	s_mov_b32 s33, 0
	s_mov_b32 s31, 0
	s_mov_b32 s34, exec_lo
	s_delay_alu instid0(VALU_DEP_1)
	v_cmpx_gt_u32_e64 s12, v17
	s_cbranch_execz .LBB593_327
; %bb.317:
	s_and_not1_b32 vcc_lo, exec_lo, s26
	s_mov_b32 s0, 0
	s_cbranch_vccnz .LBB593_326
; %bb.318:
	v_mul_lo_u32 v21, v10, s14
	v_mul_lo_u32 v22, v9, s15
	v_mad_u64_u32 v[17:18], null, v9, s14, 0
	v_mul_lo_u32 v23, v12, s14
	v_mul_lo_u32 v24, v11, s15
	v_mad_u64_u32 v[19:20], null, v11, s14, 0
	s_mov_b32 s0, -1
	s_mov_b32 s31, exec_lo
	s_delay_alu instid0(VALU_DEP_4) | instskip(NEXT) | instid1(VALU_DEP_2)
	v_add3_u32 v18, v18, v22, v21
	v_add3_u32 v20, v20, v24, v23
	s_delay_alu instid0(VALU_DEP_2) | instskip(NEXT) | instid1(VALU_DEP_2)
	v_lshlrev_b64 v[17:18], 3, v[17:18]
	v_lshlrev_b64 v[21:22], 3, v[19:20]
	s_delay_alu instid0(VALU_DEP_2) | instskip(NEXT) | instid1(VALU_DEP_3)
	v_add_co_u32 v19, vcc_lo, s16, v17
	v_add_co_ci_u32_e32 v20, vcc_lo, s17, v18, vcc_lo
	s_delay_alu instid0(VALU_DEP_3) | instskip(NEXT) | instid1(VALU_DEP_4)
	v_add_co_u32 v17, vcc_lo, s16, v21
	v_add_co_ci_u32_e32 v18, vcc_lo, s17, v22, vcc_lo
	s_clause 0x1
	global_load_b64 v[21:22], v[19:20], off
	global_load_b64 v[23:24], v[17:18], off
	s_waitcnt vmcnt(0)
	v_cmpx_eq_u64_e64 v[21:22], v[23:24]
	s_cbranch_execz .LBB593_325
; %bb.319:
	v_add_co_u32 v17, vcc_lo, v17, 8
	v_add_co_ci_u32_e32 v18, vcc_lo, 0, v18, vcc_lo
	v_add_co_u32 v19, vcc_lo, v19, 8
	v_add_co_ci_u32_e32 v20, vcc_lo, 0, v20, vcc_lo
	s_add_u32 s4, s14, -1
	s_addc_u32 s5, s15, -1
	s_mov_b64 s[6:7], 0
	s_mov_b32 s35, 0
                                        ; implicit-def: $sgpr36
	s_set_inst_prefetch_distance 0x1
	s_branch .LBB593_322
	.p2align	6
.LBB593_320:                            ;   in Loop: Header=BB593_322 Depth=1
	global_load_b64 v[21:22], v[19:20], off
	global_load_b64 v[23:24], v[17:18], off
	v_add_co_u32 v17, vcc_lo, v17, 8
	v_add_co_ci_u32_e32 v18, vcc_lo, 0, v18, vcc_lo
	v_add_co_u32 v19, s0, v19, 8
	s_delay_alu instid0(VALU_DEP_1)
	v_add_co_ci_u32_e64 v20, s0, 0, v20, s0
	s_add_u32 s6, s6, 1
	s_addc_u32 s7, s7, 0
	s_and_not1_b32 s0, s36, exec_lo
	s_waitcnt vmcnt(0)
	v_cmp_ne_u64_e32 vcc_lo, v[21:22], v[23:24]
	s_and_b32 s36, vcc_lo, exec_lo
	s_delay_alu instid0(SALU_CYCLE_1)
	s_or_b32 s36, s0, s36
.LBB593_321:                            ;   in Loop: Header=BB593_322 Depth=1
	v_dual_mov_b32 v22, s7 :: v_dual_mov_b32 v21, s6
	s_and_b32 s0, exec_lo, s36
	s_delay_alu instid0(SALU_CYCLE_1) | instskip(NEXT) | instid1(SALU_CYCLE_1)
	s_or_b32 s35, s0, s35
	s_and_not1_b32 exec_lo, exec_lo, s35
	s_cbranch_execz .LBB593_324
.LBB593_322:                            ; =>This Inner Loop Header: Depth=1
	s_or_b32 s36, s36, exec_lo
	s_cmp_eq_u64 s[4:5], s[6:7]
	s_cbranch_scc0 .LBB593_320
; %bb.323:                              ;   in Loop: Header=BB593_322 Depth=1
	s_mov_b64 s[6:7], s[14:15]
                                        ; implicit-def: $vgpr17_vgpr18
                                        ; implicit-def: $vgpr19_vgpr20
	s_branch .LBB593_321
.LBB593_324:
	s_set_inst_prefetch_distance 0x2
	s_or_b32 exec_lo, exec_lo, s35
	v_cmp_gt_i64_e32 vcc_lo, s[14:15], v[21:22]
	s_or_not1_b32 s0, vcc_lo, exec_lo
.LBB593_325:
	s_or_b32 exec_lo, exec_lo, s31
.LBB593_326:
	s_delay_alu instid0(SALU_CYCLE_1)
	s_and_b32 s31, s0, exec_lo
.LBB593_327:
	s_or_b32 exec_lo, exec_lo, s34
	v_or_b32_e32 v17, 2, v39
	s_mov_b32 s34, exec_lo
	s_delay_alu instid0(VALU_DEP_1)
	v_cmpx_gt_u32_e64 s12, v17
	s_cbranch_execz .LBB593_338
; %bb.328:
	s_and_not1_b32 vcc_lo, exec_lo, s26
	s_mov_b32 s0, 0
	s_cbranch_vccnz .LBB593_337
; %bb.329:
	v_mul_lo_u32 v21, v16, s14
	v_mul_lo_u32 v22, v15, s15
	v_mad_u64_u32 v[17:18], null, v15, s14, 0
	v_mul_lo_u32 v23, v10, s14
	v_mul_lo_u32 v24, v9, s15
	v_mad_u64_u32 v[19:20], null, v9, s14, 0
	s_mov_b32 s0, -1
	s_mov_b32 s33, exec_lo
	s_delay_alu instid0(VALU_DEP_4) | instskip(NEXT) | instid1(VALU_DEP_2)
	v_add3_u32 v18, v18, v22, v21
	v_add3_u32 v20, v20, v24, v23
	s_delay_alu instid0(VALU_DEP_2) | instskip(NEXT) | instid1(VALU_DEP_2)
	v_lshlrev_b64 v[17:18], 3, v[17:18]
	v_lshlrev_b64 v[21:22], 3, v[19:20]
	s_delay_alu instid0(VALU_DEP_2) | instskip(NEXT) | instid1(VALU_DEP_3)
	v_add_co_u32 v19, vcc_lo, s16, v17
	v_add_co_ci_u32_e32 v20, vcc_lo, s17, v18, vcc_lo
	s_delay_alu instid0(VALU_DEP_3) | instskip(NEXT) | instid1(VALU_DEP_4)
	v_add_co_u32 v17, vcc_lo, s16, v21
	v_add_co_ci_u32_e32 v18, vcc_lo, s17, v22, vcc_lo
	s_clause 0x1
	global_load_b64 v[21:22], v[19:20], off
	global_load_b64 v[23:24], v[17:18], off
	s_waitcnt vmcnt(0)
	v_cmpx_eq_u64_e64 v[21:22], v[23:24]
	s_cbranch_execz .LBB593_336
; %bb.330:
	v_add_co_u32 v17, vcc_lo, v17, 8
	v_add_co_ci_u32_e32 v18, vcc_lo, 0, v18, vcc_lo
	v_add_co_u32 v19, vcc_lo, v19, 8
	v_add_co_ci_u32_e32 v20, vcc_lo, 0, v20, vcc_lo
	s_add_u32 s4, s14, -1
	s_addc_u32 s5, s15, -1
	s_mov_b64 s[6:7], 0
	s_mov_b32 s35, 0
                                        ; implicit-def: $sgpr36
	s_set_inst_prefetch_distance 0x1
	s_branch .LBB593_333
	.p2align	6
.LBB593_331:                            ;   in Loop: Header=BB593_333 Depth=1
	global_load_b64 v[21:22], v[19:20], off
	global_load_b64 v[23:24], v[17:18], off
	v_add_co_u32 v17, vcc_lo, v17, 8
	v_add_co_ci_u32_e32 v18, vcc_lo, 0, v18, vcc_lo
	v_add_co_u32 v19, s0, v19, 8
	s_delay_alu instid0(VALU_DEP_1)
	v_add_co_ci_u32_e64 v20, s0, 0, v20, s0
	s_add_u32 s6, s6, 1
	s_addc_u32 s7, s7, 0
	s_and_not1_b32 s0, s36, exec_lo
	s_waitcnt vmcnt(0)
	v_cmp_ne_u64_e32 vcc_lo, v[21:22], v[23:24]
	s_and_b32 s36, vcc_lo, exec_lo
	s_delay_alu instid0(SALU_CYCLE_1)
	s_or_b32 s36, s0, s36
.LBB593_332:                            ;   in Loop: Header=BB593_333 Depth=1
	v_dual_mov_b32 v22, s7 :: v_dual_mov_b32 v21, s6
	s_and_b32 s0, exec_lo, s36
	s_delay_alu instid0(SALU_CYCLE_1) | instskip(NEXT) | instid1(SALU_CYCLE_1)
	s_or_b32 s35, s0, s35
	s_and_not1_b32 exec_lo, exec_lo, s35
	s_cbranch_execz .LBB593_335
.LBB593_333:                            ; =>This Inner Loop Header: Depth=1
	s_or_b32 s36, s36, exec_lo
	s_cmp_eq_u64 s[4:5], s[6:7]
	s_cbranch_scc0 .LBB593_331
; %bb.334:                              ;   in Loop: Header=BB593_333 Depth=1
	s_mov_b64 s[6:7], s[14:15]
                                        ; implicit-def: $vgpr17_vgpr18
                                        ; implicit-def: $vgpr19_vgpr20
	s_branch .LBB593_332
.LBB593_335:
	s_set_inst_prefetch_distance 0x2
	s_or_b32 exec_lo, exec_lo, s35
	v_cmp_gt_i64_e32 vcc_lo, s[14:15], v[21:22]
	s_or_not1_b32 s0, vcc_lo, exec_lo
.LBB593_336:
	s_or_b32 exec_lo, exec_lo, s33
.LBB593_337:
	s_delay_alu instid0(SALU_CYCLE_1)
	s_and_b32 s33, s0, exec_lo
.LBB593_338:
	s_or_b32 exec_lo, exec_lo, s34
	v_or_b32_e32 v17, 1, v39
	s_mov_b32 s0, 0
	s_mov_b32 s34, exec_lo
	s_delay_alu instid0(VALU_DEP_1)
	v_cmpx_gt_u32_e64 s12, v17
	s_cbranch_execz .LBB593_349
; %bb.339:
	s_and_not1_b32 vcc_lo, exec_lo, s26
	s_cbranch_vccnz .LBB593_348
; %bb.340:
	v_mul_lo_u32 v21, v14, s14
	v_mul_lo_u32 v22, v13, s15
	v_mad_u64_u32 v[17:18], null, v13, s14, 0
	v_mul_lo_u32 v23, v16, s14
	v_mul_lo_u32 v24, v15, s15
	v_mad_u64_u32 v[19:20], null, v15, s14, 0
	s_mov_b32 s0, -1
	s_mov_b32 s35, exec_lo
	s_delay_alu instid0(VALU_DEP_4) | instskip(NEXT) | instid1(VALU_DEP_2)
	v_add3_u32 v18, v18, v22, v21
	v_add3_u32 v20, v20, v24, v23
	s_delay_alu instid0(VALU_DEP_2) | instskip(NEXT) | instid1(VALU_DEP_2)
	v_lshlrev_b64 v[17:18], 3, v[17:18]
	v_lshlrev_b64 v[21:22], 3, v[19:20]
	s_delay_alu instid0(VALU_DEP_2) | instskip(NEXT) | instid1(VALU_DEP_3)
	v_add_co_u32 v19, vcc_lo, s16, v17
	v_add_co_ci_u32_e32 v20, vcc_lo, s17, v18, vcc_lo
	s_delay_alu instid0(VALU_DEP_3) | instskip(NEXT) | instid1(VALU_DEP_4)
	v_add_co_u32 v17, vcc_lo, s16, v21
	v_add_co_ci_u32_e32 v18, vcc_lo, s17, v22, vcc_lo
	s_clause 0x1
	global_load_b64 v[21:22], v[19:20], off
	global_load_b64 v[23:24], v[17:18], off
	s_waitcnt vmcnt(0)
	v_cmpx_eq_u64_e64 v[21:22], v[23:24]
	s_cbranch_execz .LBB593_347
; %bb.341:
	v_add_co_u32 v17, vcc_lo, v17, 8
	v_add_co_ci_u32_e32 v18, vcc_lo, 0, v18, vcc_lo
	v_add_co_u32 v19, vcc_lo, v19, 8
	v_add_co_ci_u32_e32 v20, vcc_lo, 0, v20, vcc_lo
	s_add_u32 s4, s14, -1
	s_addc_u32 s5, s15, -1
	s_mov_b64 s[6:7], 0
	s_mov_b32 s36, 0
                                        ; implicit-def: $sgpr37
	s_set_inst_prefetch_distance 0x1
	s_branch .LBB593_344
	.p2align	6
.LBB593_342:                            ;   in Loop: Header=BB593_344 Depth=1
	global_load_b64 v[21:22], v[19:20], off
	global_load_b64 v[23:24], v[17:18], off
	v_add_co_u32 v17, vcc_lo, v17, 8
	v_add_co_ci_u32_e32 v18, vcc_lo, 0, v18, vcc_lo
	v_add_co_u32 v19, s0, v19, 8
	s_delay_alu instid0(VALU_DEP_1)
	v_add_co_ci_u32_e64 v20, s0, 0, v20, s0
	s_add_u32 s6, s6, 1
	s_addc_u32 s7, s7, 0
	s_and_not1_b32 s0, s37, exec_lo
	s_waitcnt vmcnt(0)
	v_cmp_ne_u64_e32 vcc_lo, v[21:22], v[23:24]
	s_and_b32 s37, vcc_lo, exec_lo
	s_delay_alu instid0(SALU_CYCLE_1)
	s_or_b32 s37, s0, s37
.LBB593_343:                            ;   in Loop: Header=BB593_344 Depth=1
	v_dual_mov_b32 v22, s7 :: v_dual_mov_b32 v21, s6
	s_and_b32 s0, exec_lo, s37
	s_delay_alu instid0(SALU_CYCLE_1) | instskip(NEXT) | instid1(SALU_CYCLE_1)
	s_or_b32 s36, s0, s36
	s_and_not1_b32 exec_lo, exec_lo, s36
	s_cbranch_execz .LBB593_346
.LBB593_344:                            ; =>This Inner Loop Header: Depth=1
	s_or_b32 s37, s37, exec_lo
	s_cmp_eq_u64 s[4:5], s[6:7]
	s_cbranch_scc0 .LBB593_342
; %bb.345:                              ;   in Loop: Header=BB593_344 Depth=1
	s_mov_b64 s[6:7], s[14:15]
                                        ; implicit-def: $vgpr17_vgpr18
                                        ; implicit-def: $vgpr19_vgpr20
	s_branch .LBB593_343
.LBB593_346:
	s_set_inst_prefetch_distance 0x2
	s_or_b32 exec_lo, exec_lo, s36
	v_cmp_gt_i64_e32 vcc_lo, s[14:15], v[21:22]
	s_or_not1_b32 s0, vcc_lo, exec_lo
.LBB593_347:
	s_or_b32 exec_lo, exec_lo, s35
.LBB593_348:
	s_delay_alu instid0(SALU_CYCLE_1)
	s_and_b32 s0, s0, exec_lo
.LBB593_349:
	s_or_b32 exec_lo, exec_lo, s34
	v_cndmask_b32_e64 v18, 0, 1, s31
	v_cndmask_b32_e64 v19, 0, 1, s30
	;; [unrolled: 1-line block ×7, first 2 shown]
	v_lshlrev_b16 v19, 8, v19
	v_lshlrev_b16 v20, 8, v20
	v_lshlrev_b16 v21, 8, v21
	v_lshlrev_b16 v18, 8, v18
	s_waitcnt lgkmcnt(0)
	v_or_b32_e32 v19, v22, v19
	v_or_b32_e32 v20, v23, v20
	;; [unrolled: 1-line block ×4, first 2 shown]
	s_barrier
	v_and_b32_e32 v18, 0xffff, v19
	v_lshlrev_b32_e32 v19, 16, v20
	v_and_b32_e32 v21, 0xffff, v21
	v_lshlrev_b32_e32 v17, 16, v17
	buffer_gl0_inv
                                        ; implicit-def: $sgpr0
	v_or_b32_e32 v20, v18, v19
	v_or_b32_e32 v19, v21, v17
	s_and_saveexec_b32 s27, s3
	s_cbranch_execz .LBB593_362
; %bb.350:
	s_mov_b32 s0, 0
	s_mov_b32 s3, exec_lo
	v_cmpx_gt_u32_e64 s12, v39
	s_cbranch_execz .LBB593_361
; %bb.351:
	s_and_not1_b32 vcc_lo, exec_lo, s26
	s_cbranch_vccnz .LBB593_360
; %bb.352:
	v_add_nc_u32_e32 v17, -8, v39
	v_mul_lo_u32 v25, v14, s14
	v_mul_lo_u32 v26, v13, s15
	s_mov_b32 s0, -1
	ds_load_b64 v[17:18], v17
	s_waitcnt lgkmcnt(0)
	v_mul_lo_u32 v23, v18, s14
	v_mul_lo_u32 v24, v17, s15
	v_mad_u64_u32 v[21:22], null, v17, s14, 0
	v_mad_u64_u32 v[17:18], null, v13, s14, 0
	s_delay_alu instid0(VALU_DEP_2) | instskip(NEXT) | instid1(VALU_DEP_2)
	v_add3_u32 v22, v22, v24, v23
	v_add3_u32 v18, v18, v26, v25
	s_delay_alu instid0(VALU_DEP_2) | instskip(NEXT) | instid1(VALU_DEP_2)
	v_lshlrev_b64 v[21:22], 3, v[21:22]
	v_lshlrev_b64 v[17:18], 3, v[17:18]
	s_delay_alu instid0(VALU_DEP_2) | instskip(NEXT) | instid1(VALU_DEP_3)
	v_add_co_u32 v21, vcc_lo, s16, v21
	v_add_co_ci_u32_e32 v22, vcc_lo, s17, v22, vcc_lo
	s_delay_alu instid0(VALU_DEP_3) | instskip(NEXT) | instid1(VALU_DEP_4)
	v_add_co_u32 v17, vcc_lo, s16, v17
	v_add_co_ci_u32_e32 v18, vcc_lo, s17, v18, vcc_lo
	s_clause 0x1
	global_load_b64 v[23:24], v[21:22], off
	global_load_b64 v[25:26], v[17:18], off
	s_mov_b32 s16, exec_lo
	s_waitcnt vmcnt(0)
	v_cmpx_eq_u64_e64 v[23:24], v[25:26]
	s_cbranch_execz .LBB593_359
; %bb.353:
	v_add_co_u32 v17, vcc_lo, v17, 8
	v_add_co_ci_u32_e32 v18, vcc_lo, 0, v18, vcc_lo
	v_add_co_u32 v21, vcc_lo, v21, 8
	v_add_co_ci_u32_e32 v22, vcc_lo, 0, v22, vcc_lo
	s_add_u32 s4, s14, -1
	s_addc_u32 s5, s15, -1
	s_mov_b64 s[6:7], 0
	s_mov_b32 s17, 0
                                        ; implicit-def: $sgpr26
	s_set_inst_prefetch_distance 0x1
	s_branch .LBB593_356
	.p2align	6
.LBB593_354:                            ;   in Loop: Header=BB593_356 Depth=1
	global_load_b64 v[23:24], v[21:22], off
	global_load_b64 v[25:26], v[17:18], off
	v_add_co_u32 v17, vcc_lo, v17, 8
	v_add_co_ci_u32_e32 v18, vcc_lo, 0, v18, vcc_lo
	v_add_co_u32 v21, s0, v21, 8
	s_delay_alu instid0(VALU_DEP_1)
	v_add_co_ci_u32_e64 v22, s0, 0, v22, s0
	s_add_u32 s6, s6, 1
	s_addc_u32 s7, s7, 0
	s_and_not1_b32 s0, s26, exec_lo
	s_waitcnt vmcnt(0)
	v_cmp_ne_u64_e32 vcc_lo, v[23:24], v[25:26]
	s_and_b32 s26, vcc_lo, exec_lo
	s_delay_alu instid0(SALU_CYCLE_1)
	s_or_b32 s26, s0, s26
.LBB593_355:                            ;   in Loop: Header=BB593_356 Depth=1
	v_dual_mov_b32 v24, s7 :: v_dual_mov_b32 v23, s6
	s_and_b32 s0, exec_lo, s26
	s_delay_alu instid0(SALU_CYCLE_1) | instskip(NEXT) | instid1(SALU_CYCLE_1)
	s_or_b32 s17, s0, s17
	s_and_not1_b32 exec_lo, exec_lo, s17
	s_cbranch_execz .LBB593_358
.LBB593_356:                            ; =>This Inner Loop Header: Depth=1
	s_or_b32 s26, s26, exec_lo
	s_cmp_eq_u64 s[4:5], s[6:7]
	s_cbranch_scc0 .LBB593_354
; %bb.357:                              ;   in Loop: Header=BB593_356 Depth=1
	s_mov_b64 s[6:7], s[14:15]
                                        ; implicit-def: $vgpr17_vgpr18
                                        ; implicit-def: $vgpr21_vgpr22
	s_branch .LBB593_355
.LBB593_358:
	s_set_inst_prefetch_distance 0x2
	s_or_b32 exec_lo, exec_lo, s17
	v_cmp_gt_i64_e32 vcc_lo, s[14:15], v[23:24]
	s_or_not1_b32 s0, vcc_lo, exec_lo
.LBB593_359:
	s_or_b32 exec_lo, exec_lo, s16
.LBB593_360:
	s_delay_alu instid0(SALU_CYCLE_1)
	s_and_b32 s0, s0, exec_lo
.LBB593_361:
	s_or_b32 exec_lo, exec_lo, s3
	s_delay_alu instid0(SALU_CYCLE_1)
	s_and_b32 s0, s0, exec_lo
	s_or_b32 s25, s25, exec_lo
.LBB593_362:
	s_or_b32 exec_lo, exec_lo, s27
.LBB593_363:
	s_and_saveexec_b32 s3, s25
	s_cbranch_execz .LBB593_365
; %bb.364:
	s_waitcnt vmcnt(0) lgkmcnt(0)
	v_and_b32_e32 v17, 0xffffff00, v19
	v_cndmask_b32_e64 v18, 0, 1, s0
	s_delay_alu instid0(VALU_DEP_1) | instskip(NEXT) | instid1(VALU_DEP_1)
	v_or_b32_e32 v17, v18, v17
	v_and_b32_e32 v17, 0xffff, v17
	s_delay_alu instid0(VALU_DEP_1)
	v_and_or_b32 v19, 0xffff0000, v19, v17
.LBB593_365:
	s_or_b32 exec_lo, exec_lo, s3
	s_delay_alu instid0(SALU_CYCLE_1)
	s_and_not1_b32 vcc_lo, exec_lo, s1
	s_cbranch_vccnz .LBB593_367
; %bb.366:
	v_cmp_gt_u32_e32 vcc_lo, s12, v39
	s_waitcnt vmcnt(0) lgkmcnt(0)
	v_or_b32_e32 v18, 1, v39
	v_and_b32_e32 v21, 0xffffff00, v20
	v_or_b32_e32 v22, 2, v39
	v_cndmask_b32_e32 v17, 0, v19, vcc_lo
	s_delay_alu instid0(VALU_DEP_4) | instskip(SKIP_1) | instid1(VALU_DEP_4)
	v_cmp_gt_u32_e32 vcc_lo, s12, v18
	v_or_b32_e32 v18, 4, v39
	v_cmp_gt_u32_e64 s0, s12, v22
	v_or_b32_e32 v22, 3, v39
	v_and_b32_e32 v17, 0xff, v17
	s_delay_alu instid0(VALU_DEP_2) | instskip(NEXT) | instid1(VALU_DEP_2)
	v_cmp_gt_u32_e64 s1, s12, v22
	v_cndmask_b32_e32 v17, v17, v19, vcc_lo
	v_cmp_gt_u32_e32 vcc_lo, s12, v18
	v_cndmask_b32_e32 v18, v21, v20, vcc_lo
	v_or_b32_e32 v21, 5, v39
	s_delay_alu instid0(VALU_DEP_2) | instskip(SKIP_1) | instid1(VALU_DEP_1)
	v_and_b32_e32 v18, 0xffff00ff, v18
	v_and_b32_e32 v17, 0xffff, v17
	v_cndmask_b32_e64 v17, v17, v19, s0
	s_delay_alu instid0(VALU_DEP_4) | instskip(SKIP_1) | instid1(VALU_DEP_3)
	v_cmp_gt_u32_e64 s0, s12, v21
	v_or_b32_e32 v21, 6, v39
	v_and_b32_e32 v17, 0xffffff, v17
	s_delay_alu instid0(VALU_DEP_3) | instskip(NEXT) | instid1(VALU_DEP_2)
	v_cndmask_b32_e64 v18, v18, v20, s0
	v_cndmask_b32_e64 v17, v17, v19, s1
	s_delay_alu instid0(VALU_DEP_1) | instskip(SKIP_2) | instid1(VALU_DEP_3)
	v_dual_cndmask_b32 v17, v17, v19 :: v_dual_and_b32 v18, 0xff00ffff, v18
	v_cmp_gt_u32_e32 vcc_lo, s12, v21
	v_or_b32_e32 v21, 7, v39
	v_cndmask_b32_e64 v17, v17, v19, s0
	s_delay_alu instid0(VALU_DEP_1) | instskip(NEXT) | instid1(VALU_DEP_1)
	v_dual_cndmask_b32 v18, v18, v20 :: v_dual_cndmask_b32 v17, v17, v19
	v_and_b32_e32 v18, 0xffffff, v18
	s_delay_alu instid0(VALU_DEP_4) | instskip(NEXT) | instid1(VALU_DEP_2)
	v_cmp_gt_u32_e32 vcc_lo, s12, v21
	v_dual_cndmask_b32 v20, v18, v20 :: v_dual_cndmask_b32 v19, v17, v19
.LBB593_367:
	s_delay_alu instid0(VALU_DEP_1) | instskip(SKIP_1) | instid1(VALU_DEP_2)
	v_and_b32_e32 v28, 0xff, v19
	s_waitcnt vmcnt(0) lgkmcnt(0)
	v_alignbit_b32 v17, v20, v19, 24
	v_bfe_u32 v30, v19, 8, 8
	v_bfe_u32 v32, v19, 16, 8
	v_and_b32_e32 v36, 0xff, v20
	v_bfe_u32 v38, v20, 8, 8
	v_and_b32_e32 v34, 0xff, v17
	v_add_nc_u32_e32 v17, v30, v28
	v_mbcnt_lo_u32_b32 v42, -1, 0
	v_bfe_u32 v41, v20, 16, 8
	v_lshrrev_b32_e32 v40, 24, v20
	v_lshrrev_b32_e32 v43, 5, v0
	v_add3_u32 v17, v17, v32, v34
	v_and_b32_e32 v18, 15, v42
	v_and_b32_e32 v21, 16, v42
	s_and_b32 vcc_lo, exec_lo, s24
	s_mov_b32 s7, -1
	v_add3_u32 v17, v17, v36, v38
	v_cmp_eq_u32_e64 s3, 0, v18
	v_cmp_lt_u32_e64 s0, 1, v18
	v_cmp_lt_u32_e64 s4, 3, v18
	;; [unrolled: 1-line block ×3, first 2 shown]
	v_add3_u32 v44, v17, v41, v40
	v_or_b32_e32 v17, 31, v0
	v_cmp_eq_u32_e64 s6, 0, v21
	s_barrier
	buffer_gl0_inv
	v_cmp_eq_u32_e64 s5, v17, v0
	s_cbranch_vccz .LBB593_393
; %bb.368:
	v_mov_b32_dpp v17, v44 row_shr:1 row_mask:0xf bank_mask:0xf
	s_delay_alu instid0(VALU_DEP_1) | instskip(NEXT) | instid1(VALU_DEP_1)
	v_cndmask_b32_e64 v17, v17, 0, s3
	v_add_nc_u32_e32 v17, v17, v44
	s_delay_alu instid0(VALU_DEP_1) | instskip(NEXT) | instid1(VALU_DEP_1)
	v_mov_b32_dpp v18, v17 row_shr:2 row_mask:0xf bank_mask:0xf
	v_cndmask_b32_e64 v18, 0, v18, s0
	s_delay_alu instid0(VALU_DEP_1) | instskip(NEXT) | instid1(VALU_DEP_1)
	v_add_nc_u32_e32 v17, v17, v18
	v_mov_b32_dpp v18, v17 row_shr:4 row_mask:0xf bank_mask:0xf
	s_delay_alu instid0(VALU_DEP_1) | instskip(NEXT) | instid1(VALU_DEP_1)
	v_cndmask_b32_e64 v18, 0, v18, s4
	v_add_nc_u32_e32 v17, v17, v18
	s_delay_alu instid0(VALU_DEP_1) | instskip(NEXT) | instid1(VALU_DEP_1)
	v_mov_b32_dpp v18, v17 row_shr:8 row_mask:0xf bank_mask:0xf
	v_cndmask_b32_e64 v18, 0, v18, s1
	s_delay_alu instid0(VALU_DEP_1) | instskip(SKIP_3) | instid1(VALU_DEP_1)
	v_add_nc_u32_e32 v17, v17, v18
	ds_swizzle_b32 v18, v17 offset:swizzle(BROADCAST,32,15)
	s_waitcnt lgkmcnt(0)
	v_cndmask_b32_e64 v18, v18, 0, s6
	v_add_nc_u32_e32 v17, v17, v18
	s_and_saveexec_b32 s7, s5
	s_cbranch_execz .LBB593_370
; %bb.369:
	v_lshlrev_b32_e32 v18, 2, v43
	ds_store_b32 v18, v17
.LBB593_370:
	s_or_b32 exec_lo, exec_lo, s7
	s_delay_alu instid0(SALU_CYCLE_1)
	s_mov_b32 s7, exec_lo
	s_waitcnt lgkmcnt(0)
	s_barrier
	buffer_gl0_inv
	v_cmpx_gt_u32_e32 16, v0
	s_cbranch_execz .LBB593_372
; %bb.371:
	v_lshlrev_b32_e32 v18, 2, v0
	ds_load_b32 v21, v18
	s_waitcnt lgkmcnt(0)
	v_mov_b32_dpp v22, v21 row_shr:1 row_mask:0xf bank_mask:0xf
	s_delay_alu instid0(VALU_DEP_1) | instskip(NEXT) | instid1(VALU_DEP_1)
	v_cndmask_b32_e64 v22, v22, 0, s3
	v_add_nc_u32_e32 v21, v22, v21
	s_delay_alu instid0(VALU_DEP_1) | instskip(NEXT) | instid1(VALU_DEP_1)
	v_mov_b32_dpp v22, v21 row_shr:2 row_mask:0xf bank_mask:0xf
	v_cndmask_b32_e64 v22, 0, v22, s0
	s_delay_alu instid0(VALU_DEP_1) | instskip(NEXT) | instid1(VALU_DEP_1)
	v_add_nc_u32_e32 v21, v21, v22
	v_mov_b32_dpp v22, v21 row_shr:4 row_mask:0xf bank_mask:0xf
	s_delay_alu instid0(VALU_DEP_1) | instskip(NEXT) | instid1(VALU_DEP_1)
	v_cndmask_b32_e64 v22, 0, v22, s4
	v_add_nc_u32_e32 v21, v21, v22
	s_delay_alu instid0(VALU_DEP_1) | instskip(NEXT) | instid1(VALU_DEP_1)
	v_mov_b32_dpp v22, v21 row_shr:8 row_mask:0xf bank_mask:0xf
	v_cndmask_b32_e64 v22, 0, v22, s1
	s_delay_alu instid0(VALU_DEP_1)
	v_add_nc_u32_e32 v21, v21, v22
	ds_store_b32 v18, v21
.LBB593_372:
	s_or_b32 exec_lo, exec_lo, s7
	v_cmp_gt_u32_e32 vcc_lo, 32, v0
	s_mov_b32 s12, exec_lo
	s_waitcnt lgkmcnt(0)
	s_barrier
	buffer_gl0_inv
                                        ; implicit-def: $vgpr27
	v_cmpx_lt_u32_e32 31, v0
	s_cbranch_execz .LBB593_374
; %bb.373:
	v_lshl_add_u32 v18, v43, 2, -4
	ds_load_b32 v27, v18
	s_waitcnt lgkmcnt(0)
	v_add_nc_u32_e32 v17, v27, v17
.LBB593_374:
	s_or_b32 exec_lo, exec_lo, s12
	v_add_nc_u32_e32 v18, -1, v42
	s_delay_alu instid0(VALU_DEP_1) | instskip(NEXT) | instid1(VALU_DEP_1)
	v_cmp_gt_i32_e64 s7, 0, v18
	v_cndmask_b32_e64 v18, v18, v42, s7
	v_cmp_eq_u32_e64 s7, 0, v42
	s_delay_alu instid0(VALU_DEP_2)
	v_lshlrev_b32_e32 v18, 2, v18
	ds_bpermute_b32 v29, v18, v17
	s_and_saveexec_b32 s12, vcc_lo
	s_cbranch_execz .LBB593_392
; %bb.375:
	v_mov_b32_e32 v23, 0
	ds_load_b32 v17, v23 offset:60
	s_and_saveexec_b32 s14, s7
	s_cbranch_execz .LBB593_377
; %bb.376:
	s_add_i32 s16, s23, 32
	s_mov_b32 s17, 0
	v_mov_b32_e32 v18, 1
	s_lshl_b64 s[16:17], s[16:17], 3
	s_delay_alu instid0(SALU_CYCLE_1)
	s_add_u32 s16, s18, s16
	s_addc_u32 s17, s19, s17
	s_waitcnt lgkmcnt(0)
	global_store_b64 v23, v[17:18], s[16:17]
.LBB593_377:
	s_or_b32 exec_lo, exec_lo, s14
	v_xad_u32 v21, v42, -1, s23
	s_mov_b32 s15, 0
	s_mov_b32 s14, exec_lo
	s_delay_alu instid0(VALU_DEP_1) | instskip(NEXT) | instid1(VALU_DEP_1)
	v_add_nc_u32_e32 v22, 32, v21
	v_lshlrev_b64 v[22:23], 3, v[22:23]
	s_delay_alu instid0(VALU_DEP_1) | instskip(NEXT) | instid1(VALU_DEP_2)
	v_add_co_u32 v25, vcc_lo, s18, v22
	v_add_co_ci_u32_e32 v26, vcc_lo, s19, v23, vcc_lo
	global_load_b64 v[23:24], v[25:26], off glc
	s_waitcnt vmcnt(0)
	v_and_b32_e32 v18, 0xff, v24
	s_delay_alu instid0(VALU_DEP_1)
	v_cmpx_eq_u16_e32 0, v18
	s_cbranch_execz .LBB593_380
.LBB593_378:                            ; =>This Inner Loop Header: Depth=1
	global_load_b64 v[23:24], v[25:26], off glc
	s_waitcnt vmcnt(0)
	v_and_b32_e32 v18, 0xff, v24
	s_delay_alu instid0(VALU_DEP_1) | instskip(SKIP_1) | instid1(SALU_CYCLE_1)
	v_cmp_ne_u16_e32 vcc_lo, 0, v18
	s_or_b32 s15, vcc_lo, s15
	s_and_not1_b32 exec_lo, exec_lo, s15
	s_cbranch_execnz .LBB593_378
; %bb.379:
	s_or_b32 exec_lo, exec_lo, s15
.LBB593_380:
	s_delay_alu instid0(SALU_CYCLE_1)
	s_or_b32 exec_lo, exec_lo, s14
	v_cmp_ne_u32_e32 vcc_lo, 31, v42
	v_and_b32_e32 v22, 0xff, v24
	v_lshlrev_b32_e64 v31, v42, -1
	v_add_nc_u32_e32 v35, 2, v42
	v_add_nc_u32_e32 v45, 4, v42
	v_add_co_ci_u32_e32 v18, vcc_lo, 0, v42, vcc_lo
	v_cmp_eq_u16_e32 vcc_lo, 2, v22
	v_add_nc_u32_e32 v48, 8, v42
	v_add_nc_u32_e32 v50, 16, v42
	v_and_or_b32 v22, vcc_lo, v31, 0x80000000
	v_cmp_gt_u32_e32 vcc_lo, 30, v42
	s_delay_alu instid0(VALU_DEP_2) | instskip(SKIP_1) | instid1(VALU_DEP_2)
	v_ctz_i32_b32_e32 v22, v22
	v_cndmask_b32_e64 v26, 0, 1, vcc_lo
	v_cmp_lt_u32_e32 vcc_lo, v42, v22
	v_lshlrev_b32_e32 v18, 2, v18
	s_delay_alu instid0(VALU_DEP_3)
	v_lshlrev_b32_e32 v26, 1, v26
	ds_bpermute_b32 v25, v18, v23
	v_add_lshl_u32 v33, v26, v42, 2
	s_waitcnt lgkmcnt(0)
	v_cndmask_b32_e32 v25, 0, v25, vcc_lo
	v_cmp_gt_u32_e32 vcc_lo, 28, v42
	s_delay_alu instid0(VALU_DEP_2) | instskip(SKIP_4) | instid1(VALU_DEP_1)
	v_add_nc_u32_e32 v23, v25, v23
	v_cndmask_b32_e64 v26, 0, 1, vcc_lo
	v_cmp_le_u32_e32 vcc_lo, v35, v22
	ds_bpermute_b32 v25, v33, v23
	v_lshlrev_b32_e32 v26, 2, v26
	v_add_lshl_u32 v37, v26, v42, 2
	s_waitcnt lgkmcnt(0)
	v_cndmask_b32_e32 v25, 0, v25, vcc_lo
	v_cmp_gt_u32_e32 vcc_lo, 24, v42
	s_delay_alu instid0(VALU_DEP_2) | instskip(SKIP_4) | instid1(VALU_DEP_1)
	v_add_nc_u32_e32 v23, v23, v25
	v_cndmask_b32_e64 v26, 0, 1, vcc_lo
	v_cmp_le_u32_e32 vcc_lo, v45, v22
	ds_bpermute_b32 v25, v37, v23
	v_lshlrev_b32_e32 v26, 3, v26
	;; [unrolled: 10-line block ×3, first 2 shown]
	v_add_lshl_u32 v49, v26, v42, 2
	s_waitcnt lgkmcnt(0)
	v_cndmask_b32_e32 v25, 0, v25, vcc_lo
	v_cmp_le_u32_e32 vcc_lo, v50, v22
	s_delay_alu instid0(VALU_DEP_2) | instskip(SKIP_3) | instid1(VALU_DEP_1)
	v_add_nc_u32_e32 v23, v23, v25
	ds_bpermute_b32 v25, v49, v23
	s_waitcnt lgkmcnt(0)
	v_cndmask_b32_e32 v22, 0, v25, vcc_lo
	v_dual_mov_b32 v22, 0 :: v_dual_add_nc_u32 v23, v23, v22
	s_branch .LBB593_382
.LBB593_381:                            ;   in Loop: Header=BB593_382 Depth=1
	s_or_b32 exec_lo, exec_lo, s14
	ds_bpermute_b32 v26, v18, v23
	v_and_b32_e32 v25, 0xff, v24
	v_subrev_nc_u32_e32 v21, 32, v21
	s_delay_alu instid0(VALU_DEP_2) | instskip(SKIP_1) | instid1(VALU_DEP_1)
	v_cmp_eq_u16_e32 vcc_lo, 2, v25
	v_and_or_b32 v25, vcc_lo, v31, 0x80000000
	v_ctz_i32_b32_e32 v25, v25
	s_delay_alu instid0(VALU_DEP_1) | instskip(SKIP_3) | instid1(VALU_DEP_2)
	v_cmp_lt_u32_e32 vcc_lo, v42, v25
	s_waitcnt lgkmcnt(0)
	v_cndmask_b32_e32 v26, 0, v26, vcc_lo
	v_cmp_le_u32_e32 vcc_lo, v35, v25
	v_add_nc_u32_e32 v23, v26, v23
	ds_bpermute_b32 v26, v33, v23
	s_waitcnt lgkmcnt(0)
	v_cndmask_b32_e32 v26, 0, v26, vcc_lo
	v_cmp_le_u32_e32 vcc_lo, v45, v25
	s_delay_alu instid0(VALU_DEP_2) | instskip(SKIP_4) | instid1(VALU_DEP_2)
	v_add_nc_u32_e32 v23, v23, v26
	ds_bpermute_b32 v26, v37, v23
	s_waitcnt lgkmcnt(0)
	v_cndmask_b32_e32 v26, 0, v26, vcc_lo
	v_cmp_le_u32_e32 vcc_lo, v48, v25
	v_add_nc_u32_e32 v23, v23, v26
	ds_bpermute_b32 v26, v47, v23
	s_waitcnt lgkmcnt(0)
	v_cndmask_b32_e32 v26, 0, v26, vcc_lo
	v_cmp_le_u32_e32 vcc_lo, v50, v25
	s_delay_alu instid0(VALU_DEP_2) | instskip(SKIP_3) | instid1(VALU_DEP_1)
	v_add_nc_u32_e32 v23, v23, v26
	ds_bpermute_b32 v26, v49, v23
	s_waitcnt lgkmcnt(0)
	v_cndmask_b32_e32 v25, 0, v26, vcc_lo
	v_add3_u32 v23, v25, v46, v23
.LBB593_382:                            ; =>This Loop Header: Depth=1
                                        ;     Child Loop BB593_385 Depth 2
	v_and_b32_e32 v24, 0xff, v24
	s_delay_alu instid0(VALU_DEP_2) | instskip(NEXT) | instid1(VALU_DEP_2)
	v_mov_b32_e32 v46, v23
	v_cmp_ne_u16_e32 vcc_lo, 2, v24
	v_cndmask_b32_e64 v24, 0, 1, vcc_lo
	;;#ASMSTART
	;;#ASMEND
	s_delay_alu instid0(VALU_DEP_1)
	v_cmp_ne_u32_e32 vcc_lo, 0, v24
	s_cmp_lg_u32 vcc_lo, exec_lo
	s_cbranch_scc1 .LBB593_387
; %bb.383:                              ;   in Loop: Header=BB593_382 Depth=1
	v_lshlrev_b64 v[23:24], 3, v[21:22]
	s_mov_b32 s14, exec_lo
	s_delay_alu instid0(VALU_DEP_1) | instskip(NEXT) | instid1(VALU_DEP_2)
	v_add_co_u32 v25, vcc_lo, s18, v23
	v_add_co_ci_u32_e32 v26, vcc_lo, s19, v24, vcc_lo
	global_load_b64 v[23:24], v[25:26], off glc
	s_waitcnt vmcnt(0)
	v_and_b32_e32 v51, 0xff, v24
	s_delay_alu instid0(VALU_DEP_1)
	v_cmpx_eq_u16_e32 0, v51
	s_cbranch_execz .LBB593_381
; %bb.384:                              ;   in Loop: Header=BB593_382 Depth=1
	s_mov_b32 s15, 0
.LBB593_385:                            ;   Parent Loop BB593_382 Depth=1
                                        ; =>  This Inner Loop Header: Depth=2
	global_load_b64 v[23:24], v[25:26], off glc
	s_waitcnt vmcnt(0)
	v_and_b32_e32 v51, 0xff, v24
	s_delay_alu instid0(VALU_DEP_1) | instskip(SKIP_1) | instid1(SALU_CYCLE_1)
	v_cmp_ne_u16_e32 vcc_lo, 0, v51
	s_or_b32 s15, vcc_lo, s15
	s_and_not1_b32 exec_lo, exec_lo, s15
	s_cbranch_execnz .LBB593_385
; %bb.386:                              ;   in Loop: Header=BB593_382 Depth=1
	s_or_b32 exec_lo, exec_lo, s15
	s_branch .LBB593_381
.LBB593_387:                            ;   in Loop: Header=BB593_382 Depth=1
                                        ; implicit-def: $vgpr23
                                        ; implicit-def: $vgpr24
	s_cbranch_execz .LBB593_382
; %bb.388:
	s_and_saveexec_b32 s14, s7
	s_cbranch_execz .LBB593_390
; %bb.389:
	s_add_i32 s16, s23, 32
	s_mov_b32 s17, 0
	v_dual_mov_b32 v22, 2 :: v_dual_add_nc_u32 v21, v46, v17
	s_lshl_b64 s[16:17], s[16:17], 3
	v_mov_b32_e32 v18, 0
	v_add_nc_u32_e64 v23, 0x8400, 0
	s_add_u32 s16, s18, s16
	s_addc_u32 s17, s19, s17
	global_store_b64 v18, v[21:22], s[16:17]
	ds_store_2addr_b32 v23, v17, v46 offset1:2
.LBB593_390:
	s_or_b32 exec_lo, exec_lo, s14
	s_delay_alu instid0(SALU_CYCLE_1)
	s_and_b32 exec_lo, exec_lo, s2
	s_cbranch_execz .LBB593_392
; %bb.391:
	v_mov_b32_e32 v17, 0
	ds_store_b32 v17, v46 offset:60
.LBB593_392:
	s_or_b32 exec_lo, exec_lo, s12
	v_mov_b32_e32 v17, 0
	s_waitcnt lgkmcnt(0)
	s_waitcnt_vscnt null, 0x0
	s_barrier
	buffer_gl0_inv
	v_cndmask_b32_e64 v18, v29, v27, s7
	ds_load_b32 v17, v17 offset:60
	s_waitcnt lgkmcnt(0)
	s_barrier
	buffer_gl0_inv
	v_cndmask_b32_e64 v18, v18, 0, s2
	s_delay_alu instid0(VALU_DEP_1) | instskip(SKIP_1) | instid1(VALU_DEP_2)
	v_add_nc_u32_e32 v37, v17, v18
	v_add_nc_u32_e64 v17, 0x8400, 0
	v_add_nc_u32_e32 v35, v37, v28
	ds_load_2addr_b32 v[17:18], v17 offset1:2
	v_add_nc_u32_e32 v33, v35, v30
	s_delay_alu instid0(VALU_DEP_1) | instskip(NEXT) | instid1(VALU_DEP_1)
	v_add_nc_u32_e32 v31, v33, v32
	v_add_nc_u32_e32 v29, v31, v34
	s_delay_alu instid0(VALU_DEP_1) | instskip(NEXT) | instid1(VALU_DEP_1)
	v_add_nc_u32_e32 v27, v29, v36
	v_add_nc_u32_e32 v25, v27, v38
	s_delay_alu instid0(VALU_DEP_1)
	v_add_nc_u32_e32 v23, v25, v41
	v_lshrrev_b64 v[21:22], 24, v[19:20]
	s_branch .LBB593_403
.LBB593_393:
                                        ; implicit-def: $vgpr23
                                        ; implicit-def: $vgpr25
                                        ; implicit-def: $vgpr27
                                        ; implicit-def: $vgpr29
                                        ; implicit-def: $vgpr31
                                        ; implicit-def: $vgpr33
                                        ; implicit-def: $vgpr35
                                        ; implicit-def: $vgpr37
                                        ; implicit-def: $vgpr18
	v_lshrrev_b64 v[21:22], 24, v[19:20]
	s_and_b32 vcc_lo, exec_lo, s7
	s_cbranch_vccz .LBB593_403
; %bb.394:
	s_waitcnt lgkmcnt(0)
	v_mov_b32_dpp v17, v44 row_shr:1 row_mask:0xf bank_mask:0xf
	s_delay_alu instid0(VALU_DEP_1) | instskip(NEXT) | instid1(VALU_DEP_1)
	v_cndmask_b32_e64 v17, v17, 0, s3
	v_add_nc_u32_e32 v17, v17, v44
	s_delay_alu instid0(VALU_DEP_1) | instskip(NEXT) | instid1(VALU_DEP_1)
	v_mov_b32_dpp v18, v17 row_shr:2 row_mask:0xf bank_mask:0xf
	v_cndmask_b32_e64 v18, 0, v18, s0
	s_delay_alu instid0(VALU_DEP_1) | instskip(NEXT) | instid1(VALU_DEP_1)
	v_add_nc_u32_e32 v17, v17, v18
	v_mov_b32_dpp v18, v17 row_shr:4 row_mask:0xf bank_mask:0xf
	s_delay_alu instid0(VALU_DEP_1) | instskip(NEXT) | instid1(VALU_DEP_1)
	v_cndmask_b32_e64 v18, 0, v18, s4
	v_add_nc_u32_e32 v17, v17, v18
	s_delay_alu instid0(VALU_DEP_1) | instskip(NEXT) | instid1(VALU_DEP_1)
	v_mov_b32_dpp v18, v17 row_shr:8 row_mask:0xf bank_mask:0xf
	v_cndmask_b32_e64 v18, 0, v18, s1
	s_delay_alu instid0(VALU_DEP_1) | instskip(SKIP_3) | instid1(VALU_DEP_1)
	v_add_nc_u32_e32 v17, v17, v18
	ds_swizzle_b32 v18, v17 offset:swizzle(BROADCAST,32,15)
	s_waitcnt lgkmcnt(0)
	v_cndmask_b32_e64 v18, v18, 0, s6
	v_add_nc_u32_e32 v17, v17, v18
	s_and_saveexec_b32 s6, s5
	s_cbranch_execz .LBB593_396
; %bb.395:
	v_lshlrev_b32_e32 v18, 2, v43
	ds_store_b32 v18, v17
.LBB593_396:
	s_or_b32 exec_lo, exec_lo, s6
	s_delay_alu instid0(SALU_CYCLE_1)
	s_mov_b32 s5, exec_lo
	s_waitcnt lgkmcnt(0)
	s_barrier
	buffer_gl0_inv
	v_cmpx_gt_u32_e32 16, v0
	s_cbranch_execz .LBB593_398
; %bb.397:
	v_lshlrev_b32_e32 v18, 2, v0
	ds_load_b32 v22, v18
	s_waitcnt lgkmcnt(0)
	v_mov_b32_dpp v23, v22 row_shr:1 row_mask:0xf bank_mask:0xf
	s_delay_alu instid0(VALU_DEP_1) | instskip(NEXT) | instid1(VALU_DEP_1)
	v_cndmask_b32_e64 v23, v23, 0, s3
	v_add_nc_u32_e32 v22, v23, v22
	s_delay_alu instid0(VALU_DEP_1) | instskip(NEXT) | instid1(VALU_DEP_1)
	v_mov_b32_dpp v23, v22 row_shr:2 row_mask:0xf bank_mask:0xf
	v_cndmask_b32_e64 v23, 0, v23, s0
	s_delay_alu instid0(VALU_DEP_1) | instskip(NEXT) | instid1(VALU_DEP_1)
	v_add_nc_u32_e32 v22, v22, v23
	v_mov_b32_dpp v23, v22 row_shr:4 row_mask:0xf bank_mask:0xf
	s_delay_alu instid0(VALU_DEP_1) | instskip(NEXT) | instid1(VALU_DEP_1)
	v_cndmask_b32_e64 v23, 0, v23, s4
	v_add_nc_u32_e32 v22, v22, v23
	s_delay_alu instid0(VALU_DEP_1) | instskip(NEXT) | instid1(VALU_DEP_1)
	v_mov_b32_dpp v23, v22 row_shr:8 row_mask:0xf bank_mask:0xf
	v_cndmask_b32_e64 v23, 0, v23, s1
	s_delay_alu instid0(VALU_DEP_1)
	v_add_nc_u32_e32 v22, v22, v23
	ds_store_b32 v18, v22
.LBB593_398:
	s_or_b32 exec_lo, exec_lo, s5
	v_mov_b32_e32 v18, 0
	v_mov_b32_e32 v22, 0
	s_mov_b32 s0, exec_lo
	s_waitcnt lgkmcnt(0)
	s_barrier
	buffer_gl0_inv
	v_cmpx_lt_u32_e32 31, v0
	s_cbranch_execz .LBB593_400
; %bb.399:
	v_lshl_add_u32 v22, v43, 2, -4
	ds_load_b32 v22, v22
.LBB593_400:
	s_or_b32 exec_lo, exec_lo, s0
	v_add_nc_u32_e32 v23, -1, v42
	s_waitcnt lgkmcnt(0)
	v_add_nc_u32_e32 v17, v22, v17
	s_delay_alu instid0(VALU_DEP_2) | instskip(SKIP_1) | instid1(VALU_DEP_1)
	v_cmp_gt_i32_e32 vcc_lo, 0, v23
	v_cndmask_b32_e32 v23, v23, v42, vcc_lo
	v_lshlrev_b32_e32 v23, 2, v23
	ds_bpermute_b32 v23, v23, v17
	ds_load_b32 v17, v18 offset:60
	s_and_saveexec_b32 s0, s2
	s_cbranch_execz .LBB593_402
; %bb.401:
	v_mov_b32_e32 v24, 0
	v_mov_b32_e32 v18, 2
	s_waitcnt lgkmcnt(0)
	global_store_b64 v24, v[17:18], s[18:19] offset:256
.LBB593_402:
	s_or_b32 exec_lo, exec_lo, s0
	v_cmp_eq_u32_e32 vcc_lo, 0, v42
	s_waitcnt lgkmcnt(0)
	s_waitcnt_vscnt null, 0x0
	s_barrier
	buffer_gl0_inv
	v_cndmask_b32_e32 v18, v23, v22, vcc_lo
	s_delay_alu instid0(VALU_DEP_1) | instskip(NEXT) | instid1(VALU_DEP_1)
	v_cndmask_b32_e64 v37, v18, 0, s2
	v_dual_mov_b32 v18, 0 :: v_dual_add_nc_u32 v35, v37, v28
	s_delay_alu instid0(VALU_DEP_1) | instskip(NEXT) | instid1(VALU_DEP_1)
	v_add_nc_u32_e32 v33, v35, v30
	v_add_nc_u32_e32 v31, v33, v32
	s_delay_alu instid0(VALU_DEP_1) | instskip(NEXT) | instid1(VALU_DEP_1)
	v_add_nc_u32_e32 v29, v31, v34
	v_add_nc_u32_e32 v27, v29, v36
	;; [unrolled: 3-line block ×3, first 2 shown]
.LBB593_403:
	s_waitcnt lgkmcnt(0)
	v_cmp_gt_u32_e32 vcc_lo, 0x201, v17
	v_lshrrev_b32_e32 v43, 8, v19
	v_lshrrev_b32_e32 v42, 16, v19
	;; [unrolled: 1-line block ×4, first 2 shown]
	s_mov_b32 s0, -1
	s_cbranch_vccnz .LBB593_407
; %bb.404:
	s_and_b32 vcc_lo, exec_lo, s0
	s_cbranch_vccnz .LBB593_432
.LBB593_405:
	s_and_b32 s0, s2, s13
	s_delay_alu instid0(SALU_CYCLE_1)
	s_and_saveexec_b32 s1, s0
	s_cbranch_execnz .LBB593_452
.LBB593_406:
	s_nop 0
	s_sendmsg sendmsg(MSG_DEALLOC_VGPRS)
	s_endpgm
.LBB593_407:
	v_add_nc_u32_e32 v24, v18, v17
	s_delay_alu instid0(VALU_DEP_1) | instskip(SKIP_1) | instid1(SALU_CYCLE_1)
	v_cmp_lt_u32_e32 vcc_lo, v37, v24
	s_or_b32 s1, s22, vcc_lo
	s_and_saveexec_b32 s0, s1
	s_cbranch_execz .LBB593_410
; %bb.408:
	v_and_b32_e32 v26, 1, v19
	s_delay_alu instid0(VALU_DEP_1)
	v_cmp_eq_u32_e32 vcc_lo, 1, v26
	s_and_b32 exec_lo, exec_lo, vcc_lo
	s_cbranch_execz .LBB593_410
; %bb.409:
	v_mov_b32_e32 v38, 0
	s_lshl_b64 s[4:5], s[10:11], 3
	s_delay_alu instid0(SALU_CYCLE_1) | instskip(SKIP_1) | instid1(VALU_DEP_1)
	s_add_u32 s1, s20, s4
	s_addc_u32 s3, s21, s5
	v_lshlrev_b64 v[44:45], 3, v[37:38]
	s_delay_alu instid0(VALU_DEP_1) | instskip(NEXT) | instid1(VALU_DEP_2)
	v_add_co_u32 v44, vcc_lo, s1, v44
	v_add_co_ci_u32_e32 v45, vcc_lo, s3, v45, vcc_lo
	global_store_b64 v[44:45], v[13:14], off
.LBB593_410:
	s_or_b32 exec_lo, exec_lo, s0
	v_cmp_lt_u32_e32 vcc_lo, v35, v24
	s_or_b32 s1, s22, vcc_lo
	s_delay_alu instid0(SALU_CYCLE_1)
	s_and_saveexec_b32 s0, s1
	s_cbranch_execz .LBB593_413
; %bb.411:
	v_and_b32_e32 v26, 1, v43
	s_delay_alu instid0(VALU_DEP_1)
	v_cmp_eq_u32_e32 vcc_lo, 1, v26
	s_and_b32 exec_lo, exec_lo, vcc_lo
	s_cbranch_execz .LBB593_413
; %bb.412:
	v_mov_b32_e32 v36, 0
	s_lshl_b64 s[4:5], s[10:11], 3
	s_delay_alu instid0(SALU_CYCLE_1) | instskip(SKIP_1) | instid1(VALU_DEP_1)
	s_add_u32 s1, s20, s4
	s_addc_u32 s3, s21, s5
	v_lshlrev_b64 v[44:45], 3, v[35:36]
	s_delay_alu instid0(VALU_DEP_1) | instskip(NEXT) | instid1(VALU_DEP_2)
	v_add_co_u32 v44, vcc_lo, s1, v44
	v_add_co_ci_u32_e32 v45, vcc_lo, s3, v45, vcc_lo
	global_store_b64 v[44:45], v[15:16], off
.LBB593_413:
	s_or_b32 exec_lo, exec_lo, s0
	v_cmp_lt_u32_e32 vcc_lo, v33, v24
	s_or_b32 s1, s22, vcc_lo
	s_delay_alu instid0(SALU_CYCLE_1)
	;; [unrolled: 24-line block ×7, first 2 shown]
	s_and_saveexec_b32 s0, s1
	s_cbranch_execz .LBB593_431
; %bb.429:
	v_and_b32_e32 v24, 1, v40
	s_delay_alu instid0(VALU_DEP_1)
	v_cmp_eq_u32_e32 vcc_lo, 1, v24
	s_and_b32 exec_lo, exec_lo, vcc_lo
	s_cbranch_execz .LBB593_431
; %bb.430:
	v_mov_b32_e32 v24, 0
	s_lshl_b64 s[4:5], s[10:11], 3
	s_delay_alu instid0(SALU_CYCLE_1) | instskip(SKIP_1) | instid1(VALU_DEP_1)
	s_add_u32 s1, s20, s4
	s_addc_u32 s3, s21, s5
	v_lshlrev_b64 v[44:45], 3, v[23:24]
	s_delay_alu instid0(VALU_DEP_1) | instskip(NEXT) | instid1(VALU_DEP_2)
	v_add_co_u32 v44, vcc_lo, s1, v44
	v_add_co_ci_u32_e32 v45, vcc_lo, s3, v45, vcc_lo
	global_store_b64 v[44:45], v[3:4], off
.LBB593_431:
	s_or_b32 exec_lo, exec_lo, s0
	s_branch .LBB593_405
.LBB593_432:
	v_and_b32_e32 v19, 1, v19
	s_mov_b32 s0, exec_lo
	s_delay_alu instid0(VALU_DEP_1)
	v_cmpx_eq_u32_e32 1, v19
	s_cbranch_execz .LBB593_434
; %bb.433:
	v_sub_nc_u32_e32 v19, v37, v18
	s_delay_alu instid0(VALU_DEP_1)
	v_lshlrev_b32_e32 v19, 3, v19
	ds_store_b64 v19, v[13:14]
.LBB593_434:
	s_or_b32 exec_lo, exec_lo, s0
	v_and_b32_e32 v13, 1, v43
	s_mov_b32 s0, exec_lo
	s_delay_alu instid0(VALU_DEP_1)
	v_cmpx_eq_u32_e32 1, v13
	s_cbranch_execz .LBB593_436
; %bb.435:
	v_sub_nc_u32_e32 v13, v35, v18
	s_delay_alu instid0(VALU_DEP_1)
	v_lshlrev_b32_e32 v13, 3, v13
	ds_store_b64 v13, v[15:16]
.LBB593_436:
	s_or_b32 exec_lo, exec_lo, s0
	;; [unrolled: 12-line block ×8, first 2 shown]
	s_delay_alu instid0(SALU_CYCLE_1)
	s_mov_b32 s1, exec_lo
	s_waitcnt lgkmcnt(0)
	s_waitcnt_vscnt null, 0x0
	s_barrier
	buffer_gl0_inv
	v_cmpx_lt_u32_e64 v0, v17
	s_cbranch_execz .LBB593_451
; %bb.449:
	v_dual_mov_b32 v2, 0 :: v_dual_mov_b32 v1, v18
	s_lshl_b64 s[4:5], s[10:11], 3
	s_mov_b32 s3, 0
	s_delay_alu instid0(VALU_DEP_1) | instskip(NEXT) | instid1(VALU_DEP_1)
	v_lshlrev_b64 v[1:2], 3, v[1:2]
	v_add_co_u32 v1, vcc_lo, s4, v1
	s_delay_alu instid0(VALU_DEP_2) | instskip(NEXT) | instid1(VALU_DEP_2)
	v_add_co_ci_u32_e32 v2, vcc_lo, s5, v2, vcc_lo
	v_add_co_u32 v1, vcc_lo, s20, v1
	s_delay_alu instid0(VALU_DEP_2) | instskip(NEXT) | instid1(VALU_DEP_2)
	v_add_co_ci_u32_e32 v2, vcc_lo, s21, v2, vcc_lo
	v_add_co_u32 v1, vcc_lo, v1, v39
	s_delay_alu instid0(VALU_DEP_2)
	v_add_co_ci_u32_e32 v2, vcc_lo, 0, v2, vcc_lo
	.p2align	6
.LBB593_450:                            ; =>This Inner Loop Header: Depth=1
	ds_load_b64 v[3:4], v39
	v_add_nc_u32_e32 v0, 0x200, v0
	v_add_nc_u32_e32 v39, 0x1000, v39
	s_delay_alu instid0(VALU_DEP_2) | instskip(SKIP_4) | instid1(VALU_DEP_1)
	v_cmp_ge_u32_e32 vcc_lo, v0, v17
	s_or_b32 s3, vcc_lo, s3
	s_waitcnt lgkmcnt(0)
	global_store_b64 v[1:2], v[3:4], off
	v_add_co_u32 v1, s0, 0x1000, v1
	v_add_co_ci_u32_e64 v2, s0, 0, v2, s0
	s_and_not1_b32 exec_lo, exec_lo, s3
	s_cbranch_execnz .LBB593_450
.LBB593_451:
	s_or_b32 exec_lo, exec_lo, s1
	s_and_b32 s0, s2, s13
	s_delay_alu instid0(SALU_CYCLE_1)
	s_and_saveexec_b32 s1, s0
	s_cbranch_execz .LBB593_406
.LBB593_452:
	v_add_co_u32 v0, s0, s10, v17
	s_delay_alu instid0(VALU_DEP_1) | instskip(SKIP_1) | instid1(VALU_DEP_3)
	v_add_co_ci_u32_e64 v1, null, s11, 0, s0
	v_mov_b32_e32 v2, 0
	v_add_co_u32 v0, vcc_lo, v0, v18
	s_delay_alu instid0(VALU_DEP_3)
	v_add_co_ci_u32_e32 v1, vcc_lo, 0, v1, vcc_lo
	global_store_b64 v2, v[0:1], s[8:9]
	s_nop 0
	s_sendmsg sendmsg(MSG_DEALLOC_VGPRS)
	s_endpgm
	.section	.rodata,"a",@progbits
	.p2align	6, 0x0
	.amdhsa_kernel _ZN7rocprim17ROCPRIM_400000_NS6detail17trampoline_kernelINS0_14default_configENS1_25partition_config_selectorILNS1_17partition_subalgoE8ElNS0_10empty_typeEbEEZZNS1_14partition_implILS5_8ELb0ES3_jPlPS6_PKS6_NS0_5tupleIJS9_S6_EEENSD_IJSA_SA_EEENS0_18inequality_wrapperIZN2at6native12_GLOBAL__N_124unique_dim_cuda_templateIlEESt5tupleIJNSH_6TensorESM_SM_EERKSM_lbbbEUlllE0_EEPmJS6_EEE10hipError_tPvRmT3_T4_T5_T6_T7_T9_mT8_P12ihipStream_tbDpT10_ENKUlT_T0_E_clISt17integral_constantIbLb0EES1B_IbLb1EEEEDaS17_S18_EUlS17_E_NS1_11comp_targetILNS1_3genE9ELNS1_11target_archE1100ELNS1_3gpuE3ELNS1_3repE0EEENS1_30default_config_static_selectorELNS0_4arch9wavefront6targetE0EEEvT1_
		.amdhsa_group_segment_fixed_size 33804
		.amdhsa_private_segment_fixed_size 0
		.amdhsa_kernarg_size 136
		.amdhsa_user_sgpr_count 15
		.amdhsa_user_sgpr_dispatch_ptr 0
		.amdhsa_user_sgpr_queue_ptr 0
		.amdhsa_user_sgpr_kernarg_segment_ptr 1
		.amdhsa_user_sgpr_dispatch_id 0
		.amdhsa_user_sgpr_private_segment_size 0
		.amdhsa_wavefront_size32 1
		.amdhsa_uses_dynamic_stack 0
		.amdhsa_enable_private_segment 0
		.amdhsa_system_sgpr_workgroup_id_x 1
		.amdhsa_system_sgpr_workgroup_id_y 0
		.amdhsa_system_sgpr_workgroup_id_z 0
		.amdhsa_system_sgpr_workgroup_info 0
		.amdhsa_system_vgpr_workitem_id 0
		.amdhsa_next_free_vgpr 52
		.amdhsa_next_free_sgpr 38
		.amdhsa_reserve_vcc 1
		.amdhsa_float_round_mode_32 0
		.amdhsa_float_round_mode_16_64 0
		.amdhsa_float_denorm_mode_32 3
		.amdhsa_float_denorm_mode_16_64 3
		.amdhsa_dx10_clamp 1
		.amdhsa_ieee_mode 1
		.amdhsa_fp16_overflow 0
		.amdhsa_workgroup_processor_mode 1
		.amdhsa_memory_ordered 1
		.amdhsa_forward_progress 0
		.amdhsa_shared_vgpr_count 0
		.amdhsa_exception_fp_ieee_invalid_op 0
		.amdhsa_exception_fp_denorm_src 0
		.amdhsa_exception_fp_ieee_div_zero 0
		.amdhsa_exception_fp_ieee_overflow 0
		.amdhsa_exception_fp_ieee_underflow 0
		.amdhsa_exception_fp_ieee_inexact 0
		.amdhsa_exception_int_div_zero 0
	.end_amdhsa_kernel
	.section	.text._ZN7rocprim17ROCPRIM_400000_NS6detail17trampoline_kernelINS0_14default_configENS1_25partition_config_selectorILNS1_17partition_subalgoE8ElNS0_10empty_typeEbEEZZNS1_14partition_implILS5_8ELb0ES3_jPlPS6_PKS6_NS0_5tupleIJS9_S6_EEENSD_IJSA_SA_EEENS0_18inequality_wrapperIZN2at6native12_GLOBAL__N_124unique_dim_cuda_templateIlEESt5tupleIJNSH_6TensorESM_SM_EERKSM_lbbbEUlllE0_EEPmJS6_EEE10hipError_tPvRmT3_T4_T5_T6_T7_T9_mT8_P12ihipStream_tbDpT10_ENKUlT_T0_E_clISt17integral_constantIbLb0EES1B_IbLb1EEEEDaS17_S18_EUlS17_E_NS1_11comp_targetILNS1_3genE9ELNS1_11target_archE1100ELNS1_3gpuE3ELNS1_3repE0EEENS1_30default_config_static_selectorELNS0_4arch9wavefront6targetE0EEEvT1_,"axG",@progbits,_ZN7rocprim17ROCPRIM_400000_NS6detail17trampoline_kernelINS0_14default_configENS1_25partition_config_selectorILNS1_17partition_subalgoE8ElNS0_10empty_typeEbEEZZNS1_14partition_implILS5_8ELb0ES3_jPlPS6_PKS6_NS0_5tupleIJS9_S6_EEENSD_IJSA_SA_EEENS0_18inequality_wrapperIZN2at6native12_GLOBAL__N_124unique_dim_cuda_templateIlEESt5tupleIJNSH_6TensorESM_SM_EERKSM_lbbbEUlllE0_EEPmJS6_EEE10hipError_tPvRmT3_T4_T5_T6_T7_T9_mT8_P12ihipStream_tbDpT10_ENKUlT_T0_E_clISt17integral_constantIbLb0EES1B_IbLb1EEEEDaS17_S18_EUlS17_E_NS1_11comp_targetILNS1_3genE9ELNS1_11target_archE1100ELNS1_3gpuE3ELNS1_3repE0EEENS1_30default_config_static_selectorELNS0_4arch9wavefront6targetE0EEEvT1_,comdat
.Lfunc_end593:
	.size	_ZN7rocprim17ROCPRIM_400000_NS6detail17trampoline_kernelINS0_14default_configENS1_25partition_config_selectorILNS1_17partition_subalgoE8ElNS0_10empty_typeEbEEZZNS1_14partition_implILS5_8ELb0ES3_jPlPS6_PKS6_NS0_5tupleIJS9_S6_EEENSD_IJSA_SA_EEENS0_18inequality_wrapperIZN2at6native12_GLOBAL__N_124unique_dim_cuda_templateIlEESt5tupleIJNSH_6TensorESM_SM_EERKSM_lbbbEUlllE0_EEPmJS6_EEE10hipError_tPvRmT3_T4_T5_T6_T7_T9_mT8_P12ihipStream_tbDpT10_ENKUlT_T0_E_clISt17integral_constantIbLb0EES1B_IbLb1EEEEDaS17_S18_EUlS17_E_NS1_11comp_targetILNS1_3genE9ELNS1_11target_archE1100ELNS1_3gpuE3ELNS1_3repE0EEENS1_30default_config_static_selectorELNS0_4arch9wavefront6targetE0EEEvT1_, .Lfunc_end593-_ZN7rocprim17ROCPRIM_400000_NS6detail17trampoline_kernelINS0_14default_configENS1_25partition_config_selectorILNS1_17partition_subalgoE8ElNS0_10empty_typeEbEEZZNS1_14partition_implILS5_8ELb0ES3_jPlPS6_PKS6_NS0_5tupleIJS9_S6_EEENSD_IJSA_SA_EEENS0_18inequality_wrapperIZN2at6native12_GLOBAL__N_124unique_dim_cuda_templateIlEESt5tupleIJNSH_6TensorESM_SM_EERKSM_lbbbEUlllE0_EEPmJS6_EEE10hipError_tPvRmT3_T4_T5_T6_T7_T9_mT8_P12ihipStream_tbDpT10_ENKUlT_T0_E_clISt17integral_constantIbLb0EES1B_IbLb1EEEEDaS17_S18_EUlS17_E_NS1_11comp_targetILNS1_3genE9ELNS1_11target_archE1100ELNS1_3gpuE3ELNS1_3repE0EEENS1_30default_config_static_selectorELNS0_4arch9wavefront6targetE0EEEvT1_
                                        ; -- End function
	.section	.AMDGPU.csdata,"",@progbits
; Kernel info:
; codeLenInByte = 18420
; NumSgprs: 40
; NumVgprs: 52
; ScratchSize: 0
; MemoryBound: 1
; FloatMode: 240
; IeeeMode: 1
; LDSByteSize: 33804 bytes/workgroup (compile time only)
; SGPRBlocks: 4
; VGPRBlocks: 6
; NumSGPRsForWavesPerEU: 40
; NumVGPRsForWavesPerEU: 52
; Occupancy: 12
; WaveLimiterHint : 1
; COMPUTE_PGM_RSRC2:SCRATCH_EN: 0
; COMPUTE_PGM_RSRC2:USER_SGPR: 15
; COMPUTE_PGM_RSRC2:TRAP_HANDLER: 0
; COMPUTE_PGM_RSRC2:TGID_X_EN: 1
; COMPUTE_PGM_RSRC2:TGID_Y_EN: 0
; COMPUTE_PGM_RSRC2:TGID_Z_EN: 0
; COMPUTE_PGM_RSRC2:TIDIG_COMP_CNT: 0
	.section	.text._ZN7rocprim17ROCPRIM_400000_NS6detail17trampoline_kernelINS0_14default_configENS1_25partition_config_selectorILNS1_17partition_subalgoE8ElNS0_10empty_typeEbEEZZNS1_14partition_implILS5_8ELb0ES3_jPlPS6_PKS6_NS0_5tupleIJS9_S6_EEENSD_IJSA_SA_EEENS0_18inequality_wrapperIZN2at6native12_GLOBAL__N_124unique_dim_cuda_templateIlEESt5tupleIJNSH_6TensorESM_SM_EERKSM_lbbbEUlllE0_EEPmJS6_EEE10hipError_tPvRmT3_T4_T5_T6_T7_T9_mT8_P12ihipStream_tbDpT10_ENKUlT_T0_E_clISt17integral_constantIbLb0EES1B_IbLb1EEEEDaS17_S18_EUlS17_E_NS1_11comp_targetILNS1_3genE8ELNS1_11target_archE1030ELNS1_3gpuE2ELNS1_3repE0EEENS1_30default_config_static_selectorELNS0_4arch9wavefront6targetE0EEEvT1_,"axG",@progbits,_ZN7rocprim17ROCPRIM_400000_NS6detail17trampoline_kernelINS0_14default_configENS1_25partition_config_selectorILNS1_17partition_subalgoE8ElNS0_10empty_typeEbEEZZNS1_14partition_implILS5_8ELb0ES3_jPlPS6_PKS6_NS0_5tupleIJS9_S6_EEENSD_IJSA_SA_EEENS0_18inequality_wrapperIZN2at6native12_GLOBAL__N_124unique_dim_cuda_templateIlEESt5tupleIJNSH_6TensorESM_SM_EERKSM_lbbbEUlllE0_EEPmJS6_EEE10hipError_tPvRmT3_T4_T5_T6_T7_T9_mT8_P12ihipStream_tbDpT10_ENKUlT_T0_E_clISt17integral_constantIbLb0EES1B_IbLb1EEEEDaS17_S18_EUlS17_E_NS1_11comp_targetILNS1_3genE8ELNS1_11target_archE1030ELNS1_3gpuE2ELNS1_3repE0EEENS1_30default_config_static_selectorELNS0_4arch9wavefront6targetE0EEEvT1_,comdat
	.globl	_ZN7rocprim17ROCPRIM_400000_NS6detail17trampoline_kernelINS0_14default_configENS1_25partition_config_selectorILNS1_17partition_subalgoE8ElNS0_10empty_typeEbEEZZNS1_14partition_implILS5_8ELb0ES3_jPlPS6_PKS6_NS0_5tupleIJS9_S6_EEENSD_IJSA_SA_EEENS0_18inequality_wrapperIZN2at6native12_GLOBAL__N_124unique_dim_cuda_templateIlEESt5tupleIJNSH_6TensorESM_SM_EERKSM_lbbbEUlllE0_EEPmJS6_EEE10hipError_tPvRmT3_T4_T5_T6_T7_T9_mT8_P12ihipStream_tbDpT10_ENKUlT_T0_E_clISt17integral_constantIbLb0EES1B_IbLb1EEEEDaS17_S18_EUlS17_E_NS1_11comp_targetILNS1_3genE8ELNS1_11target_archE1030ELNS1_3gpuE2ELNS1_3repE0EEENS1_30default_config_static_selectorELNS0_4arch9wavefront6targetE0EEEvT1_ ; -- Begin function _ZN7rocprim17ROCPRIM_400000_NS6detail17trampoline_kernelINS0_14default_configENS1_25partition_config_selectorILNS1_17partition_subalgoE8ElNS0_10empty_typeEbEEZZNS1_14partition_implILS5_8ELb0ES3_jPlPS6_PKS6_NS0_5tupleIJS9_S6_EEENSD_IJSA_SA_EEENS0_18inequality_wrapperIZN2at6native12_GLOBAL__N_124unique_dim_cuda_templateIlEESt5tupleIJNSH_6TensorESM_SM_EERKSM_lbbbEUlllE0_EEPmJS6_EEE10hipError_tPvRmT3_T4_T5_T6_T7_T9_mT8_P12ihipStream_tbDpT10_ENKUlT_T0_E_clISt17integral_constantIbLb0EES1B_IbLb1EEEEDaS17_S18_EUlS17_E_NS1_11comp_targetILNS1_3genE8ELNS1_11target_archE1030ELNS1_3gpuE2ELNS1_3repE0EEENS1_30default_config_static_selectorELNS0_4arch9wavefront6targetE0EEEvT1_
	.p2align	8
	.type	_ZN7rocprim17ROCPRIM_400000_NS6detail17trampoline_kernelINS0_14default_configENS1_25partition_config_selectorILNS1_17partition_subalgoE8ElNS0_10empty_typeEbEEZZNS1_14partition_implILS5_8ELb0ES3_jPlPS6_PKS6_NS0_5tupleIJS9_S6_EEENSD_IJSA_SA_EEENS0_18inequality_wrapperIZN2at6native12_GLOBAL__N_124unique_dim_cuda_templateIlEESt5tupleIJNSH_6TensorESM_SM_EERKSM_lbbbEUlllE0_EEPmJS6_EEE10hipError_tPvRmT3_T4_T5_T6_T7_T9_mT8_P12ihipStream_tbDpT10_ENKUlT_T0_E_clISt17integral_constantIbLb0EES1B_IbLb1EEEEDaS17_S18_EUlS17_E_NS1_11comp_targetILNS1_3genE8ELNS1_11target_archE1030ELNS1_3gpuE2ELNS1_3repE0EEENS1_30default_config_static_selectorELNS0_4arch9wavefront6targetE0EEEvT1_,@function
_ZN7rocprim17ROCPRIM_400000_NS6detail17trampoline_kernelINS0_14default_configENS1_25partition_config_selectorILNS1_17partition_subalgoE8ElNS0_10empty_typeEbEEZZNS1_14partition_implILS5_8ELb0ES3_jPlPS6_PKS6_NS0_5tupleIJS9_S6_EEENSD_IJSA_SA_EEENS0_18inequality_wrapperIZN2at6native12_GLOBAL__N_124unique_dim_cuda_templateIlEESt5tupleIJNSH_6TensorESM_SM_EERKSM_lbbbEUlllE0_EEPmJS6_EEE10hipError_tPvRmT3_T4_T5_T6_T7_T9_mT8_P12ihipStream_tbDpT10_ENKUlT_T0_E_clISt17integral_constantIbLb0EES1B_IbLb1EEEEDaS17_S18_EUlS17_E_NS1_11comp_targetILNS1_3genE8ELNS1_11target_archE1030ELNS1_3gpuE2ELNS1_3repE0EEENS1_30default_config_static_selectorELNS0_4arch9wavefront6targetE0EEEvT1_: ; @_ZN7rocprim17ROCPRIM_400000_NS6detail17trampoline_kernelINS0_14default_configENS1_25partition_config_selectorILNS1_17partition_subalgoE8ElNS0_10empty_typeEbEEZZNS1_14partition_implILS5_8ELb0ES3_jPlPS6_PKS6_NS0_5tupleIJS9_S6_EEENSD_IJSA_SA_EEENS0_18inequality_wrapperIZN2at6native12_GLOBAL__N_124unique_dim_cuda_templateIlEESt5tupleIJNSH_6TensorESM_SM_EERKSM_lbbbEUlllE0_EEPmJS6_EEE10hipError_tPvRmT3_T4_T5_T6_T7_T9_mT8_P12ihipStream_tbDpT10_ENKUlT_T0_E_clISt17integral_constantIbLb0EES1B_IbLb1EEEEDaS17_S18_EUlS17_E_NS1_11comp_targetILNS1_3genE8ELNS1_11target_archE1030ELNS1_3gpuE2ELNS1_3repE0EEENS1_30default_config_static_selectorELNS0_4arch9wavefront6targetE0EEEvT1_
; %bb.0:
	.section	.rodata,"a",@progbits
	.p2align	6, 0x0
	.amdhsa_kernel _ZN7rocprim17ROCPRIM_400000_NS6detail17trampoline_kernelINS0_14default_configENS1_25partition_config_selectorILNS1_17partition_subalgoE8ElNS0_10empty_typeEbEEZZNS1_14partition_implILS5_8ELb0ES3_jPlPS6_PKS6_NS0_5tupleIJS9_S6_EEENSD_IJSA_SA_EEENS0_18inequality_wrapperIZN2at6native12_GLOBAL__N_124unique_dim_cuda_templateIlEESt5tupleIJNSH_6TensorESM_SM_EERKSM_lbbbEUlllE0_EEPmJS6_EEE10hipError_tPvRmT3_T4_T5_T6_T7_T9_mT8_P12ihipStream_tbDpT10_ENKUlT_T0_E_clISt17integral_constantIbLb0EES1B_IbLb1EEEEDaS17_S18_EUlS17_E_NS1_11comp_targetILNS1_3genE8ELNS1_11target_archE1030ELNS1_3gpuE2ELNS1_3repE0EEENS1_30default_config_static_selectorELNS0_4arch9wavefront6targetE0EEEvT1_
		.amdhsa_group_segment_fixed_size 0
		.amdhsa_private_segment_fixed_size 0
		.amdhsa_kernarg_size 136
		.amdhsa_user_sgpr_count 15
		.amdhsa_user_sgpr_dispatch_ptr 0
		.amdhsa_user_sgpr_queue_ptr 0
		.amdhsa_user_sgpr_kernarg_segment_ptr 1
		.amdhsa_user_sgpr_dispatch_id 0
		.amdhsa_user_sgpr_private_segment_size 0
		.amdhsa_wavefront_size32 1
		.amdhsa_uses_dynamic_stack 0
		.amdhsa_enable_private_segment 0
		.amdhsa_system_sgpr_workgroup_id_x 1
		.amdhsa_system_sgpr_workgroup_id_y 0
		.amdhsa_system_sgpr_workgroup_id_z 0
		.amdhsa_system_sgpr_workgroup_info 0
		.amdhsa_system_vgpr_workitem_id 0
		.amdhsa_next_free_vgpr 1
		.amdhsa_next_free_sgpr 1
		.amdhsa_reserve_vcc 0
		.amdhsa_float_round_mode_32 0
		.amdhsa_float_round_mode_16_64 0
		.amdhsa_float_denorm_mode_32 3
		.amdhsa_float_denorm_mode_16_64 3
		.amdhsa_dx10_clamp 1
		.amdhsa_ieee_mode 1
		.amdhsa_fp16_overflow 0
		.amdhsa_workgroup_processor_mode 1
		.amdhsa_memory_ordered 1
		.amdhsa_forward_progress 0
		.amdhsa_shared_vgpr_count 0
		.amdhsa_exception_fp_ieee_invalid_op 0
		.amdhsa_exception_fp_denorm_src 0
		.amdhsa_exception_fp_ieee_div_zero 0
		.amdhsa_exception_fp_ieee_overflow 0
		.amdhsa_exception_fp_ieee_underflow 0
		.amdhsa_exception_fp_ieee_inexact 0
		.amdhsa_exception_int_div_zero 0
	.end_amdhsa_kernel
	.section	.text._ZN7rocprim17ROCPRIM_400000_NS6detail17trampoline_kernelINS0_14default_configENS1_25partition_config_selectorILNS1_17partition_subalgoE8ElNS0_10empty_typeEbEEZZNS1_14partition_implILS5_8ELb0ES3_jPlPS6_PKS6_NS0_5tupleIJS9_S6_EEENSD_IJSA_SA_EEENS0_18inequality_wrapperIZN2at6native12_GLOBAL__N_124unique_dim_cuda_templateIlEESt5tupleIJNSH_6TensorESM_SM_EERKSM_lbbbEUlllE0_EEPmJS6_EEE10hipError_tPvRmT3_T4_T5_T6_T7_T9_mT8_P12ihipStream_tbDpT10_ENKUlT_T0_E_clISt17integral_constantIbLb0EES1B_IbLb1EEEEDaS17_S18_EUlS17_E_NS1_11comp_targetILNS1_3genE8ELNS1_11target_archE1030ELNS1_3gpuE2ELNS1_3repE0EEENS1_30default_config_static_selectorELNS0_4arch9wavefront6targetE0EEEvT1_,"axG",@progbits,_ZN7rocprim17ROCPRIM_400000_NS6detail17trampoline_kernelINS0_14default_configENS1_25partition_config_selectorILNS1_17partition_subalgoE8ElNS0_10empty_typeEbEEZZNS1_14partition_implILS5_8ELb0ES3_jPlPS6_PKS6_NS0_5tupleIJS9_S6_EEENSD_IJSA_SA_EEENS0_18inequality_wrapperIZN2at6native12_GLOBAL__N_124unique_dim_cuda_templateIlEESt5tupleIJNSH_6TensorESM_SM_EERKSM_lbbbEUlllE0_EEPmJS6_EEE10hipError_tPvRmT3_T4_T5_T6_T7_T9_mT8_P12ihipStream_tbDpT10_ENKUlT_T0_E_clISt17integral_constantIbLb0EES1B_IbLb1EEEEDaS17_S18_EUlS17_E_NS1_11comp_targetILNS1_3genE8ELNS1_11target_archE1030ELNS1_3gpuE2ELNS1_3repE0EEENS1_30default_config_static_selectorELNS0_4arch9wavefront6targetE0EEEvT1_,comdat
.Lfunc_end594:
	.size	_ZN7rocprim17ROCPRIM_400000_NS6detail17trampoline_kernelINS0_14default_configENS1_25partition_config_selectorILNS1_17partition_subalgoE8ElNS0_10empty_typeEbEEZZNS1_14partition_implILS5_8ELb0ES3_jPlPS6_PKS6_NS0_5tupleIJS9_S6_EEENSD_IJSA_SA_EEENS0_18inequality_wrapperIZN2at6native12_GLOBAL__N_124unique_dim_cuda_templateIlEESt5tupleIJNSH_6TensorESM_SM_EERKSM_lbbbEUlllE0_EEPmJS6_EEE10hipError_tPvRmT3_T4_T5_T6_T7_T9_mT8_P12ihipStream_tbDpT10_ENKUlT_T0_E_clISt17integral_constantIbLb0EES1B_IbLb1EEEEDaS17_S18_EUlS17_E_NS1_11comp_targetILNS1_3genE8ELNS1_11target_archE1030ELNS1_3gpuE2ELNS1_3repE0EEENS1_30default_config_static_selectorELNS0_4arch9wavefront6targetE0EEEvT1_, .Lfunc_end594-_ZN7rocprim17ROCPRIM_400000_NS6detail17trampoline_kernelINS0_14default_configENS1_25partition_config_selectorILNS1_17partition_subalgoE8ElNS0_10empty_typeEbEEZZNS1_14partition_implILS5_8ELb0ES3_jPlPS6_PKS6_NS0_5tupleIJS9_S6_EEENSD_IJSA_SA_EEENS0_18inequality_wrapperIZN2at6native12_GLOBAL__N_124unique_dim_cuda_templateIlEESt5tupleIJNSH_6TensorESM_SM_EERKSM_lbbbEUlllE0_EEPmJS6_EEE10hipError_tPvRmT3_T4_T5_T6_T7_T9_mT8_P12ihipStream_tbDpT10_ENKUlT_T0_E_clISt17integral_constantIbLb0EES1B_IbLb1EEEEDaS17_S18_EUlS17_E_NS1_11comp_targetILNS1_3genE8ELNS1_11target_archE1030ELNS1_3gpuE2ELNS1_3repE0EEENS1_30default_config_static_selectorELNS0_4arch9wavefront6targetE0EEEvT1_
                                        ; -- End function
	.section	.AMDGPU.csdata,"",@progbits
; Kernel info:
; codeLenInByte = 0
; NumSgprs: 0
; NumVgprs: 0
; ScratchSize: 0
; MemoryBound: 0
; FloatMode: 240
; IeeeMode: 1
; LDSByteSize: 0 bytes/workgroup (compile time only)
; SGPRBlocks: 0
; VGPRBlocks: 0
; NumSGPRsForWavesPerEU: 1
; NumVGPRsForWavesPerEU: 1
; Occupancy: 16
; WaveLimiterHint : 0
; COMPUTE_PGM_RSRC2:SCRATCH_EN: 0
; COMPUTE_PGM_RSRC2:USER_SGPR: 15
; COMPUTE_PGM_RSRC2:TRAP_HANDLER: 0
; COMPUTE_PGM_RSRC2:TGID_X_EN: 1
; COMPUTE_PGM_RSRC2:TGID_Y_EN: 0
; COMPUTE_PGM_RSRC2:TGID_Z_EN: 0
; COMPUTE_PGM_RSRC2:TIDIG_COMP_CNT: 0
	.section	.text._ZN7rocprim17ROCPRIM_400000_NS6detail17trampoline_kernelINS0_14default_configENS1_25partition_config_selectorILNS1_17partition_subalgoE9EllbEEZZNS1_14partition_implILS5_9ELb0ES3_jPlS8_PNS0_10empty_typeENS0_5tupleIJS8_S9_EEENSB_IJS8_SA_EEENS0_18inequality_wrapperIZN2at6native12_GLOBAL__N_124unique_dim_cuda_templateIlEESt5tupleIJNSF_6TensorESK_SK_EERKSK_lbbbEUlllE0_EEPmJS9_EEE10hipError_tPvRmT3_T4_T5_T6_T7_T9_mT8_P12ihipStream_tbDpT10_ENKUlT_T0_E_clISt17integral_constantIbLb0EES1A_EEDaS15_S16_EUlS15_E_NS1_11comp_targetILNS1_3genE0ELNS1_11target_archE4294967295ELNS1_3gpuE0ELNS1_3repE0EEENS1_30default_config_static_selectorELNS0_4arch9wavefront6targetE0EEEvT1_,"axG",@progbits,_ZN7rocprim17ROCPRIM_400000_NS6detail17trampoline_kernelINS0_14default_configENS1_25partition_config_selectorILNS1_17partition_subalgoE9EllbEEZZNS1_14partition_implILS5_9ELb0ES3_jPlS8_PNS0_10empty_typeENS0_5tupleIJS8_S9_EEENSB_IJS8_SA_EEENS0_18inequality_wrapperIZN2at6native12_GLOBAL__N_124unique_dim_cuda_templateIlEESt5tupleIJNSF_6TensorESK_SK_EERKSK_lbbbEUlllE0_EEPmJS9_EEE10hipError_tPvRmT3_T4_T5_T6_T7_T9_mT8_P12ihipStream_tbDpT10_ENKUlT_T0_E_clISt17integral_constantIbLb0EES1A_EEDaS15_S16_EUlS15_E_NS1_11comp_targetILNS1_3genE0ELNS1_11target_archE4294967295ELNS1_3gpuE0ELNS1_3repE0EEENS1_30default_config_static_selectorELNS0_4arch9wavefront6targetE0EEEvT1_,comdat
	.globl	_ZN7rocprim17ROCPRIM_400000_NS6detail17trampoline_kernelINS0_14default_configENS1_25partition_config_selectorILNS1_17partition_subalgoE9EllbEEZZNS1_14partition_implILS5_9ELb0ES3_jPlS8_PNS0_10empty_typeENS0_5tupleIJS8_S9_EEENSB_IJS8_SA_EEENS0_18inequality_wrapperIZN2at6native12_GLOBAL__N_124unique_dim_cuda_templateIlEESt5tupleIJNSF_6TensorESK_SK_EERKSK_lbbbEUlllE0_EEPmJS9_EEE10hipError_tPvRmT3_T4_T5_T6_T7_T9_mT8_P12ihipStream_tbDpT10_ENKUlT_T0_E_clISt17integral_constantIbLb0EES1A_EEDaS15_S16_EUlS15_E_NS1_11comp_targetILNS1_3genE0ELNS1_11target_archE4294967295ELNS1_3gpuE0ELNS1_3repE0EEENS1_30default_config_static_selectorELNS0_4arch9wavefront6targetE0EEEvT1_ ; -- Begin function _ZN7rocprim17ROCPRIM_400000_NS6detail17trampoline_kernelINS0_14default_configENS1_25partition_config_selectorILNS1_17partition_subalgoE9EllbEEZZNS1_14partition_implILS5_9ELb0ES3_jPlS8_PNS0_10empty_typeENS0_5tupleIJS8_S9_EEENSB_IJS8_SA_EEENS0_18inequality_wrapperIZN2at6native12_GLOBAL__N_124unique_dim_cuda_templateIlEESt5tupleIJNSF_6TensorESK_SK_EERKSK_lbbbEUlllE0_EEPmJS9_EEE10hipError_tPvRmT3_T4_T5_T6_T7_T9_mT8_P12ihipStream_tbDpT10_ENKUlT_T0_E_clISt17integral_constantIbLb0EES1A_EEDaS15_S16_EUlS15_E_NS1_11comp_targetILNS1_3genE0ELNS1_11target_archE4294967295ELNS1_3gpuE0ELNS1_3repE0EEENS1_30default_config_static_selectorELNS0_4arch9wavefront6targetE0EEEvT1_
	.p2align	8
	.type	_ZN7rocprim17ROCPRIM_400000_NS6detail17trampoline_kernelINS0_14default_configENS1_25partition_config_selectorILNS1_17partition_subalgoE9EllbEEZZNS1_14partition_implILS5_9ELb0ES3_jPlS8_PNS0_10empty_typeENS0_5tupleIJS8_S9_EEENSB_IJS8_SA_EEENS0_18inequality_wrapperIZN2at6native12_GLOBAL__N_124unique_dim_cuda_templateIlEESt5tupleIJNSF_6TensorESK_SK_EERKSK_lbbbEUlllE0_EEPmJS9_EEE10hipError_tPvRmT3_T4_T5_T6_T7_T9_mT8_P12ihipStream_tbDpT10_ENKUlT_T0_E_clISt17integral_constantIbLb0EES1A_EEDaS15_S16_EUlS15_E_NS1_11comp_targetILNS1_3genE0ELNS1_11target_archE4294967295ELNS1_3gpuE0ELNS1_3repE0EEENS1_30default_config_static_selectorELNS0_4arch9wavefront6targetE0EEEvT1_,@function
_ZN7rocprim17ROCPRIM_400000_NS6detail17trampoline_kernelINS0_14default_configENS1_25partition_config_selectorILNS1_17partition_subalgoE9EllbEEZZNS1_14partition_implILS5_9ELb0ES3_jPlS8_PNS0_10empty_typeENS0_5tupleIJS8_S9_EEENSB_IJS8_SA_EEENS0_18inequality_wrapperIZN2at6native12_GLOBAL__N_124unique_dim_cuda_templateIlEESt5tupleIJNSF_6TensorESK_SK_EERKSK_lbbbEUlllE0_EEPmJS9_EEE10hipError_tPvRmT3_T4_T5_T6_T7_T9_mT8_P12ihipStream_tbDpT10_ENKUlT_T0_E_clISt17integral_constantIbLb0EES1A_EEDaS15_S16_EUlS15_E_NS1_11comp_targetILNS1_3genE0ELNS1_11target_archE4294967295ELNS1_3gpuE0ELNS1_3repE0EEENS1_30default_config_static_selectorELNS0_4arch9wavefront6targetE0EEEvT1_: ; @_ZN7rocprim17ROCPRIM_400000_NS6detail17trampoline_kernelINS0_14default_configENS1_25partition_config_selectorILNS1_17partition_subalgoE9EllbEEZZNS1_14partition_implILS5_9ELb0ES3_jPlS8_PNS0_10empty_typeENS0_5tupleIJS8_S9_EEENSB_IJS8_SA_EEENS0_18inequality_wrapperIZN2at6native12_GLOBAL__N_124unique_dim_cuda_templateIlEESt5tupleIJNSF_6TensorESK_SK_EERKSK_lbbbEUlllE0_EEPmJS9_EEE10hipError_tPvRmT3_T4_T5_T6_T7_T9_mT8_P12ihipStream_tbDpT10_ENKUlT_T0_E_clISt17integral_constantIbLb0EES1A_EEDaS15_S16_EUlS15_E_NS1_11comp_targetILNS1_3genE0ELNS1_11target_archE4294967295ELNS1_3gpuE0ELNS1_3repE0EEENS1_30default_config_static_selectorELNS0_4arch9wavefront6targetE0EEEvT1_
; %bb.0:
	.section	.rodata,"a",@progbits
	.p2align	6, 0x0
	.amdhsa_kernel _ZN7rocprim17ROCPRIM_400000_NS6detail17trampoline_kernelINS0_14default_configENS1_25partition_config_selectorILNS1_17partition_subalgoE9EllbEEZZNS1_14partition_implILS5_9ELb0ES3_jPlS8_PNS0_10empty_typeENS0_5tupleIJS8_S9_EEENSB_IJS8_SA_EEENS0_18inequality_wrapperIZN2at6native12_GLOBAL__N_124unique_dim_cuda_templateIlEESt5tupleIJNSF_6TensorESK_SK_EERKSK_lbbbEUlllE0_EEPmJS9_EEE10hipError_tPvRmT3_T4_T5_T6_T7_T9_mT8_P12ihipStream_tbDpT10_ENKUlT_T0_E_clISt17integral_constantIbLb0EES1A_EEDaS15_S16_EUlS15_E_NS1_11comp_targetILNS1_3genE0ELNS1_11target_archE4294967295ELNS1_3gpuE0ELNS1_3repE0EEENS1_30default_config_static_selectorELNS0_4arch9wavefront6targetE0EEEvT1_
		.amdhsa_group_segment_fixed_size 0
		.amdhsa_private_segment_fixed_size 0
		.amdhsa_kernarg_size 120
		.amdhsa_user_sgpr_count 15
		.amdhsa_user_sgpr_dispatch_ptr 0
		.amdhsa_user_sgpr_queue_ptr 0
		.amdhsa_user_sgpr_kernarg_segment_ptr 1
		.amdhsa_user_sgpr_dispatch_id 0
		.amdhsa_user_sgpr_private_segment_size 0
		.amdhsa_wavefront_size32 1
		.amdhsa_uses_dynamic_stack 0
		.amdhsa_enable_private_segment 0
		.amdhsa_system_sgpr_workgroup_id_x 1
		.amdhsa_system_sgpr_workgroup_id_y 0
		.amdhsa_system_sgpr_workgroup_id_z 0
		.amdhsa_system_sgpr_workgroup_info 0
		.amdhsa_system_vgpr_workitem_id 0
		.amdhsa_next_free_vgpr 1
		.amdhsa_next_free_sgpr 1
		.amdhsa_reserve_vcc 0
		.amdhsa_float_round_mode_32 0
		.amdhsa_float_round_mode_16_64 0
		.amdhsa_float_denorm_mode_32 3
		.amdhsa_float_denorm_mode_16_64 3
		.amdhsa_dx10_clamp 1
		.amdhsa_ieee_mode 1
		.amdhsa_fp16_overflow 0
		.amdhsa_workgroup_processor_mode 1
		.amdhsa_memory_ordered 1
		.amdhsa_forward_progress 0
		.amdhsa_shared_vgpr_count 0
		.amdhsa_exception_fp_ieee_invalid_op 0
		.amdhsa_exception_fp_denorm_src 0
		.amdhsa_exception_fp_ieee_div_zero 0
		.amdhsa_exception_fp_ieee_overflow 0
		.amdhsa_exception_fp_ieee_underflow 0
		.amdhsa_exception_fp_ieee_inexact 0
		.amdhsa_exception_int_div_zero 0
	.end_amdhsa_kernel
	.section	.text._ZN7rocprim17ROCPRIM_400000_NS6detail17trampoline_kernelINS0_14default_configENS1_25partition_config_selectorILNS1_17partition_subalgoE9EllbEEZZNS1_14partition_implILS5_9ELb0ES3_jPlS8_PNS0_10empty_typeENS0_5tupleIJS8_S9_EEENSB_IJS8_SA_EEENS0_18inequality_wrapperIZN2at6native12_GLOBAL__N_124unique_dim_cuda_templateIlEESt5tupleIJNSF_6TensorESK_SK_EERKSK_lbbbEUlllE0_EEPmJS9_EEE10hipError_tPvRmT3_T4_T5_T6_T7_T9_mT8_P12ihipStream_tbDpT10_ENKUlT_T0_E_clISt17integral_constantIbLb0EES1A_EEDaS15_S16_EUlS15_E_NS1_11comp_targetILNS1_3genE0ELNS1_11target_archE4294967295ELNS1_3gpuE0ELNS1_3repE0EEENS1_30default_config_static_selectorELNS0_4arch9wavefront6targetE0EEEvT1_,"axG",@progbits,_ZN7rocprim17ROCPRIM_400000_NS6detail17trampoline_kernelINS0_14default_configENS1_25partition_config_selectorILNS1_17partition_subalgoE9EllbEEZZNS1_14partition_implILS5_9ELb0ES3_jPlS8_PNS0_10empty_typeENS0_5tupleIJS8_S9_EEENSB_IJS8_SA_EEENS0_18inequality_wrapperIZN2at6native12_GLOBAL__N_124unique_dim_cuda_templateIlEESt5tupleIJNSF_6TensorESK_SK_EERKSK_lbbbEUlllE0_EEPmJS9_EEE10hipError_tPvRmT3_T4_T5_T6_T7_T9_mT8_P12ihipStream_tbDpT10_ENKUlT_T0_E_clISt17integral_constantIbLb0EES1A_EEDaS15_S16_EUlS15_E_NS1_11comp_targetILNS1_3genE0ELNS1_11target_archE4294967295ELNS1_3gpuE0ELNS1_3repE0EEENS1_30default_config_static_selectorELNS0_4arch9wavefront6targetE0EEEvT1_,comdat
.Lfunc_end595:
	.size	_ZN7rocprim17ROCPRIM_400000_NS6detail17trampoline_kernelINS0_14default_configENS1_25partition_config_selectorILNS1_17partition_subalgoE9EllbEEZZNS1_14partition_implILS5_9ELb0ES3_jPlS8_PNS0_10empty_typeENS0_5tupleIJS8_S9_EEENSB_IJS8_SA_EEENS0_18inequality_wrapperIZN2at6native12_GLOBAL__N_124unique_dim_cuda_templateIlEESt5tupleIJNSF_6TensorESK_SK_EERKSK_lbbbEUlllE0_EEPmJS9_EEE10hipError_tPvRmT3_T4_T5_T6_T7_T9_mT8_P12ihipStream_tbDpT10_ENKUlT_T0_E_clISt17integral_constantIbLb0EES1A_EEDaS15_S16_EUlS15_E_NS1_11comp_targetILNS1_3genE0ELNS1_11target_archE4294967295ELNS1_3gpuE0ELNS1_3repE0EEENS1_30default_config_static_selectorELNS0_4arch9wavefront6targetE0EEEvT1_, .Lfunc_end595-_ZN7rocprim17ROCPRIM_400000_NS6detail17trampoline_kernelINS0_14default_configENS1_25partition_config_selectorILNS1_17partition_subalgoE9EllbEEZZNS1_14partition_implILS5_9ELb0ES3_jPlS8_PNS0_10empty_typeENS0_5tupleIJS8_S9_EEENSB_IJS8_SA_EEENS0_18inequality_wrapperIZN2at6native12_GLOBAL__N_124unique_dim_cuda_templateIlEESt5tupleIJNSF_6TensorESK_SK_EERKSK_lbbbEUlllE0_EEPmJS9_EEE10hipError_tPvRmT3_T4_T5_T6_T7_T9_mT8_P12ihipStream_tbDpT10_ENKUlT_T0_E_clISt17integral_constantIbLb0EES1A_EEDaS15_S16_EUlS15_E_NS1_11comp_targetILNS1_3genE0ELNS1_11target_archE4294967295ELNS1_3gpuE0ELNS1_3repE0EEENS1_30default_config_static_selectorELNS0_4arch9wavefront6targetE0EEEvT1_
                                        ; -- End function
	.section	.AMDGPU.csdata,"",@progbits
; Kernel info:
; codeLenInByte = 0
; NumSgprs: 0
; NumVgprs: 0
; ScratchSize: 0
; MemoryBound: 0
; FloatMode: 240
; IeeeMode: 1
; LDSByteSize: 0 bytes/workgroup (compile time only)
; SGPRBlocks: 0
; VGPRBlocks: 0
; NumSGPRsForWavesPerEU: 1
; NumVGPRsForWavesPerEU: 1
; Occupancy: 16
; WaveLimiterHint : 0
; COMPUTE_PGM_RSRC2:SCRATCH_EN: 0
; COMPUTE_PGM_RSRC2:USER_SGPR: 15
; COMPUTE_PGM_RSRC2:TRAP_HANDLER: 0
; COMPUTE_PGM_RSRC2:TGID_X_EN: 1
; COMPUTE_PGM_RSRC2:TGID_Y_EN: 0
; COMPUTE_PGM_RSRC2:TGID_Z_EN: 0
; COMPUTE_PGM_RSRC2:TIDIG_COMP_CNT: 0
	.section	.text._ZN7rocprim17ROCPRIM_400000_NS6detail17trampoline_kernelINS0_14default_configENS1_25partition_config_selectorILNS1_17partition_subalgoE9EllbEEZZNS1_14partition_implILS5_9ELb0ES3_jPlS8_PNS0_10empty_typeENS0_5tupleIJS8_S9_EEENSB_IJS8_SA_EEENS0_18inequality_wrapperIZN2at6native12_GLOBAL__N_124unique_dim_cuda_templateIlEESt5tupleIJNSF_6TensorESK_SK_EERKSK_lbbbEUlllE0_EEPmJS9_EEE10hipError_tPvRmT3_T4_T5_T6_T7_T9_mT8_P12ihipStream_tbDpT10_ENKUlT_T0_E_clISt17integral_constantIbLb0EES1A_EEDaS15_S16_EUlS15_E_NS1_11comp_targetILNS1_3genE5ELNS1_11target_archE942ELNS1_3gpuE9ELNS1_3repE0EEENS1_30default_config_static_selectorELNS0_4arch9wavefront6targetE0EEEvT1_,"axG",@progbits,_ZN7rocprim17ROCPRIM_400000_NS6detail17trampoline_kernelINS0_14default_configENS1_25partition_config_selectorILNS1_17partition_subalgoE9EllbEEZZNS1_14partition_implILS5_9ELb0ES3_jPlS8_PNS0_10empty_typeENS0_5tupleIJS8_S9_EEENSB_IJS8_SA_EEENS0_18inequality_wrapperIZN2at6native12_GLOBAL__N_124unique_dim_cuda_templateIlEESt5tupleIJNSF_6TensorESK_SK_EERKSK_lbbbEUlllE0_EEPmJS9_EEE10hipError_tPvRmT3_T4_T5_T6_T7_T9_mT8_P12ihipStream_tbDpT10_ENKUlT_T0_E_clISt17integral_constantIbLb0EES1A_EEDaS15_S16_EUlS15_E_NS1_11comp_targetILNS1_3genE5ELNS1_11target_archE942ELNS1_3gpuE9ELNS1_3repE0EEENS1_30default_config_static_selectorELNS0_4arch9wavefront6targetE0EEEvT1_,comdat
	.globl	_ZN7rocprim17ROCPRIM_400000_NS6detail17trampoline_kernelINS0_14default_configENS1_25partition_config_selectorILNS1_17partition_subalgoE9EllbEEZZNS1_14partition_implILS5_9ELb0ES3_jPlS8_PNS0_10empty_typeENS0_5tupleIJS8_S9_EEENSB_IJS8_SA_EEENS0_18inequality_wrapperIZN2at6native12_GLOBAL__N_124unique_dim_cuda_templateIlEESt5tupleIJNSF_6TensorESK_SK_EERKSK_lbbbEUlllE0_EEPmJS9_EEE10hipError_tPvRmT3_T4_T5_T6_T7_T9_mT8_P12ihipStream_tbDpT10_ENKUlT_T0_E_clISt17integral_constantIbLb0EES1A_EEDaS15_S16_EUlS15_E_NS1_11comp_targetILNS1_3genE5ELNS1_11target_archE942ELNS1_3gpuE9ELNS1_3repE0EEENS1_30default_config_static_selectorELNS0_4arch9wavefront6targetE0EEEvT1_ ; -- Begin function _ZN7rocprim17ROCPRIM_400000_NS6detail17trampoline_kernelINS0_14default_configENS1_25partition_config_selectorILNS1_17partition_subalgoE9EllbEEZZNS1_14partition_implILS5_9ELb0ES3_jPlS8_PNS0_10empty_typeENS0_5tupleIJS8_S9_EEENSB_IJS8_SA_EEENS0_18inequality_wrapperIZN2at6native12_GLOBAL__N_124unique_dim_cuda_templateIlEESt5tupleIJNSF_6TensorESK_SK_EERKSK_lbbbEUlllE0_EEPmJS9_EEE10hipError_tPvRmT3_T4_T5_T6_T7_T9_mT8_P12ihipStream_tbDpT10_ENKUlT_T0_E_clISt17integral_constantIbLb0EES1A_EEDaS15_S16_EUlS15_E_NS1_11comp_targetILNS1_3genE5ELNS1_11target_archE942ELNS1_3gpuE9ELNS1_3repE0EEENS1_30default_config_static_selectorELNS0_4arch9wavefront6targetE0EEEvT1_
	.p2align	8
	.type	_ZN7rocprim17ROCPRIM_400000_NS6detail17trampoline_kernelINS0_14default_configENS1_25partition_config_selectorILNS1_17partition_subalgoE9EllbEEZZNS1_14partition_implILS5_9ELb0ES3_jPlS8_PNS0_10empty_typeENS0_5tupleIJS8_S9_EEENSB_IJS8_SA_EEENS0_18inequality_wrapperIZN2at6native12_GLOBAL__N_124unique_dim_cuda_templateIlEESt5tupleIJNSF_6TensorESK_SK_EERKSK_lbbbEUlllE0_EEPmJS9_EEE10hipError_tPvRmT3_T4_T5_T6_T7_T9_mT8_P12ihipStream_tbDpT10_ENKUlT_T0_E_clISt17integral_constantIbLb0EES1A_EEDaS15_S16_EUlS15_E_NS1_11comp_targetILNS1_3genE5ELNS1_11target_archE942ELNS1_3gpuE9ELNS1_3repE0EEENS1_30default_config_static_selectorELNS0_4arch9wavefront6targetE0EEEvT1_,@function
_ZN7rocprim17ROCPRIM_400000_NS6detail17trampoline_kernelINS0_14default_configENS1_25partition_config_selectorILNS1_17partition_subalgoE9EllbEEZZNS1_14partition_implILS5_9ELb0ES3_jPlS8_PNS0_10empty_typeENS0_5tupleIJS8_S9_EEENSB_IJS8_SA_EEENS0_18inequality_wrapperIZN2at6native12_GLOBAL__N_124unique_dim_cuda_templateIlEESt5tupleIJNSF_6TensorESK_SK_EERKSK_lbbbEUlllE0_EEPmJS9_EEE10hipError_tPvRmT3_T4_T5_T6_T7_T9_mT8_P12ihipStream_tbDpT10_ENKUlT_T0_E_clISt17integral_constantIbLb0EES1A_EEDaS15_S16_EUlS15_E_NS1_11comp_targetILNS1_3genE5ELNS1_11target_archE942ELNS1_3gpuE9ELNS1_3repE0EEENS1_30default_config_static_selectorELNS0_4arch9wavefront6targetE0EEEvT1_: ; @_ZN7rocprim17ROCPRIM_400000_NS6detail17trampoline_kernelINS0_14default_configENS1_25partition_config_selectorILNS1_17partition_subalgoE9EllbEEZZNS1_14partition_implILS5_9ELb0ES3_jPlS8_PNS0_10empty_typeENS0_5tupleIJS8_S9_EEENSB_IJS8_SA_EEENS0_18inequality_wrapperIZN2at6native12_GLOBAL__N_124unique_dim_cuda_templateIlEESt5tupleIJNSF_6TensorESK_SK_EERKSK_lbbbEUlllE0_EEPmJS9_EEE10hipError_tPvRmT3_T4_T5_T6_T7_T9_mT8_P12ihipStream_tbDpT10_ENKUlT_T0_E_clISt17integral_constantIbLb0EES1A_EEDaS15_S16_EUlS15_E_NS1_11comp_targetILNS1_3genE5ELNS1_11target_archE942ELNS1_3gpuE9ELNS1_3repE0EEENS1_30default_config_static_selectorELNS0_4arch9wavefront6targetE0EEEvT1_
; %bb.0:
	.section	.rodata,"a",@progbits
	.p2align	6, 0x0
	.amdhsa_kernel _ZN7rocprim17ROCPRIM_400000_NS6detail17trampoline_kernelINS0_14default_configENS1_25partition_config_selectorILNS1_17partition_subalgoE9EllbEEZZNS1_14partition_implILS5_9ELb0ES3_jPlS8_PNS0_10empty_typeENS0_5tupleIJS8_S9_EEENSB_IJS8_SA_EEENS0_18inequality_wrapperIZN2at6native12_GLOBAL__N_124unique_dim_cuda_templateIlEESt5tupleIJNSF_6TensorESK_SK_EERKSK_lbbbEUlllE0_EEPmJS9_EEE10hipError_tPvRmT3_T4_T5_T6_T7_T9_mT8_P12ihipStream_tbDpT10_ENKUlT_T0_E_clISt17integral_constantIbLb0EES1A_EEDaS15_S16_EUlS15_E_NS1_11comp_targetILNS1_3genE5ELNS1_11target_archE942ELNS1_3gpuE9ELNS1_3repE0EEENS1_30default_config_static_selectorELNS0_4arch9wavefront6targetE0EEEvT1_
		.amdhsa_group_segment_fixed_size 0
		.amdhsa_private_segment_fixed_size 0
		.amdhsa_kernarg_size 120
		.amdhsa_user_sgpr_count 15
		.amdhsa_user_sgpr_dispatch_ptr 0
		.amdhsa_user_sgpr_queue_ptr 0
		.amdhsa_user_sgpr_kernarg_segment_ptr 1
		.amdhsa_user_sgpr_dispatch_id 0
		.amdhsa_user_sgpr_private_segment_size 0
		.amdhsa_wavefront_size32 1
		.amdhsa_uses_dynamic_stack 0
		.amdhsa_enable_private_segment 0
		.amdhsa_system_sgpr_workgroup_id_x 1
		.amdhsa_system_sgpr_workgroup_id_y 0
		.amdhsa_system_sgpr_workgroup_id_z 0
		.amdhsa_system_sgpr_workgroup_info 0
		.amdhsa_system_vgpr_workitem_id 0
		.amdhsa_next_free_vgpr 1
		.amdhsa_next_free_sgpr 1
		.amdhsa_reserve_vcc 0
		.amdhsa_float_round_mode_32 0
		.amdhsa_float_round_mode_16_64 0
		.amdhsa_float_denorm_mode_32 3
		.amdhsa_float_denorm_mode_16_64 3
		.amdhsa_dx10_clamp 1
		.amdhsa_ieee_mode 1
		.amdhsa_fp16_overflow 0
		.amdhsa_workgroup_processor_mode 1
		.amdhsa_memory_ordered 1
		.amdhsa_forward_progress 0
		.amdhsa_shared_vgpr_count 0
		.amdhsa_exception_fp_ieee_invalid_op 0
		.amdhsa_exception_fp_denorm_src 0
		.amdhsa_exception_fp_ieee_div_zero 0
		.amdhsa_exception_fp_ieee_overflow 0
		.amdhsa_exception_fp_ieee_underflow 0
		.amdhsa_exception_fp_ieee_inexact 0
		.amdhsa_exception_int_div_zero 0
	.end_amdhsa_kernel
	.section	.text._ZN7rocprim17ROCPRIM_400000_NS6detail17trampoline_kernelINS0_14default_configENS1_25partition_config_selectorILNS1_17partition_subalgoE9EllbEEZZNS1_14partition_implILS5_9ELb0ES3_jPlS8_PNS0_10empty_typeENS0_5tupleIJS8_S9_EEENSB_IJS8_SA_EEENS0_18inequality_wrapperIZN2at6native12_GLOBAL__N_124unique_dim_cuda_templateIlEESt5tupleIJNSF_6TensorESK_SK_EERKSK_lbbbEUlllE0_EEPmJS9_EEE10hipError_tPvRmT3_T4_T5_T6_T7_T9_mT8_P12ihipStream_tbDpT10_ENKUlT_T0_E_clISt17integral_constantIbLb0EES1A_EEDaS15_S16_EUlS15_E_NS1_11comp_targetILNS1_3genE5ELNS1_11target_archE942ELNS1_3gpuE9ELNS1_3repE0EEENS1_30default_config_static_selectorELNS0_4arch9wavefront6targetE0EEEvT1_,"axG",@progbits,_ZN7rocprim17ROCPRIM_400000_NS6detail17trampoline_kernelINS0_14default_configENS1_25partition_config_selectorILNS1_17partition_subalgoE9EllbEEZZNS1_14partition_implILS5_9ELb0ES3_jPlS8_PNS0_10empty_typeENS0_5tupleIJS8_S9_EEENSB_IJS8_SA_EEENS0_18inequality_wrapperIZN2at6native12_GLOBAL__N_124unique_dim_cuda_templateIlEESt5tupleIJNSF_6TensorESK_SK_EERKSK_lbbbEUlllE0_EEPmJS9_EEE10hipError_tPvRmT3_T4_T5_T6_T7_T9_mT8_P12ihipStream_tbDpT10_ENKUlT_T0_E_clISt17integral_constantIbLb0EES1A_EEDaS15_S16_EUlS15_E_NS1_11comp_targetILNS1_3genE5ELNS1_11target_archE942ELNS1_3gpuE9ELNS1_3repE0EEENS1_30default_config_static_selectorELNS0_4arch9wavefront6targetE0EEEvT1_,comdat
.Lfunc_end596:
	.size	_ZN7rocprim17ROCPRIM_400000_NS6detail17trampoline_kernelINS0_14default_configENS1_25partition_config_selectorILNS1_17partition_subalgoE9EllbEEZZNS1_14partition_implILS5_9ELb0ES3_jPlS8_PNS0_10empty_typeENS0_5tupleIJS8_S9_EEENSB_IJS8_SA_EEENS0_18inequality_wrapperIZN2at6native12_GLOBAL__N_124unique_dim_cuda_templateIlEESt5tupleIJNSF_6TensorESK_SK_EERKSK_lbbbEUlllE0_EEPmJS9_EEE10hipError_tPvRmT3_T4_T5_T6_T7_T9_mT8_P12ihipStream_tbDpT10_ENKUlT_T0_E_clISt17integral_constantIbLb0EES1A_EEDaS15_S16_EUlS15_E_NS1_11comp_targetILNS1_3genE5ELNS1_11target_archE942ELNS1_3gpuE9ELNS1_3repE0EEENS1_30default_config_static_selectorELNS0_4arch9wavefront6targetE0EEEvT1_, .Lfunc_end596-_ZN7rocprim17ROCPRIM_400000_NS6detail17trampoline_kernelINS0_14default_configENS1_25partition_config_selectorILNS1_17partition_subalgoE9EllbEEZZNS1_14partition_implILS5_9ELb0ES3_jPlS8_PNS0_10empty_typeENS0_5tupleIJS8_S9_EEENSB_IJS8_SA_EEENS0_18inequality_wrapperIZN2at6native12_GLOBAL__N_124unique_dim_cuda_templateIlEESt5tupleIJNSF_6TensorESK_SK_EERKSK_lbbbEUlllE0_EEPmJS9_EEE10hipError_tPvRmT3_T4_T5_T6_T7_T9_mT8_P12ihipStream_tbDpT10_ENKUlT_T0_E_clISt17integral_constantIbLb0EES1A_EEDaS15_S16_EUlS15_E_NS1_11comp_targetILNS1_3genE5ELNS1_11target_archE942ELNS1_3gpuE9ELNS1_3repE0EEENS1_30default_config_static_selectorELNS0_4arch9wavefront6targetE0EEEvT1_
                                        ; -- End function
	.section	.AMDGPU.csdata,"",@progbits
; Kernel info:
; codeLenInByte = 0
; NumSgprs: 0
; NumVgprs: 0
; ScratchSize: 0
; MemoryBound: 0
; FloatMode: 240
; IeeeMode: 1
; LDSByteSize: 0 bytes/workgroup (compile time only)
; SGPRBlocks: 0
; VGPRBlocks: 0
; NumSGPRsForWavesPerEU: 1
; NumVGPRsForWavesPerEU: 1
; Occupancy: 16
; WaveLimiterHint : 0
; COMPUTE_PGM_RSRC2:SCRATCH_EN: 0
; COMPUTE_PGM_RSRC2:USER_SGPR: 15
; COMPUTE_PGM_RSRC2:TRAP_HANDLER: 0
; COMPUTE_PGM_RSRC2:TGID_X_EN: 1
; COMPUTE_PGM_RSRC2:TGID_Y_EN: 0
; COMPUTE_PGM_RSRC2:TGID_Z_EN: 0
; COMPUTE_PGM_RSRC2:TIDIG_COMP_CNT: 0
	.section	.text._ZN7rocprim17ROCPRIM_400000_NS6detail17trampoline_kernelINS0_14default_configENS1_25partition_config_selectorILNS1_17partition_subalgoE9EllbEEZZNS1_14partition_implILS5_9ELb0ES3_jPlS8_PNS0_10empty_typeENS0_5tupleIJS8_S9_EEENSB_IJS8_SA_EEENS0_18inequality_wrapperIZN2at6native12_GLOBAL__N_124unique_dim_cuda_templateIlEESt5tupleIJNSF_6TensorESK_SK_EERKSK_lbbbEUlllE0_EEPmJS9_EEE10hipError_tPvRmT3_T4_T5_T6_T7_T9_mT8_P12ihipStream_tbDpT10_ENKUlT_T0_E_clISt17integral_constantIbLb0EES1A_EEDaS15_S16_EUlS15_E_NS1_11comp_targetILNS1_3genE4ELNS1_11target_archE910ELNS1_3gpuE8ELNS1_3repE0EEENS1_30default_config_static_selectorELNS0_4arch9wavefront6targetE0EEEvT1_,"axG",@progbits,_ZN7rocprim17ROCPRIM_400000_NS6detail17trampoline_kernelINS0_14default_configENS1_25partition_config_selectorILNS1_17partition_subalgoE9EllbEEZZNS1_14partition_implILS5_9ELb0ES3_jPlS8_PNS0_10empty_typeENS0_5tupleIJS8_S9_EEENSB_IJS8_SA_EEENS0_18inequality_wrapperIZN2at6native12_GLOBAL__N_124unique_dim_cuda_templateIlEESt5tupleIJNSF_6TensorESK_SK_EERKSK_lbbbEUlllE0_EEPmJS9_EEE10hipError_tPvRmT3_T4_T5_T6_T7_T9_mT8_P12ihipStream_tbDpT10_ENKUlT_T0_E_clISt17integral_constantIbLb0EES1A_EEDaS15_S16_EUlS15_E_NS1_11comp_targetILNS1_3genE4ELNS1_11target_archE910ELNS1_3gpuE8ELNS1_3repE0EEENS1_30default_config_static_selectorELNS0_4arch9wavefront6targetE0EEEvT1_,comdat
	.globl	_ZN7rocprim17ROCPRIM_400000_NS6detail17trampoline_kernelINS0_14default_configENS1_25partition_config_selectorILNS1_17partition_subalgoE9EllbEEZZNS1_14partition_implILS5_9ELb0ES3_jPlS8_PNS0_10empty_typeENS0_5tupleIJS8_S9_EEENSB_IJS8_SA_EEENS0_18inequality_wrapperIZN2at6native12_GLOBAL__N_124unique_dim_cuda_templateIlEESt5tupleIJNSF_6TensorESK_SK_EERKSK_lbbbEUlllE0_EEPmJS9_EEE10hipError_tPvRmT3_T4_T5_T6_T7_T9_mT8_P12ihipStream_tbDpT10_ENKUlT_T0_E_clISt17integral_constantIbLb0EES1A_EEDaS15_S16_EUlS15_E_NS1_11comp_targetILNS1_3genE4ELNS1_11target_archE910ELNS1_3gpuE8ELNS1_3repE0EEENS1_30default_config_static_selectorELNS0_4arch9wavefront6targetE0EEEvT1_ ; -- Begin function _ZN7rocprim17ROCPRIM_400000_NS6detail17trampoline_kernelINS0_14default_configENS1_25partition_config_selectorILNS1_17partition_subalgoE9EllbEEZZNS1_14partition_implILS5_9ELb0ES3_jPlS8_PNS0_10empty_typeENS0_5tupleIJS8_S9_EEENSB_IJS8_SA_EEENS0_18inequality_wrapperIZN2at6native12_GLOBAL__N_124unique_dim_cuda_templateIlEESt5tupleIJNSF_6TensorESK_SK_EERKSK_lbbbEUlllE0_EEPmJS9_EEE10hipError_tPvRmT3_T4_T5_T6_T7_T9_mT8_P12ihipStream_tbDpT10_ENKUlT_T0_E_clISt17integral_constantIbLb0EES1A_EEDaS15_S16_EUlS15_E_NS1_11comp_targetILNS1_3genE4ELNS1_11target_archE910ELNS1_3gpuE8ELNS1_3repE0EEENS1_30default_config_static_selectorELNS0_4arch9wavefront6targetE0EEEvT1_
	.p2align	8
	.type	_ZN7rocprim17ROCPRIM_400000_NS6detail17trampoline_kernelINS0_14default_configENS1_25partition_config_selectorILNS1_17partition_subalgoE9EllbEEZZNS1_14partition_implILS5_9ELb0ES3_jPlS8_PNS0_10empty_typeENS0_5tupleIJS8_S9_EEENSB_IJS8_SA_EEENS0_18inequality_wrapperIZN2at6native12_GLOBAL__N_124unique_dim_cuda_templateIlEESt5tupleIJNSF_6TensorESK_SK_EERKSK_lbbbEUlllE0_EEPmJS9_EEE10hipError_tPvRmT3_T4_T5_T6_T7_T9_mT8_P12ihipStream_tbDpT10_ENKUlT_T0_E_clISt17integral_constantIbLb0EES1A_EEDaS15_S16_EUlS15_E_NS1_11comp_targetILNS1_3genE4ELNS1_11target_archE910ELNS1_3gpuE8ELNS1_3repE0EEENS1_30default_config_static_selectorELNS0_4arch9wavefront6targetE0EEEvT1_,@function
_ZN7rocprim17ROCPRIM_400000_NS6detail17trampoline_kernelINS0_14default_configENS1_25partition_config_selectorILNS1_17partition_subalgoE9EllbEEZZNS1_14partition_implILS5_9ELb0ES3_jPlS8_PNS0_10empty_typeENS0_5tupleIJS8_S9_EEENSB_IJS8_SA_EEENS0_18inequality_wrapperIZN2at6native12_GLOBAL__N_124unique_dim_cuda_templateIlEESt5tupleIJNSF_6TensorESK_SK_EERKSK_lbbbEUlllE0_EEPmJS9_EEE10hipError_tPvRmT3_T4_T5_T6_T7_T9_mT8_P12ihipStream_tbDpT10_ENKUlT_T0_E_clISt17integral_constantIbLb0EES1A_EEDaS15_S16_EUlS15_E_NS1_11comp_targetILNS1_3genE4ELNS1_11target_archE910ELNS1_3gpuE8ELNS1_3repE0EEENS1_30default_config_static_selectorELNS0_4arch9wavefront6targetE0EEEvT1_: ; @_ZN7rocprim17ROCPRIM_400000_NS6detail17trampoline_kernelINS0_14default_configENS1_25partition_config_selectorILNS1_17partition_subalgoE9EllbEEZZNS1_14partition_implILS5_9ELb0ES3_jPlS8_PNS0_10empty_typeENS0_5tupleIJS8_S9_EEENSB_IJS8_SA_EEENS0_18inequality_wrapperIZN2at6native12_GLOBAL__N_124unique_dim_cuda_templateIlEESt5tupleIJNSF_6TensorESK_SK_EERKSK_lbbbEUlllE0_EEPmJS9_EEE10hipError_tPvRmT3_T4_T5_T6_T7_T9_mT8_P12ihipStream_tbDpT10_ENKUlT_T0_E_clISt17integral_constantIbLb0EES1A_EEDaS15_S16_EUlS15_E_NS1_11comp_targetILNS1_3genE4ELNS1_11target_archE910ELNS1_3gpuE8ELNS1_3repE0EEENS1_30default_config_static_selectorELNS0_4arch9wavefront6targetE0EEEvT1_
; %bb.0:
	.section	.rodata,"a",@progbits
	.p2align	6, 0x0
	.amdhsa_kernel _ZN7rocprim17ROCPRIM_400000_NS6detail17trampoline_kernelINS0_14default_configENS1_25partition_config_selectorILNS1_17partition_subalgoE9EllbEEZZNS1_14partition_implILS5_9ELb0ES3_jPlS8_PNS0_10empty_typeENS0_5tupleIJS8_S9_EEENSB_IJS8_SA_EEENS0_18inequality_wrapperIZN2at6native12_GLOBAL__N_124unique_dim_cuda_templateIlEESt5tupleIJNSF_6TensorESK_SK_EERKSK_lbbbEUlllE0_EEPmJS9_EEE10hipError_tPvRmT3_T4_T5_T6_T7_T9_mT8_P12ihipStream_tbDpT10_ENKUlT_T0_E_clISt17integral_constantIbLb0EES1A_EEDaS15_S16_EUlS15_E_NS1_11comp_targetILNS1_3genE4ELNS1_11target_archE910ELNS1_3gpuE8ELNS1_3repE0EEENS1_30default_config_static_selectorELNS0_4arch9wavefront6targetE0EEEvT1_
		.amdhsa_group_segment_fixed_size 0
		.amdhsa_private_segment_fixed_size 0
		.amdhsa_kernarg_size 120
		.amdhsa_user_sgpr_count 15
		.amdhsa_user_sgpr_dispatch_ptr 0
		.amdhsa_user_sgpr_queue_ptr 0
		.amdhsa_user_sgpr_kernarg_segment_ptr 1
		.amdhsa_user_sgpr_dispatch_id 0
		.amdhsa_user_sgpr_private_segment_size 0
		.amdhsa_wavefront_size32 1
		.amdhsa_uses_dynamic_stack 0
		.amdhsa_enable_private_segment 0
		.amdhsa_system_sgpr_workgroup_id_x 1
		.amdhsa_system_sgpr_workgroup_id_y 0
		.amdhsa_system_sgpr_workgroup_id_z 0
		.amdhsa_system_sgpr_workgroup_info 0
		.amdhsa_system_vgpr_workitem_id 0
		.amdhsa_next_free_vgpr 1
		.amdhsa_next_free_sgpr 1
		.amdhsa_reserve_vcc 0
		.amdhsa_float_round_mode_32 0
		.amdhsa_float_round_mode_16_64 0
		.amdhsa_float_denorm_mode_32 3
		.amdhsa_float_denorm_mode_16_64 3
		.amdhsa_dx10_clamp 1
		.amdhsa_ieee_mode 1
		.amdhsa_fp16_overflow 0
		.amdhsa_workgroup_processor_mode 1
		.amdhsa_memory_ordered 1
		.amdhsa_forward_progress 0
		.amdhsa_shared_vgpr_count 0
		.amdhsa_exception_fp_ieee_invalid_op 0
		.amdhsa_exception_fp_denorm_src 0
		.amdhsa_exception_fp_ieee_div_zero 0
		.amdhsa_exception_fp_ieee_overflow 0
		.amdhsa_exception_fp_ieee_underflow 0
		.amdhsa_exception_fp_ieee_inexact 0
		.amdhsa_exception_int_div_zero 0
	.end_amdhsa_kernel
	.section	.text._ZN7rocprim17ROCPRIM_400000_NS6detail17trampoline_kernelINS0_14default_configENS1_25partition_config_selectorILNS1_17partition_subalgoE9EllbEEZZNS1_14partition_implILS5_9ELb0ES3_jPlS8_PNS0_10empty_typeENS0_5tupleIJS8_S9_EEENSB_IJS8_SA_EEENS0_18inequality_wrapperIZN2at6native12_GLOBAL__N_124unique_dim_cuda_templateIlEESt5tupleIJNSF_6TensorESK_SK_EERKSK_lbbbEUlllE0_EEPmJS9_EEE10hipError_tPvRmT3_T4_T5_T6_T7_T9_mT8_P12ihipStream_tbDpT10_ENKUlT_T0_E_clISt17integral_constantIbLb0EES1A_EEDaS15_S16_EUlS15_E_NS1_11comp_targetILNS1_3genE4ELNS1_11target_archE910ELNS1_3gpuE8ELNS1_3repE0EEENS1_30default_config_static_selectorELNS0_4arch9wavefront6targetE0EEEvT1_,"axG",@progbits,_ZN7rocprim17ROCPRIM_400000_NS6detail17trampoline_kernelINS0_14default_configENS1_25partition_config_selectorILNS1_17partition_subalgoE9EllbEEZZNS1_14partition_implILS5_9ELb0ES3_jPlS8_PNS0_10empty_typeENS0_5tupleIJS8_S9_EEENSB_IJS8_SA_EEENS0_18inequality_wrapperIZN2at6native12_GLOBAL__N_124unique_dim_cuda_templateIlEESt5tupleIJNSF_6TensorESK_SK_EERKSK_lbbbEUlllE0_EEPmJS9_EEE10hipError_tPvRmT3_T4_T5_T6_T7_T9_mT8_P12ihipStream_tbDpT10_ENKUlT_T0_E_clISt17integral_constantIbLb0EES1A_EEDaS15_S16_EUlS15_E_NS1_11comp_targetILNS1_3genE4ELNS1_11target_archE910ELNS1_3gpuE8ELNS1_3repE0EEENS1_30default_config_static_selectorELNS0_4arch9wavefront6targetE0EEEvT1_,comdat
.Lfunc_end597:
	.size	_ZN7rocprim17ROCPRIM_400000_NS6detail17trampoline_kernelINS0_14default_configENS1_25partition_config_selectorILNS1_17partition_subalgoE9EllbEEZZNS1_14partition_implILS5_9ELb0ES3_jPlS8_PNS0_10empty_typeENS0_5tupleIJS8_S9_EEENSB_IJS8_SA_EEENS0_18inequality_wrapperIZN2at6native12_GLOBAL__N_124unique_dim_cuda_templateIlEESt5tupleIJNSF_6TensorESK_SK_EERKSK_lbbbEUlllE0_EEPmJS9_EEE10hipError_tPvRmT3_T4_T5_T6_T7_T9_mT8_P12ihipStream_tbDpT10_ENKUlT_T0_E_clISt17integral_constantIbLb0EES1A_EEDaS15_S16_EUlS15_E_NS1_11comp_targetILNS1_3genE4ELNS1_11target_archE910ELNS1_3gpuE8ELNS1_3repE0EEENS1_30default_config_static_selectorELNS0_4arch9wavefront6targetE0EEEvT1_, .Lfunc_end597-_ZN7rocprim17ROCPRIM_400000_NS6detail17trampoline_kernelINS0_14default_configENS1_25partition_config_selectorILNS1_17partition_subalgoE9EllbEEZZNS1_14partition_implILS5_9ELb0ES3_jPlS8_PNS0_10empty_typeENS0_5tupleIJS8_S9_EEENSB_IJS8_SA_EEENS0_18inequality_wrapperIZN2at6native12_GLOBAL__N_124unique_dim_cuda_templateIlEESt5tupleIJNSF_6TensorESK_SK_EERKSK_lbbbEUlllE0_EEPmJS9_EEE10hipError_tPvRmT3_T4_T5_T6_T7_T9_mT8_P12ihipStream_tbDpT10_ENKUlT_T0_E_clISt17integral_constantIbLb0EES1A_EEDaS15_S16_EUlS15_E_NS1_11comp_targetILNS1_3genE4ELNS1_11target_archE910ELNS1_3gpuE8ELNS1_3repE0EEENS1_30default_config_static_selectorELNS0_4arch9wavefront6targetE0EEEvT1_
                                        ; -- End function
	.section	.AMDGPU.csdata,"",@progbits
; Kernel info:
; codeLenInByte = 0
; NumSgprs: 0
; NumVgprs: 0
; ScratchSize: 0
; MemoryBound: 0
; FloatMode: 240
; IeeeMode: 1
; LDSByteSize: 0 bytes/workgroup (compile time only)
; SGPRBlocks: 0
; VGPRBlocks: 0
; NumSGPRsForWavesPerEU: 1
; NumVGPRsForWavesPerEU: 1
; Occupancy: 16
; WaveLimiterHint : 0
; COMPUTE_PGM_RSRC2:SCRATCH_EN: 0
; COMPUTE_PGM_RSRC2:USER_SGPR: 15
; COMPUTE_PGM_RSRC2:TRAP_HANDLER: 0
; COMPUTE_PGM_RSRC2:TGID_X_EN: 1
; COMPUTE_PGM_RSRC2:TGID_Y_EN: 0
; COMPUTE_PGM_RSRC2:TGID_Z_EN: 0
; COMPUTE_PGM_RSRC2:TIDIG_COMP_CNT: 0
	.section	.text._ZN7rocprim17ROCPRIM_400000_NS6detail17trampoline_kernelINS0_14default_configENS1_25partition_config_selectorILNS1_17partition_subalgoE9EllbEEZZNS1_14partition_implILS5_9ELb0ES3_jPlS8_PNS0_10empty_typeENS0_5tupleIJS8_S9_EEENSB_IJS8_SA_EEENS0_18inequality_wrapperIZN2at6native12_GLOBAL__N_124unique_dim_cuda_templateIlEESt5tupleIJNSF_6TensorESK_SK_EERKSK_lbbbEUlllE0_EEPmJS9_EEE10hipError_tPvRmT3_T4_T5_T6_T7_T9_mT8_P12ihipStream_tbDpT10_ENKUlT_T0_E_clISt17integral_constantIbLb0EES1A_EEDaS15_S16_EUlS15_E_NS1_11comp_targetILNS1_3genE3ELNS1_11target_archE908ELNS1_3gpuE7ELNS1_3repE0EEENS1_30default_config_static_selectorELNS0_4arch9wavefront6targetE0EEEvT1_,"axG",@progbits,_ZN7rocprim17ROCPRIM_400000_NS6detail17trampoline_kernelINS0_14default_configENS1_25partition_config_selectorILNS1_17partition_subalgoE9EllbEEZZNS1_14partition_implILS5_9ELb0ES3_jPlS8_PNS0_10empty_typeENS0_5tupleIJS8_S9_EEENSB_IJS8_SA_EEENS0_18inequality_wrapperIZN2at6native12_GLOBAL__N_124unique_dim_cuda_templateIlEESt5tupleIJNSF_6TensorESK_SK_EERKSK_lbbbEUlllE0_EEPmJS9_EEE10hipError_tPvRmT3_T4_T5_T6_T7_T9_mT8_P12ihipStream_tbDpT10_ENKUlT_T0_E_clISt17integral_constantIbLb0EES1A_EEDaS15_S16_EUlS15_E_NS1_11comp_targetILNS1_3genE3ELNS1_11target_archE908ELNS1_3gpuE7ELNS1_3repE0EEENS1_30default_config_static_selectorELNS0_4arch9wavefront6targetE0EEEvT1_,comdat
	.globl	_ZN7rocprim17ROCPRIM_400000_NS6detail17trampoline_kernelINS0_14default_configENS1_25partition_config_selectorILNS1_17partition_subalgoE9EllbEEZZNS1_14partition_implILS5_9ELb0ES3_jPlS8_PNS0_10empty_typeENS0_5tupleIJS8_S9_EEENSB_IJS8_SA_EEENS0_18inequality_wrapperIZN2at6native12_GLOBAL__N_124unique_dim_cuda_templateIlEESt5tupleIJNSF_6TensorESK_SK_EERKSK_lbbbEUlllE0_EEPmJS9_EEE10hipError_tPvRmT3_T4_T5_T6_T7_T9_mT8_P12ihipStream_tbDpT10_ENKUlT_T0_E_clISt17integral_constantIbLb0EES1A_EEDaS15_S16_EUlS15_E_NS1_11comp_targetILNS1_3genE3ELNS1_11target_archE908ELNS1_3gpuE7ELNS1_3repE0EEENS1_30default_config_static_selectorELNS0_4arch9wavefront6targetE0EEEvT1_ ; -- Begin function _ZN7rocprim17ROCPRIM_400000_NS6detail17trampoline_kernelINS0_14default_configENS1_25partition_config_selectorILNS1_17partition_subalgoE9EllbEEZZNS1_14partition_implILS5_9ELb0ES3_jPlS8_PNS0_10empty_typeENS0_5tupleIJS8_S9_EEENSB_IJS8_SA_EEENS0_18inequality_wrapperIZN2at6native12_GLOBAL__N_124unique_dim_cuda_templateIlEESt5tupleIJNSF_6TensorESK_SK_EERKSK_lbbbEUlllE0_EEPmJS9_EEE10hipError_tPvRmT3_T4_T5_T6_T7_T9_mT8_P12ihipStream_tbDpT10_ENKUlT_T0_E_clISt17integral_constantIbLb0EES1A_EEDaS15_S16_EUlS15_E_NS1_11comp_targetILNS1_3genE3ELNS1_11target_archE908ELNS1_3gpuE7ELNS1_3repE0EEENS1_30default_config_static_selectorELNS0_4arch9wavefront6targetE0EEEvT1_
	.p2align	8
	.type	_ZN7rocprim17ROCPRIM_400000_NS6detail17trampoline_kernelINS0_14default_configENS1_25partition_config_selectorILNS1_17partition_subalgoE9EllbEEZZNS1_14partition_implILS5_9ELb0ES3_jPlS8_PNS0_10empty_typeENS0_5tupleIJS8_S9_EEENSB_IJS8_SA_EEENS0_18inequality_wrapperIZN2at6native12_GLOBAL__N_124unique_dim_cuda_templateIlEESt5tupleIJNSF_6TensorESK_SK_EERKSK_lbbbEUlllE0_EEPmJS9_EEE10hipError_tPvRmT3_T4_T5_T6_T7_T9_mT8_P12ihipStream_tbDpT10_ENKUlT_T0_E_clISt17integral_constantIbLb0EES1A_EEDaS15_S16_EUlS15_E_NS1_11comp_targetILNS1_3genE3ELNS1_11target_archE908ELNS1_3gpuE7ELNS1_3repE0EEENS1_30default_config_static_selectorELNS0_4arch9wavefront6targetE0EEEvT1_,@function
_ZN7rocprim17ROCPRIM_400000_NS6detail17trampoline_kernelINS0_14default_configENS1_25partition_config_selectorILNS1_17partition_subalgoE9EllbEEZZNS1_14partition_implILS5_9ELb0ES3_jPlS8_PNS0_10empty_typeENS0_5tupleIJS8_S9_EEENSB_IJS8_SA_EEENS0_18inequality_wrapperIZN2at6native12_GLOBAL__N_124unique_dim_cuda_templateIlEESt5tupleIJNSF_6TensorESK_SK_EERKSK_lbbbEUlllE0_EEPmJS9_EEE10hipError_tPvRmT3_T4_T5_T6_T7_T9_mT8_P12ihipStream_tbDpT10_ENKUlT_T0_E_clISt17integral_constantIbLb0EES1A_EEDaS15_S16_EUlS15_E_NS1_11comp_targetILNS1_3genE3ELNS1_11target_archE908ELNS1_3gpuE7ELNS1_3repE0EEENS1_30default_config_static_selectorELNS0_4arch9wavefront6targetE0EEEvT1_: ; @_ZN7rocprim17ROCPRIM_400000_NS6detail17trampoline_kernelINS0_14default_configENS1_25partition_config_selectorILNS1_17partition_subalgoE9EllbEEZZNS1_14partition_implILS5_9ELb0ES3_jPlS8_PNS0_10empty_typeENS0_5tupleIJS8_S9_EEENSB_IJS8_SA_EEENS0_18inequality_wrapperIZN2at6native12_GLOBAL__N_124unique_dim_cuda_templateIlEESt5tupleIJNSF_6TensorESK_SK_EERKSK_lbbbEUlllE0_EEPmJS9_EEE10hipError_tPvRmT3_T4_T5_T6_T7_T9_mT8_P12ihipStream_tbDpT10_ENKUlT_T0_E_clISt17integral_constantIbLb0EES1A_EEDaS15_S16_EUlS15_E_NS1_11comp_targetILNS1_3genE3ELNS1_11target_archE908ELNS1_3gpuE7ELNS1_3repE0EEENS1_30default_config_static_selectorELNS0_4arch9wavefront6targetE0EEEvT1_
; %bb.0:
	.section	.rodata,"a",@progbits
	.p2align	6, 0x0
	.amdhsa_kernel _ZN7rocprim17ROCPRIM_400000_NS6detail17trampoline_kernelINS0_14default_configENS1_25partition_config_selectorILNS1_17partition_subalgoE9EllbEEZZNS1_14partition_implILS5_9ELb0ES3_jPlS8_PNS0_10empty_typeENS0_5tupleIJS8_S9_EEENSB_IJS8_SA_EEENS0_18inequality_wrapperIZN2at6native12_GLOBAL__N_124unique_dim_cuda_templateIlEESt5tupleIJNSF_6TensorESK_SK_EERKSK_lbbbEUlllE0_EEPmJS9_EEE10hipError_tPvRmT3_T4_T5_T6_T7_T9_mT8_P12ihipStream_tbDpT10_ENKUlT_T0_E_clISt17integral_constantIbLb0EES1A_EEDaS15_S16_EUlS15_E_NS1_11comp_targetILNS1_3genE3ELNS1_11target_archE908ELNS1_3gpuE7ELNS1_3repE0EEENS1_30default_config_static_selectorELNS0_4arch9wavefront6targetE0EEEvT1_
		.amdhsa_group_segment_fixed_size 0
		.amdhsa_private_segment_fixed_size 0
		.amdhsa_kernarg_size 120
		.amdhsa_user_sgpr_count 15
		.amdhsa_user_sgpr_dispatch_ptr 0
		.amdhsa_user_sgpr_queue_ptr 0
		.amdhsa_user_sgpr_kernarg_segment_ptr 1
		.amdhsa_user_sgpr_dispatch_id 0
		.amdhsa_user_sgpr_private_segment_size 0
		.amdhsa_wavefront_size32 1
		.amdhsa_uses_dynamic_stack 0
		.amdhsa_enable_private_segment 0
		.amdhsa_system_sgpr_workgroup_id_x 1
		.amdhsa_system_sgpr_workgroup_id_y 0
		.amdhsa_system_sgpr_workgroup_id_z 0
		.amdhsa_system_sgpr_workgroup_info 0
		.amdhsa_system_vgpr_workitem_id 0
		.amdhsa_next_free_vgpr 1
		.amdhsa_next_free_sgpr 1
		.amdhsa_reserve_vcc 0
		.amdhsa_float_round_mode_32 0
		.amdhsa_float_round_mode_16_64 0
		.amdhsa_float_denorm_mode_32 3
		.amdhsa_float_denorm_mode_16_64 3
		.amdhsa_dx10_clamp 1
		.amdhsa_ieee_mode 1
		.amdhsa_fp16_overflow 0
		.amdhsa_workgroup_processor_mode 1
		.amdhsa_memory_ordered 1
		.amdhsa_forward_progress 0
		.amdhsa_shared_vgpr_count 0
		.amdhsa_exception_fp_ieee_invalid_op 0
		.amdhsa_exception_fp_denorm_src 0
		.amdhsa_exception_fp_ieee_div_zero 0
		.amdhsa_exception_fp_ieee_overflow 0
		.amdhsa_exception_fp_ieee_underflow 0
		.amdhsa_exception_fp_ieee_inexact 0
		.amdhsa_exception_int_div_zero 0
	.end_amdhsa_kernel
	.section	.text._ZN7rocprim17ROCPRIM_400000_NS6detail17trampoline_kernelINS0_14default_configENS1_25partition_config_selectorILNS1_17partition_subalgoE9EllbEEZZNS1_14partition_implILS5_9ELb0ES3_jPlS8_PNS0_10empty_typeENS0_5tupleIJS8_S9_EEENSB_IJS8_SA_EEENS0_18inequality_wrapperIZN2at6native12_GLOBAL__N_124unique_dim_cuda_templateIlEESt5tupleIJNSF_6TensorESK_SK_EERKSK_lbbbEUlllE0_EEPmJS9_EEE10hipError_tPvRmT3_T4_T5_T6_T7_T9_mT8_P12ihipStream_tbDpT10_ENKUlT_T0_E_clISt17integral_constantIbLb0EES1A_EEDaS15_S16_EUlS15_E_NS1_11comp_targetILNS1_3genE3ELNS1_11target_archE908ELNS1_3gpuE7ELNS1_3repE0EEENS1_30default_config_static_selectorELNS0_4arch9wavefront6targetE0EEEvT1_,"axG",@progbits,_ZN7rocprim17ROCPRIM_400000_NS6detail17trampoline_kernelINS0_14default_configENS1_25partition_config_selectorILNS1_17partition_subalgoE9EllbEEZZNS1_14partition_implILS5_9ELb0ES3_jPlS8_PNS0_10empty_typeENS0_5tupleIJS8_S9_EEENSB_IJS8_SA_EEENS0_18inequality_wrapperIZN2at6native12_GLOBAL__N_124unique_dim_cuda_templateIlEESt5tupleIJNSF_6TensorESK_SK_EERKSK_lbbbEUlllE0_EEPmJS9_EEE10hipError_tPvRmT3_T4_T5_T6_T7_T9_mT8_P12ihipStream_tbDpT10_ENKUlT_T0_E_clISt17integral_constantIbLb0EES1A_EEDaS15_S16_EUlS15_E_NS1_11comp_targetILNS1_3genE3ELNS1_11target_archE908ELNS1_3gpuE7ELNS1_3repE0EEENS1_30default_config_static_selectorELNS0_4arch9wavefront6targetE0EEEvT1_,comdat
.Lfunc_end598:
	.size	_ZN7rocprim17ROCPRIM_400000_NS6detail17trampoline_kernelINS0_14default_configENS1_25partition_config_selectorILNS1_17partition_subalgoE9EllbEEZZNS1_14partition_implILS5_9ELb0ES3_jPlS8_PNS0_10empty_typeENS0_5tupleIJS8_S9_EEENSB_IJS8_SA_EEENS0_18inequality_wrapperIZN2at6native12_GLOBAL__N_124unique_dim_cuda_templateIlEESt5tupleIJNSF_6TensorESK_SK_EERKSK_lbbbEUlllE0_EEPmJS9_EEE10hipError_tPvRmT3_T4_T5_T6_T7_T9_mT8_P12ihipStream_tbDpT10_ENKUlT_T0_E_clISt17integral_constantIbLb0EES1A_EEDaS15_S16_EUlS15_E_NS1_11comp_targetILNS1_3genE3ELNS1_11target_archE908ELNS1_3gpuE7ELNS1_3repE0EEENS1_30default_config_static_selectorELNS0_4arch9wavefront6targetE0EEEvT1_, .Lfunc_end598-_ZN7rocprim17ROCPRIM_400000_NS6detail17trampoline_kernelINS0_14default_configENS1_25partition_config_selectorILNS1_17partition_subalgoE9EllbEEZZNS1_14partition_implILS5_9ELb0ES3_jPlS8_PNS0_10empty_typeENS0_5tupleIJS8_S9_EEENSB_IJS8_SA_EEENS0_18inequality_wrapperIZN2at6native12_GLOBAL__N_124unique_dim_cuda_templateIlEESt5tupleIJNSF_6TensorESK_SK_EERKSK_lbbbEUlllE0_EEPmJS9_EEE10hipError_tPvRmT3_T4_T5_T6_T7_T9_mT8_P12ihipStream_tbDpT10_ENKUlT_T0_E_clISt17integral_constantIbLb0EES1A_EEDaS15_S16_EUlS15_E_NS1_11comp_targetILNS1_3genE3ELNS1_11target_archE908ELNS1_3gpuE7ELNS1_3repE0EEENS1_30default_config_static_selectorELNS0_4arch9wavefront6targetE0EEEvT1_
                                        ; -- End function
	.section	.AMDGPU.csdata,"",@progbits
; Kernel info:
; codeLenInByte = 0
; NumSgprs: 0
; NumVgprs: 0
; ScratchSize: 0
; MemoryBound: 0
; FloatMode: 240
; IeeeMode: 1
; LDSByteSize: 0 bytes/workgroup (compile time only)
; SGPRBlocks: 0
; VGPRBlocks: 0
; NumSGPRsForWavesPerEU: 1
; NumVGPRsForWavesPerEU: 1
; Occupancy: 16
; WaveLimiterHint : 0
; COMPUTE_PGM_RSRC2:SCRATCH_EN: 0
; COMPUTE_PGM_RSRC2:USER_SGPR: 15
; COMPUTE_PGM_RSRC2:TRAP_HANDLER: 0
; COMPUTE_PGM_RSRC2:TGID_X_EN: 1
; COMPUTE_PGM_RSRC2:TGID_Y_EN: 0
; COMPUTE_PGM_RSRC2:TGID_Z_EN: 0
; COMPUTE_PGM_RSRC2:TIDIG_COMP_CNT: 0
	.section	.text._ZN7rocprim17ROCPRIM_400000_NS6detail17trampoline_kernelINS0_14default_configENS1_25partition_config_selectorILNS1_17partition_subalgoE9EllbEEZZNS1_14partition_implILS5_9ELb0ES3_jPlS8_PNS0_10empty_typeENS0_5tupleIJS8_S9_EEENSB_IJS8_SA_EEENS0_18inequality_wrapperIZN2at6native12_GLOBAL__N_124unique_dim_cuda_templateIlEESt5tupleIJNSF_6TensorESK_SK_EERKSK_lbbbEUlllE0_EEPmJS9_EEE10hipError_tPvRmT3_T4_T5_T6_T7_T9_mT8_P12ihipStream_tbDpT10_ENKUlT_T0_E_clISt17integral_constantIbLb0EES1A_EEDaS15_S16_EUlS15_E_NS1_11comp_targetILNS1_3genE2ELNS1_11target_archE906ELNS1_3gpuE6ELNS1_3repE0EEENS1_30default_config_static_selectorELNS0_4arch9wavefront6targetE0EEEvT1_,"axG",@progbits,_ZN7rocprim17ROCPRIM_400000_NS6detail17trampoline_kernelINS0_14default_configENS1_25partition_config_selectorILNS1_17partition_subalgoE9EllbEEZZNS1_14partition_implILS5_9ELb0ES3_jPlS8_PNS0_10empty_typeENS0_5tupleIJS8_S9_EEENSB_IJS8_SA_EEENS0_18inequality_wrapperIZN2at6native12_GLOBAL__N_124unique_dim_cuda_templateIlEESt5tupleIJNSF_6TensorESK_SK_EERKSK_lbbbEUlllE0_EEPmJS9_EEE10hipError_tPvRmT3_T4_T5_T6_T7_T9_mT8_P12ihipStream_tbDpT10_ENKUlT_T0_E_clISt17integral_constantIbLb0EES1A_EEDaS15_S16_EUlS15_E_NS1_11comp_targetILNS1_3genE2ELNS1_11target_archE906ELNS1_3gpuE6ELNS1_3repE0EEENS1_30default_config_static_selectorELNS0_4arch9wavefront6targetE0EEEvT1_,comdat
	.globl	_ZN7rocprim17ROCPRIM_400000_NS6detail17trampoline_kernelINS0_14default_configENS1_25partition_config_selectorILNS1_17partition_subalgoE9EllbEEZZNS1_14partition_implILS5_9ELb0ES3_jPlS8_PNS0_10empty_typeENS0_5tupleIJS8_S9_EEENSB_IJS8_SA_EEENS0_18inequality_wrapperIZN2at6native12_GLOBAL__N_124unique_dim_cuda_templateIlEESt5tupleIJNSF_6TensorESK_SK_EERKSK_lbbbEUlllE0_EEPmJS9_EEE10hipError_tPvRmT3_T4_T5_T6_T7_T9_mT8_P12ihipStream_tbDpT10_ENKUlT_T0_E_clISt17integral_constantIbLb0EES1A_EEDaS15_S16_EUlS15_E_NS1_11comp_targetILNS1_3genE2ELNS1_11target_archE906ELNS1_3gpuE6ELNS1_3repE0EEENS1_30default_config_static_selectorELNS0_4arch9wavefront6targetE0EEEvT1_ ; -- Begin function _ZN7rocprim17ROCPRIM_400000_NS6detail17trampoline_kernelINS0_14default_configENS1_25partition_config_selectorILNS1_17partition_subalgoE9EllbEEZZNS1_14partition_implILS5_9ELb0ES3_jPlS8_PNS0_10empty_typeENS0_5tupleIJS8_S9_EEENSB_IJS8_SA_EEENS0_18inequality_wrapperIZN2at6native12_GLOBAL__N_124unique_dim_cuda_templateIlEESt5tupleIJNSF_6TensorESK_SK_EERKSK_lbbbEUlllE0_EEPmJS9_EEE10hipError_tPvRmT3_T4_T5_T6_T7_T9_mT8_P12ihipStream_tbDpT10_ENKUlT_T0_E_clISt17integral_constantIbLb0EES1A_EEDaS15_S16_EUlS15_E_NS1_11comp_targetILNS1_3genE2ELNS1_11target_archE906ELNS1_3gpuE6ELNS1_3repE0EEENS1_30default_config_static_selectorELNS0_4arch9wavefront6targetE0EEEvT1_
	.p2align	8
	.type	_ZN7rocprim17ROCPRIM_400000_NS6detail17trampoline_kernelINS0_14default_configENS1_25partition_config_selectorILNS1_17partition_subalgoE9EllbEEZZNS1_14partition_implILS5_9ELb0ES3_jPlS8_PNS0_10empty_typeENS0_5tupleIJS8_S9_EEENSB_IJS8_SA_EEENS0_18inequality_wrapperIZN2at6native12_GLOBAL__N_124unique_dim_cuda_templateIlEESt5tupleIJNSF_6TensorESK_SK_EERKSK_lbbbEUlllE0_EEPmJS9_EEE10hipError_tPvRmT3_T4_T5_T6_T7_T9_mT8_P12ihipStream_tbDpT10_ENKUlT_T0_E_clISt17integral_constantIbLb0EES1A_EEDaS15_S16_EUlS15_E_NS1_11comp_targetILNS1_3genE2ELNS1_11target_archE906ELNS1_3gpuE6ELNS1_3repE0EEENS1_30default_config_static_selectorELNS0_4arch9wavefront6targetE0EEEvT1_,@function
_ZN7rocprim17ROCPRIM_400000_NS6detail17trampoline_kernelINS0_14default_configENS1_25partition_config_selectorILNS1_17partition_subalgoE9EllbEEZZNS1_14partition_implILS5_9ELb0ES3_jPlS8_PNS0_10empty_typeENS0_5tupleIJS8_S9_EEENSB_IJS8_SA_EEENS0_18inequality_wrapperIZN2at6native12_GLOBAL__N_124unique_dim_cuda_templateIlEESt5tupleIJNSF_6TensorESK_SK_EERKSK_lbbbEUlllE0_EEPmJS9_EEE10hipError_tPvRmT3_T4_T5_T6_T7_T9_mT8_P12ihipStream_tbDpT10_ENKUlT_T0_E_clISt17integral_constantIbLb0EES1A_EEDaS15_S16_EUlS15_E_NS1_11comp_targetILNS1_3genE2ELNS1_11target_archE906ELNS1_3gpuE6ELNS1_3repE0EEENS1_30default_config_static_selectorELNS0_4arch9wavefront6targetE0EEEvT1_: ; @_ZN7rocprim17ROCPRIM_400000_NS6detail17trampoline_kernelINS0_14default_configENS1_25partition_config_selectorILNS1_17partition_subalgoE9EllbEEZZNS1_14partition_implILS5_9ELb0ES3_jPlS8_PNS0_10empty_typeENS0_5tupleIJS8_S9_EEENSB_IJS8_SA_EEENS0_18inequality_wrapperIZN2at6native12_GLOBAL__N_124unique_dim_cuda_templateIlEESt5tupleIJNSF_6TensorESK_SK_EERKSK_lbbbEUlllE0_EEPmJS9_EEE10hipError_tPvRmT3_T4_T5_T6_T7_T9_mT8_P12ihipStream_tbDpT10_ENKUlT_T0_E_clISt17integral_constantIbLb0EES1A_EEDaS15_S16_EUlS15_E_NS1_11comp_targetILNS1_3genE2ELNS1_11target_archE906ELNS1_3gpuE6ELNS1_3repE0EEENS1_30default_config_static_selectorELNS0_4arch9wavefront6targetE0EEEvT1_
; %bb.0:
	.section	.rodata,"a",@progbits
	.p2align	6, 0x0
	.amdhsa_kernel _ZN7rocprim17ROCPRIM_400000_NS6detail17trampoline_kernelINS0_14default_configENS1_25partition_config_selectorILNS1_17partition_subalgoE9EllbEEZZNS1_14partition_implILS5_9ELb0ES3_jPlS8_PNS0_10empty_typeENS0_5tupleIJS8_S9_EEENSB_IJS8_SA_EEENS0_18inequality_wrapperIZN2at6native12_GLOBAL__N_124unique_dim_cuda_templateIlEESt5tupleIJNSF_6TensorESK_SK_EERKSK_lbbbEUlllE0_EEPmJS9_EEE10hipError_tPvRmT3_T4_T5_T6_T7_T9_mT8_P12ihipStream_tbDpT10_ENKUlT_T0_E_clISt17integral_constantIbLb0EES1A_EEDaS15_S16_EUlS15_E_NS1_11comp_targetILNS1_3genE2ELNS1_11target_archE906ELNS1_3gpuE6ELNS1_3repE0EEENS1_30default_config_static_selectorELNS0_4arch9wavefront6targetE0EEEvT1_
		.amdhsa_group_segment_fixed_size 0
		.amdhsa_private_segment_fixed_size 0
		.amdhsa_kernarg_size 120
		.amdhsa_user_sgpr_count 15
		.amdhsa_user_sgpr_dispatch_ptr 0
		.amdhsa_user_sgpr_queue_ptr 0
		.amdhsa_user_sgpr_kernarg_segment_ptr 1
		.amdhsa_user_sgpr_dispatch_id 0
		.amdhsa_user_sgpr_private_segment_size 0
		.amdhsa_wavefront_size32 1
		.amdhsa_uses_dynamic_stack 0
		.amdhsa_enable_private_segment 0
		.amdhsa_system_sgpr_workgroup_id_x 1
		.amdhsa_system_sgpr_workgroup_id_y 0
		.amdhsa_system_sgpr_workgroup_id_z 0
		.amdhsa_system_sgpr_workgroup_info 0
		.amdhsa_system_vgpr_workitem_id 0
		.amdhsa_next_free_vgpr 1
		.amdhsa_next_free_sgpr 1
		.amdhsa_reserve_vcc 0
		.amdhsa_float_round_mode_32 0
		.amdhsa_float_round_mode_16_64 0
		.amdhsa_float_denorm_mode_32 3
		.amdhsa_float_denorm_mode_16_64 3
		.amdhsa_dx10_clamp 1
		.amdhsa_ieee_mode 1
		.amdhsa_fp16_overflow 0
		.amdhsa_workgroup_processor_mode 1
		.amdhsa_memory_ordered 1
		.amdhsa_forward_progress 0
		.amdhsa_shared_vgpr_count 0
		.amdhsa_exception_fp_ieee_invalid_op 0
		.amdhsa_exception_fp_denorm_src 0
		.amdhsa_exception_fp_ieee_div_zero 0
		.amdhsa_exception_fp_ieee_overflow 0
		.amdhsa_exception_fp_ieee_underflow 0
		.amdhsa_exception_fp_ieee_inexact 0
		.amdhsa_exception_int_div_zero 0
	.end_amdhsa_kernel
	.section	.text._ZN7rocprim17ROCPRIM_400000_NS6detail17trampoline_kernelINS0_14default_configENS1_25partition_config_selectorILNS1_17partition_subalgoE9EllbEEZZNS1_14partition_implILS5_9ELb0ES3_jPlS8_PNS0_10empty_typeENS0_5tupleIJS8_S9_EEENSB_IJS8_SA_EEENS0_18inequality_wrapperIZN2at6native12_GLOBAL__N_124unique_dim_cuda_templateIlEESt5tupleIJNSF_6TensorESK_SK_EERKSK_lbbbEUlllE0_EEPmJS9_EEE10hipError_tPvRmT3_T4_T5_T6_T7_T9_mT8_P12ihipStream_tbDpT10_ENKUlT_T0_E_clISt17integral_constantIbLb0EES1A_EEDaS15_S16_EUlS15_E_NS1_11comp_targetILNS1_3genE2ELNS1_11target_archE906ELNS1_3gpuE6ELNS1_3repE0EEENS1_30default_config_static_selectorELNS0_4arch9wavefront6targetE0EEEvT1_,"axG",@progbits,_ZN7rocprim17ROCPRIM_400000_NS6detail17trampoline_kernelINS0_14default_configENS1_25partition_config_selectorILNS1_17partition_subalgoE9EllbEEZZNS1_14partition_implILS5_9ELb0ES3_jPlS8_PNS0_10empty_typeENS0_5tupleIJS8_S9_EEENSB_IJS8_SA_EEENS0_18inequality_wrapperIZN2at6native12_GLOBAL__N_124unique_dim_cuda_templateIlEESt5tupleIJNSF_6TensorESK_SK_EERKSK_lbbbEUlllE0_EEPmJS9_EEE10hipError_tPvRmT3_T4_T5_T6_T7_T9_mT8_P12ihipStream_tbDpT10_ENKUlT_T0_E_clISt17integral_constantIbLb0EES1A_EEDaS15_S16_EUlS15_E_NS1_11comp_targetILNS1_3genE2ELNS1_11target_archE906ELNS1_3gpuE6ELNS1_3repE0EEENS1_30default_config_static_selectorELNS0_4arch9wavefront6targetE0EEEvT1_,comdat
.Lfunc_end599:
	.size	_ZN7rocprim17ROCPRIM_400000_NS6detail17trampoline_kernelINS0_14default_configENS1_25partition_config_selectorILNS1_17partition_subalgoE9EllbEEZZNS1_14partition_implILS5_9ELb0ES3_jPlS8_PNS0_10empty_typeENS0_5tupleIJS8_S9_EEENSB_IJS8_SA_EEENS0_18inequality_wrapperIZN2at6native12_GLOBAL__N_124unique_dim_cuda_templateIlEESt5tupleIJNSF_6TensorESK_SK_EERKSK_lbbbEUlllE0_EEPmJS9_EEE10hipError_tPvRmT3_T4_T5_T6_T7_T9_mT8_P12ihipStream_tbDpT10_ENKUlT_T0_E_clISt17integral_constantIbLb0EES1A_EEDaS15_S16_EUlS15_E_NS1_11comp_targetILNS1_3genE2ELNS1_11target_archE906ELNS1_3gpuE6ELNS1_3repE0EEENS1_30default_config_static_selectorELNS0_4arch9wavefront6targetE0EEEvT1_, .Lfunc_end599-_ZN7rocprim17ROCPRIM_400000_NS6detail17trampoline_kernelINS0_14default_configENS1_25partition_config_selectorILNS1_17partition_subalgoE9EllbEEZZNS1_14partition_implILS5_9ELb0ES3_jPlS8_PNS0_10empty_typeENS0_5tupleIJS8_S9_EEENSB_IJS8_SA_EEENS0_18inequality_wrapperIZN2at6native12_GLOBAL__N_124unique_dim_cuda_templateIlEESt5tupleIJNSF_6TensorESK_SK_EERKSK_lbbbEUlllE0_EEPmJS9_EEE10hipError_tPvRmT3_T4_T5_T6_T7_T9_mT8_P12ihipStream_tbDpT10_ENKUlT_T0_E_clISt17integral_constantIbLb0EES1A_EEDaS15_S16_EUlS15_E_NS1_11comp_targetILNS1_3genE2ELNS1_11target_archE906ELNS1_3gpuE6ELNS1_3repE0EEENS1_30default_config_static_selectorELNS0_4arch9wavefront6targetE0EEEvT1_
                                        ; -- End function
	.section	.AMDGPU.csdata,"",@progbits
; Kernel info:
; codeLenInByte = 0
; NumSgprs: 0
; NumVgprs: 0
; ScratchSize: 0
; MemoryBound: 0
; FloatMode: 240
; IeeeMode: 1
; LDSByteSize: 0 bytes/workgroup (compile time only)
; SGPRBlocks: 0
; VGPRBlocks: 0
; NumSGPRsForWavesPerEU: 1
; NumVGPRsForWavesPerEU: 1
; Occupancy: 15
; WaveLimiterHint : 0
; COMPUTE_PGM_RSRC2:SCRATCH_EN: 0
; COMPUTE_PGM_RSRC2:USER_SGPR: 15
; COMPUTE_PGM_RSRC2:TRAP_HANDLER: 0
; COMPUTE_PGM_RSRC2:TGID_X_EN: 1
; COMPUTE_PGM_RSRC2:TGID_Y_EN: 0
; COMPUTE_PGM_RSRC2:TGID_Z_EN: 0
; COMPUTE_PGM_RSRC2:TIDIG_COMP_CNT: 0
	.section	.text._ZN7rocprim17ROCPRIM_400000_NS6detail17trampoline_kernelINS0_14default_configENS1_25partition_config_selectorILNS1_17partition_subalgoE9EllbEEZZNS1_14partition_implILS5_9ELb0ES3_jPlS8_PNS0_10empty_typeENS0_5tupleIJS8_S9_EEENSB_IJS8_SA_EEENS0_18inequality_wrapperIZN2at6native12_GLOBAL__N_124unique_dim_cuda_templateIlEESt5tupleIJNSF_6TensorESK_SK_EERKSK_lbbbEUlllE0_EEPmJS9_EEE10hipError_tPvRmT3_T4_T5_T6_T7_T9_mT8_P12ihipStream_tbDpT10_ENKUlT_T0_E_clISt17integral_constantIbLb0EES1A_EEDaS15_S16_EUlS15_E_NS1_11comp_targetILNS1_3genE10ELNS1_11target_archE1200ELNS1_3gpuE4ELNS1_3repE0EEENS1_30default_config_static_selectorELNS0_4arch9wavefront6targetE0EEEvT1_,"axG",@progbits,_ZN7rocprim17ROCPRIM_400000_NS6detail17trampoline_kernelINS0_14default_configENS1_25partition_config_selectorILNS1_17partition_subalgoE9EllbEEZZNS1_14partition_implILS5_9ELb0ES3_jPlS8_PNS0_10empty_typeENS0_5tupleIJS8_S9_EEENSB_IJS8_SA_EEENS0_18inequality_wrapperIZN2at6native12_GLOBAL__N_124unique_dim_cuda_templateIlEESt5tupleIJNSF_6TensorESK_SK_EERKSK_lbbbEUlllE0_EEPmJS9_EEE10hipError_tPvRmT3_T4_T5_T6_T7_T9_mT8_P12ihipStream_tbDpT10_ENKUlT_T0_E_clISt17integral_constantIbLb0EES1A_EEDaS15_S16_EUlS15_E_NS1_11comp_targetILNS1_3genE10ELNS1_11target_archE1200ELNS1_3gpuE4ELNS1_3repE0EEENS1_30default_config_static_selectorELNS0_4arch9wavefront6targetE0EEEvT1_,comdat
	.globl	_ZN7rocprim17ROCPRIM_400000_NS6detail17trampoline_kernelINS0_14default_configENS1_25partition_config_selectorILNS1_17partition_subalgoE9EllbEEZZNS1_14partition_implILS5_9ELb0ES3_jPlS8_PNS0_10empty_typeENS0_5tupleIJS8_S9_EEENSB_IJS8_SA_EEENS0_18inequality_wrapperIZN2at6native12_GLOBAL__N_124unique_dim_cuda_templateIlEESt5tupleIJNSF_6TensorESK_SK_EERKSK_lbbbEUlllE0_EEPmJS9_EEE10hipError_tPvRmT3_T4_T5_T6_T7_T9_mT8_P12ihipStream_tbDpT10_ENKUlT_T0_E_clISt17integral_constantIbLb0EES1A_EEDaS15_S16_EUlS15_E_NS1_11comp_targetILNS1_3genE10ELNS1_11target_archE1200ELNS1_3gpuE4ELNS1_3repE0EEENS1_30default_config_static_selectorELNS0_4arch9wavefront6targetE0EEEvT1_ ; -- Begin function _ZN7rocprim17ROCPRIM_400000_NS6detail17trampoline_kernelINS0_14default_configENS1_25partition_config_selectorILNS1_17partition_subalgoE9EllbEEZZNS1_14partition_implILS5_9ELb0ES3_jPlS8_PNS0_10empty_typeENS0_5tupleIJS8_S9_EEENSB_IJS8_SA_EEENS0_18inequality_wrapperIZN2at6native12_GLOBAL__N_124unique_dim_cuda_templateIlEESt5tupleIJNSF_6TensorESK_SK_EERKSK_lbbbEUlllE0_EEPmJS9_EEE10hipError_tPvRmT3_T4_T5_T6_T7_T9_mT8_P12ihipStream_tbDpT10_ENKUlT_T0_E_clISt17integral_constantIbLb0EES1A_EEDaS15_S16_EUlS15_E_NS1_11comp_targetILNS1_3genE10ELNS1_11target_archE1200ELNS1_3gpuE4ELNS1_3repE0EEENS1_30default_config_static_selectorELNS0_4arch9wavefront6targetE0EEEvT1_
	.p2align	8
	.type	_ZN7rocprim17ROCPRIM_400000_NS6detail17trampoline_kernelINS0_14default_configENS1_25partition_config_selectorILNS1_17partition_subalgoE9EllbEEZZNS1_14partition_implILS5_9ELb0ES3_jPlS8_PNS0_10empty_typeENS0_5tupleIJS8_S9_EEENSB_IJS8_SA_EEENS0_18inequality_wrapperIZN2at6native12_GLOBAL__N_124unique_dim_cuda_templateIlEESt5tupleIJNSF_6TensorESK_SK_EERKSK_lbbbEUlllE0_EEPmJS9_EEE10hipError_tPvRmT3_T4_T5_T6_T7_T9_mT8_P12ihipStream_tbDpT10_ENKUlT_T0_E_clISt17integral_constantIbLb0EES1A_EEDaS15_S16_EUlS15_E_NS1_11comp_targetILNS1_3genE10ELNS1_11target_archE1200ELNS1_3gpuE4ELNS1_3repE0EEENS1_30default_config_static_selectorELNS0_4arch9wavefront6targetE0EEEvT1_,@function
_ZN7rocprim17ROCPRIM_400000_NS6detail17trampoline_kernelINS0_14default_configENS1_25partition_config_selectorILNS1_17partition_subalgoE9EllbEEZZNS1_14partition_implILS5_9ELb0ES3_jPlS8_PNS0_10empty_typeENS0_5tupleIJS8_S9_EEENSB_IJS8_SA_EEENS0_18inequality_wrapperIZN2at6native12_GLOBAL__N_124unique_dim_cuda_templateIlEESt5tupleIJNSF_6TensorESK_SK_EERKSK_lbbbEUlllE0_EEPmJS9_EEE10hipError_tPvRmT3_T4_T5_T6_T7_T9_mT8_P12ihipStream_tbDpT10_ENKUlT_T0_E_clISt17integral_constantIbLb0EES1A_EEDaS15_S16_EUlS15_E_NS1_11comp_targetILNS1_3genE10ELNS1_11target_archE1200ELNS1_3gpuE4ELNS1_3repE0EEENS1_30default_config_static_selectorELNS0_4arch9wavefront6targetE0EEEvT1_: ; @_ZN7rocprim17ROCPRIM_400000_NS6detail17trampoline_kernelINS0_14default_configENS1_25partition_config_selectorILNS1_17partition_subalgoE9EllbEEZZNS1_14partition_implILS5_9ELb0ES3_jPlS8_PNS0_10empty_typeENS0_5tupleIJS8_S9_EEENSB_IJS8_SA_EEENS0_18inequality_wrapperIZN2at6native12_GLOBAL__N_124unique_dim_cuda_templateIlEESt5tupleIJNSF_6TensorESK_SK_EERKSK_lbbbEUlllE0_EEPmJS9_EEE10hipError_tPvRmT3_T4_T5_T6_T7_T9_mT8_P12ihipStream_tbDpT10_ENKUlT_T0_E_clISt17integral_constantIbLb0EES1A_EEDaS15_S16_EUlS15_E_NS1_11comp_targetILNS1_3genE10ELNS1_11target_archE1200ELNS1_3gpuE4ELNS1_3repE0EEENS1_30default_config_static_selectorELNS0_4arch9wavefront6targetE0EEEvT1_
; %bb.0:
	.section	.rodata,"a",@progbits
	.p2align	6, 0x0
	.amdhsa_kernel _ZN7rocprim17ROCPRIM_400000_NS6detail17trampoline_kernelINS0_14default_configENS1_25partition_config_selectorILNS1_17partition_subalgoE9EllbEEZZNS1_14partition_implILS5_9ELb0ES3_jPlS8_PNS0_10empty_typeENS0_5tupleIJS8_S9_EEENSB_IJS8_SA_EEENS0_18inequality_wrapperIZN2at6native12_GLOBAL__N_124unique_dim_cuda_templateIlEESt5tupleIJNSF_6TensorESK_SK_EERKSK_lbbbEUlllE0_EEPmJS9_EEE10hipError_tPvRmT3_T4_T5_T6_T7_T9_mT8_P12ihipStream_tbDpT10_ENKUlT_T0_E_clISt17integral_constantIbLb0EES1A_EEDaS15_S16_EUlS15_E_NS1_11comp_targetILNS1_3genE10ELNS1_11target_archE1200ELNS1_3gpuE4ELNS1_3repE0EEENS1_30default_config_static_selectorELNS0_4arch9wavefront6targetE0EEEvT1_
		.amdhsa_group_segment_fixed_size 0
		.amdhsa_private_segment_fixed_size 0
		.amdhsa_kernarg_size 120
		.amdhsa_user_sgpr_count 15
		.amdhsa_user_sgpr_dispatch_ptr 0
		.amdhsa_user_sgpr_queue_ptr 0
		.amdhsa_user_sgpr_kernarg_segment_ptr 1
		.amdhsa_user_sgpr_dispatch_id 0
		.amdhsa_user_sgpr_private_segment_size 0
		.amdhsa_wavefront_size32 1
		.amdhsa_uses_dynamic_stack 0
		.amdhsa_enable_private_segment 0
		.amdhsa_system_sgpr_workgroup_id_x 1
		.amdhsa_system_sgpr_workgroup_id_y 0
		.amdhsa_system_sgpr_workgroup_id_z 0
		.amdhsa_system_sgpr_workgroup_info 0
		.amdhsa_system_vgpr_workitem_id 0
		.amdhsa_next_free_vgpr 1
		.amdhsa_next_free_sgpr 1
		.amdhsa_reserve_vcc 0
		.amdhsa_float_round_mode_32 0
		.amdhsa_float_round_mode_16_64 0
		.amdhsa_float_denorm_mode_32 3
		.amdhsa_float_denorm_mode_16_64 3
		.amdhsa_dx10_clamp 1
		.amdhsa_ieee_mode 1
		.amdhsa_fp16_overflow 0
		.amdhsa_workgroup_processor_mode 1
		.amdhsa_memory_ordered 1
		.amdhsa_forward_progress 0
		.amdhsa_shared_vgpr_count 0
		.amdhsa_exception_fp_ieee_invalid_op 0
		.amdhsa_exception_fp_denorm_src 0
		.amdhsa_exception_fp_ieee_div_zero 0
		.amdhsa_exception_fp_ieee_overflow 0
		.amdhsa_exception_fp_ieee_underflow 0
		.amdhsa_exception_fp_ieee_inexact 0
		.amdhsa_exception_int_div_zero 0
	.end_amdhsa_kernel
	.section	.text._ZN7rocprim17ROCPRIM_400000_NS6detail17trampoline_kernelINS0_14default_configENS1_25partition_config_selectorILNS1_17partition_subalgoE9EllbEEZZNS1_14partition_implILS5_9ELb0ES3_jPlS8_PNS0_10empty_typeENS0_5tupleIJS8_S9_EEENSB_IJS8_SA_EEENS0_18inequality_wrapperIZN2at6native12_GLOBAL__N_124unique_dim_cuda_templateIlEESt5tupleIJNSF_6TensorESK_SK_EERKSK_lbbbEUlllE0_EEPmJS9_EEE10hipError_tPvRmT3_T4_T5_T6_T7_T9_mT8_P12ihipStream_tbDpT10_ENKUlT_T0_E_clISt17integral_constantIbLb0EES1A_EEDaS15_S16_EUlS15_E_NS1_11comp_targetILNS1_3genE10ELNS1_11target_archE1200ELNS1_3gpuE4ELNS1_3repE0EEENS1_30default_config_static_selectorELNS0_4arch9wavefront6targetE0EEEvT1_,"axG",@progbits,_ZN7rocprim17ROCPRIM_400000_NS6detail17trampoline_kernelINS0_14default_configENS1_25partition_config_selectorILNS1_17partition_subalgoE9EllbEEZZNS1_14partition_implILS5_9ELb0ES3_jPlS8_PNS0_10empty_typeENS0_5tupleIJS8_S9_EEENSB_IJS8_SA_EEENS0_18inequality_wrapperIZN2at6native12_GLOBAL__N_124unique_dim_cuda_templateIlEESt5tupleIJNSF_6TensorESK_SK_EERKSK_lbbbEUlllE0_EEPmJS9_EEE10hipError_tPvRmT3_T4_T5_T6_T7_T9_mT8_P12ihipStream_tbDpT10_ENKUlT_T0_E_clISt17integral_constantIbLb0EES1A_EEDaS15_S16_EUlS15_E_NS1_11comp_targetILNS1_3genE10ELNS1_11target_archE1200ELNS1_3gpuE4ELNS1_3repE0EEENS1_30default_config_static_selectorELNS0_4arch9wavefront6targetE0EEEvT1_,comdat
.Lfunc_end600:
	.size	_ZN7rocprim17ROCPRIM_400000_NS6detail17trampoline_kernelINS0_14default_configENS1_25partition_config_selectorILNS1_17partition_subalgoE9EllbEEZZNS1_14partition_implILS5_9ELb0ES3_jPlS8_PNS0_10empty_typeENS0_5tupleIJS8_S9_EEENSB_IJS8_SA_EEENS0_18inequality_wrapperIZN2at6native12_GLOBAL__N_124unique_dim_cuda_templateIlEESt5tupleIJNSF_6TensorESK_SK_EERKSK_lbbbEUlllE0_EEPmJS9_EEE10hipError_tPvRmT3_T4_T5_T6_T7_T9_mT8_P12ihipStream_tbDpT10_ENKUlT_T0_E_clISt17integral_constantIbLb0EES1A_EEDaS15_S16_EUlS15_E_NS1_11comp_targetILNS1_3genE10ELNS1_11target_archE1200ELNS1_3gpuE4ELNS1_3repE0EEENS1_30default_config_static_selectorELNS0_4arch9wavefront6targetE0EEEvT1_, .Lfunc_end600-_ZN7rocprim17ROCPRIM_400000_NS6detail17trampoline_kernelINS0_14default_configENS1_25partition_config_selectorILNS1_17partition_subalgoE9EllbEEZZNS1_14partition_implILS5_9ELb0ES3_jPlS8_PNS0_10empty_typeENS0_5tupleIJS8_S9_EEENSB_IJS8_SA_EEENS0_18inequality_wrapperIZN2at6native12_GLOBAL__N_124unique_dim_cuda_templateIlEESt5tupleIJNSF_6TensorESK_SK_EERKSK_lbbbEUlllE0_EEPmJS9_EEE10hipError_tPvRmT3_T4_T5_T6_T7_T9_mT8_P12ihipStream_tbDpT10_ENKUlT_T0_E_clISt17integral_constantIbLb0EES1A_EEDaS15_S16_EUlS15_E_NS1_11comp_targetILNS1_3genE10ELNS1_11target_archE1200ELNS1_3gpuE4ELNS1_3repE0EEENS1_30default_config_static_selectorELNS0_4arch9wavefront6targetE0EEEvT1_
                                        ; -- End function
	.section	.AMDGPU.csdata,"",@progbits
; Kernel info:
; codeLenInByte = 0
; NumSgprs: 0
; NumVgprs: 0
; ScratchSize: 0
; MemoryBound: 0
; FloatMode: 240
; IeeeMode: 1
; LDSByteSize: 0 bytes/workgroup (compile time only)
; SGPRBlocks: 0
; VGPRBlocks: 0
; NumSGPRsForWavesPerEU: 1
; NumVGPRsForWavesPerEU: 1
; Occupancy: 15
; WaveLimiterHint : 0
; COMPUTE_PGM_RSRC2:SCRATCH_EN: 0
; COMPUTE_PGM_RSRC2:USER_SGPR: 15
; COMPUTE_PGM_RSRC2:TRAP_HANDLER: 0
; COMPUTE_PGM_RSRC2:TGID_X_EN: 1
; COMPUTE_PGM_RSRC2:TGID_Y_EN: 0
; COMPUTE_PGM_RSRC2:TGID_Z_EN: 0
; COMPUTE_PGM_RSRC2:TIDIG_COMP_CNT: 0
	.section	.text._ZN7rocprim17ROCPRIM_400000_NS6detail17trampoline_kernelINS0_14default_configENS1_25partition_config_selectorILNS1_17partition_subalgoE9EllbEEZZNS1_14partition_implILS5_9ELb0ES3_jPlS8_PNS0_10empty_typeENS0_5tupleIJS8_S9_EEENSB_IJS8_SA_EEENS0_18inequality_wrapperIZN2at6native12_GLOBAL__N_124unique_dim_cuda_templateIlEESt5tupleIJNSF_6TensorESK_SK_EERKSK_lbbbEUlllE0_EEPmJS9_EEE10hipError_tPvRmT3_T4_T5_T6_T7_T9_mT8_P12ihipStream_tbDpT10_ENKUlT_T0_E_clISt17integral_constantIbLb0EES1A_EEDaS15_S16_EUlS15_E_NS1_11comp_targetILNS1_3genE9ELNS1_11target_archE1100ELNS1_3gpuE3ELNS1_3repE0EEENS1_30default_config_static_selectorELNS0_4arch9wavefront6targetE0EEEvT1_,"axG",@progbits,_ZN7rocprim17ROCPRIM_400000_NS6detail17trampoline_kernelINS0_14default_configENS1_25partition_config_selectorILNS1_17partition_subalgoE9EllbEEZZNS1_14partition_implILS5_9ELb0ES3_jPlS8_PNS0_10empty_typeENS0_5tupleIJS8_S9_EEENSB_IJS8_SA_EEENS0_18inequality_wrapperIZN2at6native12_GLOBAL__N_124unique_dim_cuda_templateIlEESt5tupleIJNSF_6TensorESK_SK_EERKSK_lbbbEUlllE0_EEPmJS9_EEE10hipError_tPvRmT3_T4_T5_T6_T7_T9_mT8_P12ihipStream_tbDpT10_ENKUlT_T0_E_clISt17integral_constantIbLb0EES1A_EEDaS15_S16_EUlS15_E_NS1_11comp_targetILNS1_3genE9ELNS1_11target_archE1100ELNS1_3gpuE3ELNS1_3repE0EEENS1_30default_config_static_selectorELNS0_4arch9wavefront6targetE0EEEvT1_,comdat
	.globl	_ZN7rocprim17ROCPRIM_400000_NS6detail17trampoline_kernelINS0_14default_configENS1_25partition_config_selectorILNS1_17partition_subalgoE9EllbEEZZNS1_14partition_implILS5_9ELb0ES3_jPlS8_PNS0_10empty_typeENS0_5tupleIJS8_S9_EEENSB_IJS8_SA_EEENS0_18inequality_wrapperIZN2at6native12_GLOBAL__N_124unique_dim_cuda_templateIlEESt5tupleIJNSF_6TensorESK_SK_EERKSK_lbbbEUlllE0_EEPmJS9_EEE10hipError_tPvRmT3_T4_T5_T6_T7_T9_mT8_P12ihipStream_tbDpT10_ENKUlT_T0_E_clISt17integral_constantIbLb0EES1A_EEDaS15_S16_EUlS15_E_NS1_11comp_targetILNS1_3genE9ELNS1_11target_archE1100ELNS1_3gpuE3ELNS1_3repE0EEENS1_30default_config_static_selectorELNS0_4arch9wavefront6targetE0EEEvT1_ ; -- Begin function _ZN7rocprim17ROCPRIM_400000_NS6detail17trampoline_kernelINS0_14default_configENS1_25partition_config_selectorILNS1_17partition_subalgoE9EllbEEZZNS1_14partition_implILS5_9ELb0ES3_jPlS8_PNS0_10empty_typeENS0_5tupleIJS8_S9_EEENSB_IJS8_SA_EEENS0_18inequality_wrapperIZN2at6native12_GLOBAL__N_124unique_dim_cuda_templateIlEESt5tupleIJNSF_6TensorESK_SK_EERKSK_lbbbEUlllE0_EEPmJS9_EEE10hipError_tPvRmT3_T4_T5_T6_T7_T9_mT8_P12ihipStream_tbDpT10_ENKUlT_T0_E_clISt17integral_constantIbLb0EES1A_EEDaS15_S16_EUlS15_E_NS1_11comp_targetILNS1_3genE9ELNS1_11target_archE1100ELNS1_3gpuE3ELNS1_3repE0EEENS1_30default_config_static_selectorELNS0_4arch9wavefront6targetE0EEEvT1_
	.p2align	8
	.type	_ZN7rocprim17ROCPRIM_400000_NS6detail17trampoline_kernelINS0_14default_configENS1_25partition_config_selectorILNS1_17partition_subalgoE9EllbEEZZNS1_14partition_implILS5_9ELb0ES3_jPlS8_PNS0_10empty_typeENS0_5tupleIJS8_S9_EEENSB_IJS8_SA_EEENS0_18inequality_wrapperIZN2at6native12_GLOBAL__N_124unique_dim_cuda_templateIlEESt5tupleIJNSF_6TensorESK_SK_EERKSK_lbbbEUlllE0_EEPmJS9_EEE10hipError_tPvRmT3_T4_T5_T6_T7_T9_mT8_P12ihipStream_tbDpT10_ENKUlT_T0_E_clISt17integral_constantIbLb0EES1A_EEDaS15_S16_EUlS15_E_NS1_11comp_targetILNS1_3genE9ELNS1_11target_archE1100ELNS1_3gpuE3ELNS1_3repE0EEENS1_30default_config_static_selectorELNS0_4arch9wavefront6targetE0EEEvT1_,@function
_ZN7rocprim17ROCPRIM_400000_NS6detail17trampoline_kernelINS0_14default_configENS1_25partition_config_selectorILNS1_17partition_subalgoE9EllbEEZZNS1_14partition_implILS5_9ELb0ES3_jPlS8_PNS0_10empty_typeENS0_5tupleIJS8_S9_EEENSB_IJS8_SA_EEENS0_18inequality_wrapperIZN2at6native12_GLOBAL__N_124unique_dim_cuda_templateIlEESt5tupleIJNSF_6TensorESK_SK_EERKSK_lbbbEUlllE0_EEPmJS9_EEE10hipError_tPvRmT3_T4_T5_T6_T7_T9_mT8_P12ihipStream_tbDpT10_ENKUlT_T0_E_clISt17integral_constantIbLb0EES1A_EEDaS15_S16_EUlS15_E_NS1_11comp_targetILNS1_3genE9ELNS1_11target_archE1100ELNS1_3gpuE3ELNS1_3repE0EEENS1_30default_config_static_selectorELNS0_4arch9wavefront6targetE0EEEvT1_: ; @_ZN7rocprim17ROCPRIM_400000_NS6detail17trampoline_kernelINS0_14default_configENS1_25partition_config_selectorILNS1_17partition_subalgoE9EllbEEZZNS1_14partition_implILS5_9ELb0ES3_jPlS8_PNS0_10empty_typeENS0_5tupleIJS8_S9_EEENSB_IJS8_SA_EEENS0_18inequality_wrapperIZN2at6native12_GLOBAL__N_124unique_dim_cuda_templateIlEESt5tupleIJNSF_6TensorESK_SK_EERKSK_lbbbEUlllE0_EEPmJS9_EEE10hipError_tPvRmT3_T4_T5_T6_T7_T9_mT8_P12ihipStream_tbDpT10_ENKUlT_T0_E_clISt17integral_constantIbLb0EES1A_EEDaS15_S16_EUlS15_E_NS1_11comp_targetILNS1_3genE9ELNS1_11target_archE1100ELNS1_3gpuE3ELNS1_3repE0EEENS1_30default_config_static_selectorELNS0_4arch9wavefront6targetE0EEEvT1_
; %bb.0:
	s_clause 0x3
	s_load_b128 s[4:7], s[0:1], 0x8
	s_load_b32 s8, s[0:1], 0x70
	s_load_b256 s[16:23], s[0:1], 0x40
	s_load_b64 s[24:25], s[0:1], 0x18
	s_mov_b32 s3, 0
	v_lshlrev_b32_e32 v55, 3, v0
	v_lshrrev_b32_e32 v33, 2, v0
	v_or_b32_e32 v38, 0x200, v0
	v_or_b32_e32 v36, 0x400, v0
	;; [unrolled: 1-line block ×7, first 2 shown]
	s_waitcnt lgkmcnt(0)
	s_lshl_b64 s[26:27], s[6:7], 3
	s_delay_alu instid0(SALU_CYCLE_1)
	s_add_u32 s9, s4, s26
	s_addc_u32 s10, s5, s27
	s_add_i32 s11, s8, -1
	s_load_b64 s[12:13], s[18:19], 0x0
	s_lshl_b32 s4, s11, 12
	s_lshl_b32 s5, s8, 12
	s_add_i32 s4, s6, s4
	s_lshl_b32 s2, s15, 12
	s_sub_i32 s28, s20, s4
	s_add_u32 s4, s6, s5
	s_addc_u32 s5, s7, 0
	s_cmp_eq_u32 s15, s11
	v_cmp_ge_u64_e64 s4, s[4:5], s[20:21]
	s_cselect_b32 s14, -1, 0
	s_lshl_b64 s[18:19], s[2:3], 3
	s_mov_b32 s3, -1
	s_delay_alu instid0(VALU_DEP_1) | instskip(NEXT) | instid1(SALU_CYCLE_1)
	s_and_b32 s21, s14, s4
	s_xor_b32 s20, s21, -1
	s_add_u32 s4, s9, s18
	s_addc_u32 s5, s10, s19
	s_and_b32 vcc_lo, exec_lo, s20
	s_cbranch_vccz .LBB601_2
; %bb.1:
	v_add_co_u32 v9, s2, s4, v55
	s_delay_alu instid0(VALU_DEP_1)
	v_add_co_ci_u32_e64 v10, null, s5, 0, s2
	global_load_b64 v[1:2], v55, s[4:5]
	v_add_co_u32 v3, vcc_lo, v9, 0x2000
	v_add_co_ci_u32_e32 v4, vcc_lo, 0, v10, vcc_lo
	v_add_co_u32 v5, vcc_lo, v9, 0x4000
	v_add_co_ci_u32_e32 v6, vcc_lo, 0, v10, vcc_lo
	;; [unrolled: 2-line block ×4, first 2 shown]
	s_clause 0x6
	global_load_b64 v[11:12], v[3:4], off offset:-4096
	global_load_b64 v[3:4], v[3:4], off
	global_load_b64 v[13:14], v[5:6], off offset:-4096
	global_load_b64 v[5:6], v[5:6], off
	;; [unrolled: 2-line block ×3, first 2 shown]
	global_load_b64 v[9:10], v[9:10], off
	v_lshrrev_b32_e32 v18, 2, v38
	v_lshrrev_b32_e32 v19, 2, v36
	;; [unrolled: 1-line block ×4, first 2 shown]
	v_and_b32_e32 v17, 0x78, v33
	v_lshrrev_b32_e32 v22, 2, v37
	v_lshrrev_b32_e32 v23, 2, v34
	v_lshrrev_b32_e32 v24, 2, v35
	v_and_b32_e32 v18, 0xf8, v18
	v_and_b32_e32 v19, 0x178, v19
	;; [unrolled: 1-line block ×4, first 2 shown]
	v_add_nc_u32_e32 v17, v17, v55
	v_and_b32_e32 v22, 0x2f8, v22
	v_and_b32_e32 v23, 0x378, v23
	;; [unrolled: 1-line block ×3, first 2 shown]
	v_add_nc_u32_e32 v18, v18, v55
	v_add_nc_u32_e32 v19, v19, v55
	;; [unrolled: 1-line block ×4, first 2 shown]
	s_mov_b32 s3, 0
	v_add_nc_u32_e32 v22, v22, v55
	v_add_nc_u32_e32 v23, v23, v55
	;; [unrolled: 1-line block ×3, first 2 shown]
	s_waitcnt vmcnt(7)
	ds_store_b64 v17, v[1:2]
	s_waitcnt vmcnt(6)
	ds_store_b64 v18, v[11:12] offset:4096
	s_waitcnt vmcnt(5)
	ds_store_b64 v19, v[3:4] offset:8192
	;; [unrolled: 2-line block ×7, first 2 shown]
	s_waitcnt lgkmcnt(0)
	s_barrier
.LBB601_2:
	s_load_b128 s[8:11], s[0:1], 0x60
	v_cmp_gt_u32_e64 s2, s28, v0
	s_and_not1_b32 vcc_lo, exec_lo, s3
	s_cbranch_vccnz .LBB601_20
; %bb.3:
                                        ; implicit-def: $vgpr1_vgpr2_vgpr3_vgpr4_vgpr5_vgpr6_vgpr7_vgpr8_vgpr9_vgpr10_vgpr11_vgpr12_vgpr13_vgpr14_vgpr15_vgpr16
	s_delay_alu instid0(VALU_DEP_1)
	s_and_saveexec_b32 s3, s2
	s_cbranch_execz .LBB601_11
; %bb.4:
	global_load_b64 v[1:2], v55, s[4:5]
	s_or_b32 exec_lo, exec_lo, s3
	s_delay_alu instid0(SALU_CYCLE_1)
	s_mov_b32 s2, exec_lo
	v_cmpx_gt_u32_e64 s28, v38
	s_cbranch_execnz .LBB601_12
.LBB601_5:
	s_or_b32 exec_lo, exec_lo, s2
	s_delay_alu instid0(SALU_CYCLE_1)
	s_mov_b32 s2, exec_lo
	v_cmpx_gt_u32_e64 s28, v36
	s_cbranch_execz .LBB601_13
.LBB601_6:
	v_lshlrev_b32_e32 v5, 3, v36
	global_load_b64 v[5:6], v5, s[4:5]
	s_or_b32 exec_lo, exec_lo, s2
	s_delay_alu instid0(SALU_CYCLE_1)
	s_mov_b32 s2, exec_lo
	v_cmpx_gt_u32_e64 s28, v40
	s_cbranch_execnz .LBB601_14
.LBB601_7:
	s_or_b32 exec_lo, exec_lo, s2
	s_delay_alu instid0(SALU_CYCLE_1)
	s_mov_b32 s2, exec_lo
	v_cmpx_gt_u32_e64 s28, v39
	s_cbranch_execz .LBB601_15
.LBB601_8:
	v_lshlrev_b32_e32 v9, 3, v39
	global_load_b64 v[9:10], v9, s[4:5]
	s_or_b32 exec_lo, exec_lo, s2
	s_delay_alu instid0(SALU_CYCLE_1)
	s_mov_b32 s2, exec_lo
	v_cmpx_gt_u32_e64 s28, v37
	s_cbranch_execnz .LBB601_16
.LBB601_9:
	s_or_b32 exec_lo, exec_lo, s2
	s_delay_alu instid0(SALU_CYCLE_1)
	s_mov_b32 s2, exec_lo
	v_cmpx_gt_u32_e64 s28, v34
	s_cbranch_execz .LBB601_17
.LBB601_10:
	v_lshlrev_b32_e32 v13, 3, v34
	global_load_b64 v[13:14], v13, s[4:5]
	s_or_b32 exec_lo, exec_lo, s2
	s_delay_alu instid0(SALU_CYCLE_1)
	s_mov_b32 s2, exec_lo
	v_cmpx_gt_u32_e64 s28, v35
	s_cbranch_execnz .LBB601_18
	s_branch .LBB601_19
.LBB601_11:
	s_or_b32 exec_lo, exec_lo, s3
	s_delay_alu instid0(SALU_CYCLE_1)
	s_mov_b32 s2, exec_lo
	v_cmpx_gt_u32_e64 s28, v38
	s_cbranch_execz .LBB601_5
.LBB601_12:
	v_lshlrev_b32_e32 v3, 3, v38
	global_load_b64 v[3:4], v3, s[4:5]
	s_or_b32 exec_lo, exec_lo, s2
	s_delay_alu instid0(SALU_CYCLE_1)
	s_mov_b32 s2, exec_lo
	v_cmpx_gt_u32_e64 s28, v36
	s_cbranch_execnz .LBB601_6
.LBB601_13:
	s_or_b32 exec_lo, exec_lo, s2
	s_delay_alu instid0(SALU_CYCLE_1)
	s_mov_b32 s2, exec_lo
	v_cmpx_gt_u32_e64 s28, v40
	s_cbranch_execz .LBB601_7
.LBB601_14:
	v_lshlrev_b32_e32 v7, 3, v40
	global_load_b64 v[7:8], v7, s[4:5]
	s_or_b32 exec_lo, exec_lo, s2
	s_delay_alu instid0(SALU_CYCLE_1)
	s_mov_b32 s2, exec_lo
	v_cmpx_gt_u32_e64 s28, v39
	s_cbranch_execnz .LBB601_8
.LBB601_15:
	s_or_b32 exec_lo, exec_lo, s2
	s_delay_alu instid0(SALU_CYCLE_1)
	s_mov_b32 s2, exec_lo
	v_cmpx_gt_u32_e64 s28, v37
	s_cbranch_execz .LBB601_9
.LBB601_16:
	v_lshlrev_b32_e32 v11, 3, v37
	global_load_b64 v[11:12], v11, s[4:5]
	s_or_b32 exec_lo, exec_lo, s2
	s_delay_alu instid0(SALU_CYCLE_1)
	s_mov_b32 s2, exec_lo
	v_cmpx_gt_u32_e64 s28, v34
	s_cbranch_execnz .LBB601_10
.LBB601_17:
	s_or_b32 exec_lo, exec_lo, s2
	s_delay_alu instid0(SALU_CYCLE_1)
	s_mov_b32 s2, exec_lo
	v_cmpx_gt_u32_e64 s28, v35
	s_cbranch_execz .LBB601_19
.LBB601_18:
	v_lshlrev_b32_e32 v15, 3, v35
	global_load_b64 v[15:16], v15, s[4:5]
.LBB601_19:
	s_or_b32 exec_lo, exec_lo, s2
	v_lshrrev_b32_e32 v17, 2, v38
	v_lshrrev_b32_e32 v18, 2, v36
	v_lshrrev_b32_e32 v20, 2, v40
	v_lshrrev_b32_e32 v21, 2, v39
	v_and_b32_e32 v19, 0x78, v33
	v_lshrrev_b32_e32 v22, 2, v37
	v_lshrrev_b32_e32 v23, 2, v34
	;; [unrolled: 1-line block ×3, first 2 shown]
	v_and_b32_e32 v17, 0xf8, v17
	v_and_b32_e32 v18, 0x1f8, v18
	;; [unrolled: 1-line block ×4, first 2 shown]
	v_add_nc_u32_e32 v19, v19, v55
	v_and_b32_e32 v22, 0x3f8, v22
	v_and_b32_e32 v23, 0x3f8, v23
	;; [unrolled: 1-line block ×3, first 2 shown]
	v_add_nc_u32_e32 v17, v17, v55
	v_add_nc_u32_e32 v18, v18, v55
	;; [unrolled: 1-line block ×7, first 2 shown]
	s_waitcnt vmcnt(0)
	ds_store_b64 v19, v[1:2]
	ds_store_b64 v17, v[3:4] offset:4096
	ds_store_b64 v18, v[5:6] offset:8192
	;; [unrolled: 1-line block ×7, first 2 shown]
	s_waitcnt lgkmcnt(0)
	s_barrier
.LBB601_20:
	v_add_lshl_u32 v41, v33, v55, 3
	s_waitcnt lgkmcnt(0)
	buffer_gl0_inv
	s_add_u32 s2, s24, s26
	s_addc_u32 s3, s25, s27
	s_add_u32 s2, s2, s18
	ds_load_2addr_b64 v[29:32], v41 offset1:1
	ds_load_2addr_b64 v[25:28], v41 offset0:2 offset1:3
	ds_load_2addr_b64 v[21:24], v41 offset0:4 offset1:5
	;; [unrolled: 1-line block ×3, first 2 shown]
	s_addc_u32 s3, s3, s19
	s_and_b32 vcc_lo, exec_lo, s20
	s_mov_b32 s18, -1
	s_waitcnt lgkmcnt(0)
	s_barrier
	buffer_gl0_inv
	s_cbranch_vccz .LBB601_22
; %bb.21:
	v_add_co_u32 v9, s18, s2, v55
	s_delay_alu instid0(VALU_DEP_1)
	v_add_co_ci_u32_e64 v10, null, s3, 0, s18
	global_load_b64 v[1:2], v55, s[2:3]
	v_add_co_u32 v3, vcc_lo, v9, 0x2000
	v_add_co_ci_u32_e32 v4, vcc_lo, 0, v10, vcc_lo
	v_add_co_u32 v5, vcc_lo, v9, 0x4000
	v_add_co_ci_u32_e32 v6, vcc_lo, 0, v10, vcc_lo
	;; [unrolled: 2-line block ×4, first 2 shown]
	s_clause 0x6
	global_load_b64 v[11:12], v[3:4], off offset:-4096
	global_load_b64 v[3:4], v[3:4], off
	global_load_b64 v[13:14], v[5:6], off offset:-4096
	global_load_b64 v[5:6], v[5:6], off
	;; [unrolled: 2-line block ×3, first 2 shown]
	global_load_b64 v[9:10], v[9:10], off
	v_lshrrev_b32_e32 v43, 2, v38
	v_lshrrev_b32_e32 v44, 2, v36
	;; [unrolled: 1-line block ×4, first 2 shown]
	v_and_b32_e32 v42, 0x78, v33
	v_lshrrev_b32_e32 v47, 2, v37
	v_lshrrev_b32_e32 v48, 2, v34
	v_lshrrev_b32_e32 v49, 2, v35
	v_and_b32_e32 v43, 0xf8, v43
	v_and_b32_e32 v44, 0x178, v44
	;; [unrolled: 1-line block ×4, first 2 shown]
	v_add_nc_u32_e32 v42, v42, v55
	v_and_b32_e32 v47, 0x2f8, v47
	v_and_b32_e32 v48, 0x378, v48
	;; [unrolled: 1-line block ×3, first 2 shown]
	v_add_nc_u32_e32 v43, v43, v55
	v_add_nc_u32_e32 v44, v44, v55
	;; [unrolled: 1-line block ×4, first 2 shown]
	s_mov_b32 s18, 0
	v_add_nc_u32_e32 v47, v47, v55
	v_add_nc_u32_e32 v48, v48, v55
	v_add_nc_u32_e32 v49, v49, v55
	s_waitcnt vmcnt(7)
	ds_store_b64 v42, v[1:2]
	s_waitcnt vmcnt(6)
	ds_store_b64 v43, v[11:12] offset:4096
	s_waitcnt vmcnt(5)
	ds_store_b64 v44, v[3:4] offset:8192
	;; [unrolled: 2-line block ×7, first 2 shown]
	s_waitcnt lgkmcnt(0)
	s_barrier
.LBB601_22:
	s_and_not1_b32 vcc_lo, exec_lo, s18
	s_cbranch_vccnz .LBB601_40
; %bb.23:
	s_mov_b32 s18, exec_lo
                                        ; implicit-def: $vgpr1_vgpr2
	v_cmpx_gt_u32_e64 s28, v0
	s_cbranch_execz .LBB601_25
; %bb.24:
	global_load_b64 v[1:2], v55, s[2:3]
.LBB601_25:
	s_or_b32 exec_lo, exec_lo, s18
	s_delay_alu instid0(SALU_CYCLE_1)
	s_mov_b32 s18, exec_lo
                                        ; implicit-def: $vgpr3_vgpr4
	v_cmpx_gt_u32_e64 s28, v38
	s_cbranch_execz .LBB601_27
; %bb.26:
	v_lshlrev_b32_e32 v3, 3, v38
	global_load_b64 v[3:4], v3, s[2:3]
.LBB601_27:
	s_or_b32 exec_lo, exec_lo, s18
	s_delay_alu instid0(SALU_CYCLE_1)
	s_mov_b32 s18, exec_lo
                                        ; implicit-def: $vgpr5_vgpr6
	v_cmpx_gt_u32_e64 s28, v36
	s_cbranch_execz .LBB601_29
; %bb.28:
	v_lshlrev_b32_e32 v5, 3, v36
	global_load_b64 v[5:6], v5, s[2:3]
.LBB601_29:
	s_or_b32 exec_lo, exec_lo, s18
	s_delay_alu instid0(SALU_CYCLE_1)
	s_mov_b32 s18, exec_lo
                                        ; implicit-def: $vgpr7_vgpr8
	v_cmpx_gt_u32_e64 s28, v40
	s_cbranch_execz .LBB601_31
; %bb.30:
	v_lshlrev_b32_e32 v7, 3, v40
	global_load_b64 v[7:8], v7, s[2:3]
.LBB601_31:
	s_or_b32 exec_lo, exec_lo, s18
	s_delay_alu instid0(SALU_CYCLE_1)
	s_mov_b32 s18, exec_lo
                                        ; implicit-def: $vgpr9_vgpr10
	v_cmpx_gt_u32_e64 s28, v39
	s_cbranch_execz .LBB601_33
; %bb.32:
	v_lshlrev_b32_e32 v9, 3, v39
	global_load_b64 v[9:10], v9, s[2:3]
.LBB601_33:
	s_or_b32 exec_lo, exec_lo, s18
	s_delay_alu instid0(SALU_CYCLE_1)
	s_mov_b32 s18, exec_lo
                                        ; implicit-def: $vgpr11_vgpr12
	v_cmpx_gt_u32_e64 s28, v37
	s_cbranch_execz .LBB601_35
; %bb.34:
	v_lshlrev_b32_e32 v11, 3, v37
	global_load_b64 v[11:12], v11, s[2:3]
.LBB601_35:
	s_or_b32 exec_lo, exec_lo, s18
	s_delay_alu instid0(SALU_CYCLE_1)
	s_mov_b32 s18, exec_lo
                                        ; implicit-def: $vgpr13_vgpr14
	v_cmpx_gt_u32_e64 s28, v34
	s_cbranch_execz .LBB601_37
; %bb.36:
	v_lshlrev_b32_e32 v13, 3, v34
	global_load_b64 v[13:14], v13, s[2:3]
.LBB601_37:
	s_or_b32 exec_lo, exec_lo, s18
	s_delay_alu instid0(SALU_CYCLE_1)
	s_mov_b32 s18, exec_lo
                                        ; implicit-def: $vgpr15_vgpr16
	v_cmpx_gt_u32_e64 s28, v35
	s_cbranch_execz .LBB601_39
; %bb.38:
	v_lshlrev_b32_e32 v15, 3, v35
	global_load_b64 v[15:16], v15, s[2:3]
.LBB601_39:
	s_or_b32 exec_lo, exec_lo, s18
	v_lshrrev_b32_e32 v38, 2, v38
	v_lshrrev_b32_e32 v36, 2, v36
	;; [unrolled: 1-line block ×4, first 2 shown]
	v_and_b32_e32 v33, 0x78, v33
	v_lshrrev_b32_e32 v37, 2, v37
	v_lshrrev_b32_e32 v34, 2, v34
	;; [unrolled: 1-line block ×3, first 2 shown]
	v_and_b32_e32 v38, 0xf8, v38
	v_and_b32_e32 v36, 0x1f8, v36
	;; [unrolled: 1-line block ×4, first 2 shown]
	v_add_nc_u32_e32 v33, v33, v55
	v_and_b32_e32 v37, 0x3f8, v37
	v_and_b32_e32 v34, 0x3f8, v34
	;; [unrolled: 1-line block ×3, first 2 shown]
	v_add_nc_u32_e32 v38, v38, v55
	v_add_nc_u32_e32 v36, v36, v55
	;; [unrolled: 1-line block ×7, first 2 shown]
	s_waitcnt vmcnt(0)
	ds_store_b64 v33, v[1:2]
	ds_store_b64 v38, v[3:4] offset:4096
	ds_store_b64 v36, v[5:6] offset:8192
	;; [unrolled: 1-line block ×7, first 2 shown]
	s_waitcnt lgkmcnt(0)
	s_barrier
.LBB601_40:
	buffer_gl0_inv
	ds_load_2addr_b64 v[13:16], v41 offset1:1
	ds_load_2addr_b64 v[9:12], v41 offset0:2 offset1:3
	ds_load_2addr_b64 v[5:8], v41 offset0:4 offset1:5
	;; [unrolled: 1-line block ×3, first 2 shown]
	s_cmp_lg_u32 s15, 0
	v_cmp_gt_i64_e64 s25, s[22:23], 0
	s_cselect_b32 s24, -1, 0
	s_cmp_lg_u64 s[6:7], 0
	s_mov_b32 s3, 0
	s_cselect_b32 s2, -1, 0
	s_waitcnt lgkmcnt(0)
	s_or_b32 s2, s24, s2
	s_barrier
	s_and_b32 vcc_lo, exec_lo, s2
	buffer_gl0_inv
	s_cbranch_vccz .LBB601_49
; %bb.41:
	s_add_u32 s2, s4, -8
	s_addc_u32 s3, s5, -1
	v_cndmask_b32_e64 v41, 0, 1, s25
	s_load_b64 s[4:5], s[2:3], 0x0
	s_and_b32 vcc_lo, exec_lo, s20
	ds_store_b64 v55, v[19:20]
	v_cmp_ne_u32_e64 s2, 1, v41
	s_cbranch_vccz .LBB601_50
; %bb.42:
	v_mul_lo_u32 v35, v18, s22
	v_mul_lo_u32 v36, v17, s23
	v_mad_u64_u32 v[33:34], null, v17, s22, 0
	s_mov_b32 s3, 0
	s_and_b32 vcc_lo, exec_lo, s2
	s_mov_b32 s26, 0
	s_delay_alu instid0(VALU_DEP_1) | instskip(NEXT) | instid1(VALU_DEP_1)
	v_add3_u32 v34, v34, v36, v35
	v_lshlrev_b64 v[33:34], 3, v[33:34]
	s_cbranch_vccnz .LBB601_53
; %bb.43:
	v_mul_lo_u32 v37, v20, s22
	v_mul_lo_u32 v38, v19, s23
	v_mad_u64_u32 v[35:36], null, v19, s22, 0
	s_mov_b32 s26, -1
	s_mov_b32 s27, exec_lo
	s_delay_alu instid0(VALU_DEP_1) | instskip(SKIP_2) | instid1(VALU_DEP_3)
	v_add3_u32 v36, v36, v38, v37
	v_add_co_u32 v37, vcc_lo, s8, v33
	v_add_co_ci_u32_e32 v38, vcc_lo, s9, v34, vcc_lo
	v_lshlrev_b64 v[35:36], 3, v[35:36]
	s_delay_alu instid0(VALU_DEP_1) | instskip(NEXT) | instid1(VALU_DEP_2)
	v_add_co_u32 v35, vcc_lo, s8, v35
	v_add_co_ci_u32_e32 v36, vcc_lo, s9, v36, vcc_lo
	s_clause 0x1
	global_load_b64 v[39:40], v[37:38], off
	global_load_b64 v[42:43], v[35:36], off
	s_waitcnt vmcnt(0)
	v_cmpx_eq_u64_e64 v[39:40], v[42:43]
	s_cbranch_execz .LBB601_52
; %bb.44:
	v_add_co_u32 v35, vcc_lo, v35, 8
	v_add_co_ci_u32_e32 v36, vcc_lo, 0, v36, vcc_lo
	v_add_co_u32 v37, vcc_lo, v37, 8
	v_add_co_ci_u32_e32 v38, vcc_lo, 0, v38, vcc_lo
	s_add_u32 s6, s22, -1
	s_addc_u32 s7, s23, -1
	s_mov_b64 s[18:19], 0
	s_mov_b32 s26, 0
                                        ; implicit-def: $sgpr29
	s_set_inst_prefetch_distance 0x1
	s_branch .LBB601_47
	.p2align	6
.LBB601_45:                             ;   in Loop: Header=BB601_47 Depth=1
	global_load_b64 v[39:40], v[37:38], off
	global_load_b64 v[42:43], v[35:36], off
	v_add_co_u32 v35, vcc_lo, v35, 8
	v_add_co_ci_u32_e32 v36, vcc_lo, 0, v36, vcc_lo
	v_add_co_u32 v37, s2, v37, 8
	s_delay_alu instid0(VALU_DEP_1)
	v_add_co_ci_u32_e64 v38, s2, 0, v38, s2
	s_add_u32 s18, s18, 1
	s_addc_u32 s19, s19, 0
	s_and_not1_b32 s2, s29, exec_lo
	s_waitcnt vmcnt(0)
	v_cmp_ne_u64_e32 vcc_lo, v[39:40], v[42:43]
	s_and_b32 s29, vcc_lo, exec_lo
	s_delay_alu instid0(SALU_CYCLE_1)
	s_or_b32 s29, s2, s29
.LBB601_46:                             ;   in Loop: Header=BB601_47 Depth=1
	v_dual_mov_b32 v40, s19 :: v_dual_mov_b32 v39, s18
	s_and_b32 s2, exec_lo, s29
	s_delay_alu instid0(SALU_CYCLE_1) | instskip(NEXT) | instid1(SALU_CYCLE_1)
	s_or_b32 s26, s2, s26
	s_and_not1_b32 exec_lo, exec_lo, s26
	s_cbranch_execz .LBB601_51
.LBB601_47:                             ; =>This Inner Loop Header: Depth=1
	s_or_b32 s29, s29, exec_lo
	s_cmp_eq_u64 s[6:7], s[18:19]
	s_cbranch_scc0 .LBB601_45
; %bb.48:                               ;   in Loop: Header=BB601_47 Depth=1
	s_mov_b64 s[18:19], s[22:23]
                                        ; implicit-def: $vgpr35_vgpr36
                                        ; implicit-def: $vgpr37_vgpr38
	s_branch .LBB601_46
.LBB601_49:
                                        ; implicit-def: $sgpr2
                                        ; implicit-def: $vgpr34
	s_branch .LBB601_211
.LBB601_50:
                                        ; implicit-def: $sgpr2
                                        ; implicit-def: $vgpr34
	s_cbranch_execnz .LBB601_119
	s_branch .LBB601_210
.LBB601_51:
	s_set_inst_prefetch_distance 0x2
	s_or_b32 exec_lo, exec_lo, s26
	v_cmp_gt_i64_e32 vcc_lo, s[22:23], v[39:40]
	s_or_not1_b32 s26, vcc_lo, exec_lo
.LBB601_52:
	s_or_b32 exec_lo, exec_lo, s27
.LBB601_53:
	v_mul_lo_u32 v37, v24, s22
	v_mul_lo_u32 v38, v23, s23
	v_mad_u64_u32 v[35:36], null, v23, s22, 0
	s_and_not1_b32 vcc_lo, exec_lo, s25
	s_delay_alu instid0(VALU_DEP_1) | instskip(NEXT) | instid1(VALU_DEP_1)
	v_add3_u32 v36, v36, v38, v37
	v_lshlrev_b64 v[35:36], 3, v[35:36]
	s_cbranch_vccnz .LBB601_62
; %bb.54:
	s_delay_alu instid0(VALU_DEP_1) | instskip(NEXT) | instid1(VALU_DEP_2)
	v_add_co_u32 v37, vcc_lo, s8, v35
	v_add_co_ci_u32_e32 v38, vcc_lo, s9, v36, vcc_lo
	v_add_co_u32 v33, vcc_lo, s8, v33
	v_add_co_ci_u32_e32 v34, vcc_lo, s9, v34, vcc_lo
	s_mov_b32 s3, -1
	s_clause 0x1
	global_load_b64 v[39:40], v[37:38], off
	global_load_b64 v[42:43], v[33:34], off
	s_mov_b32 s27, exec_lo
	s_waitcnt vmcnt(0)
	v_cmpx_eq_u64_e64 v[39:40], v[42:43]
	s_cbranch_execz .LBB601_61
; %bb.55:
	v_add_co_u32 v33, vcc_lo, v33, 8
	v_add_co_ci_u32_e32 v34, vcc_lo, 0, v34, vcc_lo
	v_add_co_u32 v37, vcc_lo, v37, 8
	v_add_co_ci_u32_e32 v38, vcc_lo, 0, v38, vcc_lo
	s_add_u32 s6, s22, -1
	s_addc_u32 s7, s23, -1
	s_mov_b64 s[18:19], 0
	s_mov_b32 s3, 0
                                        ; implicit-def: $sgpr29
	s_set_inst_prefetch_distance 0x1
	s_branch .LBB601_58
	.p2align	6
.LBB601_56:                             ;   in Loop: Header=BB601_58 Depth=1
	global_load_b64 v[39:40], v[37:38], off
	global_load_b64 v[42:43], v[33:34], off
	v_add_co_u32 v33, vcc_lo, v33, 8
	v_add_co_ci_u32_e32 v34, vcc_lo, 0, v34, vcc_lo
	v_add_co_u32 v37, s2, v37, 8
	s_delay_alu instid0(VALU_DEP_1)
	v_add_co_ci_u32_e64 v38, s2, 0, v38, s2
	s_add_u32 s18, s18, 1
	s_addc_u32 s19, s19, 0
	s_and_not1_b32 s2, s29, exec_lo
	s_waitcnt vmcnt(0)
	v_cmp_ne_u64_e32 vcc_lo, v[39:40], v[42:43]
	s_and_b32 s29, vcc_lo, exec_lo
	s_delay_alu instid0(SALU_CYCLE_1)
	s_or_b32 s29, s2, s29
.LBB601_57:                             ;   in Loop: Header=BB601_58 Depth=1
	v_dual_mov_b32 v40, s19 :: v_dual_mov_b32 v39, s18
	s_and_b32 s2, exec_lo, s29
	s_delay_alu instid0(SALU_CYCLE_1) | instskip(NEXT) | instid1(SALU_CYCLE_1)
	s_or_b32 s3, s2, s3
	s_and_not1_b32 exec_lo, exec_lo, s3
	s_cbranch_execz .LBB601_60
.LBB601_58:                             ; =>This Inner Loop Header: Depth=1
	s_or_b32 s29, s29, exec_lo
	s_cmp_eq_u64 s[6:7], s[18:19]
	s_cbranch_scc0 .LBB601_56
; %bb.59:                               ;   in Loop: Header=BB601_58 Depth=1
	s_mov_b64 s[18:19], s[22:23]
                                        ; implicit-def: $vgpr33_vgpr34
                                        ; implicit-def: $vgpr37_vgpr38
	s_branch .LBB601_57
.LBB601_60:
	s_set_inst_prefetch_distance 0x2
	s_or_b32 exec_lo, exec_lo, s3
	v_cmp_gt_i64_e32 vcc_lo, s[22:23], v[39:40]
	s_or_not1_b32 s3, vcc_lo, exec_lo
.LBB601_61:
	s_or_b32 exec_lo, exec_lo, s27
.LBB601_62:
	v_mul_lo_u32 v37, v22, s22
	v_mul_lo_u32 v38, v21, s23
	v_mad_u64_u32 v[33:34], null, v21, s22, 0
	s_mov_b32 s27, 0
	s_and_not1_b32 vcc_lo, exec_lo, s25
	s_mov_b32 s29, 0
	s_delay_alu instid0(VALU_DEP_1) | instskip(NEXT) | instid1(VALU_DEP_1)
	v_add3_u32 v34, v34, v38, v37
	v_lshlrev_b64 v[37:38], 3, v[33:34]
	s_cbranch_vccnz .LBB601_71
; %bb.63:
	s_delay_alu instid0(VALU_DEP_1) | instskip(NEXT) | instid1(VALU_DEP_2)
	v_add_co_u32 v39, vcc_lo, s8, v37
	v_add_co_ci_u32_e32 v40, vcc_lo, s9, v38, vcc_lo
	v_add_co_u32 v33, vcc_lo, s8, v35
	v_add_co_ci_u32_e32 v34, vcc_lo, s9, v36, vcc_lo
	s_mov_b32 s29, -1
	s_clause 0x1
	global_load_b64 v[35:36], v[39:40], off
	global_load_b64 v[42:43], v[33:34], off
	s_mov_b32 s30, exec_lo
	s_waitcnt vmcnt(0)
	v_cmpx_eq_u64_e64 v[35:36], v[42:43]
	s_cbranch_execz .LBB601_70
; %bb.64:
	v_add_co_u32 v33, vcc_lo, v33, 8
	v_add_co_ci_u32_e32 v34, vcc_lo, 0, v34, vcc_lo
	v_add_co_u32 v35, vcc_lo, v39, 8
	v_add_co_ci_u32_e32 v36, vcc_lo, 0, v40, vcc_lo
	s_add_u32 s6, s22, -1
	s_addc_u32 s7, s23, -1
	s_mov_b64 s[18:19], 0
	s_mov_b32 s29, 0
                                        ; implicit-def: $sgpr31
	s_set_inst_prefetch_distance 0x1
	s_branch .LBB601_67
	.p2align	6
.LBB601_65:                             ;   in Loop: Header=BB601_67 Depth=1
	global_load_b64 v[39:40], v[35:36], off
	global_load_b64 v[42:43], v[33:34], off
	v_add_co_u32 v33, vcc_lo, v33, 8
	v_add_co_ci_u32_e32 v34, vcc_lo, 0, v34, vcc_lo
	v_add_co_u32 v35, s2, v35, 8
	s_delay_alu instid0(VALU_DEP_1)
	v_add_co_ci_u32_e64 v36, s2, 0, v36, s2
	s_add_u32 s18, s18, 1
	s_addc_u32 s19, s19, 0
	s_and_not1_b32 s2, s31, exec_lo
	s_waitcnt vmcnt(0)
	v_cmp_ne_u64_e32 vcc_lo, v[39:40], v[42:43]
	s_and_b32 s31, vcc_lo, exec_lo
	s_delay_alu instid0(SALU_CYCLE_1)
	s_or_b32 s31, s2, s31
.LBB601_66:                             ;   in Loop: Header=BB601_67 Depth=1
	v_dual_mov_b32 v40, s19 :: v_dual_mov_b32 v39, s18
	s_and_b32 s2, exec_lo, s31
	s_delay_alu instid0(SALU_CYCLE_1) | instskip(NEXT) | instid1(SALU_CYCLE_1)
	s_or_b32 s29, s2, s29
	s_and_not1_b32 exec_lo, exec_lo, s29
	s_cbranch_execz .LBB601_69
.LBB601_67:                             ; =>This Inner Loop Header: Depth=1
	s_or_b32 s31, s31, exec_lo
	s_cmp_eq_u64 s[6:7], s[18:19]
	s_cbranch_scc0 .LBB601_65
; %bb.68:                               ;   in Loop: Header=BB601_67 Depth=1
	s_mov_b64 s[18:19], s[22:23]
                                        ; implicit-def: $vgpr33_vgpr34
                                        ; implicit-def: $vgpr35_vgpr36
	s_branch .LBB601_66
.LBB601_69:
	s_set_inst_prefetch_distance 0x2
	s_or_b32 exec_lo, exec_lo, s29
	v_cmp_gt_i64_e32 vcc_lo, s[22:23], v[39:40]
	s_or_not1_b32 s29, vcc_lo, exec_lo
.LBB601_70:
	s_or_b32 exec_lo, exec_lo, s30
.LBB601_71:
	v_mul_lo_u32 v35, v28, s22
	v_mul_lo_u32 v36, v27, s23
	v_mad_u64_u32 v[33:34], null, v27, s22, 0
	s_and_not1_b32 vcc_lo, exec_lo, s25
	s_delay_alu instid0(VALU_DEP_1) | instskip(NEXT) | instid1(VALU_DEP_1)
	v_add3_u32 v34, v34, v36, v35
	v_lshlrev_b64 v[33:34], 3, v[33:34]
	s_cbranch_vccnz .LBB601_80
; %bb.72:
	s_delay_alu instid0(VALU_DEP_1) | instskip(NEXT) | instid1(VALU_DEP_2)
	v_add_co_u32 v39, vcc_lo, s8, v33
	v_add_co_ci_u32_e32 v40, vcc_lo, s9, v34, vcc_lo
	v_add_co_u32 v35, vcc_lo, s8, v37
	v_add_co_ci_u32_e32 v36, vcc_lo, s9, v38, vcc_lo
	s_mov_b32 s27, -1
	s_clause 0x1
	global_load_b64 v[37:38], v[39:40], off
	global_load_b64 v[42:43], v[35:36], off
	s_mov_b32 s30, exec_lo
	s_waitcnt vmcnt(0)
	v_cmpx_eq_u64_e64 v[37:38], v[42:43]
	s_cbranch_execz .LBB601_79
; %bb.73:
	v_add_co_u32 v35, vcc_lo, v35, 8
	v_add_co_ci_u32_e32 v36, vcc_lo, 0, v36, vcc_lo
	v_add_co_u32 v37, vcc_lo, v39, 8
	v_add_co_ci_u32_e32 v38, vcc_lo, 0, v40, vcc_lo
	s_add_u32 s6, s22, -1
	s_addc_u32 s7, s23, -1
	s_mov_b64 s[18:19], 0
	s_mov_b32 s27, 0
                                        ; implicit-def: $sgpr31
	s_set_inst_prefetch_distance 0x1
	s_branch .LBB601_76
	.p2align	6
.LBB601_74:                             ;   in Loop: Header=BB601_76 Depth=1
	global_load_b64 v[39:40], v[37:38], off
	global_load_b64 v[42:43], v[35:36], off
	v_add_co_u32 v35, vcc_lo, v35, 8
	v_add_co_ci_u32_e32 v36, vcc_lo, 0, v36, vcc_lo
	v_add_co_u32 v37, s2, v37, 8
	s_delay_alu instid0(VALU_DEP_1)
	v_add_co_ci_u32_e64 v38, s2, 0, v38, s2
	s_add_u32 s18, s18, 1
	s_addc_u32 s19, s19, 0
	s_and_not1_b32 s2, s31, exec_lo
	s_waitcnt vmcnt(0)
	v_cmp_ne_u64_e32 vcc_lo, v[39:40], v[42:43]
	s_and_b32 s31, vcc_lo, exec_lo
	s_delay_alu instid0(SALU_CYCLE_1)
	s_or_b32 s31, s2, s31
.LBB601_75:                             ;   in Loop: Header=BB601_76 Depth=1
	v_dual_mov_b32 v40, s19 :: v_dual_mov_b32 v39, s18
	s_and_b32 s2, exec_lo, s31
	s_delay_alu instid0(SALU_CYCLE_1) | instskip(NEXT) | instid1(SALU_CYCLE_1)
	s_or_b32 s27, s2, s27
	s_and_not1_b32 exec_lo, exec_lo, s27
	s_cbranch_execz .LBB601_78
.LBB601_76:                             ; =>This Inner Loop Header: Depth=1
	s_or_b32 s31, s31, exec_lo
	s_cmp_eq_u64 s[6:7], s[18:19]
	s_cbranch_scc0 .LBB601_74
; %bb.77:                               ;   in Loop: Header=BB601_76 Depth=1
	s_mov_b64 s[18:19], s[22:23]
                                        ; implicit-def: $vgpr35_vgpr36
                                        ; implicit-def: $vgpr37_vgpr38
	s_branch .LBB601_75
.LBB601_78:
	s_set_inst_prefetch_distance 0x2
	s_or_b32 exec_lo, exec_lo, s27
	v_cmp_gt_i64_e32 vcc_lo, s[22:23], v[39:40]
	s_or_not1_b32 s27, vcc_lo, exec_lo
.LBB601_79:
	s_or_b32 exec_lo, exec_lo, s30
.LBB601_80:
	v_mul_lo_u32 v37, v26, s22
	v_mul_lo_u32 v38, v25, s23
	v_mad_u64_u32 v[35:36], null, v25, s22, 0
	s_mov_b32 s30, 0
	s_and_not1_b32 vcc_lo, exec_lo, s25
	s_mov_b32 s31, 0
	s_delay_alu instid0(VALU_DEP_1) | instskip(NEXT) | instid1(VALU_DEP_1)
	v_add3_u32 v36, v36, v38, v37
	v_lshlrev_b64 v[37:38], 3, v[35:36]
	s_cbranch_vccnz .LBB601_89
; %bb.81:
	s_delay_alu instid0(VALU_DEP_1) | instskip(NEXT) | instid1(VALU_DEP_2)
	v_add_co_u32 v35, vcc_lo, s8, v37
	v_add_co_ci_u32_e32 v36, vcc_lo, s9, v38, vcc_lo
	v_add_co_u32 v33, vcc_lo, s8, v33
	v_add_co_ci_u32_e32 v34, vcc_lo, s9, v34, vcc_lo
	s_mov_b32 s31, -1
	s_clause 0x1
	global_load_b64 v[39:40], v[35:36], off
	global_load_b64 v[42:43], v[33:34], off
	s_mov_b32 s33, exec_lo
	s_waitcnt vmcnt(0)
	v_cmpx_eq_u64_e64 v[39:40], v[42:43]
	s_cbranch_execz .LBB601_88
; %bb.82:
	v_add_co_u32 v33, vcc_lo, v33, 8
	v_add_co_ci_u32_e32 v34, vcc_lo, 0, v34, vcc_lo
	v_add_co_u32 v35, vcc_lo, v35, 8
	v_add_co_ci_u32_e32 v36, vcc_lo, 0, v36, vcc_lo
	s_add_u32 s6, s22, -1
	s_addc_u32 s7, s23, -1
	s_mov_b64 s[18:19], 0
	s_mov_b32 s31, 0
                                        ; implicit-def: $sgpr34
	s_set_inst_prefetch_distance 0x1
	s_branch .LBB601_85
	.p2align	6
.LBB601_83:                             ;   in Loop: Header=BB601_85 Depth=1
	global_load_b64 v[39:40], v[35:36], off
	global_load_b64 v[42:43], v[33:34], off
	v_add_co_u32 v33, vcc_lo, v33, 8
	v_add_co_ci_u32_e32 v34, vcc_lo, 0, v34, vcc_lo
	v_add_co_u32 v35, s2, v35, 8
	s_delay_alu instid0(VALU_DEP_1)
	v_add_co_ci_u32_e64 v36, s2, 0, v36, s2
	s_add_u32 s18, s18, 1
	s_addc_u32 s19, s19, 0
	s_and_not1_b32 s2, s34, exec_lo
	s_waitcnt vmcnt(0)
	v_cmp_ne_u64_e32 vcc_lo, v[39:40], v[42:43]
	s_and_b32 s34, vcc_lo, exec_lo
	s_delay_alu instid0(SALU_CYCLE_1)
	s_or_b32 s34, s2, s34
.LBB601_84:                             ;   in Loop: Header=BB601_85 Depth=1
	v_dual_mov_b32 v40, s19 :: v_dual_mov_b32 v39, s18
	s_and_b32 s2, exec_lo, s34
	s_delay_alu instid0(SALU_CYCLE_1) | instskip(NEXT) | instid1(SALU_CYCLE_1)
	s_or_b32 s31, s2, s31
	s_and_not1_b32 exec_lo, exec_lo, s31
	s_cbranch_execz .LBB601_87
.LBB601_85:                             ; =>This Inner Loop Header: Depth=1
	s_or_b32 s34, s34, exec_lo
	s_cmp_eq_u64 s[6:7], s[18:19]
	s_cbranch_scc0 .LBB601_83
; %bb.86:                               ;   in Loop: Header=BB601_85 Depth=1
	s_mov_b64 s[18:19], s[22:23]
                                        ; implicit-def: $vgpr33_vgpr34
                                        ; implicit-def: $vgpr35_vgpr36
	s_branch .LBB601_84
.LBB601_87:
	s_set_inst_prefetch_distance 0x2
	s_or_b32 exec_lo, exec_lo, s31
	v_cmp_gt_i64_e32 vcc_lo, s[22:23], v[39:40]
	s_or_not1_b32 s31, vcc_lo, exec_lo
.LBB601_88:
	s_or_b32 exec_lo, exec_lo, s33
.LBB601_89:
	v_mul_lo_u32 v35, v32, s22
	v_mul_lo_u32 v36, v31, s23
	v_mad_u64_u32 v[33:34], null, v31, s22, 0
	s_and_not1_b32 vcc_lo, exec_lo, s25
	s_delay_alu instid0(VALU_DEP_1) | instskip(NEXT) | instid1(VALU_DEP_1)
	v_add3_u32 v34, v34, v36, v35
	v_lshlrev_b64 v[35:36], 3, v[33:34]
	s_cbranch_vccnz .LBB601_98
; %bb.90:
	s_delay_alu instid0(VALU_DEP_1) | instskip(NEXT) | instid1(VALU_DEP_2)
	v_add_co_u32 v39, vcc_lo, s8, v35
	v_add_co_ci_u32_e32 v40, vcc_lo, s9, v36, vcc_lo
	v_add_co_u32 v33, vcc_lo, s8, v37
	v_add_co_ci_u32_e32 v34, vcc_lo, s9, v38, vcc_lo
	s_mov_b32 s30, -1
	s_clause 0x1
	global_load_b64 v[37:38], v[39:40], off
	global_load_b64 v[42:43], v[33:34], off
	s_mov_b32 s33, exec_lo
	s_waitcnt vmcnt(0)
	v_cmpx_eq_u64_e64 v[37:38], v[42:43]
	s_cbranch_execz .LBB601_97
; %bb.91:
	v_add_co_u32 v33, vcc_lo, v33, 8
	v_add_co_ci_u32_e32 v34, vcc_lo, 0, v34, vcc_lo
	v_add_co_u32 v37, vcc_lo, v39, 8
	v_add_co_ci_u32_e32 v38, vcc_lo, 0, v40, vcc_lo
	s_add_u32 s6, s22, -1
	s_addc_u32 s7, s23, -1
	s_mov_b64 s[18:19], 0
	s_mov_b32 s30, 0
                                        ; implicit-def: $sgpr34
	s_set_inst_prefetch_distance 0x1
	s_branch .LBB601_94
	.p2align	6
.LBB601_92:                             ;   in Loop: Header=BB601_94 Depth=1
	global_load_b64 v[39:40], v[37:38], off
	global_load_b64 v[42:43], v[33:34], off
	v_add_co_u32 v33, vcc_lo, v33, 8
	v_add_co_ci_u32_e32 v34, vcc_lo, 0, v34, vcc_lo
	v_add_co_u32 v37, s2, v37, 8
	s_delay_alu instid0(VALU_DEP_1)
	v_add_co_ci_u32_e64 v38, s2, 0, v38, s2
	s_add_u32 s18, s18, 1
	s_addc_u32 s19, s19, 0
	s_and_not1_b32 s2, s34, exec_lo
	s_waitcnt vmcnt(0)
	v_cmp_ne_u64_e32 vcc_lo, v[39:40], v[42:43]
	s_and_b32 s34, vcc_lo, exec_lo
	s_delay_alu instid0(SALU_CYCLE_1)
	s_or_b32 s34, s2, s34
.LBB601_93:                             ;   in Loop: Header=BB601_94 Depth=1
	v_dual_mov_b32 v40, s19 :: v_dual_mov_b32 v39, s18
	s_and_b32 s2, exec_lo, s34
	s_delay_alu instid0(SALU_CYCLE_1) | instskip(NEXT) | instid1(SALU_CYCLE_1)
	s_or_b32 s30, s2, s30
	s_and_not1_b32 exec_lo, exec_lo, s30
	s_cbranch_execz .LBB601_96
.LBB601_94:                             ; =>This Inner Loop Header: Depth=1
	s_or_b32 s34, s34, exec_lo
	s_cmp_eq_u64 s[6:7], s[18:19]
	s_cbranch_scc0 .LBB601_92
; %bb.95:                               ;   in Loop: Header=BB601_94 Depth=1
	s_mov_b64 s[18:19], s[22:23]
                                        ; implicit-def: $vgpr33_vgpr34
                                        ; implicit-def: $vgpr37_vgpr38
	s_branch .LBB601_93
.LBB601_96:
	s_set_inst_prefetch_distance 0x2
	s_or_b32 exec_lo, exec_lo, s30
	v_cmp_gt_i64_e32 vcc_lo, s[22:23], v[39:40]
	s_or_not1_b32 s30, vcc_lo, exec_lo
.LBB601_97:
	s_or_b32 exec_lo, exec_lo, s33
.LBB601_98:
	v_mul_lo_u32 v37, v30, s22
	v_mul_lo_u32 v38, v29, s23
	v_mad_u64_u32 v[33:34], null, v29, s22, 0
	s_and_not1_b32 vcc_lo, exec_lo, s25
	s_mov_b32 s2, 0
	s_delay_alu instid0(VALU_DEP_1) | instskip(NEXT) | instid1(VALU_DEP_1)
	v_add3_u32 v34, v34, v38, v37
	v_lshlrev_b64 v[33:34], 3, v[33:34]
	s_cbranch_vccnz .LBB601_107
; %bb.99:
	s_delay_alu instid0(VALU_DEP_1) | instskip(NEXT) | instid1(VALU_DEP_2)
	v_add_co_u32 v37, vcc_lo, s8, v33
	v_add_co_ci_u32_e32 v38, vcc_lo, s9, v34, vcc_lo
	v_add_co_u32 v35, vcc_lo, s8, v35
	v_add_co_ci_u32_e32 v36, vcc_lo, s9, v36, vcc_lo
	s_mov_b32 s2, -1
	s_clause 0x1
	global_load_b64 v[39:40], v[37:38], off
	global_load_b64 v[42:43], v[35:36], off
	s_mov_b32 s33, exec_lo
	s_waitcnt vmcnt(0)
	v_cmpx_eq_u64_e64 v[39:40], v[42:43]
	s_cbranch_execz .LBB601_106
; %bb.100:
	v_add_co_u32 v35, vcc_lo, v35, 8
	v_add_co_ci_u32_e32 v36, vcc_lo, 0, v36, vcc_lo
	v_add_co_u32 v37, vcc_lo, v37, 8
	v_add_co_ci_u32_e32 v38, vcc_lo, 0, v38, vcc_lo
	s_add_u32 s6, s22, -1
	s_addc_u32 s7, s23, -1
	s_mov_b64 s[18:19], 0
	s_mov_b32 s34, 0
                                        ; implicit-def: $sgpr35
	s_set_inst_prefetch_distance 0x1
	s_branch .LBB601_103
	.p2align	6
.LBB601_101:                            ;   in Loop: Header=BB601_103 Depth=1
	global_load_b64 v[39:40], v[37:38], off
	global_load_b64 v[42:43], v[35:36], off
	v_add_co_u32 v35, vcc_lo, v35, 8
	v_add_co_ci_u32_e32 v36, vcc_lo, 0, v36, vcc_lo
	v_add_co_u32 v37, s2, v37, 8
	s_delay_alu instid0(VALU_DEP_1)
	v_add_co_ci_u32_e64 v38, s2, 0, v38, s2
	s_add_u32 s18, s18, 1
	s_addc_u32 s19, s19, 0
	s_and_not1_b32 s2, s35, exec_lo
	s_waitcnt vmcnt(0)
	v_cmp_ne_u64_e32 vcc_lo, v[39:40], v[42:43]
	s_and_b32 s35, vcc_lo, exec_lo
	s_delay_alu instid0(SALU_CYCLE_1)
	s_or_b32 s35, s2, s35
.LBB601_102:                            ;   in Loop: Header=BB601_103 Depth=1
	v_dual_mov_b32 v40, s19 :: v_dual_mov_b32 v39, s18
	s_and_b32 s2, exec_lo, s35
	s_delay_alu instid0(SALU_CYCLE_1) | instskip(NEXT) | instid1(SALU_CYCLE_1)
	s_or_b32 s34, s2, s34
	s_and_not1_b32 exec_lo, exec_lo, s34
	s_cbranch_execz .LBB601_105
.LBB601_103:                            ; =>This Inner Loop Header: Depth=1
	s_or_b32 s35, s35, exec_lo
	s_cmp_eq_u64 s[6:7], s[18:19]
	s_cbranch_scc0 .LBB601_101
; %bb.104:                              ;   in Loop: Header=BB601_103 Depth=1
	s_mov_b64 s[18:19], s[22:23]
                                        ; implicit-def: $vgpr35_vgpr36
                                        ; implicit-def: $vgpr37_vgpr38
	s_branch .LBB601_102
.LBB601_105:
	s_set_inst_prefetch_distance 0x2
	s_or_b32 exec_lo, exec_lo, s34
	v_cmp_gt_i64_e32 vcc_lo, s[22:23], v[39:40]
	s_or_not1_b32 s2, vcc_lo, exec_lo
.LBB601_106:
	s_or_b32 exec_lo, exec_lo, s33
.LBB601_107:
	s_waitcnt lgkmcnt(0)
	v_dual_mov_b32 v36, s5 :: v_dual_mov_b32 v35, s4
	s_mov_b32 s6, exec_lo
	s_barrier
	buffer_gl0_inv
	v_cmpx_ne_u32_e32 0, v0
	s_cbranch_execz .LBB601_109
; %bb.108:
	v_add_nc_u32_e32 v35, -8, v55
	ds_load_b64 v[35:36], v35
.LBB601_109:
	s_or_b32 exec_lo, exec_lo, s6
	v_cndmask_b32_e64 v38, 0, 1, s31
	v_cndmask_b32_e64 v40, 0, 1, s29
	;; [unrolled: 1-line block ×7, first 2 shown]
	v_lshlrev_b16 v38, 8, v38
	v_lshlrev_b16 v40, 8, v40
	v_lshlrev_b16 v42, 8, v42
	v_lshlrev_b16 v43, 8, v43
	s_mov_b32 s3, 0
	v_or_b32_e32 v37, v37, v38
	v_or_b32_e32 v38, v39, v40
	;; [unrolled: 1-line block ×3, first 2 shown]
	v_and_b32_e32 v39, 0xffff, v43
	s_and_not1_b32 vcc_lo, exec_lo, s25
	v_lshlrev_b32_e32 v40, 16, v37
	v_and_b32_e32 v42, 0xffff, v38
	v_lshlrev_b32_e32 v43, 16, v44
	s_mov_b32 s2, 0
	s_cbranch_vccnz .LBB601_118
; %bb.110:
	s_waitcnt lgkmcnt(0)
	v_mul_lo_u32 v38, v36, s22
	v_mul_lo_u32 v44, v35, s23
	v_mad_u64_u32 v[36:37], null, v35, s22, 0
	s_mov_b32 s2, -1
	s_mov_b32 s26, exec_lo
	s_delay_alu instid0(VALU_DEP_1) | instskip(NEXT) | instid1(VALU_DEP_1)
	v_add3_u32 v37, v37, v44, v38
	v_lshlrev_b64 v[35:36], 3, v[36:37]
	s_delay_alu instid0(VALU_DEP_1) | instskip(NEXT) | instid1(VALU_DEP_2)
	v_add_co_u32 v35, vcc_lo, s8, v35
	v_add_co_ci_u32_e32 v36, vcc_lo, s9, v36, vcc_lo
	v_add_co_u32 v33, vcc_lo, s8, v33
	v_add_co_ci_u32_e32 v34, vcc_lo, s9, v34, vcc_lo
	s_clause 0x1
	global_load_b64 v[37:38], v[35:36], off
	global_load_b64 v[44:45], v[33:34], off
	s_waitcnt vmcnt(0)
	v_cmpx_eq_u64_e64 v[37:38], v[44:45]
	s_cbranch_execz .LBB601_117
; %bb.111:
	v_add_co_u32 v33, vcc_lo, v33, 8
	v_add_co_ci_u32_e32 v34, vcc_lo, 0, v34, vcc_lo
	v_add_co_u32 v35, vcc_lo, v35, 8
	v_add_co_ci_u32_e32 v36, vcc_lo, 0, v36, vcc_lo
	s_add_u32 s6, s22, -1
	s_addc_u32 s7, s23, -1
	s_mov_b64 s[18:19], 0
	s_mov_b32 s27, 0
                                        ; implicit-def: $sgpr29
	s_set_inst_prefetch_distance 0x1
	s_branch .LBB601_114
	.p2align	6
.LBB601_112:                            ;   in Loop: Header=BB601_114 Depth=1
	global_load_b64 v[37:38], v[35:36], off
	global_load_b64 v[44:45], v[33:34], off
	v_add_co_u32 v33, vcc_lo, v33, 8
	v_add_co_ci_u32_e32 v34, vcc_lo, 0, v34, vcc_lo
	v_add_co_u32 v35, s2, v35, 8
	s_delay_alu instid0(VALU_DEP_1)
	v_add_co_ci_u32_e64 v36, s2, 0, v36, s2
	s_add_u32 s18, s18, 1
	s_addc_u32 s19, s19, 0
	s_and_not1_b32 s2, s29, exec_lo
	s_waitcnt vmcnt(0)
	v_cmp_ne_u64_e32 vcc_lo, v[37:38], v[44:45]
	s_and_b32 s29, vcc_lo, exec_lo
	s_delay_alu instid0(SALU_CYCLE_1)
	s_or_b32 s29, s2, s29
.LBB601_113:                            ;   in Loop: Header=BB601_114 Depth=1
	v_dual_mov_b32 v38, s19 :: v_dual_mov_b32 v37, s18
	s_and_b32 s2, exec_lo, s29
	s_delay_alu instid0(SALU_CYCLE_1) | instskip(NEXT) | instid1(SALU_CYCLE_1)
	s_or_b32 s27, s2, s27
	s_and_not1_b32 exec_lo, exec_lo, s27
	s_cbranch_execz .LBB601_116
.LBB601_114:                            ; =>This Inner Loop Header: Depth=1
	s_or_b32 s29, s29, exec_lo
	s_cmp_eq_u64 s[6:7], s[18:19]
	s_cbranch_scc0 .LBB601_112
; %bb.115:                              ;   in Loop: Header=BB601_114 Depth=1
	s_mov_b64 s[18:19], s[22:23]
                                        ; implicit-def: $vgpr33_vgpr34
                                        ; implicit-def: $vgpr35_vgpr36
	s_branch .LBB601_113
.LBB601_116:
	s_set_inst_prefetch_distance 0x2
	s_or_b32 exec_lo, exec_lo, s27
	v_cmp_gt_i64_e32 vcc_lo, s[22:23], v[37:38]
	s_or_not1_b32 s2, vcc_lo, exec_lo
.LBB601_117:
	s_or_b32 exec_lo, exec_lo, s26
.LBB601_118:
	v_or_b32_e32 v33, v39, v40
	s_delay_alu instid0(VALU_DEP_2)
	v_or_b32_e32 v34, v42, v43
	s_and_b32 vcc_lo, exec_lo, s3
	s_cbranch_vccz .LBB601_210
.LBB601_119:
	v_or_b32_e32 v33, 7, v55
	s_mov_b32 s3, 0
	s_mov_b32 s26, 0
	s_mov_b32 s27, exec_lo
	s_delay_alu instid0(VALU_DEP_1)
	v_cmpx_gt_u32_e64 s28, v33
	s_cbranch_execz .LBB601_130
; %bb.120:
	s_and_not1_b32 vcc_lo, exec_lo, s25
	s_mov_b32 s2, 0
	s_cbranch_vccnz .LBB601_129
; %bb.121:
	v_mul_lo_u32 v37, v18, s22
	v_mul_lo_u32 v38, v17, s23
	v_mad_u64_u32 v[33:34], null, v17, s22, 0
	v_mul_lo_u32 v39, v20, s22
	v_mul_lo_u32 v40, v19, s23
	s_waitcnt lgkmcnt(0)
	v_mad_u64_u32 v[35:36], null, v19, s22, 0
	s_mov_b32 s2, -1
	s_mov_b32 s25, exec_lo
	s_delay_alu instid0(VALU_DEP_4) | instskip(NEXT) | instid1(VALU_DEP_2)
	v_add3_u32 v34, v34, v38, v37
	v_add3_u32 v36, v36, v40, v39
	s_delay_alu instid0(VALU_DEP_2) | instskip(NEXT) | instid1(VALU_DEP_2)
	v_lshlrev_b64 v[33:34], 3, v[33:34]
	v_lshlrev_b64 v[37:38], 3, v[35:36]
	s_delay_alu instid0(VALU_DEP_2) | instskip(NEXT) | instid1(VALU_DEP_3)
	v_add_co_u32 v35, vcc_lo, s8, v33
	v_add_co_ci_u32_e32 v36, vcc_lo, s9, v34, vcc_lo
	s_delay_alu instid0(VALU_DEP_3) | instskip(NEXT) | instid1(VALU_DEP_4)
	v_add_co_u32 v33, vcc_lo, s8, v37
	v_add_co_ci_u32_e32 v34, vcc_lo, s9, v38, vcc_lo
	s_clause 0x1
	global_load_b64 v[37:38], v[35:36], off
	global_load_b64 v[39:40], v[33:34], off
	s_waitcnt vmcnt(0)
	v_cmpx_eq_u64_e64 v[37:38], v[39:40]
	s_cbranch_execz .LBB601_128
; %bb.122:
	v_add_co_u32 v33, vcc_lo, v33, 8
	v_add_co_ci_u32_e32 v34, vcc_lo, 0, v34, vcc_lo
	v_add_co_u32 v35, vcc_lo, v35, 8
	v_add_co_ci_u32_e32 v36, vcc_lo, 0, v36, vcc_lo
	s_add_u32 s6, s22, -1
	s_addc_u32 s7, s23, -1
	s_mov_b64 s[18:19], 0
                                        ; implicit-def: $sgpr29
	s_set_inst_prefetch_distance 0x1
	s_branch .LBB601_125
	.p2align	6
.LBB601_123:                            ;   in Loop: Header=BB601_125 Depth=1
	global_load_b64 v[37:38], v[35:36], off
	global_load_b64 v[39:40], v[33:34], off
	v_add_co_u32 v33, vcc_lo, v33, 8
	v_add_co_ci_u32_e32 v34, vcc_lo, 0, v34, vcc_lo
	v_add_co_u32 v35, s2, v35, 8
	s_delay_alu instid0(VALU_DEP_1)
	v_add_co_ci_u32_e64 v36, s2, 0, v36, s2
	s_add_u32 s18, s18, 1
	s_addc_u32 s19, s19, 0
	s_and_not1_b32 s2, s29, exec_lo
	s_waitcnt vmcnt(0)
	v_cmp_ne_u64_e32 vcc_lo, v[37:38], v[39:40]
	s_and_b32 s29, vcc_lo, exec_lo
	s_delay_alu instid0(SALU_CYCLE_1)
	s_or_b32 s29, s2, s29
.LBB601_124:                            ;   in Loop: Header=BB601_125 Depth=1
	v_dual_mov_b32 v38, s19 :: v_dual_mov_b32 v37, s18
	s_and_b32 s2, exec_lo, s29
	s_delay_alu instid0(SALU_CYCLE_1) | instskip(NEXT) | instid1(SALU_CYCLE_1)
	s_or_b32 s26, s2, s26
	s_and_not1_b32 exec_lo, exec_lo, s26
	s_cbranch_execz .LBB601_127
.LBB601_125:                            ; =>This Inner Loop Header: Depth=1
	s_or_b32 s29, s29, exec_lo
	s_cmp_eq_u64 s[6:7], s[18:19]
	s_cbranch_scc0 .LBB601_123
; %bb.126:                              ;   in Loop: Header=BB601_125 Depth=1
	s_mov_b64 s[18:19], s[22:23]
                                        ; implicit-def: $vgpr33_vgpr34
                                        ; implicit-def: $vgpr35_vgpr36
	s_branch .LBB601_124
.LBB601_127:
	s_set_inst_prefetch_distance 0x2
	s_or_b32 exec_lo, exec_lo, s26
	v_cmp_gt_i64_e32 vcc_lo, s[22:23], v[37:38]
	s_or_not1_b32 s2, vcc_lo, exec_lo
.LBB601_128:
	s_or_b32 exec_lo, exec_lo, s25
.LBB601_129:
	s_delay_alu instid0(SALU_CYCLE_1)
	s_and_b32 s26, s2, exec_lo
.LBB601_130:
	s_or_b32 exec_lo, exec_lo, s27
	v_or_b32_e32 v33, 6, v55
	s_mov_b32 s25, exec_lo
	s_delay_alu instid0(VALU_DEP_1)
	v_cmpx_gt_u32_e64 s28, v33
	s_cbranch_execz .LBB601_141
; %bb.131:
	v_cmp_ne_u32_e32 vcc_lo, 1, v41
	s_mov_b32 s2, 0
	s_cbranch_vccnz .LBB601_140
; %bb.132:
	v_mul_lo_u32 v37, v24, s22
	v_mul_lo_u32 v38, v23, s23
	v_mad_u64_u32 v[33:34], null, v23, s22, 0
	v_mul_lo_u32 v39, v18, s22
	v_mul_lo_u32 v40, v17, s23
	s_waitcnt lgkmcnt(0)
	v_mad_u64_u32 v[35:36], null, v17, s22, 0
	s_mov_b32 s2, -1
	s_mov_b32 s3, exec_lo
	s_delay_alu instid0(VALU_DEP_4) | instskip(NEXT) | instid1(VALU_DEP_2)
	v_add3_u32 v34, v34, v38, v37
	v_add3_u32 v36, v36, v40, v39
	s_delay_alu instid0(VALU_DEP_2) | instskip(NEXT) | instid1(VALU_DEP_2)
	v_lshlrev_b64 v[33:34], 3, v[33:34]
	v_lshlrev_b64 v[37:38], 3, v[35:36]
	s_delay_alu instid0(VALU_DEP_2) | instskip(NEXT) | instid1(VALU_DEP_3)
	v_add_co_u32 v35, vcc_lo, s8, v33
	v_add_co_ci_u32_e32 v36, vcc_lo, s9, v34, vcc_lo
	s_delay_alu instid0(VALU_DEP_3) | instskip(NEXT) | instid1(VALU_DEP_4)
	v_add_co_u32 v33, vcc_lo, s8, v37
	v_add_co_ci_u32_e32 v34, vcc_lo, s9, v38, vcc_lo
	s_clause 0x1
	global_load_b64 v[37:38], v[35:36], off
	global_load_b64 v[39:40], v[33:34], off
	s_waitcnt vmcnt(0)
	v_cmpx_eq_u64_e64 v[37:38], v[39:40]
	s_cbranch_execz .LBB601_139
; %bb.133:
	v_add_co_u32 v33, vcc_lo, v33, 8
	v_add_co_ci_u32_e32 v34, vcc_lo, 0, v34, vcc_lo
	v_add_co_u32 v35, vcc_lo, v35, 8
	v_add_co_ci_u32_e32 v36, vcc_lo, 0, v36, vcc_lo
	s_add_u32 s6, s22, -1
	s_addc_u32 s7, s23, -1
	s_mov_b64 s[18:19], 0
	s_mov_b32 s27, 0
                                        ; implicit-def: $sgpr29
	s_set_inst_prefetch_distance 0x1
	s_branch .LBB601_136
	.p2align	6
.LBB601_134:                            ;   in Loop: Header=BB601_136 Depth=1
	global_load_b64 v[37:38], v[35:36], off
	global_load_b64 v[39:40], v[33:34], off
	v_add_co_u32 v33, vcc_lo, v33, 8
	v_add_co_ci_u32_e32 v34, vcc_lo, 0, v34, vcc_lo
	v_add_co_u32 v35, s2, v35, 8
	s_delay_alu instid0(VALU_DEP_1)
	v_add_co_ci_u32_e64 v36, s2, 0, v36, s2
	s_add_u32 s18, s18, 1
	s_addc_u32 s19, s19, 0
	s_and_not1_b32 s2, s29, exec_lo
	s_waitcnt vmcnt(0)
	v_cmp_ne_u64_e32 vcc_lo, v[37:38], v[39:40]
	s_and_b32 s29, vcc_lo, exec_lo
	s_delay_alu instid0(SALU_CYCLE_1)
	s_or_b32 s29, s2, s29
.LBB601_135:                            ;   in Loop: Header=BB601_136 Depth=1
	v_dual_mov_b32 v38, s19 :: v_dual_mov_b32 v37, s18
	s_and_b32 s2, exec_lo, s29
	s_delay_alu instid0(SALU_CYCLE_1) | instskip(NEXT) | instid1(SALU_CYCLE_1)
	s_or_b32 s27, s2, s27
	s_and_not1_b32 exec_lo, exec_lo, s27
	s_cbranch_execz .LBB601_138
.LBB601_136:                            ; =>This Inner Loop Header: Depth=1
	s_or_b32 s29, s29, exec_lo
	s_cmp_eq_u64 s[6:7], s[18:19]
	s_cbranch_scc0 .LBB601_134
; %bb.137:                              ;   in Loop: Header=BB601_136 Depth=1
	s_mov_b64 s[18:19], s[22:23]
                                        ; implicit-def: $vgpr33_vgpr34
                                        ; implicit-def: $vgpr35_vgpr36
	s_branch .LBB601_135
.LBB601_138:
	s_set_inst_prefetch_distance 0x2
	s_or_b32 exec_lo, exec_lo, s27
	v_cmp_gt_i64_e32 vcc_lo, s[22:23], v[37:38]
	s_or_not1_b32 s2, vcc_lo, exec_lo
.LBB601_139:
	s_or_b32 exec_lo, exec_lo, s3
.LBB601_140:
	s_delay_alu instid0(SALU_CYCLE_1)
	s_and_b32 s3, s2, exec_lo
.LBB601_141:
	s_or_b32 exec_lo, exec_lo, s25
	v_or_b32_e32 v33, 5, v55
	s_mov_b32 s27, 0
	s_mov_b32 s25, 0
	s_mov_b32 s29, exec_lo
	s_delay_alu instid0(VALU_DEP_1)
	v_cmpx_gt_u32_e64 s28, v33
	s_cbranch_execz .LBB601_152
; %bb.142:
	v_cmp_ne_u32_e32 vcc_lo, 1, v41
	s_mov_b32 s2, 0
	s_cbranch_vccnz .LBB601_151
; %bb.143:
	v_mul_lo_u32 v37, v22, s22
	v_mul_lo_u32 v38, v21, s23
	v_mad_u64_u32 v[33:34], null, v21, s22, 0
	v_mul_lo_u32 v39, v24, s22
	v_mul_lo_u32 v40, v23, s23
	s_waitcnt lgkmcnt(0)
	v_mad_u64_u32 v[35:36], null, v23, s22, 0
	s_mov_b32 s2, -1
	s_mov_b32 s25, exec_lo
	s_delay_alu instid0(VALU_DEP_4) | instskip(NEXT) | instid1(VALU_DEP_2)
	v_add3_u32 v34, v34, v38, v37
	v_add3_u32 v36, v36, v40, v39
	s_delay_alu instid0(VALU_DEP_2) | instskip(NEXT) | instid1(VALU_DEP_2)
	v_lshlrev_b64 v[33:34], 3, v[33:34]
	v_lshlrev_b64 v[37:38], 3, v[35:36]
	s_delay_alu instid0(VALU_DEP_2) | instskip(NEXT) | instid1(VALU_DEP_3)
	v_add_co_u32 v35, vcc_lo, s8, v33
	v_add_co_ci_u32_e32 v36, vcc_lo, s9, v34, vcc_lo
	s_delay_alu instid0(VALU_DEP_3) | instskip(NEXT) | instid1(VALU_DEP_4)
	v_add_co_u32 v33, vcc_lo, s8, v37
	v_add_co_ci_u32_e32 v34, vcc_lo, s9, v38, vcc_lo
	s_clause 0x1
	global_load_b64 v[37:38], v[35:36], off
	global_load_b64 v[39:40], v[33:34], off
	s_waitcnt vmcnt(0)
	v_cmpx_eq_u64_e64 v[37:38], v[39:40]
	s_cbranch_execz .LBB601_150
; %bb.144:
	v_add_co_u32 v33, vcc_lo, v33, 8
	v_add_co_ci_u32_e32 v34, vcc_lo, 0, v34, vcc_lo
	v_add_co_u32 v35, vcc_lo, v35, 8
	v_add_co_ci_u32_e32 v36, vcc_lo, 0, v36, vcc_lo
	s_add_u32 s6, s22, -1
	s_addc_u32 s7, s23, -1
	s_mov_b64 s[18:19], 0
	s_mov_b32 s30, 0
                                        ; implicit-def: $sgpr31
	s_set_inst_prefetch_distance 0x1
	s_branch .LBB601_147
	.p2align	6
.LBB601_145:                            ;   in Loop: Header=BB601_147 Depth=1
	global_load_b64 v[37:38], v[35:36], off
	global_load_b64 v[39:40], v[33:34], off
	v_add_co_u32 v33, vcc_lo, v33, 8
	v_add_co_ci_u32_e32 v34, vcc_lo, 0, v34, vcc_lo
	v_add_co_u32 v35, s2, v35, 8
	s_delay_alu instid0(VALU_DEP_1)
	v_add_co_ci_u32_e64 v36, s2, 0, v36, s2
	s_add_u32 s18, s18, 1
	s_addc_u32 s19, s19, 0
	s_and_not1_b32 s2, s31, exec_lo
	s_waitcnt vmcnt(0)
	v_cmp_ne_u64_e32 vcc_lo, v[37:38], v[39:40]
	s_and_b32 s31, vcc_lo, exec_lo
	s_delay_alu instid0(SALU_CYCLE_1)
	s_or_b32 s31, s2, s31
.LBB601_146:                            ;   in Loop: Header=BB601_147 Depth=1
	v_dual_mov_b32 v38, s19 :: v_dual_mov_b32 v37, s18
	s_and_b32 s2, exec_lo, s31
	s_delay_alu instid0(SALU_CYCLE_1) | instskip(NEXT) | instid1(SALU_CYCLE_1)
	s_or_b32 s30, s2, s30
	s_and_not1_b32 exec_lo, exec_lo, s30
	s_cbranch_execz .LBB601_149
.LBB601_147:                            ; =>This Inner Loop Header: Depth=1
	s_or_b32 s31, s31, exec_lo
	s_cmp_eq_u64 s[6:7], s[18:19]
	s_cbranch_scc0 .LBB601_145
; %bb.148:                              ;   in Loop: Header=BB601_147 Depth=1
	s_mov_b64 s[18:19], s[22:23]
                                        ; implicit-def: $vgpr33_vgpr34
                                        ; implicit-def: $vgpr35_vgpr36
	s_branch .LBB601_146
.LBB601_149:
	s_set_inst_prefetch_distance 0x2
	s_or_b32 exec_lo, exec_lo, s30
	v_cmp_gt_i64_e32 vcc_lo, s[22:23], v[37:38]
	s_or_not1_b32 s2, vcc_lo, exec_lo
.LBB601_150:
	s_or_b32 exec_lo, exec_lo, s25
.LBB601_151:
	s_delay_alu instid0(SALU_CYCLE_1)
	s_and_b32 s25, s2, exec_lo
.LBB601_152:
	s_or_b32 exec_lo, exec_lo, s29
	v_or_b32_e32 v33, 4, v55
	s_mov_b32 s29, exec_lo
	s_delay_alu instid0(VALU_DEP_1)
	v_cmpx_gt_u32_e64 s28, v33
	s_cbranch_execz .LBB601_163
; %bb.153:
	v_cmp_ne_u32_e32 vcc_lo, 1, v41
	s_mov_b32 s2, 0
	s_cbranch_vccnz .LBB601_162
; %bb.154:
	v_mul_lo_u32 v37, v28, s22
	v_mul_lo_u32 v38, v27, s23
	v_mad_u64_u32 v[33:34], null, v27, s22, 0
	v_mul_lo_u32 v39, v22, s22
	v_mul_lo_u32 v40, v21, s23
	s_waitcnt lgkmcnt(0)
	v_mad_u64_u32 v[35:36], null, v21, s22, 0
	s_mov_b32 s2, -1
	s_mov_b32 s27, exec_lo
	s_delay_alu instid0(VALU_DEP_4) | instskip(NEXT) | instid1(VALU_DEP_2)
	v_add3_u32 v34, v34, v38, v37
	v_add3_u32 v36, v36, v40, v39
	s_delay_alu instid0(VALU_DEP_2) | instskip(NEXT) | instid1(VALU_DEP_2)
	v_lshlrev_b64 v[33:34], 3, v[33:34]
	v_lshlrev_b64 v[37:38], 3, v[35:36]
	s_delay_alu instid0(VALU_DEP_2) | instskip(NEXT) | instid1(VALU_DEP_3)
	v_add_co_u32 v35, vcc_lo, s8, v33
	v_add_co_ci_u32_e32 v36, vcc_lo, s9, v34, vcc_lo
	s_delay_alu instid0(VALU_DEP_3) | instskip(NEXT) | instid1(VALU_DEP_4)
	v_add_co_u32 v33, vcc_lo, s8, v37
	v_add_co_ci_u32_e32 v34, vcc_lo, s9, v38, vcc_lo
	s_clause 0x1
	global_load_b64 v[37:38], v[35:36], off
	global_load_b64 v[39:40], v[33:34], off
	s_waitcnt vmcnt(0)
	v_cmpx_eq_u64_e64 v[37:38], v[39:40]
	s_cbranch_execz .LBB601_161
; %bb.155:
	v_add_co_u32 v33, vcc_lo, v33, 8
	v_add_co_ci_u32_e32 v34, vcc_lo, 0, v34, vcc_lo
	v_add_co_u32 v35, vcc_lo, v35, 8
	v_add_co_ci_u32_e32 v36, vcc_lo, 0, v36, vcc_lo
	s_add_u32 s6, s22, -1
	s_addc_u32 s7, s23, -1
	s_mov_b64 s[18:19], 0
	s_mov_b32 s30, 0
                                        ; implicit-def: $sgpr31
	s_set_inst_prefetch_distance 0x1
	s_branch .LBB601_158
	.p2align	6
.LBB601_156:                            ;   in Loop: Header=BB601_158 Depth=1
	global_load_b64 v[37:38], v[35:36], off
	global_load_b64 v[39:40], v[33:34], off
	v_add_co_u32 v33, vcc_lo, v33, 8
	v_add_co_ci_u32_e32 v34, vcc_lo, 0, v34, vcc_lo
	v_add_co_u32 v35, s2, v35, 8
	s_delay_alu instid0(VALU_DEP_1)
	v_add_co_ci_u32_e64 v36, s2, 0, v36, s2
	s_add_u32 s18, s18, 1
	s_addc_u32 s19, s19, 0
	s_and_not1_b32 s2, s31, exec_lo
	s_waitcnt vmcnt(0)
	v_cmp_ne_u64_e32 vcc_lo, v[37:38], v[39:40]
	s_and_b32 s31, vcc_lo, exec_lo
	s_delay_alu instid0(SALU_CYCLE_1)
	s_or_b32 s31, s2, s31
.LBB601_157:                            ;   in Loop: Header=BB601_158 Depth=1
	v_dual_mov_b32 v38, s19 :: v_dual_mov_b32 v37, s18
	s_and_b32 s2, exec_lo, s31
	s_delay_alu instid0(SALU_CYCLE_1) | instskip(NEXT) | instid1(SALU_CYCLE_1)
	s_or_b32 s30, s2, s30
	s_and_not1_b32 exec_lo, exec_lo, s30
	s_cbranch_execz .LBB601_160
.LBB601_158:                            ; =>This Inner Loop Header: Depth=1
	s_or_b32 s31, s31, exec_lo
	s_cmp_eq_u64 s[6:7], s[18:19]
	s_cbranch_scc0 .LBB601_156
; %bb.159:                              ;   in Loop: Header=BB601_158 Depth=1
	s_mov_b64 s[18:19], s[22:23]
                                        ; implicit-def: $vgpr33_vgpr34
                                        ; implicit-def: $vgpr35_vgpr36
	s_branch .LBB601_157
.LBB601_160:
	s_set_inst_prefetch_distance 0x2
	s_or_b32 exec_lo, exec_lo, s30
	v_cmp_gt_i64_e32 vcc_lo, s[22:23], v[37:38]
	s_or_not1_b32 s2, vcc_lo, exec_lo
.LBB601_161:
	s_or_b32 exec_lo, exec_lo, s27
.LBB601_162:
	s_delay_alu instid0(SALU_CYCLE_1)
	s_and_b32 s27, s2, exec_lo
.LBB601_163:
	s_or_b32 exec_lo, exec_lo, s29
	v_or_b32_e32 v33, 3, v55
	s_mov_b32 s30, 0
	s_mov_b32 s29, 0
	s_mov_b32 s31, exec_lo
	s_delay_alu instid0(VALU_DEP_1)
	v_cmpx_gt_u32_e64 s28, v33
	s_cbranch_execz .LBB601_174
; %bb.164:
	v_cmp_ne_u32_e32 vcc_lo, 1, v41
	s_mov_b32 s2, 0
	s_cbranch_vccnz .LBB601_173
; %bb.165:
	v_mul_lo_u32 v37, v26, s22
	v_mul_lo_u32 v38, v25, s23
	v_mad_u64_u32 v[33:34], null, v25, s22, 0
	v_mul_lo_u32 v39, v28, s22
	v_mul_lo_u32 v40, v27, s23
	s_waitcnt lgkmcnt(0)
	v_mad_u64_u32 v[35:36], null, v27, s22, 0
	s_mov_b32 s2, -1
	s_mov_b32 s29, exec_lo
	s_delay_alu instid0(VALU_DEP_4) | instskip(NEXT) | instid1(VALU_DEP_2)
	v_add3_u32 v34, v34, v38, v37
	v_add3_u32 v36, v36, v40, v39
	s_delay_alu instid0(VALU_DEP_2) | instskip(NEXT) | instid1(VALU_DEP_2)
	v_lshlrev_b64 v[33:34], 3, v[33:34]
	v_lshlrev_b64 v[37:38], 3, v[35:36]
	s_delay_alu instid0(VALU_DEP_2) | instskip(NEXT) | instid1(VALU_DEP_3)
	v_add_co_u32 v35, vcc_lo, s8, v33
	v_add_co_ci_u32_e32 v36, vcc_lo, s9, v34, vcc_lo
	s_delay_alu instid0(VALU_DEP_3) | instskip(NEXT) | instid1(VALU_DEP_4)
	v_add_co_u32 v33, vcc_lo, s8, v37
	v_add_co_ci_u32_e32 v34, vcc_lo, s9, v38, vcc_lo
	s_clause 0x1
	global_load_b64 v[37:38], v[35:36], off
	global_load_b64 v[39:40], v[33:34], off
	s_waitcnt vmcnt(0)
	v_cmpx_eq_u64_e64 v[37:38], v[39:40]
	s_cbranch_execz .LBB601_172
; %bb.166:
	v_add_co_u32 v33, vcc_lo, v33, 8
	v_add_co_ci_u32_e32 v34, vcc_lo, 0, v34, vcc_lo
	v_add_co_u32 v35, vcc_lo, v35, 8
	v_add_co_ci_u32_e32 v36, vcc_lo, 0, v36, vcc_lo
	s_add_u32 s6, s22, -1
	s_addc_u32 s7, s23, -1
	s_mov_b64 s[18:19], 0
	s_mov_b32 s33, 0
                                        ; implicit-def: $sgpr34
	s_set_inst_prefetch_distance 0x1
	s_branch .LBB601_169
	.p2align	6
.LBB601_167:                            ;   in Loop: Header=BB601_169 Depth=1
	global_load_b64 v[37:38], v[35:36], off
	global_load_b64 v[39:40], v[33:34], off
	v_add_co_u32 v33, vcc_lo, v33, 8
	v_add_co_ci_u32_e32 v34, vcc_lo, 0, v34, vcc_lo
	v_add_co_u32 v35, s2, v35, 8
	s_delay_alu instid0(VALU_DEP_1)
	v_add_co_ci_u32_e64 v36, s2, 0, v36, s2
	s_add_u32 s18, s18, 1
	s_addc_u32 s19, s19, 0
	s_and_not1_b32 s2, s34, exec_lo
	s_waitcnt vmcnt(0)
	v_cmp_ne_u64_e32 vcc_lo, v[37:38], v[39:40]
	s_and_b32 s34, vcc_lo, exec_lo
	s_delay_alu instid0(SALU_CYCLE_1)
	s_or_b32 s34, s2, s34
.LBB601_168:                            ;   in Loop: Header=BB601_169 Depth=1
	v_dual_mov_b32 v38, s19 :: v_dual_mov_b32 v37, s18
	s_and_b32 s2, exec_lo, s34
	s_delay_alu instid0(SALU_CYCLE_1) | instskip(NEXT) | instid1(SALU_CYCLE_1)
	s_or_b32 s33, s2, s33
	s_and_not1_b32 exec_lo, exec_lo, s33
	s_cbranch_execz .LBB601_171
.LBB601_169:                            ; =>This Inner Loop Header: Depth=1
	s_or_b32 s34, s34, exec_lo
	s_cmp_eq_u64 s[6:7], s[18:19]
	s_cbranch_scc0 .LBB601_167
; %bb.170:                              ;   in Loop: Header=BB601_169 Depth=1
	s_mov_b64 s[18:19], s[22:23]
                                        ; implicit-def: $vgpr33_vgpr34
                                        ; implicit-def: $vgpr35_vgpr36
	s_branch .LBB601_168
.LBB601_171:
	s_set_inst_prefetch_distance 0x2
	s_or_b32 exec_lo, exec_lo, s33
	v_cmp_gt_i64_e32 vcc_lo, s[22:23], v[37:38]
	s_or_not1_b32 s2, vcc_lo, exec_lo
.LBB601_172:
	s_or_b32 exec_lo, exec_lo, s29
.LBB601_173:
	s_delay_alu instid0(SALU_CYCLE_1)
	s_and_b32 s29, s2, exec_lo
.LBB601_174:
	s_or_b32 exec_lo, exec_lo, s31
	v_or_b32_e32 v33, 2, v55
	s_mov_b32 s31, exec_lo
	s_delay_alu instid0(VALU_DEP_1)
	v_cmpx_gt_u32_e64 s28, v33
	s_cbranch_execz .LBB601_185
; %bb.175:
	v_cmp_ne_u32_e32 vcc_lo, 1, v41
	s_mov_b32 s2, 0
	s_cbranch_vccnz .LBB601_184
; %bb.176:
	v_mul_lo_u32 v37, v32, s22
	v_mul_lo_u32 v38, v31, s23
	v_mad_u64_u32 v[33:34], null, v31, s22, 0
	v_mul_lo_u32 v39, v26, s22
	v_mul_lo_u32 v40, v25, s23
	s_waitcnt lgkmcnt(0)
	v_mad_u64_u32 v[35:36], null, v25, s22, 0
	s_mov_b32 s2, -1
	s_mov_b32 s30, exec_lo
	s_delay_alu instid0(VALU_DEP_4) | instskip(NEXT) | instid1(VALU_DEP_2)
	v_add3_u32 v34, v34, v38, v37
	v_add3_u32 v36, v36, v40, v39
	s_delay_alu instid0(VALU_DEP_2) | instskip(NEXT) | instid1(VALU_DEP_2)
	v_lshlrev_b64 v[33:34], 3, v[33:34]
	v_lshlrev_b64 v[37:38], 3, v[35:36]
	s_delay_alu instid0(VALU_DEP_2) | instskip(NEXT) | instid1(VALU_DEP_3)
	v_add_co_u32 v35, vcc_lo, s8, v33
	v_add_co_ci_u32_e32 v36, vcc_lo, s9, v34, vcc_lo
	s_delay_alu instid0(VALU_DEP_3) | instskip(NEXT) | instid1(VALU_DEP_4)
	v_add_co_u32 v33, vcc_lo, s8, v37
	v_add_co_ci_u32_e32 v34, vcc_lo, s9, v38, vcc_lo
	s_clause 0x1
	global_load_b64 v[37:38], v[35:36], off
	global_load_b64 v[39:40], v[33:34], off
	s_waitcnt vmcnt(0)
	v_cmpx_eq_u64_e64 v[37:38], v[39:40]
	s_cbranch_execz .LBB601_183
; %bb.177:
	v_add_co_u32 v33, vcc_lo, v33, 8
	v_add_co_ci_u32_e32 v34, vcc_lo, 0, v34, vcc_lo
	v_add_co_u32 v35, vcc_lo, v35, 8
	v_add_co_ci_u32_e32 v36, vcc_lo, 0, v36, vcc_lo
	s_add_u32 s6, s22, -1
	s_addc_u32 s7, s23, -1
	s_mov_b64 s[18:19], 0
	s_mov_b32 s33, 0
                                        ; implicit-def: $sgpr34
	s_set_inst_prefetch_distance 0x1
	s_branch .LBB601_180
	.p2align	6
.LBB601_178:                            ;   in Loop: Header=BB601_180 Depth=1
	global_load_b64 v[37:38], v[35:36], off
	global_load_b64 v[39:40], v[33:34], off
	v_add_co_u32 v33, vcc_lo, v33, 8
	v_add_co_ci_u32_e32 v34, vcc_lo, 0, v34, vcc_lo
	v_add_co_u32 v35, s2, v35, 8
	s_delay_alu instid0(VALU_DEP_1)
	v_add_co_ci_u32_e64 v36, s2, 0, v36, s2
	s_add_u32 s18, s18, 1
	s_addc_u32 s19, s19, 0
	s_and_not1_b32 s2, s34, exec_lo
	s_waitcnt vmcnt(0)
	v_cmp_ne_u64_e32 vcc_lo, v[37:38], v[39:40]
	s_and_b32 s34, vcc_lo, exec_lo
	s_delay_alu instid0(SALU_CYCLE_1)
	s_or_b32 s34, s2, s34
.LBB601_179:                            ;   in Loop: Header=BB601_180 Depth=1
	v_dual_mov_b32 v38, s19 :: v_dual_mov_b32 v37, s18
	s_and_b32 s2, exec_lo, s34
	s_delay_alu instid0(SALU_CYCLE_1) | instskip(NEXT) | instid1(SALU_CYCLE_1)
	s_or_b32 s33, s2, s33
	s_and_not1_b32 exec_lo, exec_lo, s33
	s_cbranch_execz .LBB601_182
.LBB601_180:                            ; =>This Inner Loop Header: Depth=1
	s_or_b32 s34, s34, exec_lo
	s_cmp_eq_u64 s[6:7], s[18:19]
	s_cbranch_scc0 .LBB601_178
; %bb.181:                              ;   in Loop: Header=BB601_180 Depth=1
	s_mov_b64 s[18:19], s[22:23]
                                        ; implicit-def: $vgpr33_vgpr34
                                        ; implicit-def: $vgpr35_vgpr36
	s_branch .LBB601_179
.LBB601_182:
	s_set_inst_prefetch_distance 0x2
	s_or_b32 exec_lo, exec_lo, s33
	v_cmp_gt_i64_e32 vcc_lo, s[22:23], v[37:38]
	s_or_not1_b32 s2, vcc_lo, exec_lo
.LBB601_183:
	s_or_b32 exec_lo, exec_lo, s30
.LBB601_184:
	s_delay_alu instid0(SALU_CYCLE_1)
	s_and_b32 s30, s2, exec_lo
.LBB601_185:
	s_or_b32 exec_lo, exec_lo, s31
	v_or_b32_e32 v33, 1, v55
	s_mov_b32 s2, 0
	s_mov_b32 s31, exec_lo
	s_delay_alu instid0(VALU_DEP_1)
	v_cmpx_gt_u32_e64 s28, v33
	s_cbranch_execz .LBB601_196
; %bb.186:
	v_cmp_ne_u32_e32 vcc_lo, 1, v41
	s_cbranch_vccnz .LBB601_195
; %bb.187:
	v_mul_lo_u32 v37, v30, s22
	v_mul_lo_u32 v38, v29, s23
	v_mad_u64_u32 v[33:34], null, v29, s22, 0
	v_mul_lo_u32 v39, v32, s22
	v_mul_lo_u32 v40, v31, s23
	s_waitcnt lgkmcnt(0)
	v_mad_u64_u32 v[35:36], null, v31, s22, 0
	s_mov_b32 s2, -1
	s_mov_b32 s33, exec_lo
	s_delay_alu instid0(VALU_DEP_4) | instskip(NEXT) | instid1(VALU_DEP_2)
	v_add3_u32 v34, v34, v38, v37
	v_add3_u32 v36, v36, v40, v39
	s_delay_alu instid0(VALU_DEP_2) | instskip(NEXT) | instid1(VALU_DEP_2)
	v_lshlrev_b64 v[33:34], 3, v[33:34]
	v_lshlrev_b64 v[37:38], 3, v[35:36]
	s_delay_alu instid0(VALU_DEP_2) | instskip(NEXT) | instid1(VALU_DEP_3)
	v_add_co_u32 v35, vcc_lo, s8, v33
	v_add_co_ci_u32_e32 v36, vcc_lo, s9, v34, vcc_lo
	s_delay_alu instid0(VALU_DEP_3) | instskip(NEXT) | instid1(VALU_DEP_4)
	v_add_co_u32 v33, vcc_lo, s8, v37
	v_add_co_ci_u32_e32 v34, vcc_lo, s9, v38, vcc_lo
	s_clause 0x1
	global_load_b64 v[37:38], v[35:36], off
	global_load_b64 v[39:40], v[33:34], off
	s_waitcnt vmcnt(0)
	v_cmpx_eq_u64_e64 v[37:38], v[39:40]
	s_cbranch_execz .LBB601_194
; %bb.188:
	v_add_co_u32 v33, vcc_lo, v33, 8
	v_add_co_ci_u32_e32 v34, vcc_lo, 0, v34, vcc_lo
	v_add_co_u32 v35, vcc_lo, v35, 8
	v_add_co_ci_u32_e32 v36, vcc_lo, 0, v36, vcc_lo
	s_add_u32 s6, s22, -1
	s_addc_u32 s7, s23, -1
	s_mov_b64 s[18:19], 0
	s_mov_b32 s34, 0
                                        ; implicit-def: $sgpr35
	s_set_inst_prefetch_distance 0x1
	s_branch .LBB601_191
	.p2align	6
.LBB601_189:                            ;   in Loop: Header=BB601_191 Depth=1
	global_load_b64 v[37:38], v[35:36], off
	global_load_b64 v[39:40], v[33:34], off
	v_add_co_u32 v33, vcc_lo, v33, 8
	v_add_co_ci_u32_e32 v34, vcc_lo, 0, v34, vcc_lo
	v_add_co_u32 v35, s2, v35, 8
	s_delay_alu instid0(VALU_DEP_1)
	v_add_co_ci_u32_e64 v36, s2, 0, v36, s2
	s_add_u32 s18, s18, 1
	s_addc_u32 s19, s19, 0
	s_and_not1_b32 s2, s35, exec_lo
	s_waitcnt vmcnt(0)
	v_cmp_ne_u64_e32 vcc_lo, v[37:38], v[39:40]
	s_and_b32 s35, vcc_lo, exec_lo
	s_delay_alu instid0(SALU_CYCLE_1)
	s_or_b32 s35, s2, s35
.LBB601_190:                            ;   in Loop: Header=BB601_191 Depth=1
	v_dual_mov_b32 v38, s19 :: v_dual_mov_b32 v37, s18
	s_and_b32 s2, exec_lo, s35
	s_delay_alu instid0(SALU_CYCLE_1) | instskip(NEXT) | instid1(SALU_CYCLE_1)
	s_or_b32 s34, s2, s34
	s_and_not1_b32 exec_lo, exec_lo, s34
	s_cbranch_execz .LBB601_193
.LBB601_191:                            ; =>This Inner Loop Header: Depth=1
	s_or_b32 s35, s35, exec_lo
	s_cmp_eq_u64 s[6:7], s[18:19]
	s_cbranch_scc0 .LBB601_189
; %bb.192:                              ;   in Loop: Header=BB601_191 Depth=1
	s_mov_b64 s[18:19], s[22:23]
                                        ; implicit-def: $vgpr33_vgpr34
                                        ; implicit-def: $vgpr35_vgpr36
	s_branch .LBB601_190
.LBB601_193:
	s_set_inst_prefetch_distance 0x2
	s_or_b32 exec_lo, exec_lo, s34
	v_cmp_gt_i64_e32 vcc_lo, s[22:23], v[37:38]
	s_or_not1_b32 s2, vcc_lo, exec_lo
.LBB601_194:
	s_or_b32 exec_lo, exec_lo, s33
.LBB601_195:
	s_delay_alu instid0(SALU_CYCLE_1)
	s_and_b32 s2, s2, exec_lo
.LBB601_196:
	s_or_b32 exec_lo, exec_lo, s31
	s_waitcnt lgkmcnt(0)
	v_dual_mov_b32 v34, s5 :: v_dual_mov_b32 v33, s4
	s_mov_b32 s4, exec_lo
	s_barrier
	buffer_gl0_inv
	v_cmpx_ne_u32_e32 0, v0
	s_cbranch_execz .LBB601_198
; %bb.197:
	v_add_nc_u32_e32 v33, -8, v55
	ds_load_b64 v[33:34], v33
.LBB601_198:
	s_or_b32 exec_lo, exec_lo, s4
	v_cndmask_b32_e64 v36, 0, 1, s29
	v_cndmask_b32_e64 v38, 0, 1, s25
	;; [unrolled: 1-line block ×7, first 2 shown]
	v_lshlrev_b16 v36, 8, v36
	v_lshlrev_b16 v38, 8, v38
	;; [unrolled: 1-line block ×3, first 2 shown]
	s_mov_b32 s2, 0
	v_lshlrev_b16 v42, 8, v42
	v_or_b32_e32 v35, v35, v36
	v_or_b32_e32 v36, v37, v38
	;; [unrolled: 1-line block ×3, first 2 shown]
	s_mov_b32 s3, exec_lo
	v_and_b32_e32 v39, 0xffff, v42
	v_lshlrev_b32_e32 v40, 16, v35
	v_and_b32_e32 v42, 0xffff, v36
	v_lshlrev_b32_e32 v43, 16, v37
	v_cmpx_gt_u32_e64 s28, v55
	s_cbranch_execz .LBB601_209
; %bb.199:
	v_cmp_ne_u32_e32 vcc_lo, 1, v41
	s_cbranch_vccnz .LBB601_208
; %bb.200:
	s_waitcnt lgkmcnt(0)
	v_mul_lo_u32 v38, v34, s22
	v_mul_lo_u32 v41, v33, s23
	v_mad_u64_u32 v[34:35], null, v33, s22, 0
	v_mul_lo_u32 v33, v30, s22
	v_mul_lo_u32 v44, v29, s23
	v_mad_u64_u32 v[36:37], null, v29, s22, 0
	s_mov_b32 s2, -1
	s_mov_b32 s18, exec_lo
	s_delay_alu instid0(VALU_DEP_4) | instskip(NEXT) | instid1(VALU_DEP_2)
	v_add3_u32 v35, v35, v41, v38
	v_add3_u32 v37, v37, v44, v33
	s_delay_alu instid0(VALU_DEP_2) | instskip(NEXT) | instid1(VALU_DEP_2)
	v_lshlrev_b64 v[33:34], 3, v[34:35]
	v_lshlrev_b64 v[37:38], 3, v[36:37]
	s_delay_alu instid0(VALU_DEP_2) | instskip(NEXT) | instid1(VALU_DEP_3)
	v_add_co_u32 v35, vcc_lo, s8, v33
	v_add_co_ci_u32_e32 v36, vcc_lo, s9, v34, vcc_lo
	s_delay_alu instid0(VALU_DEP_3) | instskip(NEXT) | instid1(VALU_DEP_4)
	v_add_co_u32 v33, vcc_lo, s8, v37
	v_add_co_ci_u32_e32 v34, vcc_lo, s9, v38, vcc_lo
	s_clause 0x1
	global_load_b64 v[37:38], v[35:36], off
	global_load_b64 v[44:45], v[33:34], off
	s_waitcnt vmcnt(0)
	v_cmpx_eq_u64_e64 v[37:38], v[44:45]
	s_cbranch_execz .LBB601_207
; %bb.201:
	v_add_co_u32 v33, vcc_lo, v33, 8
	v_add_co_ci_u32_e32 v34, vcc_lo, 0, v34, vcc_lo
	v_add_co_u32 v35, vcc_lo, v35, 8
	v_add_co_ci_u32_e32 v36, vcc_lo, 0, v36, vcc_lo
	s_add_u32 s4, s22, -1
	s_addc_u32 s5, s23, -1
	s_mov_b64 s[6:7], 0
	s_mov_b32 s19, 0
                                        ; implicit-def: $sgpr25
	s_set_inst_prefetch_distance 0x1
	s_branch .LBB601_204
	.p2align	6
.LBB601_202:                            ;   in Loop: Header=BB601_204 Depth=1
	global_load_b64 v[37:38], v[35:36], off
	global_load_b64 v[44:45], v[33:34], off
	v_add_co_u32 v33, vcc_lo, v33, 8
	v_add_co_ci_u32_e32 v34, vcc_lo, 0, v34, vcc_lo
	v_add_co_u32 v35, s2, v35, 8
	s_delay_alu instid0(VALU_DEP_1)
	v_add_co_ci_u32_e64 v36, s2, 0, v36, s2
	s_add_u32 s6, s6, 1
	s_addc_u32 s7, s7, 0
	s_and_not1_b32 s2, s25, exec_lo
	s_waitcnt vmcnt(0)
	v_cmp_ne_u64_e32 vcc_lo, v[37:38], v[44:45]
	s_and_b32 s25, vcc_lo, exec_lo
	s_delay_alu instid0(SALU_CYCLE_1)
	s_or_b32 s25, s2, s25
.LBB601_203:                            ;   in Loop: Header=BB601_204 Depth=1
	v_dual_mov_b32 v38, s7 :: v_dual_mov_b32 v37, s6
	s_and_b32 s2, exec_lo, s25
	s_delay_alu instid0(SALU_CYCLE_1) | instskip(NEXT) | instid1(SALU_CYCLE_1)
	s_or_b32 s19, s2, s19
	s_and_not1_b32 exec_lo, exec_lo, s19
	s_cbranch_execz .LBB601_206
.LBB601_204:                            ; =>This Inner Loop Header: Depth=1
	s_or_b32 s25, s25, exec_lo
	s_cmp_eq_u64 s[4:5], s[6:7]
	s_cbranch_scc0 .LBB601_202
; %bb.205:                              ;   in Loop: Header=BB601_204 Depth=1
	s_mov_b64 s[6:7], s[22:23]
                                        ; implicit-def: $vgpr33_vgpr34
                                        ; implicit-def: $vgpr35_vgpr36
	s_branch .LBB601_203
.LBB601_206:
	s_set_inst_prefetch_distance 0x2
	s_or_b32 exec_lo, exec_lo, s19
	v_cmp_gt_i64_e32 vcc_lo, s[22:23], v[37:38]
	s_or_not1_b32 s2, vcc_lo, exec_lo
.LBB601_207:
	s_or_b32 exec_lo, exec_lo, s18
.LBB601_208:
	s_delay_alu instid0(SALU_CYCLE_1)
	s_and_b32 s2, s2, exec_lo
.LBB601_209:
	s_or_b32 exec_lo, exec_lo, s3
	s_waitcnt lgkmcnt(0)
	v_or_b32_e32 v33, v39, v40
	v_or_b32_e32 v34, v42, v43
.LBB601_210:
	s_waitcnt lgkmcnt(0)
	s_mov_b32 s3, -1
	s_cbranch_execnz .LBB601_379
.LBB601_211:
	v_cmp_gt_i64_e64 s18, s[22:23], 0
	s_and_b32 vcc_lo, exec_lo, s20
	ds_store_b64 v55, v[19:20]
	s_cbranch_vccz .LBB601_219
; %bb.212:
	v_mul_lo_u32 v35, v18, s22
	v_mul_lo_u32 v36, v17, s23
	v_mad_u64_u32 v[33:34], null, v17, s22, 0
	s_mov_b32 s19, 0
	s_and_not1_b32 vcc_lo, exec_lo, s18
	s_mov_b32 s25, 0
	s_delay_alu instid0(VALU_DEP_1) | instskip(NEXT) | instid1(VALU_DEP_1)
	v_add3_u32 v34, v34, v36, v35
	v_lshlrev_b64 v[33:34], 3, v[33:34]
	s_cbranch_vccnz .LBB601_222
; %bb.213:
	v_mul_lo_u32 v37, v20, s22
	v_mul_lo_u32 v38, v19, s23
	v_mad_u64_u32 v[35:36], null, v19, s22, 0
	s_mov_b32 s25, -1
	s_mov_b32 s26, exec_lo
	s_delay_alu instid0(VALU_DEP_1) | instskip(SKIP_2) | instid1(VALU_DEP_3)
	v_add3_u32 v36, v36, v38, v37
	v_add_co_u32 v37, vcc_lo, s8, v33
	v_add_co_ci_u32_e32 v38, vcc_lo, s9, v34, vcc_lo
	v_lshlrev_b64 v[35:36], 3, v[35:36]
	s_delay_alu instid0(VALU_DEP_1) | instskip(NEXT) | instid1(VALU_DEP_2)
	v_add_co_u32 v35, vcc_lo, s8, v35
	v_add_co_ci_u32_e32 v36, vcc_lo, s9, v36, vcc_lo
	s_clause 0x1
	global_load_b64 v[39:40], v[37:38], off
	global_load_b64 v[41:42], v[35:36], off
	s_waitcnt vmcnt(0)
	v_cmpx_eq_u64_e64 v[39:40], v[41:42]
	s_cbranch_execz .LBB601_221
; %bb.214:
	v_add_co_u32 v35, vcc_lo, v35, 8
	v_add_co_ci_u32_e32 v36, vcc_lo, 0, v36, vcc_lo
	v_add_co_u32 v37, vcc_lo, v37, 8
	v_add_co_ci_u32_e32 v38, vcc_lo, 0, v38, vcc_lo
	s_add_u32 s4, s22, -1
	s_addc_u32 s5, s23, -1
	s_mov_b64 s[6:7], 0
	s_mov_b32 s25, 0
                                        ; implicit-def: $sgpr27
	s_set_inst_prefetch_distance 0x1
	s_branch .LBB601_217
	.p2align	6
.LBB601_215:                            ;   in Loop: Header=BB601_217 Depth=1
	global_load_b64 v[39:40], v[37:38], off
	global_load_b64 v[41:42], v[35:36], off
	v_add_co_u32 v35, vcc_lo, v35, 8
	v_add_co_ci_u32_e32 v36, vcc_lo, 0, v36, vcc_lo
	v_add_co_u32 v37, s2, v37, 8
	s_delay_alu instid0(VALU_DEP_1)
	v_add_co_ci_u32_e64 v38, s2, 0, v38, s2
	s_add_u32 s6, s6, 1
	s_addc_u32 s7, s7, 0
	s_and_not1_b32 s2, s27, exec_lo
	s_waitcnt vmcnt(0)
	v_cmp_ne_u64_e32 vcc_lo, v[39:40], v[41:42]
	s_and_b32 s27, vcc_lo, exec_lo
	s_delay_alu instid0(SALU_CYCLE_1)
	s_or_b32 s27, s2, s27
.LBB601_216:                            ;   in Loop: Header=BB601_217 Depth=1
	v_dual_mov_b32 v40, s7 :: v_dual_mov_b32 v39, s6
	s_and_b32 s2, exec_lo, s27
	s_delay_alu instid0(SALU_CYCLE_1) | instskip(NEXT) | instid1(SALU_CYCLE_1)
	s_or_b32 s25, s2, s25
	s_and_not1_b32 exec_lo, exec_lo, s25
	s_cbranch_execz .LBB601_220
.LBB601_217:                            ; =>This Inner Loop Header: Depth=1
	s_or_b32 s27, s27, exec_lo
	s_cmp_eq_u64 s[4:5], s[6:7]
	s_cbranch_scc0 .LBB601_215
; %bb.218:                              ;   in Loop: Header=BB601_217 Depth=1
	s_mov_b64 s[6:7], s[22:23]
                                        ; implicit-def: $vgpr35_vgpr36
                                        ; implicit-def: $vgpr37_vgpr38
	s_branch .LBB601_216
.LBB601_219:
                                        ; implicit-def: $sgpr2
                                        ; implicit-def: $vgpr34
	s_cbranch_execnz .LBB601_288
	s_branch .LBB601_379
.LBB601_220:
	s_set_inst_prefetch_distance 0x2
	s_or_b32 exec_lo, exec_lo, s25
	v_cmp_gt_i64_e32 vcc_lo, s[22:23], v[39:40]
	s_or_not1_b32 s25, vcc_lo, exec_lo
.LBB601_221:
	s_or_b32 exec_lo, exec_lo, s26
.LBB601_222:
	v_mul_lo_u32 v37, v24, s22
	v_mul_lo_u32 v38, v23, s23
	v_mad_u64_u32 v[35:36], null, v23, s22, 0
	s_and_not1_b32 vcc_lo, exec_lo, s18
	s_delay_alu instid0(VALU_DEP_1) | instskip(NEXT) | instid1(VALU_DEP_1)
	v_add3_u32 v36, v36, v38, v37
	v_lshlrev_b64 v[35:36], 3, v[35:36]
	s_cbranch_vccnz .LBB601_231
; %bb.223:
	s_delay_alu instid0(VALU_DEP_1) | instskip(NEXT) | instid1(VALU_DEP_2)
	v_add_co_u32 v37, vcc_lo, s8, v35
	v_add_co_ci_u32_e32 v38, vcc_lo, s9, v36, vcc_lo
	v_add_co_u32 v33, vcc_lo, s8, v33
	v_add_co_ci_u32_e32 v34, vcc_lo, s9, v34, vcc_lo
	s_mov_b32 s19, -1
	s_clause 0x1
	global_load_b64 v[39:40], v[37:38], off
	global_load_b64 v[41:42], v[33:34], off
	s_mov_b32 s26, exec_lo
	s_waitcnt vmcnt(0)
	v_cmpx_eq_u64_e64 v[39:40], v[41:42]
	s_cbranch_execz .LBB601_230
; %bb.224:
	v_add_co_u32 v33, vcc_lo, v33, 8
	v_add_co_ci_u32_e32 v34, vcc_lo, 0, v34, vcc_lo
	v_add_co_u32 v37, vcc_lo, v37, 8
	v_add_co_ci_u32_e32 v38, vcc_lo, 0, v38, vcc_lo
	s_add_u32 s4, s22, -1
	s_addc_u32 s5, s23, -1
	s_mov_b64 s[6:7], 0
	s_mov_b32 s19, 0
                                        ; implicit-def: $sgpr27
	s_set_inst_prefetch_distance 0x1
	s_branch .LBB601_227
	.p2align	6
.LBB601_225:                            ;   in Loop: Header=BB601_227 Depth=1
	global_load_b64 v[39:40], v[37:38], off
	global_load_b64 v[41:42], v[33:34], off
	v_add_co_u32 v33, vcc_lo, v33, 8
	v_add_co_ci_u32_e32 v34, vcc_lo, 0, v34, vcc_lo
	v_add_co_u32 v37, s2, v37, 8
	s_delay_alu instid0(VALU_DEP_1)
	v_add_co_ci_u32_e64 v38, s2, 0, v38, s2
	s_add_u32 s6, s6, 1
	s_addc_u32 s7, s7, 0
	s_and_not1_b32 s2, s27, exec_lo
	s_waitcnt vmcnt(0)
	v_cmp_ne_u64_e32 vcc_lo, v[39:40], v[41:42]
	s_and_b32 s27, vcc_lo, exec_lo
	s_delay_alu instid0(SALU_CYCLE_1)
	s_or_b32 s27, s2, s27
.LBB601_226:                            ;   in Loop: Header=BB601_227 Depth=1
	v_dual_mov_b32 v40, s7 :: v_dual_mov_b32 v39, s6
	s_and_b32 s2, exec_lo, s27
	s_delay_alu instid0(SALU_CYCLE_1) | instskip(NEXT) | instid1(SALU_CYCLE_1)
	s_or_b32 s19, s2, s19
	s_and_not1_b32 exec_lo, exec_lo, s19
	s_cbranch_execz .LBB601_229
.LBB601_227:                            ; =>This Inner Loop Header: Depth=1
	s_or_b32 s27, s27, exec_lo
	s_cmp_eq_u64 s[4:5], s[6:7]
	s_cbranch_scc0 .LBB601_225
; %bb.228:                              ;   in Loop: Header=BB601_227 Depth=1
	s_mov_b64 s[6:7], s[22:23]
                                        ; implicit-def: $vgpr33_vgpr34
                                        ; implicit-def: $vgpr37_vgpr38
	s_branch .LBB601_226
.LBB601_229:
	s_set_inst_prefetch_distance 0x2
	s_or_b32 exec_lo, exec_lo, s19
	v_cmp_gt_i64_e32 vcc_lo, s[22:23], v[39:40]
	s_or_not1_b32 s19, vcc_lo, exec_lo
.LBB601_230:
	s_or_b32 exec_lo, exec_lo, s26
.LBB601_231:
	v_mul_lo_u32 v37, v22, s22
	v_mul_lo_u32 v38, v21, s23
	v_mad_u64_u32 v[33:34], null, v21, s22, 0
	s_mov_b32 s26, 0
	s_and_not1_b32 vcc_lo, exec_lo, s18
	s_mov_b32 s27, 0
	s_delay_alu instid0(VALU_DEP_1) | instskip(NEXT) | instid1(VALU_DEP_1)
	v_add3_u32 v34, v34, v38, v37
	v_lshlrev_b64 v[37:38], 3, v[33:34]
	s_cbranch_vccnz .LBB601_240
; %bb.232:
	s_delay_alu instid0(VALU_DEP_1) | instskip(NEXT) | instid1(VALU_DEP_2)
	v_add_co_u32 v39, vcc_lo, s8, v37
	v_add_co_ci_u32_e32 v40, vcc_lo, s9, v38, vcc_lo
	v_add_co_u32 v33, vcc_lo, s8, v35
	v_add_co_ci_u32_e32 v34, vcc_lo, s9, v36, vcc_lo
	s_mov_b32 s27, -1
	s_clause 0x1
	global_load_b64 v[35:36], v[39:40], off
	global_load_b64 v[41:42], v[33:34], off
	s_mov_b32 s29, exec_lo
	s_waitcnt vmcnt(0)
	v_cmpx_eq_u64_e64 v[35:36], v[41:42]
	s_cbranch_execz .LBB601_239
; %bb.233:
	v_add_co_u32 v33, vcc_lo, v33, 8
	v_add_co_ci_u32_e32 v34, vcc_lo, 0, v34, vcc_lo
	v_add_co_u32 v35, vcc_lo, v39, 8
	v_add_co_ci_u32_e32 v36, vcc_lo, 0, v40, vcc_lo
	s_add_u32 s4, s22, -1
	s_addc_u32 s5, s23, -1
	s_mov_b64 s[6:7], 0
	s_mov_b32 s27, 0
                                        ; implicit-def: $sgpr30
	s_set_inst_prefetch_distance 0x1
	s_branch .LBB601_236
	.p2align	6
.LBB601_234:                            ;   in Loop: Header=BB601_236 Depth=1
	global_load_b64 v[39:40], v[35:36], off
	global_load_b64 v[41:42], v[33:34], off
	v_add_co_u32 v33, vcc_lo, v33, 8
	v_add_co_ci_u32_e32 v34, vcc_lo, 0, v34, vcc_lo
	v_add_co_u32 v35, s2, v35, 8
	s_delay_alu instid0(VALU_DEP_1)
	v_add_co_ci_u32_e64 v36, s2, 0, v36, s2
	s_add_u32 s6, s6, 1
	s_addc_u32 s7, s7, 0
	s_and_not1_b32 s2, s30, exec_lo
	s_waitcnt vmcnt(0)
	v_cmp_ne_u64_e32 vcc_lo, v[39:40], v[41:42]
	s_and_b32 s30, vcc_lo, exec_lo
	s_delay_alu instid0(SALU_CYCLE_1)
	s_or_b32 s30, s2, s30
.LBB601_235:                            ;   in Loop: Header=BB601_236 Depth=1
	v_dual_mov_b32 v40, s7 :: v_dual_mov_b32 v39, s6
	s_and_b32 s2, exec_lo, s30
	s_delay_alu instid0(SALU_CYCLE_1) | instskip(NEXT) | instid1(SALU_CYCLE_1)
	s_or_b32 s27, s2, s27
	s_and_not1_b32 exec_lo, exec_lo, s27
	s_cbranch_execz .LBB601_238
.LBB601_236:                            ; =>This Inner Loop Header: Depth=1
	s_or_b32 s30, s30, exec_lo
	s_cmp_eq_u64 s[4:5], s[6:7]
	s_cbranch_scc0 .LBB601_234
; %bb.237:                              ;   in Loop: Header=BB601_236 Depth=1
	s_mov_b64 s[6:7], s[22:23]
                                        ; implicit-def: $vgpr33_vgpr34
                                        ; implicit-def: $vgpr35_vgpr36
	s_branch .LBB601_235
.LBB601_238:
	s_set_inst_prefetch_distance 0x2
	s_or_b32 exec_lo, exec_lo, s27
	v_cmp_gt_i64_e32 vcc_lo, s[22:23], v[39:40]
	s_or_not1_b32 s27, vcc_lo, exec_lo
.LBB601_239:
	s_or_b32 exec_lo, exec_lo, s29
.LBB601_240:
	v_mul_lo_u32 v35, v28, s22
	v_mul_lo_u32 v36, v27, s23
	v_mad_u64_u32 v[33:34], null, v27, s22, 0
	s_and_not1_b32 vcc_lo, exec_lo, s18
	s_delay_alu instid0(VALU_DEP_1) | instskip(NEXT) | instid1(VALU_DEP_1)
	v_add3_u32 v34, v34, v36, v35
	v_lshlrev_b64 v[33:34], 3, v[33:34]
	s_cbranch_vccnz .LBB601_249
; %bb.241:
	s_delay_alu instid0(VALU_DEP_1) | instskip(NEXT) | instid1(VALU_DEP_2)
	v_add_co_u32 v39, vcc_lo, s8, v33
	v_add_co_ci_u32_e32 v40, vcc_lo, s9, v34, vcc_lo
	v_add_co_u32 v35, vcc_lo, s8, v37
	v_add_co_ci_u32_e32 v36, vcc_lo, s9, v38, vcc_lo
	s_mov_b32 s26, -1
	s_clause 0x1
	global_load_b64 v[37:38], v[39:40], off
	global_load_b64 v[41:42], v[35:36], off
	s_mov_b32 s29, exec_lo
	s_waitcnt vmcnt(0)
	v_cmpx_eq_u64_e64 v[37:38], v[41:42]
	s_cbranch_execz .LBB601_248
; %bb.242:
	v_add_co_u32 v35, vcc_lo, v35, 8
	v_add_co_ci_u32_e32 v36, vcc_lo, 0, v36, vcc_lo
	v_add_co_u32 v37, vcc_lo, v39, 8
	v_add_co_ci_u32_e32 v38, vcc_lo, 0, v40, vcc_lo
	s_add_u32 s4, s22, -1
	s_addc_u32 s5, s23, -1
	s_mov_b64 s[6:7], 0
	s_mov_b32 s26, 0
                                        ; implicit-def: $sgpr30
	s_set_inst_prefetch_distance 0x1
	s_branch .LBB601_245
	.p2align	6
.LBB601_243:                            ;   in Loop: Header=BB601_245 Depth=1
	global_load_b64 v[39:40], v[37:38], off
	global_load_b64 v[41:42], v[35:36], off
	v_add_co_u32 v35, vcc_lo, v35, 8
	v_add_co_ci_u32_e32 v36, vcc_lo, 0, v36, vcc_lo
	v_add_co_u32 v37, s2, v37, 8
	s_delay_alu instid0(VALU_DEP_1)
	v_add_co_ci_u32_e64 v38, s2, 0, v38, s2
	s_add_u32 s6, s6, 1
	s_addc_u32 s7, s7, 0
	s_and_not1_b32 s2, s30, exec_lo
	s_waitcnt vmcnt(0)
	v_cmp_ne_u64_e32 vcc_lo, v[39:40], v[41:42]
	s_and_b32 s30, vcc_lo, exec_lo
	s_delay_alu instid0(SALU_CYCLE_1)
	s_or_b32 s30, s2, s30
.LBB601_244:                            ;   in Loop: Header=BB601_245 Depth=1
	v_dual_mov_b32 v40, s7 :: v_dual_mov_b32 v39, s6
	s_and_b32 s2, exec_lo, s30
	s_delay_alu instid0(SALU_CYCLE_1) | instskip(NEXT) | instid1(SALU_CYCLE_1)
	s_or_b32 s26, s2, s26
	s_and_not1_b32 exec_lo, exec_lo, s26
	s_cbranch_execz .LBB601_247
.LBB601_245:                            ; =>This Inner Loop Header: Depth=1
	s_or_b32 s30, s30, exec_lo
	s_cmp_eq_u64 s[4:5], s[6:7]
	s_cbranch_scc0 .LBB601_243
; %bb.246:                              ;   in Loop: Header=BB601_245 Depth=1
	s_mov_b64 s[6:7], s[22:23]
                                        ; implicit-def: $vgpr35_vgpr36
                                        ; implicit-def: $vgpr37_vgpr38
	s_branch .LBB601_244
.LBB601_247:
	s_set_inst_prefetch_distance 0x2
	s_or_b32 exec_lo, exec_lo, s26
	v_cmp_gt_i64_e32 vcc_lo, s[22:23], v[39:40]
	s_or_not1_b32 s26, vcc_lo, exec_lo
.LBB601_248:
	s_or_b32 exec_lo, exec_lo, s29
.LBB601_249:
	v_mul_lo_u32 v37, v26, s22
	v_mul_lo_u32 v38, v25, s23
	v_mad_u64_u32 v[35:36], null, v25, s22, 0
	s_mov_b32 s29, 0
	s_and_not1_b32 vcc_lo, exec_lo, s18
	s_mov_b32 s30, 0
	s_delay_alu instid0(VALU_DEP_1) | instskip(NEXT) | instid1(VALU_DEP_1)
	v_add3_u32 v36, v36, v38, v37
	v_lshlrev_b64 v[35:36], 3, v[35:36]
	s_cbranch_vccnz .LBB601_258
; %bb.250:
	s_delay_alu instid0(VALU_DEP_1) | instskip(NEXT) | instid1(VALU_DEP_2)
	v_add_co_u32 v37, vcc_lo, s8, v35
	v_add_co_ci_u32_e32 v38, vcc_lo, s9, v36, vcc_lo
	v_add_co_u32 v33, vcc_lo, s8, v33
	v_add_co_ci_u32_e32 v34, vcc_lo, s9, v34, vcc_lo
	s_mov_b32 s30, -1
	s_clause 0x1
	global_load_b64 v[39:40], v[37:38], off
	global_load_b64 v[41:42], v[33:34], off
	s_mov_b32 s31, exec_lo
	s_waitcnt vmcnt(0)
	v_cmpx_eq_u64_e64 v[39:40], v[41:42]
	s_cbranch_execz .LBB601_257
; %bb.251:
	v_add_co_u32 v33, vcc_lo, v33, 8
	v_add_co_ci_u32_e32 v34, vcc_lo, 0, v34, vcc_lo
	v_add_co_u32 v37, vcc_lo, v37, 8
	v_add_co_ci_u32_e32 v38, vcc_lo, 0, v38, vcc_lo
	s_add_u32 s4, s22, -1
	s_addc_u32 s5, s23, -1
	s_mov_b64 s[6:7], 0
	s_mov_b32 s30, 0
                                        ; implicit-def: $sgpr33
	s_set_inst_prefetch_distance 0x1
	s_branch .LBB601_254
	.p2align	6
.LBB601_252:                            ;   in Loop: Header=BB601_254 Depth=1
	global_load_b64 v[39:40], v[37:38], off
	global_load_b64 v[41:42], v[33:34], off
	v_add_co_u32 v33, vcc_lo, v33, 8
	v_add_co_ci_u32_e32 v34, vcc_lo, 0, v34, vcc_lo
	v_add_co_u32 v37, s2, v37, 8
	s_delay_alu instid0(VALU_DEP_1)
	v_add_co_ci_u32_e64 v38, s2, 0, v38, s2
	s_add_u32 s6, s6, 1
	s_addc_u32 s7, s7, 0
	s_and_not1_b32 s2, s33, exec_lo
	s_waitcnt vmcnt(0)
	v_cmp_ne_u64_e32 vcc_lo, v[39:40], v[41:42]
	s_and_b32 s33, vcc_lo, exec_lo
	s_delay_alu instid0(SALU_CYCLE_1)
	s_or_b32 s33, s2, s33
.LBB601_253:                            ;   in Loop: Header=BB601_254 Depth=1
	v_dual_mov_b32 v40, s7 :: v_dual_mov_b32 v39, s6
	s_and_b32 s2, exec_lo, s33
	s_delay_alu instid0(SALU_CYCLE_1) | instskip(NEXT) | instid1(SALU_CYCLE_1)
	s_or_b32 s30, s2, s30
	s_and_not1_b32 exec_lo, exec_lo, s30
	s_cbranch_execz .LBB601_256
.LBB601_254:                            ; =>This Inner Loop Header: Depth=1
	s_or_b32 s33, s33, exec_lo
	s_cmp_eq_u64 s[4:5], s[6:7]
	s_cbranch_scc0 .LBB601_252
; %bb.255:                              ;   in Loop: Header=BB601_254 Depth=1
	s_mov_b64 s[6:7], s[22:23]
                                        ; implicit-def: $vgpr33_vgpr34
                                        ; implicit-def: $vgpr37_vgpr38
	s_branch .LBB601_253
.LBB601_256:
	s_set_inst_prefetch_distance 0x2
	s_or_b32 exec_lo, exec_lo, s30
	v_cmp_gt_i64_e32 vcc_lo, s[22:23], v[39:40]
	s_or_not1_b32 s30, vcc_lo, exec_lo
.LBB601_257:
	s_or_b32 exec_lo, exec_lo, s31
.LBB601_258:
	v_mul_lo_u32 v37, v32, s22
	v_mul_lo_u32 v38, v31, s23
	v_mad_u64_u32 v[33:34], null, v31, s22, 0
	s_and_not1_b32 vcc_lo, exec_lo, s18
	s_delay_alu instid0(VALU_DEP_1) | instskip(NEXT) | instid1(VALU_DEP_1)
	v_add3_u32 v34, v34, v38, v37
	v_lshlrev_b64 v[33:34], 3, v[33:34]
	s_cbranch_vccnz .LBB601_267
; %bb.259:
	s_delay_alu instid0(VALU_DEP_1) | instskip(NEXT) | instid1(VALU_DEP_2)
	v_add_co_u32 v37, vcc_lo, s8, v33
	v_add_co_ci_u32_e32 v38, vcc_lo, s9, v34, vcc_lo
	v_add_co_u32 v35, vcc_lo, s8, v35
	v_add_co_ci_u32_e32 v36, vcc_lo, s9, v36, vcc_lo
	s_mov_b32 s29, -1
	s_clause 0x1
	global_load_b64 v[39:40], v[37:38], off
	global_load_b64 v[41:42], v[35:36], off
	s_mov_b32 s31, exec_lo
	s_waitcnt vmcnt(0)
	v_cmpx_eq_u64_e64 v[39:40], v[41:42]
	s_cbranch_execz .LBB601_266
; %bb.260:
	v_add_co_u32 v35, vcc_lo, v35, 8
	v_add_co_ci_u32_e32 v36, vcc_lo, 0, v36, vcc_lo
	v_add_co_u32 v37, vcc_lo, v37, 8
	v_add_co_ci_u32_e32 v38, vcc_lo, 0, v38, vcc_lo
	s_add_u32 s4, s22, -1
	s_addc_u32 s5, s23, -1
	s_mov_b64 s[6:7], 0
	s_mov_b32 s29, 0
                                        ; implicit-def: $sgpr33
	s_set_inst_prefetch_distance 0x1
	s_branch .LBB601_263
	.p2align	6
.LBB601_261:                            ;   in Loop: Header=BB601_263 Depth=1
	global_load_b64 v[39:40], v[37:38], off
	global_load_b64 v[41:42], v[35:36], off
	v_add_co_u32 v35, vcc_lo, v35, 8
	v_add_co_ci_u32_e32 v36, vcc_lo, 0, v36, vcc_lo
	v_add_co_u32 v37, s2, v37, 8
	s_delay_alu instid0(VALU_DEP_1)
	v_add_co_ci_u32_e64 v38, s2, 0, v38, s2
	s_add_u32 s6, s6, 1
	s_addc_u32 s7, s7, 0
	s_and_not1_b32 s2, s33, exec_lo
	s_waitcnt vmcnt(0)
	v_cmp_ne_u64_e32 vcc_lo, v[39:40], v[41:42]
	s_and_b32 s33, vcc_lo, exec_lo
	s_delay_alu instid0(SALU_CYCLE_1)
	s_or_b32 s33, s2, s33
.LBB601_262:                            ;   in Loop: Header=BB601_263 Depth=1
	v_dual_mov_b32 v40, s7 :: v_dual_mov_b32 v39, s6
	s_and_b32 s2, exec_lo, s33
	s_delay_alu instid0(SALU_CYCLE_1) | instskip(NEXT) | instid1(SALU_CYCLE_1)
	s_or_b32 s29, s2, s29
	s_and_not1_b32 exec_lo, exec_lo, s29
	s_cbranch_execz .LBB601_265
.LBB601_263:                            ; =>This Inner Loop Header: Depth=1
	s_or_b32 s33, s33, exec_lo
	s_cmp_eq_u64 s[4:5], s[6:7]
	s_cbranch_scc0 .LBB601_261
; %bb.264:                              ;   in Loop: Header=BB601_263 Depth=1
	s_mov_b64 s[6:7], s[22:23]
                                        ; implicit-def: $vgpr35_vgpr36
                                        ; implicit-def: $vgpr37_vgpr38
	s_branch .LBB601_262
.LBB601_265:
	s_set_inst_prefetch_distance 0x2
	s_or_b32 exec_lo, exec_lo, s29
	v_cmp_gt_i64_e32 vcc_lo, s[22:23], v[39:40]
	s_or_not1_b32 s29, vcc_lo, exec_lo
.LBB601_266:
	s_or_b32 exec_lo, exec_lo, s31
.LBB601_267:
	v_mul_lo_u32 v37, v30, s22
	v_mul_lo_u32 v38, v29, s23
	v_mad_u64_u32 v[35:36], null, v29, s22, 0
	s_and_not1_b32 vcc_lo, exec_lo, s18
	s_mov_b32 s2, 0
	s_delay_alu instid0(VALU_DEP_1)
	v_add3_u32 v36, v36, v38, v37
	s_cbranch_vccnz .LBB601_276
; %bb.268:
	s_delay_alu instid0(VALU_DEP_1) | instskip(SKIP_2) | instid1(VALU_DEP_1)
	v_lshlrev_b64 v[37:38], 3, v[35:36]
	s_mov_b32 s2, -1
	s_mov_b32 s31, exec_lo
	v_add_co_u32 v37, vcc_lo, s8, v37
	s_delay_alu instid0(VALU_DEP_2)
	v_add_co_ci_u32_e32 v38, vcc_lo, s9, v38, vcc_lo
	v_add_co_u32 v33, vcc_lo, s8, v33
	v_add_co_ci_u32_e32 v34, vcc_lo, s9, v34, vcc_lo
	s_clause 0x1
	global_load_b64 v[39:40], v[37:38], off
	global_load_b64 v[41:42], v[33:34], off
	s_waitcnt vmcnt(0)
	v_cmpx_eq_u64_e64 v[39:40], v[41:42]
	s_cbranch_execz .LBB601_275
; %bb.269:
	v_add_co_u32 v33, vcc_lo, v33, 8
	v_add_co_ci_u32_e32 v34, vcc_lo, 0, v34, vcc_lo
	v_add_co_u32 v37, vcc_lo, v37, 8
	v_add_co_ci_u32_e32 v38, vcc_lo, 0, v38, vcc_lo
	s_add_u32 s4, s22, -1
	s_addc_u32 s5, s23, -1
	s_mov_b64 s[6:7], 0
	s_mov_b32 s33, 0
                                        ; implicit-def: $sgpr34
	s_set_inst_prefetch_distance 0x1
	s_branch .LBB601_272
	.p2align	6
.LBB601_270:                            ;   in Loop: Header=BB601_272 Depth=1
	global_load_b64 v[39:40], v[37:38], off
	global_load_b64 v[41:42], v[33:34], off
	v_add_co_u32 v33, vcc_lo, v33, 8
	v_add_co_ci_u32_e32 v34, vcc_lo, 0, v34, vcc_lo
	v_add_co_u32 v37, s2, v37, 8
	s_delay_alu instid0(VALU_DEP_1)
	v_add_co_ci_u32_e64 v38, s2, 0, v38, s2
	s_add_u32 s6, s6, 1
	s_addc_u32 s7, s7, 0
	s_and_not1_b32 s2, s34, exec_lo
	s_waitcnt vmcnt(0)
	v_cmp_ne_u64_e32 vcc_lo, v[39:40], v[41:42]
	s_and_b32 s34, vcc_lo, exec_lo
	s_delay_alu instid0(SALU_CYCLE_1)
	s_or_b32 s34, s2, s34
.LBB601_271:                            ;   in Loop: Header=BB601_272 Depth=1
	v_dual_mov_b32 v40, s7 :: v_dual_mov_b32 v39, s6
	s_and_b32 s2, exec_lo, s34
	s_delay_alu instid0(SALU_CYCLE_1) | instskip(NEXT) | instid1(SALU_CYCLE_1)
	s_or_b32 s33, s2, s33
	s_and_not1_b32 exec_lo, exec_lo, s33
	s_cbranch_execz .LBB601_274
.LBB601_272:                            ; =>This Inner Loop Header: Depth=1
	s_or_b32 s34, s34, exec_lo
	s_cmp_eq_u64 s[4:5], s[6:7]
	s_cbranch_scc0 .LBB601_270
; %bb.273:                              ;   in Loop: Header=BB601_272 Depth=1
	s_mov_b64 s[6:7], s[22:23]
                                        ; implicit-def: $vgpr33_vgpr34
                                        ; implicit-def: $vgpr37_vgpr38
	s_branch .LBB601_271
.LBB601_274:
	s_set_inst_prefetch_distance 0x2
	s_or_b32 exec_lo, exec_lo, s33
	v_cmp_gt_i64_e32 vcc_lo, s[22:23], v[39:40]
	s_or_not1_b32 s2, vcc_lo, exec_lo
.LBB601_275:
	s_or_b32 exec_lo, exec_lo, s31
.LBB601_276:
	v_cndmask_b32_e64 v34, 0, 1, s30
	v_cndmask_b32_e64 v37, 0, 1, s27
	;; [unrolled: 1-line block ×7, first 2 shown]
	v_lshlrev_b16 v37, 8, v37
	v_lshlrev_b16 v38, 8, v38
	;; [unrolled: 1-line block ×4, first 2 shown]
	s_waitcnt lgkmcnt(0)
	v_or_b32_e32 v37, v40, v37
	v_or_b32_e32 v38, v41, v38
	;; [unrolled: 1-line block ×4, first 2 shown]
	s_barrier
	v_and_b32_e32 v34, 0xffff, v37
	v_lshlrev_b32_e32 v37, 16, v38
	v_and_b32_e32 v38, 0xffff, v39
	v_lshlrev_b32_e32 v33, 16, v33
	buffer_gl0_inv
                                        ; implicit-def: $sgpr2
	s_mov_b32 s4, exec_lo
	v_or_b32_e32 v34, v34, v37
	v_or_b32_e32 v33, v38, v33
	v_cmpx_ne_u32_e32 0, v0
	s_xor_b32 s19, exec_lo, s4
	s_cbranch_execz .LBB601_287
; %bb.277:
	s_and_not1_b32 vcc_lo, exec_lo, s18
	s_mov_b32 s2, 0
	s_cbranch_vccnz .LBB601_286
; %bb.278:
	v_add_nc_u32_e32 v37, -8, v55
	v_lshlrev_b64 v[35:36], 3, v[35:36]
	s_mov_b32 s2, -1
	s_mov_b32 s25, exec_lo
	ds_load_b64 v[37:38], v37
	s_waitcnt lgkmcnt(0)
	v_mul_lo_u32 v40, v38, s22
	v_mul_lo_u32 v41, v37, s23
	v_mad_u64_u32 v[38:39], null, v37, s22, 0
	s_delay_alu instid0(VALU_DEP_1) | instskip(NEXT) | instid1(VALU_DEP_1)
	v_add3_u32 v39, v39, v41, v40
	v_lshlrev_b64 v[37:38], 3, v[38:39]
	s_delay_alu instid0(VALU_DEP_1) | instskip(NEXT) | instid1(VALU_DEP_2)
	v_add_co_u32 v37, vcc_lo, s8, v37
	v_add_co_ci_u32_e32 v38, vcc_lo, s9, v38, vcc_lo
	v_add_co_u32 v35, vcc_lo, s8, v35
	v_add_co_ci_u32_e32 v36, vcc_lo, s9, v36, vcc_lo
	s_clause 0x1
	global_load_b64 v[39:40], v[37:38], off
	global_load_b64 v[41:42], v[35:36], off
	s_waitcnt vmcnt(0)
	v_cmpx_eq_u64_e64 v[39:40], v[41:42]
	s_cbranch_execz .LBB601_285
; %bb.279:
	v_add_co_u32 v35, vcc_lo, v35, 8
	v_add_co_ci_u32_e32 v36, vcc_lo, 0, v36, vcc_lo
	v_add_co_u32 v37, vcc_lo, v37, 8
	v_add_co_ci_u32_e32 v38, vcc_lo, 0, v38, vcc_lo
	s_add_u32 s4, s22, -1
	s_addc_u32 s5, s23, -1
	s_mov_b64 s[6:7], 0
	s_mov_b32 s26, 0
                                        ; implicit-def: $sgpr27
	s_set_inst_prefetch_distance 0x1
	s_branch .LBB601_282
	.p2align	6
.LBB601_280:                            ;   in Loop: Header=BB601_282 Depth=1
	global_load_b64 v[39:40], v[37:38], off
	global_load_b64 v[41:42], v[35:36], off
	v_add_co_u32 v35, vcc_lo, v35, 8
	v_add_co_ci_u32_e32 v36, vcc_lo, 0, v36, vcc_lo
	v_add_co_u32 v37, s2, v37, 8
	s_delay_alu instid0(VALU_DEP_1)
	v_add_co_ci_u32_e64 v38, s2, 0, v38, s2
	s_add_u32 s6, s6, 1
	s_addc_u32 s7, s7, 0
	s_and_not1_b32 s2, s27, exec_lo
	s_waitcnt vmcnt(0)
	v_cmp_ne_u64_e32 vcc_lo, v[39:40], v[41:42]
	s_and_b32 s27, vcc_lo, exec_lo
	s_delay_alu instid0(SALU_CYCLE_1)
	s_or_b32 s27, s2, s27
.LBB601_281:                            ;   in Loop: Header=BB601_282 Depth=1
	v_dual_mov_b32 v40, s7 :: v_dual_mov_b32 v39, s6
	s_and_b32 s2, exec_lo, s27
	s_delay_alu instid0(SALU_CYCLE_1) | instskip(NEXT) | instid1(SALU_CYCLE_1)
	s_or_b32 s26, s2, s26
	s_and_not1_b32 exec_lo, exec_lo, s26
	s_cbranch_execz .LBB601_284
.LBB601_282:                            ; =>This Inner Loop Header: Depth=1
	s_or_b32 s27, s27, exec_lo
	s_cmp_eq_u64 s[4:5], s[6:7]
	s_cbranch_scc0 .LBB601_280
; %bb.283:                              ;   in Loop: Header=BB601_282 Depth=1
	s_mov_b64 s[6:7], s[22:23]
                                        ; implicit-def: $vgpr35_vgpr36
                                        ; implicit-def: $vgpr37_vgpr38
	s_branch .LBB601_281
.LBB601_284:
	s_set_inst_prefetch_distance 0x2
	s_or_b32 exec_lo, exec_lo, s26
	v_cmp_gt_i64_e32 vcc_lo, s[22:23], v[39:40]
	s_or_not1_b32 s2, vcc_lo, exec_lo
.LBB601_285:
	s_or_b32 exec_lo, exec_lo, s25
.LBB601_286:
	s_delay_alu instid0(SALU_CYCLE_1)
	s_and_b32 s2, s2, exec_lo
	s_or_b32 s3, s3, exec_lo
.LBB601_287:
	s_or_b32 exec_lo, exec_lo, s19
	s_branch .LBB601_379
.LBB601_288:
	v_or_b32_e32 v33, 7, v55
	s_mov_b32 s19, 0
	s_mov_b32 s25, 0
	s_mov_b32 s26, exec_lo
	s_delay_alu instid0(VALU_DEP_1)
	v_cmpx_gt_u32_e64 s28, v33
	s_cbranch_execz .LBB601_299
; %bb.289:
	s_and_not1_b32 vcc_lo, exec_lo, s18
	s_mov_b32 s2, 0
	s_cbranch_vccnz .LBB601_298
; %bb.290:
	v_mul_lo_u32 v37, v18, s22
	v_mul_lo_u32 v38, v17, s23
	v_mad_u64_u32 v[33:34], null, v17, s22, 0
	v_mul_lo_u32 v39, v20, s22
	v_mul_lo_u32 v40, v19, s23
	v_mad_u64_u32 v[35:36], null, v19, s22, 0
	s_mov_b32 s2, -1
	s_mov_b32 s25, exec_lo
	s_delay_alu instid0(VALU_DEP_4) | instskip(NEXT) | instid1(VALU_DEP_2)
	v_add3_u32 v34, v34, v38, v37
	v_add3_u32 v36, v36, v40, v39
	s_delay_alu instid0(VALU_DEP_2) | instskip(NEXT) | instid1(VALU_DEP_2)
	v_lshlrev_b64 v[33:34], 3, v[33:34]
	v_lshlrev_b64 v[37:38], 3, v[35:36]
	s_delay_alu instid0(VALU_DEP_2) | instskip(NEXT) | instid1(VALU_DEP_3)
	v_add_co_u32 v35, vcc_lo, s8, v33
	v_add_co_ci_u32_e32 v36, vcc_lo, s9, v34, vcc_lo
	s_delay_alu instid0(VALU_DEP_3) | instskip(NEXT) | instid1(VALU_DEP_4)
	v_add_co_u32 v33, vcc_lo, s8, v37
	v_add_co_ci_u32_e32 v34, vcc_lo, s9, v38, vcc_lo
	s_clause 0x1
	global_load_b64 v[37:38], v[35:36], off
	global_load_b64 v[39:40], v[33:34], off
	s_waitcnt vmcnt(0)
	v_cmpx_eq_u64_e64 v[37:38], v[39:40]
	s_cbranch_execz .LBB601_297
; %bb.291:
	v_add_co_u32 v33, vcc_lo, v33, 8
	v_add_co_ci_u32_e32 v34, vcc_lo, 0, v34, vcc_lo
	v_add_co_u32 v35, vcc_lo, v35, 8
	v_add_co_ci_u32_e32 v36, vcc_lo, 0, v36, vcc_lo
	s_add_u32 s4, s22, -1
	s_addc_u32 s5, s23, -1
	s_mov_b64 s[6:7], 0
	s_mov_b32 s27, 0
                                        ; implicit-def: $sgpr29
	s_set_inst_prefetch_distance 0x1
	s_branch .LBB601_294
	.p2align	6
.LBB601_292:                            ;   in Loop: Header=BB601_294 Depth=1
	global_load_b64 v[37:38], v[35:36], off
	global_load_b64 v[39:40], v[33:34], off
	v_add_co_u32 v33, vcc_lo, v33, 8
	v_add_co_ci_u32_e32 v34, vcc_lo, 0, v34, vcc_lo
	v_add_co_u32 v35, s2, v35, 8
	s_delay_alu instid0(VALU_DEP_1)
	v_add_co_ci_u32_e64 v36, s2, 0, v36, s2
	s_add_u32 s6, s6, 1
	s_addc_u32 s7, s7, 0
	s_and_not1_b32 s2, s29, exec_lo
	s_waitcnt vmcnt(0)
	v_cmp_ne_u64_e32 vcc_lo, v[37:38], v[39:40]
	s_and_b32 s29, vcc_lo, exec_lo
	s_delay_alu instid0(SALU_CYCLE_1)
	s_or_b32 s29, s2, s29
.LBB601_293:                            ;   in Loop: Header=BB601_294 Depth=1
	v_dual_mov_b32 v38, s7 :: v_dual_mov_b32 v37, s6
	s_and_b32 s2, exec_lo, s29
	s_delay_alu instid0(SALU_CYCLE_1) | instskip(NEXT) | instid1(SALU_CYCLE_1)
	s_or_b32 s27, s2, s27
	s_and_not1_b32 exec_lo, exec_lo, s27
	s_cbranch_execz .LBB601_296
.LBB601_294:                            ; =>This Inner Loop Header: Depth=1
	s_or_b32 s29, s29, exec_lo
	s_cmp_eq_u64 s[4:5], s[6:7]
	s_cbranch_scc0 .LBB601_292
; %bb.295:                              ;   in Loop: Header=BB601_294 Depth=1
	s_mov_b64 s[6:7], s[22:23]
                                        ; implicit-def: $vgpr33_vgpr34
                                        ; implicit-def: $vgpr35_vgpr36
	s_branch .LBB601_293
.LBB601_296:
	s_set_inst_prefetch_distance 0x2
	s_or_b32 exec_lo, exec_lo, s27
	v_cmp_gt_i64_e32 vcc_lo, s[22:23], v[37:38]
	s_or_not1_b32 s2, vcc_lo, exec_lo
.LBB601_297:
	s_or_b32 exec_lo, exec_lo, s25
.LBB601_298:
	s_delay_alu instid0(SALU_CYCLE_1)
	s_and_b32 s25, s2, exec_lo
.LBB601_299:
	s_or_b32 exec_lo, exec_lo, s26
	v_or_b32_e32 v33, 6, v55
	s_mov_b32 s26, exec_lo
	s_delay_alu instid0(VALU_DEP_1)
	v_cmpx_gt_u32_e64 s28, v33
	s_cbranch_execz .LBB601_310
; %bb.300:
	s_and_not1_b32 vcc_lo, exec_lo, s18
	s_mov_b32 s2, 0
	s_cbranch_vccnz .LBB601_309
; %bb.301:
	v_mul_lo_u32 v37, v24, s22
	v_mul_lo_u32 v38, v23, s23
	v_mad_u64_u32 v[33:34], null, v23, s22, 0
	v_mul_lo_u32 v39, v18, s22
	v_mul_lo_u32 v40, v17, s23
	v_mad_u64_u32 v[35:36], null, v17, s22, 0
	s_mov_b32 s2, -1
	s_mov_b32 s19, exec_lo
	s_delay_alu instid0(VALU_DEP_4) | instskip(NEXT) | instid1(VALU_DEP_2)
	v_add3_u32 v34, v34, v38, v37
	v_add3_u32 v36, v36, v40, v39
	s_delay_alu instid0(VALU_DEP_2) | instskip(NEXT) | instid1(VALU_DEP_2)
	v_lshlrev_b64 v[33:34], 3, v[33:34]
	v_lshlrev_b64 v[37:38], 3, v[35:36]
	s_delay_alu instid0(VALU_DEP_2) | instskip(NEXT) | instid1(VALU_DEP_3)
	v_add_co_u32 v35, vcc_lo, s8, v33
	v_add_co_ci_u32_e32 v36, vcc_lo, s9, v34, vcc_lo
	s_delay_alu instid0(VALU_DEP_3) | instskip(NEXT) | instid1(VALU_DEP_4)
	v_add_co_u32 v33, vcc_lo, s8, v37
	v_add_co_ci_u32_e32 v34, vcc_lo, s9, v38, vcc_lo
	s_clause 0x1
	global_load_b64 v[37:38], v[35:36], off
	global_load_b64 v[39:40], v[33:34], off
	s_waitcnt vmcnt(0)
	v_cmpx_eq_u64_e64 v[37:38], v[39:40]
	s_cbranch_execz .LBB601_308
; %bb.302:
	v_add_co_u32 v33, vcc_lo, v33, 8
	v_add_co_ci_u32_e32 v34, vcc_lo, 0, v34, vcc_lo
	v_add_co_u32 v35, vcc_lo, v35, 8
	v_add_co_ci_u32_e32 v36, vcc_lo, 0, v36, vcc_lo
	s_add_u32 s4, s22, -1
	s_addc_u32 s5, s23, -1
	s_mov_b64 s[6:7], 0
	s_mov_b32 s27, 0
                                        ; implicit-def: $sgpr29
	s_set_inst_prefetch_distance 0x1
	s_branch .LBB601_305
	.p2align	6
.LBB601_303:                            ;   in Loop: Header=BB601_305 Depth=1
	global_load_b64 v[37:38], v[35:36], off
	global_load_b64 v[39:40], v[33:34], off
	v_add_co_u32 v33, vcc_lo, v33, 8
	v_add_co_ci_u32_e32 v34, vcc_lo, 0, v34, vcc_lo
	v_add_co_u32 v35, s2, v35, 8
	s_delay_alu instid0(VALU_DEP_1)
	v_add_co_ci_u32_e64 v36, s2, 0, v36, s2
	s_add_u32 s6, s6, 1
	s_addc_u32 s7, s7, 0
	s_and_not1_b32 s2, s29, exec_lo
	s_waitcnt vmcnt(0)
	v_cmp_ne_u64_e32 vcc_lo, v[37:38], v[39:40]
	s_and_b32 s29, vcc_lo, exec_lo
	s_delay_alu instid0(SALU_CYCLE_1)
	s_or_b32 s29, s2, s29
.LBB601_304:                            ;   in Loop: Header=BB601_305 Depth=1
	v_dual_mov_b32 v38, s7 :: v_dual_mov_b32 v37, s6
	s_and_b32 s2, exec_lo, s29
	s_delay_alu instid0(SALU_CYCLE_1) | instskip(NEXT) | instid1(SALU_CYCLE_1)
	s_or_b32 s27, s2, s27
	s_and_not1_b32 exec_lo, exec_lo, s27
	s_cbranch_execz .LBB601_307
.LBB601_305:                            ; =>This Inner Loop Header: Depth=1
	s_or_b32 s29, s29, exec_lo
	s_cmp_eq_u64 s[4:5], s[6:7]
	s_cbranch_scc0 .LBB601_303
; %bb.306:                              ;   in Loop: Header=BB601_305 Depth=1
	s_mov_b64 s[6:7], s[22:23]
                                        ; implicit-def: $vgpr33_vgpr34
                                        ; implicit-def: $vgpr35_vgpr36
	s_branch .LBB601_304
.LBB601_307:
	s_set_inst_prefetch_distance 0x2
	s_or_b32 exec_lo, exec_lo, s27
	v_cmp_gt_i64_e32 vcc_lo, s[22:23], v[37:38]
	s_or_not1_b32 s2, vcc_lo, exec_lo
.LBB601_308:
	s_or_b32 exec_lo, exec_lo, s19
.LBB601_309:
	s_delay_alu instid0(SALU_CYCLE_1)
	s_and_b32 s19, s2, exec_lo
.LBB601_310:
	s_or_b32 exec_lo, exec_lo, s26
	v_or_b32_e32 v33, 5, v55
	s_mov_b32 s26, 0
	s_mov_b32 s27, 0
	s_mov_b32 s29, exec_lo
	s_delay_alu instid0(VALU_DEP_1)
	v_cmpx_gt_u32_e64 s28, v33
	s_cbranch_execz .LBB601_321
; %bb.311:
	s_and_not1_b32 vcc_lo, exec_lo, s18
	s_mov_b32 s2, 0
	s_cbranch_vccnz .LBB601_320
; %bb.312:
	v_mul_lo_u32 v37, v22, s22
	v_mul_lo_u32 v38, v21, s23
	v_mad_u64_u32 v[33:34], null, v21, s22, 0
	v_mul_lo_u32 v39, v24, s22
	v_mul_lo_u32 v40, v23, s23
	v_mad_u64_u32 v[35:36], null, v23, s22, 0
	s_mov_b32 s2, -1
	s_mov_b32 s27, exec_lo
	s_delay_alu instid0(VALU_DEP_4) | instskip(NEXT) | instid1(VALU_DEP_2)
	v_add3_u32 v34, v34, v38, v37
	v_add3_u32 v36, v36, v40, v39
	s_delay_alu instid0(VALU_DEP_2) | instskip(NEXT) | instid1(VALU_DEP_2)
	v_lshlrev_b64 v[33:34], 3, v[33:34]
	v_lshlrev_b64 v[37:38], 3, v[35:36]
	s_delay_alu instid0(VALU_DEP_2) | instskip(NEXT) | instid1(VALU_DEP_3)
	v_add_co_u32 v35, vcc_lo, s8, v33
	v_add_co_ci_u32_e32 v36, vcc_lo, s9, v34, vcc_lo
	s_delay_alu instid0(VALU_DEP_3) | instskip(NEXT) | instid1(VALU_DEP_4)
	v_add_co_u32 v33, vcc_lo, s8, v37
	v_add_co_ci_u32_e32 v34, vcc_lo, s9, v38, vcc_lo
	s_clause 0x1
	global_load_b64 v[37:38], v[35:36], off
	global_load_b64 v[39:40], v[33:34], off
	s_waitcnt vmcnt(0)
	v_cmpx_eq_u64_e64 v[37:38], v[39:40]
	s_cbranch_execz .LBB601_319
; %bb.313:
	v_add_co_u32 v33, vcc_lo, v33, 8
	v_add_co_ci_u32_e32 v34, vcc_lo, 0, v34, vcc_lo
	v_add_co_u32 v35, vcc_lo, v35, 8
	v_add_co_ci_u32_e32 v36, vcc_lo, 0, v36, vcc_lo
	s_add_u32 s4, s22, -1
	s_addc_u32 s5, s23, -1
	s_mov_b64 s[6:7], 0
	s_mov_b32 s30, 0
                                        ; implicit-def: $sgpr31
	s_set_inst_prefetch_distance 0x1
	s_branch .LBB601_316
	.p2align	6
.LBB601_314:                            ;   in Loop: Header=BB601_316 Depth=1
	global_load_b64 v[37:38], v[35:36], off
	global_load_b64 v[39:40], v[33:34], off
	v_add_co_u32 v33, vcc_lo, v33, 8
	v_add_co_ci_u32_e32 v34, vcc_lo, 0, v34, vcc_lo
	v_add_co_u32 v35, s2, v35, 8
	s_delay_alu instid0(VALU_DEP_1)
	v_add_co_ci_u32_e64 v36, s2, 0, v36, s2
	s_add_u32 s6, s6, 1
	s_addc_u32 s7, s7, 0
	s_and_not1_b32 s2, s31, exec_lo
	s_waitcnt vmcnt(0)
	v_cmp_ne_u64_e32 vcc_lo, v[37:38], v[39:40]
	s_and_b32 s31, vcc_lo, exec_lo
	s_delay_alu instid0(SALU_CYCLE_1)
	s_or_b32 s31, s2, s31
.LBB601_315:                            ;   in Loop: Header=BB601_316 Depth=1
	v_dual_mov_b32 v38, s7 :: v_dual_mov_b32 v37, s6
	s_and_b32 s2, exec_lo, s31
	s_delay_alu instid0(SALU_CYCLE_1) | instskip(NEXT) | instid1(SALU_CYCLE_1)
	s_or_b32 s30, s2, s30
	s_and_not1_b32 exec_lo, exec_lo, s30
	s_cbranch_execz .LBB601_318
.LBB601_316:                            ; =>This Inner Loop Header: Depth=1
	s_or_b32 s31, s31, exec_lo
	s_cmp_eq_u64 s[4:5], s[6:7]
	s_cbranch_scc0 .LBB601_314
; %bb.317:                              ;   in Loop: Header=BB601_316 Depth=1
	s_mov_b64 s[6:7], s[22:23]
                                        ; implicit-def: $vgpr33_vgpr34
                                        ; implicit-def: $vgpr35_vgpr36
	s_branch .LBB601_315
.LBB601_318:
	s_set_inst_prefetch_distance 0x2
	s_or_b32 exec_lo, exec_lo, s30
	v_cmp_gt_i64_e32 vcc_lo, s[22:23], v[37:38]
	s_or_not1_b32 s2, vcc_lo, exec_lo
.LBB601_319:
	s_or_b32 exec_lo, exec_lo, s27
.LBB601_320:
	s_delay_alu instid0(SALU_CYCLE_1)
	s_and_b32 s27, s2, exec_lo
.LBB601_321:
	s_or_b32 exec_lo, exec_lo, s29
	v_or_b32_e32 v33, 4, v55
	s_mov_b32 s29, exec_lo
	s_delay_alu instid0(VALU_DEP_1)
	v_cmpx_gt_u32_e64 s28, v33
	s_cbranch_execz .LBB601_332
; %bb.322:
	s_and_not1_b32 vcc_lo, exec_lo, s18
	s_mov_b32 s2, 0
	s_cbranch_vccnz .LBB601_331
; %bb.323:
	v_mul_lo_u32 v37, v28, s22
	v_mul_lo_u32 v38, v27, s23
	v_mad_u64_u32 v[33:34], null, v27, s22, 0
	v_mul_lo_u32 v39, v22, s22
	v_mul_lo_u32 v40, v21, s23
	v_mad_u64_u32 v[35:36], null, v21, s22, 0
	s_mov_b32 s2, -1
	s_mov_b32 s26, exec_lo
	s_delay_alu instid0(VALU_DEP_4) | instskip(NEXT) | instid1(VALU_DEP_2)
	v_add3_u32 v34, v34, v38, v37
	v_add3_u32 v36, v36, v40, v39
	s_delay_alu instid0(VALU_DEP_2) | instskip(NEXT) | instid1(VALU_DEP_2)
	v_lshlrev_b64 v[33:34], 3, v[33:34]
	v_lshlrev_b64 v[37:38], 3, v[35:36]
	s_delay_alu instid0(VALU_DEP_2) | instskip(NEXT) | instid1(VALU_DEP_3)
	v_add_co_u32 v35, vcc_lo, s8, v33
	v_add_co_ci_u32_e32 v36, vcc_lo, s9, v34, vcc_lo
	s_delay_alu instid0(VALU_DEP_3) | instskip(NEXT) | instid1(VALU_DEP_4)
	v_add_co_u32 v33, vcc_lo, s8, v37
	v_add_co_ci_u32_e32 v34, vcc_lo, s9, v38, vcc_lo
	s_clause 0x1
	global_load_b64 v[37:38], v[35:36], off
	global_load_b64 v[39:40], v[33:34], off
	s_waitcnt vmcnt(0)
	v_cmpx_eq_u64_e64 v[37:38], v[39:40]
	s_cbranch_execz .LBB601_330
; %bb.324:
	v_add_co_u32 v33, vcc_lo, v33, 8
	v_add_co_ci_u32_e32 v34, vcc_lo, 0, v34, vcc_lo
	v_add_co_u32 v35, vcc_lo, v35, 8
	v_add_co_ci_u32_e32 v36, vcc_lo, 0, v36, vcc_lo
	s_add_u32 s4, s22, -1
	s_addc_u32 s5, s23, -1
	s_mov_b64 s[6:7], 0
	s_mov_b32 s30, 0
                                        ; implicit-def: $sgpr31
	s_set_inst_prefetch_distance 0x1
	s_branch .LBB601_327
	.p2align	6
.LBB601_325:                            ;   in Loop: Header=BB601_327 Depth=1
	global_load_b64 v[37:38], v[35:36], off
	global_load_b64 v[39:40], v[33:34], off
	v_add_co_u32 v33, vcc_lo, v33, 8
	v_add_co_ci_u32_e32 v34, vcc_lo, 0, v34, vcc_lo
	v_add_co_u32 v35, s2, v35, 8
	s_delay_alu instid0(VALU_DEP_1)
	v_add_co_ci_u32_e64 v36, s2, 0, v36, s2
	s_add_u32 s6, s6, 1
	s_addc_u32 s7, s7, 0
	s_and_not1_b32 s2, s31, exec_lo
	s_waitcnt vmcnt(0)
	v_cmp_ne_u64_e32 vcc_lo, v[37:38], v[39:40]
	s_and_b32 s31, vcc_lo, exec_lo
	s_delay_alu instid0(SALU_CYCLE_1)
	s_or_b32 s31, s2, s31
.LBB601_326:                            ;   in Loop: Header=BB601_327 Depth=1
	v_dual_mov_b32 v38, s7 :: v_dual_mov_b32 v37, s6
	s_and_b32 s2, exec_lo, s31
	s_delay_alu instid0(SALU_CYCLE_1) | instskip(NEXT) | instid1(SALU_CYCLE_1)
	s_or_b32 s30, s2, s30
	s_and_not1_b32 exec_lo, exec_lo, s30
	s_cbranch_execz .LBB601_329
.LBB601_327:                            ; =>This Inner Loop Header: Depth=1
	s_or_b32 s31, s31, exec_lo
	s_cmp_eq_u64 s[4:5], s[6:7]
	s_cbranch_scc0 .LBB601_325
; %bb.328:                              ;   in Loop: Header=BB601_327 Depth=1
	s_mov_b64 s[6:7], s[22:23]
                                        ; implicit-def: $vgpr33_vgpr34
                                        ; implicit-def: $vgpr35_vgpr36
	s_branch .LBB601_326
.LBB601_329:
	s_set_inst_prefetch_distance 0x2
	s_or_b32 exec_lo, exec_lo, s30
	v_cmp_gt_i64_e32 vcc_lo, s[22:23], v[37:38]
	s_or_not1_b32 s2, vcc_lo, exec_lo
.LBB601_330:
	s_or_b32 exec_lo, exec_lo, s26
.LBB601_331:
	s_delay_alu instid0(SALU_CYCLE_1)
	s_and_b32 s26, s2, exec_lo
.LBB601_332:
	s_or_b32 exec_lo, exec_lo, s29
	v_or_b32_e32 v33, 3, v55
	s_mov_b32 s30, 0
	s_mov_b32 s29, 0
	s_mov_b32 s31, exec_lo
	s_delay_alu instid0(VALU_DEP_1)
	v_cmpx_gt_u32_e64 s28, v33
	s_cbranch_execz .LBB601_343
; %bb.333:
	s_and_not1_b32 vcc_lo, exec_lo, s18
	s_mov_b32 s2, 0
	s_cbranch_vccnz .LBB601_342
; %bb.334:
	v_mul_lo_u32 v37, v26, s22
	v_mul_lo_u32 v38, v25, s23
	v_mad_u64_u32 v[33:34], null, v25, s22, 0
	v_mul_lo_u32 v39, v28, s22
	v_mul_lo_u32 v40, v27, s23
	v_mad_u64_u32 v[35:36], null, v27, s22, 0
	s_mov_b32 s2, -1
	s_mov_b32 s29, exec_lo
	s_delay_alu instid0(VALU_DEP_4) | instskip(NEXT) | instid1(VALU_DEP_2)
	v_add3_u32 v34, v34, v38, v37
	v_add3_u32 v36, v36, v40, v39
	s_delay_alu instid0(VALU_DEP_2) | instskip(NEXT) | instid1(VALU_DEP_2)
	v_lshlrev_b64 v[33:34], 3, v[33:34]
	v_lshlrev_b64 v[37:38], 3, v[35:36]
	s_delay_alu instid0(VALU_DEP_2) | instskip(NEXT) | instid1(VALU_DEP_3)
	v_add_co_u32 v35, vcc_lo, s8, v33
	v_add_co_ci_u32_e32 v36, vcc_lo, s9, v34, vcc_lo
	s_delay_alu instid0(VALU_DEP_3) | instskip(NEXT) | instid1(VALU_DEP_4)
	v_add_co_u32 v33, vcc_lo, s8, v37
	v_add_co_ci_u32_e32 v34, vcc_lo, s9, v38, vcc_lo
	s_clause 0x1
	global_load_b64 v[37:38], v[35:36], off
	global_load_b64 v[39:40], v[33:34], off
	s_waitcnt vmcnt(0)
	v_cmpx_eq_u64_e64 v[37:38], v[39:40]
	s_cbranch_execz .LBB601_341
; %bb.335:
	v_add_co_u32 v33, vcc_lo, v33, 8
	v_add_co_ci_u32_e32 v34, vcc_lo, 0, v34, vcc_lo
	v_add_co_u32 v35, vcc_lo, v35, 8
	v_add_co_ci_u32_e32 v36, vcc_lo, 0, v36, vcc_lo
	s_add_u32 s4, s22, -1
	s_addc_u32 s5, s23, -1
	s_mov_b64 s[6:7], 0
	s_mov_b32 s33, 0
                                        ; implicit-def: $sgpr34
	s_set_inst_prefetch_distance 0x1
	s_branch .LBB601_338
	.p2align	6
.LBB601_336:                            ;   in Loop: Header=BB601_338 Depth=1
	global_load_b64 v[37:38], v[35:36], off
	global_load_b64 v[39:40], v[33:34], off
	v_add_co_u32 v33, vcc_lo, v33, 8
	v_add_co_ci_u32_e32 v34, vcc_lo, 0, v34, vcc_lo
	v_add_co_u32 v35, s2, v35, 8
	s_delay_alu instid0(VALU_DEP_1)
	v_add_co_ci_u32_e64 v36, s2, 0, v36, s2
	s_add_u32 s6, s6, 1
	s_addc_u32 s7, s7, 0
	s_and_not1_b32 s2, s34, exec_lo
	s_waitcnt vmcnt(0)
	v_cmp_ne_u64_e32 vcc_lo, v[37:38], v[39:40]
	s_and_b32 s34, vcc_lo, exec_lo
	s_delay_alu instid0(SALU_CYCLE_1)
	s_or_b32 s34, s2, s34
.LBB601_337:                            ;   in Loop: Header=BB601_338 Depth=1
	v_dual_mov_b32 v38, s7 :: v_dual_mov_b32 v37, s6
	s_and_b32 s2, exec_lo, s34
	s_delay_alu instid0(SALU_CYCLE_1) | instskip(NEXT) | instid1(SALU_CYCLE_1)
	s_or_b32 s33, s2, s33
	s_and_not1_b32 exec_lo, exec_lo, s33
	s_cbranch_execz .LBB601_340
.LBB601_338:                            ; =>This Inner Loop Header: Depth=1
	s_or_b32 s34, s34, exec_lo
	s_cmp_eq_u64 s[4:5], s[6:7]
	s_cbranch_scc0 .LBB601_336
; %bb.339:                              ;   in Loop: Header=BB601_338 Depth=1
	s_mov_b64 s[6:7], s[22:23]
                                        ; implicit-def: $vgpr33_vgpr34
                                        ; implicit-def: $vgpr35_vgpr36
	s_branch .LBB601_337
.LBB601_340:
	s_set_inst_prefetch_distance 0x2
	s_or_b32 exec_lo, exec_lo, s33
	v_cmp_gt_i64_e32 vcc_lo, s[22:23], v[37:38]
	s_or_not1_b32 s2, vcc_lo, exec_lo
.LBB601_341:
	s_or_b32 exec_lo, exec_lo, s29
.LBB601_342:
	s_delay_alu instid0(SALU_CYCLE_1)
	s_and_b32 s29, s2, exec_lo
.LBB601_343:
	s_or_b32 exec_lo, exec_lo, s31
	v_or_b32_e32 v33, 2, v55
	s_mov_b32 s31, exec_lo
	s_delay_alu instid0(VALU_DEP_1)
	v_cmpx_gt_u32_e64 s28, v33
	s_cbranch_execz .LBB601_354
; %bb.344:
	s_and_not1_b32 vcc_lo, exec_lo, s18
	s_mov_b32 s2, 0
	s_cbranch_vccnz .LBB601_353
; %bb.345:
	v_mul_lo_u32 v37, v32, s22
	v_mul_lo_u32 v38, v31, s23
	v_mad_u64_u32 v[33:34], null, v31, s22, 0
	v_mul_lo_u32 v39, v26, s22
	v_mul_lo_u32 v40, v25, s23
	v_mad_u64_u32 v[35:36], null, v25, s22, 0
	s_mov_b32 s2, -1
	s_mov_b32 s30, exec_lo
	s_delay_alu instid0(VALU_DEP_4) | instskip(NEXT) | instid1(VALU_DEP_2)
	v_add3_u32 v34, v34, v38, v37
	v_add3_u32 v36, v36, v40, v39
	s_delay_alu instid0(VALU_DEP_2) | instskip(NEXT) | instid1(VALU_DEP_2)
	v_lshlrev_b64 v[33:34], 3, v[33:34]
	v_lshlrev_b64 v[37:38], 3, v[35:36]
	s_delay_alu instid0(VALU_DEP_2) | instskip(NEXT) | instid1(VALU_DEP_3)
	v_add_co_u32 v35, vcc_lo, s8, v33
	v_add_co_ci_u32_e32 v36, vcc_lo, s9, v34, vcc_lo
	s_delay_alu instid0(VALU_DEP_3) | instskip(NEXT) | instid1(VALU_DEP_4)
	v_add_co_u32 v33, vcc_lo, s8, v37
	v_add_co_ci_u32_e32 v34, vcc_lo, s9, v38, vcc_lo
	s_clause 0x1
	global_load_b64 v[37:38], v[35:36], off
	global_load_b64 v[39:40], v[33:34], off
	s_waitcnt vmcnt(0)
	v_cmpx_eq_u64_e64 v[37:38], v[39:40]
	s_cbranch_execz .LBB601_352
; %bb.346:
	v_add_co_u32 v33, vcc_lo, v33, 8
	v_add_co_ci_u32_e32 v34, vcc_lo, 0, v34, vcc_lo
	v_add_co_u32 v35, vcc_lo, v35, 8
	v_add_co_ci_u32_e32 v36, vcc_lo, 0, v36, vcc_lo
	s_add_u32 s4, s22, -1
	s_addc_u32 s5, s23, -1
	s_mov_b64 s[6:7], 0
	s_mov_b32 s33, 0
                                        ; implicit-def: $sgpr34
	s_set_inst_prefetch_distance 0x1
	s_branch .LBB601_349
	.p2align	6
.LBB601_347:                            ;   in Loop: Header=BB601_349 Depth=1
	global_load_b64 v[37:38], v[35:36], off
	global_load_b64 v[39:40], v[33:34], off
	v_add_co_u32 v33, vcc_lo, v33, 8
	v_add_co_ci_u32_e32 v34, vcc_lo, 0, v34, vcc_lo
	v_add_co_u32 v35, s2, v35, 8
	s_delay_alu instid0(VALU_DEP_1)
	v_add_co_ci_u32_e64 v36, s2, 0, v36, s2
	s_add_u32 s6, s6, 1
	s_addc_u32 s7, s7, 0
	s_and_not1_b32 s2, s34, exec_lo
	s_waitcnt vmcnt(0)
	v_cmp_ne_u64_e32 vcc_lo, v[37:38], v[39:40]
	s_and_b32 s34, vcc_lo, exec_lo
	s_delay_alu instid0(SALU_CYCLE_1)
	s_or_b32 s34, s2, s34
.LBB601_348:                            ;   in Loop: Header=BB601_349 Depth=1
	v_dual_mov_b32 v38, s7 :: v_dual_mov_b32 v37, s6
	s_and_b32 s2, exec_lo, s34
	s_delay_alu instid0(SALU_CYCLE_1) | instskip(NEXT) | instid1(SALU_CYCLE_1)
	s_or_b32 s33, s2, s33
	s_and_not1_b32 exec_lo, exec_lo, s33
	s_cbranch_execz .LBB601_351
.LBB601_349:                            ; =>This Inner Loop Header: Depth=1
	s_or_b32 s34, s34, exec_lo
	s_cmp_eq_u64 s[4:5], s[6:7]
	s_cbranch_scc0 .LBB601_347
; %bb.350:                              ;   in Loop: Header=BB601_349 Depth=1
	s_mov_b64 s[6:7], s[22:23]
                                        ; implicit-def: $vgpr33_vgpr34
                                        ; implicit-def: $vgpr35_vgpr36
	s_branch .LBB601_348
.LBB601_351:
	s_set_inst_prefetch_distance 0x2
	s_or_b32 exec_lo, exec_lo, s33
	v_cmp_gt_i64_e32 vcc_lo, s[22:23], v[37:38]
	s_or_not1_b32 s2, vcc_lo, exec_lo
.LBB601_352:
	s_or_b32 exec_lo, exec_lo, s30
.LBB601_353:
	s_delay_alu instid0(SALU_CYCLE_1)
	s_and_b32 s30, s2, exec_lo
.LBB601_354:
	s_or_b32 exec_lo, exec_lo, s31
	v_or_b32_e32 v33, 1, v55
	s_mov_b32 s2, 0
	s_mov_b32 s31, exec_lo
	s_delay_alu instid0(VALU_DEP_1)
	v_cmpx_gt_u32_e64 s28, v33
	s_cbranch_execz .LBB601_365
; %bb.355:
	s_and_not1_b32 vcc_lo, exec_lo, s18
	s_cbranch_vccnz .LBB601_364
; %bb.356:
	v_mul_lo_u32 v37, v30, s22
	v_mul_lo_u32 v38, v29, s23
	v_mad_u64_u32 v[33:34], null, v29, s22, 0
	v_mul_lo_u32 v39, v32, s22
	v_mul_lo_u32 v40, v31, s23
	v_mad_u64_u32 v[35:36], null, v31, s22, 0
	s_mov_b32 s2, -1
	s_mov_b32 s33, exec_lo
	s_delay_alu instid0(VALU_DEP_4) | instskip(NEXT) | instid1(VALU_DEP_2)
	v_add3_u32 v34, v34, v38, v37
	v_add3_u32 v36, v36, v40, v39
	s_delay_alu instid0(VALU_DEP_2) | instskip(NEXT) | instid1(VALU_DEP_2)
	v_lshlrev_b64 v[33:34], 3, v[33:34]
	v_lshlrev_b64 v[37:38], 3, v[35:36]
	s_delay_alu instid0(VALU_DEP_2) | instskip(NEXT) | instid1(VALU_DEP_3)
	v_add_co_u32 v35, vcc_lo, s8, v33
	v_add_co_ci_u32_e32 v36, vcc_lo, s9, v34, vcc_lo
	s_delay_alu instid0(VALU_DEP_3) | instskip(NEXT) | instid1(VALU_DEP_4)
	v_add_co_u32 v33, vcc_lo, s8, v37
	v_add_co_ci_u32_e32 v34, vcc_lo, s9, v38, vcc_lo
	s_clause 0x1
	global_load_b64 v[37:38], v[35:36], off
	global_load_b64 v[39:40], v[33:34], off
	s_waitcnt vmcnt(0)
	v_cmpx_eq_u64_e64 v[37:38], v[39:40]
	s_cbranch_execz .LBB601_363
; %bb.357:
	v_add_co_u32 v33, vcc_lo, v33, 8
	v_add_co_ci_u32_e32 v34, vcc_lo, 0, v34, vcc_lo
	v_add_co_u32 v35, vcc_lo, v35, 8
	v_add_co_ci_u32_e32 v36, vcc_lo, 0, v36, vcc_lo
	s_add_u32 s4, s22, -1
	s_addc_u32 s5, s23, -1
	s_mov_b64 s[6:7], 0
	s_mov_b32 s34, 0
                                        ; implicit-def: $sgpr35
	s_set_inst_prefetch_distance 0x1
	s_branch .LBB601_360
	.p2align	6
.LBB601_358:                            ;   in Loop: Header=BB601_360 Depth=1
	global_load_b64 v[37:38], v[35:36], off
	global_load_b64 v[39:40], v[33:34], off
	v_add_co_u32 v33, vcc_lo, v33, 8
	v_add_co_ci_u32_e32 v34, vcc_lo, 0, v34, vcc_lo
	v_add_co_u32 v35, s2, v35, 8
	s_delay_alu instid0(VALU_DEP_1)
	v_add_co_ci_u32_e64 v36, s2, 0, v36, s2
	s_add_u32 s6, s6, 1
	s_addc_u32 s7, s7, 0
	s_and_not1_b32 s2, s35, exec_lo
	s_waitcnt vmcnt(0)
	v_cmp_ne_u64_e32 vcc_lo, v[37:38], v[39:40]
	s_and_b32 s35, vcc_lo, exec_lo
	s_delay_alu instid0(SALU_CYCLE_1)
	s_or_b32 s35, s2, s35
.LBB601_359:                            ;   in Loop: Header=BB601_360 Depth=1
	v_dual_mov_b32 v38, s7 :: v_dual_mov_b32 v37, s6
	s_and_b32 s2, exec_lo, s35
	s_delay_alu instid0(SALU_CYCLE_1) | instskip(NEXT) | instid1(SALU_CYCLE_1)
	s_or_b32 s34, s2, s34
	s_and_not1_b32 exec_lo, exec_lo, s34
	s_cbranch_execz .LBB601_362
.LBB601_360:                            ; =>This Inner Loop Header: Depth=1
	s_or_b32 s35, s35, exec_lo
	s_cmp_eq_u64 s[4:5], s[6:7]
	s_cbranch_scc0 .LBB601_358
; %bb.361:                              ;   in Loop: Header=BB601_360 Depth=1
	s_mov_b64 s[6:7], s[22:23]
                                        ; implicit-def: $vgpr33_vgpr34
                                        ; implicit-def: $vgpr35_vgpr36
	s_branch .LBB601_359
.LBB601_362:
	s_set_inst_prefetch_distance 0x2
	s_or_b32 exec_lo, exec_lo, s34
	v_cmp_gt_i64_e32 vcc_lo, s[22:23], v[37:38]
	s_or_not1_b32 s2, vcc_lo, exec_lo
.LBB601_363:
	s_or_b32 exec_lo, exec_lo, s33
.LBB601_364:
	s_delay_alu instid0(SALU_CYCLE_1)
	s_and_b32 s2, s2, exec_lo
.LBB601_365:
	s_or_b32 exec_lo, exec_lo, s31
	v_cndmask_b32_e64 v34, 0, 1, s29
	v_cndmask_b32_e64 v35, 0, 1, s27
	;; [unrolled: 1-line block ×7, first 2 shown]
	v_lshlrev_b16 v35, 8, v35
	v_lshlrev_b16 v36, 8, v36
	;; [unrolled: 1-line block ×4, first 2 shown]
	s_mov_b32 s19, exec_lo
	v_or_b32_e32 v35, v38, v35
	v_or_b32_e32 v36, v39, v36
	;; [unrolled: 1-line block ×4, first 2 shown]
	s_waitcnt lgkmcnt(0)
	v_and_b32_e32 v34, 0xffff, v35
	v_lshlrev_b32_e32 v35, 16, v36
	v_and_b32_e32 v36, 0xffff, v37
	v_lshlrev_b32_e32 v33, 16, v33
	s_barrier
	buffer_gl0_inv
	v_or_b32_e32 v34, v34, v35
                                        ; implicit-def: $sgpr2
	v_or_b32_e32 v33, v36, v33
	v_cmpx_ne_u32_e32 0, v0
	s_cbranch_execz .LBB601_378
; %bb.366:
	s_mov_b32 s2, 0
	s_mov_b32 s25, exec_lo
	v_cmpx_gt_u32_e64 s28, v55
	s_cbranch_execz .LBB601_377
; %bb.367:
	s_and_not1_b32 vcc_lo, exec_lo, s18
	s_cbranch_vccnz .LBB601_376
; %bb.368:
	v_add_nc_u32_e32 v35, -8, v55
	v_mul_lo_u32 v42, v29, s23
	v_mad_u64_u32 v[38:39], null, v29, s22, 0
	s_mov_b32 s2, -1
	ds_load_b64 v[35:36], v35
	s_waitcnt lgkmcnt(0)
	v_mul_lo_u32 v40, v36, s22
	v_mul_lo_u32 v41, v35, s23
	v_mad_u64_u32 v[36:37], null, v35, s22, 0
	v_mul_lo_u32 v35, v30, s22
	s_delay_alu instid0(VALU_DEP_2) | instskip(NEXT) | instid1(VALU_DEP_2)
	v_add3_u32 v37, v37, v41, v40
	v_add3_u32 v39, v39, v42, v35
	s_delay_alu instid0(VALU_DEP_2) | instskip(NEXT) | instid1(VALU_DEP_2)
	v_lshlrev_b64 v[35:36], 3, v[36:37]
	v_lshlrev_b64 v[39:40], 3, v[38:39]
	s_delay_alu instid0(VALU_DEP_2) | instskip(NEXT) | instid1(VALU_DEP_3)
	v_add_co_u32 v37, vcc_lo, s8, v35
	v_add_co_ci_u32_e32 v38, vcc_lo, s9, v36, vcc_lo
	s_delay_alu instid0(VALU_DEP_3) | instskip(NEXT) | instid1(VALU_DEP_4)
	v_add_co_u32 v35, vcc_lo, s8, v39
	v_add_co_ci_u32_e32 v36, vcc_lo, s9, v40, vcc_lo
	s_clause 0x1
	global_load_b64 v[39:40], v[37:38], off
	global_load_b64 v[41:42], v[35:36], off
	s_mov_b32 s8, exec_lo
	s_waitcnt vmcnt(0)
	v_cmpx_eq_u64_e64 v[39:40], v[41:42]
	s_cbranch_execz .LBB601_375
; %bb.369:
	v_add_co_u32 v35, vcc_lo, v35, 8
	v_add_co_ci_u32_e32 v36, vcc_lo, 0, v36, vcc_lo
	v_add_co_u32 v37, vcc_lo, v37, 8
	v_add_co_ci_u32_e32 v38, vcc_lo, 0, v38, vcc_lo
	s_add_u32 s4, s22, -1
	s_addc_u32 s5, s23, -1
	s_mov_b64 s[6:7], 0
	s_mov_b32 s9, 0
                                        ; implicit-def: $sgpr18
	s_set_inst_prefetch_distance 0x1
	s_branch .LBB601_372
	.p2align	6
.LBB601_370:                            ;   in Loop: Header=BB601_372 Depth=1
	global_load_b64 v[39:40], v[37:38], off
	global_load_b64 v[41:42], v[35:36], off
	v_add_co_u32 v35, vcc_lo, v35, 8
	v_add_co_ci_u32_e32 v36, vcc_lo, 0, v36, vcc_lo
	v_add_co_u32 v37, s2, v37, 8
	s_delay_alu instid0(VALU_DEP_1)
	v_add_co_ci_u32_e64 v38, s2, 0, v38, s2
	s_add_u32 s6, s6, 1
	s_addc_u32 s7, s7, 0
	s_and_not1_b32 s2, s18, exec_lo
	s_waitcnt vmcnt(0)
	v_cmp_ne_u64_e32 vcc_lo, v[39:40], v[41:42]
	s_and_b32 s18, vcc_lo, exec_lo
	s_delay_alu instid0(SALU_CYCLE_1)
	s_or_b32 s18, s2, s18
.LBB601_371:                            ;   in Loop: Header=BB601_372 Depth=1
	v_dual_mov_b32 v40, s7 :: v_dual_mov_b32 v39, s6
	s_and_b32 s2, exec_lo, s18
	s_delay_alu instid0(SALU_CYCLE_1) | instskip(NEXT) | instid1(SALU_CYCLE_1)
	s_or_b32 s9, s2, s9
	s_and_not1_b32 exec_lo, exec_lo, s9
	s_cbranch_execz .LBB601_374
.LBB601_372:                            ; =>This Inner Loop Header: Depth=1
	s_or_b32 s18, s18, exec_lo
	s_cmp_eq_u64 s[4:5], s[6:7]
	s_cbranch_scc0 .LBB601_370
; %bb.373:                              ;   in Loop: Header=BB601_372 Depth=1
	s_mov_b64 s[6:7], s[22:23]
                                        ; implicit-def: $vgpr35_vgpr36
                                        ; implicit-def: $vgpr37_vgpr38
	s_branch .LBB601_371
.LBB601_374:
	s_set_inst_prefetch_distance 0x2
	s_or_b32 exec_lo, exec_lo, s9
	v_cmp_gt_i64_e32 vcc_lo, s[22:23], v[39:40]
	s_or_not1_b32 s2, vcc_lo, exec_lo
.LBB601_375:
	s_or_b32 exec_lo, exec_lo, s8
.LBB601_376:
	s_delay_alu instid0(SALU_CYCLE_1)
	s_and_b32 s2, s2, exec_lo
.LBB601_377:
	s_or_b32 exec_lo, exec_lo, s25
	s_delay_alu instid0(SALU_CYCLE_1)
	s_and_b32 s2, s2, exec_lo
	s_or_b32 s3, s3, exec_lo
.LBB601_378:
	s_or_b32 exec_lo, exec_lo, s19
.LBB601_379:
	s_and_saveexec_b32 s4, s3
; %bb.380:
	v_and_b32_e32 v35, 0xffffff00, v33
	v_cndmask_b32_e64 v36, 0, 1, s2
	s_delay_alu instid0(VALU_DEP_1) | instskip(NEXT) | instid1(VALU_DEP_1)
	v_or_b32_e32 v35, v36, v35
	v_and_b32_e32 v35, 0xffff, v35
	s_delay_alu instid0(VALU_DEP_1)
	v_and_or_b32 v33, 0xffff0000, v33, v35
; %bb.381:
	s_or_b32 exec_lo, exec_lo, s4
	s_delay_alu instid0(SALU_CYCLE_1)
	s_and_not1_b32 vcc_lo, exec_lo, s21
	s_cbranch_vccnz .LBB601_383
; %bb.382:
	v_cmp_gt_u32_e32 vcc_lo, s28, v55
	v_or_b32_e32 v36, 1, v55
	v_and_b32_e32 v37, 0xffffff00, v34
	v_or_b32_e32 v38, 2, v55
	v_cndmask_b32_e32 v35, 0, v33, vcc_lo
	s_delay_alu instid0(VALU_DEP_4) | instskip(SKIP_1) | instid1(VALU_DEP_4)
	v_cmp_gt_u32_e32 vcc_lo, s28, v36
	v_or_b32_e32 v36, 4, v55
	v_cmp_gt_u32_e64 s2, s28, v38
	v_or_b32_e32 v38, 3, v55
	v_and_b32_e32 v35, 0xff, v35
	s_delay_alu instid0(VALU_DEP_2) | instskip(NEXT) | instid1(VALU_DEP_2)
	v_cmp_gt_u32_e64 s3, s28, v38
	v_cndmask_b32_e32 v35, v35, v33, vcc_lo
	v_cmp_gt_u32_e32 vcc_lo, s28, v36
	v_cndmask_b32_e32 v36, v37, v34, vcc_lo
	v_or_b32_e32 v37, 5, v55
	s_delay_alu instid0(VALU_DEP_2) | instskip(SKIP_1) | instid1(VALU_DEP_1)
	v_and_b32_e32 v36, 0xffff00ff, v36
	v_and_b32_e32 v35, 0xffff, v35
	v_cndmask_b32_e64 v35, v35, v33, s2
	s_delay_alu instid0(VALU_DEP_4) | instskip(SKIP_1) | instid1(VALU_DEP_3)
	v_cmp_gt_u32_e64 s2, s28, v37
	v_or_b32_e32 v37, 6, v55
	v_and_b32_e32 v35, 0xffffff, v35
	s_delay_alu instid0(VALU_DEP_3) | instskip(NEXT) | instid1(VALU_DEP_2)
	v_cndmask_b32_e64 v36, v36, v34, s2
	v_cndmask_b32_e64 v35, v35, v33, s3
	s_delay_alu instid0(VALU_DEP_1) | instskip(SKIP_2) | instid1(VALU_DEP_3)
	v_dual_cndmask_b32 v35, v35, v33 :: v_dual_and_b32 v36, 0xff00ffff, v36
	v_cmp_gt_u32_e32 vcc_lo, s28, v37
	v_or_b32_e32 v37, 7, v55
	v_cndmask_b32_e64 v35, v35, v33, s2
	s_delay_alu instid0(VALU_DEP_1) | instskip(NEXT) | instid1(VALU_DEP_1)
	v_dual_cndmask_b32 v36, v36, v34 :: v_dual_cndmask_b32 v35, v35, v33
	v_and_b32_e32 v36, 0xffffff, v36
	s_delay_alu instid0(VALU_DEP_4) | instskip(NEXT) | instid1(VALU_DEP_2)
	v_cmp_gt_u32_e32 vcc_lo, s28, v37
	v_dual_cndmask_b32 v34, v36, v34 :: v_dual_cndmask_b32 v33, v35, v33
.LBB601_383:
	s_delay_alu instid0(VALU_DEP_1) | instskip(NEXT) | instid1(VALU_DEP_2)
	v_and_b32_e32 v42, 0xff, v33
	v_alignbit_b32 v35, v34, v33, 24
	v_bfe_u32 v44, v33, 8, 8
	v_bfe_u32 v46, v33, 16, 8
	v_and_b32_e32 v50, 0xff, v34
	v_bfe_u32 v52, v34, 8, 8
	v_and_b32_e32 v48, 0xff, v35
	v_add_nc_u32_e32 v35, v44, v42
	v_mbcnt_lo_u32_b32 v57, -1, 0
	v_bfe_u32 v54, v34, 16, 8
	v_lshrrev_b32_e32 v56, 24, v34
	v_lshrrev_b32_e32 v58, 5, v0
	v_add3_u32 v35, v35, v46, v48
	v_and_b32_e32 v36, 15, v57
	v_and_b32_e32 v37, 16, v57
	s_and_b32 vcc_lo, exec_lo, s24
	s_mov_b32 s9, -1
	v_add3_u32 v35, v35, v50, v52
	v_cmp_eq_u32_e64 s4, 0, v36
	v_cmp_lt_u32_e64 s2, 1, v36
	v_cmp_lt_u32_e64 s5, 3, v36
	;; [unrolled: 1-line block ×3, first 2 shown]
	v_add3_u32 v59, v35, v54, v56
	v_or_b32_e32 v35, 31, v0
	v_cmp_eq_u32_e64 s7, 0, v37
	s_waitcnt lgkmcnt(0)
	s_barrier
	buffer_gl0_inv
	v_cmp_eq_u32_e64 s6, v35, v0
	s_cbranch_vccz .LBB601_409
; %bb.384:
	v_mov_b32_dpp v35, v59 row_shr:1 row_mask:0xf bank_mask:0xf
	s_delay_alu instid0(VALU_DEP_1) | instskip(NEXT) | instid1(VALU_DEP_1)
	v_cndmask_b32_e64 v35, v35, 0, s4
	v_add_nc_u32_e32 v35, v35, v59
	s_delay_alu instid0(VALU_DEP_1) | instskip(NEXT) | instid1(VALU_DEP_1)
	v_mov_b32_dpp v36, v35 row_shr:2 row_mask:0xf bank_mask:0xf
	v_cndmask_b32_e64 v36, 0, v36, s2
	s_delay_alu instid0(VALU_DEP_1) | instskip(NEXT) | instid1(VALU_DEP_1)
	v_add_nc_u32_e32 v35, v35, v36
	v_mov_b32_dpp v36, v35 row_shr:4 row_mask:0xf bank_mask:0xf
	s_delay_alu instid0(VALU_DEP_1) | instskip(NEXT) | instid1(VALU_DEP_1)
	v_cndmask_b32_e64 v36, 0, v36, s5
	v_add_nc_u32_e32 v35, v35, v36
	s_delay_alu instid0(VALU_DEP_1) | instskip(NEXT) | instid1(VALU_DEP_1)
	v_mov_b32_dpp v36, v35 row_shr:8 row_mask:0xf bank_mask:0xf
	v_cndmask_b32_e64 v36, 0, v36, s3
	s_delay_alu instid0(VALU_DEP_1) | instskip(SKIP_3) | instid1(VALU_DEP_1)
	v_add_nc_u32_e32 v35, v35, v36
	ds_swizzle_b32 v36, v35 offset:swizzle(BROADCAST,32,15)
	s_waitcnt lgkmcnt(0)
	v_cndmask_b32_e64 v36, v36, 0, s7
	v_add_nc_u32_e32 v35, v35, v36
	s_and_saveexec_b32 s8, s6
	s_cbranch_execz .LBB601_386
; %bb.385:
	v_lshlrev_b32_e32 v36, 2, v58
	ds_store_b32 v36, v35
.LBB601_386:
	s_or_b32 exec_lo, exec_lo, s8
	s_delay_alu instid0(SALU_CYCLE_1)
	s_mov_b32 s8, exec_lo
	s_waitcnt lgkmcnt(0)
	s_barrier
	buffer_gl0_inv
	v_cmpx_gt_u32_e32 16, v0
	s_cbranch_execz .LBB601_388
; %bb.387:
	v_lshlrev_b32_e32 v36, 2, v0
	ds_load_b32 v37, v36
	s_waitcnt lgkmcnt(0)
	v_mov_b32_dpp v38, v37 row_shr:1 row_mask:0xf bank_mask:0xf
	s_delay_alu instid0(VALU_DEP_1) | instskip(NEXT) | instid1(VALU_DEP_1)
	v_cndmask_b32_e64 v38, v38, 0, s4
	v_add_nc_u32_e32 v37, v38, v37
	s_delay_alu instid0(VALU_DEP_1) | instskip(NEXT) | instid1(VALU_DEP_1)
	v_mov_b32_dpp v38, v37 row_shr:2 row_mask:0xf bank_mask:0xf
	v_cndmask_b32_e64 v38, 0, v38, s2
	s_delay_alu instid0(VALU_DEP_1) | instskip(NEXT) | instid1(VALU_DEP_1)
	v_add_nc_u32_e32 v37, v37, v38
	v_mov_b32_dpp v38, v37 row_shr:4 row_mask:0xf bank_mask:0xf
	s_delay_alu instid0(VALU_DEP_1) | instskip(NEXT) | instid1(VALU_DEP_1)
	v_cndmask_b32_e64 v38, 0, v38, s5
	v_add_nc_u32_e32 v37, v37, v38
	s_delay_alu instid0(VALU_DEP_1) | instskip(NEXT) | instid1(VALU_DEP_1)
	v_mov_b32_dpp v38, v37 row_shr:8 row_mask:0xf bank_mask:0xf
	v_cndmask_b32_e64 v38, 0, v38, s3
	s_delay_alu instid0(VALU_DEP_1)
	v_add_nc_u32_e32 v37, v37, v38
	ds_store_b32 v36, v37
.LBB601_388:
	s_or_b32 exec_lo, exec_lo, s8
	v_cmp_gt_u32_e32 vcc_lo, 32, v0
	s_mov_b32 s9, exec_lo
	s_waitcnt lgkmcnt(0)
	s_barrier
	buffer_gl0_inv
                                        ; implicit-def: $vgpr43
	v_cmpx_lt_u32_e32 31, v0
	s_cbranch_execz .LBB601_390
; %bb.389:
	v_lshl_add_u32 v36, v58, 2, -4
	ds_load_b32 v43, v36
	s_waitcnt lgkmcnt(0)
	v_add_nc_u32_e32 v35, v43, v35
.LBB601_390:
	s_or_b32 exec_lo, exec_lo, s9
	v_add_nc_u32_e32 v36, -1, v57
	s_delay_alu instid0(VALU_DEP_1) | instskip(NEXT) | instid1(VALU_DEP_1)
	v_cmp_gt_i32_e64 s8, 0, v36
	v_cndmask_b32_e64 v36, v36, v57, s8
	v_cmp_eq_u32_e64 s8, 0, v57
	s_delay_alu instid0(VALU_DEP_2)
	v_lshlrev_b32_e32 v36, 2, v36
	ds_bpermute_b32 v45, v36, v35
	s_and_saveexec_b32 s9, vcc_lo
	s_cbranch_execz .LBB601_408
; %bb.391:
	v_mov_b32_e32 v38, 0
	ds_load_b32 v35, v38 offset:60
	s_and_saveexec_b32 s18, s8
	s_cbranch_execz .LBB601_393
; %bb.392:
	s_add_i32 s22, s15, 32
	s_mov_b32 s23, 0
	v_mov_b32_e32 v36, 1
	s_lshl_b64 s[22:23], s[22:23], 3
	s_delay_alu instid0(SALU_CYCLE_1)
	s_add_u32 s22, s10, s22
	s_addc_u32 s23, s11, s23
	s_waitcnt lgkmcnt(0)
	global_store_b64 v38, v[35:36], s[22:23]
.LBB601_393:
	s_or_b32 exec_lo, exec_lo, s18
	v_xad_u32 v36, v57, -1, s15
	s_mov_b32 s19, 0
	s_mov_b32 s18, exec_lo
	s_delay_alu instid0(VALU_DEP_1) | instskip(NEXT) | instid1(VALU_DEP_1)
	v_add_nc_u32_e32 v37, 32, v36
	v_lshlrev_b64 v[37:38], 3, v[37:38]
	s_delay_alu instid0(VALU_DEP_1) | instskip(NEXT) | instid1(VALU_DEP_2)
	v_add_co_u32 v40, vcc_lo, s10, v37
	v_add_co_ci_u32_e32 v41, vcc_lo, s11, v38, vcc_lo
	global_load_b64 v[38:39], v[40:41], off glc
	s_waitcnt vmcnt(0)
	v_and_b32_e32 v37, 0xff, v39
	s_delay_alu instid0(VALU_DEP_1)
	v_cmpx_eq_u16_e32 0, v37
	s_cbranch_execz .LBB601_396
.LBB601_394:                            ; =>This Inner Loop Header: Depth=1
	global_load_b64 v[38:39], v[40:41], off glc
	s_waitcnt vmcnt(0)
	v_and_b32_e32 v37, 0xff, v39
	s_delay_alu instid0(VALU_DEP_1) | instskip(SKIP_1) | instid1(SALU_CYCLE_1)
	v_cmp_ne_u16_e32 vcc_lo, 0, v37
	s_or_b32 s19, vcc_lo, s19
	s_and_not1_b32 exec_lo, exec_lo, s19
	s_cbranch_execnz .LBB601_394
; %bb.395:
	s_or_b32 exec_lo, exec_lo, s19
.LBB601_396:
	s_delay_alu instid0(SALU_CYCLE_1)
	s_or_b32 exec_lo, exec_lo, s18
	v_cmp_ne_u32_e32 vcc_lo, 31, v57
	v_lshlrev_b32_e64 v49, v57, -1
	v_add_nc_u32_e32 v53, 2, v57
	v_add_nc_u32_e32 v62, 4, v57
	v_add_nc_u32_e32 v64, 8, v57
	v_add_co_ci_u32_e32 v37, vcc_lo, 0, v57, vcc_lo
	v_add_nc_u32_e32 v66, 16, v57
	s_delay_alu instid0(VALU_DEP_2)
	v_lshlrev_b32_e32 v47, 2, v37
	v_and_b32_e32 v37, 0xff, v39
	ds_bpermute_b32 v40, v47, v38
	v_cmp_eq_u16_e32 vcc_lo, 2, v37
	v_and_or_b32 v37, vcc_lo, v49, 0x80000000
	v_cmp_gt_u32_e32 vcc_lo, 30, v57
	s_delay_alu instid0(VALU_DEP_2) | instskip(SKIP_1) | instid1(VALU_DEP_2)
	v_ctz_i32_b32_e32 v37, v37
	v_cndmask_b32_e64 v41, 0, 1, vcc_lo
	v_cmp_lt_u32_e32 vcc_lo, v57, v37
	s_waitcnt lgkmcnt(0)
	s_delay_alu instid0(VALU_DEP_2) | instskip(NEXT) | instid1(VALU_DEP_1)
	v_dual_cndmask_b32 v40, 0, v40 :: v_dual_lshlrev_b32 v41, 1, v41
	v_add_lshl_u32 v51, v41, v57, 2
	v_cmp_gt_u32_e32 vcc_lo, 28, v57
	s_delay_alu instid0(VALU_DEP_3) | instskip(SKIP_4) | instid1(VALU_DEP_1)
	v_add_nc_u32_e32 v38, v40, v38
	v_cndmask_b32_e64 v41, 0, 1, vcc_lo
	v_cmp_le_u32_e32 vcc_lo, v53, v37
	ds_bpermute_b32 v40, v51, v38
	v_lshlrev_b32_e32 v41, 2, v41
	v_add_lshl_u32 v60, v41, v57, 2
	s_waitcnt lgkmcnt(0)
	v_cndmask_b32_e32 v40, 0, v40, vcc_lo
	v_cmp_gt_u32_e32 vcc_lo, 24, v57
	s_delay_alu instid0(VALU_DEP_2) | instskip(SKIP_4) | instid1(VALU_DEP_1)
	v_add_nc_u32_e32 v38, v38, v40
	v_cndmask_b32_e64 v41, 0, 1, vcc_lo
	v_cmp_le_u32_e32 vcc_lo, v62, v37
	ds_bpermute_b32 v40, v60, v38
	v_lshlrev_b32_e32 v41, 3, v41
	v_add_lshl_u32 v63, v41, v57, 2
	s_waitcnt lgkmcnt(0)
	v_cndmask_b32_e32 v40, 0, v40, vcc_lo
	v_cmp_gt_u32_e32 vcc_lo, 16, v57
	s_delay_alu instid0(VALU_DEP_2) | instskip(SKIP_4) | instid1(VALU_DEP_1)
	v_add_nc_u32_e32 v38, v38, v40
	v_cndmask_b32_e64 v41, 0, 1, vcc_lo
	v_cmp_le_u32_e32 vcc_lo, v64, v37
	ds_bpermute_b32 v40, v63, v38
	v_lshlrev_b32_e32 v41, 4, v41
	v_add_lshl_u32 v65, v41, v57, 2
	s_waitcnt lgkmcnt(0)
	v_cndmask_b32_e32 v40, 0, v40, vcc_lo
	v_cmp_le_u32_e32 vcc_lo, v66, v37
	s_delay_alu instid0(VALU_DEP_2) | instskip(SKIP_3) | instid1(VALU_DEP_1)
	v_add_nc_u32_e32 v38, v38, v40
	ds_bpermute_b32 v40, v65, v38
	s_waitcnt lgkmcnt(0)
	v_cndmask_b32_e32 v37, 0, v40, vcc_lo
	v_dual_mov_b32 v37, 0 :: v_dual_add_nc_u32 v38, v38, v37
	s_branch .LBB601_398
.LBB601_397:                            ;   in Loop: Header=BB601_398 Depth=1
	s_or_b32 exec_lo, exec_lo, s18
	ds_bpermute_b32 v41, v47, v38
	v_and_b32_e32 v40, 0xff, v39
	v_subrev_nc_u32_e32 v36, 32, v36
	s_delay_alu instid0(VALU_DEP_2) | instskip(SKIP_1) | instid1(VALU_DEP_1)
	v_cmp_eq_u16_e32 vcc_lo, 2, v40
	v_and_or_b32 v40, vcc_lo, v49, 0x80000000
	v_ctz_i32_b32_e32 v40, v40
	s_delay_alu instid0(VALU_DEP_1) | instskip(SKIP_3) | instid1(VALU_DEP_2)
	v_cmp_lt_u32_e32 vcc_lo, v57, v40
	s_waitcnt lgkmcnt(0)
	v_cndmask_b32_e32 v41, 0, v41, vcc_lo
	v_cmp_le_u32_e32 vcc_lo, v53, v40
	v_add_nc_u32_e32 v38, v41, v38
	ds_bpermute_b32 v41, v51, v38
	s_waitcnt lgkmcnt(0)
	v_cndmask_b32_e32 v41, 0, v41, vcc_lo
	v_cmp_le_u32_e32 vcc_lo, v62, v40
	s_delay_alu instid0(VALU_DEP_2) | instskip(SKIP_4) | instid1(VALU_DEP_2)
	v_add_nc_u32_e32 v38, v38, v41
	ds_bpermute_b32 v41, v60, v38
	s_waitcnt lgkmcnt(0)
	v_cndmask_b32_e32 v41, 0, v41, vcc_lo
	v_cmp_le_u32_e32 vcc_lo, v64, v40
	v_add_nc_u32_e32 v38, v38, v41
	ds_bpermute_b32 v41, v63, v38
	s_waitcnt lgkmcnt(0)
	v_cndmask_b32_e32 v41, 0, v41, vcc_lo
	v_cmp_le_u32_e32 vcc_lo, v66, v40
	s_delay_alu instid0(VALU_DEP_2) | instskip(SKIP_3) | instid1(VALU_DEP_1)
	v_add_nc_u32_e32 v38, v38, v41
	ds_bpermute_b32 v41, v65, v38
	s_waitcnt lgkmcnt(0)
	v_cndmask_b32_e32 v40, 0, v41, vcc_lo
	v_add3_u32 v38, v40, v61, v38
.LBB601_398:                            ; =>This Loop Header: Depth=1
                                        ;     Child Loop BB601_401 Depth 2
	v_and_b32_e32 v39, 0xff, v39
	s_delay_alu instid0(VALU_DEP_2) | instskip(NEXT) | instid1(VALU_DEP_2)
	v_mov_b32_e32 v61, v38
	v_cmp_ne_u16_e32 vcc_lo, 2, v39
	v_cndmask_b32_e64 v39, 0, 1, vcc_lo
	;;#ASMSTART
	;;#ASMEND
	s_delay_alu instid0(VALU_DEP_1)
	v_cmp_ne_u32_e32 vcc_lo, 0, v39
	s_cmp_lg_u32 vcc_lo, exec_lo
	s_cbranch_scc1 .LBB601_403
; %bb.399:                              ;   in Loop: Header=BB601_398 Depth=1
	v_lshlrev_b64 v[38:39], 3, v[36:37]
	s_mov_b32 s18, exec_lo
	s_delay_alu instid0(VALU_DEP_1) | instskip(NEXT) | instid1(VALU_DEP_2)
	v_add_co_u32 v40, vcc_lo, s10, v38
	v_add_co_ci_u32_e32 v41, vcc_lo, s11, v39, vcc_lo
	global_load_b64 v[38:39], v[40:41], off glc
	s_waitcnt vmcnt(0)
	v_and_b32_e32 v67, 0xff, v39
	s_delay_alu instid0(VALU_DEP_1)
	v_cmpx_eq_u16_e32 0, v67
	s_cbranch_execz .LBB601_397
; %bb.400:                              ;   in Loop: Header=BB601_398 Depth=1
	s_mov_b32 s19, 0
.LBB601_401:                            ;   Parent Loop BB601_398 Depth=1
                                        ; =>  This Inner Loop Header: Depth=2
	global_load_b64 v[38:39], v[40:41], off glc
	s_waitcnt vmcnt(0)
	v_and_b32_e32 v67, 0xff, v39
	s_delay_alu instid0(VALU_DEP_1) | instskip(SKIP_1) | instid1(SALU_CYCLE_1)
	v_cmp_ne_u16_e32 vcc_lo, 0, v67
	s_or_b32 s19, vcc_lo, s19
	s_and_not1_b32 exec_lo, exec_lo, s19
	s_cbranch_execnz .LBB601_401
; %bb.402:                              ;   in Loop: Header=BB601_398 Depth=1
	s_or_b32 exec_lo, exec_lo, s19
	s_branch .LBB601_397
.LBB601_403:                            ;   in Loop: Header=BB601_398 Depth=1
                                        ; implicit-def: $vgpr38
                                        ; implicit-def: $vgpr39
	s_cbranch_execz .LBB601_398
; %bb.404:
	s_and_saveexec_b32 s18, s8
	s_cbranch_execz .LBB601_406
; %bb.405:
	s_add_i32 s22, s15, 32
	s_mov_b32 s23, 0
	v_dual_mov_b32 v37, 2 :: v_dual_add_nc_u32 v36, v61, v35
	s_lshl_b64 s[22:23], s[22:23], 3
	v_mov_b32_e32 v38, 0
	v_add_nc_u32_e64 v39, 0x8400, 0
	s_add_u32 s22, s10, s22
	s_addc_u32 s23, s11, s23
	global_store_b64 v38, v[36:37], s[22:23]
	ds_store_2addr_b32 v39, v35, v61 offset1:2
.LBB601_406:
	s_or_b32 exec_lo, exec_lo, s18
	v_cmp_eq_u32_e32 vcc_lo, 0, v0
	s_and_b32 exec_lo, exec_lo, vcc_lo
	s_cbranch_execz .LBB601_408
; %bb.407:
	v_mov_b32_e32 v35, 0
	ds_store_b32 v35, v61 offset:60
.LBB601_408:
	s_or_b32 exec_lo, exec_lo, s9
	s_waitcnt lgkmcnt(0)
	v_cndmask_b32_e64 v36, v45, v43, s8
	v_cmp_ne_u32_e32 vcc_lo, 0, v0
	v_mov_b32_e32 v35, 0
	s_waitcnt_vscnt null, 0x0
	s_barrier
	buffer_gl0_inv
	v_cndmask_b32_e32 v36, 0, v36, vcc_lo
	ds_load_b32 v35, v35 offset:60
	s_waitcnt lgkmcnt(0)
	s_barrier
	buffer_gl0_inv
	v_add_nc_u32_e32 v53, v35, v36
	v_add_nc_u32_e64 v35, 0x8400, 0
	s_delay_alu instid0(VALU_DEP_2) | instskip(SKIP_2) | instid1(VALU_DEP_1)
	v_add_nc_u32_e32 v51, v53, v42
	ds_load_2addr_b32 v[35:36], v35 offset1:2
	v_add_nc_u32_e32 v49, v51, v44
	v_add_nc_u32_e32 v47, v49, v46
	s_delay_alu instid0(VALU_DEP_1) | instskip(NEXT) | instid1(VALU_DEP_1)
	v_add_nc_u32_e32 v45, v47, v48
	v_add_nc_u32_e32 v43, v45, v50
	s_waitcnt lgkmcnt(0)
	v_readfirstlane_b32 s8, v36
	s_delay_alu instid0(VALU_DEP_2) | instskip(NEXT) | instid1(VALU_DEP_1)
	v_add_nc_u32_e32 v41, v43, v52
	v_add_nc_u32_e32 v39, v41, v54
	v_lshrrev_b64 v[37:38], 24, v[33:34]
	s_branch .LBB601_419
.LBB601_409:
                                        ; implicit-def: $vgpr39
                                        ; implicit-def: $vgpr41
                                        ; implicit-def: $vgpr43
                                        ; implicit-def: $vgpr45
                                        ; implicit-def: $vgpr47
                                        ; implicit-def: $vgpr49
                                        ; implicit-def: $vgpr51
                                        ; implicit-def: $vgpr53
                                        ; implicit-def: $sgpr8
                                        ; implicit-def: $vgpr35
	v_lshrrev_b64 v[37:38], 24, v[33:34]
	s_and_b32 vcc_lo, exec_lo, s9
	s_cbranch_vccz .LBB601_419
; %bb.410:
	v_mov_b32_dpp v35, v59 row_shr:1 row_mask:0xf bank_mask:0xf
	s_delay_alu instid0(VALU_DEP_1) | instskip(NEXT) | instid1(VALU_DEP_1)
	v_cndmask_b32_e64 v35, v35, 0, s4
	v_add_nc_u32_e32 v35, v35, v59
	s_delay_alu instid0(VALU_DEP_1) | instskip(NEXT) | instid1(VALU_DEP_1)
	v_mov_b32_dpp v36, v35 row_shr:2 row_mask:0xf bank_mask:0xf
	v_cndmask_b32_e64 v36, 0, v36, s2
	s_delay_alu instid0(VALU_DEP_1) | instskip(NEXT) | instid1(VALU_DEP_1)
	v_add_nc_u32_e32 v35, v35, v36
	v_mov_b32_dpp v36, v35 row_shr:4 row_mask:0xf bank_mask:0xf
	s_delay_alu instid0(VALU_DEP_1) | instskip(NEXT) | instid1(VALU_DEP_1)
	v_cndmask_b32_e64 v36, 0, v36, s5
	v_add_nc_u32_e32 v35, v35, v36
	s_delay_alu instid0(VALU_DEP_1) | instskip(NEXT) | instid1(VALU_DEP_1)
	v_mov_b32_dpp v36, v35 row_shr:8 row_mask:0xf bank_mask:0xf
	v_cndmask_b32_e64 v36, 0, v36, s3
	s_delay_alu instid0(VALU_DEP_1) | instskip(SKIP_3) | instid1(VALU_DEP_1)
	v_add_nc_u32_e32 v35, v35, v36
	ds_swizzle_b32 v36, v35 offset:swizzle(BROADCAST,32,15)
	s_waitcnt lgkmcnt(0)
	v_cndmask_b32_e64 v36, v36, 0, s7
	v_add_nc_u32_e32 v35, v35, v36
	s_and_saveexec_b32 s7, s6
	s_cbranch_execz .LBB601_412
; %bb.411:
	v_lshlrev_b32_e32 v36, 2, v58
	ds_store_b32 v36, v35
.LBB601_412:
	s_or_b32 exec_lo, exec_lo, s7
	s_delay_alu instid0(SALU_CYCLE_1)
	s_mov_b32 s6, exec_lo
	s_waitcnt lgkmcnt(0)
	s_barrier
	buffer_gl0_inv
	v_cmpx_gt_u32_e32 16, v0
	s_cbranch_execz .LBB601_414
; %bb.413:
	v_lshlrev_b32_e32 v36, 2, v0
	ds_load_b32 v38, v36
	s_waitcnt lgkmcnt(0)
	v_mov_b32_dpp v39, v38 row_shr:1 row_mask:0xf bank_mask:0xf
	s_delay_alu instid0(VALU_DEP_1) | instskip(NEXT) | instid1(VALU_DEP_1)
	v_cndmask_b32_e64 v39, v39, 0, s4
	v_add_nc_u32_e32 v38, v39, v38
	s_delay_alu instid0(VALU_DEP_1) | instskip(NEXT) | instid1(VALU_DEP_1)
	v_mov_b32_dpp v39, v38 row_shr:2 row_mask:0xf bank_mask:0xf
	v_cndmask_b32_e64 v39, 0, v39, s2
	s_delay_alu instid0(VALU_DEP_1) | instskip(NEXT) | instid1(VALU_DEP_1)
	v_add_nc_u32_e32 v38, v38, v39
	v_mov_b32_dpp v39, v38 row_shr:4 row_mask:0xf bank_mask:0xf
	s_delay_alu instid0(VALU_DEP_1) | instskip(NEXT) | instid1(VALU_DEP_1)
	v_cndmask_b32_e64 v39, 0, v39, s5
	v_add_nc_u32_e32 v38, v38, v39
	s_delay_alu instid0(VALU_DEP_1) | instskip(NEXT) | instid1(VALU_DEP_1)
	v_mov_b32_dpp v39, v38 row_shr:8 row_mask:0xf bank_mask:0xf
	v_cndmask_b32_e64 v39, 0, v39, s3
	s_delay_alu instid0(VALU_DEP_1)
	v_add_nc_u32_e32 v38, v38, v39
	ds_store_b32 v36, v38
.LBB601_414:
	s_or_b32 exec_lo, exec_lo, s6
	v_mov_b32_e32 v36, 0
	v_mov_b32_e32 v38, 0
	s_mov_b32 s2, exec_lo
	s_waitcnt lgkmcnt(0)
	s_barrier
	buffer_gl0_inv
	v_cmpx_lt_u32_e32 31, v0
	s_cbranch_execz .LBB601_416
; %bb.415:
	v_lshl_add_u32 v38, v58, 2, -4
	ds_load_b32 v38, v38
.LBB601_416:
	s_or_b32 exec_lo, exec_lo, s2
	v_add_nc_u32_e32 v39, -1, v57
	s_waitcnt lgkmcnt(0)
	v_add_nc_u32_e32 v35, v38, v35
	s_mov_b32 s8, 0
	s_delay_alu instid0(VALU_DEP_2) | instskip(SKIP_2) | instid1(VALU_DEP_2)
	v_cmp_gt_i32_e32 vcc_lo, 0, v39
	v_cndmask_b32_e32 v39, v39, v57, vcc_lo
	v_cmp_eq_u32_e32 vcc_lo, 0, v0
	v_lshlrev_b32_e32 v39, 2, v39
	ds_bpermute_b32 v39, v39, v35
	ds_load_b32 v35, v36 offset:60
	s_and_saveexec_b32 s2, vcc_lo
	s_cbranch_execz .LBB601_418
; %bb.417:
	v_mov_b32_e32 v40, 0
	v_mov_b32_e32 v36, 2
	s_waitcnt lgkmcnt(0)
	global_store_b64 v40, v[35:36], s[10:11] offset:256
.LBB601_418:
	s_or_b32 exec_lo, exec_lo, s2
	v_cmp_eq_u32_e64 s2, 0, v57
	s_waitcnt lgkmcnt(0)
	s_waitcnt_vscnt null, 0x0
	s_barrier
	buffer_gl0_inv
	v_cndmask_b32_e64 v36, v39, v38, s2
	s_delay_alu instid0(VALU_DEP_1) | instskip(NEXT) | instid1(VALU_DEP_1)
	v_cndmask_b32_e64 v53, v36, 0, vcc_lo
	v_add_nc_u32_e32 v51, v53, v42
	s_delay_alu instid0(VALU_DEP_1) | instskip(NEXT) | instid1(VALU_DEP_1)
	v_add_nc_u32_e32 v49, v51, v44
	v_add_nc_u32_e32 v47, v49, v46
	s_delay_alu instid0(VALU_DEP_1) | instskip(NEXT) | instid1(VALU_DEP_1)
	v_add_nc_u32_e32 v45, v47, v48
	;; [unrolled: 3-line block ×3, first 2 shown]
	v_add_nc_u32_e32 v39, v41, v54
.LBB601_419:
	s_load_b128 s[4:7], s[0:1], 0x28
	v_add_nc_u32_e32 v59, s8, v35
	v_cmp_gt_u32_e64 s0, 0x201, v35
	v_lshrrev_b32_e32 v58, 8, v33
	v_lshrrev_b32_e32 v57, 16, v33
	;; [unrolled: 1-line block ×4, first 2 shown]
	v_cmp_lt_u32_e64 s1, v53, v59
	s_and_b32 vcc_lo, exec_lo, s0
	s_mov_b32 s2, -1
	s_cbranch_vccz .LBB601_445
; %bb.420:
	s_delay_alu instid0(VALU_DEP_1) | instskip(NEXT) | instid1(SALU_CYCLE_1)
	s_or_b32 s2, s20, s1
	s_and_saveexec_b32 s1, s2
	s_cbranch_execz .LBB601_423
; %bb.421:
	v_and_b32_e32 v40, 1, v33
	s_delay_alu instid0(VALU_DEP_1)
	v_cmp_eq_u32_e32 vcc_lo, 1, v40
	s_and_b32 exec_lo, exec_lo, vcc_lo
	s_cbranch_execz .LBB601_423
; %bb.422:
	v_mov_b32_e32 v54, 0
	s_lshl_b64 s[2:3], s[12:13], 3
	s_waitcnt lgkmcnt(0)
	s_add_u32 s2, s4, s2
	s_addc_u32 s3, s5, s3
	v_lshlrev_b64 v[60:61], 3, v[53:54]
	s_delay_alu instid0(VALU_DEP_1) | instskip(NEXT) | instid1(VALU_DEP_2)
	v_add_co_u32 v60, vcc_lo, s2, v60
	v_add_co_ci_u32_e32 v61, vcc_lo, s3, v61, vcc_lo
	global_store_b64 v[60:61], v[29:30], off
.LBB601_423:
	s_or_b32 exec_lo, exec_lo, s1
	v_cmp_lt_u32_e32 vcc_lo, v51, v59
	s_or_b32 s2, s20, vcc_lo
	s_delay_alu instid0(SALU_CYCLE_1)
	s_and_saveexec_b32 s1, s2
	s_cbranch_execz .LBB601_426
; %bb.424:
	v_and_b32_e32 v40, 1, v58
	s_delay_alu instid0(VALU_DEP_1)
	v_cmp_eq_u32_e32 vcc_lo, 1, v40
	s_and_b32 exec_lo, exec_lo, vcc_lo
	s_cbranch_execz .LBB601_426
; %bb.425:
	v_mov_b32_e32 v52, 0
	s_lshl_b64 s[2:3], s[12:13], 3
	s_waitcnt lgkmcnt(0)
	s_add_u32 s2, s4, s2
	s_addc_u32 s3, s5, s3
	v_lshlrev_b64 v[60:61], 3, v[51:52]
	s_delay_alu instid0(VALU_DEP_1) | instskip(NEXT) | instid1(VALU_DEP_2)
	v_add_co_u32 v60, vcc_lo, s2, v60
	v_add_co_ci_u32_e32 v61, vcc_lo, s3, v61, vcc_lo
	global_store_b64 v[60:61], v[31:32], off
.LBB601_426:
	s_or_b32 exec_lo, exec_lo, s1
	v_cmp_lt_u32_e32 vcc_lo, v49, v59
	s_or_b32 s2, s20, vcc_lo
	s_delay_alu instid0(SALU_CYCLE_1)
	;; [unrolled: 24-line block ×7, first 2 shown]
	s_and_saveexec_b32 s1, s2
	s_cbranch_execz .LBB601_444
; %bb.442:
	v_and_b32_e32 v40, 1, v56
	s_delay_alu instid0(VALU_DEP_1)
	v_cmp_eq_u32_e32 vcc_lo, 1, v40
	s_and_b32 exec_lo, exec_lo, vcc_lo
	s_cbranch_execz .LBB601_444
; %bb.443:
	v_mov_b32_e32 v40, 0
	s_lshl_b64 s[2:3], s[12:13], 3
	s_waitcnt lgkmcnt(0)
	s_add_u32 s2, s4, s2
	s_addc_u32 s3, s5, s3
	v_lshlrev_b64 v[60:61], 3, v[39:40]
	s_delay_alu instid0(VALU_DEP_1) | instskip(NEXT) | instid1(VALU_DEP_2)
	v_add_co_u32 v60, vcc_lo, s2, v60
	v_add_co_ci_u32_e32 v61, vcc_lo, s3, v61, vcc_lo
	global_store_b64 v[60:61], v[19:20], off
.LBB601_444:
	s_or_b32 exec_lo, exec_lo, s1
	s_mov_b32 s2, 0
.LBB601_445:
	v_and_b32_e32 v33, 1, v33
	s_and_b32 vcc_lo, exec_lo, s2
	s_delay_alu instid0(VALU_DEP_1)
	v_cmp_eq_u32_e64 s1, 1, v33
	s_cbranch_vccz .LBB601_466
; %bb.446:
	s_delay_alu instid0(VALU_DEP_1)
	s_and_saveexec_b32 s2, s1
	s_cbranch_execz .LBB601_448
; %bb.447:
	v_subrev_nc_u32_e32 v40, s8, v53
	s_delay_alu instid0(VALU_DEP_1)
	v_lshlrev_b32_e32 v40, 3, v40
	ds_store_b64 v40, v[29:30]
.LBB601_448:
	s_or_b32 exec_lo, exec_lo, s2
	v_and_b32_e32 v29, 1, v58
	s_mov_b32 s1, exec_lo
	s_delay_alu instid0(VALU_DEP_1)
	v_cmpx_eq_u32_e32 1, v29
	s_cbranch_execz .LBB601_450
; %bb.449:
	v_subrev_nc_u32_e32 v29, s8, v51
	s_delay_alu instid0(VALU_DEP_1)
	v_lshlrev_b32_e32 v29, 3, v29
	ds_store_b64 v29, v[31:32]
.LBB601_450:
	s_or_b32 exec_lo, exec_lo, s1
	v_and_b32_e32 v29, 1, v57
	s_mov_b32 s1, exec_lo
	s_delay_alu instid0(VALU_DEP_1)
	v_cmpx_eq_u32_e32 1, v29
	;; [unrolled: 12-line block ×7, first 2 shown]
	s_cbranch_execz .LBB601_462
; %bb.461:
	v_subrev_nc_u32_e32 v17, s8, v39
	s_delay_alu instid0(VALU_DEP_1)
	v_lshlrev_b32_e32 v17, 3, v17
	ds_store_b64 v17, v[19:20]
.LBB601_462:
	s_or_b32 exec_lo, exec_lo, s1
	s_delay_alu instid0(SALU_CYCLE_1)
	s_mov_b32 s2, exec_lo
	s_waitcnt lgkmcnt(0)
	s_waitcnt_vscnt null, 0x0
	s_barrier
	buffer_gl0_inv
	v_cmpx_lt_u32_e64 v0, v35
	s_cbranch_execz .LBB601_465
; %bb.463:
	s_mov_b32 s9, 0
	s_lshl_b64 s[10:11], s[12:13], 3
	s_lshl_b64 s[18:19], s[8:9], 3
	v_dual_mov_b32 v19, v55 :: v_dual_mov_b32 v20, v0
	s_add_u32 s1, s10, s18
	s_addc_u32 s3, s11, s19
	s_add_u32 s1, s4, s1
	s_addc_u32 s3, s5, s3
	v_add_co_u32 v17, s1, s1, v55
	s_delay_alu instid0(VALU_DEP_1)
	v_add_co_ci_u32_e64 v18, null, s3, 0, s1
	.p2align	6
.LBB601_464:                            ; =>This Inner Loop Header: Depth=1
	ds_load_b64 v[21:22], v19
	v_add_nc_u32_e32 v20, 0x200, v20
	v_add_nc_u32_e32 v19, 0x1000, v19
	s_delay_alu instid0(VALU_DEP_2) | instskip(SKIP_4) | instid1(VALU_DEP_1)
	v_cmp_ge_u32_e32 vcc_lo, v20, v35
	s_or_b32 s9, vcc_lo, s9
	s_waitcnt lgkmcnt(0)
	global_store_b64 v[17:18], v[21:22], off
	v_add_co_u32 v17, s1, 0x1000, v17
	v_add_co_ci_u32_e64 v18, s1, 0, v18, s1
	s_and_not1_b32 exec_lo, exec_lo, s9
	s_cbranch_execnz .LBB601_464
.LBB601_465:
	s_or_b32 exec_lo, exec_lo, s2
.LBB601_466:
	s_delay_alu instid0(SALU_CYCLE_1)
	s_and_b32 vcc_lo, exec_lo, s0
	s_mov_b32 s0, -1
	s_waitcnt lgkmcnt(0)
	s_waitcnt_vscnt null, 0x0
	s_barrier
	buffer_gl0_inv
	s_cbranch_vccz .LBB601_494
; %bb.467:
	v_cmp_lt_u32_e32 vcc_lo, v53, v59
	s_or_b32 s1, s20, vcc_lo
	s_delay_alu instid0(SALU_CYCLE_1)
	s_and_saveexec_b32 s0, s1
	s_cbranch_execz .LBB601_470
; %bb.468:
	v_cmp_eq_u32_e32 vcc_lo, 1, v33
	s_and_b32 exec_lo, exec_lo, vcc_lo
	s_cbranch_execz .LBB601_470
; %bb.469:
	v_mov_b32_e32 v54, 0
	s_lshl_b64 s[2:3], s[12:13], 3
	s_delay_alu instid0(SALU_CYCLE_1) | instskip(SKIP_1) | instid1(VALU_DEP_1)
	s_add_u32 s1, s6, s2
	s_addc_u32 s2, s7, s3
	v_lshlrev_b64 v[17:18], 3, v[53:54]
	s_delay_alu instid0(VALU_DEP_1) | instskip(NEXT) | instid1(VALU_DEP_2)
	v_add_co_u32 v17, vcc_lo, s1, v17
	v_add_co_ci_u32_e32 v18, vcc_lo, s2, v18, vcc_lo
	global_store_b64 v[17:18], v[13:14], off
.LBB601_470:
	s_or_b32 exec_lo, exec_lo, s0
	v_cmp_lt_u32_e32 vcc_lo, v51, v59
	s_or_b32 s1, s20, vcc_lo
	s_delay_alu instid0(SALU_CYCLE_1)
	s_and_saveexec_b32 s0, s1
	s_cbranch_execz .LBB601_473
; %bb.471:
	v_and_b32_e32 v17, 1, v58
	s_delay_alu instid0(VALU_DEP_1)
	v_cmp_eq_u32_e32 vcc_lo, 1, v17
	s_and_b32 exec_lo, exec_lo, vcc_lo
	s_cbranch_execz .LBB601_473
; %bb.472:
	v_mov_b32_e32 v52, 0
	s_lshl_b64 s[2:3], s[12:13], 3
	s_delay_alu instid0(SALU_CYCLE_1) | instskip(SKIP_1) | instid1(VALU_DEP_1)
	s_add_u32 s1, s6, s2
	s_addc_u32 s2, s7, s3
	v_lshlrev_b64 v[17:18], 3, v[51:52]
	s_delay_alu instid0(VALU_DEP_1) | instskip(NEXT) | instid1(VALU_DEP_2)
	v_add_co_u32 v17, vcc_lo, s1, v17
	v_add_co_ci_u32_e32 v18, vcc_lo, s2, v18, vcc_lo
	global_store_b64 v[17:18], v[15:16], off
.LBB601_473:
	s_or_b32 exec_lo, exec_lo, s0
	v_cmp_lt_u32_e32 vcc_lo, v49, v59
	s_or_b32 s1, s20, vcc_lo
	s_delay_alu instid0(SALU_CYCLE_1)
	s_and_saveexec_b32 s0, s1
	s_cbranch_execz .LBB601_476
; %bb.474:
	v_and_b32_e32 v17, 1, v57
	s_delay_alu instid0(VALU_DEP_1)
	v_cmp_eq_u32_e32 vcc_lo, 1, v17
	s_and_b32 exec_lo, exec_lo, vcc_lo
	s_cbranch_execz .LBB601_476
; %bb.475:
	v_mov_b32_e32 v50, 0
	s_lshl_b64 s[2:3], s[12:13], 3
	s_delay_alu instid0(SALU_CYCLE_1) | instskip(SKIP_1) | instid1(VALU_DEP_1)
	s_add_u32 s1, s6, s2
	s_addc_u32 s2, s7, s3
	v_lshlrev_b64 v[17:18], 3, v[49:50]
	s_delay_alu instid0(VALU_DEP_1) | instskip(NEXT) | instid1(VALU_DEP_2)
	v_add_co_u32 v17, vcc_lo, s1, v17
	v_add_co_ci_u32_e32 v18, vcc_lo, s2, v18, vcc_lo
	global_store_b64 v[17:18], v[9:10], off
.LBB601_476:
	;; [unrolled: 24-line block ×7, first 2 shown]
	s_or_b32 exec_lo, exec_lo, s0
.LBB601_492:
	v_cmp_eq_u32_e32 vcc_lo, 0, v0
	s_and_b32 s0, vcc_lo, s14
	s_delay_alu instid0(SALU_CYCLE_1)
	s_and_saveexec_b32 s1, s0
	s_cbranch_execz .LBB601_515
.LBB601_493:
	v_add_co_u32 v0, s0, s12, v35
	s_delay_alu instid0(VALU_DEP_1) | instskip(SKIP_1) | instid1(VALU_DEP_3)
	v_add_co_ci_u32_e64 v1, null, s13, 0, s0
	v_mov_b32_e32 v2, 0
	v_add_co_u32 v0, vcc_lo, v0, s8
	s_delay_alu instid0(VALU_DEP_3)
	v_add_co_ci_u32_e32 v1, vcc_lo, 0, v1, vcc_lo
	global_store_b64 v2, v[0:1], s[16:17]
	s_nop 0
	s_sendmsg sendmsg(MSG_DEALLOC_VGPRS)
	s_endpgm
.LBB601_494:
	s_and_b32 vcc_lo, exec_lo, s0
	s_cbranch_vccz .LBB601_492
; %bb.495:
	s_mov_b32 s0, exec_lo
	v_cmpx_eq_u32_e32 1, v33
	s_cbranch_execz .LBB601_497
; %bb.496:
	v_subrev_nc_u32_e32 v17, s8, v53
	s_delay_alu instid0(VALU_DEP_1)
	v_lshlrev_b32_e32 v17, 3, v17
	ds_store_b64 v17, v[13:14]
.LBB601_497:
	s_or_b32 exec_lo, exec_lo, s0
	v_and_b32_e32 v13, 1, v58
	s_mov_b32 s0, exec_lo
	s_delay_alu instid0(VALU_DEP_1)
	v_cmpx_eq_u32_e32 1, v13
	s_cbranch_execz .LBB601_499
; %bb.498:
	v_subrev_nc_u32_e32 v13, s8, v51
	s_delay_alu instid0(VALU_DEP_1)
	v_lshlrev_b32_e32 v13, 3, v13
	ds_store_b64 v13, v[15:16]
.LBB601_499:
	s_or_b32 exec_lo, exec_lo, s0
	v_and_b32_e32 v13, 1, v57
	s_mov_b32 s0, exec_lo
	s_delay_alu instid0(VALU_DEP_1)
	;; [unrolled: 12-line block ×7, first 2 shown]
	v_cmpx_eq_u32_e32 1, v1
	s_cbranch_execz .LBB601_511
; %bb.510:
	v_subrev_nc_u32_e32 v1, s8, v39
	s_delay_alu instid0(VALU_DEP_1)
	v_lshlrev_b32_e32 v1, 3, v1
	ds_store_b64 v1, v[3:4]
.LBB601_511:
	s_or_b32 exec_lo, exec_lo, s0
	s_delay_alu instid0(SALU_CYCLE_1)
	s_mov_b32 s1, exec_lo
	s_waitcnt lgkmcnt(0)
	s_waitcnt_vscnt null, 0x0
	s_barrier
	buffer_gl0_inv
	v_cmpx_lt_u32_e64 v0, v35
	s_cbranch_execz .LBB601_514
; %bb.512:
	s_mov_b32 s9, 0
	s_lshl_b64 s[2:3], s[12:13], 3
	s_lshl_b64 s[4:5], s[8:9], 3
	v_mov_b32_e32 v3, v0
	s_add_u32 s0, s2, s4
	s_addc_u32 s2, s3, s5
	s_add_u32 s0, s6, s0
	s_addc_u32 s2, s7, s2
	v_add_co_u32 v1, s0, s0, v55
	s_delay_alu instid0(VALU_DEP_1)
	v_add_co_ci_u32_e64 v2, null, s2, 0, s0
	.p2align	6
.LBB601_513:                            ; =>This Inner Loop Header: Depth=1
	ds_load_b64 v[4:5], v55
	v_add_nc_u32_e32 v3, 0x200, v3
	v_add_nc_u32_e32 v55, 0x1000, v55
	s_delay_alu instid0(VALU_DEP_2) | instskip(SKIP_4) | instid1(VALU_DEP_1)
	v_cmp_ge_u32_e32 vcc_lo, v3, v35
	s_or_b32 s9, vcc_lo, s9
	s_waitcnt lgkmcnt(0)
	global_store_b64 v[1:2], v[4:5], off
	v_add_co_u32 v1, s0, 0x1000, v1
	v_add_co_ci_u32_e64 v2, s0, 0, v2, s0
	s_and_not1_b32 exec_lo, exec_lo, s9
	s_cbranch_execnz .LBB601_513
.LBB601_514:
	s_or_b32 exec_lo, exec_lo, s1
	v_cmp_eq_u32_e32 vcc_lo, 0, v0
	s_and_b32 s0, vcc_lo, s14
	s_delay_alu instid0(SALU_CYCLE_1)
	s_and_saveexec_b32 s1, s0
	s_cbranch_execnz .LBB601_493
.LBB601_515:
	s_nop 0
	s_sendmsg sendmsg(MSG_DEALLOC_VGPRS)
	s_endpgm
	.section	.rodata,"a",@progbits
	.p2align	6, 0x0
	.amdhsa_kernel _ZN7rocprim17ROCPRIM_400000_NS6detail17trampoline_kernelINS0_14default_configENS1_25partition_config_selectorILNS1_17partition_subalgoE9EllbEEZZNS1_14partition_implILS5_9ELb0ES3_jPlS8_PNS0_10empty_typeENS0_5tupleIJS8_S9_EEENSB_IJS8_SA_EEENS0_18inequality_wrapperIZN2at6native12_GLOBAL__N_124unique_dim_cuda_templateIlEESt5tupleIJNSF_6TensorESK_SK_EERKSK_lbbbEUlllE0_EEPmJS9_EEE10hipError_tPvRmT3_T4_T5_T6_T7_T9_mT8_P12ihipStream_tbDpT10_ENKUlT_T0_E_clISt17integral_constantIbLb0EES1A_EEDaS15_S16_EUlS15_E_NS1_11comp_targetILNS1_3genE9ELNS1_11target_archE1100ELNS1_3gpuE3ELNS1_3repE0EEENS1_30default_config_static_selectorELNS0_4arch9wavefront6targetE0EEEvT1_
		.amdhsa_group_segment_fixed_size 33804
		.amdhsa_private_segment_fixed_size 0
		.amdhsa_kernarg_size 120
		.amdhsa_user_sgpr_count 15
		.amdhsa_user_sgpr_dispatch_ptr 0
		.amdhsa_user_sgpr_queue_ptr 0
		.amdhsa_user_sgpr_kernarg_segment_ptr 1
		.amdhsa_user_sgpr_dispatch_id 0
		.amdhsa_user_sgpr_private_segment_size 0
		.amdhsa_wavefront_size32 1
		.amdhsa_uses_dynamic_stack 0
		.amdhsa_enable_private_segment 0
		.amdhsa_system_sgpr_workgroup_id_x 1
		.amdhsa_system_sgpr_workgroup_id_y 0
		.amdhsa_system_sgpr_workgroup_id_z 0
		.amdhsa_system_sgpr_workgroup_info 0
		.amdhsa_system_vgpr_workitem_id 0
		.amdhsa_next_free_vgpr 68
		.amdhsa_next_free_sgpr 36
		.amdhsa_reserve_vcc 1
		.amdhsa_float_round_mode_32 0
		.amdhsa_float_round_mode_16_64 0
		.amdhsa_float_denorm_mode_32 3
		.amdhsa_float_denorm_mode_16_64 3
		.amdhsa_dx10_clamp 1
		.amdhsa_ieee_mode 1
		.amdhsa_fp16_overflow 0
		.amdhsa_workgroup_processor_mode 1
		.amdhsa_memory_ordered 1
		.amdhsa_forward_progress 0
		.amdhsa_shared_vgpr_count 0
		.amdhsa_exception_fp_ieee_invalid_op 0
		.amdhsa_exception_fp_denorm_src 0
		.amdhsa_exception_fp_ieee_div_zero 0
		.amdhsa_exception_fp_ieee_overflow 0
		.amdhsa_exception_fp_ieee_underflow 0
		.amdhsa_exception_fp_ieee_inexact 0
		.amdhsa_exception_int_div_zero 0
	.end_amdhsa_kernel
	.section	.text._ZN7rocprim17ROCPRIM_400000_NS6detail17trampoline_kernelINS0_14default_configENS1_25partition_config_selectorILNS1_17partition_subalgoE9EllbEEZZNS1_14partition_implILS5_9ELb0ES3_jPlS8_PNS0_10empty_typeENS0_5tupleIJS8_S9_EEENSB_IJS8_SA_EEENS0_18inequality_wrapperIZN2at6native12_GLOBAL__N_124unique_dim_cuda_templateIlEESt5tupleIJNSF_6TensorESK_SK_EERKSK_lbbbEUlllE0_EEPmJS9_EEE10hipError_tPvRmT3_T4_T5_T6_T7_T9_mT8_P12ihipStream_tbDpT10_ENKUlT_T0_E_clISt17integral_constantIbLb0EES1A_EEDaS15_S16_EUlS15_E_NS1_11comp_targetILNS1_3genE9ELNS1_11target_archE1100ELNS1_3gpuE3ELNS1_3repE0EEENS1_30default_config_static_selectorELNS0_4arch9wavefront6targetE0EEEvT1_,"axG",@progbits,_ZN7rocprim17ROCPRIM_400000_NS6detail17trampoline_kernelINS0_14default_configENS1_25partition_config_selectorILNS1_17partition_subalgoE9EllbEEZZNS1_14partition_implILS5_9ELb0ES3_jPlS8_PNS0_10empty_typeENS0_5tupleIJS8_S9_EEENSB_IJS8_SA_EEENS0_18inequality_wrapperIZN2at6native12_GLOBAL__N_124unique_dim_cuda_templateIlEESt5tupleIJNSF_6TensorESK_SK_EERKSK_lbbbEUlllE0_EEPmJS9_EEE10hipError_tPvRmT3_T4_T5_T6_T7_T9_mT8_P12ihipStream_tbDpT10_ENKUlT_T0_E_clISt17integral_constantIbLb0EES1A_EEDaS15_S16_EUlS15_E_NS1_11comp_targetILNS1_3genE9ELNS1_11target_archE1100ELNS1_3gpuE3ELNS1_3repE0EEENS1_30default_config_static_selectorELNS0_4arch9wavefront6targetE0EEEvT1_,comdat
.Lfunc_end601:
	.size	_ZN7rocprim17ROCPRIM_400000_NS6detail17trampoline_kernelINS0_14default_configENS1_25partition_config_selectorILNS1_17partition_subalgoE9EllbEEZZNS1_14partition_implILS5_9ELb0ES3_jPlS8_PNS0_10empty_typeENS0_5tupleIJS8_S9_EEENSB_IJS8_SA_EEENS0_18inequality_wrapperIZN2at6native12_GLOBAL__N_124unique_dim_cuda_templateIlEESt5tupleIJNSF_6TensorESK_SK_EERKSK_lbbbEUlllE0_EEPmJS9_EEE10hipError_tPvRmT3_T4_T5_T6_T7_T9_mT8_P12ihipStream_tbDpT10_ENKUlT_T0_E_clISt17integral_constantIbLb0EES1A_EEDaS15_S16_EUlS15_E_NS1_11comp_targetILNS1_3genE9ELNS1_11target_archE1100ELNS1_3gpuE3ELNS1_3repE0EEENS1_30default_config_static_selectorELNS0_4arch9wavefront6targetE0EEEvT1_, .Lfunc_end601-_ZN7rocprim17ROCPRIM_400000_NS6detail17trampoline_kernelINS0_14default_configENS1_25partition_config_selectorILNS1_17partition_subalgoE9EllbEEZZNS1_14partition_implILS5_9ELb0ES3_jPlS8_PNS0_10empty_typeENS0_5tupleIJS8_S9_EEENSB_IJS8_SA_EEENS0_18inequality_wrapperIZN2at6native12_GLOBAL__N_124unique_dim_cuda_templateIlEESt5tupleIJNSF_6TensorESK_SK_EERKSK_lbbbEUlllE0_EEPmJS9_EEE10hipError_tPvRmT3_T4_T5_T6_T7_T9_mT8_P12ihipStream_tbDpT10_ENKUlT_T0_E_clISt17integral_constantIbLb0EES1A_EEDaS15_S16_EUlS15_E_NS1_11comp_targetILNS1_3genE9ELNS1_11target_archE1100ELNS1_3gpuE3ELNS1_3repE0EEENS1_30default_config_static_selectorELNS0_4arch9wavefront6targetE0EEEvT1_
                                        ; -- End function
	.section	.AMDGPU.csdata,"",@progbits
; Kernel info:
; codeLenInByte = 20488
; NumSgprs: 38
; NumVgprs: 68
; ScratchSize: 0
; MemoryBound: 1
; FloatMode: 240
; IeeeMode: 1
; LDSByteSize: 33804 bytes/workgroup (compile time only)
; SGPRBlocks: 4
; VGPRBlocks: 8
; NumSGPRsForWavesPerEU: 38
; NumVGPRsForWavesPerEU: 68
; Occupancy: 12
; WaveLimiterHint : 1
; COMPUTE_PGM_RSRC2:SCRATCH_EN: 0
; COMPUTE_PGM_RSRC2:USER_SGPR: 15
; COMPUTE_PGM_RSRC2:TRAP_HANDLER: 0
; COMPUTE_PGM_RSRC2:TGID_X_EN: 1
; COMPUTE_PGM_RSRC2:TGID_Y_EN: 0
; COMPUTE_PGM_RSRC2:TGID_Z_EN: 0
; COMPUTE_PGM_RSRC2:TIDIG_COMP_CNT: 0
	.section	.text._ZN7rocprim17ROCPRIM_400000_NS6detail17trampoline_kernelINS0_14default_configENS1_25partition_config_selectorILNS1_17partition_subalgoE9EllbEEZZNS1_14partition_implILS5_9ELb0ES3_jPlS8_PNS0_10empty_typeENS0_5tupleIJS8_S9_EEENSB_IJS8_SA_EEENS0_18inequality_wrapperIZN2at6native12_GLOBAL__N_124unique_dim_cuda_templateIlEESt5tupleIJNSF_6TensorESK_SK_EERKSK_lbbbEUlllE0_EEPmJS9_EEE10hipError_tPvRmT3_T4_T5_T6_T7_T9_mT8_P12ihipStream_tbDpT10_ENKUlT_T0_E_clISt17integral_constantIbLb0EES1A_EEDaS15_S16_EUlS15_E_NS1_11comp_targetILNS1_3genE8ELNS1_11target_archE1030ELNS1_3gpuE2ELNS1_3repE0EEENS1_30default_config_static_selectorELNS0_4arch9wavefront6targetE0EEEvT1_,"axG",@progbits,_ZN7rocprim17ROCPRIM_400000_NS6detail17trampoline_kernelINS0_14default_configENS1_25partition_config_selectorILNS1_17partition_subalgoE9EllbEEZZNS1_14partition_implILS5_9ELb0ES3_jPlS8_PNS0_10empty_typeENS0_5tupleIJS8_S9_EEENSB_IJS8_SA_EEENS0_18inequality_wrapperIZN2at6native12_GLOBAL__N_124unique_dim_cuda_templateIlEESt5tupleIJNSF_6TensorESK_SK_EERKSK_lbbbEUlllE0_EEPmJS9_EEE10hipError_tPvRmT3_T4_T5_T6_T7_T9_mT8_P12ihipStream_tbDpT10_ENKUlT_T0_E_clISt17integral_constantIbLb0EES1A_EEDaS15_S16_EUlS15_E_NS1_11comp_targetILNS1_3genE8ELNS1_11target_archE1030ELNS1_3gpuE2ELNS1_3repE0EEENS1_30default_config_static_selectorELNS0_4arch9wavefront6targetE0EEEvT1_,comdat
	.globl	_ZN7rocprim17ROCPRIM_400000_NS6detail17trampoline_kernelINS0_14default_configENS1_25partition_config_selectorILNS1_17partition_subalgoE9EllbEEZZNS1_14partition_implILS5_9ELb0ES3_jPlS8_PNS0_10empty_typeENS0_5tupleIJS8_S9_EEENSB_IJS8_SA_EEENS0_18inequality_wrapperIZN2at6native12_GLOBAL__N_124unique_dim_cuda_templateIlEESt5tupleIJNSF_6TensorESK_SK_EERKSK_lbbbEUlllE0_EEPmJS9_EEE10hipError_tPvRmT3_T4_T5_T6_T7_T9_mT8_P12ihipStream_tbDpT10_ENKUlT_T0_E_clISt17integral_constantIbLb0EES1A_EEDaS15_S16_EUlS15_E_NS1_11comp_targetILNS1_3genE8ELNS1_11target_archE1030ELNS1_3gpuE2ELNS1_3repE0EEENS1_30default_config_static_selectorELNS0_4arch9wavefront6targetE0EEEvT1_ ; -- Begin function _ZN7rocprim17ROCPRIM_400000_NS6detail17trampoline_kernelINS0_14default_configENS1_25partition_config_selectorILNS1_17partition_subalgoE9EllbEEZZNS1_14partition_implILS5_9ELb0ES3_jPlS8_PNS0_10empty_typeENS0_5tupleIJS8_S9_EEENSB_IJS8_SA_EEENS0_18inequality_wrapperIZN2at6native12_GLOBAL__N_124unique_dim_cuda_templateIlEESt5tupleIJNSF_6TensorESK_SK_EERKSK_lbbbEUlllE0_EEPmJS9_EEE10hipError_tPvRmT3_T4_T5_T6_T7_T9_mT8_P12ihipStream_tbDpT10_ENKUlT_T0_E_clISt17integral_constantIbLb0EES1A_EEDaS15_S16_EUlS15_E_NS1_11comp_targetILNS1_3genE8ELNS1_11target_archE1030ELNS1_3gpuE2ELNS1_3repE0EEENS1_30default_config_static_selectorELNS0_4arch9wavefront6targetE0EEEvT1_
	.p2align	8
	.type	_ZN7rocprim17ROCPRIM_400000_NS6detail17trampoline_kernelINS0_14default_configENS1_25partition_config_selectorILNS1_17partition_subalgoE9EllbEEZZNS1_14partition_implILS5_9ELb0ES3_jPlS8_PNS0_10empty_typeENS0_5tupleIJS8_S9_EEENSB_IJS8_SA_EEENS0_18inequality_wrapperIZN2at6native12_GLOBAL__N_124unique_dim_cuda_templateIlEESt5tupleIJNSF_6TensorESK_SK_EERKSK_lbbbEUlllE0_EEPmJS9_EEE10hipError_tPvRmT3_T4_T5_T6_T7_T9_mT8_P12ihipStream_tbDpT10_ENKUlT_T0_E_clISt17integral_constantIbLb0EES1A_EEDaS15_S16_EUlS15_E_NS1_11comp_targetILNS1_3genE8ELNS1_11target_archE1030ELNS1_3gpuE2ELNS1_3repE0EEENS1_30default_config_static_selectorELNS0_4arch9wavefront6targetE0EEEvT1_,@function
_ZN7rocprim17ROCPRIM_400000_NS6detail17trampoline_kernelINS0_14default_configENS1_25partition_config_selectorILNS1_17partition_subalgoE9EllbEEZZNS1_14partition_implILS5_9ELb0ES3_jPlS8_PNS0_10empty_typeENS0_5tupleIJS8_S9_EEENSB_IJS8_SA_EEENS0_18inequality_wrapperIZN2at6native12_GLOBAL__N_124unique_dim_cuda_templateIlEESt5tupleIJNSF_6TensorESK_SK_EERKSK_lbbbEUlllE0_EEPmJS9_EEE10hipError_tPvRmT3_T4_T5_T6_T7_T9_mT8_P12ihipStream_tbDpT10_ENKUlT_T0_E_clISt17integral_constantIbLb0EES1A_EEDaS15_S16_EUlS15_E_NS1_11comp_targetILNS1_3genE8ELNS1_11target_archE1030ELNS1_3gpuE2ELNS1_3repE0EEENS1_30default_config_static_selectorELNS0_4arch9wavefront6targetE0EEEvT1_: ; @_ZN7rocprim17ROCPRIM_400000_NS6detail17trampoline_kernelINS0_14default_configENS1_25partition_config_selectorILNS1_17partition_subalgoE9EllbEEZZNS1_14partition_implILS5_9ELb0ES3_jPlS8_PNS0_10empty_typeENS0_5tupleIJS8_S9_EEENSB_IJS8_SA_EEENS0_18inequality_wrapperIZN2at6native12_GLOBAL__N_124unique_dim_cuda_templateIlEESt5tupleIJNSF_6TensorESK_SK_EERKSK_lbbbEUlllE0_EEPmJS9_EEE10hipError_tPvRmT3_T4_T5_T6_T7_T9_mT8_P12ihipStream_tbDpT10_ENKUlT_T0_E_clISt17integral_constantIbLb0EES1A_EEDaS15_S16_EUlS15_E_NS1_11comp_targetILNS1_3genE8ELNS1_11target_archE1030ELNS1_3gpuE2ELNS1_3repE0EEENS1_30default_config_static_selectorELNS0_4arch9wavefront6targetE0EEEvT1_
; %bb.0:
	.section	.rodata,"a",@progbits
	.p2align	6, 0x0
	.amdhsa_kernel _ZN7rocprim17ROCPRIM_400000_NS6detail17trampoline_kernelINS0_14default_configENS1_25partition_config_selectorILNS1_17partition_subalgoE9EllbEEZZNS1_14partition_implILS5_9ELb0ES3_jPlS8_PNS0_10empty_typeENS0_5tupleIJS8_S9_EEENSB_IJS8_SA_EEENS0_18inequality_wrapperIZN2at6native12_GLOBAL__N_124unique_dim_cuda_templateIlEESt5tupleIJNSF_6TensorESK_SK_EERKSK_lbbbEUlllE0_EEPmJS9_EEE10hipError_tPvRmT3_T4_T5_T6_T7_T9_mT8_P12ihipStream_tbDpT10_ENKUlT_T0_E_clISt17integral_constantIbLb0EES1A_EEDaS15_S16_EUlS15_E_NS1_11comp_targetILNS1_3genE8ELNS1_11target_archE1030ELNS1_3gpuE2ELNS1_3repE0EEENS1_30default_config_static_selectorELNS0_4arch9wavefront6targetE0EEEvT1_
		.amdhsa_group_segment_fixed_size 0
		.amdhsa_private_segment_fixed_size 0
		.amdhsa_kernarg_size 120
		.amdhsa_user_sgpr_count 15
		.amdhsa_user_sgpr_dispatch_ptr 0
		.amdhsa_user_sgpr_queue_ptr 0
		.amdhsa_user_sgpr_kernarg_segment_ptr 1
		.amdhsa_user_sgpr_dispatch_id 0
		.amdhsa_user_sgpr_private_segment_size 0
		.amdhsa_wavefront_size32 1
		.amdhsa_uses_dynamic_stack 0
		.amdhsa_enable_private_segment 0
		.amdhsa_system_sgpr_workgroup_id_x 1
		.amdhsa_system_sgpr_workgroup_id_y 0
		.amdhsa_system_sgpr_workgroup_id_z 0
		.amdhsa_system_sgpr_workgroup_info 0
		.amdhsa_system_vgpr_workitem_id 0
		.amdhsa_next_free_vgpr 1
		.amdhsa_next_free_sgpr 1
		.amdhsa_reserve_vcc 0
		.amdhsa_float_round_mode_32 0
		.amdhsa_float_round_mode_16_64 0
		.amdhsa_float_denorm_mode_32 3
		.amdhsa_float_denorm_mode_16_64 3
		.amdhsa_dx10_clamp 1
		.amdhsa_ieee_mode 1
		.amdhsa_fp16_overflow 0
		.amdhsa_workgroup_processor_mode 1
		.amdhsa_memory_ordered 1
		.amdhsa_forward_progress 0
		.amdhsa_shared_vgpr_count 0
		.amdhsa_exception_fp_ieee_invalid_op 0
		.amdhsa_exception_fp_denorm_src 0
		.amdhsa_exception_fp_ieee_div_zero 0
		.amdhsa_exception_fp_ieee_overflow 0
		.amdhsa_exception_fp_ieee_underflow 0
		.amdhsa_exception_fp_ieee_inexact 0
		.amdhsa_exception_int_div_zero 0
	.end_amdhsa_kernel
	.section	.text._ZN7rocprim17ROCPRIM_400000_NS6detail17trampoline_kernelINS0_14default_configENS1_25partition_config_selectorILNS1_17partition_subalgoE9EllbEEZZNS1_14partition_implILS5_9ELb0ES3_jPlS8_PNS0_10empty_typeENS0_5tupleIJS8_S9_EEENSB_IJS8_SA_EEENS0_18inequality_wrapperIZN2at6native12_GLOBAL__N_124unique_dim_cuda_templateIlEESt5tupleIJNSF_6TensorESK_SK_EERKSK_lbbbEUlllE0_EEPmJS9_EEE10hipError_tPvRmT3_T4_T5_T6_T7_T9_mT8_P12ihipStream_tbDpT10_ENKUlT_T0_E_clISt17integral_constantIbLb0EES1A_EEDaS15_S16_EUlS15_E_NS1_11comp_targetILNS1_3genE8ELNS1_11target_archE1030ELNS1_3gpuE2ELNS1_3repE0EEENS1_30default_config_static_selectorELNS0_4arch9wavefront6targetE0EEEvT1_,"axG",@progbits,_ZN7rocprim17ROCPRIM_400000_NS6detail17trampoline_kernelINS0_14default_configENS1_25partition_config_selectorILNS1_17partition_subalgoE9EllbEEZZNS1_14partition_implILS5_9ELb0ES3_jPlS8_PNS0_10empty_typeENS0_5tupleIJS8_S9_EEENSB_IJS8_SA_EEENS0_18inequality_wrapperIZN2at6native12_GLOBAL__N_124unique_dim_cuda_templateIlEESt5tupleIJNSF_6TensorESK_SK_EERKSK_lbbbEUlllE0_EEPmJS9_EEE10hipError_tPvRmT3_T4_T5_T6_T7_T9_mT8_P12ihipStream_tbDpT10_ENKUlT_T0_E_clISt17integral_constantIbLb0EES1A_EEDaS15_S16_EUlS15_E_NS1_11comp_targetILNS1_3genE8ELNS1_11target_archE1030ELNS1_3gpuE2ELNS1_3repE0EEENS1_30default_config_static_selectorELNS0_4arch9wavefront6targetE0EEEvT1_,comdat
.Lfunc_end602:
	.size	_ZN7rocprim17ROCPRIM_400000_NS6detail17trampoline_kernelINS0_14default_configENS1_25partition_config_selectorILNS1_17partition_subalgoE9EllbEEZZNS1_14partition_implILS5_9ELb0ES3_jPlS8_PNS0_10empty_typeENS0_5tupleIJS8_S9_EEENSB_IJS8_SA_EEENS0_18inequality_wrapperIZN2at6native12_GLOBAL__N_124unique_dim_cuda_templateIlEESt5tupleIJNSF_6TensorESK_SK_EERKSK_lbbbEUlllE0_EEPmJS9_EEE10hipError_tPvRmT3_T4_T5_T6_T7_T9_mT8_P12ihipStream_tbDpT10_ENKUlT_T0_E_clISt17integral_constantIbLb0EES1A_EEDaS15_S16_EUlS15_E_NS1_11comp_targetILNS1_3genE8ELNS1_11target_archE1030ELNS1_3gpuE2ELNS1_3repE0EEENS1_30default_config_static_selectorELNS0_4arch9wavefront6targetE0EEEvT1_, .Lfunc_end602-_ZN7rocprim17ROCPRIM_400000_NS6detail17trampoline_kernelINS0_14default_configENS1_25partition_config_selectorILNS1_17partition_subalgoE9EllbEEZZNS1_14partition_implILS5_9ELb0ES3_jPlS8_PNS0_10empty_typeENS0_5tupleIJS8_S9_EEENSB_IJS8_SA_EEENS0_18inequality_wrapperIZN2at6native12_GLOBAL__N_124unique_dim_cuda_templateIlEESt5tupleIJNSF_6TensorESK_SK_EERKSK_lbbbEUlllE0_EEPmJS9_EEE10hipError_tPvRmT3_T4_T5_T6_T7_T9_mT8_P12ihipStream_tbDpT10_ENKUlT_T0_E_clISt17integral_constantIbLb0EES1A_EEDaS15_S16_EUlS15_E_NS1_11comp_targetILNS1_3genE8ELNS1_11target_archE1030ELNS1_3gpuE2ELNS1_3repE0EEENS1_30default_config_static_selectorELNS0_4arch9wavefront6targetE0EEEvT1_
                                        ; -- End function
	.section	.AMDGPU.csdata,"",@progbits
; Kernel info:
; codeLenInByte = 0
; NumSgprs: 0
; NumVgprs: 0
; ScratchSize: 0
; MemoryBound: 0
; FloatMode: 240
; IeeeMode: 1
; LDSByteSize: 0 bytes/workgroup (compile time only)
; SGPRBlocks: 0
; VGPRBlocks: 0
; NumSGPRsForWavesPerEU: 1
; NumVGPRsForWavesPerEU: 1
; Occupancy: 16
; WaveLimiterHint : 0
; COMPUTE_PGM_RSRC2:SCRATCH_EN: 0
; COMPUTE_PGM_RSRC2:USER_SGPR: 15
; COMPUTE_PGM_RSRC2:TRAP_HANDLER: 0
; COMPUTE_PGM_RSRC2:TGID_X_EN: 1
; COMPUTE_PGM_RSRC2:TGID_Y_EN: 0
; COMPUTE_PGM_RSRC2:TGID_Z_EN: 0
; COMPUTE_PGM_RSRC2:TIDIG_COMP_CNT: 0
	.section	.text._ZN7rocprim17ROCPRIM_400000_NS6detail17trampoline_kernelINS0_14default_configENS1_25partition_config_selectorILNS1_17partition_subalgoE9EllbEEZZNS1_14partition_implILS5_9ELb0ES3_jPlS8_PNS0_10empty_typeENS0_5tupleIJS8_S9_EEENSB_IJS8_SA_EEENS0_18inequality_wrapperIZN2at6native12_GLOBAL__N_124unique_dim_cuda_templateIlEESt5tupleIJNSF_6TensorESK_SK_EERKSK_lbbbEUlllE0_EEPmJS9_EEE10hipError_tPvRmT3_T4_T5_T6_T7_T9_mT8_P12ihipStream_tbDpT10_ENKUlT_T0_E_clISt17integral_constantIbLb1EES1A_EEDaS15_S16_EUlS15_E_NS1_11comp_targetILNS1_3genE0ELNS1_11target_archE4294967295ELNS1_3gpuE0ELNS1_3repE0EEENS1_30default_config_static_selectorELNS0_4arch9wavefront6targetE0EEEvT1_,"axG",@progbits,_ZN7rocprim17ROCPRIM_400000_NS6detail17trampoline_kernelINS0_14default_configENS1_25partition_config_selectorILNS1_17partition_subalgoE9EllbEEZZNS1_14partition_implILS5_9ELb0ES3_jPlS8_PNS0_10empty_typeENS0_5tupleIJS8_S9_EEENSB_IJS8_SA_EEENS0_18inequality_wrapperIZN2at6native12_GLOBAL__N_124unique_dim_cuda_templateIlEESt5tupleIJNSF_6TensorESK_SK_EERKSK_lbbbEUlllE0_EEPmJS9_EEE10hipError_tPvRmT3_T4_T5_T6_T7_T9_mT8_P12ihipStream_tbDpT10_ENKUlT_T0_E_clISt17integral_constantIbLb1EES1A_EEDaS15_S16_EUlS15_E_NS1_11comp_targetILNS1_3genE0ELNS1_11target_archE4294967295ELNS1_3gpuE0ELNS1_3repE0EEENS1_30default_config_static_selectorELNS0_4arch9wavefront6targetE0EEEvT1_,comdat
	.globl	_ZN7rocprim17ROCPRIM_400000_NS6detail17trampoline_kernelINS0_14default_configENS1_25partition_config_selectorILNS1_17partition_subalgoE9EllbEEZZNS1_14partition_implILS5_9ELb0ES3_jPlS8_PNS0_10empty_typeENS0_5tupleIJS8_S9_EEENSB_IJS8_SA_EEENS0_18inequality_wrapperIZN2at6native12_GLOBAL__N_124unique_dim_cuda_templateIlEESt5tupleIJNSF_6TensorESK_SK_EERKSK_lbbbEUlllE0_EEPmJS9_EEE10hipError_tPvRmT3_T4_T5_T6_T7_T9_mT8_P12ihipStream_tbDpT10_ENKUlT_T0_E_clISt17integral_constantIbLb1EES1A_EEDaS15_S16_EUlS15_E_NS1_11comp_targetILNS1_3genE0ELNS1_11target_archE4294967295ELNS1_3gpuE0ELNS1_3repE0EEENS1_30default_config_static_selectorELNS0_4arch9wavefront6targetE0EEEvT1_ ; -- Begin function _ZN7rocprim17ROCPRIM_400000_NS6detail17trampoline_kernelINS0_14default_configENS1_25partition_config_selectorILNS1_17partition_subalgoE9EllbEEZZNS1_14partition_implILS5_9ELb0ES3_jPlS8_PNS0_10empty_typeENS0_5tupleIJS8_S9_EEENSB_IJS8_SA_EEENS0_18inequality_wrapperIZN2at6native12_GLOBAL__N_124unique_dim_cuda_templateIlEESt5tupleIJNSF_6TensorESK_SK_EERKSK_lbbbEUlllE0_EEPmJS9_EEE10hipError_tPvRmT3_T4_T5_T6_T7_T9_mT8_P12ihipStream_tbDpT10_ENKUlT_T0_E_clISt17integral_constantIbLb1EES1A_EEDaS15_S16_EUlS15_E_NS1_11comp_targetILNS1_3genE0ELNS1_11target_archE4294967295ELNS1_3gpuE0ELNS1_3repE0EEENS1_30default_config_static_selectorELNS0_4arch9wavefront6targetE0EEEvT1_
	.p2align	8
	.type	_ZN7rocprim17ROCPRIM_400000_NS6detail17trampoline_kernelINS0_14default_configENS1_25partition_config_selectorILNS1_17partition_subalgoE9EllbEEZZNS1_14partition_implILS5_9ELb0ES3_jPlS8_PNS0_10empty_typeENS0_5tupleIJS8_S9_EEENSB_IJS8_SA_EEENS0_18inequality_wrapperIZN2at6native12_GLOBAL__N_124unique_dim_cuda_templateIlEESt5tupleIJNSF_6TensorESK_SK_EERKSK_lbbbEUlllE0_EEPmJS9_EEE10hipError_tPvRmT3_T4_T5_T6_T7_T9_mT8_P12ihipStream_tbDpT10_ENKUlT_T0_E_clISt17integral_constantIbLb1EES1A_EEDaS15_S16_EUlS15_E_NS1_11comp_targetILNS1_3genE0ELNS1_11target_archE4294967295ELNS1_3gpuE0ELNS1_3repE0EEENS1_30default_config_static_selectorELNS0_4arch9wavefront6targetE0EEEvT1_,@function
_ZN7rocprim17ROCPRIM_400000_NS6detail17trampoline_kernelINS0_14default_configENS1_25partition_config_selectorILNS1_17partition_subalgoE9EllbEEZZNS1_14partition_implILS5_9ELb0ES3_jPlS8_PNS0_10empty_typeENS0_5tupleIJS8_S9_EEENSB_IJS8_SA_EEENS0_18inequality_wrapperIZN2at6native12_GLOBAL__N_124unique_dim_cuda_templateIlEESt5tupleIJNSF_6TensorESK_SK_EERKSK_lbbbEUlllE0_EEPmJS9_EEE10hipError_tPvRmT3_T4_T5_T6_T7_T9_mT8_P12ihipStream_tbDpT10_ENKUlT_T0_E_clISt17integral_constantIbLb1EES1A_EEDaS15_S16_EUlS15_E_NS1_11comp_targetILNS1_3genE0ELNS1_11target_archE4294967295ELNS1_3gpuE0ELNS1_3repE0EEENS1_30default_config_static_selectorELNS0_4arch9wavefront6targetE0EEEvT1_: ; @_ZN7rocprim17ROCPRIM_400000_NS6detail17trampoline_kernelINS0_14default_configENS1_25partition_config_selectorILNS1_17partition_subalgoE9EllbEEZZNS1_14partition_implILS5_9ELb0ES3_jPlS8_PNS0_10empty_typeENS0_5tupleIJS8_S9_EEENSB_IJS8_SA_EEENS0_18inequality_wrapperIZN2at6native12_GLOBAL__N_124unique_dim_cuda_templateIlEESt5tupleIJNSF_6TensorESK_SK_EERKSK_lbbbEUlllE0_EEPmJS9_EEE10hipError_tPvRmT3_T4_T5_T6_T7_T9_mT8_P12ihipStream_tbDpT10_ENKUlT_T0_E_clISt17integral_constantIbLb1EES1A_EEDaS15_S16_EUlS15_E_NS1_11comp_targetILNS1_3genE0ELNS1_11target_archE4294967295ELNS1_3gpuE0ELNS1_3repE0EEENS1_30default_config_static_selectorELNS0_4arch9wavefront6targetE0EEEvT1_
; %bb.0:
	.section	.rodata,"a",@progbits
	.p2align	6, 0x0
	.amdhsa_kernel _ZN7rocprim17ROCPRIM_400000_NS6detail17trampoline_kernelINS0_14default_configENS1_25partition_config_selectorILNS1_17partition_subalgoE9EllbEEZZNS1_14partition_implILS5_9ELb0ES3_jPlS8_PNS0_10empty_typeENS0_5tupleIJS8_S9_EEENSB_IJS8_SA_EEENS0_18inequality_wrapperIZN2at6native12_GLOBAL__N_124unique_dim_cuda_templateIlEESt5tupleIJNSF_6TensorESK_SK_EERKSK_lbbbEUlllE0_EEPmJS9_EEE10hipError_tPvRmT3_T4_T5_T6_T7_T9_mT8_P12ihipStream_tbDpT10_ENKUlT_T0_E_clISt17integral_constantIbLb1EES1A_EEDaS15_S16_EUlS15_E_NS1_11comp_targetILNS1_3genE0ELNS1_11target_archE4294967295ELNS1_3gpuE0ELNS1_3repE0EEENS1_30default_config_static_selectorELNS0_4arch9wavefront6targetE0EEEvT1_
		.amdhsa_group_segment_fixed_size 0
		.amdhsa_private_segment_fixed_size 0
		.amdhsa_kernarg_size 136
		.amdhsa_user_sgpr_count 15
		.amdhsa_user_sgpr_dispatch_ptr 0
		.amdhsa_user_sgpr_queue_ptr 0
		.amdhsa_user_sgpr_kernarg_segment_ptr 1
		.amdhsa_user_sgpr_dispatch_id 0
		.amdhsa_user_sgpr_private_segment_size 0
		.amdhsa_wavefront_size32 1
		.amdhsa_uses_dynamic_stack 0
		.amdhsa_enable_private_segment 0
		.amdhsa_system_sgpr_workgroup_id_x 1
		.amdhsa_system_sgpr_workgroup_id_y 0
		.amdhsa_system_sgpr_workgroup_id_z 0
		.amdhsa_system_sgpr_workgroup_info 0
		.amdhsa_system_vgpr_workitem_id 0
		.amdhsa_next_free_vgpr 1
		.amdhsa_next_free_sgpr 1
		.amdhsa_reserve_vcc 0
		.amdhsa_float_round_mode_32 0
		.amdhsa_float_round_mode_16_64 0
		.amdhsa_float_denorm_mode_32 3
		.amdhsa_float_denorm_mode_16_64 3
		.amdhsa_dx10_clamp 1
		.amdhsa_ieee_mode 1
		.amdhsa_fp16_overflow 0
		.amdhsa_workgroup_processor_mode 1
		.amdhsa_memory_ordered 1
		.amdhsa_forward_progress 0
		.amdhsa_shared_vgpr_count 0
		.amdhsa_exception_fp_ieee_invalid_op 0
		.amdhsa_exception_fp_denorm_src 0
		.amdhsa_exception_fp_ieee_div_zero 0
		.amdhsa_exception_fp_ieee_overflow 0
		.amdhsa_exception_fp_ieee_underflow 0
		.amdhsa_exception_fp_ieee_inexact 0
		.amdhsa_exception_int_div_zero 0
	.end_amdhsa_kernel
	.section	.text._ZN7rocprim17ROCPRIM_400000_NS6detail17trampoline_kernelINS0_14default_configENS1_25partition_config_selectorILNS1_17partition_subalgoE9EllbEEZZNS1_14partition_implILS5_9ELb0ES3_jPlS8_PNS0_10empty_typeENS0_5tupleIJS8_S9_EEENSB_IJS8_SA_EEENS0_18inequality_wrapperIZN2at6native12_GLOBAL__N_124unique_dim_cuda_templateIlEESt5tupleIJNSF_6TensorESK_SK_EERKSK_lbbbEUlllE0_EEPmJS9_EEE10hipError_tPvRmT3_T4_T5_T6_T7_T9_mT8_P12ihipStream_tbDpT10_ENKUlT_T0_E_clISt17integral_constantIbLb1EES1A_EEDaS15_S16_EUlS15_E_NS1_11comp_targetILNS1_3genE0ELNS1_11target_archE4294967295ELNS1_3gpuE0ELNS1_3repE0EEENS1_30default_config_static_selectorELNS0_4arch9wavefront6targetE0EEEvT1_,"axG",@progbits,_ZN7rocprim17ROCPRIM_400000_NS6detail17trampoline_kernelINS0_14default_configENS1_25partition_config_selectorILNS1_17partition_subalgoE9EllbEEZZNS1_14partition_implILS5_9ELb0ES3_jPlS8_PNS0_10empty_typeENS0_5tupleIJS8_S9_EEENSB_IJS8_SA_EEENS0_18inequality_wrapperIZN2at6native12_GLOBAL__N_124unique_dim_cuda_templateIlEESt5tupleIJNSF_6TensorESK_SK_EERKSK_lbbbEUlllE0_EEPmJS9_EEE10hipError_tPvRmT3_T4_T5_T6_T7_T9_mT8_P12ihipStream_tbDpT10_ENKUlT_T0_E_clISt17integral_constantIbLb1EES1A_EEDaS15_S16_EUlS15_E_NS1_11comp_targetILNS1_3genE0ELNS1_11target_archE4294967295ELNS1_3gpuE0ELNS1_3repE0EEENS1_30default_config_static_selectorELNS0_4arch9wavefront6targetE0EEEvT1_,comdat
.Lfunc_end603:
	.size	_ZN7rocprim17ROCPRIM_400000_NS6detail17trampoline_kernelINS0_14default_configENS1_25partition_config_selectorILNS1_17partition_subalgoE9EllbEEZZNS1_14partition_implILS5_9ELb0ES3_jPlS8_PNS0_10empty_typeENS0_5tupleIJS8_S9_EEENSB_IJS8_SA_EEENS0_18inequality_wrapperIZN2at6native12_GLOBAL__N_124unique_dim_cuda_templateIlEESt5tupleIJNSF_6TensorESK_SK_EERKSK_lbbbEUlllE0_EEPmJS9_EEE10hipError_tPvRmT3_T4_T5_T6_T7_T9_mT8_P12ihipStream_tbDpT10_ENKUlT_T0_E_clISt17integral_constantIbLb1EES1A_EEDaS15_S16_EUlS15_E_NS1_11comp_targetILNS1_3genE0ELNS1_11target_archE4294967295ELNS1_3gpuE0ELNS1_3repE0EEENS1_30default_config_static_selectorELNS0_4arch9wavefront6targetE0EEEvT1_, .Lfunc_end603-_ZN7rocprim17ROCPRIM_400000_NS6detail17trampoline_kernelINS0_14default_configENS1_25partition_config_selectorILNS1_17partition_subalgoE9EllbEEZZNS1_14partition_implILS5_9ELb0ES3_jPlS8_PNS0_10empty_typeENS0_5tupleIJS8_S9_EEENSB_IJS8_SA_EEENS0_18inequality_wrapperIZN2at6native12_GLOBAL__N_124unique_dim_cuda_templateIlEESt5tupleIJNSF_6TensorESK_SK_EERKSK_lbbbEUlllE0_EEPmJS9_EEE10hipError_tPvRmT3_T4_T5_T6_T7_T9_mT8_P12ihipStream_tbDpT10_ENKUlT_T0_E_clISt17integral_constantIbLb1EES1A_EEDaS15_S16_EUlS15_E_NS1_11comp_targetILNS1_3genE0ELNS1_11target_archE4294967295ELNS1_3gpuE0ELNS1_3repE0EEENS1_30default_config_static_selectorELNS0_4arch9wavefront6targetE0EEEvT1_
                                        ; -- End function
	.section	.AMDGPU.csdata,"",@progbits
; Kernel info:
; codeLenInByte = 0
; NumSgprs: 0
; NumVgprs: 0
; ScratchSize: 0
; MemoryBound: 0
; FloatMode: 240
; IeeeMode: 1
; LDSByteSize: 0 bytes/workgroup (compile time only)
; SGPRBlocks: 0
; VGPRBlocks: 0
; NumSGPRsForWavesPerEU: 1
; NumVGPRsForWavesPerEU: 1
; Occupancy: 16
; WaveLimiterHint : 0
; COMPUTE_PGM_RSRC2:SCRATCH_EN: 0
; COMPUTE_PGM_RSRC2:USER_SGPR: 15
; COMPUTE_PGM_RSRC2:TRAP_HANDLER: 0
; COMPUTE_PGM_RSRC2:TGID_X_EN: 1
; COMPUTE_PGM_RSRC2:TGID_Y_EN: 0
; COMPUTE_PGM_RSRC2:TGID_Z_EN: 0
; COMPUTE_PGM_RSRC2:TIDIG_COMP_CNT: 0
	.section	.text._ZN7rocprim17ROCPRIM_400000_NS6detail17trampoline_kernelINS0_14default_configENS1_25partition_config_selectorILNS1_17partition_subalgoE9EllbEEZZNS1_14partition_implILS5_9ELb0ES3_jPlS8_PNS0_10empty_typeENS0_5tupleIJS8_S9_EEENSB_IJS8_SA_EEENS0_18inequality_wrapperIZN2at6native12_GLOBAL__N_124unique_dim_cuda_templateIlEESt5tupleIJNSF_6TensorESK_SK_EERKSK_lbbbEUlllE0_EEPmJS9_EEE10hipError_tPvRmT3_T4_T5_T6_T7_T9_mT8_P12ihipStream_tbDpT10_ENKUlT_T0_E_clISt17integral_constantIbLb1EES1A_EEDaS15_S16_EUlS15_E_NS1_11comp_targetILNS1_3genE5ELNS1_11target_archE942ELNS1_3gpuE9ELNS1_3repE0EEENS1_30default_config_static_selectorELNS0_4arch9wavefront6targetE0EEEvT1_,"axG",@progbits,_ZN7rocprim17ROCPRIM_400000_NS6detail17trampoline_kernelINS0_14default_configENS1_25partition_config_selectorILNS1_17partition_subalgoE9EllbEEZZNS1_14partition_implILS5_9ELb0ES3_jPlS8_PNS0_10empty_typeENS0_5tupleIJS8_S9_EEENSB_IJS8_SA_EEENS0_18inequality_wrapperIZN2at6native12_GLOBAL__N_124unique_dim_cuda_templateIlEESt5tupleIJNSF_6TensorESK_SK_EERKSK_lbbbEUlllE0_EEPmJS9_EEE10hipError_tPvRmT3_T4_T5_T6_T7_T9_mT8_P12ihipStream_tbDpT10_ENKUlT_T0_E_clISt17integral_constantIbLb1EES1A_EEDaS15_S16_EUlS15_E_NS1_11comp_targetILNS1_3genE5ELNS1_11target_archE942ELNS1_3gpuE9ELNS1_3repE0EEENS1_30default_config_static_selectorELNS0_4arch9wavefront6targetE0EEEvT1_,comdat
	.globl	_ZN7rocprim17ROCPRIM_400000_NS6detail17trampoline_kernelINS0_14default_configENS1_25partition_config_selectorILNS1_17partition_subalgoE9EllbEEZZNS1_14partition_implILS5_9ELb0ES3_jPlS8_PNS0_10empty_typeENS0_5tupleIJS8_S9_EEENSB_IJS8_SA_EEENS0_18inequality_wrapperIZN2at6native12_GLOBAL__N_124unique_dim_cuda_templateIlEESt5tupleIJNSF_6TensorESK_SK_EERKSK_lbbbEUlllE0_EEPmJS9_EEE10hipError_tPvRmT3_T4_T5_T6_T7_T9_mT8_P12ihipStream_tbDpT10_ENKUlT_T0_E_clISt17integral_constantIbLb1EES1A_EEDaS15_S16_EUlS15_E_NS1_11comp_targetILNS1_3genE5ELNS1_11target_archE942ELNS1_3gpuE9ELNS1_3repE0EEENS1_30default_config_static_selectorELNS0_4arch9wavefront6targetE0EEEvT1_ ; -- Begin function _ZN7rocprim17ROCPRIM_400000_NS6detail17trampoline_kernelINS0_14default_configENS1_25partition_config_selectorILNS1_17partition_subalgoE9EllbEEZZNS1_14partition_implILS5_9ELb0ES3_jPlS8_PNS0_10empty_typeENS0_5tupleIJS8_S9_EEENSB_IJS8_SA_EEENS0_18inequality_wrapperIZN2at6native12_GLOBAL__N_124unique_dim_cuda_templateIlEESt5tupleIJNSF_6TensorESK_SK_EERKSK_lbbbEUlllE0_EEPmJS9_EEE10hipError_tPvRmT3_T4_T5_T6_T7_T9_mT8_P12ihipStream_tbDpT10_ENKUlT_T0_E_clISt17integral_constantIbLb1EES1A_EEDaS15_S16_EUlS15_E_NS1_11comp_targetILNS1_3genE5ELNS1_11target_archE942ELNS1_3gpuE9ELNS1_3repE0EEENS1_30default_config_static_selectorELNS0_4arch9wavefront6targetE0EEEvT1_
	.p2align	8
	.type	_ZN7rocprim17ROCPRIM_400000_NS6detail17trampoline_kernelINS0_14default_configENS1_25partition_config_selectorILNS1_17partition_subalgoE9EllbEEZZNS1_14partition_implILS5_9ELb0ES3_jPlS8_PNS0_10empty_typeENS0_5tupleIJS8_S9_EEENSB_IJS8_SA_EEENS0_18inequality_wrapperIZN2at6native12_GLOBAL__N_124unique_dim_cuda_templateIlEESt5tupleIJNSF_6TensorESK_SK_EERKSK_lbbbEUlllE0_EEPmJS9_EEE10hipError_tPvRmT3_T4_T5_T6_T7_T9_mT8_P12ihipStream_tbDpT10_ENKUlT_T0_E_clISt17integral_constantIbLb1EES1A_EEDaS15_S16_EUlS15_E_NS1_11comp_targetILNS1_3genE5ELNS1_11target_archE942ELNS1_3gpuE9ELNS1_3repE0EEENS1_30default_config_static_selectorELNS0_4arch9wavefront6targetE0EEEvT1_,@function
_ZN7rocprim17ROCPRIM_400000_NS6detail17trampoline_kernelINS0_14default_configENS1_25partition_config_selectorILNS1_17partition_subalgoE9EllbEEZZNS1_14partition_implILS5_9ELb0ES3_jPlS8_PNS0_10empty_typeENS0_5tupleIJS8_S9_EEENSB_IJS8_SA_EEENS0_18inequality_wrapperIZN2at6native12_GLOBAL__N_124unique_dim_cuda_templateIlEESt5tupleIJNSF_6TensorESK_SK_EERKSK_lbbbEUlllE0_EEPmJS9_EEE10hipError_tPvRmT3_T4_T5_T6_T7_T9_mT8_P12ihipStream_tbDpT10_ENKUlT_T0_E_clISt17integral_constantIbLb1EES1A_EEDaS15_S16_EUlS15_E_NS1_11comp_targetILNS1_3genE5ELNS1_11target_archE942ELNS1_3gpuE9ELNS1_3repE0EEENS1_30default_config_static_selectorELNS0_4arch9wavefront6targetE0EEEvT1_: ; @_ZN7rocprim17ROCPRIM_400000_NS6detail17trampoline_kernelINS0_14default_configENS1_25partition_config_selectorILNS1_17partition_subalgoE9EllbEEZZNS1_14partition_implILS5_9ELb0ES3_jPlS8_PNS0_10empty_typeENS0_5tupleIJS8_S9_EEENSB_IJS8_SA_EEENS0_18inequality_wrapperIZN2at6native12_GLOBAL__N_124unique_dim_cuda_templateIlEESt5tupleIJNSF_6TensorESK_SK_EERKSK_lbbbEUlllE0_EEPmJS9_EEE10hipError_tPvRmT3_T4_T5_T6_T7_T9_mT8_P12ihipStream_tbDpT10_ENKUlT_T0_E_clISt17integral_constantIbLb1EES1A_EEDaS15_S16_EUlS15_E_NS1_11comp_targetILNS1_3genE5ELNS1_11target_archE942ELNS1_3gpuE9ELNS1_3repE0EEENS1_30default_config_static_selectorELNS0_4arch9wavefront6targetE0EEEvT1_
; %bb.0:
	.section	.rodata,"a",@progbits
	.p2align	6, 0x0
	.amdhsa_kernel _ZN7rocprim17ROCPRIM_400000_NS6detail17trampoline_kernelINS0_14default_configENS1_25partition_config_selectorILNS1_17partition_subalgoE9EllbEEZZNS1_14partition_implILS5_9ELb0ES3_jPlS8_PNS0_10empty_typeENS0_5tupleIJS8_S9_EEENSB_IJS8_SA_EEENS0_18inequality_wrapperIZN2at6native12_GLOBAL__N_124unique_dim_cuda_templateIlEESt5tupleIJNSF_6TensorESK_SK_EERKSK_lbbbEUlllE0_EEPmJS9_EEE10hipError_tPvRmT3_T4_T5_T6_T7_T9_mT8_P12ihipStream_tbDpT10_ENKUlT_T0_E_clISt17integral_constantIbLb1EES1A_EEDaS15_S16_EUlS15_E_NS1_11comp_targetILNS1_3genE5ELNS1_11target_archE942ELNS1_3gpuE9ELNS1_3repE0EEENS1_30default_config_static_selectorELNS0_4arch9wavefront6targetE0EEEvT1_
		.amdhsa_group_segment_fixed_size 0
		.amdhsa_private_segment_fixed_size 0
		.amdhsa_kernarg_size 136
		.amdhsa_user_sgpr_count 15
		.amdhsa_user_sgpr_dispatch_ptr 0
		.amdhsa_user_sgpr_queue_ptr 0
		.amdhsa_user_sgpr_kernarg_segment_ptr 1
		.amdhsa_user_sgpr_dispatch_id 0
		.amdhsa_user_sgpr_private_segment_size 0
		.amdhsa_wavefront_size32 1
		.amdhsa_uses_dynamic_stack 0
		.amdhsa_enable_private_segment 0
		.amdhsa_system_sgpr_workgroup_id_x 1
		.amdhsa_system_sgpr_workgroup_id_y 0
		.amdhsa_system_sgpr_workgroup_id_z 0
		.amdhsa_system_sgpr_workgroup_info 0
		.amdhsa_system_vgpr_workitem_id 0
		.amdhsa_next_free_vgpr 1
		.amdhsa_next_free_sgpr 1
		.amdhsa_reserve_vcc 0
		.amdhsa_float_round_mode_32 0
		.amdhsa_float_round_mode_16_64 0
		.amdhsa_float_denorm_mode_32 3
		.amdhsa_float_denorm_mode_16_64 3
		.amdhsa_dx10_clamp 1
		.amdhsa_ieee_mode 1
		.amdhsa_fp16_overflow 0
		.amdhsa_workgroup_processor_mode 1
		.amdhsa_memory_ordered 1
		.amdhsa_forward_progress 0
		.amdhsa_shared_vgpr_count 0
		.amdhsa_exception_fp_ieee_invalid_op 0
		.amdhsa_exception_fp_denorm_src 0
		.amdhsa_exception_fp_ieee_div_zero 0
		.amdhsa_exception_fp_ieee_overflow 0
		.amdhsa_exception_fp_ieee_underflow 0
		.amdhsa_exception_fp_ieee_inexact 0
		.amdhsa_exception_int_div_zero 0
	.end_amdhsa_kernel
	.section	.text._ZN7rocprim17ROCPRIM_400000_NS6detail17trampoline_kernelINS0_14default_configENS1_25partition_config_selectorILNS1_17partition_subalgoE9EllbEEZZNS1_14partition_implILS5_9ELb0ES3_jPlS8_PNS0_10empty_typeENS0_5tupleIJS8_S9_EEENSB_IJS8_SA_EEENS0_18inequality_wrapperIZN2at6native12_GLOBAL__N_124unique_dim_cuda_templateIlEESt5tupleIJNSF_6TensorESK_SK_EERKSK_lbbbEUlllE0_EEPmJS9_EEE10hipError_tPvRmT3_T4_T5_T6_T7_T9_mT8_P12ihipStream_tbDpT10_ENKUlT_T0_E_clISt17integral_constantIbLb1EES1A_EEDaS15_S16_EUlS15_E_NS1_11comp_targetILNS1_3genE5ELNS1_11target_archE942ELNS1_3gpuE9ELNS1_3repE0EEENS1_30default_config_static_selectorELNS0_4arch9wavefront6targetE0EEEvT1_,"axG",@progbits,_ZN7rocprim17ROCPRIM_400000_NS6detail17trampoline_kernelINS0_14default_configENS1_25partition_config_selectorILNS1_17partition_subalgoE9EllbEEZZNS1_14partition_implILS5_9ELb0ES3_jPlS8_PNS0_10empty_typeENS0_5tupleIJS8_S9_EEENSB_IJS8_SA_EEENS0_18inequality_wrapperIZN2at6native12_GLOBAL__N_124unique_dim_cuda_templateIlEESt5tupleIJNSF_6TensorESK_SK_EERKSK_lbbbEUlllE0_EEPmJS9_EEE10hipError_tPvRmT3_T4_T5_T6_T7_T9_mT8_P12ihipStream_tbDpT10_ENKUlT_T0_E_clISt17integral_constantIbLb1EES1A_EEDaS15_S16_EUlS15_E_NS1_11comp_targetILNS1_3genE5ELNS1_11target_archE942ELNS1_3gpuE9ELNS1_3repE0EEENS1_30default_config_static_selectorELNS0_4arch9wavefront6targetE0EEEvT1_,comdat
.Lfunc_end604:
	.size	_ZN7rocprim17ROCPRIM_400000_NS6detail17trampoline_kernelINS0_14default_configENS1_25partition_config_selectorILNS1_17partition_subalgoE9EllbEEZZNS1_14partition_implILS5_9ELb0ES3_jPlS8_PNS0_10empty_typeENS0_5tupleIJS8_S9_EEENSB_IJS8_SA_EEENS0_18inequality_wrapperIZN2at6native12_GLOBAL__N_124unique_dim_cuda_templateIlEESt5tupleIJNSF_6TensorESK_SK_EERKSK_lbbbEUlllE0_EEPmJS9_EEE10hipError_tPvRmT3_T4_T5_T6_T7_T9_mT8_P12ihipStream_tbDpT10_ENKUlT_T0_E_clISt17integral_constantIbLb1EES1A_EEDaS15_S16_EUlS15_E_NS1_11comp_targetILNS1_3genE5ELNS1_11target_archE942ELNS1_3gpuE9ELNS1_3repE0EEENS1_30default_config_static_selectorELNS0_4arch9wavefront6targetE0EEEvT1_, .Lfunc_end604-_ZN7rocprim17ROCPRIM_400000_NS6detail17trampoline_kernelINS0_14default_configENS1_25partition_config_selectorILNS1_17partition_subalgoE9EllbEEZZNS1_14partition_implILS5_9ELb0ES3_jPlS8_PNS0_10empty_typeENS0_5tupleIJS8_S9_EEENSB_IJS8_SA_EEENS0_18inequality_wrapperIZN2at6native12_GLOBAL__N_124unique_dim_cuda_templateIlEESt5tupleIJNSF_6TensorESK_SK_EERKSK_lbbbEUlllE0_EEPmJS9_EEE10hipError_tPvRmT3_T4_T5_T6_T7_T9_mT8_P12ihipStream_tbDpT10_ENKUlT_T0_E_clISt17integral_constantIbLb1EES1A_EEDaS15_S16_EUlS15_E_NS1_11comp_targetILNS1_3genE5ELNS1_11target_archE942ELNS1_3gpuE9ELNS1_3repE0EEENS1_30default_config_static_selectorELNS0_4arch9wavefront6targetE0EEEvT1_
                                        ; -- End function
	.section	.AMDGPU.csdata,"",@progbits
; Kernel info:
; codeLenInByte = 0
; NumSgprs: 0
; NumVgprs: 0
; ScratchSize: 0
; MemoryBound: 0
; FloatMode: 240
; IeeeMode: 1
; LDSByteSize: 0 bytes/workgroup (compile time only)
; SGPRBlocks: 0
; VGPRBlocks: 0
; NumSGPRsForWavesPerEU: 1
; NumVGPRsForWavesPerEU: 1
; Occupancy: 16
; WaveLimiterHint : 0
; COMPUTE_PGM_RSRC2:SCRATCH_EN: 0
; COMPUTE_PGM_RSRC2:USER_SGPR: 15
; COMPUTE_PGM_RSRC2:TRAP_HANDLER: 0
; COMPUTE_PGM_RSRC2:TGID_X_EN: 1
; COMPUTE_PGM_RSRC2:TGID_Y_EN: 0
; COMPUTE_PGM_RSRC2:TGID_Z_EN: 0
; COMPUTE_PGM_RSRC2:TIDIG_COMP_CNT: 0
	.section	.text._ZN7rocprim17ROCPRIM_400000_NS6detail17trampoline_kernelINS0_14default_configENS1_25partition_config_selectorILNS1_17partition_subalgoE9EllbEEZZNS1_14partition_implILS5_9ELb0ES3_jPlS8_PNS0_10empty_typeENS0_5tupleIJS8_S9_EEENSB_IJS8_SA_EEENS0_18inequality_wrapperIZN2at6native12_GLOBAL__N_124unique_dim_cuda_templateIlEESt5tupleIJNSF_6TensorESK_SK_EERKSK_lbbbEUlllE0_EEPmJS9_EEE10hipError_tPvRmT3_T4_T5_T6_T7_T9_mT8_P12ihipStream_tbDpT10_ENKUlT_T0_E_clISt17integral_constantIbLb1EES1A_EEDaS15_S16_EUlS15_E_NS1_11comp_targetILNS1_3genE4ELNS1_11target_archE910ELNS1_3gpuE8ELNS1_3repE0EEENS1_30default_config_static_selectorELNS0_4arch9wavefront6targetE0EEEvT1_,"axG",@progbits,_ZN7rocprim17ROCPRIM_400000_NS6detail17trampoline_kernelINS0_14default_configENS1_25partition_config_selectorILNS1_17partition_subalgoE9EllbEEZZNS1_14partition_implILS5_9ELb0ES3_jPlS8_PNS0_10empty_typeENS0_5tupleIJS8_S9_EEENSB_IJS8_SA_EEENS0_18inequality_wrapperIZN2at6native12_GLOBAL__N_124unique_dim_cuda_templateIlEESt5tupleIJNSF_6TensorESK_SK_EERKSK_lbbbEUlllE0_EEPmJS9_EEE10hipError_tPvRmT3_T4_T5_T6_T7_T9_mT8_P12ihipStream_tbDpT10_ENKUlT_T0_E_clISt17integral_constantIbLb1EES1A_EEDaS15_S16_EUlS15_E_NS1_11comp_targetILNS1_3genE4ELNS1_11target_archE910ELNS1_3gpuE8ELNS1_3repE0EEENS1_30default_config_static_selectorELNS0_4arch9wavefront6targetE0EEEvT1_,comdat
	.globl	_ZN7rocprim17ROCPRIM_400000_NS6detail17trampoline_kernelINS0_14default_configENS1_25partition_config_selectorILNS1_17partition_subalgoE9EllbEEZZNS1_14partition_implILS5_9ELb0ES3_jPlS8_PNS0_10empty_typeENS0_5tupleIJS8_S9_EEENSB_IJS8_SA_EEENS0_18inequality_wrapperIZN2at6native12_GLOBAL__N_124unique_dim_cuda_templateIlEESt5tupleIJNSF_6TensorESK_SK_EERKSK_lbbbEUlllE0_EEPmJS9_EEE10hipError_tPvRmT3_T4_T5_T6_T7_T9_mT8_P12ihipStream_tbDpT10_ENKUlT_T0_E_clISt17integral_constantIbLb1EES1A_EEDaS15_S16_EUlS15_E_NS1_11comp_targetILNS1_3genE4ELNS1_11target_archE910ELNS1_3gpuE8ELNS1_3repE0EEENS1_30default_config_static_selectorELNS0_4arch9wavefront6targetE0EEEvT1_ ; -- Begin function _ZN7rocprim17ROCPRIM_400000_NS6detail17trampoline_kernelINS0_14default_configENS1_25partition_config_selectorILNS1_17partition_subalgoE9EllbEEZZNS1_14partition_implILS5_9ELb0ES3_jPlS8_PNS0_10empty_typeENS0_5tupleIJS8_S9_EEENSB_IJS8_SA_EEENS0_18inequality_wrapperIZN2at6native12_GLOBAL__N_124unique_dim_cuda_templateIlEESt5tupleIJNSF_6TensorESK_SK_EERKSK_lbbbEUlllE0_EEPmJS9_EEE10hipError_tPvRmT3_T4_T5_T6_T7_T9_mT8_P12ihipStream_tbDpT10_ENKUlT_T0_E_clISt17integral_constantIbLb1EES1A_EEDaS15_S16_EUlS15_E_NS1_11comp_targetILNS1_3genE4ELNS1_11target_archE910ELNS1_3gpuE8ELNS1_3repE0EEENS1_30default_config_static_selectorELNS0_4arch9wavefront6targetE0EEEvT1_
	.p2align	8
	.type	_ZN7rocprim17ROCPRIM_400000_NS6detail17trampoline_kernelINS0_14default_configENS1_25partition_config_selectorILNS1_17partition_subalgoE9EllbEEZZNS1_14partition_implILS5_9ELb0ES3_jPlS8_PNS0_10empty_typeENS0_5tupleIJS8_S9_EEENSB_IJS8_SA_EEENS0_18inequality_wrapperIZN2at6native12_GLOBAL__N_124unique_dim_cuda_templateIlEESt5tupleIJNSF_6TensorESK_SK_EERKSK_lbbbEUlllE0_EEPmJS9_EEE10hipError_tPvRmT3_T4_T5_T6_T7_T9_mT8_P12ihipStream_tbDpT10_ENKUlT_T0_E_clISt17integral_constantIbLb1EES1A_EEDaS15_S16_EUlS15_E_NS1_11comp_targetILNS1_3genE4ELNS1_11target_archE910ELNS1_3gpuE8ELNS1_3repE0EEENS1_30default_config_static_selectorELNS0_4arch9wavefront6targetE0EEEvT1_,@function
_ZN7rocprim17ROCPRIM_400000_NS6detail17trampoline_kernelINS0_14default_configENS1_25partition_config_selectorILNS1_17partition_subalgoE9EllbEEZZNS1_14partition_implILS5_9ELb0ES3_jPlS8_PNS0_10empty_typeENS0_5tupleIJS8_S9_EEENSB_IJS8_SA_EEENS0_18inequality_wrapperIZN2at6native12_GLOBAL__N_124unique_dim_cuda_templateIlEESt5tupleIJNSF_6TensorESK_SK_EERKSK_lbbbEUlllE0_EEPmJS9_EEE10hipError_tPvRmT3_T4_T5_T6_T7_T9_mT8_P12ihipStream_tbDpT10_ENKUlT_T0_E_clISt17integral_constantIbLb1EES1A_EEDaS15_S16_EUlS15_E_NS1_11comp_targetILNS1_3genE4ELNS1_11target_archE910ELNS1_3gpuE8ELNS1_3repE0EEENS1_30default_config_static_selectorELNS0_4arch9wavefront6targetE0EEEvT1_: ; @_ZN7rocprim17ROCPRIM_400000_NS6detail17trampoline_kernelINS0_14default_configENS1_25partition_config_selectorILNS1_17partition_subalgoE9EllbEEZZNS1_14partition_implILS5_9ELb0ES3_jPlS8_PNS0_10empty_typeENS0_5tupleIJS8_S9_EEENSB_IJS8_SA_EEENS0_18inequality_wrapperIZN2at6native12_GLOBAL__N_124unique_dim_cuda_templateIlEESt5tupleIJNSF_6TensorESK_SK_EERKSK_lbbbEUlllE0_EEPmJS9_EEE10hipError_tPvRmT3_T4_T5_T6_T7_T9_mT8_P12ihipStream_tbDpT10_ENKUlT_T0_E_clISt17integral_constantIbLb1EES1A_EEDaS15_S16_EUlS15_E_NS1_11comp_targetILNS1_3genE4ELNS1_11target_archE910ELNS1_3gpuE8ELNS1_3repE0EEENS1_30default_config_static_selectorELNS0_4arch9wavefront6targetE0EEEvT1_
; %bb.0:
	.section	.rodata,"a",@progbits
	.p2align	6, 0x0
	.amdhsa_kernel _ZN7rocprim17ROCPRIM_400000_NS6detail17trampoline_kernelINS0_14default_configENS1_25partition_config_selectorILNS1_17partition_subalgoE9EllbEEZZNS1_14partition_implILS5_9ELb0ES3_jPlS8_PNS0_10empty_typeENS0_5tupleIJS8_S9_EEENSB_IJS8_SA_EEENS0_18inequality_wrapperIZN2at6native12_GLOBAL__N_124unique_dim_cuda_templateIlEESt5tupleIJNSF_6TensorESK_SK_EERKSK_lbbbEUlllE0_EEPmJS9_EEE10hipError_tPvRmT3_T4_T5_T6_T7_T9_mT8_P12ihipStream_tbDpT10_ENKUlT_T0_E_clISt17integral_constantIbLb1EES1A_EEDaS15_S16_EUlS15_E_NS1_11comp_targetILNS1_3genE4ELNS1_11target_archE910ELNS1_3gpuE8ELNS1_3repE0EEENS1_30default_config_static_selectorELNS0_4arch9wavefront6targetE0EEEvT1_
		.amdhsa_group_segment_fixed_size 0
		.amdhsa_private_segment_fixed_size 0
		.amdhsa_kernarg_size 136
		.amdhsa_user_sgpr_count 15
		.amdhsa_user_sgpr_dispatch_ptr 0
		.amdhsa_user_sgpr_queue_ptr 0
		.amdhsa_user_sgpr_kernarg_segment_ptr 1
		.amdhsa_user_sgpr_dispatch_id 0
		.amdhsa_user_sgpr_private_segment_size 0
		.amdhsa_wavefront_size32 1
		.amdhsa_uses_dynamic_stack 0
		.amdhsa_enable_private_segment 0
		.amdhsa_system_sgpr_workgroup_id_x 1
		.amdhsa_system_sgpr_workgroup_id_y 0
		.amdhsa_system_sgpr_workgroup_id_z 0
		.amdhsa_system_sgpr_workgroup_info 0
		.amdhsa_system_vgpr_workitem_id 0
		.amdhsa_next_free_vgpr 1
		.amdhsa_next_free_sgpr 1
		.amdhsa_reserve_vcc 0
		.amdhsa_float_round_mode_32 0
		.amdhsa_float_round_mode_16_64 0
		.amdhsa_float_denorm_mode_32 3
		.amdhsa_float_denorm_mode_16_64 3
		.amdhsa_dx10_clamp 1
		.amdhsa_ieee_mode 1
		.amdhsa_fp16_overflow 0
		.amdhsa_workgroup_processor_mode 1
		.amdhsa_memory_ordered 1
		.amdhsa_forward_progress 0
		.amdhsa_shared_vgpr_count 0
		.amdhsa_exception_fp_ieee_invalid_op 0
		.amdhsa_exception_fp_denorm_src 0
		.amdhsa_exception_fp_ieee_div_zero 0
		.amdhsa_exception_fp_ieee_overflow 0
		.amdhsa_exception_fp_ieee_underflow 0
		.amdhsa_exception_fp_ieee_inexact 0
		.amdhsa_exception_int_div_zero 0
	.end_amdhsa_kernel
	.section	.text._ZN7rocprim17ROCPRIM_400000_NS6detail17trampoline_kernelINS0_14default_configENS1_25partition_config_selectorILNS1_17partition_subalgoE9EllbEEZZNS1_14partition_implILS5_9ELb0ES3_jPlS8_PNS0_10empty_typeENS0_5tupleIJS8_S9_EEENSB_IJS8_SA_EEENS0_18inequality_wrapperIZN2at6native12_GLOBAL__N_124unique_dim_cuda_templateIlEESt5tupleIJNSF_6TensorESK_SK_EERKSK_lbbbEUlllE0_EEPmJS9_EEE10hipError_tPvRmT3_T4_T5_T6_T7_T9_mT8_P12ihipStream_tbDpT10_ENKUlT_T0_E_clISt17integral_constantIbLb1EES1A_EEDaS15_S16_EUlS15_E_NS1_11comp_targetILNS1_3genE4ELNS1_11target_archE910ELNS1_3gpuE8ELNS1_3repE0EEENS1_30default_config_static_selectorELNS0_4arch9wavefront6targetE0EEEvT1_,"axG",@progbits,_ZN7rocprim17ROCPRIM_400000_NS6detail17trampoline_kernelINS0_14default_configENS1_25partition_config_selectorILNS1_17partition_subalgoE9EllbEEZZNS1_14partition_implILS5_9ELb0ES3_jPlS8_PNS0_10empty_typeENS0_5tupleIJS8_S9_EEENSB_IJS8_SA_EEENS0_18inequality_wrapperIZN2at6native12_GLOBAL__N_124unique_dim_cuda_templateIlEESt5tupleIJNSF_6TensorESK_SK_EERKSK_lbbbEUlllE0_EEPmJS9_EEE10hipError_tPvRmT3_T4_T5_T6_T7_T9_mT8_P12ihipStream_tbDpT10_ENKUlT_T0_E_clISt17integral_constantIbLb1EES1A_EEDaS15_S16_EUlS15_E_NS1_11comp_targetILNS1_3genE4ELNS1_11target_archE910ELNS1_3gpuE8ELNS1_3repE0EEENS1_30default_config_static_selectorELNS0_4arch9wavefront6targetE0EEEvT1_,comdat
.Lfunc_end605:
	.size	_ZN7rocprim17ROCPRIM_400000_NS6detail17trampoline_kernelINS0_14default_configENS1_25partition_config_selectorILNS1_17partition_subalgoE9EllbEEZZNS1_14partition_implILS5_9ELb0ES3_jPlS8_PNS0_10empty_typeENS0_5tupleIJS8_S9_EEENSB_IJS8_SA_EEENS0_18inequality_wrapperIZN2at6native12_GLOBAL__N_124unique_dim_cuda_templateIlEESt5tupleIJNSF_6TensorESK_SK_EERKSK_lbbbEUlllE0_EEPmJS9_EEE10hipError_tPvRmT3_T4_T5_T6_T7_T9_mT8_P12ihipStream_tbDpT10_ENKUlT_T0_E_clISt17integral_constantIbLb1EES1A_EEDaS15_S16_EUlS15_E_NS1_11comp_targetILNS1_3genE4ELNS1_11target_archE910ELNS1_3gpuE8ELNS1_3repE0EEENS1_30default_config_static_selectorELNS0_4arch9wavefront6targetE0EEEvT1_, .Lfunc_end605-_ZN7rocprim17ROCPRIM_400000_NS6detail17trampoline_kernelINS0_14default_configENS1_25partition_config_selectorILNS1_17partition_subalgoE9EllbEEZZNS1_14partition_implILS5_9ELb0ES3_jPlS8_PNS0_10empty_typeENS0_5tupleIJS8_S9_EEENSB_IJS8_SA_EEENS0_18inequality_wrapperIZN2at6native12_GLOBAL__N_124unique_dim_cuda_templateIlEESt5tupleIJNSF_6TensorESK_SK_EERKSK_lbbbEUlllE0_EEPmJS9_EEE10hipError_tPvRmT3_T4_T5_T6_T7_T9_mT8_P12ihipStream_tbDpT10_ENKUlT_T0_E_clISt17integral_constantIbLb1EES1A_EEDaS15_S16_EUlS15_E_NS1_11comp_targetILNS1_3genE4ELNS1_11target_archE910ELNS1_3gpuE8ELNS1_3repE0EEENS1_30default_config_static_selectorELNS0_4arch9wavefront6targetE0EEEvT1_
                                        ; -- End function
	.section	.AMDGPU.csdata,"",@progbits
; Kernel info:
; codeLenInByte = 0
; NumSgprs: 0
; NumVgprs: 0
; ScratchSize: 0
; MemoryBound: 0
; FloatMode: 240
; IeeeMode: 1
; LDSByteSize: 0 bytes/workgroup (compile time only)
; SGPRBlocks: 0
; VGPRBlocks: 0
; NumSGPRsForWavesPerEU: 1
; NumVGPRsForWavesPerEU: 1
; Occupancy: 16
; WaveLimiterHint : 0
; COMPUTE_PGM_RSRC2:SCRATCH_EN: 0
; COMPUTE_PGM_RSRC2:USER_SGPR: 15
; COMPUTE_PGM_RSRC2:TRAP_HANDLER: 0
; COMPUTE_PGM_RSRC2:TGID_X_EN: 1
; COMPUTE_PGM_RSRC2:TGID_Y_EN: 0
; COMPUTE_PGM_RSRC2:TGID_Z_EN: 0
; COMPUTE_PGM_RSRC2:TIDIG_COMP_CNT: 0
	.section	.text._ZN7rocprim17ROCPRIM_400000_NS6detail17trampoline_kernelINS0_14default_configENS1_25partition_config_selectorILNS1_17partition_subalgoE9EllbEEZZNS1_14partition_implILS5_9ELb0ES3_jPlS8_PNS0_10empty_typeENS0_5tupleIJS8_S9_EEENSB_IJS8_SA_EEENS0_18inequality_wrapperIZN2at6native12_GLOBAL__N_124unique_dim_cuda_templateIlEESt5tupleIJNSF_6TensorESK_SK_EERKSK_lbbbEUlllE0_EEPmJS9_EEE10hipError_tPvRmT3_T4_T5_T6_T7_T9_mT8_P12ihipStream_tbDpT10_ENKUlT_T0_E_clISt17integral_constantIbLb1EES1A_EEDaS15_S16_EUlS15_E_NS1_11comp_targetILNS1_3genE3ELNS1_11target_archE908ELNS1_3gpuE7ELNS1_3repE0EEENS1_30default_config_static_selectorELNS0_4arch9wavefront6targetE0EEEvT1_,"axG",@progbits,_ZN7rocprim17ROCPRIM_400000_NS6detail17trampoline_kernelINS0_14default_configENS1_25partition_config_selectorILNS1_17partition_subalgoE9EllbEEZZNS1_14partition_implILS5_9ELb0ES3_jPlS8_PNS0_10empty_typeENS0_5tupleIJS8_S9_EEENSB_IJS8_SA_EEENS0_18inequality_wrapperIZN2at6native12_GLOBAL__N_124unique_dim_cuda_templateIlEESt5tupleIJNSF_6TensorESK_SK_EERKSK_lbbbEUlllE0_EEPmJS9_EEE10hipError_tPvRmT3_T4_T5_T6_T7_T9_mT8_P12ihipStream_tbDpT10_ENKUlT_T0_E_clISt17integral_constantIbLb1EES1A_EEDaS15_S16_EUlS15_E_NS1_11comp_targetILNS1_3genE3ELNS1_11target_archE908ELNS1_3gpuE7ELNS1_3repE0EEENS1_30default_config_static_selectorELNS0_4arch9wavefront6targetE0EEEvT1_,comdat
	.globl	_ZN7rocprim17ROCPRIM_400000_NS6detail17trampoline_kernelINS0_14default_configENS1_25partition_config_selectorILNS1_17partition_subalgoE9EllbEEZZNS1_14partition_implILS5_9ELb0ES3_jPlS8_PNS0_10empty_typeENS0_5tupleIJS8_S9_EEENSB_IJS8_SA_EEENS0_18inequality_wrapperIZN2at6native12_GLOBAL__N_124unique_dim_cuda_templateIlEESt5tupleIJNSF_6TensorESK_SK_EERKSK_lbbbEUlllE0_EEPmJS9_EEE10hipError_tPvRmT3_T4_T5_T6_T7_T9_mT8_P12ihipStream_tbDpT10_ENKUlT_T0_E_clISt17integral_constantIbLb1EES1A_EEDaS15_S16_EUlS15_E_NS1_11comp_targetILNS1_3genE3ELNS1_11target_archE908ELNS1_3gpuE7ELNS1_3repE0EEENS1_30default_config_static_selectorELNS0_4arch9wavefront6targetE0EEEvT1_ ; -- Begin function _ZN7rocprim17ROCPRIM_400000_NS6detail17trampoline_kernelINS0_14default_configENS1_25partition_config_selectorILNS1_17partition_subalgoE9EllbEEZZNS1_14partition_implILS5_9ELb0ES3_jPlS8_PNS0_10empty_typeENS0_5tupleIJS8_S9_EEENSB_IJS8_SA_EEENS0_18inequality_wrapperIZN2at6native12_GLOBAL__N_124unique_dim_cuda_templateIlEESt5tupleIJNSF_6TensorESK_SK_EERKSK_lbbbEUlllE0_EEPmJS9_EEE10hipError_tPvRmT3_T4_T5_T6_T7_T9_mT8_P12ihipStream_tbDpT10_ENKUlT_T0_E_clISt17integral_constantIbLb1EES1A_EEDaS15_S16_EUlS15_E_NS1_11comp_targetILNS1_3genE3ELNS1_11target_archE908ELNS1_3gpuE7ELNS1_3repE0EEENS1_30default_config_static_selectorELNS0_4arch9wavefront6targetE0EEEvT1_
	.p2align	8
	.type	_ZN7rocprim17ROCPRIM_400000_NS6detail17trampoline_kernelINS0_14default_configENS1_25partition_config_selectorILNS1_17partition_subalgoE9EllbEEZZNS1_14partition_implILS5_9ELb0ES3_jPlS8_PNS0_10empty_typeENS0_5tupleIJS8_S9_EEENSB_IJS8_SA_EEENS0_18inequality_wrapperIZN2at6native12_GLOBAL__N_124unique_dim_cuda_templateIlEESt5tupleIJNSF_6TensorESK_SK_EERKSK_lbbbEUlllE0_EEPmJS9_EEE10hipError_tPvRmT3_T4_T5_T6_T7_T9_mT8_P12ihipStream_tbDpT10_ENKUlT_T0_E_clISt17integral_constantIbLb1EES1A_EEDaS15_S16_EUlS15_E_NS1_11comp_targetILNS1_3genE3ELNS1_11target_archE908ELNS1_3gpuE7ELNS1_3repE0EEENS1_30default_config_static_selectorELNS0_4arch9wavefront6targetE0EEEvT1_,@function
_ZN7rocprim17ROCPRIM_400000_NS6detail17trampoline_kernelINS0_14default_configENS1_25partition_config_selectorILNS1_17partition_subalgoE9EllbEEZZNS1_14partition_implILS5_9ELb0ES3_jPlS8_PNS0_10empty_typeENS0_5tupleIJS8_S9_EEENSB_IJS8_SA_EEENS0_18inequality_wrapperIZN2at6native12_GLOBAL__N_124unique_dim_cuda_templateIlEESt5tupleIJNSF_6TensorESK_SK_EERKSK_lbbbEUlllE0_EEPmJS9_EEE10hipError_tPvRmT3_T4_T5_T6_T7_T9_mT8_P12ihipStream_tbDpT10_ENKUlT_T0_E_clISt17integral_constantIbLb1EES1A_EEDaS15_S16_EUlS15_E_NS1_11comp_targetILNS1_3genE3ELNS1_11target_archE908ELNS1_3gpuE7ELNS1_3repE0EEENS1_30default_config_static_selectorELNS0_4arch9wavefront6targetE0EEEvT1_: ; @_ZN7rocprim17ROCPRIM_400000_NS6detail17trampoline_kernelINS0_14default_configENS1_25partition_config_selectorILNS1_17partition_subalgoE9EllbEEZZNS1_14partition_implILS5_9ELb0ES3_jPlS8_PNS0_10empty_typeENS0_5tupleIJS8_S9_EEENSB_IJS8_SA_EEENS0_18inequality_wrapperIZN2at6native12_GLOBAL__N_124unique_dim_cuda_templateIlEESt5tupleIJNSF_6TensorESK_SK_EERKSK_lbbbEUlllE0_EEPmJS9_EEE10hipError_tPvRmT3_T4_T5_T6_T7_T9_mT8_P12ihipStream_tbDpT10_ENKUlT_T0_E_clISt17integral_constantIbLb1EES1A_EEDaS15_S16_EUlS15_E_NS1_11comp_targetILNS1_3genE3ELNS1_11target_archE908ELNS1_3gpuE7ELNS1_3repE0EEENS1_30default_config_static_selectorELNS0_4arch9wavefront6targetE0EEEvT1_
; %bb.0:
	.section	.rodata,"a",@progbits
	.p2align	6, 0x0
	.amdhsa_kernel _ZN7rocprim17ROCPRIM_400000_NS6detail17trampoline_kernelINS0_14default_configENS1_25partition_config_selectorILNS1_17partition_subalgoE9EllbEEZZNS1_14partition_implILS5_9ELb0ES3_jPlS8_PNS0_10empty_typeENS0_5tupleIJS8_S9_EEENSB_IJS8_SA_EEENS0_18inequality_wrapperIZN2at6native12_GLOBAL__N_124unique_dim_cuda_templateIlEESt5tupleIJNSF_6TensorESK_SK_EERKSK_lbbbEUlllE0_EEPmJS9_EEE10hipError_tPvRmT3_T4_T5_T6_T7_T9_mT8_P12ihipStream_tbDpT10_ENKUlT_T0_E_clISt17integral_constantIbLb1EES1A_EEDaS15_S16_EUlS15_E_NS1_11comp_targetILNS1_3genE3ELNS1_11target_archE908ELNS1_3gpuE7ELNS1_3repE0EEENS1_30default_config_static_selectorELNS0_4arch9wavefront6targetE0EEEvT1_
		.amdhsa_group_segment_fixed_size 0
		.amdhsa_private_segment_fixed_size 0
		.amdhsa_kernarg_size 136
		.amdhsa_user_sgpr_count 15
		.amdhsa_user_sgpr_dispatch_ptr 0
		.amdhsa_user_sgpr_queue_ptr 0
		.amdhsa_user_sgpr_kernarg_segment_ptr 1
		.amdhsa_user_sgpr_dispatch_id 0
		.amdhsa_user_sgpr_private_segment_size 0
		.amdhsa_wavefront_size32 1
		.amdhsa_uses_dynamic_stack 0
		.amdhsa_enable_private_segment 0
		.amdhsa_system_sgpr_workgroup_id_x 1
		.amdhsa_system_sgpr_workgroup_id_y 0
		.amdhsa_system_sgpr_workgroup_id_z 0
		.amdhsa_system_sgpr_workgroup_info 0
		.amdhsa_system_vgpr_workitem_id 0
		.amdhsa_next_free_vgpr 1
		.amdhsa_next_free_sgpr 1
		.amdhsa_reserve_vcc 0
		.amdhsa_float_round_mode_32 0
		.amdhsa_float_round_mode_16_64 0
		.amdhsa_float_denorm_mode_32 3
		.amdhsa_float_denorm_mode_16_64 3
		.amdhsa_dx10_clamp 1
		.amdhsa_ieee_mode 1
		.amdhsa_fp16_overflow 0
		.amdhsa_workgroup_processor_mode 1
		.amdhsa_memory_ordered 1
		.amdhsa_forward_progress 0
		.amdhsa_shared_vgpr_count 0
		.amdhsa_exception_fp_ieee_invalid_op 0
		.amdhsa_exception_fp_denorm_src 0
		.amdhsa_exception_fp_ieee_div_zero 0
		.amdhsa_exception_fp_ieee_overflow 0
		.amdhsa_exception_fp_ieee_underflow 0
		.amdhsa_exception_fp_ieee_inexact 0
		.amdhsa_exception_int_div_zero 0
	.end_amdhsa_kernel
	.section	.text._ZN7rocprim17ROCPRIM_400000_NS6detail17trampoline_kernelINS0_14default_configENS1_25partition_config_selectorILNS1_17partition_subalgoE9EllbEEZZNS1_14partition_implILS5_9ELb0ES3_jPlS8_PNS0_10empty_typeENS0_5tupleIJS8_S9_EEENSB_IJS8_SA_EEENS0_18inequality_wrapperIZN2at6native12_GLOBAL__N_124unique_dim_cuda_templateIlEESt5tupleIJNSF_6TensorESK_SK_EERKSK_lbbbEUlllE0_EEPmJS9_EEE10hipError_tPvRmT3_T4_T5_T6_T7_T9_mT8_P12ihipStream_tbDpT10_ENKUlT_T0_E_clISt17integral_constantIbLb1EES1A_EEDaS15_S16_EUlS15_E_NS1_11comp_targetILNS1_3genE3ELNS1_11target_archE908ELNS1_3gpuE7ELNS1_3repE0EEENS1_30default_config_static_selectorELNS0_4arch9wavefront6targetE0EEEvT1_,"axG",@progbits,_ZN7rocprim17ROCPRIM_400000_NS6detail17trampoline_kernelINS0_14default_configENS1_25partition_config_selectorILNS1_17partition_subalgoE9EllbEEZZNS1_14partition_implILS5_9ELb0ES3_jPlS8_PNS0_10empty_typeENS0_5tupleIJS8_S9_EEENSB_IJS8_SA_EEENS0_18inequality_wrapperIZN2at6native12_GLOBAL__N_124unique_dim_cuda_templateIlEESt5tupleIJNSF_6TensorESK_SK_EERKSK_lbbbEUlllE0_EEPmJS9_EEE10hipError_tPvRmT3_T4_T5_T6_T7_T9_mT8_P12ihipStream_tbDpT10_ENKUlT_T0_E_clISt17integral_constantIbLb1EES1A_EEDaS15_S16_EUlS15_E_NS1_11comp_targetILNS1_3genE3ELNS1_11target_archE908ELNS1_3gpuE7ELNS1_3repE0EEENS1_30default_config_static_selectorELNS0_4arch9wavefront6targetE0EEEvT1_,comdat
.Lfunc_end606:
	.size	_ZN7rocprim17ROCPRIM_400000_NS6detail17trampoline_kernelINS0_14default_configENS1_25partition_config_selectorILNS1_17partition_subalgoE9EllbEEZZNS1_14partition_implILS5_9ELb0ES3_jPlS8_PNS0_10empty_typeENS0_5tupleIJS8_S9_EEENSB_IJS8_SA_EEENS0_18inequality_wrapperIZN2at6native12_GLOBAL__N_124unique_dim_cuda_templateIlEESt5tupleIJNSF_6TensorESK_SK_EERKSK_lbbbEUlllE0_EEPmJS9_EEE10hipError_tPvRmT3_T4_T5_T6_T7_T9_mT8_P12ihipStream_tbDpT10_ENKUlT_T0_E_clISt17integral_constantIbLb1EES1A_EEDaS15_S16_EUlS15_E_NS1_11comp_targetILNS1_3genE3ELNS1_11target_archE908ELNS1_3gpuE7ELNS1_3repE0EEENS1_30default_config_static_selectorELNS0_4arch9wavefront6targetE0EEEvT1_, .Lfunc_end606-_ZN7rocprim17ROCPRIM_400000_NS6detail17trampoline_kernelINS0_14default_configENS1_25partition_config_selectorILNS1_17partition_subalgoE9EllbEEZZNS1_14partition_implILS5_9ELb0ES3_jPlS8_PNS0_10empty_typeENS0_5tupleIJS8_S9_EEENSB_IJS8_SA_EEENS0_18inequality_wrapperIZN2at6native12_GLOBAL__N_124unique_dim_cuda_templateIlEESt5tupleIJNSF_6TensorESK_SK_EERKSK_lbbbEUlllE0_EEPmJS9_EEE10hipError_tPvRmT3_T4_T5_T6_T7_T9_mT8_P12ihipStream_tbDpT10_ENKUlT_T0_E_clISt17integral_constantIbLb1EES1A_EEDaS15_S16_EUlS15_E_NS1_11comp_targetILNS1_3genE3ELNS1_11target_archE908ELNS1_3gpuE7ELNS1_3repE0EEENS1_30default_config_static_selectorELNS0_4arch9wavefront6targetE0EEEvT1_
                                        ; -- End function
	.section	.AMDGPU.csdata,"",@progbits
; Kernel info:
; codeLenInByte = 0
; NumSgprs: 0
; NumVgprs: 0
; ScratchSize: 0
; MemoryBound: 0
; FloatMode: 240
; IeeeMode: 1
; LDSByteSize: 0 bytes/workgroup (compile time only)
; SGPRBlocks: 0
; VGPRBlocks: 0
; NumSGPRsForWavesPerEU: 1
; NumVGPRsForWavesPerEU: 1
; Occupancy: 16
; WaveLimiterHint : 0
; COMPUTE_PGM_RSRC2:SCRATCH_EN: 0
; COMPUTE_PGM_RSRC2:USER_SGPR: 15
; COMPUTE_PGM_RSRC2:TRAP_HANDLER: 0
; COMPUTE_PGM_RSRC2:TGID_X_EN: 1
; COMPUTE_PGM_RSRC2:TGID_Y_EN: 0
; COMPUTE_PGM_RSRC2:TGID_Z_EN: 0
; COMPUTE_PGM_RSRC2:TIDIG_COMP_CNT: 0
	.section	.text._ZN7rocprim17ROCPRIM_400000_NS6detail17trampoline_kernelINS0_14default_configENS1_25partition_config_selectorILNS1_17partition_subalgoE9EllbEEZZNS1_14partition_implILS5_9ELb0ES3_jPlS8_PNS0_10empty_typeENS0_5tupleIJS8_S9_EEENSB_IJS8_SA_EEENS0_18inequality_wrapperIZN2at6native12_GLOBAL__N_124unique_dim_cuda_templateIlEESt5tupleIJNSF_6TensorESK_SK_EERKSK_lbbbEUlllE0_EEPmJS9_EEE10hipError_tPvRmT3_T4_T5_T6_T7_T9_mT8_P12ihipStream_tbDpT10_ENKUlT_T0_E_clISt17integral_constantIbLb1EES1A_EEDaS15_S16_EUlS15_E_NS1_11comp_targetILNS1_3genE2ELNS1_11target_archE906ELNS1_3gpuE6ELNS1_3repE0EEENS1_30default_config_static_selectorELNS0_4arch9wavefront6targetE0EEEvT1_,"axG",@progbits,_ZN7rocprim17ROCPRIM_400000_NS6detail17trampoline_kernelINS0_14default_configENS1_25partition_config_selectorILNS1_17partition_subalgoE9EllbEEZZNS1_14partition_implILS5_9ELb0ES3_jPlS8_PNS0_10empty_typeENS0_5tupleIJS8_S9_EEENSB_IJS8_SA_EEENS0_18inequality_wrapperIZN2at6native12_GLOBAL__N_124unique_dim_cuda_templateIlEESt5tupleIJNSF_6TensorESK_SK_EERKSK_lbbbEUlllE0_EEPmJS9_EEE10hipError_tPvRmT3_T4_T5_T6_T7_T9_mT8_P12ihipStream_tbDpT10_ENKUlT_T0_E_clISt17integral_constantIbLb1EES1A_EEDaS15_S16_EUlS15_E_NS1_11comp_targetILNS1_3genE2ELNS1_11target_archE906ELNS1_3gpuE6ELNS1_3repE0EEENS1_30default_config_static_selectorELNS0_4arch9wavefront6targetE0EEEvT1_,comdat
	.globl	_ZN7rocprim17ROCPRIM_400000_NS6detail17trampoline_kernelINS0_14default_configENS1_25partition_config_selectorILNS1_17partition_subalgoE9EllbEEZZNS1_14partition_implILS5_9ELb0ES3_jPlS8_PNS0_10empty_typeENS0_5tupleIJS8_S9_EEENSB_IJS8_SA_EEENS0_18inequality_wrapperIZN2at6native12_GLOBAL__N_124unique_dim_cuda_templateIlEESt5tupleIJNSF_6TensorESK_SK_EERKSK_lbbbEUlllE0_EEPmJS9_EEE10hipError_tPvRmT3_T4_T5_T6_T7_T9_mT8_P12ihipStream_tbDpT10_ENKUlT_T0_E_clISt17integral_constantIbLb1EES1A_EEDaS15_S16_EUlS15_E_NS1_11comp_targetILNS1_3genE2ELNS1_11target_archE906ELNS1_3gpuE6ELNS1_3repE0EEENS1_30default_config_static_selectorELNS0_4arch9wavefront6targetE0EEEvT1_ ; -- Begin function _ZN7rocprim17ROCPRIM_400000_NS6detail17trampoline_kernelINS0_14default_configENS1_25partition_config_selectorILNS1_17partition_subalgoE9EllbEEZZNS1_14partition_implILS5_9ELb0ES3_jPlS8_PNS0_10empty_typeENS0_5tupleIJS8_S9_EEENSB_IJS8_SA_EEENS0_18inequality_wrapperIZN2at6native12_GLOBAL__N_124unique_dim_cuda_templateIlEESt5tupleIJNSF_6TensorESK_SK_EERKSK_lbbbEUlllE0_EEPmJS9_EEE10hipError_tPvRmT3_T4_T5_T6_T7_T9_mT8_P12ihipStream_tbDpT10_ENKUlT_T0_E_clISt17integral_constantIbLb1EES1A_EEDaS15_S16_EUlS15_E_NS1_11comp_targetILNS1_3genE2ELNS1_11target_archE906ELNS1_3gpuE6ELNS1_3repE0EEENS1_30default_config_static_selectorELNS0_4arch9wavefront6targetE0EEEvT1_
	.p2align	8
	.type	_ZN7rocprim17ROCPRIM_400000_NS6detail17trampoline_kernelINS0_14default_configENS1_25partition_config_selectorILNS1_17partition_subalgoE9EllbEEZZNS1_14partition_implILS5_9ELb0ES3_jPlS8_PNS0_10empty_typeENS0_5tupleIJS8_S9_EEENSB_IJS8_SA_EEENS0_18inequality_wrapperIZN2at6native12_GLOBAL__N_124unique_dim_cuda_templateIlEESt5tupleIJNSF_6TensorESK_SK_EERKSK_lbbbEUlllE0_EEPmJS9_EEE10hipError_tPvRmT3_T4_T5_T6_T7_T9_mT8_P12ihipStream_tbDpT10_ENKUlT_T0_E_clISt17integral_constantIbLb1EES1A_EEDaS15_S16_EUlS15_E_NS1_11comp_targetILNS1_3genE2ELNS1_11target_archE906ELNS1_3gpuE6ELNS1_3repE0EEENS1_30default_config_static_selectorELNS0_4arch9wavefront6targetE0EEEvT1_,@function
_ZN7rocprim17ROCPRIM_400000_NS6detail17trampoline_kernelINS0_14default_configENS1_25partition_config_selectorILNS1_17partition_subalgoE9EllbEEZZNS1_14partition_implILS5_9ELb0ES3_jPlS8_PNS0_10empty_typeENS0_5tupleIJS8_S9_EEENSB_IJS8_SA_EEENS0_18inequality_wrapperIZN2at6native12_GLOBAL__N_124unique_dim_cuda_templateIlEESt5tupleIJNSF_6TensorESK_SK_EERKSK_lbbbEUlllE0_EEPmJS9_EEE10hipError_tPvRmT3_T4_T5_T6_T7_T9_mT8_P12ihipStream_tbDpT10_ENKUlT_T0_E_clISt17integral_constantIbLb1EES1A_EEDaS15_S16_EUlS15_E_NS1_11comp_targetILNS1_3genE2ELNS1_11target_archE906ELNS1_3gpuE6ELNS1_3repE0EEENS1_30default_config_static_selectorELNS0_4arch9wavefront6targetE0EEEvT1_: ; @_ZN7rocprim17ROCPRIM_400000_NS6detail17trampoline_kernelINS0_14default_configENS1_25partition_config_selectorILNS1_17partition_subalgoE9EllbEEZZNS1_14partition_implILS5_9ELb0ES3_jPlS8_PNS0_10empty_typeENS0_5tupleIJS8_S9_EEENSB_IJS8_SA_EEENS0_18inequality_wrapperIZN2at6native12_GLOBAL__N_124unique_dim_cuda_templateIlEESt5tupleIJNSF_6TensorESK_SK_EERKSK_lbbbEUlllE0_EEPmJS9_EEE10hipError_tPvRmT3_T4_T5_T6_T7_T9_mT8_P12ihipStream_tbDpT10_ENKUlT_T0_E_clISt17integral_constantIbLb1EES1A_EEDaS15_S16_EUlS15_E_NS1_11comp_targetILNS1_3genE2ELNS1_11target_archE906ELNS1_3gpuE6ELNS1_3repE0EEENS1_30default_config_static_selectorELNS0_4arch9wavefront6targetE0EEEvT1_
; %bb.0:
	.section	.rodata,"a",@progbits
	.p2align	6, 0x0
	.amdhsa_kernel _ZN7rocprim17ROCPRIM_400000_NS6detail17trampoline_kernelINS0_14default_configENS1_25partition_config_selectorILNS1_17partition_subalgoE9EllbEEZZNS1_14partition_implILS5_9ELb0ES3_jPlS8_PNS0_10empty_typeENS0_5tupleIJS8_S9_EEENSB_IJS8_SA_EEENS0_18inequality_wrapperIZN2at6native12_GLOBAL__N_124unique_dim_cuda_templateIlEESt5tupleIJNSF_6TensorESK_SK_EERKSK_lbbbEUlllE0_EEPmJS9_EEE10hipError_tPvRmT3_T4_T5_T6_T7_T9_mT8_P12ihipStream_tbDpT10_ENKUlT_T0_E_clISt17integral_constantIbLb1EES1A_EEDaS15_S16_EUlS15_E_NS1_11comp_targetILNS1_3genE2ELNS1_11target_archE906ELNS1_3gpuE6ELNS1_3repE0EEENS1_30default_config_static_selectorELNS0_4arch9wavefront6targetE0EEEvT1_
		.amdhsa_group_segment_fixed_size 0
		.amdhsa_private_segment_fixed_size 0
		.amdhsa_kernarg_size 136
		.amdhsa_user_sgpr_count 15
		.amdhsa_user_sgpr_dispatch_ptr 0
		.amdhsa_user_sgpr_queue_ptr 0
		.amdhsa_user_sgpr_kernarg_segment_ptr 1
		.amdhsa_user_sgpr_dispatch_id 0
		.amdhsa_user_sgpr_private_segment_size 0
		.amdhsa_wavefront_size32 1
		.amdhsa_uses_dynamic_stack 0
		.amdhsa_enable_private_segment 0
		.amdhsa_system_sgpr_workgroup_id_x 1
		.amdhsa_system_sgpr_workgroup_id_y 0
		.amdhsa_system_sgpr_workgroup_id_z 0
		.amdhsa_system_sgpr_workgroup_info 0
		.amdhsa_system_vgpr_workitem_id 0
		.amdhsa_next_free_vgpr 1
		.amdhsa_next_free_sgpr 1
		.amdhsa_reserve_vcc 0
		.amdhsa_float_round_mode_32 0
		.amdhsa_float_round_mode_16_64 0
		.amdhsa_float_denorm_mode_32 3
		.amdhsa_float_denorm_mode_16_64 3
		.amdhsa_dx10_clamp 1
		.amdhsa_ieee_mode 1
		.amdhsa_fp16_overflow 0
		.amdhsa_workgroup_processor_mode 1
		.amdhsa_memory_ordered 1
		.amdhsa_forward_progress 0
		.amdhsa_shared_vgpr_count 0
		.amdhsa_exception_fp_ieee_invalid_op 0
		.amdhsa_exception_fp_denorm_src 0
		.amdhsa_exception_fp_ieee_div_zero 0
		.amdhsa_exception_fp_ieee_overflow 0
		.amdhsa_exception_fp_ieee_underflow 0
		.amdhsa_exception_fp_ieee_inexact 0
		.amdhsa_exception_int_div_zero 0
	.end_amdhsa_kernel
	.section	.text._ZN7rocprim17ROCPRIM_400000_NS6detail17trampoline_kernelINS0_14default_configENS1_25partition_config_selectorILNS1_17partition_subalgoE9EllbEEZZNS1_14partition_implILS5_9ELb0ES3_jPlS8_PNS0_10empty_typeENS0_5tupleIJS8_S9_EEENSB_IJS8_SA_EEENS0_18inequality_wrapperIZN2at6native12_GLOBAL__N_124unique_dim_cuda_templateIlEESt5tupleIJNSF_6TensorESK_SK_EERKSK_lbbbEUlllE0_EEPmJS9_EEE10hipError_tPvRmT3_T4_T5_T6_T7_T9_mT8_P12ihipStream_tbDpT10_ENKUlT_T0_E_clISt17integral_constantIbLb1EES1A_EEDaS15_S16_EUlS15_E_NS1_11comp_targetILNS1_3genE2ELNS1_11target_archE906ELNS1_3gpuE6ELNS1_3repE0EEENS1_30default_config_static_selectorELNS0_4arch9wavefront6targetE0EEEvT1_,"axG",@progbits,_ZN7rocprim17ROCPRIM_400000_NS6detail17trampoline_kernelINS0_14default_configENS1_25partition_config_selectorILNS1_17partition_subalgoE9EllbEEZZNS1_14partition_implILS5_9ELb0ES3_jPlS8_PNS0_10empty_typeENS0_5tupleIJS8_S9_EEENSB_IJS8_SA_EEENS0_18inequality_wrapperIZN2at6native12_GLOBAL__N_124unique_dim_cuda_templateIlEESt5tupleIJNSF_6TensorESK_SK_EERKSK_lbbbEUlllE0_EEPmJS9_EEE10hipError_tPvRmT3_T4_T5_T6_T7_T9_mT8_P12ihipStream_tbDpT10_ENKUlT_T0_E_clISt17integral_constantIbLb1EES1A_EEDaS15_S16_EUlS15_E_NS1_11comp_targetILNS1_3genE2ELNS1_11target_archE906ELNS1_3gpuE6ELNS1_3repE0EEENS1_30default_config_static_selectorELNS0_4arch9wavefront6targetE0EEEvT1_,comdat
.Lfunc_end607:
	.size	_ZN7rocprim17ROCPRIM_400000_NS6detail17trampoline_kernelINS0_14default_configENS1_25partition_config_selectorILNS1_17partition_subalgoE9EllbEEZZNS1_14partition_implILS5_9ELb0ES3_jPlS8_PNS0_10empty_typeENS0_5tupleIJS8_S9_EEENSB_IJS8_SA_EEENS0_18inequality_wrapperIZN2at6native12_GLOBAL__N_124unique_dim_cuda_templateIlEESt5tupleIJNSF_6TensorESK_SK_EERKSK_lbbbEUlllE0_EEPmJS9_EEE10hipError_tPvRmT3_T4_T5_T6_T7_T9_mT8_P12ihipStream_tbDpT10_ENKUlT_T0_E_clISt17integral_constantIbLb1EES1A_EEDaS15_S16_EUlS15_E_NS1_11comp_targetILNS1_3genE2ELNS1_11target_archE906ELNS1_3gpuE6ELNS1_3repE0EEENS1_30default_config_static_selectorELNS0_4arch9wavefront6targetE0EEEvT1_, .Lfunc_end607-_ZN7rocprim17ROCPRIM_400000_NS6detail17trampoline_kernelINS0_14default_configENS1_25partition_config_selectorILNS1_17partition_subalgoE9EllbEEZZNS1_14partition_implILS5_9ELb0ES3_jPlS8_PNS0_10empty_typeENS0_5tupleIJS8_S9_EEENSB_IJS8_SA_EEENS0_18inequality_wrapperIZN2at6native12_GLOBAL__N_124unique_dim_cuda_templateIlEESt5tupleIJNSF_6TensorESK_SK_EERKSK_lbbbEUlllE0_EEPmJS9_EEE10hipError_tPvRmT3_T4_T5_T6_T7_T9_mT8_P12ihipStream_tbDpT10_ENKUlT_T0_E_clISt17integral_constantIbLb1EES1A_EEDaS15_S16_EUlS15_E_NS1_11comp_targetILNS1_3genE2ELNS1_11target_archE906ELNS1_3gpuE6ELNS1_3repE0EEENS1_30default_config_static_selectorELNS0_4arch9wavefront6targetE0EEEvT1_
                                        ; -- End function
	.section	.AMDGPU.csdata,"",@progbits
; Kernel info:
; codeLenInByte = 0
; NumSgprs: 0
; NumVgprs: 0
; ScratchSize: 0
; MemoryBound: 0
; FloatMode: 240
; IeeeMode: 1
; LDSByteSize: 0 bytes/workgroup (compile time only)
; SGPRBlocks: 0
; VGPRBlocks: 0
; NumSGPRsForWavesPerEU: 1
; NumVGPRsForWavesPerEU: 1
; Occupancy: 15
; WaveLimiterHint : 0
; COMPUTE_PGM_RSRC2:SCRATCH_EN: 0
; COMPUTE_PGM_RSRC2:USER_SGPR: 15
; COMPUTE_PGM_RSRC2:TRAP_HANDLER: 0
; COMPUTE_PGM_RSRC2:TGID_X_EN: 1
; COMPUTE_PGM_RSRC2:TGID_Y_EN: 0
; COMPUTE_PGM_RSRC2:TGID_Z_EN: 0
; COMPUTE_PGM_RSRC2:TIDIG_COMP_CNT: 0
	.section	.text._ZN7rocprim17ROCPRIM_400000_NS6detail17trampoline_kernelINS0_14default_configENS1_25partition_config_selectorILNS1_17partition_subalgoE9EllbEEZZNS1_14partition_implILS5_9ELb0ES3_jPlS8_PNS0_10empty_typeENS0_5tupleIJS8_S9_EEENSB_IJS8_SA_EEENS0_18inequality_wrapperIZN2at6native12_GLOBAL__N_124unique_dim_cuda_templateIlEESt5tupleIJNSF_6TensorESK_SK_EERKSK_lbbbEUlllE0_EEPmJS9_EEE10hipError_tPvRmT3_T4_T5_T6_T7_T9_mT8_P12ihipStream_tbDpT10_ENKUlT_T0_E_clISt17integral_constantIbLb1EES1A_EEDaS15_S16_EUlS15_E_NS1_11comp_targetILNS1_3genE10ELNS1_11target_archE1200ELNS1_3gpuE4ELNS1_3repE0EEENS1_30default_config_static_selectorELNS0_4arch9wavefront6targetE0EEEvT1_,"axG",@progbits,_ZN7rocprim17ROCPRIM_400000_NS6detail17trampoline_kernelINS0_14default_configENS1_25partition_config_selectorILNS1_17partition_subalgoE9EllbEEZZNS1_14partition_implILS5_9ELb0ES3_jPlS8_PNS0_10empty_typeENS0_5tupleIJS8_S9_EEENSB_IJS8_SA_EEENS0_18inequality_wrapperIZN2at6native12_GLOBAL__N_124unique_dim_cuda_templateIlEESt5tupleIJNSF_6TensorESK_SK_EERKSK_lbbbEUlllE0_EEPmJS9_EEE10hipError_tPvRmT3_T4_T5_T6_T7_T9_mT8_P12ihipStream_tbDpT10_ENKUlT_T0_E_clISt17integral_constantIbLb1EES1A_EEDaS15_S16_EUlS15_E_NS1_11comp_targetILNS1_3genE10ELNS1_11target_archE1200ELNS1_3gpuE4ELNS1_3repE0EEENS1_30default_config_static_selectorELNS0_4arch9wavefront6targetE0EEEvT1_,comdat
	.globl	_ZN7rocprim17ROCPRIM_400000_NS6detail17trampoline_kernelINS0_14default_configENS1_25partition_config_selectorILNS1_17partition_subalgoE9EllbEEZZNS1_14partition_implILS5_9ELb0ES3_jPlS8_PNS0_10empty_typeENS0_5tupleIJS8_S9_EEENSB_IJS8_SA_EEENS0_18inequality_wrapperIZN2at6native12_GLOBAL__N_124unique_dim_cuda_templateIlEESt5tupleIJNSF_6TensorESK_SK_EERKSK_lbbbEUlllE0_EEPmJS9_EEE10hipError_tPvRmT3_T4_T5_T6_T7_T9_mT8_P12ihipStream_tbDpT10_ENKUlT_T0_E_clISt17integral_constantIbLb1EES1A_EEDaS15_S16_EUlS15_E_NS1_11comp_targetILNS1_3genE10ELNS1_11target_archE1200ELNS1_3gpuE4ELNS1_3repE0EEENS1_30default_config_static_selectorELNS0_4arch9wavefront6targetE0EEEvT1_ ; -- Begin function _ZN7rocprim17ROCPRIM_400000_NS6detail17trampoline_kernelINS0_14default_configENS1_25partition_config_selectorILNS1_17partition_subalgoE9EllbEEZZNS1_14partition_implILS5_9ELb0ES3_jPlS8_PNS0_10empty_typeENS0_5tupleIJS8_S9_EEENSB_IJS8_SA_EEENS0_18inequality_wrapperIZN2at6native12_GLOBAL__N_124unique_dim_cuda_templateIlEESt5tupleIJNSF_6TensorESK_SK_EERKSK_lbbbEUlllE0_EEPmJS9_EEE10hipError_tPvRmT3_T4_T5_T6_T7_T9_mT8_P12ihipStream_tbDpT10_ENKUlT_T0_E_clISt17integral_constantIbLb1EES1A_EEDaS15_S16_EUlS15_E_NS1_11comp_targetILNS1_3genE10ELNS1_11target_archE1200ELNS1_3gpuE4ELNS1_3repE0EEENS1_30default_config_static_selectorELNS0_4arch9wavefront6targetE0EEEvT1_
	.p2align	8
	.type	_ZN7rocprim17ROCPRIM_400000_NS6detail17trampoline_kernelINS0_14default_configENS1_25partition_config_selectorILNS1_17partition_subalgoE9EllbEEZZNS1_14partition_implILS5_9ELb0ES3_jPlS8_PNS0_10empty_typeENS0_5tupleIJS8_S9_EEENSB_IJS8_SA_EEENS0_18inequality_wrapperIZN2at6native12_GLOBAL__N_124unique_dim_cuda_templateIlEESt5tupleIJNSF_6TensorESK_SK_EERKSK_lbbbEUlllE0_EEPmJS9_EEE10hipError_tPvRmT3_T4_T5_T6_T7_T9_mT8_P12ihipStream_tbDpT10_ENKUlT_T0_E_clISt17integral_constantIbLb1EES1A_EEDaS15_S16_EUlS15_E_NS1_11comp_targetILNS1_3genE10ELNS1_11target_archE1200ELNS1_3gpuE4ELNS1_3repE0EEENS1_30default_config_static_selectorELNS0_4arch9wavefront6targetE0EEEvT1_,@function
_ZN7rocprim17ROCPRIM_400000_NS6detail17trampoline_kernelINS0_14default_configENS1_25partition_config_selectorILNS1_17partition_subalgoE9EllbEEZZNS1_14partition_implILS5_9ELb0ES3_jPlS8_PNS0_10empty_typeENS0_5tupleIJS8_S9_EEENSB_IJS8_SA_EEENS0_18inequality_wrapperIZN2at6native12_GLOBAL__N_124unique_dim_cuda_templateIlEESt5tupleIJNSF_6TensorESK_SK_EERKSK_lbbbEUlllE0_EEPmJS9_EEE10hipError_tPvRmT3_T4_T5_T6_T7_T9_mT8_P12ihipStream_tbDpT10_ENKUlT_T0_E_clISt17integral_constantIbLb1EES1A_EEDaS15_S16_EUlS15_E_NS1_11comp_targetILNS1_3genE10ELNS1_11target_archE1200ELNS1_3gpuE4ELNS1_3repE0EEENS1_30default_config_static_selectorELNS0_4arch9wavefront6targetE0EEEvT1_: ; @_ZN7rocprim17ROCPRIM_400000_NS6detail17trampoline_kernelINS0_14default_configENS1_25partition_config_selectorILNS1_17partition_subalgoE9EllbEEZZNS1_14partition_implILS5_9ELb0ES3_jPlS8_PNS0_10empty_typeENS0_5tupleIJS8_S9_EEENSB_IJS8_SA_EEENS0_18inequality_wrapperIZN2at6native12_GLOBAL__N_124unique_dim_cuda_templateIlEESt5tupleIJNSF_6TensorESK_SK_EERKSK_lbbbEUlllE0_EEPmJS9_EEE10hipError_tPvRmT3_T4_T5_T6_T7_T9_mT8_P12ihipStream_tbDpT10_ENKUlT_T0_E_clISt17integral_constantIbLb1EES1A_EEDaS15_S16_EUlS15_E_NS1_11comp_targetILNS1_3genE10ELNS1_11target_archE1200ELNS1_3gpuE4ELNS1_3repE0EEENS1_30default_config_static_selectorELNS0_4arch9wavefront6targetE0EEEvT1_
; %bb.0:
	.section	.rodata,"a",@progbits
	.p2align	6, 0x0
	.amdhsa_kernel _ZN7rocprim17ROCPRIM_400000_NS6detail17trampoline_kernelINS0_14default_configENS1_25partition_config_selectorILNS1_17partition_subalgoE9EllbEEZZNS1_14partition_implILS5_9ELb0ES3_jPlS8_PNS0_10empty_typeENS0_5tupleIJS8_S9_EEENSB_IJS8_SA_EEENS0_18inequality_wrapperIZN2at6native12_GLOBAL__N_124unique_dim_cuda_templateIlEESt5tupleIJNSF_6TensorESK_SK_EERKSK_lbbbEUlllE0_EEPmJS9_EEE10hipError_tPvRmT3_T4_T5_T6_T7_T9_mT8_P12ihipStream_tbDpT10_ENKUlT_T0_E_clISt17integral_constantIbLb1EES1A_EEDaS15_S16_EUlS15_E_NS1_11comp_targetILNS1_3genE10ELNS1_11target_archE1200ELNS1_3gpuE4ELNS1_3repE0EEENS1_30default_config_static_selectorELNS0_4arch9wavefront6targetE0EEEvT1_
		.amdhsa_group_segment_fixed_size 0
		.amdhsa_private_segment_fixed_size 0
		.amdhsa_kernarg_size 136
		.amdhsa_user_sgpr_count 15
		.amdhsa_user_sgpr_dispatch_ptr 0
		.amdhsa_user_sgpr_queue_ptr 0
		.amdhsa_user_sgpr_kernarg_segment_ptr 1
		.amdhsa_user_sgpr_dispatch_id 0
		.amdhsa_user_sgpr_private_segment_size 0
		.amdhsa_wavefront_size32 1
		.amdhsa_uses_dynamic_stack 0
		.amdhsa_enable_private_segment 0
		.amdhsa_system_sgpr_workgroup_id_x 1
		.amdhsa_system_sgpr_workgroup_id_y 0
		.amdhsa_system_sgpr_workgroup_id_z 0
		.amdhsa_system_sgpr_workgroup_info 0
		.amdhsa_system_vgpr_workitem_id 0
		.amdhsa_next_free_vgpr 1
		.amdhsa_next_free_sgpr 1
		.amdhsa_reserve_vcc 0
		.amdhsa_float_round_mode_32 0
		.amdhsa_float_round_mode_16_64 0
		.amdhsa_float_denorm_mode_32 3
		.amdhsa_float_denorm_mode_16_64 3
		.amdhsa_dx10_clamp 1
		.amdhsa_ieee_mode 1
		.amdhsa_fp16_overflow 0
		.amdhsa_workgroup_processor_mode 1
		.amdhsa_memory_ordered 1
		.amdhsa_forward_progress 0
		.amdhsa_shared_vgpr_count 0
		.amdhsa_exception_fp_ieee_invalid_op 0
		.amdhsa_exception_fp_denorm_src 0
		.amdhsa_exception_fp_ieee_div_zero 0
		.amdhsa_exception_fp_ieee_overflow 0
		.amdhsa_exception_fp_ieee_underflow 0
		.amdhsa_exception_fp_ieee_inexact 0
		.amdhsa_exception_int_div_zero 0
	.end_amdhsa_kernel
	.section	.text._ZN7rocprim17ROCPRIM_400000_NS6detail17trampoline_kernelINS0_14default_configENS1_25partition_config_selectorILNS1_17partition_subalgoE9EllbEEZZNS1_14partition_implILS5_9ELb0ES3_jPlS8_PNS0_10empty_typeENS0_5tupleIJS8_S9_EEENSB_IJS8_SA_EEENS0_18inequality_wrapperIZN2at6native12_GLOBAL__N_124unique_dim_cuda_templateIlEESt5tupleIJNSF_6TensorESK_SK_EERKSK_lbbbEUlllE0_EEPmJS9_EEE10hipError_tPvRmT3_T4_T5_T6_T7_T9_mT8_P12ihipStream_tbDpT10_ENKUlT_T0_E_clISt17integral_constantIbLb1EES1A_EEDaS15_S16_EUlS15_E_NS1_11comp_targetILNS1_3genE10ELNS1_11target_archE1200ELNS1_3gpuE4ELNS1_3repE0EEENS1_30default_config_static_selectorELNS0_4arch9wavefront6targetE0EEEvT1_,"axG",@progbits,_ZN7rocprim17ROCPRIM_400000_NS6detail17trampoline_kernelINS0_14default_configENS1_25partition_config_selectorILNS1_17partition_subalgoE9EllbEEZZNS1_14partition_implILS5_9ELb0ES3_jPlS8_PNS0_10empty_typeENS0_5tupleIJS8_S9_EEENSB_IJS8_SA_EEENS0_18inequality_wrapperIZN2at6native12_GLOBAL__N_124unique_dim_cuda_templateIlEESt5tupleIJNSF_6TensorESK_SK_EERKSK_lbbbEUlllE0_EEPmJS9_EEE10hipError_tPvRmT3_T4_T5_T6_T7_T9_mT8_P12ihipStream_tbDpT10_ENKUlT_T0_E_clISt17integral_constantIbLb1EES1A_EEDaS15_S16_EUlS15_E_NS1_11comp_targetILNS1_3genE10ELNS1_11target_archE1200ELNS1_3gpuE4ELNS1_3repE0EEENS1_30default_config_static_selectorELNS0_4arch9wavefront6targetE0EEEvT1_,comdat
.Lfunc_end608:
	.size	_ZN7rocprim17ROCPRIM_400000_NS6detail17trampoline_kernelINS0_14default_configENS1_25partition_config_selectorILNS1_17partition_subalgoE9EllbEEZZNS1_14partition_implILS5_9ELb0ES3_jPlS8_PNS0_10empty_typeENS0_5tupleIJS8_S9_EEENSB_IJS8_SA_EEENS0_18inequality_wrapperIZN2at6native12_GLOBAL__N_124unique_dim_cuda_templateIlEESt5tupleIJNSF_6TensorESK_SK_EERKSK_lbbbEUlllE0_EEPmJS9_EEE10hipError_tPvRmT3_T4_T5_T6_T7_T9_mT8_P12ihipStream_tbDpT10_ENKUlT_T0_E_clISt17integral_constantIbLb1EES1A_EEDaS15_S16_EUlS15_E_NS1_11comp_targetILNS1_3genE10ELNS1_11target_archE1200ELNS1_3gpuE4ELNS1_3repE0EEENS1_30default_config_static_selectorELNS0_4arch9wavefront6targetE0EEEvT1_, .Lfunc_end608-_ZN7rocprim17ROCPRIM_400000_NS6detail17trampoline_kernelINS0_14default_configENS1_25partition_config_selectorILNS1_17partition_subalgoE9EllbEEZZNS1_14partition_implILS5_9ELb0ES3_jPlS8_PNS0_10empty_typeENS0_5tupleIJS8_S9_EEENSB_IJS8_SA_EEENS0_18inequality_wrapperIZN2at6native12_GLOBAL__N_124unique_dim_cuda_templateIlEESt5tupleIJNSF_6TensorESK_SK_EERKSK_lbbbEUlllE0_EEPmJS9_EEE10hipError_tPvRmT3_T4_T5_T6_T7_T9_mT8_P12ihipStream_tbDpT10_ENKUlT_T0_E_clISt17integral_constantIbLb1EES1A_EEDaS15_S16_EUlS15_E_NS1_11comp_targetILNS1_3genE10ELNS1_11target_archE1200ELNS1_3gpuE4ELNS1_3repE0EEENS1_30default_config_static_selectorELNS0_4arch9wavefront6targetE0EEEvT1_
                                        ; -- End function
	.section	.AMDGPU.csdata,"",@progbits
; Kernel info:
; codeLenInByte = 0
; NumSgprs: 0
; NumVgprs: 0
; ScratchSize: 0
; MemoryBound: 0
; FloatMode: 240
; IeeeMode: 1
; LDSByteSize: 0 bytes/workgroup (compile time only)
; SGPRBlocks: 0
; VGPRBlocks: 0
; NumSGPRsForWavesPerEU: 1
; NumVGPRsForWavesPerEU: 1
; Occupancy: 15
; WaveLimiterHint : 0
; COMPUTE_PGM_RSRC2:SCRATCH_EN: 0
; COMPUTE_PGM_RSRC2:USER_SGPR: 15
; COMPUTE_PGM_RSRC2:TRAP_HANDLER: 0
; COMPUTE_PGM_RSRC2:TGID_X_EN: 1
; COMPUTE_PGM_RSRC2:TGID_Y_EN: 0
; COMPUTE_PGM_RSRC2:TGID_Z_EN: 0
; COMPUTE_PGM_RSRC2:TIDIG_COMP_CNT: 0
	.section	.text._ZN7rocprim17ROCPRIM_400000_NS6detail17trampoline_kernelINS0_14default_configENS1_25partition_config_selectorILNS1_17partition_subalgoE9EllbEEZZNS1_14partition_implILS5_9ELb0ES3_jPlS8_PNS0_10empty_typeENS0_5tupleIJS8_S9_EEENSB_IJS8_SA_EEENS0_18inequality_wrapperIZN2at6native12_GLOBAL__N_124unique_dim_cuda_templateIlEESt5tupleIJNSF_6TensorESK_SK_EERKSK_lbbbEUlllE0_EEPmJS9_EEE10hipError_tPvRmT3_T4_T5_T6_T7_T9_mT8_P12ihipStream_tbDpT10_ENKUlT_T0_E_clISt17integral_constantIbLb1EES1A_EEDaS15_S16_EUlS15_E_NS1_11comp_targetILNS1_3genE9ELNS1_11target_archE1100ELNS1_3gpuE3ELNS1_3repE0EEENS1_30default_config_static_selectorELNS0_4arch9wavefront6targetE0EEEvT1_,"axG",@progbits,_ZN7rocprim17ROCPRIM_400000_NS6detail17trampoline_kernelINS0_14default_configENS1_25partition_config_selectorILNS1_17partition_subalgoE9EllbEEZZNS1_14partition_implILS5_9ELb0ES3_jPlS8_PNS0_10empty_typeENS0_5tupleIJS8_S9_EEENSB_IJS8_SA_EEENS0_18inequality_wrapperIZN2at6native12_GLOBAL__N_124unique_dim_cuda_templateIlEESt5tupleIJNSF_6TensorESK_SK_EERKSK_lbbbEUlllE0_EEPmJS9_EEE10hipError_tPvRmT3_T4_T5_T6_T7_T9_mT8_P12ihipStream_tbDpT10_ENKUlT_T0_E_clISt17integral_constantIbLb1EES1A_EEDaS15_S16_EUlS15_E_NS1_11comp_targetILNS1_3genE9ELNS1_11target_archE1100ELNS1_3gpuE3ELNS1_3repE0EEENS1_30default_config_static_selectorELNS0_4arch9wavefront6targetE0EEEvT1_,comdat
	.globl	_ZN7rocprim17ROCPRIM_400000_NS6detail17trampoline_kernelINS0_14default_configENS1_25partition_config_selectorILNS1_17partition_subalgoE9EllbEEZZNS1_14partition_implILS5_9ELb0ES3_jPlS8_PNS0_10empty_typeENS0_5tupleIJS8_S9_EEENSB_IJS8_SA_EEENS0_18inequality_wrapperIZN2at6native12_GLOBAL__N_124unique_dim_cuda_templateIlEESt5tupleIJNSF_6TensorESK_SK_EERKSK_lbbbEUlllE0_EEPmJS9_EEE10hipError_tPvRmT3_T4_T5_T6_T7_T9_mT8_P12ihipStream_tbDpT10_ENKUlT_T0_E_clISt17integral_constantIbLb1EES1A_EEDaS15_S16_EUlS15_E_NS1_11comp_targetILNS1_3genE9ELNS1_11target_archE1100ELNS1_3gpuE3ELNS1_3repE0EEENS1_30default_config_static_selectorELNS0_4arch9wavefront6targetE0EEEvT1_ ; -- Begin function _ZN7rocprim17ROCPRIM_400000_NS6detail17trampoline_kernelINS0_14default_configENS1_25partition_config_selectorILNS1_17partition_subalgoE9EllbEEZZNS1_14partition_implILS5_9ELb0ES3_jPlS8_PNS0_10empty_typeENS0_5tupleIJS8_S9_EEENSB_IJS8_SA_EEENS0_18inequality_wrapperIZN2at6native12_GLOBAL__N_124unique_dim_cuda_templateIlEESt5tupleIJNSF_6TensorESK_SK_EERKSK_lbbbEUlllE0_EEPmJS9_EEE10hipError_tPvRmT3_T4_T5_T6_T7_T9_mT8_P12ihipStream_tbDpT10_ENKUlT_T0_E_clISt17integral_constantIbLb1EES1A_EEDaS15_S16_EUlS15_E_NS1_11comp_targetILNS1_3genE9ELNS1_11target_archE1100ELNS1_3gpuE3ELNS1_3repE0EEENS1_30default_config_static_selectorELNS0_4arch9wavefront6targetE0EEEvT1_
	.p2align	8
	.type	_ZN7rocprim17ROCPRIM_400000_NS6detail17trampoline_kernelINS0_14default_configENS1_25partition_config_selectorILNS1_17partition_subalgoE9EllbEEZZNS1_14partition_implILS5_9ELb0ES3_jPlS8_PNS0_10empty_typeENS0_5tupleIJS8_S9_EEENSB_IJS8_SA_EEENS0_18inequality_wrapperIZN2at6native12_GLOBAL__N_124unique_dim_cuda_templateIlEESt5tupleIJNSF_6TensorESK_SK_EERKSK_lbbbEUlllE0_EEPmJS9_EEE10hipError_tPvRmT3_T4_T5_T6_T7_T9_mT8_P12ihipStream_tbDpT10_ENKUlT_T0_E_clISt17integral_constantIbLb1EES1A_EEDaS15_S16_EUlS15_E_NS1_11comp_targetILNS1_3genE9ELNS1_11target_archE1100ELNS1_3gpuE3ELNS1_3repE0EEENS1_30default_config_static_selectorELNS0_4arch9wavefront6targetE0EEEvT1_,@function
_ZN7rocprim17ROCPRIM_400000_NS6detail17trampoline_kernelINS0_14default_configENS1_25partition_config_selectorILNS1_17partition_subalgoE9EllbEEZZNS1_14partition_implILS5_9ELb0ES3_jPlS8_PNS0_10empty_typeENS0_5tupleIJS8_S9_EEENSB_IJS8_SA_EEENS0_18inequality_wrapperIZN2at6native12_GLOBAL__N_124unique_dim_cuda_templateIlEESt5tupleIJNSF_6TensorESK_SK_EERKSK_lbbbEUlllE0_EEPmJS9_EEE10hipError_tPvRmT3_T4_T5_T6_T7_T9_mT8_P12ihipStream_tbDpT10_ENKUlT_T0_E_clISt17integral_constantIbLb1EES1A_EEDaS15_S16_EUlS15_E_NS1_11comp_targetILNS1_3genE9ELNS1_11target_archE1100ELNS1_3gpuE3ELNS1_3repE0EEENS1_30default_config_static_selectorELNS0_4arch9wavefront6targetE0EEEvT1_: ; @_ZN7rocprim17ROCPRIM_400000_NS6detail17trampoline_kernelINS0_14default_configENS1_25partition_config_selectorILNS1_17partition_subalgoE9EllbEEZZNS1_14partition_implILS5_9ELb0ES3_jPlS8_PNS0_10empty_typeENS0_5tupleIJS8_S9_EEENSB_IJS8_SA_EEENS0_18inequality_wrapperIZN2at6native12_GLOBAL__N_124unique_dim_cuda_templateIlEESt5tupleIJNSF_6TensorESK_SK_EERKSK_lbbbEUlllE0_EEPmJS9_EEE10hipError_tPvRmT3_T4_T5_T6_T7_T9_mT8_P12ihipStream_tbDpT10_ENKUlT_T0_E_clISt17integral_constantIbLb1EES1A_EEDaS15_S16_EUlS15_E_NS1_11comp_targetILNS1_3genE9ELNS1_11target_archE1100ELNS1_3gpuE3ELNS1_3repE0EEENS1_30default_config_static_selectorELNS0_4arch9wavefront6targetE0EEEvT1_
; %bb.0:
	s_clause 0x3
	s_load_b128 s[4:7], s[0:1], 0x8
	s_load_b64 s[24:25], s[0:1], 0x18
	s_load_b256 s[8:15], s[0:1], 0x40
	s_load_b128 s[20:23], s[0:1], 0x60
	v_cmp_ne_u32_e64 s3, 0, v0
	v_cmp_eq_u32_e64 s2, 0, v0
	s_delay_alu instid0(VALU_DEP_1)
	s_and_saveexec_b32 s16, s2
	s_cbranch_execz .LBB609_4
; %bb.1:
	s_mov_b32 s18, exec_lo
	s_mov_b32 s17, exec_lo
	v_mbcnt_lo_u32_b32 v1, s18, 0
                                        ; implicit-def: $vgpr2
	s_delay_alu instid0(VALU_DEP_1)
	v_cmpx_eq_u32_e32 0, v1
	s_cbranch_execz .LBB609_3
; %bb.2:
	s_load_b64 s[26:27], s[0:1], 0x78
	s_bcnt1_i32_b32 s18, s18
	s_delay_alu instid0(SALU_CYCLE_1)
	v_dual_mov_b32 v2, 0 :: v_dual_mov_b32 v3, s18
	s_waitcnt lgkmcnt(0)
	global_atomic_add_u32 v2, v2, v3, s[26:27] glc
.LBB609_3:
	s_or_b32 exec_lo, exec_lo, s17
	s_waitcnt vmcnt(0)
	v_readfirstlane_b32 s17, v2
	s_delay_alu instid0(VALU_DEP_1)
	v_dual_mov_b32 v2, 0 :: v_dual_add_nc_u32 v1, s17, v1
	ds_store_b32 v2, v1
.LBB609_4:
	s_or_b32 exec_lo, exec_lo, s16
	v_mov_b32_e32 v1, 0
	s_clause 0x1
	s_load_b128 s[16:19], s[0:1], 0x28
	s_load_b32 s0, s[0:1], 0x70
	s_waitcnt lgkmcnt(0)
	s_barrier
	buffer_gl0_inv
	ds_load_b32 v3, v1
	s_waitcnt lgkmcnt(0)
	s_barrier
	buffer_gl0_inv
	global_load_b64 v[1:2], v1, s[10:11]
	s_lshl_b64 s[26:27], s[6:7], 3
	s_mov_b32 s1, 0
	s_add_u32 s10, s4, s26
	s_addc_u32 s11, s5, s27
	v_lshlrev_b32_e32 v55, 3, v0
	v_lshrrev_b32_e32 v34, 2, v0
	v_or_b32_e32 v39, 0x200, v0
	v_or_b32_e32 v38, 0x400, v0
	;; [unrolled: 1-line block ×5, first 2 shown]
	s_add_i32 s28, s0, -1
	s_lshl_b32 s5, s0, 12
	s_lshl_b32 s4, s28, 12
	v_or_b32_e32 v33, 0xc00, v0
	v_readfirstlane_b32 s30, v3
	s_add_i32 s4, s6, s4
	v_or_b32_e32 v36, 0xe00, v0
	s_sub_i32 s31, s12, s4
	s_delay_alu instid0(VALU_DEP_2)
	s_lshl_b32 s0, s30, 12
	s_add_u32 s4, s6, s5
	s_addc_u32 s5, s7, 0
	s_cmp_eq_u32 s30, s28
	v_cmp_ge_u64_e64 s4, s[4:5], s[12:13]
	s_cselect_b32 s28, -1, 0
	s_lshl_b64 s[12:13], s[0:1], 3
	s_mov_b32 s1, -1
	s_delay_alu instid0(VALU_DEP_1) | instskip(NEXT) | instid1(SALU_CYCLE_1)
	s_and_b32 s33, s4, s28
	s_xor_b32 s29, s33, -1
	s_add_u32 s4, s10, s12
	s_addc_u32 s5, s11, s13
	s_and_b32 vcc_lo, exec_lo, s29
	s_waitcnt vmcnt(0)
	v_readfirstlane_b32 s10, v1
	v_readfirstlane_b32 s11, v2
	s_cbranch_vccz .LBB609_6
; %bb.5:
	v_add_co_u32 v9, s0, s4, v55
	s_delay_alu instid0(VALU_DEP_1)
	v_add_co_ci_u32_e64 v10, null, s5, 0, s0
	global_load_b64 v[1:2], v55, s[4:5]
	v_add_co_u32 v3, vcc_lo, v9, 0x2000
	v_add_co_ci_u32_e32 v4, vcc_lo, 0, v10, vcc_lo
	v_add_co_u32 v5, vcc_lo, v9, 0x4000
	v_add_co_ci_u32_e32 v6, vcc_lo, 0, v10, vcc_lo
	;; [unrolled: 2-line block ×4, first 2 shown]
	s_clause 0x6
	global_load_b64 v[11:12], v[3:4], off offset:-4096
	global_load_b64 v[3:4], v[3:4], off
	global_load_b64 v[13:14], v[5:6], off offset:-4096
	global_load_b64 v[5:6], v[5:6], off
	;; [unrolled: 2-line block ×3, first 2 shown]
	global_load_b64 v[9:10], v[9:10], off
	v_lshrrev_b32_e32 v18, 2, v39
	v_lshrrev_b32_e32 v19, 2, v38
	;; [unrolled: 1-line block ×4, first 2 shown]
	v_and_b32_e32 v17, 0x78, v34
	v_lshrrev_b32_e32 v22, 2, v35
	v_lshrrev_b32_e32 v23, 2, v33
	;; [unrolled: 1-line block ×3, first 2 shown]
	v_and_b32_e32 v18, 0xf8, v18
	v_and_b32_e32 v19, 0x178, v19
	;; [unrolled: 1-line block ×4, first 2 shown]
	v_add_nc_u32_e32 v17, v17, v55
	v_and_b32_e32 v22, 0x2f8, v22
	v_and_b32_e32 v23, 0x378, v23
	;; [unrolled: 1-line block ×3, first 2 shown]
	v_add_nc_u32_e32 v18, v18, v55
	v_add_nc_u32_e32 v19, v19, v55
	;; [unrolled: 1-line block ×4, first 2 shown]
	s_mov_b32 s1, 0
	v_add_nc_u32_e32 v22, v22, v55
	v_add_nc_u32_e32 v23, v23, v55
	;; [unrolled: 1-line block ×3, first 2 shown]
	s_waitcnt vmcnt(7)
	ds_store_b64 v17, v[1:2]
	s_waitcnt vmcnt(6)
	ds_store_b64 v18, v[11:12] offset:4096
	s_waitcnt vmcnt(5)
	ds_store_b64 v19, v[3:4] offset:8192
	;; [unrolled: 2-line block ×7, first 2 shown]
	s_waitcnt lgkmcnt(0)
	s_barrier
.LBB609_6:
	v_cmp_gt_u32_e64 s0, s31, v0
	s_and_not1_b32 vcc_lo, exec_lo, s1
	s_cbranch_vccnz .LBB609_24
; %bb.7:
                                        ; implicit-def: $vgpr1_vgpr2_vgpr3_vgpr4_vgpr5_vgpr6_vgpr7_vgpr8_vgpr9_vgpr10_vgpr11_vgpr12_vgpr13_vgpr14_vgpr15_vgpr16
	s_delay_alu instid0(VALU_DEP_1)
	s_and_saveexec_b32 s1, s0
	s_cbranch_execz .LBB609_15
; %bb.8:
	global_load_b64 v[1:2], v55, s[4:5]
	s_or_b32 exec_lo, exec_lo, s1
	s_delay_alu instid0(SALU_CYCLE_1)
	s_mov_b32 s0, exec_lo
	v_cmpx_gt_u32_e64 s31, v39
	s_cbranch_execnz .LBB609_16
.LBB609_9:
	s_or_b32 exec_lo, exec_lo, s0
	s_delay_alu instid0(SALU_CYCLE_1)
	s_mov_b32 s0, exec_lo
	v_cmpx_gt_u32_e64 s31, v38
	s_cbranch_execz .LBB609_17
.LBB609_10:
	v_lshlrev_b32_e32 v5, 3, v38
	global_load_b64 v[5:6], v5, s[4:5]
	s_or_b32 exec_lo, exec_lo, s0
	s_delay_alu instid0(SALU_CYCLE_1)
	s_mov_b32 s0, exec_lo
	v_cmpx_gt_u32_e64 s31, v40
	s_cbranch_execnz .LBB609_18
.LBB609_11:
	s_or_b32 exec_lo, exec_lo, s0
	s_delay_alu instid0(SALU_CYCLE_1)
	s_mov_b32 s0, exec_lo
	v_cmpx_gt_u32_e64 s31, v37
	s_cbranch_execz .LBB609_19
.LBB609_12:
	v_lshlrev_b32_e32 v9, 3, v37
	global_load_b64 v[9:10], v9, s[4:5]
	s_or_b32 exec_lo, exec_lo, s0
	s_delay_alu instid0(SALU_CYCLE_1)
	s_mov_b32 s0, exec_lo
	v_cmpx_gt_u32_e64 s31, v35
	s_cbranch_execnz .LBB609_20
.LBB609_13:
	s_or_b32 exec_lo, exec_lo, s0
	s_delay_alu instid0(SALU_CYCLE_1)
	s_mov_b32 s0, exec_lo
	v_cmpx_gt_u32_e64 s31, v33
	s_cbranch_execz .LBB609_21
.LBB609_14:
	v_lshlrev_b32_e32 v13, 3, v33
	global_load_b64 v[13:14], v13, s[4:5]
	s_or_b32 exec_lo, exec_lo, s0
	s_delay_alu instid0(SALU_CYCLE_1)
	s_mov_b32 s0, exec_lo
	v_cmpx_gt_u32_e64 s31, v36
	s_cbranch_execnz .LBB609_22
	s_branch .LBB609_23
.LBB609_15:
	s_or_b32 exec_lo, exec_lo, s1
	s_delay_alu instid0(SALU_CYCLE_1)
	s_mov_b32 s0, exec_lo
	v_cmpx_gt_u32_e64 s31, v39
	s_cbranch_execz .LBB609_9
.LBB609_16:
	v_lshlrev_b32_e32 v3, 3, v39
	global_load_b64 v[3:4], v3, s[4:5]
	s_or_b32 exec_lo, exec_lo, s0
	s_delay_alu instid0(SALU_CYCLE_1)
	s_mov_b32 s0, exec_lo
	v_cmpx_gt_u32_e64 s31, v38
	s_cbranch_execnz .LBB609_10
.LBB609_17:
	s_or_b32 exec_lo, exec_lo, s0
	s_delay_alu instid0(SALU_CYCLE_1)
	s_mov_b32 s0, exec_lo
	v_cmpx_gt_u32_e64 s31, v40
	s_cbranch_execz .LBB609_11
.LBB609_18:
	v_lshlrev_b32_e32 v7, 3, v40
	global_load_b64 v[7:8], v7, s[4:5]
	s_or_b32 exec_lo, exec_lo, s0
	s_delay_alu instid0(SALU_CYCLE_1)
	s_mov_b32 s0, exec_lo
	v_cmpx_gt_u32_e64 s31, v37
	s_cbranch_execnz .LBB609_12
.LBB609_19:
	s_or_b32 exec_lo, exec_lo, s0
	s_delay_alu instid0(SALU_CYCLE_1)
	s_mov_b32 s0, exec_lo
	v_cmpx_gt_u32_e64 s31, v35
	s_cbranch_execz .LBB609_13
.LBB609_20:
	v_lshlrev_b32_e32 v11, 3, v35
	global_load_b64 v[11:12], v11, s[4:5]
	s_or_b32 exec_lo, exec_lo, s0
	s_delay_alu instid0(SALU_CYCLE_1)
	s_mov_b32 s0, exec_lo
	v_cmpx_gt_u32_e64 s31, v33
	s_cbranch_execnz .LBB609_14
.LBB609_21:
	s_or_b32 exec_lo, exec_lo, s0
	s_delay_alu instid0(SALU_CYCLE_1)
	s_mov_b32 s0, exec_lo
	v_cmpx_gt_u32_e64 s31, v36
	s_cbranch_execz .LBB609_23
.LBB609_22:
	v_lshlrev_b32_e32 v15, 3, v36
	global_load_b64 v[15:16], v15, s[4:5]
.LBB609_23:
	s_or_b32 exec_lo, exec_lo, s0
	v_lshrrev_b32_e32 v17, 2, v39
	v_lshrrev_b32_e32 v18, 2, v38
	;; [unrolled: 1-line block ×4, first 2 shown]
	v_and_b32_e32 v19, 0x78, v34
	v_lshrrev_b32_e32 v22, 2, v35
	v_lshrrev_b32_e32 v23, 2, v33
	;; [unrolled: 1-line block ×3, first 2 shown]
	v_and_b32_e32 v17, 0xf8, v17
	v_and_b32_e32 v18, 0x1f8, v18
	;; [unrolled: 1-line block ×4, first 2 shown]
	v_add_nc_u32_e32 v19, v19, v55
	v_and_b32_e32 v22, 0x3f8, v22
	v_and_b32_e32 v23, 0x3f8, v23
	;; [unrolled: 1-line block ×3, first 2 shown]
	v_add_nc_u32_e32 v17, v17, v55
	v_add_nc_u32_e32 v18, v18, v55
	;; [unrolled: 1-line block ×7, first 2 shown]
	s_waitcnt vmcnt(0)
	ds_store_b64 v19, v[1:2]
	ds_store_b64 v17, v[3:4] offset:4096
	ds_store_b64 v18, v[5:6] offset:8192
	;; [unrolled: 1-line block ×7, first 2 shown]
	s_waitcnt lgkmcnt(0)
	s_barrier
.LBB609_24:
	v_add_lshl_u32 v41, v34, v55, 3
	buffer_gl0_inv
	s_add_u32 s0, s24, s26
	s_addc_u32 s1, s25, s27
	s_add_u32 s0, s0, s12
	ds_load_2addr_b64 v[29:32], v41 offset1:1
	ds_load_2addr_b64 v[25:28], v41 offset0:2 offset1:3
	ds_load_2addr_b64 v[21:24], v41 offset0:4 offset1:5
	ds_load_2addr_b64 v[17:20], v41 offset0:6 offset1:7
	s_addc_u32 s1, s1, s13
	s_and_b32 vcc_lo, exec_lo, s29
	s_mov_b32 s12, -1
	s_waitcnt lgkmcnt(0)
	s_barrier
	buffer_gl0_inv
	s_cbranch_vccz .LBB609_26
; %bb.25:
	v_add_co_u32 v9, s12, s0, v55
	s_delay_alu instid0(VALU_DEP_1)
	v_add_co_ci_u32_e64 v10, null, s1, 0, s12
	global_load_b64 v[1:2], v55, s[0:1]
	v_add_co_u32 v3, vcc_lo, v9, 0x2000
	v_add_co_ci_u32_e32 v4, vcc_lo, 0, v10, vcc_lo
	v_add_co_u32 v5, vcc_lo, v9, 0x4000
	v_add_co_ci_u32_e32 v6, vcc_lo, 0, v10, vcc_lo
	;; [unrolled: 2-line block ×4, first 2 shown]
	s_clause 0x6
	global_load_b64 v[11:12], v[3:4], off offset:-4096
	global_load_b64 v[3:4], v[3:4], off
	global_load_b64 v[13:14], v[5:6], off offset:-4096
	global_load_b64 v[5:6], v[5:6], off
	;; [unrolled: 2-line block ×3, first 2 shown]
	global_load_b64 v[9:10], v[9:10], off
	v_lshrrev_b32_e32 v43, 2, v39
	v_lshrrev_b32_e32 v44, 2, v38
	;; [unrolled: 1-line block ×4, first 2 shown]
	v_and_b32_e32 v42, 0x78, v34
	v_lshrrev_b32_e32 v47, 2, v35
	v_lshrrev_b32_e32 v48, 2, v33
	;; [unrolled: 1-line block ×3, first 2 shown]
	v_and_b32_e32 v43, 0xf8, v43
	v_and_b32_e32 v44, 0x178, v44
	;; [unrolled: 1-line block ×4, first 2 shown]
	v_add_nc_u32_e32 v42, v42, v55
	v_and_b32_e32 v47, 0x2f8, v47
	v_and_b32_e32 v48, 0x378, v48
	v_and_b32_e32 v49, 0x3f8, v49
	v_add_nc_u32_e32 v43, v43, v55
	v_add_nc_u32_e32 v44, v44, v55
	;; [unrolled: 1-line block ×4, first 2 shown]
	s_mov_b32 s12, 0
	v_add_nc_u32_e32 v47, v47, v55
	v_add_nc_u32_e32 v48, v48, v55
	;; [unrolled: 1-line block ×3, first 2 shown]
	s_waitcnt vmcnt(7)
	ds_store_b64 v42, v[1:2]
	s_waitcnt vmcnt(6)
	ds_store_b64 v43, v[11:12] offset:4096
	s_waitcnt vmcnt(5)
	ds_store_b64 v44, v[3:4] offset:8192
	;; [unrolled: 2-line block ×7, first 2 shown]
	s_waitcnt lgkmcnt(0)
	s_barrier
.LBB609_26:
	s_and_not1_b32 vcc_lo, exec_lo, s12
	s_cbranch_vccnz .LBB609_44
; %bb.27:
	s_mov_b32 s12, exec_lo
                                        ; implicit-def: $vgpr1_vgpr2
	v_cmpx_gt_u32_e64 s31, v0
	s_cbranch_execz .LBB609_29
; %bb.28:
	global_load_b64 v[1:2], v55, s[0:1]
.LBB609_29:
	s_or_b32 exec_lo, exec_lo, s12
	s_delay_alu instid0(SALU_CYCLE_1)
	s_mov_b32 s12, exec_lo
                                        ; implicit-def: $vgpr3_vgpr4
	v_cmpx_gt_u32_e64 s31, v39
	s_cbranch_execz .LBB609_31
; %bb.30:
	v_lshlrev_b32_e32 v3, 3, v39
	global_load_b64 v[3:4], v3, s[0:1]
.LBB609_31:
	s_or_b32 exec_lo, exec_lo, s12
	s_delay_alu instid0(SALU_CYCLE_1)
	s_mov_b32 s12, exec_lo
                                        ; implicit-def: $vgpr5_vgpr6
	v_cmpx_gt_u32_e64 s31, v38
	s_cbranch_execz .LBB609_33
; %bb.32:
	v_lshlrev_b32_e32 v5, 3, v38
	global_load_b64 v[5:6], v5, s[0:1]
.LBB609_33:
	s_or_b32 exec_lo, exec_lo, s12
	s_delay_alu instid0(SALU_CYCLE_1)
	s_mov_b32 s12, exec_lo
                                        ; implicit-def: $vgpr7_vgpr8
	v_cmpx_gt_u32_e64 s31, v40
	s_cbranch_execz .LBB609_35
; %bb.34:
	v_lshlrev_b32_e32 v7, 3, v40
	global_load_b64 v[7:8], v7, s[0:1]
.LBB609_35:
	s_or_b32 exec_lo, exec_lo, s12
	s_delay_alu instid0(SALU_CYCLE_1)
	s_mov_b32 s12, exec_lo
                                        ; implicit-def: $vgpr9_vgpr10
	v_cmpx_gt_u32_e64 s31, v37
	s_cbranch_execz .LBB609_37
; %bb.36:
	v_lshlrev_b32_e32 v9, 3, v37
	global_load_b64 v[9:10], v9, s[0:1]
.LBB609_37:
	s_or_b32 exec_lo, exec_lo, s12
	s_delay_alu instid0(SALU_CYCLE_1)
	s_mov_b32 s12, exec_lo
                                        ; implicit-def: $vgpr11_vgpr12
	v_cmpx_gt_u32_e64 s31, v35
	s_cbranch_execz .LBB609_39
; %bb.38:
	v_lshlrev_b32_e32 v11, 3, v35
	global_load_b64 v[11:12], v11, s[0:1]
.LBB609_39:
	s_or_b32 exec_lo, exec_lo, s12
	s_delay_alu instid0(SALU_CYCLE_1)
	s_mov_b32 s12, exec_lo
                                        ; implicit-def: $vgpr13_vgpr14
	v_cmpx_gt_u32_e64 s31, v33
	s_cbranch_execz .LBB609_41
; %bb.40:
	v_lshlrev_b32_e32 v13, 3, v33
	global_load_b64 v[13:14], v13, s[0:1]
.LBB609_41:
	s_or_b32 exec_lo, exec_lo, s12
	s_delay_alu instid0(SALU_CYCLE_1)
	s_mov_b32 s12, exec_lo
                                        ; implicit-def: $vgpr15_vgpr16
	v_cmpx_gt_u32_e64 s31, v36
	s_cbranch_execz .LBB609_43
; %bb.42:
	v_lshlrev_b32_e32 v15, 3, v36
	global_load_b64 v[15:16], v15, s[0:1]
.LBB609_43:
	s_or_b32 exec_lo, exec_lo, s12
	v_lshrrev_b32_e32 v39, 2, v39
	v_lshrrev_b32_e32 v38, 2, v38
	;; [unrolled: 1-line block ×4, first 2 shown]
	v_and_b32_e32 v34, 0x78, v34
	v_lshrrev_b32_e32 v35, 2, v35
	v_lshrrev_b32_e32 v33, 2, v33
	;; [unrolled: 1-line block ×3, first 2 shown]
	v_and_b32_e32 v39, 0xf8, v39
	v_and_b32_e32 v38, 0x1f8, v38
	;; [unrolled: 1-line block ×4, first 2 shown]
	v_add_nc_u32_e32 v34, v34, v55
	v_and_b32_e32 v35, 0x3f8, v35
	v_and_b32_e32 v33, 0x3f8, v33
	;; [unrolled: 1-line block ×3, first 2 shown]
	v_add_nc_u32_e32 v39, v39, v55
	v_add_nc_u32_e32 v38, v38, v55
	v_add_nc_u32_e32 v40, v40, v55
	v_add_nc_u32_e32 v37, v37, v55
	v_add_nc_u32_e32 v35, v35, v55
	v_add_nc_u32_e32 v33, v33, v55
	v_add_nc_u32_e32 v36, v36, v55
	s_waitcnt vmcnt(0)
	ds_store_b64 v34, v[1:2]
	ds_store_b64 v39, v[3:4] offset:4096
	ds_store_b64 v38, v[5:6] offset:8192
	;; [unrolled: 1-line block ×7, first 2 shown]
	s_waitcnt lgkmcnt(0)
	s_barrier
.LBB609_44:
	buffer_gl0_inv
	ds_load_2addr_b64 v[13:16], v41 offset1:1
	ds_load_2addr_b64 v[9:12], v41 offset0:2 offset1:3
	ds_load_2addr_b64 v[5:8], v41 offset0:4 offset1:5
	;; [unrolled: 1-line block ×3, first 2 shown]
	s_cmp_lg_u32 s30, 0
	v_cmp_gt_i64_e64 s13, s[14:15], 0
	s_cselect_b32 s12, -1, 0
	s_cmp_lg_u64 s[6:7], 0
	s_mov_b32 s1, 0
	s_cselect_b32 s0, -1, 0
	s_waitcnt lgkmcnt(0)
	s_or_b32 s0, s0, s12
	s_barrier
	s_and_b32 vcc_lo, exec_lo, s0
	buffer_gl0_inv
	s_cbranch_vccz .LBB609_53
; %bb.45:
	v_mov_b32_e32 v33, 0
	v_cndmask_b32_e64 v43, 0, 1, s13
	s_and_b32 vcc_lo, exec_lo, s29
	ds_store_b64 v55, v[19:20]
	global_load_b64 v[33:34], v33, s[4:5] offset:-8
	v_cmp_ne_u32_e64 s0, 1, v43
	s_cbranch_vccz .LBB609_54
; %bb.46:
	v_mul_lo_u32 v37, v18, s14
	v_mul_lo_u32 v38, v17, s15
	v_mad_u64_u32 v[35:36], null, v17, s14, 0
	s_and_b32 vcc_lo, exec_lo, s0
	s_mov_b32 s24, 0
	s_delay_alu instid0(VALU_DEP_1) | instskip(NEXT) | instid1(VALU_DEP_1)
	v_add3_u32 v36, v36, v38, v37
	v_lshlrev_b64 v[35:36], 3, v[35:36]
	s_cbranch_vccnz .LBB609_57
; %bb.47:
	v_mul_lo_u32 v39, v20, s14
	v_mul_lo_u32 v40, v19, s15
	v_mad_u64_u32 v[37:38], null, v19, s14, 0
	s_mov_b32 s24, -1
	s_mov_b32 s25, exec_lo
	s_delay_alu instid0(VALU_DEP_1) | instskip(SKIP_2) | instid1(VALU_DEP_3)
	v_add3_u32 v38, v38, v40, v39
	v_add_co_u32 v39, vcc_lo, s20, v35
	v_add_co_ci_u32_e32 v40, vcc_lo, s21, v36, vcc_lo
	v_lshlrev_b64 v[37:38], 3, v[37:38]
	s_delay_alu instid0(VALU_DEP_1) | instskip(NEXT) | instid1(VALU_DEP_2)
	v_add_co_u32 v37, vcc_lo, s20, v37
	v_add_co_ci_u32_e32 v38, vcc_lo, s21, v38, vcc_lo
	s_clause 0x1
	global_load_b64 v[41:42], v[39:40], off
	global_load_b64 v[44:45], v[37:38], off
	s_waitcnt vmcnt(0)
	v_cmpx_eq_u64_e64 v[41:42], v[44:45]
	s_cbranch_execz .LBB609_56
; %bb.48:
	v_add_co_u32 v37, vcc_lo, v37, 8
	v_add_co_ci_u32_e32 v38, vcc_lo, 0, v38, vcc_lo
	v_add_co_u32 v39, vcc_lo, v39, 8
	v_add_co_ci_u32_e32 v40, vcc_lo, 0, v40, vcc_lo
	s_add_u32 s4, s14, -1
	s_addc_u32 s5, s15, -1
	s_mov_b64 s[6:7], 0
	s_mov_b32 s24, 0
                                        ; implicit-def: $sgpr26
	s_set_inst_prefetch_distance 0x1
	s_branch .LBB609_51
	.p2align	6
.LBB609_49:                             ;   in Loop: Header=BB609_51 Depth=1
	global_load_b64 v[41:42], v[39:40], off
	global_load_b64 v[44:45], v[37:38], off
	v_add_co_u32 v37, vcc_lo, v37, 8
	v_add_co_ci_u32_e32 v38, vcc_lo, 0, v38, vcc_lo
	v_add_co_u32 v39, s0, v39, 8
	s_delay_alu instid0(VALU_DEP_1)
	v_add_co_ci_u32_e64 v40, s0, 0, v40, s0
	s_add_u32 s6, s6, 1
	s_addc_u32 s7, s7, 0
	s_and_not1_b32 s0, s26, exec_lo
	s_waitcnt vmcnt(0)
	v_cmp_ne_u64_e32 vcc_lo, v[41:42], v[44:45]
	s_and_b32 s26, vcc_lo, exec_lo
	s_delay_alu instid0(SALU_CYCLE_1)
	s_or_b32 s26, s0, s26
.LBB609_50:                             ;   in Loop: Header=BB609_51 Depth=1
	v_dual_mov_b32 v42, s7 :: v_dual_mov_b32 v41, s6
	s_and_b32 s0, exec_lo, s26
	s_delay_alu instid0(SALU_CYCLE_1) | instskip(NEXT) | instid1(SALU_CYCLE_1)
	s_or_b32 s24, s0, s24
	s_and_not1_b32 exec_lo, exec_lo, s24
	s_cbranch_execz .LBB609_55
.LBB609_51:                             ; =>This Inner Loop Header: Depth=1
	s_or_b32 s26, s26, exec_lo
	s_cmp_eq_u64 s[4:5], s[6:7]
	s_cbranch_scc0 .LBB609_49
; %bb.52:                               ;   in Loop: Header=BB609_51 Depth=1
	s_mov_b64 s[6:7], s[14:15]
                                        ; implicit-def: $vgpr37_vgpr38
                                        ; implicit-def: $vgpr39_vgpr40
	s_branch .LBB609_50
.LBB609_53:
                                        ; implicit-def: $sgpr0
                                        ; implicit-def: $vgpr36
	s_branch .LBB609_215
.LBB609_54:
                                        ; implicit-def: $sgpr0
                                        ; implicit-def: $vgpr36
	s_cbranch_execnz .LBB609_123
	s_branch .LBB609_214
.LBB609_55:
	s_set_inst_prefetch_distance 0x2
	s_or_b32 exec_lo, exec_lo, s24
	v_cmp_gt_i64_e32 vcc_lo, s[14:15], v[41:42]
	s_or_not1_b32 s24, vcc_lo, exec_lo
.LBB609_56:
	s_or_b32 exec_lo, exec_lo, s25
.LBB609_57:
	v_mul_lo_u32 v39, v24, s14
	v_mul_lo_u32 v40, v23, s15
	v_mad_u64_u32 v[37:38], null, v23, s14, 0
	s_and_not1_b32 vcc_lo, exec_lo, s13
	s_delay_alu instid0(VALU_DEP_1) | instskip(NEXT) | instid1(VALU_DEP_1)
	v_add3_u32 v38, v38, v40, v39
	v_lshlrev_b64 v[37:38], 3, v[37:38]
	s_cbranch_vccnz .LBB609_66
; %bb.58:
	s_delay_alu instid0(VALU_DEP_1) | instskip(NEXT) | instid1(VALU_DEP_2)
	v_add_co_u32 v39, vcc_lo, s20, v37
	v_add_co_ci_u32_e32 v40, vcc_lo, s21, v38, vcc_lo
	v_add_co_u32 v35, vcc_lo, s20, v35
	v_add_co_ci_u32_e32 v36, vcc_lo, s21, v36, vcc_lo
	s_mov_b32 s1, -1
	s_clause 0x1
	global_load_b64 v[41:42], v[39:40], off
	global_load_b64 v[44:45], v[35:36], off
	s_mov_b32 s25, exec_lo
	s_waitcnt vmcnt(0)
	v_cmpx_eq_u64_e64 v[41:42], v[44:45]
	s_cbranch_execz .LBB609_65
; %bb.59:
	v_add_co_u32 v35, vcc_lo, v35, 8
	v_add_co_ci_u32_e32 v36, vcc_lo, 0, v36, vcc_lo
	v_add_co_u32 v39, vcc_lo, v39, 8
	v_add_co_ci_u32_e32 v40, vcc_lo, 0, v40, vcc_lo
	s_add_u32 s4, s14, -1
	s_addc_u32 s5, s15, -1
	s_mov_b64 s[6:7], 0
	s_mov_b32 s1, 0
                                        ; implicit-def: $sgpr26
	s_set_inst_prefetch_distance 0x1
	s_branch .LBB609_62
	.p2align	6
.LBB609_60:                             ;   in Loop: Header=BB609_62 Depth=1
	global_load_b64 v[41:42], v[39:40], off
	global_load_b64 v[44:45], v[35:36], off
	v_add_co_u32 v35, vcc_lo, v35, 8
	v_add_co_ci_u32_e32 v36, vcc_lo, 0, v36, vcc_lo
	v_add_co_u32 v39, s0, v39, 8
	s_delay_alu instid0(VALU_DEP_1)
	v_add_co_ci_u32_e64 v40, s0, 0, v40, s0
	s_add_u32 s6, s6, 1
	s_addc_u32 s7, s7, 0
	s_and_not1_b32 s0, s26, exec_lo
	s_waitcnt vmcnt(0)
	v_cmp_ne_u64_e32 vcc_lo, v[41:42], v[44:45]
	s_and_b32 s26, vcc_lo, exec_lo
	s_delay_alu instid0(SALU_CYCLE_1)
	s_or_b32 s26, s0, s26
.LBB609_61:                             ;   in Loop: Header=BB609_62 Depth=1
	v_dual_mov_b32 v42, s7 :: v_dual_mov_b32 v41, s6
	s_and_b32 s0, exec_lo, s26
	s_delay_alu instid0(SALU_CYCLE_1) | instskip(NEXT) | instid1(SALU_CYCLE_1)
	s_or_b32 s1, s0, s1
	s_and_not1_b32 exec_lo, exec_lo, s1
	s_cbranch_execz .LBB609_64
.LBB609_62:                             ; =>This Inner Loop Header: Depth=1
	s_or_b32 s26, s26, exec_lo
	s_cmp_eq_u64 s[4:5], s[6:7]
	s_cbranch_scc0 .LBB609_60
; %bb.63:                               ;   in Loop: Header=BB609_62 Depth=1
	s_mov_b64 s[6:7], s[14:15]
                                        ; implicit-def: $vgpr35_vgpr36
                                        ; implicit-def: $vgpr39_vgpr40
	s_branch .LBB609_61
.LBB609_64:
	s_set_inst_prefetch_distance 0x2
	s_or_b32 exec_lo, exec_lo, s1
	v_cmp_gt_i64_e32 vcc_lo, s[14:15], v[41:42]
	s_or_not1_b32 s1, vcc_lo, exec_lo
.LBB609_65:
	s_or_b32 exec_lo, exec_lo, s25
.LBB609_66:
	v_mul_lo_u32 v39, v22, s14
	v_mul_lo_u32 v40, v21, s15
	v_mad_u64_u32 v[35:36], null, v21, s14, 0
	s_mov_b32 s25, 0
	s_and_not1_b32 vcc_lo, exec_lo, s13
	s_mov_b32 s26, 0
	s_delay_alu instid0(VALU_DEP_1) | instskip(NEXT) | instid1(VALU_DEP_1)
	v_add3_u32 v36, v36, v40, v39
	v_lshlrev_b64 v[39:40], 3, v[35:36]
	s_cbranch_vccnz .LBB609_75
; %bb.67:
	s_delay_alu instid0(VALU_DEP_1) | instskip(NEXT) | instid1(VALU_DEP_2)
	v_add_co_u32 v41, vcc_lo, s20, v39
	v_add_co_ci_u32_e32 v42, vcc_lo, s21, v40, vcc_lo
	v_add_co_u32 v35, vcc_lo, s20, v37
	v_add_co_ci_u32_e32 v36, vcc_lo, s21, v38, vcc_lo
	s_mov_b32 s26, -1
	s_clause 0x1
	global_load_b64 v[37:38], v[41:42], off
	global_load_b64 v[44:45], v[35:36], off
	s_mov_b32 s27, exec_lo
	s_waitcnt vmcnt(0)
	v_cmpx_eq_u64_e64 v[37:38], v[44:45]
	s_cbranch_execz .LBB609_74
; %bb.68:
	v_add_co_u32 v35, vcc_lo, v35, 8
	v_add_co_ci_u32_e32 v36, vcc_lo, 0, v36, vcc_lo
	v_add_co_u32 v37, vcc_lo, v41, 8
	v_add_co_ci_u32_e32 v38, vcc_lo, 0, v42, vcc_lo
	s_add_u32 s4, s14, -1
	s_addc_u32 s5, s15, -1
	s_mov_b64 s[6:7], 0
	s_mov_b32 s26, 0
                                        ; implicit-def: $sgpr34
	s_set_inst_prefetch_distance 0x1
	s_branch .LBB609_71
	.p2align	6
.LBB609_69:                             ;   in Loop: Header=BB609_71 Depth=1
	global_load_b64 v[41:42], v[37:38], off
	global_load_b64 v[44:45], v[35:36], off
	v_add_co_u32 v35, vcc_lo, v35, 8
	v_add_co_ci_u32_e32 v36, vcc_lo, 0, v36, vcc_lo
	v_add_co_u32 v37, s0, v37, 8
	s_delay_alu instid0(VALU_DEP_1)
	v_add_co_ci_u32_e64 v38, s0, 0, v38, s0
	s_add_u32 s6, s6, 1
	s_addc_u32 s7, s7, 0
	s_and_not1_b32 s0, s34, exec_lo
	s_waitcnt vmcnt(0)
	v_cmp_ne_u64_e32 vcc_lo, v[41:42], v[44:45]
	s_and_b32 s34, vcc_lo, exec_lo
	s_delay_alu instid0(SALU_CYCLE_1)
	s_or_b32 s34, s0, s34
.LBB609_70:                             ;   in Loop: Header=BB609_71 Depth=1
	v_dual_mov_b32 v42, s7 :: v_dual_mov_b32 v41, s6
	s_and_b32 s0, exec_lo, s34
	s_delay_alu instid0(SALU_CYCLE_1) | instskip(NEXT) | instid1(SALU_CYCLE_1)
	s_or_b32 s26, s0, s26
	s_and_not1_b32 exec_lo, exec_lo, s26
	s_cbranch_execz .LBB609_73
.LBB609_71:                             ; =>This Inner Loop Header: Depth=1
	s_or_b32 s34, s34, exec_lo
	s_cmp_eq_u64 s[4:5], s[6:7]
	s_cbranch_scc0 .LBB609_69
; %bb.72:                               ;   in Loop: Header=BB609_71 Depth=1
	s_mov_b64 s[6:7], s[14:15]
                                        ; implicit-def: $vgpr35_vgpr36
                                        ; implicit-def: $vgpr37_vgpr38
	s_branch .LBB609_70
.LBB609_73:
	s_set_inst_prefetch_distance 0x2
	s_or_b32 exec_lo, exec_lo, s26
	v_cmp_gt_i64_e32 vcc_lo, s[14:15], v[41:42]
	s_or_not1_b32 s26, vcc_lo, exec_lo
.LBB609_74:
	s_or_b32 exec_lo, exec_lo, s27
.LBB609_75:
	v_mul_lo_u32 v37, v28, s14
	v_mul_lo_u32 v38, v27, s15
	v_mad_u64_u32 v[35:36], null, v27, s14, 0
	s_and_not1_b32 vcc_lo, exec_lo, s13
	s_delay_alu instid0(VALU_DEP_1) | instskip(NEXT) | instid1(VALU_DEP_1)
	v_add3_u32 v36, v36, v38, v37
	v_lshlrev_b64 v[35:36], 3, v[35:36]
	s_cbranch_vccnz .LBB609_84
; %bb.76:
	s_delay_alu instid0(VALU_DEP_1) | instskip(NEXT) | instid1(VALU_DEP_2)
	v_add_co_u32 v41, vcc_lo, s20, v35
	v_add_co_ci_u32_e32 v42, vcc_lo, s21, v36, vcc_lo
	v_add_co_u32 v37, vcc_lo, s20, v39
	v_add_co_ci_u32_e32 v38, vcc_lo, s21, v40, vcc_lo
	s_mov_b32 s25, -1
	s_clause 0x1
	global_load_b64 v[39:40], v[41:42], off
	global_load_b64 v[44:45], v[37:38], off
	s_mov_b32 s27, exec_lo
	s_waitcnt vmcnt(0)
	v_cmpx_eq_u64_e64 v[39:40], v[44:45]
	s_cbranch_execz .LBB609_83
; %bb.77:
	v_add_co_u32 v37, vcc_lo, v37, 8
	v_add_co_ci_u32_e32 v38, vcc_lo, 0, v38, vcc_lo
	v_add_co_u32 v39, vcc_lo, v41, 8
	v_add_co_ci_u32_e32 v40, vcc_lo, 0, v42, vcc_lo
	s_add_u32 s4, s14, -1
	s_addc_u32 s5, s15, -1
	s_mov_b64 s[6:7], 0
	s_mov_b32 s25, 0
                                        ; implicit-def: $sgpr34
	s_set_inst_prefetch_distance 0x1
	s_branch .LBB609_80
	.p2align	6
.LBB609_78:                             ;   in Loop: Header=BB609_80 Depth=1
	global_load_b64 v[41:42], v[39:40], off
	global_load_b64 v[44:45], v[37:38], off
	v_add_co_u32 v37, vcc_lo, v37, 8
	v_add_co_ci_u32_e32 v38, vcc_lo, 0, v38, vcc_lo
	v_add_co_u32 v39, s0, v39, 8
	s_delay_alu instid0(VALU_DEP_1)
	v_add_co_ci_u32_e64 v40, s0, 0, v40, s0
	s_add_u32 s6, s6, 1
	s_addc_u32 s7, s7, 0
	s_and_not1_b32 s0, s34, exec_lo
	s_waitcnt vmcnt(0)
	v_cmp_ne_u64_e32 vcc_lo, v[41:42], v[44:45]
	s_and_b32 s34, vcc_lo, exec_lo
	s_delay_alu instid0(SALU_CYCLE_1)
	s_or_b32 s34, s0, s34
.LBB609_79:                             ;   in Loop: Header=BB609_80 Depth=1
	v_dual_mov_b32 v42, s7 :: v_dual_mov_b32 v41, s6
	s_and_b32 s0, exec_lo, s34
	s_delay_alu instid0(SALU_CYCLE_1) | instskip(NEXT) | instid1(SALU_CYCLE_1)
	s_or_b32 s25, s0, s25
	s_and_not1_b32 exec_lo, exec_lo, s25
	s_cbranch_execz .LBB609_82
.LBB609_80:                             ; =>This Inner Loop Header: Depth=1
	s_or_b32 s34, s34, exec_lo
	s_cmp_eq_u64 s[4:5], s[6:7]
	s_cbranch_scc0 .LBB609_78
; %bb.81:                               ;   in Loop: Header=BB609_80 Depth=1
	s_mov_b64 s[6:7], s[14:15]
                                        ; implicit-def: $vgpr37_vgpr38
                                        ; implicit-def: $vgpr39_vgpr40
	s_branch .LBB609_79
.LBB609_82:
	s_set_inst_prefetch_distance 0x2
	s_or_b32 exec_lo, exec_lo, s25
	v_cmp_gt_i64_e32 vcc_lo, s[14:15], v[41:42]
	s_or_not1_b32 s25, vcc_lo, exec_lo
.LBB609_83:
	s_or_b32 exec_lo, exec_lo, s27
.LBB609_84:
	v_mul_lo_u32 v39, v26, s14
	v_mul_lo_u32 v40, v25, s15
	v_mad_u64_u32 v[37:38], null, v25, s14, 0
	s_mov_b32 s27, 0
	s_and_not1_b32 vcc_lo, exec_lo, s13
	s_mov_b32 s34, 0
	s_delay_alu instid0(VALU_DEP_1) | instskip(NEXT) | instid1(VALU_DEP_1)
	v_add3_u32 v38, v38, v40, v39
	v_lshlrev_b64 v[39:40], 3, v[37:38]
	s_cbranch_vccnz .LBB609_93
; %bb.85:
	s_delay_alu instid0(VALU_DEP_1) | instskip(NEXT) | instid1(VALU_DEP_2)
	v_add_co_u32 v37, vcc_lo, s20, v39
	v_add_co_ci_u32_e32 v38, vcc_lo, s21, v40, vcc_lo
	v_add_co_u32 v35, vcc_lo, s20, v35
	v_add_co_ci_u32_e32 v36, vcc_lo, s21, v36, vcc_lo
	s_mov_b32 s34, -1
	s_clause 0x1
	global_load_b64 v[41:42], v[37:38], off
	global_load_b64 v[44:45], v[35:36], off
	s_mov_b32 s35, exec_lo
	s_waitcnt vmcnt(0)
	v_cmpx_eq_u64_e64 v[41:42], v[44:45]
	s_cbranch_execz .LBB609_92
; %bb.86:
	v_add_co_u32 v35, vcc_lo, v35, 8
	v_add_co_ci_u32_e32 v36, vcc_lo, 0, v36, vcc_lo
	v_add_co_u32 v37, vcc_lo, v37, 8
	v_add_co_ci_u32_e32 v38, vcc_lo, 0, v38, vcc_lo
	s_add_u32 s4, s14, -1
	s_addc_u32 s5, s15, -1
	s_mov_b64 s[6:7], 0
	s_mov_b32 s34, 0
                                        ; implicit-def: $sgpr36
	s_set_inst_prefetch_distance 0x1
	s_branch .LBB609_89
	.p2align	6
.LBB609_87:                             ;   in Loop: Header=BB609_89 Depth=1
	global_load_b64 v[41:42], v[37:38], off
	global_load_b64 v[44:45], v[35:36], off
	v_add_co_u32 v35, vcc_lo, v35, 8
	v_add_co_ci_u32_e32 v36, vcc_lo, 0, v36, vcc_lo
	v_add_co_u32 v37, s0, v37, 8
	s_delay_alu instid0(VALU_DEP_1)
	v_add_co_ci_u32_e64 v38, s0, 0, v38, s0
	s_add_u32 s6, s6, 1
	s_addc_u32 s7, s7, 0
	s_and_not1_b32 s0, s36, exec_lo
	s_waitcnt vmcnt(0)
	v_cmp_ne_u64_e32 vcc_lo, v[41:42], v[44:45]
	s_and_b32 s36, vcc_lo, exec_lo
	s_delay_alu instid0(SALU_CYCLE_1)
	s_or_b32 s36, s0, s36
.LBB609_88:                             ;   in Loop: Header=BB609_89 Depth=1
	v_dual_mov_b32 v42, s7 :: v_dual_mov_b32 v41, s6
	s_and_b32 s0, exec_lo, s36
	s_delay_alu instid0(SALU_CYCLE_1) | instskip(NEXT) | instid1(SALU_CYCLE_1)
	s_or_b32 s34, s0, s34
	s_and_not1_b32 exec_lo, exec_lo, s34
	s_cbranch_execz .LBB609_91
.LBB609_89:                             ; =>This Inner Loop Header: Depth=1
	s_or_b32 s36, s36, exec_lo
	s_cmp_eq_u64 s[4:5], s[6:7]
	s_cbranch_scc0 .LBB609_87
; %bb.90:                               ;   in Loop: Header=BB609_89 Depth=1
	s_mov_b64 s[6:7], s[14:15]
                                        ; implicit-def: $vgpr35_vgpr36
                                        ; implicit-def: $vgpr37_vgpr38
	s_branch .LBB609_88
.LBB609_91:
	s_set_inst_prefetch_distance 0x2
	s_or_b32 exec_lo, exec_lo, s34
	v_cmp_gt_i64_e32 vcc_lo, s[14:15], v[41:42]
	s_or_not1_b32 s34, vcc_lo, exec_lo
.LBB609_92:
	s_or_b32 exec_lo, exec_lo, s35
.LBB609_93:
	v_mul_lo_u32 v37, v32, s14
	v_mul_lo_u32 v38, v31, s15
	v_mad_u64_u32 v[35:36], null, v31, s14, 0
	s_and_not1_b32 vcc_lo, exec_lo, s13
	s_delay_alu instid0(VALU_DEP_1) | instskip(NEXT) | instid1(VALU_DEP_1)
	v_add3_u32 v36, v36, v38, v37
	v_lshlrev_b64 v[37:38], 3, v[35:36]
	s_cbranch_vccnz .LBB609_102
; %bb.94:
	s_delay_alu instid0(VALU_DEP_1) | instskip(NEXT) | instid1(VALU_DEP_2)
	v_add_co_u32 v41, vcc_lo, s20, v37
	v_add_co_ci_u32_e32 v42, vcc_lo, s21, v38, vcc_lo
	v_add_co_u32 v35, vcc_lo, s20, v39
	v_add_co_ci_u32_e32 v36, vcc_lo, s21, v40, vcc_lo
	s_mov_b32 s27, -1
	s_clause 0x1
	global_load_b64 v[39:40], v[41:42], off
	global_load_b64 v[44:45], v[35:36], off
	s_mov_b32 s35, exec_lo
	s_waitcnt vmcnt(0)
	v_cmpx_eq_u64_e64 v[39:40], v[44:45]
	s_cbranch_execz .LBB609_101
; %bb.95:
	v_add_co_u32 v35, vcc_lo, v35, 8
	v_add_co_ci_u32_e32 v36, vcc_lo, 0, v36, vcc_lo
	v_add_co_u32 v39, vcc_lo, v41, 8
	v_add_co_ci_u32_e32 v40, vcc_lo, 0, v42, vcc_lo
	s_add_u32 s4, s14, -1
	s_addc_u32 s5, s15, -1
	s_mov_b64 s[6:7], 0
	s_mov_b32 s27, 0
                                        ; implicit-def: $sgpr36
	s_set_inst_prefetch_distance 0x1
	s_branch .LBB609_98
	.p2align	6
.LBB609_96:                             ;   in Loop: Header=BB609_98 Depth=1
	global_load_b64 v[41:42], v[39:40], off
	global_load_b64 v[44:45], v[35:36], off
	v_add_co_u32 v35, vcc_lo, v35, 8
	v_add_co_ci_u32_e32 v36, vcc_lo, 0, v36, vcc_lo
	v_add_co_u32 v39, s0, v39, 8
	s_delay_alu instid0(VALU_DEP_1)
	v_add_co_ci_u32_e64 v40, s0, 0, v40, s0
	s_add_u32 s6, s6, 1
	s_addc_u32 s7, s7, 0
	s_and_not1_b32 s0, s36, exec_lo
	s_waitcnt vmcnt(0)
	v_cmp_ne_u64_e32 vcc_lo, v[41:42], v[44:45]
	s_and_b32 s36, vcc_lo, exec_lo
	s_delay_alu instid0(SALU_CYCLE_1)
	s_or_b32 s36, s0, s36
.LBB609_97:                             ;   in Loop: Header=BB609_98 Depth=1
	v_dual_mov_b32 v42, s7 :: v_dual_mov_b32 v41, s6
	s_and_b32 s0, exec_lo, s36
	s_delay_alu instid0(SALU_CYCLE_1) | instskip(NEXT) | instid1(SALU_CYCLE_1)
	s_or_b32 s27, s0, s27
	s_and_not1_b32 exec_lo, exec_lo, s27
	s_cbranch_execz .LBB609_100
.LBB609_98:                             ; =>This Inner Loop Header: Depth=1
	s_or_b32 s36, s36, exec_lo
	s_cmp_eq_u64 s[4:5], s[6:7]
	s_cbranch_scc0 .LBB609_96
; %bb.99:                               ;   in Loop: Header=BB609_98 Depth=1
	s_mov_b64 s[6:7], s[14:15]
                                        ; implicit-def: $vgpr35_vgpr36
                                        ; implicit-def: $vgpr39_vgpr40
	s_branch .LBB609_97
.LBB609_100:
	s_set_inst_prefetch_distance 0x2
	s_or_b32 exec_lo, exec_lo, s27
	v_cmp_gt_i64_e32 vcc_lo, s[14:15], v[41:42]
	s_or_not1_b32 s27, vcc_lo, exec_lo
.LBB609_101:
	s_or_b32 exec_lo, exec_lo, s35
.LBB609_102:
	v_mul_lo_u32 v39, v30, s14
	v_mul_lo_u32 v40, v29, s15
	v_mad_u64_u32 v[35:36], null, v29, s14, 0
	s_and_not1_b32 vcc_lo, exec_lo, s13
	s_mov_b32 s0, 0
	s_delay_alu instid0(VALU_DEP_1) | instskip(NEXT) | instid1(VALU_DEP_1)
	v_add3_u32 v36, v36, v40, v39
	v_lshlrev_b64 v[35:36], 3, v[35:36]
	s_cbranch_vccnz .LBB609_111
; %bb.103:
	s_delay_alu instid0(VALU_DEP_1) | instskip(NEXT) | instid1(VALU_DEP_2)
	v_add_co_u32 v39, vcc_lo, s20, v35
	v_add_co_ci_u32_e32 v40, vcc_lo, s21, v36, vcc_lo
	v_add_co_u32 v37, vcc_lo, s20, v37
	v_add_co_ci_u32_e32 v38, vcc_lo, s21, v38, vcc_lo
	s_mov_b32 s0, -1
	s_clause 0x1
	global_load_b64 v[41:42], v[39:40], off
	global_load_b64 v[44:45], v[37:38], off
	s_mov_b32 s35, exec_lo
	s_waitcnt vmcnt(0)
	v_cmpx_eq_u64_e64 v[41:42], v[44:45]
	s_cbranch_execz .LBB609_110
; %bb.104:
	v_add_co_u32 v37, vcc_lo, v37, 8
	v_add_co_ci_u32_e32 v38, vcc_lo, 0, v38, vcc_lo
	v_add_co_u32 v39, vcc_lo, v39, 8
	v_add_co_ci_u32_e32 v40, vcc_lo, 0, v40, vcc_lo
	s_add_u32 s4, s14, -1
	s_addc_u32 s5, s15, -1
	s_mov_b64 s[6:7], 0
	s_mov_b32 s36, 0
                                        ; implicit-def: $sgpr37
	s_set_inst_prefetch_distance 0x1
	s_branch .LBB609_107
	.p2align	6
.LBB609_105:                            ;   in Loop: Header=BB609_107 Depth=1
	global_load_b64 v[41:42], v[39:40], off
	global_load_b64 v[44:45], v[37:38], off
	v_add_co_u32 v37, vcc_lo, v37, 8
	v_add_co_ci_u32_e32 v38, vcc_lo, 0, v38, vcc_lo
	v_add_co_u32 v39, s0, v39, 8
	s_delay_alu instid0(VALU_DEP_1)
	v_add_co_ci_u32_e64 v40, s0, 0, v40, s0
	s_add_u32 s6, s6, 1
	s_addc_u32 s7, s7, 0
	s_and_not1_b32 s0, s37, exec_lo
	s_waitcnt vmcnt(0)
	v_cmp_ne_u64_e32 vcc_lo, v[41:42], v[44:45]
	s_and_b32 s37, vcc_lo, exec_lo
	s_delay_alu instid0(SALU_CYCLE_1)
	s_or_b32 s37, s0, s37
.LBB609_106:                            ;   in Loop: Header=BB609_107 Depth=1
	v_dual_mov_b32 v42, s7 :: v_dual_mov_b32 v41, s6
	s_and_b32 s0, exec_lo, s37
	s_delay_alu instid0(SALU_CYCLE_1) | instskip(NEXT) | instid1(SALU_CYCLE_1)
	s_or_b32 s36, s0, s36
	s_and_not1_b32 exec_lo, exec_lo, s36
	s_cbranch_execz .LBB609_109
.LBB609_107:                            ; =>This Inner Loop Header: Depth=1
	s_or_b32 s37, s37, exec_lo
	s_cmp_eq_u64 s[4:5], s[6:7]
	s_cbranch_scc0 .LBB609_105
; %bb.108:                              ;   in Loop: Header=BB609_107 Depth=1
	s_mov_b64 s[6:7], s[14:15]
                                        ; implicit-def: $vgpr37_vgpr38
                                        ; implicit-def: $vgpr39_vgpr40
	s_branch .LBB609_106
.LBB609_109:
	s_set_inst_prefetch_distance 0x2
	s_or_b32 exec_lo, exec_lo, s36
	v_cmp_gt_i64_e32 vcc_lo, s[14:15], v[41:42]
	s_or_not1_b32 s0, vcc_lo, exec_lo
.LBB609_110:
	s_or_b32 exec_lo, exec_lo, s35
.LBB609_111:
	s_waitcnt vmcnt(0)
	v_dual_mov_b32 v38, v34 :: v_dual_mov_b32 v37, v33
	s_waitcnt lgkmcnt(0)
	s_barrier
	buffer_gl0_inv
	s_and_saveexec_b32 s4, s3
	s_cbranch_execz .LBB609_113
; %bb.112:
	v_add_nc_u32_e32 v37, -8, v55
	ds_load_b64 v[37:38], v37
.LBB609_113:
	s_or_b32 exec_lo, exec_lo, s4
	v_cndmask_b32_e64 v40, 0, 1, s34
	v_cndmask_b32_e64 v42, 0, 1, s26
	;; [unrolled: 1-line block ×7, first 2 shown]
	v_lshlrev_b16 v40, 8, v40
	v_lshlrev_b16 v42, 8, v42
	;; [unrolled: 1-line block ×4, first 2 shown]
	s_mov_b32 s1, 0
	v_or_b32_e32 v39, v39, v40
	v_or_b32_e32 v40, v41, v42
	;; [unrolled: 1-line block ×3, first 2 shown]
	v_and_b32_e32 v41, 0xffff, v45
	s_and_not1_b32 vcc_lo, exec_lo, s13
	v_lshlrev_b32_e32 v42, 16, v39
	v_and_b32_e32 v44, 0xffff, v40
	v_lshlrev_b32_e32 v45, 16, v46
	s_mov_b32 s0, 0
	s_cbranch_vccnz .LBB609_122
; %bb.114:
	s_waitcnt lgkmcnt(0)
	v_mul_lo_u32 v40, v38, s14
	v_mul_lo_u32 v46, v37, s15
	v_mad_u64_u32 v[38:39], null, v37, s14, 0
	s_mov_b32 s0, -1
	s_mov_b32 s24, exec_lo
	s_delay_alu instid0(VALU_DEP_1) | instskip(NEXT) | instid1(VALU_DEP_1)
	v_add3_u32 v39, v39, v46, v40
	v_lshlrev_b64 v[37:38], 3, v[38:39]
	s_delay_alu instid0(VALU_DEP_1) | instskip(NEXT) | instid1(VALU_DEP_2)
	v_add_co_u32 v37, vcc_lo, s20, v37
	v_add_co_ci_u32_e32 v38, vcc_lo, s21, v38, vcc_lo
	v_add_co_u32 v35, vcc_lo, s20, v35
	v_add_co_ci_u32_e32 v36, vcc_lo, s21, v36, vcc_lo
	s_clause 0x1
	global_load_b64 v[39:40], v[37:38], off
	global_load_b64 v[46:47], v[35:36], off
	s_waitcnt vmcnt(0)
	v_cmpx_eq_u64_e64 v[39:40], v[46:47]
	s_cbranch_execz .LBB609_121
; %bb.115:
	v_add_co_u32 v35, vcc_lo, v35, 8
	v_add_co_ci_u32_e32 v36, vcc_lo, 0, v36, vcc_lo
	v_add_co_u32 v37, vcc_lo, v37, 8
	v_add_co_ci_u32_e32 v38, vcc_lo, 0, v38, vcc_lo
	s_add_u32 s4, s14, -1
	s_addc_u32 s5, s15, -1
	s_mov_b64 s[6:7], 0
	s_mov_b32 s25, 0
                                        ; implicit-def: $sgpr26
	s_set_inst_prefetch_distance 0x1
	s_branch .LBB609_118
	.p2align	6
.LBB609_116:                            ;   in Loop: Header=BB609_118 Depth=1
	global_load_b64 v[39:40], v[37:38], off
	global_load_b64 v[46:47], v[35:36], off
	v_add_co_u32 v35, vcc_lo, v35, 8
	v_add_co_ci_u32_e32 v36, vcc_lo, 0, v36, vcc_lo
	v_add_co_u32 v37, s0, v37, 8
	s_delay_alu instid0(VALU_DEP_1)
	v_add_co_ci_u32_e64 v38, s0, 0, v38, s0
	s_add_u32 s6, s6, 1
	s_addc_u32 s7, s7, 0
	s_and_not1_b32 s0, s26, exec_lo
	s_waitcnt vmcnt(0)
	v_cmp_ne_u64_e32 vcc_lo, v[39:40], v[46:47]
	s_and_b32 s26, vcc_lo, exec_lo
	s_delay_alu instid0(SALU_CYCLE_1)
	s_or_b32 s26, s0, s26
.LBB609_117:                            ;   in Loop: Header=BB609_118 Depth=1
	v_dual_mov_b32 v40, s7 :: v_dual_mov_b32 v39, s6
	s_and_b32 s0, exec_lo, s26
	s_delay_alu instid0(SALU_CYCLE_1) | instskip(NEXT) | instid1(SALU_CYCLE_1)
	s_or_b32 s25, s0, s25
	s_and_not1_b32 exec_lo, exec_lo, s25
	s_cbranch_execz .LBB609_120
.LBB609_118:                            ; =>This Inner Loop Header: Depth=1
	s_or_b32 s26, s26, exec_lo
	s_cmp_eq_u64 s[4:5], s[6:7]
	s_cbranch_scc0 .LBB609_116
; %bb.119:                              ;   in Loop: Header=BB609_118 Depth=1
	s_mov_b64 s[6:7], s[14:15]
                                        ; implicit-def: $vgpr35_vgpr36
                                        ; implicit-def: $vgpr37_vgpr38
	s_branch .LBB609_117
.LBB609_120:
	s_set_inst_prefetch_distance 0x2
	s_or_b32 exec_lo, exec_lo, s25
	v_cmp_gt_i64_e32 vcc_lo, s[14:15], v[39:40]
	s_or_not1_b32 s0, vcc_lo, exec_lo
.LBB609_121:
	s_or_b32 exec_lo, exec_lo, s24
.LBB609_122:
	v_or_b32_e32 v35, v41, v42
	s_delay_alu instid0(VALU_DEP_2)
	v_or_b32_e32 v36, v44, v45
	s_and_b32 vcc_lo, exec_lo, s1
	s_cbranch_vccz .LBB609_214
.LBB609_123:
	v_or_b32_e32 v35, 7, v55
	s_mov_b32 s1, 0
	s_mov_b32 s24, 0
	s_mov_b32 s25, exec_lo
	s_delay_alu instid0(VALU_DEP_1)
	v_cmpx_gt_u32_e64 s31, v35
	s_cbranch_execz .LBB609_134
; %bb.124:
	s_and_not1_b32 vcc_lo, exec_lo, s13
	s_mov_b32 s0, 0
	s_cbranch_vccnz .LBB609_133
; %bb.125:
	v_mul_lo_u32 v39, v18, s14
	v_mul_lo_u32 v40, v17, s15
	v_mad_u64_u32 v[35:36], null, v17, s14, 0
	v_mul_lo_u32 v41, v20, s14
	v_mul_lo_u32 v42, v19, s15
	s_waitcnt lgkmcnt(0)
	v_mad_u64_u32 v[37:38], null, v19, s14, 0
	s_mov_b32 s0, -1
	s_mov_b32 s13, exec_lo
	s_delay_alu instid0(VALU_DEP_4) | instskip(NEXT) | instid1(VALU_DEP_2)
	v_add3_u32 v36, v36, v40, v39
	v_add3_u32 v38, v38, v42, v41
	s_delay_alu instid0(VALU_DEP_2) | instskip(NEXT) | instid1(VALU_DEP_2)
	v_lshlrev_b64 v[35:36], 3, v[35:36]
	v_lshlrev_b64 v[39:40], 3, v[37:38]
	s_delay_alu instid0(VALU_DEP_2) | instskip(NEXT) | instid1(VALU_DEP_3)
	v_add_co_u32 v37, vcc_lo, s20, v35
	v_add_co_ci_u32_e32 v38, vcc_lo, s21, v36, vcc_lo
	s_delay_alu instid0(VALU_DEP_3) | instskip(NEXT) | instid1(VALU_DEP_4)
	v_add_co_u32 v35, vcc_lo, s20, v39
	v_add_co_ci_u32_e32 v36, vcc_lo, s21, v40, vcc_lo
	s_clause 0x1
	global_load_b64 v[39:40], v[37:38], off
	global_load_b64 v[41:42], v[35:36], off
	s_waitcnt vmcnt(0)
	v_cmpx_eq_u64_e64 v[39:40], v[41:42]
	s_cbranch_execz .LBB609_132
; %bb.126:
	v_add_co_u32 v35, vcc_lo, v35, 8
	v_add_co_ci_u32_e32 v36, vcc_lo, 0, v36, vcc_lo
	v_add_co_u32 v37, vcc_lo, v37, 8
	v_add_co_ci_u32_e32 v38, vcc_lo, 0, v38, vcc_lo
	s_add_u32 s4, s14, -1
	s_addc_u32 s5, s15, -1
	s_mov_b64 s[6:7], 0
                                        ; implicit-def: $sgpr26
	s_set_inst_prefetch_distance 0x1
	s_branch .LBB609_129
	.p2align	6
.LBB609_127:                            ;   in Loop: Header=BB609_129 Depth=1
	global_load_b64 v[39:40], v[37:38], off
	global_load_b64 v[41:42], v[35:36], off
	v_add_co_u32 v35, vcc_lo, v35, 8
	v_add_co_ci_u32_e32 v36, vcc_lo, 0, v36, vcc_lo
	v_add_co_u32 v37, s0, v37, 8
	s_delay_alu instid0(VALU_DEP_1)
	v_add_co_ci_u32_e64 v38, s0, 0, v38, s0
	s_add_u32 s6, s6, 1
	s_addc_u32 s7, s7, 0
	s_and_not1_b32 s0, s26, exec_lo
	s_waitcnt vmcnt(0)
	v_cmp_ne_u64_e32 vcc_lo, v[39:40], v[41:42]
	s_and_b32 s26, vcc_lo, exec_lo
	s_delay_alu instid0(SALU_CYCLE_1)
	s_or_b32 s26, s0, s26
.LBB609_128:                            ;   in Loop: Header=BB609_129 Depth=1
	v_dual_mov_b32 v40, s7 :: v_dual_mov_b32 v39, s6
	s_and_b32 s0, exec_lo, s26
	s_delay_alu instid0(SALU_CYCLE_1) | instskip(NEXT) | instid1(SALU_CYCLE_1)
	s_or_b32 s24, s0, s24
	s_and_not1_b32 exec_lo, exec_lo, s24
	s_cbranch_execz .LBB609_131
.LBB609_129:                            ; =>This Inner Loop Header: Depth=1
	s_or_b32 s26, s26, exec_lo
	s_cmp_eq_u64 s[4:5], s[6:7]
	s_cbranch_scc0 .LBB609_127
; %bb.130:                              ;   in Loop: Header=BB609_129 Depth=1
	s_mov_b64 s[6:7], s[14:15]
                                        ; implicit-def: $vgpr35_vgpr36
                                        ; implicit-def: $vgpr37_vgpr38
	s_branch .LBB609_128
.LBB609_131:
	s_set_inst_prefetch_distance 0x2
	s_or_b32 exec_lo, exec_lo, s24
	v_cmp_gt_i64_e32 vcc_lo, s[14:15], v[39:40]
	s_or_not1_b32 s0, vcc_lo, exec_lo
.LBB609_132:
	s_or_b32 exec_lo, exec_lo, s13
.LBB609_133:
	s_delay_alu instid0(SALU_CYCLE_1)
	s_and_b32 s24, s0, exec_lo
.LBB609_134:
	s_or_b32 exec_lo, exec_lo, s25
	v_or_b32_e32 v35, 6, v55
	s_mov_b32 s13, exec_lo
	s_delay_alu instid0(VALU_DEP_1)
	v_cmpx_gt_u32_e64 s31, v35
	s_cbranch_execz .LBB609_145
; %bb.135:
	v_cmp_ne_u32_e32 vcc_lo, 1, v43
	s_mov_b32 s0, 0
	s_cbranch_vccnz .LBB609_144
; %bb.136:
	v_mul_lo_u32 v39, v24, s14
	v_mul_lo_u32 v40, v23, s15
	v_mad_u64_u32 v[35:36], null, v23, s14, 0
	v_mul_lo_u32 v41, v18, s14
	v_mul_lo_u32 v42, v17, s15
	s_waitcnt lgkmcnt(0)
	v_mad_u64_u32 v[37:38], null, v17, s14, 0
	s_mov_b32 s0, -1
	s_mov_b32 s1, exec_lo
	s_delay_alu instid0(VALU_DEP_4) | instskip(NEXT) | instid1(VALU_DEP_2)
	v_add3_u32 v36, v36, v40, v39
	v_add3_u32 v38, v38, v42, v41
	s_delay_alu instid0(VALU_DEP_2) | instskip(NEXT) | instid1(VALU_DEP_2)
	v_lshlrev_b64 v[35:36], 3, v[35:36]
	v_lshlrev_b64 v[39:40], 3, v[37:38]
	s_delay_alu instid0(VALU_DEP_2) | instskip(NEXT) | instid1(VALU_DEP_3)
	v_add_co_u32 v37, vcc_lo, s20, v35
	v_add_co_ci_u32_e32 v38, vcc_lo, s21, v36, vcc_lo
	s_delay_alu instid0(VALU_DEP_3) | instskip(NEXT) | instid1(VALU_DEP_4)
	v_add_co_u32 v35, vcc_lo, s20, v39
	v_add_co_ci_u32_e32 v36, vcc_lo, s21, v40, vcc_lo
	s_clause 0x1
	global_load_b64 v[39:40], v[37:38], off
	global_load_b64 v[41:42], v[35:36], off
	s_waitcnt vmcnt(0)
	v_cmpx_eq_u64_e64 v[39:40], v[41:42]
	s_cbranch_execz .LBB609_143
; %bb.137:
	v_add_co_u32 v35, vcc_lo, v35, 8
	v_add_co_ci_u32_e32 v36, vcc_lo, 0, v36, vcc_lo
	v_add_co_u32 v37, vcc_lo, v37, 8
	v_add_co_ci_u32_e32 v38, vcc_lo, 0, v38, vcc_lo
	s_add_u32 s4, s14, -1
	s_addc_u32 s5, s15, -1
	s_mov_b64 s[6:7], 0
	s_mov_b32 s25, 0
                                        ; implicit-def: $sgpr26
	s_set_inst_prefetch_distance 0x1
	s_branch .LBB609_140
	.p2align	6
.LBB609_138:                            ;   in Loop: Header=BB609_140 Depth=1
	global_load_b64 v[39:40], v[37:38], off
	global_load_b64 v[41:42], v[35:36], off
	v_add_co_u32 v35, vcc_lo, v35, 8
	v_add_co_ci_u32_e32 v36, vcc_lo, 0, v36, vcc_lo
	v_add_co_u32 v37, s0, v37, 8
	s_delay_alu instid0(VALU_DEP_1)
	v_add_co_ci_u32_e64 v38, s0, 0, v38, s0
	s_add_u32 s6, s6, 1
	s_addc_u32 s7, s7, 0
	s_and_not1_b32 s0, s26, exec_lo
	s_waitcnt vmcnt(0)
	v_cmp_ne_u64_e32 vcc_lo, v[39:40], v[41:42]
	s_and_b32 s26, vcc_lo, exec_lo
	s_delay_alu instid0(SALU_CYCLE_1)
	s_or_b32 s26, s0, s26
.LBB609_139:                            ;   in Loop: Header=BB609_140 Depth=1
	v_dual_mov_b32 v40, s7 :: v_dual_mov_b32 v39, s6
	s_and_b32 s0, exec_lo, s26
	s_delay_alu instid0(SALU_CYCLE_1) | instskip(NEXT) | instid1(SALU_CYCLE_1)
	s_or_b32 s25, s0, s25
	s_and_not1_b32 exec_lo, exec_lo, s25
	s_cbranch_execz .LBB609_142
.LBB609_140:                            ; =>This Inner Loop Header: Depth=1
	s_or_b32 s26, s26, exec_lo
	s_cmp_eq_u64 s[4:5], s[6:7]
	s_cbranch_scc0 .LBB609_138
; %bb.141:                              ;   in Loop: Header=BB609_140 Depth=1
	s_mov_b64 s[6:7], s[14:15]
                                        ; implicit-def: $vgpr35_vgpr36
                                        ; implicit-def: $vgpr37_vgpr38
	s_branch .LBB609_139
.LBB609_142:
	s_set_inst_prefetch_distance 0x2
	s_or_b32 exec_lo, exec_lo, s25
	v_cmp_gt_i64_e32 vcc_lo, s[14:15], v[39:40]
	s_or_not1_b32 s0, vcc_lo, exec_lo
.LBB609_143:
	s_or_b32 exec_lo, exec_lo, s1
.LBB609_144:
	s_delay_alu instid0(SALU_CYCLE_1)
	s_and_b32 s1, s0, exec_lo
.LBB609_145:
	s_or_b32 exec_lo, exec_lo, s13
	v_or_b32_e32 v35, 5, v55
	s_mov_b32 s25, 0
	s_mov_b32 s13, 0
	s_mov_b32 s26, exec_lo
	s_delay_alu instid0(VALU_DEP_1)
	v_cmpx_gt_u32_e64 s31, v35
	s_cbranch_execz .LBB609_156
; %bb.146:
	v_cmp_ne_u32_e32 vcc_lo, 1, v43
	s_mov_b32 s0, 0
	s_cbranch_vccnz .LBB609_155
; %bb.147:
	v_mul_lo_u32 v39, v22, s14
	v_mul_lo_u32 v40, v21, s15
	v_mad_u64_u32 v[35:36], null, v21, s14, 0
	v_mul_lo_u32 v41, v24, s14
	v_mul_lo_u32 v42, v23, s15
	s_waitcnt lgkmcnt(0)
	v_mad_u64_u32 v[37:38], null, v23, s14, 0
	s_mov_b32 s0, -1
	s_mov_b32 s13, exec_lo
	s_delay_alu instid0(VALU_DEP_4) | instskip(NEXT) | instid1(VALU_DEP_2)
	v_add3_u32 v36, v36, v40, v39
	v_add3_u32 v38, v38, v42, v41
	s_delay_alu instid0(VALU_DEP_2) | instskip(NEXT) | instid1(VALU_DEP_2)
	v_lshlrev_b64 v[35:36], 3, v[35:36]
	v_lshlrev_b64 v[39:40], 3, v[37:38]
	s_delay_alu instid0(VALU_DEP_2) | instskip(NEXT) | instid1(VALU_DEP_3)
	v_add_co_u32 v37, vcc_lo, s20, v35
	v_add_co_ci_u32_e32 v38, vcc_lo, s21, v36, vcc_lo
	s_delay_alu instid0(VALU_DEP_3) | instskip(NEXT) | instid1(VALU_DEP_4)
	v_add_co_u32 v35, vcc_lo, s20, v39
	v_add_co_ci_u32_e32 v36, vcc_lo, s21, v40, vcc_lo
	s_clause 0x1
	global_load_b64 v[39:40], v[37:38], off
	global_load_b64 v[41:42], v[35:36], off
	s_waitcnt vmcnt(0)
	v_cmpx_eq_u64_e64 v[39:40], v[41:42]
	s_cbranch_execz .LBB609_154
; %bb.148:
	v_add_co_u32 v35, vcc_lo, v35, 8
	v_add_co_ci_u32_e32 v36, vcc_lo, 0, v36, vcc_lo
	v_add_co_u32 v37, vcc_lo, v37, 8
	v_add_co_ci_u32_e32 v38, vcc_lo, 0, v38, vcc_lo
	s_add_u32 s4, s14, -1
	s_addc_u32 s5, s15, -1
	s_mov_b64 s[6:7], 0
	s_mov_b32 s27, 0
                                        ; implicit-def: $sgpr34
	s_set_inst_prefetch_distance 0x1
	s_branch .LBB609_151
	.p2align	6
.LBB609_149:                            ;   in Loop: Header=BB609_151 Depth=1
	global_load_b64 v[39:40], v[37:38], off
	global_load_b64 v[41:42], v[35:36], off
	v_add_co_u32 v35, vcc_lo, v35, 8
	v_add_co_ci_u32_e32 v36, vcc_lo, 0, v36, vcc_lo
	v_add_co_u32 v37, s0, v37, 8
	s_delay_alu instid0(VALU_DEP_1)
	v_add_co_ci_u32_e64 v38, s0, 0, v38, s0
	s_add_u32 s6, s6, 1
	s_addc_u32 s7, s7, 0
	s_and_not1_b32 s0, s34, exec_lo
	s_waitcnt vmcnt(0)
	v_cmp_ne_u64_e32 vcc_lo, v[39:40], v[41:42]
	s_and_b32 s34, vcc_lo, exec_lo
	s_delay_alu instid0(SALU_CYCLE_1)
	s_or_b32 s34, s0, s34
.LBB609_150:                            ;   in Loop: Header=BB609_151 Depth=1
	v_dual_mov_b32 v40, s7 :: v_dual_mov_b32 v39, s6
	s_and_b32 s0, exec_lo, s34
	s_delay_alu instid0(SALU_CYCLE_1) | instskip(NEXT) | instid1(SALU_CYCLE_1)
	s_or_b32 s27, s0, s27
	s_and_not1_b32 exec_lo, exec_lo, s27
	s_cbranch_execz .LBB609_153
.LBB609_151:                            ; =>This Inner Loop Header: Depth=1
	s_or_b32 s34, s34, exec_lo
	s_cmp_eq_u64 s[4:5], s[6:7]
	s_cbranch_scc0 .LBB609_149
; %bb.152:                              ;   in Loop: Header=BB609_151 Depth=1
	s_mov_b64 s[6:7], s[14:15]
                                        ; implicit-def: $vgpr35_vgpr36
                                        ; implicit-def: $vgpr37_vgpr38
	s_branch .LBB609_150
.LBB609_153:
	s_set_inst_prefetch_distance 0x2
	s_or_b32 exec_lo, exec_lo, s27
	v_cmp_gt_i64_e32 vcc_lo, s[14:15], v[39:40]
	s_or_not1_b32 s0, vcc_lo, exec_lo
.LBB609_154:
	s_or_b32 exec_lo, exec_lo, s13
.LBB609_155:
	s_delay_alu instid0(SALU_CYCLE_1)
	s_and_b32 s13, s0, exec_lo
.LBB609_156:
	s_or_b32 exec_lo, exec_lo, s26
	v_or_b32_e32 v35, 4, v55
	s_mov_b32 s26, exec_lo
	s_delay_alu instid0(VALU_DEP_1)
	v_cmpx_gt_u32_e64 s31, v35
	s_cbranch_execz .LBB609_167
; %bb.157:
	v_cmp_ne_u32_e32 vcc_lo, 1, v43
	s_mov_b32 s0, 0
	s_cbranch_vccnz .LBB609_166
; %bb.158:
	v_mul_lo_u32 v39, v28, s14
	v_mul_lo_u32 v40, v27, s15
	v_mad_u64_u32 v[35:36], null, v27, s14, 0
	v_mul_lo_u32 v41, v22, s14
	v_mul_lo_u32 v42, v21, s15
	s_waitcnt lgkmcnt(0)
	v_mad_u64_u32 v[37:38], null, v21, s14, 0
	s_mov_b32 s0, -1
	s_mov_b32 s25, exec_lo
	s_delay_alu instid0(VALU_DEP_4) | instskip(NEXT) | instid1(VALU_DEP_2)
	v_add3_u32 v36, v36, v40, v39
	v_add3_u32 v38, v38, v42, v41
	s_delay_alu instid0(VALU_DEP_2) | instskip(NEXT) | instid1(VALU_DEP_2)
	v_lshlrev_b64 v[35:36], 3, v[35:36]
	v_lshlrev_b64 v[39:40], 3, v[37:38]
	s_delay_alu instid0(VALU_DEP_2) | instskip(NEXT) | instid1(VALU_DEP_3)
	v_add_co_u32 v37, vcc_lo, s20, v35
	v_add_co_ci_u32_e32 v38, vcc_lo, s21, v36, vcc_lo
	s_delay_alu instid0(VALU_DEP_3) | instskip(NEXT) | instid1(VALU_DEP_4)
	v_add_co_u32 v35, vcc_lo, s20, v39
	v_add_co_ci_u32_e32 v36, vcc_lo, s21, v40, vcc_lo
	s_clause 0x1
	global_load_b64 v[39:40], v[37:38], off
	global_load_b64 v[41:42], v[35:36], off
	s_waitcnt vmcnt(0)
	v_cmpx_eq_u64_e64 v[39:40], v[41:42]
	s_cbranch_execz .LBB609_165
; %bb.159:
	v_add_co_u32 v35, vcc_lo, v35, 8
	v_add_co_ci_u32_e32 v36, vcc_lo, 0, v36, vcc_lo
	v_add_co_u32 v37, vcc_lo, v37, 8
	v_add_co_ci_u32_e32 v38, vcc_lo, 0, v38, vcc_lo
	s_add_u32 s4, s14, -1
	s_addc_u32 s5, s15, -1
	s_mov_b64 s[6:7], 0
	s_mov_b32 s27, 0
                                        ; implicit-def: $sgpr34
	s_set_inst_prefetch_distance 0x1
	s_branch .LBB609_162
	.p2align	6
.LBB609_160:                            ;   in Loop: Header=BB609_162 Depth=1
	global_load_b64 v[39:40], v[37:38], off
	global_load_b64 v[41:42], v[35:36], off
	v_add_co_u32 v35, vcc_lo, v35, 8
	v_add_co_ci_u32_e32 v36, vcc_lo, 0, v36, vcc_lo
	v_add_co_u32 v37, s0, v37, 8
	s_delay_alu instid0(VALU_DEP_1)
	v_add_co_ci_u32_e64 v38, s0, 0, v38, s0
	s_add_u32 s6, s6, 1
	s_addc_u32 s7, s7, 0
	s_and_not1_b32 s0, s34, exec_lo
	s_waitcnt vmcnt(0)
	v_cmp_ne_u64_e32 vcc_lo, v[39:40], v[41:42]
	s_and_b32 s34, vcc_lo, exec_lo
	s_delay_alu instid0(SALU_CYCLE_1)
	s_or_b32 s34, s0, s34
.LBB609_161:                            ;   in Loop: Header=BB609_162 Depth=1
	v_dual_mov_b32 v40, s7 :: v_dual_mov_b32 v39, s6
	s_and_b32 s0, exec_lo, s34
	s_delay_alu instid0(SALU_CYCLE_1) | instskip(NEXT) | instid1(SALU_CYCLE_1)
	s_or_b32 s27, s0, s27
	s_and_not1_b32 exec_lo, exec_lo, s27
	s_cbranch_execz .LBB609_164
.LBB609_162:                            ; =>This Inner Loop Header: Depth=1
	s_or_b32 s34, s34, exec_lo
	s_cmp_eq_u64 s[4:5], s[6:7]
	s_cbranch_scc0 .LBB609_160
; %bb.163:                              ;   in Loop: Header=BB609_162 Depth=1
	s_mov_b64 s[6:7], s[14:15]
                                        ; implicit-def: $vgpr35_vgpr36
                                        ; implicit-def: $vgpr37_vgpr38
	s_branch .LBB609_161
.LBB609_164:
	s_set_inst_prefetch_distance 0x2
	s_or_b32 exec_lo, exec_lo, s27
	v_cmp_gt_i64_e32 vcc_lo, s[14:15], v[39:40]
	s_or_not1_b32 s0, vcc_lo, exec_lo
.LBB609_165:
	s_or_b32 exec_lo, exec_lo, s25
.LBB609_166:
	s_delay_alu instid0(SALU_CYCLE_1)
	s_and_b32 s25, s0, exec_lo
.LBB609_167:
	s_or_b32 exec_lo, exec_lo, s26
	v_or_b32_e32 v35, 3, v55
	s_mov_b32 s27, 0
	s_mov_b32 s26, 0
	s_mov_b32 s34, exec_lo
	s_delay_alu instid0(VALU_DEP_1)
	v_cmpx_gt_u32_e64 s31, v35
	s_cbranch_execz .LBB609_178
; %bb.168:
	v_cmp_ne_u32_e32 vcc_lo, 1, v43
	s_mov_b32 s0, 0
	s_cbranch_vccnz .LBB609_177
; %bb.169:
	v_mul_lo_u32 v39, v26, s14
	v_mul_lo_u32 v40, v25, s15
	v_mad_u64_u32 v[35:36], null, v25, s14, 0
	v_mul_lo_u32 v41, v28, s14
	v_mul_lo_u32 v42, v27, s15
	s_waitcnt lgkmcnt(0)
	v_mad_u64_u32 v[37:38], null, v27, s14, 0
	s_mov_b32 s0, -1
	s_mov_b32 s26, exec_lo
	s_delay_alu instid0(VALU_DEP_4) | instskip(NEXT) | instid1(VALU_DEP_2)
	v_add3_u32 v36, v36, v40, v39
	v_add3_u32 v38, v38, v42, v41
	s_delay_alu instid0(VALU_DEP_2) | instskip(NEXT) | instid1(VALU_DEP_2)
	v_lshlrev_b64 v[35:36], 3, v[35:36]
	v_lshlrev_b64 v[39:40], 3, v[37:38]
	s_delay_alu instid0(VALU_DEP_2) | instskip(NEXT) | instid1(VALU_DEP_3)
	v_add_co_u32 v37, vcc_lo, s20, v35
	v_add_co_ci_u32_e32 v38, vcc_lo, s21, v36, vcc_lo
	s_delay_alu instid0(VALU_DEP_3) | instskip(NEXT) | instid1(VALU_DEP_4)
	v_add_co_u32 v35, vcc_lo, s20, v39
	v_add_co_ci_u32_e32 v36, vcc_lo, s21, v40, vcc_lo
	s_clause 0x1
	global_load_b64 v[39:40], v[37:38], off
	global_load_b64 v[41:42], v[35:36], off
	s_waitcnt vmcnt(0)
	v_cmpx_eq_u64_e64 v[39:40], v[41:42]
	s_cbranch_execz .LBB609_176
; %bb.170:
	v_add_co_u32 v35, vcc_lo, v35, 8
	v_add_co_ci_u32_e32 v36, vcc_lo, 0, v36, vcc_lo
	v_add_co_u32 v37, vcc_lo, v37, 8
	v_add_co_ci_u32_e32 v38, vcc_lo, 0, v38, vcc_lo
	s_add_u32 s4, s14, -1
	s_addc_u32 s5, s15, -1
	s_mov_b64 s[6:7], 0
	s_mov_b32 s35, 0
                                        ; implicit-def: $sgpr36
	s_set_inst_prefetch_distance 0x1
	s_branch .LBB609_173
	.p2align	6
.LBB609_171:                            ;   in Loop: Header=BB609_173 Depth=1
	global_load_b64 v[39:40], v[37:38], off
	global_load_b64 v[41:42], v[35:36], off
	v_add_co_u32 v35, vcc_lo, v35, 8
	v_add_co_ci_u32_e32 v36, vcc_lo, 0, v36, vcc_lo
	v_add_co_u32 v37, s0, v37, 8
	s_delay_alu instid0(VALU_DEP_1)
	v_add_co_ci_u32_e64 v38, s0, 0, v38, s0
	s_add_u32 s6, s6, 1
	s_addc_u32 s7, s7, 0
	s_and_not1_b32 s0, s36, exec_lo
	s_waitcnt vmcnt(0)
	v_cmp_ne_u64_e32 vcc_lo, v[39:40], v[41:42]
	s_and_b32 s36, vcc_lo, exec_lo
	s_delay_alu instid0(SALU_CYCLE_1)
	s_or_b32 s36, s0, s36
.LBB609_172:                            ;   in Loop: Header=BB609_173 Depth=1
	v_dual_mov_b32 v40, s7 :: v_dual_mov_b32 v39, s6
	s_and_b32 s0, exec_lo, s36
	s_delay_alu instid0(SALU_CYCLE_1) | instskip(NEXT) | instid1(SALU_CYCLE_1)
	s_or_b32 s35, s0, s35
	s_and_not1_b32 exec_lo, exec_lo, s35
	s_cbranch_execz .LBB609_175
.LBB609_173:                            ; =>This Inner Loop Header: Depth=1
	s_or_b32 s36, s36, exec_lo
	s_cmp_eq_u64 s[4:5], s[6:7]
	s_cbranch_scc0 .LBB609_171
; %bb.174:                              ;   in Loop: Header=BB609_173 Depth=1
	s_mov_b64 s[6:7], s[14:15]
                                        ; implicit-def: $vgpr35_vgpr36
                                        ; implicit-def: $vgpr37_vgpr38
	s_branch .LBB609_172
.LBB609_175:
	s_set_inst_prefetch_distance 0x2
	s_or_b32 exec_lo, exec_lo, s35
	v_cmp_gt_i64_e32 vcc_lo, s[14:15], v[39:40]
	s_or_not1_b32 s0, vcc_lo, exec_lo
.LBB609_176:
	s_or_b32 exec_lo, exec_lo, s26
.LBB609_177:
	s_delay_alu instid0(SALU_CYCLE_1)
	s_and_b32 s26, s0, exec_lo
.LBB609_178:
	s_or_b32 exec_lo, exec_lo, s34
	v_or_b32_e32 v35, 2, v55
	s_mov_b32 s34, exec_lo
	s_delay_alu instid0(VALU_DEP_1)
	v_cmpx_gt_u32_e64 s31, v35
	s_cbranch_execz .LBB609_189
; %bb.179:
	v_cmp_ne_u32_e32 vcc_lo, 1, v43
	s_mov_b32 s0, 0
	s_cbranch_vccnz .LBB609_188
; %bb.180:
	v_mul_lo_u32 v39, v32, s14
	v_mul_lo_u32 v40, v31, s15
	v_mad_u64_u32 v[35:36], null, v31, s14, 0
	v_mul_lo_u32 v41, v26, s14
	v_mul_lo_u32 v42, v25, s15
	s_waitcnt lgkmcnt(0)
	v_mad_u64_u32 v[37:38], null, v25, s14, 0
	s_mov_b32 s0, -1
	s_mov_b32 s27, exec_lo
	s_delay_alu instid0(VALU_DEP_4) | instskip(NEXT) | instid1(VALU_DEP_2)
	v_add3_u32 v36, v36, v40, v39
	v_add3_u32 v38, v38, v42, v41
	s_delay_alu instid0(VALU_DEP_2) | instskip(NEXT) | instid1(VALU_DEP_2)
	v_lshlrev_b64 v[35:36], 3, v[35:36]
	v_lshlrev_b64 v[39:40], 3, v[37:38]
	s_delay_alu instid0(VALU_DEP_2) | instskip(NEXT) | instid1(VALU_DEP_3)
	v_add_co_u32 v37, vcc_lo, s20, v35
	v_add_co_ci_u32_e32 v38, vcc_lo, s21, v36, vcc_lo
	s_delay_alu instid0(VALU_DEP_3) | instskip(NEXT) | instid1(VALU_DEP_4)
	v_add_co_u32 v35, vcc_lo, s20, v39
	v_add_co_ci_u32_e32 v36, vcc_lo, s21, v40, vcc_lo
	s_clause 0x1
	global_load_b64 v[39:40], v[37:38], off
	global_load_b64 v[41:42], v[35:36], off
	s_waitcnt vmcnt(0)
	v_cmpx_eq_u64_e64 v[39:40], v[41:42]
	s_cbranch_execz .LBB609_187
; %bb.181:
	v_add_co_u32 v35, vcc_lo, v35, 8
	v_add_co_ci_u32_e32 v36, vcc_lo, 0, v36, vcc_lo
	v_add_co_u32 v37, vcc_lo, v37, 8
	v_add_co_ci_u32_e32 v38, vcc_lo, 0, v38, vcc_lo
	s_add_u32 s4, s14, -1
	s_addc_u32 s5, s15, -1
	s_mov_b64 s[6:7], 0
	s_mov_b32 s35, 0
                                        ; implicit-def: $sgpr36
	s_set_inst_prefetch_distance 0x1
	s_branch .LBB609_184
	.p2align	6
.LBB609_182:                            ;   in Loop: Header=BB609_184 Depth=1
	global_load_b64 v[39:40], v[37:38], off
	global_load_b64 v[41:42], v[35:36], off
	v_add_co_u32 v35, vcc_lo, v35, 8
	v_add_co_ci_u32_e32 v36, vcc_lo, 0, v36, vcc_lo
	v_add_co_u32 v37, s0, v37, 8
	s_delay_alu instid0(VALU_DEP_1)
	v_add_co_ci_u32_e64 v38, s0, 0, v38, s0
	s_add_u32 s6, s6, 1
	s_addc_u32 s7, s7, 0
	s_and_not1_b32 s0, s36, exec_lo
	s_waitcnt vmcnt(0)
	v_cmp_ne_u64_e32 vcc_lo, v[39:40], v[41:42]
	s_and_b32 s36, vcc_lo, exec_lo
	s_delay_alu instid0(SALU_CYCLE_1)
	s_or_b32 s36, s0, s36
.LBB609_183:                            ;   in Loop: Header=BB609_184 Depth=1
	v_dual_mov_b32 v40, s7 :: v_dual_mov_b32 v39, s6
	s_and_b32 s0, exec_lo, s36
	s_delay_alu instid0(SALU_CYCLE_1) | instskip(NEXT) | instid1(SALU_CYCLE_1)
	s_or_b32 s35, s0, s35
	s_and_not1_b32 exec_lo, exec_lo, s35
	s_cbranch_execz .LBB609_186
.LBB609_184:                            ; =>This Inner Loop Header: Depth=1
	s_or_b32 s36, s36, exec_lo
	s_cmp_eq_u64 s[4:5], s[6:7]
	s_cbranch_scc0 .LBB609_182
; %bb.185:                              ;   in Loop: Header=BB609_184 Depth=1
	s_mov_b64 s[6:7], s[14:15]
                                        ; implicit-def: $vgpr35_vgpr36
                                        ; implicit-def: $vgpr37_vgpr38
	s_branch .LBB609_183
.LBB609_186:
	s_set_inst_prefetch_distance 0x2
	s_or_b32 exec_lo, exec_lo, s35
	v_cmp_gt_i64_e32 vcc_lo, s[14:15], v[39:40]
	s_or_not1_b32 s0, vcc_lo, exec_lo
.LBB609_187:
	s_or_b32 exec_lo, exec_lo, s27
.LBB609_188:
	s_delay_alu instid0(SALU_CYCLE_1)
	s_and_b32 s27, s0, exec_lo
.LBB609_189:
	s_or_b32 exec_lo, exec_lo, s34
	v_or_b32_e32 v35, 1, v55
	s_mov_b32 s0, 0
	s_mov_b32 s34, exec_lo
	s_delay_alu instid0(VALU_DEP_1)
	v_cmpx_gt_u32_e64 s31, v35
	s_cbranch_execz .LBB609_200
; %bb.190:
	v_cmp_ne_u32_e32 vcc_lo, 1, v43
	s_cbranch_vccnz .LBB609_199
; %bb.191:
	v_mul_lo_u32 v39, v30, s14
	v_mul_lo_u32 v40, v29, s15
	v_mad_u64_u32 v[35:36], null, v29, s14, 0
	v_mul_lo_u32 v41, v32, s14
	v_mul_lo_u32 v42, v31, s15
	s_waitcnt lgkmcnt(0)
	v_mad_u64_u32 v[37:38], null, v31, s14, 0
	s_mov_b32 s0, -1
	s_mov_b32 s35, exec_lo
	s_delay_alu instid0(VALU_DEP_4) | instskip(NEXT) | instid1(VALU_DEP_2)
	v_add3_u32 v36, v36, v40, v39
	v_add3_u32 v38, v38, v42, v41
	s_delay_alu instid0(VALU_DEP_2) | instskip(NEXT) | instid1(VALU_DEP_2)
	v_lshlrev_b64 v[35:36], 3, v[35:36]
	v_lshlrev_b64 v[39:40], 3, v[37:38]
	s_delay_alu instid0(VALU_DEP_2) | instskip(NEXT) | instid1(VALU_DEP_3)
	v_add_co_u32 v37, vcc_lo, s20, v35
	v_add_co_ci_u32_e32 v38, vcc_lo, s21, v36, vcc_lo
	s_delay_alu instid0(VALU_DEP_3) | instskip(NEXT) | instid1(VALU_DEP_4)
	v_add_co_u32 v35, vcc_lo, s20, v39
	v_add_co_ci_u32_e32 v36, vcc_lo, s21, v40, vcc_lo
	s_clause 0x1
	global_load_b64 v[39:40], v[37:38], off
	global_load_b64 v[41:42], v[35:36], off
	s_waitcnt vmcnt(0)
	v_cmpx_eq_u64_e64 v[39:40], v[41:42]
	s_cbranch_execz .LBB609_198
; %bb.192:
	v_add_co_u32 v35, vcc_lo, v35, 8
	v_add_co_ci_u32_e32 v36, vcc_lo, 0, v36, vcc_lo
	v_add_co_u32 v37, vcc_lo, v37, 8
	v_add_co_ci_u32_e32 v38, vcc_lo, 0, v38, vcc_lo
	s_add_u32 s4, s14, -1
	s_addc_u32 s5, s15, -1
	s_mov_b64 s[6:7], 0
	s_mov_b32 s36, 0
                                        ; implicit-def: $sgpr37
	s_set_inst_prefetch_distance 0x1
	s_branch .LBB609_195
	.p2align	6
.LBB609_193:                            ;   in Loop: Header=BB609_195 Depth=1
	global_load_b64 v[39:40], v[37:38], off
	global_load_b64 v[41:42], v[35:36], off
	v_add_co_u32 v35, vcc_lo, v35, 8
	v_add_co_ci_u32_e32 v36, vcc_lo, 0, v36, vcc_lo
	v_add_co_u32 v37, s0, v37, 8
	s_delay_alu instid0(VALU_DEP_1)
	v_add_co_ci_u32_e64 v38, s0, 0, v38, s0
	s_add_u32 s6, s6, 1
	s_addc_u32 s7, s7, 0
	s_and_not1_b32 s0, s37, exec_lo
	s_waitcnt vmcnt(0)
	v_cmp_ne_u64_e32 vcc_lo, v[39:40], v[41:42]
	s_and_b32 s37, vcc_lo, exec_lo
	s_delay_alu instid0(SALU_CYCLE_1)
	s_or_b32 s37, s0, s37
.LBB609_194:                            ;   in Loop: Header=BB609_195 Depth=1
	v_dual_mov_b32 v40, s7 :: v_dual_mov_b32 v39, s6
	s_and_b32 s0, exec_lo, s37
	s_delay_alu instid0(SALU_CYCLE_1) | instskip(NEXT) | instid1(SALU_CYCLE_1)
	s_or_b32 s36, s0, s36
	s_and_not1_b32 exec_lo, exec_lo, s36
	s_cbranch_execz .LBB609_197
.LBB609_195:                            ; =>This Inner Loop Header: Depth=1
	s_or_b32 s37, s37, exec_lo
	s_cmp_eq_u64 s[4:5], s[6:7]
	s_cbranch_scc0 .LBB609_193
; %bb.196:                              ;   in Loop: Header=BB609_195 Depth=1
	s_mov_b64 s[6:7], s[14:15]
                                        ; implicit-def: $vgpr35_vgpr36
                                        ; implicit-def: $vgpr37_vgpr38
	s_branch .LBB609_194
.LBB609_197:
	s_set_inst_prefetch_distance 0x2
	s_or_b32 exec_lo, exec_lo, s36
	v_cmp_gt_i64_e32 vcc_lo, s[14:15], v[39:40]
	s_or_not1_b32 s0, vcc_lo, exec_lo
.LBB609_198:
	s_or_b32 exec_lo, exec_lo, s35
.LBB609_199:
	s_delay_alu instid0(SALU_CYCLE_1)
	s_and_b32 s0, s0, exec_lo
.LBB609_200:
	s_or_b32 exec_lo, exec_lo, s34
	s_waitcnt vmcnt(0) lgkmcnt(0)
	s_barrier
	buffer_gl0_inv
	s_and_saveexec_b32 s4, s3
	s_cbranch_execz .LBB609_202
; %bb.201:
	v_add_nc_u32_e32 v33, -8, v55
	ds_load_b64 v[33:34], v33
.LBB609_202:
	s_or_b32 exec_lo, exec_lo, s4
	v_cndmask_b32_e64 v36, 0, 1, s26
	v_cndmask_b32_e64 v38, 0, 1, s13
	;; [unrolled: 1-line block ×7, first 2 shown]
	v_lshlrev_b16 v36, 8, v36
	v_lshlrev_b16 v38, 8, v38
	;; [unrolled: 1-line block ×3, first 2 shown]
	s_mov_b32 s0, 0
	v_lshlrev_b16 v41, 8, v41
	v_or_b32_e32 v35, v35, v36
	v_or_b32_e32 v36, v37, v38
	v_or_b32_e32 v37, v40, v39
	s_mov_b32 s1, exec_lo
	v_and_b32_e32 v39, 0xffff, v41
	v_lshlrev_b32_e32 v40, 16, v35
	v_and_b32_e32 v41, 0xffff, v36
	v_lshlrev_b32_e32 v42, 16, v37
	v_cmpx_gt_u32_e64 s31, v55
	s_cbranch_execz .LBB609_213
; %bb.203:
	v_cmp_ne_u32_e32 vcc_lo, 1, v43
	s_cbranch_vccnz .LBB609_212
; %bb.204:
	s_waitcnt lgkmcnt(0)
	v_mul_lo_u32 v38, v34, s14
	v_mul_lo_u32 v43, v33, s15
	v_mad_u64_u32 v[34:35], null, v33, s14, 0
	v_mul_lo_u32 v33, v30, s14
	v_mul_lo_u32 v44, v29, s15
	v_mad_u64_u32 v[36:37], null, v29, s14, 0
	s_mov_b32 s0, -1
	s_mov_b32 s13, exec_lo
	s_delay_alu instid0(VALU_DEP_4) | instskip(NEXT) | instid1(VALU_DEP_2)
	v_add3_u32 v35, v35, v43, v38
	v_add3_u32 v37, v37, v44, v33
	s_delay_alu instid0(VALU_DEP_2) | instskip(NEXT) | instid1(VALU_DEP_2)
	v_lshlrev_b64 v[33:34], 3, v[34:35]
	v_lshlrev_b64 v[37:38], 3, v[36:37]
	s_delay_alu instid0(VALU_DEP_2) | instskip(NEXT) | instid1(VALU_DEP_3)
	v_add_co_u32 v35, vcc_lo, s20, v33
	v_add_co_ci_u32_e32 v36, vcc_lo, s21, v34, vcc_lo
	s_delay_alu instid0(VALU_DEP_3) | instskip(NEXT) | instid1(VALU_DEP_4)
	v_add_co_u32 v33, vcc_lo, s20, v37
	v_add_co_ci_u32_e32 v34, vcc_lo, s21, v38, vcc_lo
	s_clause 0x1
	global_load_b64 v[37:38], v[35:36], off
	global_load_b64 v[43:44], v[33:34], off
	s_waitcnt vmcnt(0)
	v_cmpx_eq_u64_e64 v[37:38], v[43:44]
	s_cbranch_execz .LBB609_211
; %bb.205:
	v_add_co_u32 v33, vcc_lo, v33, 8
	v_add_co_ci_u32_e32 v34, vcc_lo, 0, v34, vcc_lo
	v_add_co_u32 v35, vcc_lo, v35, 8
	v_add_co_ci_u32_e32 v36, vcc_lo, 0, v36, vcc_lo
	s_add_u32 s4, s14, -1
	s_addc_u32 s5, s15, -1
	s_mov_b64 s[6:7], 0
	s_mov_b32 s24, 0
                                        ; implicit-def: $sgpr25
	s_set_inst_prefetch_distance 0x1
	s_branch .LBB609_208
	.p2align	6
.LBB609_206:                            ;   in Loop: Header=BB609_208 Depth=1
	global_load_b64 v[37:38], v[35:36], off
	global_load_b64 v[43:44], v[33:34], off
	v_add_co_u32 v33, vcc_lo, v33, 8
	v_add_co_ci_u32_e32 v34, vcc_lo, 0, v34, vcc_lo
	v_add_co_u32 v35, s0, v35, 8
	s_delay_alu instid0(VALU_DEP_1)
	v_add_co_ci_u32_e64 v36, s0, 0, v36, s0
	s_add_u32 s6, s6, 1
	s_addc_u32 s7, s7, 0
	s_and_not1_b32 s0, s25, exec_lo
	s_waitcnt vmcnt(0)
	v_cmp_ne_u64_e32 vcc_lo, v[37:38], v[43:44]
	s_and_b32 s25, vcc_lo, exec_lo
	s_delay_alu instid0(SALU_CYCLE_1)
	s_or_b32 s25, s0, s25
.LBB609_207:                            ;   in Loop: Header=BB609_208 Depth=1
	v_dual_mov_b32 v38, s7 :: v_dual_mov_b32 v37, s6
	s_and_b32 s0, exec_lo, s25
	s_delay_alu instid0(SALU_CYCLE_1) | instskip(NEXT) | instid1(SALU_CYCLE_1)
	s_or_b32 s24, s0, s24
	s_and_not1_b32 exec_lo, exec_lo, s24
	s_cbranch_execz .LBB609_210
.LBB609_208:                            ; =>This Inner Loop Header: Depth=1
	s_or_b32 s25, s25, exec_lo
	s_cmp_eq_u64 s[4:5], s[6:7]
	s_cbranch_scc0 .LBB609_206
; %bb.209:                              ;   in Loop: Header=BB609_208 Depth=1
	s_mov_b64 s[6:7], s[14:15]
                                        ; implicit-def: $vgpr33_vgpr34
                                        ; implicit-def: $vgpr35_vgpr36
	s_branch .LBB609_207
.LBB609_210:
	s_set_inst_prefetch_distance 0x2
	s_or_b32 exec_lo, exec_lo, s24
	v_cmp_gt_i64_e32 vcc_lo, s[14:15], v[37:38]
	s_or_not1_b32 s0, vcc_lo, exec_lo
.LBB609_211:
	s_or_b32 exec_lo, exec_lo, s13
.LBB609_212:
	s_delay_alu instid0(SALU_CYCLE_1)
	s_and_b32 s0, s0, exec_lo
.LBB609_213:
	s_or_b32 exec_lo, exec_lo, s1
	v_or_b32_e32 v35, v39, v40
	v_or_b32_e32 v36, v41, v42
.LBB609_214:
	s_mov_b32 s1, -1
	s_cbranch_execnz .LBB609_383
.LBB609_215:
	v_cmp_gt_i64_e64 s13, s[14:15], 0
	s_and_b32 vcc_lo, exec_lo, s29
	ds_store_b64 v55, v[19:20]
	s_cbranch_vccz .LBB609_223
; %bb.216:
	v_mul_lo_u32 v35, v18, s14
	v_mul_lo_u32 v36, v17, s15
	s_waitcnt vmcnt(0) lgkmcnt(1)
	v_mad_u64_u32 v[33:34], null, v17, s14, 0
	s_mov_b32 s24, 0
	s_and_not1_b32 vcc_lo, exec_lo, s13
	s_mov_b32 s25, 0
	s_delay_alu instid0(VALU_DEP_1) | instskip(NEXT) | instid1(VALU_DEP_1)
	v_add3_u32 v34, v34, v36, v35
	v_lshlrev_b64 v[33:34], 3, v[33:34]
	s_cbranch_vccnz .LBB609_226
; %bb.217:
	v_mul_lo_u32 v37, v20, s14
	v_mul_lo_u32 v38, v19, s15
	v_mad_u64_u32 v[35:36], null, v19, s14, 0
	s_mov_b32 s25, -1
	s_mov_b32 s26, exec_lo
	s_delay_alu instid0(VALU_DEP_1) | instskip(SKIP_2) | instid1(VALU_DEP_3)
	v_add3_u32 v36, v36, v38, v37
	v_add_co_u32 v37, vcc_lo, s20, v33
	v_add_co_ci_u32_e32 v38, vcc_lo, s21, v34, vcc_lo
	v_lshlrev_b64 v[35:36], 3, v[35:36]
	s_delay_alu instid0(VALU_DEP_1) | instskip(NEXT) | instid1(VALU_DEP_2)
	v_add_co_u32 v35, vcc_lo, s20, v35
	v_add_co_ci_u32_e32 v36, vcc_lo, s21, v36, vcc_lo
	s_clause 0x1
	global_load_b64 v[39:40], v[37:38], off
	global_load_b64 v[41:42], v[35:36], off
	s_waitcnt vmcnt(0)
	v_cmpx_eq_u64_e64 v[39:40], v[41:42]
	s_cbranch_execz .LBB609_225
; %bb.218:
	v_add_co_u32 v35, vcc_lo, v35, 8
	v_add_co_ci_u32_e32 v36, vcc_lo, 0, v36, vcc_lo
	v_add_co_u32 v37, vcc_lo, v37, 8
	v_add_co_ci_u32_e32 v38, vcc_lo, 0, v38, vcc_lo
	s_add_u32 s4, s14, -1
	s_addc_u32 s5, s15, -1
	s_mov_b64 s[6:7], 0
	s_mov_b32 s25, 0
                                        ; implicit-def: $sgpr27
	s_set_inst_prefetch_distance 0x1
	s_branch .LBB609_221
	.p2align	6
.LBB609_219:                            ;   in Loop: Header=BB609_221 Depth=1
	global_load_b64 v[39:40], v[37:38], off
	global_load_b64 v[41:42], v[35:36], off
	v_add_co_u32 v35, vcc_lo, v35, 8
	v_add_co_ci_u32_e32 v36, vcc_lo, 0, v36, vcc_lo
	v_add_co_u32 v37, s0, v37, 8
	s_delay_alu instid0(VALU_DEP_1)
	v_add_co_ci_u32_e64 v38, s0, 0, v38, s0
	s_add_u32 s6, s6, 1
	s_addc_u32 s7, s7, 0
	s_and_not1_b32 s0, s27, exec_lo
	s_waitcnt vmcnt(0)
	v_cmp_ne_u64_e32 vcc_lo, v[39:40], v[41:42]
	s_and_b32 s27, vcc_lo, exec_lo
	s_delay_alu instid0(SALU_CYCLE_1)
	s_or_b32 s27, s0, s27
.LBB609_220:                            ;   in Loop: Header=BB609_221 Depth=1
	v_dual_mov_b32 v40, s7 :: v_dual_mov_b32 v39, s6
	s_and_b32 s0, exec_lo, s27
	s_delay_alu instid0(SALU_CYCLE_1) | instskip(NEXT) | instid1(SALU_CYCLE_1)
	s_or_b32 s25, s0, s25
	s_and_not1_b32 exec_lo, exec_lo, s25
	s_cbranch_execz .LBB609_224
.LBB609_221:                            ; =>This Inner Loop Header: Depth=1
	s_or_b32 s27, s27, exec_lo
	s_cmp_eq_u64 s[4:5], s[6:7]
	s_cbranch_scc0 .LBB609_219
; %bb.222:                              ;   in Loop: Header=BB609_221 Depth=1
	s_mov_b64 s[6:7], s[14:15]
                                        ; implicit-def: $vgpr35_vgpr36
                                        ; implicit-def: $vgpr37_vgpr38
	s_branch .LBB609_220
.LBB609_223:
                                        ; implicit-def: $sgpr0
                                        ; implicit-def: $vgpr36
	s_cbranch_execnz .LBB609_292
	s_branch .LBB609_383
.LBB609_224:
	s_set_inst_prefetch_distance 0x2
	s_or_b32 exec_lo, exec_lo, s25
	v_cmp_gt_i64_e32 vcc_lo, s[14:15], v[39:40]
	s_or_not1_b32 s25, vcc_lo, exec_lo
.LBB609_225:
	s_or_b32 exec_lo, exec_lo, s26
.LBB609_226:
	v_mul_lo_u32 v37, v24, s14
	v_mul_lo_u32 v38, v23, s15
	v_mad_u64_u32 v[35:36], null, v23, s14, 0
	s_and_not1_b32 vcc_lo, exec_lo, s13
	s_delay_alu instid0(VALU_DEP_1) | instskip(NEXT) | instid1(VALU_DEP_1)
	v_add3_u32 v36, v36, v38, v37
	v_lshlrev_b64 v[35:36], 3, v[35:36]
	s_cbranch_vccnz .LBB609_235
; %bb.227:
	s_delay_alu instid0(VALU_DEP_1) | instskip(NEXT) | instid1(VALU_DEP_2)
	v_add_co_u32 v37, vcc_lo, s20, v35
	v_add_co_ci_u32_e32 v38, vcc_lo, s21, v36, vcc_lo
	v_add_co_u32 v33, vcc_lo, s20, v33
	v_add_co_ci_u32_e32 v34, vcc_lo, s21, v34, vcc_lo
	s_mov_b32 s24, -1
	s_clause 0x1
	global_load_b64 v[39:40], v[37:38], off
	global_load_b64 v[41:42], v[33:34], off
	s_mov_b32 s26, exec_lo
	s_waitcnt vmcnt(0)
	v_cmpx_eq_u64_e64 v[39:40], v[41:42]
	s_cbranch_execz .LBB609_234
; %bb.228:
	v_add_co_u32 v33, vcc_lo, v33, 8
	v_add_co_ci_u32_e32 v34, vcc_lo, 0, v34, vcc_lo
	v_add_co_u32 v37, vcc_lo, v37, 8
	v_add_co_ci_u32_e32 v38, vcc_lo, 0, v38, vcc_lo
	s_add_u32 s4, s14, -1
	s_addc_u32 s5, s15, -1
	s_mov_b64 s[6:7], 0
	s_mov_b32 s24, 0
                                        ; implicit-def: $sgpr27
	s_set_inst_prefetch_distance 0x1
	s_branch .LBB609_231
	.p2align	6
.LBB609_229:                            ;   in Loop: Header=BB609_231 Depth=1
	global_load_b64 v[39:40], v[37:38], off
	global_load_b64 v[41:42], v[33:34], off
	v_add_co_u32 v33, vcc_lo, v33, 8
	v_add_co_ci_u32_e32 v34, vcc_lo, 0, v34, vcc_lo
	v_add_co_u32 v37, s0, v37, 8
	s_delay_alu instid0(VALU_DEP_1)
	v_add_co_ci_u32_e64 v38, s0, 0, v38, s0
	s_add_u32 s6, s6, 1
	s_addc_u32 s7, s7, 0
	s_and_not1_b32 s0, s27, exec_lo
	s_waitcnt vmcnt(0)
	v_cmp_ne_u64_e32 vcc_lo, v[39:40], v[41:42]
	s_and_b32 s27, vcc_lo, exec_lo
	s_delay_alu instid0(SALU_CYCLE_1)
	s_or_b32 s27, s0, s27
.LBB609_230:                            ;   in Loop: Header=BB609_231 Depth=1
	v_dual_mov_b32 v40, s7 :: v_dual_mov_b32 v39, s6
	s_and_b32 s0, exec_lo, s27
	s_delay_alu instid0(SALU_CYCLE_1) | instskip(NEXT) | instid1(SALU_CYCLE_1)
	s_or_b32 s24, s0, s24
	s_and_not1_b32 exec_lo, exec_lo, s24
	s_cbranch_execz .LBB609_233
.LBB609_231:                            ; =>This Inner Loop Header: Depth=1
	s_or_b32 s27, s27, exec_lo
	s_cmp_eq_u64 s[4:5], s[6:7]
	s_cbranch_scc0 .LBB609_229
; %bb.232:                              ;   in Loop: Header=BB609_231 Depth=1
	s_mov_b64 s[6:7], s[14:15]
                                        ; implicit-def: $vgpr33_vgpr34
                                        ; implicit-def: $vgpr37_vgpr38
	s_branch .LBB609_230
.LBB609_233:
	s_set_inst_prefetch_distance 0x2
	s_or_b32 exec_lo, exec_lo, s24
	v_cmp_gt_i64_e32 vcc_lo, s[14:15], v[39:40]
	s_or_not1_b32 s24, vcc_lo, exec_lo
.LBB609_234:
	s_or_b32 exec_lo, exec_lo, s26
.LBB609_235:
	v_mul_lo_u32 v37, v22, s14
	v_mul_lo_u32 v38, v21, s15
	v_mad_u64_u32 v[33:34], null, v21, s14, 0
	s_mov_b32 s26, 0
	s_and_not1_b32 vcc_lo, exec_lo, s13
	s_mov_b32 s27, 0
	s_delay_alu instid0(VALU_DEP_1) | instskip(NEXT) | instid1(VALU_DEP_1)
	v_add3_u32 v34, v34, v38, v37
	v_lshlrev_b64 v[37:38], 3, v[33:34]
	s_cbranch_vccnz .LBB609_244
; %bb.236:
	s_delay_alu instid0(VALU_DEP_1) | instskip(NEXT) | instid1(VALU_DEP_2)
	v_add_co_u32 v39, vcc_lo, s20, v37
	v_add_co_ci_u32_e32 v40, vcc_lo, s21, v38, vcc_lo
	v_add_co_u32 v33, vcc_lo, s20, v35
	v_add_co_ci_u32_e32 v34, vcc_lo, s21, v36, vcc_lo
	s_mov_b32 s27, -1
	s_clause 0x1
	global_load_b64 v[35:36], v[39:40], off
	global_load_b64 v[41:42], v[33:34], off
	s_mov_b32 s34, exec_lo
	s_waitcnt vmcnt(0)
	v_cmpx_eq_u64_e64 v[35:36], v[41:42]
	s_cbranch_execz .LBB609_243
; %bb.237:
	v_add_co_u32 v33, vcc_lo, v33, 8
	v_add_co_ci_u32_e32 v34, vcc_lo, 0, v34, vcc_lo
	v_add_co_u32 v35, vcc_lo, v39, 8
	v_add_co_ci_u32_e32 v36, vcc_lo, 0, v40, vcc_lo
	s_add_u32 s4, s14, -1
	s_addc_u32 s5, s15, -1
	s_mov_b64 s[6:7], 0
	s_mov_b32 s27, 0
                                        ; implicit-def: $sgpr35
	s_set_inst_prefetch_distance 0x1
	s_branch .LBB609_240
	.p2align	6
.LBB609_238:                            ;   in Loop: Header=BB609_240 Depth=1
	global_load_b64 v[39:40], v[35:36], off
	global_load_b64 v[41:42], v[33:34], off
	v_add_co_u32 v33, vcc_lo, v33, 8
	v_add_co_ci_u32_e32 v34, vcc_lo, 0, v34, vcc_lo
	v_add_co_u32 v35, s0, v35, 8
	s_delay_alu instid0(VALU_DEP_1)
	v_add_co_ci_u32_e64 v36, s0, 0, v36, s0
	s_add_u32 s6, s6, 1
	s_addc_u32 s7, s7, 0
	s_and_not1_b32 s0, s35, exec_lo
	s_waitcnt vmcnt(0)
	v_cmp_ne_u64_e32 vcc_lo, v[39:40], v[41:42]
	s_and_b32 s35, vcc_lo, exec_lo
	s_delay_alu instid0(SALU_CYCLE_1)
	s_or_b32 s35, s0, s35
.LBB609_239:                            ;   in Loop: Header=BB609_240 Depth=1
	v_dual_mov_b32 v40, s7 :: v_dual_mov_b32 v39, s6
	s_and_b32 s0, exec_lo, s35
	s_delay_alu instid0(SALU_CYCLE_1) | instskip(NEXT) | instid1(SALU_CYCLE_1)
	s_or_b32 s27, s0, s27
	s_and_not1_b32 exec_lo, exec_lo, s27
	s_cbranch_execz .LBB609_242
.LBB609_240:                            ; =>This Inner Loop Header: Depth=1
	s_or_b32 s35, s35, exec_lo
	s_cmp_eq_u64 s[4:5], s[6:7]
	s_cbranch_scc0 .LBB609_238
; %bb.241:                              ;   in Loop: Header=BB609_240 Depth=1
	s_mov_b64 s[6:7], s[14:15]
                                        ; implicit-def: $vgpr33_vgpr34
                                        ; implicit-def: $vgpr35_vgpr36
	s_branch .LBB609_239
.LBB609_242:
	s_set_inst_prefetch_distance 0x2
	s_or_b32 exec_lo, exec_lo, s27
	v_cmp_gt_i64_e32 vcc_lo, s[14:15], v[39:40]
	s_or_not1_b32 s27, vcc_lo, exec_lo
.LBB609_243:
	s_or_b32 exec_lo, exec_lo, s34
.LBB609_244:
	v_mul_lo_u32 v35, v28, s14
	v_mul_lo_u32 v36, v27, s15
	v_mad_u64_u32 v[33:34], null, v27, s14, 0
	s_and_not1_b32 vcc_lo, exec_lo, s13
	s_delay_alu instid0(VALU_DEP_1) | instskip(NEXT) | instid1(VALU_DEP_1)
	v_add3_u32 v34, v34, v36, v35
	v_lshlrev_b64 v[33:34], 3, v[33:34]
	s_cbranch_vccnz .LBB609_253
; %bb.245:
	s_delay_alu instid0(VALU_DEP_1) | instskip(NEXT) | instid1(VALU_DEP_2)
	v_add_co_u32 v39, vcc_lo, s20, v33
	v_add_co_ci_u32_e32 v40, vcc_lo, s21, v34, vcc_lo
	v_add_co_u32 v35, vcc_lo, s20, v37
	v_add_co_ci_u32_e32 v36, vcc_lo, s21, v38, vcc_lo
	s_mov_b32 s26, -1
	s_clause 0x1
	global_load_b64 v[37:38], v[39:40], off
	global_load_b64 v[41:42], v[35:36], off
	s_mov_b32 s34, exec_lo
	s_waitcnt vmcnt(0)
	v_cmpx_eq_u64_e64 v[37:38], v[41:42]
	s_cbranch_execz .LBB609_252
; %bb.246:
	v_add_co_u32 v35, vcc_lo, v35, 8
	v_add_co_ci_u32_e32 v36, vcc_lo, 0, v36, vcc_lo
	v_add_co_u32 v37, vcc_lo, v39, 8
	v_add_co_ci_u32_e32 v38, vcc_lo, 0, v40, vcc_lo
	s_add_u32 s4, s14, -1
	s_addc_u32 s5, s15, -1
	s_mov_b64 s[6:7], 0
	s_mov_b32 s26, 0
                                        ; implicit-def: $sgpr35
	s_set_inst_prefetch_distance 0x1
	s_branch .LBB609_249
	.p2align	6
.LBB609_247:                            ;   in Loop: Header=BB609_249 Depth=1
	global_load_b64 v[39:40], v[37:38], off
	global_load_b64 v[41:42], v[35:36], off
	v_add_co_u32 v35, vcc_lo, v35, 8
	v_add_co_ci_u32_e32 v36, vcc_lo, 0, v36, vcc_lo
	v_add_co_u32 v37, s0, v37, 8
	s_delay_alu instid0(VALU_DEP_1)
	v_add_co_ci_u32_e64 v38, s0, 0, v38, s0
	s_add_u32 s6, s6, 1
	s_addc_u32 s7, s7, 0
	s_and_not1_b32 s0, s35, exec_lo
	s_waitcnt vmcnt(0)
	v_cmp_ne_u64_e32 vcc_lo, v[39:40], v[41:42]
	s_and_b32 s35, vcc_lo, exec_lo
	s_delay_alu instid0(SALU_CYCLE_1)
	s_or_b32 s35, s0, s35
.LBB609_248:                            ;   in Loop: Header=BB609_249 Depth=1
	v_dual_mov_b32 v40, s7 :: v_dual_mov_b32 v39, s6
	s_and_b32 s0, exec_lo, s35
	s_delay_alu instid0(SALU_CYCLE_1) | instskip(NEXT) | instid1(SALU_CYCLE_1)
	s_or_b32 s26, s0, s26
	s_and_not1_b32 exec_lo, exec_lo, s26
	s_cbranch_execz .LBB609_251
.LBB609_249:                            ; =>This Inner Loop Header: Depth=1
	s_or_b32 s35, s35, exec_lo
	s_cmp_eq_u64 s[4:5], s[6:7]
	s_cbranch_scc0 .LBB609_247
; %bb.250:                              ;   in Loop: Header=BB609_249 Depth=1
	s_mov_b64 s[6:7], s[14:15]
                                        ; implicit-def: $vgpr35_vgpr36
                                        ; implicit-def: $vgpr37_vgpr38
	s_branch .LBB609_248
.LBB609_251:
	s_set_inst_prefetch_distance 0x2
	s_or_b32 exec_lo, exec_lo, s26
	v_cmp_gt_i64_e32 vcc_lo, s[14:15], v[39:40]
	s_or_not1_b32 s26, vcc_lo, exec_lo
.LBB609_252:
	s_or_b32 exec_lo, exec_lo, s34
.LBB609_253:
	v_mul_lo_u32 v37, v26, s14
	v_mul_lo_u32 v38, v25, s15
	v_mad_u64_u32 v[35:36], null, v25, s14, 0
	s_mov_b32 s34, 0
	s_and_not1_b32 vcc_lo, exec_lo, s13
	s_mov_b32 s35, 0
	s_delay_alu instid0(VALU_DEP_1) | instskip(NEXT) | instid1(VALU_DEP_1)
	v_add3_u32 v36, v36, v38, v37
	v_lshlrev_b64 v[37:38], 3, v[35:36]
	s_cbranch_vccnz .LBB609_262
; %bb.254:
	s_delay_alu instid0(VALU_DEP_1) | instskip(NEXT) | instid1(VALU_DEP_2)
	v_add_co_u32 v35, vcc_lo, s20, v37
	v_add_co_ci_u32_e32 v36, vcc_lo, s21, v38, vcc_lo
	v_add_co_u32 v33, vcc_lo, s20, v33
	v_add_co_ci_u32_e32 v34, vcc_lo, s21, v34, vcc_lo
	s_mov_b32 s35, -1
	s_clause 0x1
	global_load_b64 v[39:40], v[35:36], off
	global_load_b64 v[41:42], v[33:34], off
	s_mov_b32 s36, exec_lo
	s_waitcnt vmcnt(0)
	v_cmpx_eq_u64_e64 v[39:40], v[41:42]
	s_cbranch_execz .LBB609_261
; %bb.255:
	v_add_co_u32 v33, vcc_lo, v33, 8
	v_add_co_ci_u32_e32 v34, vcc_lo, 0, v34, vcc_lo
	v_add_co_u32 v35, vcc_lo, v35, 8
	v_add_co_ci_u32_e32 v36, vcc_lo, 0, v36, vcc_lo
	s_add_u32 s4, s14, -1
	s_addc_u32 s5, s15, -1
	s_mov_b64 s[6:7], 0
	s_mov_b32 s35, 0
                                        ; implicit-def: $sgpr37
	s_set_inst_prefetch_distance 0x1
	s_branch .LBB609_258
	.p2align	6
.LBB609_256:                            ;   in Loop: Header=BB609_258 Depth=1
	global_load_b64 v[39:40], v[35:36], off
	global_load_b64 v[41:42], v[33:34], off
	v_add_co_u32 v33, vcc_lo, v33, 8
	v_add_co_ci_u32_e32 v34, vcc_lo, 0, v34, vcc_lo
	v_add_co_u32 v35, s0, v35, 8
	s_delay_alu instid0(VALU_DEP_1)
	v_add_co_ci_u32_e64 v36, s0, 0, v36, s0
	s_add_u32 s6, s6, 1
	s_addc_u32 s7, s7, 0
	s_and_not1_b32 s0, s37, exec_lo
	s_waitcnt vmcnt(0)
	v_cmp_ne_u64_e32 vcc_lo, v[39:40], v[41:42]
	s_and_b32 s37, vcc_lo, exec_lo
	s_delay_alu instid0(SALU_CYCLE_1)
	s_or_b32 s37, s0, s37
.LBB609_257:                            ;   in Loop: Header=BB609_258 Depth=1
	v_dual_mov_b32 v40, s7 :: v_dual_mov_b32 v39, s6
	s_and_b32 s0, exec_lo, s37
	s_delay_alu instid0(SALU_CYCLE_1) | instskip(NEXT) | instid1(SALU_CYCLE_1)
	s_or_b32 s35, s0, s35
	s_and_not1_b32 exec_lo, exec_lo, s35
	s_cbranch_execz .LBB609_260
.LBB609_258:                            ; =>This Inner Loop Header: Depth=1
	s_or_b32 s37, s37, exec_lo
	s_cmp_eq_u64 s[4:5], s[6:7]
	s_cbranch_scc0 .LBB609_256
; %bb.259:                              ;   in Loop: Header=BB609_258 Depth=1
	s_mov_b64 s[6:7], s[14:15]
                                        ; implicit-def: $vgpr33_vgpr34
                                        ; implicit-def: $vgpr35_vgpr36
	s_branch .LBB609_257
.LBB609_260:
	s_set_inst_prefetch_distance 0x2
	s_or_b32 exec_lo, exec_lo, s35
	v_cmp_gt_i64_e32 vcc_lo, s[14:15], v[39:40]
	s_or_not1_b32 s35, vcc_lo, exec_lo
.LBB609_261:
	s_or_b32 exec_lo, exec_lo, s36
.LBB609_262:
	v_mul_lo_u32 v35, v32, s14
	v_mul_lo_u32 v36, v31, s15
	v_mad_u64_u32 v[33:34], null, v31, s14, 0
	s_and_not1_b32 vcc_lo, exec_lo, s13
	s_delay_alu instid0(VALU_DEP_1) | instskip(NEXT) | instid1(VALU_DEP_1)
	v_add3_u32 v34, v34, v36, v35
	v_lshlrev_b64 v[35:36], 3, v[33:34]
	s_cbranch_vccnz .LBB609_271
; %bb.263:
	s_delay_alu instid0(VALU_DEP_1) | instskip(NEXT) | instid1(VALU_DEP_2)
	v_add_co_u32 v39, vcc_lo, s20, v35
	v_add_co_ci_u32_e32 v40, vcc_lo, s21, v36, vcc_lo
	v_add_co_u32 v33, vcc_lo, s20, v37
	v_add_co_ci_u32_e32 v34, vcc_lo, s21, v38, vcc_lo
	s_mov_b32 s34, -1
	s_clause 0x1
	global_load_b64 v[37:38], v[39:40], off
	global_load_b64 v[41:42], v[33:34], off
	s_mov_b32 s36, exec_lo
	s_waitcnt vmcnt(0)
	v_cmpx_eq_u64_e64 v[37:38], v[41:42]
	s_cbranch_execz .LBB609_270
; %bb.264:
	v_add_co_u32 v33, vcc_lo, v33, 8
	v_add_co_ci_u32_e32 v34, vcc_lo, 0, v34, vcc_lo
	v_add_co_u32 v37, vcc_lo, v39, 8
	v_add_co_ci_u32_e32 v38, vcc_lo, 0, v40, vcc_lo
	s_add_u32 s4, s14, -1
	s_addc_u32 s5, s15, -1
	s_mov_b64 s[6:7], 0
	s_mov_b32 s34, 0
                                        ; implicit-def: $sgpr37
	s_set_inst_prefetch_distance 0x1
	s_branch .LBB609_267
	.p2align	6
.LBB609_265:                            ;   in Loop: Header=BB609_267 Depth=1
	global_load_b64 v[39:40], v[37:38], off
	global_load_b64 v[41:42], v[33:34], off
	v_add_co_u32 v33, vcc_lo, v33, 8
	v_add_co_ci_u32_e32 v34, vcc_lo, 0, v34, vcc_lo
	v_add_co_u32 v37, s0, v37, 8
	s_delay_alu instid0(VALU_DEP_1)
	v_add_co_ci_u32_e64 v38, s0, 0, v38, s0
	s_add_u32 s6, s6, 1
	s_addc_u32 s7, s7, 0
	s_and_not1_b32 s0, s37, exec_lo
	s_waitcnt vmcnt(0)
	v_cmp_ne_u64_e32 vcc_lo, v[39:40], v[41:42]
	s_and_b32 s37, vcc_lo, exec_lo
	s_delay_alu instid0(SALU_CYCLE_1)
	s_or_b32 s37, s0, s37
.LBB609_266:                            ;   in Loop: Header=BB609_267 Depth=1
	v_dual_mov_b32 v40, s7 :: v_dual_mov_b32 v39, s6
	s_and_b32 s0, exec_lo, s37
	s_delay_alu instid0(SALU_CYCLE_1) | instskip(NEXT) | instid1(SALU_CYCLE_1)
	s_or_b32 s34, s0, s34
	s_and_not1_b32 exec_lo, exec_lo, s34
	s_cbranch_execz .LBB609_269
.LBB609_267:                            ; =>This Inner Loop Header: Depth=1
	s_or_b32 s37, s37, exec_lo
	s_cmp_eq_u64 s[4:5], s[6:7]
	s_cbranch_scc0 .LBB609_265
; %bb.268:                              ;   in Loop: Header=BB609_267 Depth=1
	s_mov_b64 s[6:7], s[14:15]
                                        ; implicit-def: $vgpr33_vgpr34
                                        ; implicit-def: $vgpr37_vgpr38
	s_branch .LBB609_266
.LBB609_269:
	s_set_inst_prefetch_distance 0x2
	s_or_b32 exec_lo, exec_lo, s34
	v_cmp_gt_i64_e32 vcc_lo, s[14:15], v[39:40]
	s_or_not1_b32 s34, vcc_lo, exec_lo
.LBB609_270:
	s_or_b32 exec_lo, exec_lo, s36
.LBB609_271:
	v_mul_lo_u32 v37, v30, s14
	v_mul_lo_u32 v38, v29, s15
	v_mad_u64_u32 v[33:34], null, v29, s14, 0
	s_and_not1_b32 vcc_lo, exec_lo, s13
	s_mov_b32 s0, 0
	s_delay_alu instid0(VALU_DEP_1)
	v_add3_u32 v34, v34, v38, v37
	s_cbranch_vccnz .LBB609_280
; %bb.272:
	s_delay_alu instid0(VALU_DEP_1) | instskip(SKIP_2) | instid1(VALU_DEP_1)
	v_lshlrev_b64 v[37:38], 3, v[33:34]
	s_mov_b32 s0, -1
	s_mov_b32 s36, exec_lo
	v_add_co_u32 v37, vcc_lo, s20, v37
	s_delay_alu instid0(VALU_DEP_2)
	v_add_co_ci_u32_e32 v38, vcc_lo, s21, v38, vcc_lo
	v_add_co_u32 v35, vcc_lo, s20, v35
	v_add_co_ci_u32_e32 v36, vcc_lo, s21, v36, vcc_lo
	s_clause 0x1
	global_load_b64 v[39:40], v[37:38], off
	global_load_b64 v[41:42], v[35:36], off
	s_waitcnt vmcnt(0)
	v_cmpx_eq_u64_e64 v[39:40], v[41:42]
	s_cbranch_execz .LBB609_279
; %bb.273:
	v_add_co_u32 v35, vcc_lo, v35, 8
	v_add_co_ci_u32_e32 v36, vcc_lo, 0, v36, vcc_lo
	v_add_co_u32 v37, vcc_lo, v37, 8
	v_add_co_ci_u32_e32 v38, vcc_lo, 0, v38, vcc_lo
	s_add_u32 s4, s14, -1
	s_addc_u32 s5, s15, -1
	s_mov_b64 s[6:7], 0
	s_mov_b32 s37, 0
                                        ; implicit-def: $sgpr38
	s_set_inst_prefetch_distance 0x1
	s_branch .LBB609_276
	.p2align	6
.LBB609_274:                            ;   in Loop: Header=BB609_276 Depth=1
	global_load_b64 v[39:40], v[37:38], off
	global_load_b64 v[41:42], v[35:36], off
	v_add_co_u32 v35, vcc_lo, v35, 8
	v_add_co_ci_u32_e32 v36, vcc_lo, 0, v36, vcc_lo
	v_add_co_u32 v37, s0, v37, 8
	s_delay_alu instid0(VALU_DEP_1)
	v_add_co_ci_u32_e64 v38, s0, 0, v38, s0
	s_add_u32 s6, s6, 1
	s_addc_u32 s7, s7, 0
	s_and_not1_b32 s0, s38, exec_lo
	s_waitcnt vmcnt(0)
	v_cmp_ne_u64_e32 vcc_lo, v[39:40], v[41:42]
	s_and_b32 s38, vcc_lo, exec_lo
	s_delay_alu instid0(SALU_CYCLE_1)
	s_or_b32 s38, s0, s38
.LBB609_275:                            ;   in Loop: Header=BB609_276 Depth=1
	v_dual_mov_b32 v40, s7 :: v_dual_mov_b32 v39, s6
	s_and_b32 s0, exec_lo, s38
	s_delay_alu instid0(SALU_CYCLE_1) | instskip(NEXT) | instid1(SALU_CYCLE_1)
	s_or_b32 s37, s0, s37
	s_and_not1_b32 exec_lo, exec_lo, s37
	s_cbranch_execz .LBB609_278
.LBB609_276:                            ; =>This Inner Loop Header: Depth=1
	s_or_b32 s38, s38, exec_lo
	s_cmp_eq_u64 s[4:5], s[6:7]
	s_cbranch_scc0 .LBB609_274
; %bb.277:                              ;   in Loop: Header=BB609_276 Depth=1
	s_mov_b64 s[6:7], s[14:15]
                                        ; implicit-def: $vgpr35_vgpr36
                                        ; implicit-def: $vgpr37_vgpr38
	s_branch .LBB609_275
.LBB609_278:
	s_set_inst_prefetch_distance 0x2
	s_or_b32 exec_lo, exec_lo, s37
	v_cmp_gt_i64_e32 vcc_lo, s[14:15], v[39:40]
	s_or_not1_b32 s0, vcc_lo, exec_lo
.LBB609_279:
	s_or_b32 exec_lo, exec_lo, s36
.LBB609_280:
	v_cndmask_b32_e64 v36, 0, 1, s35
	v_cndmask_b32_e64 v37, 0, 1, s27
	;; [unrolled: 1-line block ×7, first 2 shown]
	v_lshlrev_b16 v37, 8, v37
	v_lshlrev_b16 v38, 8, v38
	;; [unrolled: 1-line block ×4, first 2 shown]
	s_waitcnt lgkmcnt(0)
	v_or_b32_e32 v37, v40, v37
	v_or_b32_e32 v38, v41, v38
	;; [unrolled: 1-line block ×4, first 2 shown]
	s_barrier
	v_and_b32_e32 v36, 0xffff, v37
	v_lshlrev_b32_e32 v37, 16, v38
	v_and_b32_e32 v38, 0xffff, v39
	v_lshlrev_b32_e32 v35, 16, v35
	buffer_gl0_inv
                                        ; implicit-def: $sgpr0
	v_or_b32_e32 v36, v36, v37
	v_or_b32_e32 v35, v38, v35
	s_and_saveexec_b32 s4, s3
	s_delay_alu instid0(SALU_CYCLE_1)
	s_xor_b32 s24, exec_lo, s4
	s_cbranch_execz .LBB609_291
; %bb.281:
	s_and_not1_b32 vcc_lo, exec_lo, s13
	s_mov_b32 s0, 0
	s_cbranch_vccnz .LBB609_290
; %bb.282:
	v_add_nc_u32_e32 v37, -8, v55
	v_lshlrev_b64 v[33:34], 3, v[33:34]
	s_mov_b32 s0, -1
	s_mov_b32 s25, exec_lo
	ds_load_b64 v[37:38], v37
	s_waitcnt lgkmcnt(0)
	v_mul_lo_u32 v40, v38, s14
	v_mul_lo_u32 v41, v37, s15
	v_mad_u64_u32 v[38:39], null, v37, s14, 0
	s_delay_alu instid0(VALU_DEP_1) | instskip(NEXT) | instid1(VALU_DEP_1)
	v_add3_u32 v39, v39, v41, v40
	v_lshlrev_b64 v[37:38], 3, v[38:39]
	s_delay_alu instid0(VALU_DEP_1) | instskip(NEXT) | instid1(VALU_DEP_2)
	v_add_co_u32 v37, vcc_lo, s20, v37
	v_add_co_ci_u32_e32 v38, vcc_lo, s21, v38, vcc_lo
	v_add_co_u32 v33, vcc_lo, s20, v33
	v_add_co_ci_u32_e32 v34, vcc_lo, s21, v34, vcc_lo
	s_clause 0x1
	global_load_b64 v[39:40], v[37:38], off
	global_load_b64 v[41:42], v[33:34], off
	s_waitcnt vmcnt(0)
	v_cmpx_eq_u64_e64 v[39:40], v[41:42]
	s_cbranch_execz .LBB609_289
; %bb.283:
	v_add_co_u32 v33, vcc_lo, v33, 8
	v_add_co_ci_u32_e32 v34, vcc_lo, 0, v34, vcc_lo
	v_add_co_u32 v37, vcc_lo, v37, 8
	v_add_co_ci_u32_e32 v38, vcc_lo, 0, v38, vcc_lo
	s_add_u32 s4, s14, -1
	s_addc_u32 s5, s15, -1
	s_mov_b64 s[6:7], 0
	s_mov_b32 s26, 0
                                        ; implicit-def: $sgpr27
	s_set_inst_prefetch_distance 0x1
	s_branch .LBB609_286
	.p2align	6
.LBB609_284:                            ;   in Loop: Header=BB609_286 Depth=1
	global_load_b64 v[39:40], v[37:38], off
	global_load_b64 v[41:42], v[33:34], off
	v_add_co_u32 v33, vcc_lo, v33, 8
	v_add_co_ci_u32_e32 v34, vcc_lo, 0, v34, vcc_lo
	v_add_co_u32 v37, s0, v37, 8
	s_delay_alu instid0(VALU_DEP_1)
	v_add_co_ci_u32_e64 v38, s0, 0, v38, s0
	s_add_u32 s6, s6, 1
	s_addc_u32 s7, s7, 0
	s_and_not1_b32 s0, s27, exec_lo
	s_waitcnt vmcnt(0)
	v_cmp_ne_u64_e32 vcc_lo, v[39:40], v[41:42]
	s_and_b32 s27, vcc_lo, exec_lo
	s_delay_alu instid0(SALU_CYCLE_1)
	s_or_b32 s27, s0, s27
.LBB609_285:                            ;   in Loop: Header=BB609_286 Depth=1
	v_dual_mov_b32 v40, s7 :: v_dual_mov_b32 v39, s6
	s_and_b32 s0, exec_lo, s27
	s_delay_alu instid0(SALU_CYCLE_1) | instskip(NEXT) | instid1(SALU_CYCLE_1)
	s_or_b32 s26, s0, s26
	s_and_not1_b32 exec_lo, exec_lo, s26
	s_cbranch_execz .LBB609_288
.LBB609_286:                            ; =>This Inner Loop Header: Depth=1
	s_or_b32 s27, s27, exec_lo
	s_cmp_eq_u64 s[4:5], s[6:7]
	s_cbranch_scc0 .LBB609_284
; %bb.287:                              ;   in Loop: Header=BB609_286 Depth=1
	s_mov_b64 s[6:7], s[14:15]
                                        ; implicit-def: $vgpr33_vgpr34
                                        ; implicit-def: $vgpr37_vgpr38
	s_branch .LBB609_285
.LBB609_288:
	s_set_inst_prefetch_distance 0x2
	s_or_b32 exec_lo, exec_lo, s26
	v_cmp_gt_i64_e32 vcc_lo, s[14:15], v[39:40]
	s_or_not1_b32 s0, vcc_lo, exec_lo
.LBB609_289:
	s_or_b32 exec_lo, exec_lo, s25
.LBB609_290:
	s_delay_alu instid0(SALU_CYCLE_1)
	s_and_b32 s0, s0, exec_lo
	s_or_b32 s1, s1, exec_lo
.LBB609_291:
	s_or_b32 exec_lo, exec_lo, s24
	s_branch .LBB609_383
.LBB609_292:
	s_waitcnt vmcnt(0) lgkmcnt(1)
	v_or_b32_e32 v33, 7, v55
	s_mov_b32 s24, 0
	s_mov_b32 s25, 0
	s_mov_b32 s26, exec_lo
	s_delay_alu instid0(VALU_DEP_1)
	v_cmpx_gt_u32_e64 s31, v33
	s_cbranch_execz .LBB609_303
; %bb.293:
	s_and_not1_b32 vcc_lo, exec_lo, s13
	s_mov_b32 s0, 0
	s_cbranch_vccnz .LBB609_302
; %bb.294:
	v_mul_lo_u32 v37, v18, s14
	v_mul_lo_u32 v38, v17, s15
	v_mad_u64_u32 v[33:34], null, v17, s14, 0
	v_mul_lo_u32 v39, v20, s14
	v_mul_lo_u32 v40, v19, s15
	v_mad_u64_u32 v[35:36], null, v19, s14, 0
	s_mov_b32 s0, -1
	s_mov_b32 s25, exec_lo
	s_delay_alu instid0(VALU_DEP_4) | instskip(NEXT) | instid1(VALU_DEP_2)
	v_add3_u32 v34, v34, v38, v37
	v_add3_u32 v36, v36, v40, v39
	s_delay_alu instid0(VALU_DEP_2) | instskip(NEXT) | instid1(VALU_DEP_2)
	v_lshlrev_b64 v[33:34], 3, v[33:34]
	v_lshlrev_b64 v[37:38], 3, v[35:36]
	s_delay_alu instid0(VALU_DEP_2) | instskip(NEXT) | instid1(VALU_DEP_3)
	v_add_co_u32 v35, vcc_lo, s20, v33
	v_add_co_ci_u32_e32 v36, vcc_lo, s21, v34, vcc_lo
	s_delay_alu instid0(VALU_DEP_3) | instskip(NEXT) | instid1(VALU_DEP_4)
	v_add_co_u32 v33, vcc_lo, s20, v37
	v_add_co_ci_u32_e32 v34, vcc_lo, s21, v38, vcc_lo
	s_clause 0x1
	global_load_b64 v[37:38], v[35:36], off
	global_load_b64 v[39:40], v[33:34], off
	s_waitcnt vmcnt(0)
	v_cmpx_eq_u64_e64 v[37:38], v[39:40]
	s_cbranch_execz .LBB609_301
; %bb.295:
	v_add_co_u32 v33, vcc_lo, v33, 8
	v_add_co_ci_u32_e32 v34, vcc_lo, 0, v34, vcc_lo
	v_add_co_u32 v35, vcc_lo, v35, 8
	v_add_co_ci_u32_e32 v36, vcc_lo, 0, v36, vcc_lo
	s_add_u32 s4, s14, -1
	s_addc_u32 s5, s15, -1
	s_mov_b64 s[6:7], 0
	s_mov_b32 s27, 0
                                        ; implicit-def: $sgpr34
	s_set_inst_prefetch_distance 0x1
	s_branch .LBB609_298
	.p2align	6
.LBB609_296:                            ;   in Loop: Header=BB609_298 Depth=1
	global_load_b64 v[37:38], v[35:36], off
	global_load_b64 v[39:40], v[33:34], off
	v_add_co_u32 v33, vcc_lo, v33, 8
	v_add_co_ci_u32_e32 v34, vcc_lo, 0, v34, vcc_lo
	v_add_co_u32 v35, s0, v35, 8
	s_delay_alu instid0(VALU_DEP_1)
	v_add_co_ci_u32_e64 v36, s0, 0, v36, s0
	s_add_u32 s6, s6, 1
	s_addc_u32 s7, s7, 0
	s_and_not1_b32 s0, s34, exec_lo
	s_waitcnt vmcnt(0)
	v_cmp_ne_u64_e32 vcc_lo, v[37:38], v[39:40]
	s_and_b32 s34, vcc_lo, exec_lo
	s_delay_alu instid0(SALU_CYCLE_1)
	s_or_b32 s34, s0, s34
.LBB609_297:                            ;   in Loop: Header=BB609_298 Depth=1
	v_dual_mov_b32 v38, s7 :: v_dual_mov_b32 v37, s6
	s_and_b32 s0, exec_lo, s34
	s_delay_alu instid0(SALU_CYCLE_1) | instskip(NEXT) | instid1(SALU_CYCLE_1)
	s_or_b32 s27, s0, s27
	s_and_not1_b32 exec_lo, exec_lo, s27
	s_cbranch_execz .LBB609_300
.LBB609_298:                            ; =>This Inner Loop Header: Depth=1
	s_or_b32 s34, s34, exec_lo
	s_cmp_eq_u64 s[4:5], s[6:7]
	s_cbranch_scc0 .LBB609_296
; %bb.299:                              ;   in Loop: Header=BB609_298 Depth=1
	s_mov_b64 s[6:7], s[14:15]
                                        ; implicit-def: $vgpr33_vgpr34
                                        ; implicit-def: $vgpr35_vgpr36
	s_branch .LBB609_297
.LBB609_300:
	s_set_inst_prefetch_distance 0x2
	s_or_b32 exec_lo, exec_lo, s27
	v_cmp_gt_i64_e32 vcc_lo, s[14:15], v[37:38]
	s_or_not1_b32 s0, vcc_lo, exec_lo
.LBB609_301:
	s_or_b32 exec_lo, exec_lo, s25
.LBB609_302:
	s_delay_alu instid0(SALU_CYCLE_1)
	s_and_b32 s25, s0, exec_lo
.LBB609_303:
	s_or_b32 exec_lo, exec_lo, s26
	v_or_b32_e32 v33, 6, v55
	s_mov_b32 s26, exec_lo
	s_delay_alu instid0(VALU_DEP_1)
	v_cmpx_gt_u32_e64 s31, v33
	s_cbranch_execz .LBB609_314
; %bb.304:
	s_and_not1_b32 vcc_lo, exec_lo, s13
	s_mov_b32 s0, 0
	s_cbranch_vccnz .LBB609_313
; %bb.305:
	v_mul_lo_u32 v37, v24, s14
	v_mul_lo_u32 v38, v23, s15
	v_mad_u64_u32 v[33:34], null, v23, s14, 0
	v_mul_lo_u32 v39, v18, s14
	v_mul_lo_u32 v40, v17, s15
	v_mad_u64_u32 v[35:36], null, v17, s14, 0
	s_mov_b32 s0, -1
	s_mov_b32 s24, exec_lo
	s_delay_alu instid0(VALU_DEP_4) | instskip(NEXT) | instid1(VALU_DEP_2)
	v_add3_u32 v34, v34, v38, v37
	v_add3_u32 v36, v36, v40, v39
	s_delay_alu instid0(VALU_DEP_2) | instskip(NEXT) | instid1(VALU_DEP_2)
	v_lshlrev_b64 v[33:34], 3, v[33:34]
	v_lshlrev_b64 v[37:38], 3, v[35:36]
	s_delay_alu instid0(VALU_DEP_2) | instskip(NEXT) | instid1(VALU_DEP_3)
	v_add_co_u32 v35, vcc_lo, s20, v33
	v_add_co_ci_u32_e32 v36, vcc_lo, s21, v34, vcc_lo
	s_delay_alu instid0(VALU_DEP_3) | instskip(NEXT) | instid1(VALU_DEP_4)
	v_add_co_u32 v33, vcc_lo, s20, v37
	v_add_co_ci_u32_e32 v34, vcc_lo, s21, v38, vcc_lo
	s_clause 0x1
	global_load_b64 v[37:38], v[35:36], off
	global_load_b64 v[39:40], v[33:34], off
	s_waitcnt vmcnt(0)
	v_cmpx_eq_u64_e64 v[37:38], v[39:40]
	s_cbranch_execz .LBB609_312
; %bb.306:
	v_add_co_u32 v33, vcc_lo, v33, 8
	v_add_co_ci_u32_e32 v34, vcc_lo, 0, v34, vcc_lo
	v_add_co_u32 v35, vcc_lo, v35, 8
	v_add_co_ci_u32_e32 v36, vcc_lo, 0, v36, vcc_lo
	s_add_u32 s4, s14, -1
	s_addc_u32 s5, s15, -1
	s_mov_b64 s[6:7], 0
	s_mov_b32 s27, 0
                                        ; implicit-def: $sgpr34
	s_set_inst_prefetch_distance 0x1
	s_branch .LBB609_309
	.p2align	6
.LBB609_307:                            ;   in Loop: Header=BB609_309 Depth=1
	global_load_b64 v[37:38], v[35:36], off
	global_load_b64 v[39:40], v[33:34], off
	v_add_co_u32 v33, vcc_lo, v33, 8
	v_add_co_ci_u32_e32 v34, vcc_lo, 0, v34, vcc_lo
	v_add_co_u32 v35, s0, v35, 8
	s_delay_alu instid0(VALU_DEP_1)
	v_add_co_ci_u32_e64 v36, s0, 0, v36, s0
	s_add_u32 s6, s6, 1
	s_addc_u32 s7, s7, 0
	s_and_not1_b32 s0, s34, exec_lo
	s_waitcnt vmcnt(0)
	v_cmp_ne_u64_e32 vcc_lo, v[37:38], v[39:40]
	s_and_b32 s34, vcc_lo, exec_lo
	s_delay_alu instid0(SALU_CYCLE_1)
	s_or_b32 s34, s0, s34
.LBB609_308:                            ;   in Loop: Header=BB609_309 Depth=1
	v_dual_mov_b32 v38, s7 :: v_dual_mov_b32 v37, s6
	s_and_b32 s0, exec_lo, s34
	s_delay_alu instid0(SALU_CYCLE_1) | instskip(NEXT) | instid1(SALU_CYCLE_1)
	s_or_b32 s27, s0, s27
	s_and_not1_b32 exec_lo, exec_lo, s27
	s_cbranch_execz .LBB609_311
.LBB609_309:                            ; =>This Inner Loop Header: Depth=1
	s_or_b32 s34, s34, exec_lo
	s_cmp_eq_u64 s[4:5], s[6:7]
	s_cbranch_scc0 .LBB609_307
; %bb.310:                              ;   in Loop: Header=BB609_309 Depth=1
	s_mov_b64 s[6:7], s[14:15]
                                        ; implicit-def: $vgpr33_vgpr34
                                        ; implicit-def: $vgpr35_vgpr36
	s_branch .LBB609_308
.LBB609_311:
	s_set_inst_prefetch_distance 0x2
	s_or_b32 exec_lo, exec_lo, s27
	v_cmp_gt_i64_e32 vcc_lo, s[14:15], v[37:38]
	s_or_not1_b32 s0, vcc_lo, exec_lo
.LBB609_312:
	s_or_b32 exec_lo, exec_lo, s24
.LBB609_313:
	s_delay_alu instid0(SALU_CYCLE_1)
	s_and_b32 s24, s0, exec_lo
.LBB609_314:
	s_or_b32 exec_lo, exec_lo, s26
	v_or_b32_e32 v33, 5, v55
	s_mov_b32 s26, 0
	s_mov_b32 s27, 0
	s_mov_b32 s34, exec_lo
	s_delay_alu instid0(VALU_DEP_1)
	v_cmpx_gt_u32_e64 s31, v33
	s_cbranch_execz .LBB609_325
; %bb.315:
	s_and_not1_b32 vcc_lo, exec_lo, s13
	s_mov_b32 s0, 0
	s_cbranch_vccnz .LBB609_324
; %bb.316:
	v_mul_lo_u32 v37, v22, s14
	v_mul_lo_u32 v38, v21, s15
	v_mad_u64_u32 v[33:34], null, v21, s14, 0
	v_mul_lo_u32 v39, v24, s14
	v_mul_lo_u32 v40, v23, s15
	v_mad_u64_u32 v[35:36], null, v23, s14, 0
	s_mov_b32 s0, -1
	s_mov_b32 s27, exec_lo
	s_delay_alu instid0(VALU_DEP_4) | instskip(NEXT) | instid1(VALU_DEP_2)
	v_add3_u32 v34, v34, v38, v37
	v_add3_u32 v36, v36, v40, v39
	s_delay_alu instid0(VALU_DEP_2) | instskip(NEXT) | instid1(VALU_DEP_2)
	v_lshlrev_b64 v[33:34], 3, v[33:34]
	v_lshlrev_b64 v[37:38], 3, v[35:36]
	s_delay_alu instid0(VALU_DEP_2) | instskip(NEXT) | instid1(VALU_DEP_3)
	v_add_co_u32 v35, vcc_lo, s20, v33
	v_add_co_ci_u32_e32 v36, vcc_lo, s21, v34, vcc_lo
	s_delay_alu instid0(VALU_DEP_3) | instskip(NEXT) | instid1(VALU_DEP_4)
	v_add_co_u32 v33, vcc_lo, s20, v37
	v_add_co_ci_u32_e32 v34, vcc_lo, s21, v38, vcc_lo
	s_clause 0x1
	global_load_b64 v[37:38], v[35:36], off
	global_load_b64 v[39:40], v[33:34], off
	s_waitcnt vmcnt(0)
	v_cmpx_eq_u64_e64 v[37:38], v[39:40]
	s_cbranch_execz .LBB609_323
; %bb.317:
	v_add_co_u32 v33, vcc_lo, v33, 8
	v_add_co_ci_u32_e32 v34, vcc_lo, 0, v34, vcc_lo
	v_add_co_u32 v35, vcc_lo, v35, 8
	v_add_co_ci_u32_e32 v36, vcc_lo, 0, v36, vcc_lo
	s_add_u32 s4, s14, -1
	s_addc_u32 s5, s15, -1
	s_mov_b64 s[6:7], 0
	s_mov_b32 s35, 0
                                        ; implicit-def: $sgpr36
	s_set_inst_prefetch_distance 0x1
	s_branch .LBB609_320
	.p2align	6
.LBB609_318:                            ;   in Loop: Header=BB609_320 Depth=1
	global_load_b64 v[37:38], v[35:36], off
	global_load_b64 v[39:40], v[33:34], off
	v_add_co_u32 v33, vcc_lo, v33, 8
	v_add_co_ci_u32_e32 v34, vcc_lo, 0, v34, vcc_lo
	v_add_co_u32 v35, s0, v35, 8
	s_delay_alu instid0(VALU_DEP_1)
	v_add_co_ci_u32_e64 v36, s0, 0, v36, s0
	s_add_u32 s6, s6, 1
	s_addc_u32 s7, s7, 0
	s_and_not1_b32 s0, s36, exec_lo
	s_waitcnt vmcnt(0)
	v_cmp_ne_u64_e32 vcc_lo, v[37:38], v[39:40]
	s_and_b32 s36, vcc_lo, exec_lo
	s_delay_alu instid0(SALU_CYCLE_1)
	s_or_b32 s36, s0, s36
.LBB609_319:                            ;   in Loop: Header=BB609_320 Depth=1
	v_dual_mov_b32 v38, s7 :: v_dual_mov_b32 v37, s6
	s_and_b32 s0, exec_lo, s36
	s_delay_alu instid0(SALU_CYCLE_1) | instskip(NEXT) | instid1(SALU_CYCLE_1)
	s_or_b32 s35, s0, s35
	s_and_not1_b32 exec_lo, exec_lo, s35
	s_cbranch_execz .LBB609_322
.LBB609_320:                            ; =>This Inner Loop Header: Depth=1
	s_or_b32 s36, s36, exec_lo
	s_cmp_eq_u64 s[4:5], s[6:7]
	s_cbranch_scc0 .LBB609_318
; %bb.321:                              ;   in Loop: Header=BB609_320 Depth=1
	s_mov_b64 s[6:7], s[14:15]
                                        ; implicit-def: $vgpr33_vgpr34
                                        ; implicit-def: $vgpr35_vgpr36
	s_branch .LBB609_319
.LBB609_322:
	s_set_inst_prefetch_distance 0x2
	s_or_b32 exec_lo, exec_lo, s35
	v_cmp_gt_i64_e32 vcc_lo, s[14:15], v[37:38]
	s_or_not1_b32 s0, vcc_lo, exec_lo
.LBB609_323:
	s_or_b32 exec_lo, exec_lo, s27
.LBB609_324:
	s_delay_alu instid0(SALU_CYCLE_1)
	s_and_b32 s27, s0, exec_lo
.LBB609_325:
	s_or_b32 exec_lo, exec_lo, s34
	v_or_b32_e32 v33, 4, v55
	s_mov_b32 s34, exec_lo
	s_delay_alu instid0(VALU_DEP_1)
	v_cmpx_gt_u32_e64 s31, v33
	s_cbranch_execz .LBB609_336
; %bb.326:
	s_and_not1_b32 vcc_lo, exec_lo, s13
	s_mov_b32 s0, 0
	s_cbranch_vccnz .LBB609_335
; %bb.327:
	v_mul_lo_u32 v37, v28, s14
	v_mul_lo_u32 v38, v27, s15
	v_mad_u64_u32 v[33:34], null, v27, s14, 0
	v_mul_lo_u32 v39, v22, s14
	v_mul_lo_u32 v40, v21, s15
	v_mad_u64_u32 v[35:36], null, v21, s14, 0
	s_mov_b32 s0, -1
	s_mov_b32 s26, exec_lo
	s_delay_alu instid0(VALU_DEP_4) | instskip(NEXT) | instid1(VALU_DEP_2)
	v_add3_u32 v34, v34, v38, v37
	v_add3_u32 v36, v36, v40, v39
	s_delay_alu instid0(VALU_DEP_2) | instskip(NEXT) | instid1(VALU_DEP_2)
	v_lshlrev_b64 v[33:34], 3, v[33:34]
	v_lshlrev_b64 v[37:38], 3, v[35:36]
	s_delay_alu instid0(VALU_DEP_2) | instskip(NEXT) | instid1(VALU_DEP_3)
	v_add_co_u32 v35, vcc_lo, s20, v33
	v_add_co_ci_u32_e32 v36, vcc_lo, s21, v34, vcc_lo
	s_delay_alu instid0(VALU_DEP_3) | instskip(NEXT) | instid1(VALU_DEP_4)
	v_add_co_u32 v33, vcc_lo, s20, v37
	v_add_co_ci_u32_e32 v34, vcc_lo, s21, v38, vcc_lo
	s_clause 0x1
	global_load_b64 v[37:38], v[35:36], off
	global_load_b64 v[39:40], v[33:34], off
	s_waitcnt vmcnt(0)
	v_cmpx_eq_u64_e64 v[37:38], v[39:40]
	s_cbranch_execz .LBB609_334
; %bb.328:
	v_add_co_u32 v33, vcc_lo, v33, 8
	v_add_co_ci_u32_e32 v34, vcc_lo, 0, v34, vcc_lo
	v_add_co_u32 v35, vcc_lo, v35, 8
	v_add_co_ci_u32_e32 v36, vcc_lo, 0, v36, vcc_lo
	s_add_u32 s4, s14, -1
	s_addc_u32 s5, s15, -1
	s_mov_b64 s[6:7], 0
	s_mov_b32 s35, 0
                                        ; implicit-def: $sgpr36
	s_set_inst_prefetch_distance 0x1
	s_branch .LBB609_331
	.p2align	6
.LBB609_329:                            ;   in Loop: Header=BB609_331 Depth=1
	global_load_b64 v[37:38], v[35:36], off
	global_load_b64 v[39:40], v[33:34], off
	v_add_co_u32 v33, vcc_lo, v33, 8
	v_add_co_ci_u32_e32 v34, vcc_lo, 0, v34, vcc_lo
	v_add_co_u32 v35, s0, v35, 8
	s_delay_alu instid0(VALU_DEP_1)
	v_add_co_ci_u32_e64 v36, s0, 0, v36, s0
	s_add_u32 s6, s6, 1
	s_addc_u32 s7, s7, 0
	s_and_not1_b32 s0, s36, exec_lo
	s_waitcnt vmcnt(0)
	v_cmp_ne_u64_e32 vcc_lo, v[37:38], v[39:40]
	s_and_b32 s36, vcc_lo, exec_lo
	s_delay_alu instid0(SALU_CYCLE_1)
	s_or_b32 s36, s0, s36
.LBB609_330:                            ;   in Loop: Header=BB609_331 Depth=1
	v_dual_mov_b32 v38, s7 :: v_dual_mov_b32 v37, s6
	s_and_b32 s0, exec_lo, s36
	s_delay_alu instid0(SALU_CYCLE_1) | instskip(NEXT) | instid1(SALU_CYCLE_1)
	s_or_b32 s35, s0, s35
	s_and_not1_b32 exec_lo, exec_lo, s35
	s_cbranch_execz .LBB609_333
.LBB609_331:                            ; =>This Inner Loop Header: Depth=1
	s_or_b32 s36, s36, exec_lo
	s_cmp_eq_u64 s[4:5], s[6:7]
	s_cbranch_scc0 .LBB609_329
; %bb.332:                              ;   in Loop: Header=BB609_331 Depth=1
	s_mov_b64 s[6:7], s[14:15]
                                        ; implicit-def: $vgpr33_vgpr34
                                        ; implicit-def: $vgpr35_vgpr36
	s_branch .LBB609_330
.LBB609_333:
	s_set_inst_prefetch_distance 0x2
	s_or_b32 exec_lo, exec_lo, s35
	v_cmp_gt_i64_e32 vcc_lo, s[14:15], v[37:38]
	s_or_not1_b32 s0, vcc_lo, exec_lo
.LBB609_334:
	s_or_b32 exec_lo, exec_lo, s26
.LBB609_335:
	s_delay_alu instid0(SALU_CYCLE_1)
	s_and_b32 s26, s0, exec_lo
.LBB609_336:
	s_or_b32 exec_lo, exec_lo, s34
	v_or_b32_e32 v33, 3, v55
	s_mov_b32 s35, 0
	s_mov_b32 s34, 0
	s_mov_b32 s36, exec_lo
	s_delay_alu instid0(VALU_DEP_1)
	v_cmpx_gt_u32_e64 s31, v33
	s_cbranch_execz .LBB609_347
; %bb.337:
	s_and_not1_b32 vcc_lo, exec_lo, s13
	s_mov_b32 s0, 0
	s_cbranch_vccnz .LBB609_346
; %bb.338:
	v_mul_lo_u32 v37, v26, s14
	v_mul_lo_u32 v38, v25, s15
	v_mad_u64_u32 v[33:34], null, v25, s14, 0
	v_mul_lo_u32 v39, v28, s14
	v_mul_lo_u32 v40, v27, s15
	v_mad_u64_u32 v[35:36], null, v27, s14, 0
	s_mov_b32 s0, -1
	s_mov_b32 s34, exec_lo
	s_delay_alu instid0(VALU_DEP_4) | instskip(NEXT) | instid1(VALU_DEP_2)
	v_add3_u32 v34, v34, v38, v37
	v_add3_u32 v36, v36, v40, v39
	s_delay_alu instid0(VALU_DEP_2) | instskip(NEXT) | instid1(VALU_DEP_2)
	v_lshlrev_b64 v[33:34], 3, v[33:34]
	v_lshlrev_b64 v[37:38], 3, v[35:36]
	s_delay_alu instid0(VALU_DEP_2) | instskip(NEXT) | instid1(VALU_DEP_3)
	v_add_co_u32 v35, vcc_lo, s20, v33
	v_add_co_ci_u32_e32 v36, vcc_lo, s21, v34, vcc_lo
	s_delay_alu instid0(VALU_DEP_3) | instskip(NEXT) | instid1(VALU_DEP_4)
	v_add_co_u32 v33, vcc_lo, s20, v37
	v_add_co_ci_u32_e32 v34, vcc_lo, s21, v38, vcc_lo
	s_clause 0x1
	global_load_b64 v[37:38], v[35:36], off
	global_load_b64 v[39:40], v[33:34], off
	s_waitcnt vmcnt(0)
	v_cmpx_eq_u64_e64 v[37:38], v[39:40]
	s_cbranch_execz .LBB609_345
; %bb.339:
	v_add_co_u32 v33, vcc_lo, v33, 8
	v_add_co_ci_u32_e32 v34, vcc_lo, 0, v34, vcc_lo
	v_add_co_u32 v35, vcc_lo, v35, 8
	v_add_co_ci_u32_e32 v36, vcc_lo, 0, v36, vcc_lo
	s_add_u32 s4, s14, -1
	s_addc_u32 s5, s15, -1
	s_mov_b64 s[6:7], 0
	s_mov_b32 s37, 0
                                        ; implicit-def: $sgpr38
	s_set_inst_prefetch_distance 0x1
	s_branch .LBB609_342
	.p2align	6
.LBB609_340:                            ;   in Loop: Header=BB609_342 Depth=1
	global_load_b64 v[37:38], v[35:36], off
	global_load_b64 v[39:40], v[33:34], off
	v_add_co_u32 v33, vcc_lo, v33, 8
	v_add_co_ci_u32_e32 v34, vcc_lo, 0, v34, vcc_lo
	v_add_co_u32 v35, s0, v35, 8
	s_delay_alu instid0(VALU_DEP_1)
	v_add_co_ci_u32_e64 v36, s0, 0, v36, s0
	s_add_u32 s6, s6, 1
	s_addc_u32 s7, s7, 0
	s_and_not1_b32 s0, s38, exec_lo
	s_waitcnt vmcnt(0)
	v_cmp_ne_u64_e32 vcc_lo, v[37:38], v[39:40]
	s_and_b32 s38, vcc_lo, exec_lo
	s_delay_alu instid0(SALU_CYCLE_1)
	s_or_b32 s38, s0, s38
.LBB609_341:                            ;   in Loop: Header=BB609_342 Depth=1
	v_dual_mov_b32 v38, s7 :: v_dual_mov_b32 v37, s6
	s_and_b32 s0, exec_lo, s38
	s_delay_alu instid0(SALU_CYCLE_1) | instskip(NEXT) | instid1(SALU_CYCLE_1)
	s_or_b32 s37, s0, s37
	s_and_not1_b32 exec_lo, exec_lo, s37
	s_cbranch_execz .LBB609_344
.LBB609_342:                            ; =>This Inner Loop Header: Depth=1
	s_or_b32 s38, s38, exec_lo
	s_cmp_eq_u64 s[4:5], s[6:7]
	s_cbranch_scc0 .LBB609_340
; %bb.343:                              ;   in Loop: Header=BB609_342 Depth=1
	s_mov_b64 s[6:7], s[14:15]
                                        ; implicit-def: $vgpr33_vgpr34
                                        ; implicit-def: $vgpr35_vgpr36
	s_branch .LBB609_341
.LBB609_344:
	s_set_inst_prefetch_distance 0x2
	s_or_b32 exec_lo, exec_lo, s37
	v_cmp_gt_i64_e32 vcc_lo, s[14:15], v[37:38]
	s_or_not1_b32 s0, vcc_lo, exec_lo
.LBB609_345:
	s_or_b32 exec_lo, exec_lo, s34
.LBB609_346:
	s_delay_alu instid0(SALU_CYCLE_1)
	s_and_b32 s34, s0, exec_lo
.LBB609_347:
	s_or_b32 exec_lo, exec_lo, s36
	v_or_b32_e32 v33, 2, v55
	s_mov_b32 s36, exec_lo
	s_delay_alu instid0(VALU_DEP_1)
	v_cmpx_gt_u32_e64 s31, v33
	s_cbranch_execz .LBB609_358
; %bb.348:
	s_and_not1_b32 vcc_lo, exec_lo, s13
	s_mov_b32 s0, 0
	s_cbranch_vccnz .LBB609_357
; %bb.349:
	v_mul_lo_u32 v37, v32, s14
	v_mul_lo_u32 v38, v31, s15
	v_mad_u64_u32 v[33:34], null, v31, s14, 0
	v_mul_lo_u32 v39, v26, s14
	v_mul_lo_u32 v40, v25, s15
	v_mad_u64_u32 v[35:36], null, v25, s14, 0
	s_mov_b32 s0, -1
	s_mov_b32 s35, exec_lo
	s_delay_alu instid0(VALU_DEP_4) | instskip(NEXT) | instid1(VALU_DEP_2)
	v_add3_u32 v34, v34, v38, v37
	v_add3_u32 v36, v36, v40, v39
	s_delay_alu instid0(VALU_DEP_2) | instskip(NEXT) | instid1(VALU_DEP_2)
	v_lshlrev_b64 v[33:34], 3, v[33:34]
	v_lshlrev_b64 v[37:38], 3, v[35:36]
	s_delay_alu instid0(VALU_DEP_2) | instskip(NEXT) | instid1(VALU_DEP_3)
	v_add_co_u32 v35, vcc_lo, s20, v33
	v_add_co_ci_u32_e32 v36, vcc_lo, s21, v34, vcc_lo
	s_delay_alu instid0(VALU_DEP_3) | instskip(NEXT) | instid1(VALU_DEP_4)
	v_add_co_u32 v33, vcc_lo, s20, v37
	v_add_co_ci_u32_e32 v34, vcc_lo, s21, v38, vcc_lo
	s_clause 0x1
	global_load_b64 v[37:38], v[35:36], off
	global_load_b64 v[39:40], v[33:34], off
	s_waitcnt vmcnt(0)
	v_cmpx_eq_u64_e64 v[37:38], v[39:40]
	s_cbranch_execz .LBB609_356
; %bb.350:
	v_add_co_u32 v33, vcc_lo, v33, 8
	v_add_co_ci_u32_e32 v34, vcc_lo, 0, v34, vcc_lo
	v_add_co_u32 v35, vcc_lo, v35, 8
	v_add_co_ci_u32_e32 v36, vcc_lo, 0, v36, vcc_lo
	s_add_u32 s4, s14, -1
	s_addc_u32 s5, s15, -1
	s_mov_b64 s[6:7], 0
	s_mov_b32 s37, 0
                                        ; implicit-def: $sgpr38
	s_set_inst_prefetch_distance 0x1
	s_branch .LBB609_353
	.p2align	6
.LBB609_351:                            ;   in Loop: Header=BB609_353 Depth=1
	global_load_b64 v[37:38], v[35:36], off
	global_load_b64 v[39:40], v[33:34], off
	v_add_co_u32 v33, vcc_lo, v33, 8
	v_add_co_ci_u32_e32 v34, vcc_lo, 0, v34, vcc_lo
	v_add_co_u32 v35, s0, v35, 8
	s_delay_alu instid0(VALU_DEP_1)
	v_add_co_ci_u32_e64 v36, s0, 0, v36, s0
	s_add_u32 s6, s6, 1
	s_addc_u32 s7, s7, 0
	s_and_not1_b32 s0, s38, exec_lo
	s_waitcnt vmcnt(0)
	v_cmp_ne_u64_e32 vcc_lo, v[37:38], v[39:40]
	s_and_b32 s38, vcc_lo, exec_lo
	s_delay_alu instid0(SALU_CYCLE_1)
	s_or_b32 s38, s0, s38
.LBB609_352:                            ;   in Loop: Header=BB609_353 Depth=1
	v_dual_mov_b32 v38, s7 :: v_dual_mov_b32 v37, s6
	s_and_b32 s0, exec_lo, s38
	s_delay_alu instid0(SALU_CYCLE_1) | instskip(NEXT) | instid1(SALU_CYCLE_1)
	s_or_b32 s37, s0, s37
	s_and_not1_b32 exec_lo, exec_lo, s37
	s_cbranch_execz .LBB609_355
.LBB609_353:                            ; =>This Inner Loop Header: Depth=1
	s_or_b32 s38, s38, exec_lo
	s_cmp_eq_u64 s[4:5], s[6:7]
	s_cbranch_scc0 .LBB609_351
; %bb.354:                              ;   in Loop: Header=BB609_353 Depth=1
	s_mov_b64 s[6:7], s[14:15]
                                        ; implicit-def: $vgpr33_vgpr34
                                        ; implicit-def: $vgpr35_vgpr36
	s_branch .LBB609_352
.LBB609_355:
	s_set_inst_prefetch_distance 0x2
	s_or_b32 exec_lo, exec_lo, s37
	v_cmp_gt_i64_e32 vcc_lo, s[14:15], v[37:38]
	s_or_not1_b32 s0, vcc_lo, exec_lo
.LBB609_356:
	s_or_b32 exec_lo, exec_lo, s35
.LBB609_357:
	s_delay_alu instid0(SALU_CYCLE_1)
	s_and_b32 s35, s0, exec_lo
.LBB609_358:
	s_or_b32 exec_lo, exec_lo, s36
	v_or_b32_e32 v33, 1, v55
	s_mov_b32 s0, 0
	s_mov_b32 s36, exec_lo
	s_delay_alu instid0(VALU_DEP_1)
	v_cmpx_gt_u32_e64 s31, v33
	s_cbranch_execz .LBB609_369
; %bb.359:
	s_and_not1_b32 vcc_lo, exec_lo, s13
	s_cbranch_vccnz .LBB609_368
; %bb.360:
	v_mul_lo_u32 v37, v30, s14
	v_mul_lo_u32 v38, v29, s15
	v_mad_u64_u32 v[33:34], null, v29, s14, 0
	v_mul_lo_u32 v39, v32, s14
	v_mul_lo_u32 v40, v31, s15
	v_mad_u64_u32 v[35:36], null, v31, s14, 0
	s_mov_b32 s0, -1
	s_mov_b32 s37, exec_lo
	s_delay_alu instid0(VALU_DEP_4) | instskip(NEXT) | instid1(VALU_DEP_2)
	v_add3_u32 v34, v34, v38, v37
	v_add3_u32 v36, v36, v40, v39
	s_delay_alu instid0(VALU_DEP_2) | instskip(NEXT) | instid1(VALU_DEP_2)
	v_lshlrev_b64 v[33:34], 3, v[33:34]
	v_lshlrev_b64 v[37:38], 3, v[35:36]
	s_delay_alu instid0(VALU_DEP_2) | instskip(NEXT) | instid1(VALU_DEP_3)
	v_add_co_u32 v35, vcc_lo, s20, v33
	v_add_co_ci_u32_e32 v36, vcc_lo, s21, v34, vcc_lo
	s_delay_alu instid0(VALU_DEP_3) | instskip(NEXT) | instid1(VALU_DEP_4)
	v_add_co_u32 v33, vcc_lo, s20, v37
	v_add_co_ci_u32_e32 v34, vcc_lo, s21, v38, vcc_lo
	s_clause 0x1
	global_load_b64 v[37:38], v[35:36], off
	global_load_b64 v[39:40], v[33:34], off
	s_waitcnt vmcnt(0)
	v_cmpx_eq_u64_e64 v[37:38], v[39:40]
	s_cbranch_execz .LBB609_367
; %bb.361:
	v_add_co_u32 v33, vcc_lo, v33, 8
	v_add_co_ci_u32_e32 v34, vcc_lo, 0, v34, vcc_lo
	v_add_co_u32 v35, vcc_lo, v35, 8
	v_add_co_ci_u32_e32 v36, vcc_lo, 0, v36, vcc_lo
	s_add_u32 s4, s14, -1
	s_addc_u32 s5, s15, -1
	s_mov_b64 s[6:7], 0
	s_mov_b32 s38, 0
                                        ; implicit-def: $sgpr39
	s_set_inst_prefetch_distance 0x1
	s_branch .LBB609_364
	.p2align	6
.LBB609_362:                            ;   in Loop: Header=BB609_364 Depth=1
	global_load_b64 v[37:38], v[35:36], off
	global_load_b64 v[39:40], v[33:34], off
	v_add_co_u32 v33, vcc_lo, v33, 8
	v_add_co_ci_u32_e32 v34, vcc_lo, 0, v34, vcc_lo
	v_add_co_u32 v35, s0, v35, 8
	s_delay_alu instid0(VALU_DEP_1)
	v_add_co_ci_u32_e64 v36, s0, 0, v36, s0
	s_add_u32 s6, s6, 1
	s_addc_u32 s7, s7, 0
	s_and_not1_b32 s0, s39, exec_lo
	s_waitcnt vmcnt(0)
	v_cmp_ne_u64_e32 vcc_lo, v[37:38], v[39:40]
	s_and_b32 s39, vcc_lo, exec_lo
	s_delay_alu instid0(SALU_CYCLE_1)
	s_or_b32 s39, s0, s39
.LBB609_363:                            ;   in Loop: Header=BB609_364 Depth=1
	v_dual_mov_b32 v38, s7 :: v_dual_mov_b32 v37, s6
	s_and_b32 s0, exec_lo, s39
	s_delay_alu instid0(SALU_CYCLE_1) | instskip(NEXT) | instid1(SALU_CYCLE_1)
	s_or_b32 s38, s0, s38
	s_and_not1_b32 exec_lo, exec_lo, s38
	s_cbranch_execz .LBB609_366
.LBB609_364:                            ; =>This Inner Loop Header: Depth=1
	s_or_b32 s39, s39, exec_lo
	s_cmp_eq_u64 s[4:5], s[6:7]
	s_cbranch_scc0 .LBB609_362
; %bb.365:                              ;   in Loop: Header=BB609_364 Depth=1
	s_mov_b64 s[6:7], s[14:15]
                                        ; implicit-def: $vgpr33_vgpr34
                                        ; implicit-def: $vgpr35_vgpr36
	s_branch .LBB609_363
.LBB609_366:
	s_set_inst_prefetch_distance 0x2
	s_or_b32 exec_lo, exec_lo, s38
	v_cmp_gt_i64_e32 vcc_lo, s[14:15], v[37:38]
	s_or_not1_b32 s0, vcc_lo, exec_lo
.LBB609_367:
	s_or_b32 exec_lo, exec_lo, s37
.LBB609_368:
	s_delay_alu instid0(SALU_CYCLE_1)
	s_and_b32 s0, s0, exec_lo
.LBB609_369:
	s_or_b32 exec_lo, exec_lo, s36
	v_cndmask_b32_e64 v34, 0, 1, s34
	v_cndmask_b32_e64 v35, 0, 1, s27
	v_cndmask_b32_e64 v36, 0, 1, s25
	v_cndmask_b32_e64 v37, 0, 1, s0
	v_cndmask_b32_e64 v33, 0, 1, s35
	v_cndmask_b32_e64 v38, 0, 1, s26
	v_cndmask_b32_e64 v39, 0, 1, s24
	v_lshlrev_b16 v35, 8, v35
	v_lshlrev_b16 v36, 8, v36
	;; [unrolled: 1-line block ×4, first 2 shown]
	s_waitcnt lgkmcnt(0)
	v_or_b32_e32 v35, v38, v35
	v_or_b32_e32 v36, v39, v36
	;; [unrolled: 1-line block ×4, first 2 shown]
	s_barrier
	v_and_b32_e32 v34, 0xffff, v35
	v_lshlrev_b32_e32 v35, 16, v36
	v_and_b32_e32 v37, 0xffff, v37
	v_lshlrev_b32_e32 v33, 16, v33
	buffer_gl0_inv
                                        ; implicit-def: $sgpr0
	v_or_b32_e32 v36, v34, v35
	v_or_b32_e32 v35, v37, v33
	s_and_saveexec_b32 s24, s3
	s_cbranch_execz .LBB609_382
; %bb.370:
	s_mov_b32 s0, 0
	s_mov_b32 s3, exec_lo
	v_cmpx_gt_u32_e64 s31, v55
	s_cbranch_execz .LBB609_381
; %bb.371:
	s_and_not1_b32 vcc_lo, exec_lo, s13
	s_cbranch_vccnz .LBB609_380
; %bb.372:
	v_add_nc_u32_e32 v33, -8, v55
	v_mul_lo_u32 v41, v30, s14
	v_mul_lo_u32 v42, v29, s15
	s_mov_b32 s0, -1
	s_mov_b32 s13, exec_lo
	ds_load_b64 v[33:34], v33
	s_waitcnt lgkmcnt(0)
	v_mul_lo_u32 v39, v34, s14
	v_mul_lo_u32 v40, v33, s15
	v_mad_u64_u32 v[37:38], null, v33, s14, 0
	v_mad_u64_u32 v[33:34], null, v29, s14, 0
	s_delay_alu instid0(VALU_DEP_2) | instskip(NEXT) | instid1(VALU_DEP_2)
	v_add3_u32 v38, v38, v40, v39
	v_add3_u32 v34, v34, v42, v41
	s_delay_alu instid0(VALU_DEP_2) | instskip(NEXT) | instid1(VALU_DEP_2)
	v_lshlrev_b64 v[37:38], 3, v[37:38]
	v_lshlrev_b64 v[33:34], 3, v[33:34]
	s_delay_alu instid0(VALU_DEP_2) | instskip(NEXT) | instid1(VALU_DEP_3)
	v_add_co_u32 v37, vcc_lo, s20, v37
	v_add_co_ci_u32_e32 v38, vcc_lo, s21, v38, vcc_lo
	s_delay_alu instid0(VALU_DEP_3) | instskip(NEXT) | instid1(VALU_DEP_4)
	v_add_co_u32 v33, vcc_lo, s20, v33
	v_add_co_ci_u32_e32 v34, vcc_lo, s21, v34, vcc_lo
	s_clause 0x1
	global_load_b64 v[39:40], v[37:38], off
	global_load_b64 v[41:42], v[33:34], off
	s_waitcnt vmcnt(0)
	v_cmpx_eq_u64_e64 v[39:40], v[41:42]
	s_cbranch_execz .LBB609_379
; %bb.373:
	v_add_co_u32 v33, vcc_lo, v33, 8
	v_add_co_ci_u32_e32 v34, vcc_lo, 0, v34, vcc_lo
	v_add_co_u32 v37, vcc_lo, v37, 8
	v_add_co_ci_u32_e32 v38, vcc_lo, 0, v38, vcc_lo
	s_add_u32 s4, s14, -1
	s_addc_u32 s5, s15, -1
	s_mov_b64 s[6:7], 0
	s_mov_b32 s20, 0
                                        ; implicit-def: $sgpr21
	s_set_inst_prefetch_distance 0x1
	s_branch .LBB609_376
	.p2align	6
.LBB609_374:                            ;   in Loop: Header=BB609_376 Depth=1
	global_load_b64 v[39:40], v[37:38], off
	global_load_b64 v[41:42], v[33:34], off
	v_add_co_u32 v33, vcc_lo, v33, 8
	v_add_co_ci_u32_e32 v34, vcc_lo, 0, v34, vcc_lo
	v_add_co_u32 v37, s0, v37, 8
	s_delay_alu instid0(VALU_DEP_1)
	v_add_co_ci_u32_e64 v38, s0, 0, v38, s0
	s_add_u32 s6, s6, 1
	s_addc_u32 s7, s7, 0
	s_and_not1_b32 s0, s21, exec_lo
	s_waitcnt vmcnt(0)
	v_cmp_ne_u64_e32 vcc_lo, v[39:40], v[41:42]
	s_and_b32 s21, vcc_lo, exec_lo
	s_delay_alu instid0(SALU_CYCLE_1)
	s_or_b32 s21, s0, s21
.LBB609_375:                            ;   in Loop: Header=BB609_376 Depth=1
	v_dual_mov_b32 v40, s7 :: v_dual_mov_b32 v39, s6
	s_and_b32 s0, exec_lo, s21
	s_delay_alu instid0(SALU_CYCLE_1) | instskip(NEXT) | instid1(SALU_CYCLE_1)
	s_or_b32 s20, s0, s20
	s_and_not1_b32 exec_lo, exec_lo, s20
	s_cbranch_execz .LBB609_378
.LBB609_376:                            ; =>This Inner Loop Header: Depth=1
	s_or_b32 s21, s21, exec_lo
	s_cmp_eq_u64 s[4:5], s[6:7]
	s_cbranch_scc0 .LBB609_374
; %bb.377:                              ;   in Loop: Header=BB609_376 Depth=1
	s_mov_b64 s[6:7], s[14:15]
                                        ; implicit-def: $vgpr33_vgpr34
                                        ; implicit-def: $vgpr37_vgpr38
	s_branch .LBB609_375
.LBB609_378:
	s_set_inst_prefetch_distance 0x2
	s_or_b32 exec_lo, exec_lo, s20
	v_cmp_gt_i64_e32 vcc_lo, s[14:15], v[39:40]
	s_or_not1_b32 s0, vcc_lo, exec_lo
.LBB609_379:
	s_or_b32 exec_lo, exec_lo, s13
.LBB609_380:
	s_delay_alu instid0(SALU_CYCLE_1)
	s_and_b32 s0, s0, exec_lo
.LBB609_381:
	s_or_b32 exec_lo, exec_lo, s3
	s_delay_alu instid0(SALU_CYCLE_1)
	s_and_b32 s0, s0, exec_lo
	s_or_b32 s1, s1, exec_lo
.LBB609_382:
	s_or_b32 exec_lo, exec_lo, s24
.LBB609_383:
	s_and_saveexec_b32 s3, s1
	s_cbranch_execz .LBB609_385
; %bb.384:
	s_waitcnt vmcnt(0) lgkmcnt(0)
	v_and_b32_e32 v33, 0xffffff00, v35
	v_cndmask_b32_e64 v34, 0, 1, s0
	s_delay_alu instid0(VALU_DEP_1) | instskip(NEXT) | instid1(VALU_DEP_1)
	v_or_b32_e32 v33, v34, v33
	v_and_b32_e32 v33, 0xffff, v33
	s_delay_alu instid0(VALU_DEP_1)
	v_and_or_b32 v35, 0xffff0000, v35, v33
.LBB609_385:
	s_or_b32 exec_lo, exec_lo, s3
	s_delay_alu instid0(SALU_CYCLE_1)
	s_and_not1_b32 vcc_lo, exec_lo, s33
	s_cbranch_vccnz .LBB609_387
; %bb.386:
	v_cmp_gt_u32_e32 vcc_lo, s31, v55
	s_waitcnt vmcnt(0) lgkmcnt(0)
	v_or_b32_e32 v34, 1, v55
	v_and_b32_e32 v37, 0xffffff00, v36
	v_or_b32_e32 v38, 2, v55
	v_cndmask_b32_e32 v33, 0, v35, vcc_lo
	s_delay_alu instid0(VALU_DEP_4) | instskip(SKIP_1) | instid1(VALU_DEP_4)
	v_cmp_gt_u32_e32 vcc_lo, s31, v34
	v_or_b32_e32 v34, 4, v55
	v_cmp_gt_u32_e64 s0, s31, v38
	v_or_b32_e32 v38, 3, v55
	v_and_b32_e32 v33, 0xff, v33
	s_delay_alu instid0(VALU_DEP_2) | instskip(NEXT) | instid1(VALU_DEP_2)
	v_cmp_gt_u32_e64 s1, s31, v38
	v_cndmask_b32_e32 v33, v33, v35, vcc_lo
	v_cmp_gt_u32_e32 vcc_lo, s31, v34
	v_cndmask_b32_e32 v34, v37, v36, vcc_lo
	v_or_b32_e32 v37, 5, v55
	s_delay_alu instid0(VALU_DEP_2) | instskip(SKIP_1) | instid1(VALU_DEP_1)
	v_and_b32_e32 v34, 0xffff00ff, v34
	v_and_b32_e32 v33, 0xffff, v33
	v_cndmask_b32_e64 v33, v33, v35, s0
	s_delay_alu instid0(VALU_DEP_4) | instskip(SKIP_1) | instid1(VALU_DEP_3)
	v_cmp_gt_u32_e64 s0, s31, v37
	v_or_b32_e32 v37, 6, v55
	v_and_b32_e32 v33, 0xffffff, v33
	s_delay_alu instid0(VALU_DEP_3) | instskip(NEXT) | instid1(VALU_DEP_2)
	v_cndmask_b32_e64 v34, v34, v36, s0
	v_cndmask_b32_e64 v33, v33, v35, s1
	s_delay_alu instid0(VALU_DEP_1) | instskip(SKIP_2) | instid1(VALU_DEP_3)
	v_dual_cndmask_b32 v33, v33, v35 :: v_dual_and_b32 v34, 0xff00ffff, v34
	v_cmp_gt_u32_e32 vcc_lo, s31, v37
	v_or_b32_e32 v37, 7, v55
	v_cndmask_b32_e64 v33, v33, v35, s0
	s_delay_alu instid0(VALU_DEP_1) | instskip(NEXT) | instid1(VALU_DEP_1)
	v_dual_cndmask_b32 v34, v34, v36 :: v_dual_cndmask_b32 v33, v33, v35
	v_and_b32_e32 v34, 0xffffff, v34
	s_delay_alu instid0(VALU_DEP_4) | instskip(NEXT) | instid1(VALU_DEP_2)
	v_cmp_gt_u32_e32 vcc_lo, s31, v37
	v_dual_cndmask_b32 v36, v34, v36 :: v_dual_cndmask_b32 v35, v33, v35
.LBB609_387:
	s_delay_alu instid0(VALU_DEP_1) | instskip(SKIP_1) | instid1(VALU_DEP_2)
	v_and_b32_e32 v44, 0xff, v35
	s_waitcnt vmcnt(0) lgkmcnt(0)
	v_alignbit_b32 v33, v36, v35, 24
	v_bfe_u32 v46, v35, 8, 8
	v_bfe_u32 v48, v35, 16, 8
	v_and_b32_e32 v52, 0xff, v36
	v_bfe_u32 v54, v36, 8, 8
	v_and_b32_e32 v50, 0xff, v33
	v_add_nc_u32_e32 v33, v46, v44
	v_mbcnt_lo_u32_b32 v58, -1, 0
	v_bfe_u32 v57, v36, 16, 8
	v_lshrrev_b32_e32 v56, 24, v36
	v_lshrrev_b32_e32 v59, 5, v0
	v_add3_u32 v33, v33, v48, v50
	v_and_b32_e32 v34, 15, v58
	v_and_b32_e32 v37, 16, v58
	s_and_b32 vcc_lo, exec_lo, s12
	s_mov_b32 s7, -1
	v_add3_u32 v33, v33, v52, v54
	v_cmp_eq_u32_e64 s3, 0, v34
	v_cmp_lt_u32_e64 s0, 1, v34
	v_cmp_lt_u32_e64 s4, 3, v34
	;; [unrolled: 1-line block ×3, first 2 shown]
	v_add3_u32 v60, v33, v57, v56
	v_or_b32_e32 v33, 31, v0
	v_cmp_eq_u32_e64 s6, 0, v37
	s_barrier
	buffer_gl0_inv
	v_cmp_eq_u32_e64 s5, v33, v0
	s_cbranch_vccz .LBB609_418
; %bb.388:
	v_mov_b32_dpp v33, v60 row_shr:1 row_mask:0xf bank_mask:0xf
	s_delay_alu instid0(VALU_DEP_1) | instskip(NEXT) | instid1(VALU_DEP_1)
	v_cndmask_b32_e64 v33, v33, 0, s3
	v_add_nc_u32_e32 v33, v33, v60
	s_delay_alu instid0(VALU_DEP_1) | instskip(NEXT) | instid1(VALU_DEP_1)
	v_mov_b32_dpp v34, v33 row_shr:2 row_mask:0xf bank_mask:0xf
	v_cndmask_b32_e64 v34, 0, v34, s0
	s_delay_alu instid0(VALU_DEP_1) | instskip(NEXT) | instid1(VALU_DEP_1)
	v_add_nc_u32_e32 v33, v33, v34
	v_mov_b32_dpp v34, v33 row_shr:4 row_mask:0xf bank_mask:0xf
	s_delay_alu instid0(VALU_DEP_1) | instskip(NEXT) | instid1(VALU_DEP_1)
	v_cndmask_b32_e64 v34, 0, v34, s4
	v_add_nc_u32_e32 v33, v33, v34
	s_delay_alu instid0(VALU_DEP_1) | instskip(NEXT) | instid1(VALU_DEP_1)
	v_mov_b32_dpp v34, v33 row_shr:8 row_mask:0xf bank_mask:0xf
	v_cndmask_b32_e64 v34, 0, v34, s1
	s_delay_alu instid0(VALU_DEP_1) | instskip(SKIP_3) | instid1(VALU_DEP_1)
	v_add_nc_u32_e32 v33, v33, v34
	ds_swizzle_b32 v34, v33 offset:swizzle(BROADCAST,32,15)
	s_waitcnt lgkmcnt(0)
	v_cndmask_b32_e64 v34, v34, 0, s6
	v_add_nc_u32_e32 v33, v33, v34
	s_and_saveexec_b32 s7, s5
	s_cbranch_execz .LBB609_390
; %bb.389:
	v_lshlrev_b32_e32 v34, 2, v59
	ds_store_b32 v34, v33
.LBB609_390:
	s_or_b32 exec_lo, exec_lo, s7
	s_delay_alu instid0(SALU_CYCLE_1)
	s_mov_b32 s7, exec_lo
	s_waitcnt lgkmcnt(0)
	s_barrier
	buffer_gl0_inv
	v_cmpx_gt_u32_e32 16, v0
	s_cbranch_execz .LBB609_392
; %bb.391:
	v_lshlrev_b32_e32 v34, 2, v0
	ds_load_b32 v37, v34
	s_waitcnt lgkmcnt(0)
	v_mov_b32_dpp v38, v37 row_shr:1 row_mask:0xf bank_mask:0xf
	s_delay_alu instid0(VALU_DEP_1) | instskip(NEXT) | instid1(VALU_DEP_1)
	v_cndmask_b32_e64 v38, v38, 0, s3
	v_add_nc_u32_e32 v37, v38, v37
	s_delay_alu instid0(VALU_DEP_1) | instskip(NEXT) | instid1(VALU_DEP_1)
	v_mov_b32_dpp v38, v37 row_shr:2 row_mask:0xf bank_mask:0xf
	v_cndmask_b32_e64 v38, 0, v38, s0
	s_delay_alu instid0(VALU_DEP_1) | instskip(NEXT) | instid1(VALU_DEP_1)
	v_add_nc_u32_e32 v37, v37, v38
	v_mov_b32_dpp v38, v37 row_shr:4 row_mask:0xf bank_mask:0xf
	s_delay_alu instid0(VALU_DEP_1) | instskip(NEXT) | instid1(VALU_DEP_1)
	v_cndmask_b32_e64 v38, 0, v38, s4
	v_add_nc_u32_e32 v37, v37, v38
	s_delay_alu instid0(VALU_DEP_1) | instskip(NEXT) | instid1(VALU_DEP_1)
	v_mov_b32_dpp v38, v37 row_shr:8 row_mask:0xf bank_mask:0xf
	v_cndmask_b32_e64 v38, 0, v38, s1
	s_delay_alu instid0(VALU_DEP_1)
	v_add_nc_u32_e32 v37, v37, v38
	ds_store_b32 v34, v37
.LBB609_392:
	s_or_b32 exec_lo, exec_lo, s7
	v_cmp_gt_u32_e32 vcc_lo, 32, v0
	s_mov_b32 s12, exec_lo
	s_waitcnt lgkmcnt(0)
	s_barrier
	buffer_gl0_inv
                                        ; implicit-def: $vgpr43
	v_cmpx_lt_u32_e32 31, v0
	s_cbranch_execz .LBB609_394
; %bb.393:
	v_lshl_add_u32 v34, v59, 2, -4
	ds_load_b32 v43, v34
	s_waitcnt lgkmcnt(0)
	v_add_nc_u32_e32 v33, v43, v33
.LBB609_394:
	s_or_b32 exec_lo, exec_lo, s12
	v_add_nc_u32_e32 v34, -1, v58
	s_delay_alu instid0(VALU_DEP_1) | instskip(NEXT) | instid1(VALU_DEP_1)
	v_cmp_gt_i32_e64 s7, 0, v34
	v_cndmask_b32_e64 v34, v34, v58, s7
	v_cmp_eq_u32_e64 s7, 0, v58
	s_delay_alu instid0(VALU_DEP_2)
	v_lshlrev_b32_e32 v34, 2, v34
	ds_bpermute_b32 v45, v34, v33
	s_and_saveexec_b32 s12, vcc_lo
	s_cbranch_execz .LBB609_417
; %bb.395:
	v_mov_b32_e32 v39, 0
	ds_load_b32 v33, v39 offset:60
	s_and_saveexec_b32 s13, s7
	s_cbranch_execz .LBB609_397
; %bb.396:
	s_add_i32 s14, s30, 32
	s_mov_b32 s15, 0
	v_mov_b32_e32 v34, 1
	s_lshl_b64 s[14:15], s[14:15], 3
	s_delay_alu instid0(SALU_CYCLE_1)
	s_add_u32 s14, s22, s14
	s_addc_u32 s15, s23, s15
	s_waitcnt lgkmcnt(0)
	global_store_b64 v39, v[33:34], s[14:15]
.LBB609_397:
	s_or_b32 exec_lo, exec_lo, s13
	v_xad_u32 v37, v58, -1, s30
	s_mov_b32 s14, 0
	s_mov_b32 s13, exec_lo
	s_delay_alu instid0(VALU_DEP_1) | instskip(NEXT) | instid1(VALU_DEP_1)
	v_add_nc_u32_e32 v38, 32, v37
	v_lshlrev_b64 v[38:39], 3, v[38:39]
	s_delay_alu instid0(VALU_DEP_1) | instskip(NEXT) | instid1(VALU_DEP_2)
	v_add_co_u32 v41, vcc_lo, s22, v38
	v_add_co_ci_u32_e32 v42, vcc_lo, s23, v39, vcc_lo
	global_load_b64 v[39:40], v[41:42], off glc
	s_waitcnt vmcnt(0)
	v_and_b32_e32 v34, 0xff, v40
	s_delay_alu instid0(VALU_DEP_1)
	v_cmpx_eq_u16_e32 0, v34
	s_cbranch_execz .LBB609_403
; %bb.398:
	s_mov_b32 s15, 1
	.p2align	6
.LBB609_399:                            ; =>This Loop Header: Depth=1
                                        ;     Child Loop BB609_400 Depth 2
	s_delay_alu instid0(SALU_CYCLE_1)
	s_max_u32 s20, s15, 1
.LBB609_400:                            ;   Parent Loop BB609_399 Depth=1
                                        ; =>  This Inner Loop Header: Depth=2
	s_delay_alu instid0(SALU_CYCLE_1)
	s_add_i32 s20, s20, -1
	s_sleep 1
	s_cmp_eq_u32 s20, 0
	s_cbranch_scc0 .LBB609_400
; %bb.401:                              ;   in Loop: Header=BB609_399 Depth=1
	global_load_b64 v[39:40], v[41:42], off glc
	s_cmp_lt_u32 s15, 32
	s_cselect_b32 s20, -1, 0
	s_delay_alu instid0(SALU_CYCLE_1) | instskip(SKIP_3) | instid1(VALU_DEP_1)
	s_cmp_lg_u32 s20, 0
	s_addc_u32 s15, s15, 0
	s_waitcnt vmcnt(0)
	v_and_b32_e32 v34, 0xff, v40
	v_cmp_ne_u16_e32 vcc_lo, 0, v34
	s_or_b32 s14, vcc_lo, s14
	s_delay_alu instid0(SALU_CYCLE_1)
	s_and_not1_b32 exec_lo, exec_lo, s14
	s_cbranch_execnz .LBB609_399
; %bb.402:
	s_or_b32 exec_lo, exec_lo, s14
.LBB609_403:
	s_delay_alu instid0(SALU_CYCLE_1)
	s_or_b32 exec_lo, exec_lo, s13
	v_cmp_ne_u32_e32 vcc_lo, 31, v58
	v_and_b32_e32 v38, 0xff, v40
	v_lshlrev_b32_e64 v47, v58, -1
	v_add_nc_u32_e32 v51, 2, v58
	v_add_nc_u32_e32 v61, 4, v58
	v_add_co_ci_u32_e32 v34, vcc_lo, 0, v58, vcc_lo
	v_cmp_eq_u16_e32 vcc_lo, 2, v38
	v_add_nc_u32_e32 v64, 8, v58
	v_add_nc_u32_e32 v66, 16, v58
	v_and_or_b32 v38, vcc_lo, v47, 0x80000000
	v_cmp_gt_u32_e32 vcc_lo, 30, v58
	s_delay_alu instid0(VALU_DEP_2) | instskip(SKIP_1) | instid1(VALU_DEP_2)
	v_ctz_i32_b32_e32 v38, v38
	v_cndmask_b32_e64 v42, 0, 1, vcc_lo
	v_cmp_lt_u32_e32 vcc_lo, v58, v38
	v_lshlrev_b32_e32 v34, 2, v34
	s_delay_alu instid0(VALU_DEP_3)
	v_lshlrev_b32_e32 v42, 1, v42
	ds_bpermute_b32 v41, v34, v39
	v_add_lshl_u32 v49, v42, v58, 2
	s_waitcnt lgkmcnt(0)
	v_cndmask_b32_e32 v41, 0, v41, vcc_lo
	v_cmp_gt_u32_e32 vcc_lo, 28, v58
	s_delay_alu instid0(VALU_DEP_2) | instskip(SKIP_4) | instid1(VALU_DEP_1)
	v_add_nc_u32_e32 v39, v41, v39
	v_cndmask_b32_e64 v42, 0, 1, vcc_lo
	v_cmp_le_u32_e32 vcc_lo, v51, v38
	ds_bpermute_b32 v41, v49, v39
	v_lshlrev_b32_e32 v42, 2, v42
	v_add_lshl_u32 v53, v42, v58, 2
	s_waitcnt lgkmcnt(0)
	v_cndmask_b32_e32 v41, 0, v41, vcc_lo
	v_cmp_gt_u32_e32 vcc_lo, 24, v58
	s_delay_alu instid0(VALU_DEP_2) | instskip(SKIP_4) | instid1(VALU_DEP_1)
	v_add_nc_u32_e32 v39, v39, v41
	v_cndmask_b32_e64 v42, 0, 1, vcc_lo
	v_cmp_le_u32_e32 vcc_lo, v61, v38
	ds_bpermute_b32 v41, v53, v39
	v_lshlrev_b32_e32 v42, 3, v42
	;; [unrolled: 10-line block ×3, first 2 shown]
	v_add_lshl_u32 v65, v42, v58, 2
	s_waitcnt lgkmcnt(0)
	v_cndmask_b32_e32 v41, 0, v41, vcc_lo
	v_cmp_le_u32_e32 vcc_lo, v66, v38
	s_delay_alu instid0(VALU_DEP_2) | instskip(SKIP_3) | instid1(VALU_DEP_1)
	v_add_nc_u32_e32 v39, v39, v41
	ds_bpermute_b32 v41, v65, v39
	s_waitcnt lgkmcnt(0)
	v_cndmask_b32_e32 v38, 0, v41, vcc_lo
	v_dual_mov_b32 v38, 0 :: v_dual_add_nc_u32 v39, v39, v38
	s_branch .LBB609_405
.LBB609_404:                            ;   in Loop: Header=BB609_405 Depth=1
	s_or_b32 exec_lo, exec_lo, s13
	ds_bpermute_b32 v42, v34, v39
	v_and_b32_e32 v41, 0xff, v40
	v_subrev_nc_u32_e32 v37, 32, v37
	s_delay_alu instid0(VALU_DEP_2) | instskip(SKIP_1) | instid1(VALU_DEP_1)
	v_cmp_eq_u16_e32 vcc_lo, 2, v41
	v_and_or_b32 v41, vcc_lo, v47, 0x80000000
	v_ctz_i32_b32_e32 v41, v41
	s_delay_alu instid0(VALU_DEP_1) | instskip(SKIP_3) | instid1(VALU_DEP_2)
	v_cmp_lt_u32_e32 vcc_lo, v58, v41
	s_waitcnt lgkmcnt(0)
	v_cndmask_b32_e32 v42, 0, v42, vcc_lo
	v_cmp_le_u32_e32 vcc_lo, v51, v41
	v_add_nc_u32_e32 v39, v42, v39
	ds_bpermute_b32 v42, v49, v39
	s_waitcnt lgkmcnt(0)
	v_cndmask_b32_e32 v42, 0, v42, vcc_lo
	v_cmp_le_u32_e32 vcc_lo, v61, v41
	s_delay_alu instid0(VALU_DEP_2) | instskip(SKIP_4) | instid1(VALU_DEP_2)
	v_add_nc_u32_e32 v39, v39, v42
	ds_bpermute_b32 v42, v53, v39
	s_waitcnt lgkmcnt(0)
	v_cndmask_b32_e32 v42, 0, v42, vcc_lo
	v_cmp_le_u32_e32 vcc_lo, v64, v41
	v_add_nc_u32_e32 v39, v39, v42
	ds_bpermute_b32 v42, v63, v39
	s_waitcnt lgkmcnt(0)
	v_cndmask_b32_e32 v42, 0, v42, vcc_lo
	v_cmp_le_u32_e32 vcc_lo, v66, v41
	s_delay_alu instid0(VALU_DEP_2) | instskip(SKIP_3) | instid1(VALU_DEP_1)
	v_add_nc_u32_e32 v39, v39, v42
	ds_bpermute_b32 v42, v65, v39
	s_waitcnt lgkmcnt(0)
	v_cndmask_b32_e32 v41, 0, v42, vcc_lo
	v_add3_u32 v39, v41, v62, v39
.LBB609_405:                            ; =>This Loop Header: Depth=1
                                        ;     Child Loop BB609_408 Depth 2
                                        ;       Child Loop BB609_409 Depth 3
	v_and_b32_e32 v40, 0xff, v40
	s_delay_alu instid0(VALU_DEP_2) | instskip(NEXT) | instid1(VALU_DEP_2)
	v_mov_b32_e32 v62, v39
	v_cmp_ne_u16_e32 vcc_lo, 2, v40
	v_cndmask_b32_e64 v40, 0, 1, vcc_lo
	;;#ASMSTART
	;;#ASMEND
	s_delay_alu instid0(VALU_DEP_1)
	v_cmp_ne_u32_e32 vcc_lo, 0, v40
	s_cmp_lg_u32 vcc_lo, exec_lo
	s_cbranch_scc1 .LBB609_412
; %bb.406:                              ;   in Loop: Header=BB609_405 Depth=1
	v_lshlrev_b64 v[39:40], 3, v[37:38]
	s_mov_b32 s13, exec_lo
	s_delay_alu instid0(VALU_DEP_1) | instskip(NEXT) | instid1(VALU_DEP_2)
	v_add_co_u32 v41, vcc_lo, s22, v39
	v_add_co_ci_u32_e32 v42, vcc_lo, s23, v40, vcc_lo
	global_load_b64 v[39:40], v[41:42], off glc
	s_waitcnt vmcnt(0)
	v_and_b32_e32 v67, 0xff, v40
	s_delay_alu instid0(VALU_DEP_1)
	v_cmpx_eq_u16_e32 0, v67
	s_cbranch_execz .LBB609_404
; %bb.407:                              ;   in Loop: Header=BB609_405 Depth=1
	s_mov_b32 s15, 1
	s_mov_b32 s14, 0
	.p2align	6
.LBB609_408:                            ;   Parent Loop BB609_405 Depth=1
                                        ; =>  This Loop Header: Depth=2
                                        ;       Child Loop BB609_409 Depth 3
	s_max_u32 s20, s15, 1
.LBB609_409:                            ;   Parent Loop BB609_405 Depth=1
                                        ;     Parent Loop BB609_408 Depth=2
                                        ; =>    This Inner Loop Header: Depth=3
	s_delay_alu instid0(SALU_CYCLE_1)
	s_add_i32 s20, s20, -1
	s_sleep 1
	s_cmp_eq_u32 s20, 0
	s_cbranch_scc0 .LBB609_409
; %bb.410:                              ;   in Loop: Header=BB609_408 Depth=2
	global_load_b64 v[39:40], v[41:42], off glc
	s_cmp_lt_u32 s15, 32
	s_cselect_b32 s20, -1, 0
	s_delay_alu instid0(SALU_CYCLE_1) | instskip(SKIP_3) | instid1(VALU_DEP_1)
	s_cmp_lg_u32 s20, 0
	s_addc_u32 s15, s15, 0
	s_waitcnt vmcnt(0)
	v_and_b32_e32 v67, 0xff, v40
	v_cmp_ne_u16_e32 vcc_lo, 0, v67
	s_or_b32 s14, vcc_lo, s14
	s_delay_alu instid0(SALU_CYCLE_1)
	s_and_not1_b32 exec_lo, exec_lo, s14
	s_cbranch_execnz .LBB609_408
; %bb.411:                              ;   in Loop: Header=BB609_405 Depth=1
	s_or_b32 exec_lo, exec_lo, s14
	s_branch .LBB609_404
.LBB609_412:                            ;   in Loop: Header=BB609_405 Depth=1
                                        ; implicit-def: $vgpr39
                                        ; implicit-def: $vgpr40
	s_cbranch_execz .LBB609_405
; %bb.413:
	s_and_saveexec_b32 s13, s7
	s_cbranch_execz .LBB609_415
; %bb.414:
	s_add_i32 s14, s30, 32
	s_mov_b32 s15, 0
	v_dual_mov_b32 v38, 2 :: v_dual_add_nc_u32 v37, v62, v33
	s_lshl_b64 s[14:15], s[14:15], 3
	v_mov_b32_e32 v34, 0
	v_add_nc_u32_e64 v39, 0x8400, 0
	s_add_u32 s14, s22, s14
	s_addc_u32 s15, s23, s15
	global_store_b64 v34, v[37:38], s[14:15]
	ds_store_2addr_b32 v39, v33, v62 offset1:2
.LBB609_415:
	s_or_b32 exec_lo, exec_lo, s13
	s_delay_alu instid0(SALU_CYCLE_1)
	s_and_b32 exec_lo, exec_lo, s2
	s_cbranch_execz .LBB609_417
; %bb.416:
	v_mov_b32_e32 v33, 0
	ds_store_b32 v33, v62 offset:60
.LBB609_417:
	s_or_b32 exec_lo, exec_lo, s12
	v_mov_b32_e32 v33, 0
	s_waitcnt lgkmcnt(0)
	s_waitcnt_vscnt null, 0x0
	s_barrier
	buffer_gl0_inv
	v_cndmask_b32_e64 v34, v45, v43, s7
	ds_load_b32 v33, v33 offset:60
	s_waitcnt lgkmcnt(0)
	s_barrier
	buffer_gl0_inv
	v_cndmask_b32_e64 v34, v34, 0, s2
	s_delay_alu instid0(VALU_DEP_1) | instskip(SKIP_1) | instid1(VALU_DEP_2)
	v_add_nc_u32_e32 v53, v33, v34
	v_add_nc_u32_e64 v33, 0x8400, 0
	v_add_nc_u32_e32 v51, v53, v44
	ds_load_2addr_b32 v[33:34], v33 offset1:2
	v_add_nc_u32_e32 v49, v51, v46
	s_delay_alu instid0(VALU_DEP_1) | instskip(NEXT) | instid1(VALU_DEP_1)
	v_add_nc_u32_e32 v47, v49, v48
	v_add_nc_u32_e32 v45, v47, v50
	s_delay_alu instid0(VALU_DEP_1) | instskip(SKIP_2) | instid1(VALU_DEP_2)
	v_add_nc_u32_e32 v43, v45, v52
	s_waitcnt lgkmcnt(0)
	v_readfirstlane_b32 s12, v34
	v_add_nc_u32_e32 v41, v43, v54
	s_delay_alu instid0(VALU_DEP_1)
	v_add_nc_u32_e32 v39, v41, v57
	v_lshrrev_b64 v[37:38], 24, v[35:36]
	s_branch .LBB609_428
.LBB609_418:
                                        ; implicit-def: $vgpr39
                                        ; implicit-def: $vgpr41
                                        ; implicit-def: $vgpr43
                                        ; implicit-def: $vgpr45
                                        ; implicit-def: $vgpr47
                                        ; implicit-def: $vgpr49
                                        ; implicit-def: $vgpr51
                                        ; implicit-def: $vgpr53
                                        ; implicit-def: $sgpr12
                                        ; implicit-def: $vgpr33
	v_lshrrev_b64 v[37:38], 24, v[35:36]
	s_and_b32 vcc_lo, exec_lo, s7
	s_cbranch_vccz .LBB609_428
; %bb.419:
	v_mov_b32_dpp v33, v60 row_shr:1 row_mask:0xf bank_mask:0xf
	s_delay_alu instid0(VALU_DEP_1) | instskip(NEXT) | instid1(VALU_DEP_1)
	v_cndmask_b32_e64 v33, v33, 0, s3
	v_add_nc_u32_e32 v33, v33, v60
	s_delay_alu instid0(VALU_DEP_1) | instskip(NEXT) | instid1(VALU_DEP_1)
	v_mov_b32_dpp v34, v33 row_shr:2 row_mask:0xf bank_mask:0xf
	v_cndmask_b32_e64 v34, 0, v34, s0
	s_delay_alu instid0(VALU_DEP_1) | instskip(NEXT) | instid1(VALU_DEP_1)
	v_add_nc_u32_e32 v33, v33, v34
	v_mov_b32_dpp v34, v33 row_shr:4 row_mask:0xf bank_mask:0xf
	s_delay_alu instid0(VALU_DEP_1) | instskip(NEXT) | instid1(VALU_DEP_1)
	v_cndmask_b32_e64 v34, 0, v34, s4
	v_add_nc_u32_e32 v33, v33, v34
	s_delay_alu instid0(VALU_DEP_1) | instskip(NEXT) | instid1(VALU_DEP_1)
	v_mov_b32_dpp v34, v33 row_shr:8 row_mask:0xf bank_mask:0xf
	v_cndmask_b32_e64 v34, 0, v34, s1
	s_delay_alu instid0(VALU_DEP_1) | instskip(SKIP_3) | instid1(VALU_DEP_1)
	v_add_nc_u32_e32 v33, v33, v34
	ds_swizzle_b32 v34, v33 offset:swizzle(BROADCAST,32,15)
	s_waitcnt lgkmcnt(0)
	v_cndmask_b32_e64 v34, v34, 0, s6
	v_add_nc_u32_e32 v33, v33, v34
	s_and_saveexec_b32 s6, s5
	s_cbranch_execz .LBB609_421
; %bb.420:
	v_lshlrev_b32_e32 v34, 2, v59
	ds_store_b32 v34, v33
.LBB609_421:
	s_or_b32 exec_lo, exec_lo, s6
	s_delay_alu instid0(SALU_CYCLE_1)
	s_mov_b32 s5, exec_lo
	s_waitcnt lgkmcnt(0)
	s_barrier
	buffer_gl0_inv
	v_cmpx_gt_u32_e32 16, v0
	s_cbranch_execz .LBB609_423
; %bb.422:
	v_lshlrev_b32_e32 v34, 2, v0
	ds_load_b32 v38, v34
	s_waitcnt lgkmcnt(0)
	v_mov_b32_dpp v39, v38 row_shr:1 row_mask:0xf bank_mask:0xf
	s_delay_alu instid0(VALU_DEP_1) | instskip(NEXT) | instid1(VALU_DEP_1)
	v_cndmask_b32_e64 v39, v39, 0, s3
	v_add_nc_u32_e32 v38, v39, v38
	s_delay_alu instid0(VALU_DEP_1) | instskip(NEXT) | instid1(VALU_DEP_1)
	v_mov_b32_dpp v39, v38 row_shr:2 row_mask:0xf bank_mask:0xf
	v_cndmask_b32_e64 v39, 0, v39, s0
	s_delay_alu instid0(VALU_DEP_1) | instskip(NEXT) | instid1(VALU_DEP_1)
	v_add_nc_u32_e32 v38, v38, v39
	v_mov_b32_dpp v39, v38 row_shr:4 row_mask:0xf bank_mask:0xf
	s_delay_alu instid0(VALU_DEP_1) | instskip(NEXT) | instid1(VALU_DEP_1)
	v_cndmask_b32_e64 v39, 0, v39, s4
	v_add_nc_u32_e32 v38, v38, v39
	s_delay_alu instid0(VALU_DEP_1) | instskip(NEXT) | instid1(VALU_DEP_1)
	v_mov_b32_dpp v39, v38 row_shr:8 row_mask:0xf bank_mask:0xf
	v_cndmask_b32_e64 v39, 0, v39, s1
	s_delay_alu instid0(VALU_DEP_1)
	v_add_nc_u32_e32 v38, v38, v39
	ds_store_b32 v34, v38
.LBB609_423:
	s_or_b32 exec_lo, exec_lo, s5
	v_mov_b32_e32 v34, 0
	v_mov_b32_e32 v38, 0
	s_mov_b32 s0, exec_lo
	s_waitcnt lgkmcnt(0)
	s_barrier
	buffer_gl0_inv
	v_cmpx_lt_u32_e32 31, v0
	s_cbranch_execz .LBB609_425
; %bb.424:
	v_lshl_add_u32 v38, v59, 2, -4
	ds_load_b32 v38, v38
.LBB609_425:
	s_or_b32 exec_lo, exec_lo, s0
	v_add_nc_u32_e32 v39, -1, v58
	s_waitcnt lgkmcnt(0)
	v_add_nc_u32_e32 v33, v38, v33
	s_mov_b32 s12, 0
	s_delay_alu instid0(VALU_DEP_2) | instskip(SKIP_1) | instid1(VALU_DEP_1)
	v_cmp_gt_i32_e32 vcc_lo, 0, v39
	v_cndmask_b32_e32 v39, v39, v58, vcc_lo
	v_lshlrev_b32_e32 v39, 2, v39
	ds_bpermute_b32 v39, v39, v33
	ds_load_b32 v33, v34 offset:60
	s_and_saveexec_b32 s0, s2
	s_cbranch_execz .LBB609_427
; %bb.426:
	v_mov_b32_e32 v40, 0
	v_mov_b32_e32 v34, 2
	s_waitcnt lgkmcnt(0)
	global_store_b64 v40, v[33:34], s[22:23] offset:256
.LBB609_427:
	s_or_b32 exec_lo, exec_lo, s0
	v_cmp_eq_u32_e32 vcc_lo, 0, v58
	s_waitcnt lgkmcnt(0)
	s_waitcnt_vscnt null, 0x0
	s_barrier
	buffer_gl0_inv
	v_cndmask_b32_e32 v34, v39, v38, vcc_lo
	s_delay_alu instid0(VALU_DEP_1) | instskip(NEXT) | instid1(VALU_DEP_1)
	v_cndmask_b32_e64 v53, v34, 0, s2
	v_add_nc_u32_e32 v51, v53, v44
	s_delay_alu instid0(VALU_DEP_1) | instskip(NEXT) | instid1(VALU_DEP_1)
	v_add_nc_u32_e32 v49, v51, v46
	v_add_nc_u32_e32 v47, v49, v48
	s_delay_alu instid0(VALU_DEP_1) | instskip(NEXT) | instid1(VALU_DEP_1)
	v_add_nc_u32_e32 v45, v47, v50
	;; [unrolled: 3-line block ×3, first 2 shown]
	v_add_nc_u32_e32 v39, v41, v57
.LBB609_428:
	v_add_nc_u32_e32 v59, s12, v33
	v_cmp_gt_u32_e64 s0, 0x201, v33
	v_lshrrev_b32_e32 v58, 8, v35
	v_lshrrev_b32_e32 v57, 16, v35
	;; [unrolled: 1-line block ×4, first 2 shown]
	v_cmp_lt_u32_e64 s1, v53, v59
	s_and_b32 vcc_lo, exec_lo, s0
	s_mov_b32 s3, -1
	s_cbranch_vccz .LBB609_454
; %bb.429:
	s_delay_alu instid0(VALU_DEP_1) | instskip(NEXT) | instid1(SALU_CYCLE_1)
	s_or_b32 s3, s29, s1
	s_and_saveexec_b32 s1, s3
	s_cbranch_execz .LBB609_432
; %bb.430:
	v_and_b32_e32 v40, 1, v35
	s_delay_alu instid0(VALU_DEP_1)
	v_cmp_eq_u32_e32 vcc_lo, 1, v40
	s_and_b32 exec_lo, exec_lo, vcc_lo
	s_cbranch_execz .LBB609_432
; %bb.431:
	v_mov_b32_e32 v54, 0
	s_lshl_b64 s[4:5], s[10:11], 3
	s_delay_alu instid0(SALU_CYCLE_1) | instskip(SKIP_1) | instid1(VALU_DEP_1)
	s_add_u32 s3, s16, s4
	s_addc_u32 s4, s17, s5
	v_lshlrev_b64 v[60:61], 3, v[53:54]
	s_delay_alu instid0(VALU_DEP_1) | instskip(NEXT) | instid1(VALU_DEP_2)
	v_add_co_u32 v60, vcc_lo, s3, v60
	v_add_co_ci_u32_e32 v61, vcc_lo, s4, v61, vcc_lo
	global_store_b64 v[60:61], v[29:30], off
.LBB609_432:
	s_or_b32 exec_lo, exec_lo, s1
	v_cmp_lt_u32_e32 vcc_lo, v51, v59
	s_or_b32 s3, s29, vcc_lo
	s_delay_alu instid0(SALU_CYCLE_1)
	s_and_saveexec_b32 s1, s3
	s_cbranch_execz .LBB609_435
; %bb.433:
	v_and_b32_e32 v40, 1, v58
	s_delay_alu instid0(VALU_DEP_1)
	v_cmp_eq_u32_e32 vcc_lo, 1, v40
	s_and_b32 exec_lo, exec_lo, vcc_lo
	s_cbranch_execz .LBB609_435
; %bb.434:
	v_mov_b32_e32 v52, 0
	s_lshl_b64 s[4:5], s[10:11], 3
	s_delay_alu instid0(SALU_CYCLE_1) | instskip(SKIP_1) | instid1(VALU_DEP_1)
	s_add_u32 s3, s16, s4
	s_addc_u32 s4, s17, s5
	v_lshlrev_b64 v[60:61], 3, v[51:52]
	s_delay_alu instid0(VALU_DEP_1) | instskip(NEXT) | instid1(VALU_DEP_2)
	v_add_co_u32 v60, vcc_lo, s3, v60
	v_add_co_ci_u32_e32 v61, vcc_lo, s4, v61, vcc_lo
	global_store_b64 v[60:61], v[31:32], off
.LBB609_435:
	s_or_b32 exec_lo, exec_lo, s1
	v_cmp_lt_u32_e32 vcc_lo, v49, v59
	s_or_b32 s3, s29, vcc_lo
	s_delay_alu instid0(SALU_CYCLE_1)
	;; [unrolled: 24-line block ×7, first 2 shown]
	s_and_saveexec_b32 s1, s3
	s_cbranch_execz .LBB609_453
; %bb.451:
	v_and_b32_e32 v40, 1, v56
	s_delay_alu instid0(VALU_DEP_1)
	v_cmp_eq_u32_e32 vcc_lo, 1, v40
	s_and_b32 exec_lo, exec_lo, vcc_lo
	s_cbranch_execz .LBB609_453
; %bb.452:
	v_mov_b32_e32 v40, 0
	s_lshl_b64 s[4:5], s[10:11], 3
	s_delay_alu instid0(SALU_CYCLE_1) | instskip(SKIP_1) | instid1(VALU_DEP_1)
	s_add_u32 s3, s16, s4
	s_addc_u32 s4, s17, s5
	v_lshlrev_b64 v[60:61], 3, v[39:40]
	s_delay_alu instid0(VALU_DEP_1) | instskip(NEXT) | instid1(VALU_DEP_2)
	v_add_co_u32 v60, vcc_lo, s3, v60
	v_add_co_ci_u32_e32 v61, vcc_lo, s4, v61, vcc_lo
	global_store_b64 v[60:61], v[19:20], off
.LBB609_453:
	s_or_b32 exec_lo, exec_lo, s1
	s_mov_b32 s3, 0
.LBB609_454:
	v_and_b32_e32 v35, 1, v35
	s_and_b32 vcc_lo, exec_lo, s3
	s_delay_alu instid0(VALU_DEP_1)
	v_cmp_eq_u32_e64 s1, 1, v35
	s_cbranch_vccz .LBB609_475
; %bb.455:
	s_delay_alu instid0(VALU_DEP_1)
	s_and_saveexec_b32 s3, s1
	s_cbranch_execz .LBB609_457
; %bb.456:
	v_subrev_nc_u32_e32 v40, s12, v53
	s_delay_alu instid0(VALU_DEP_1)
	v_lshlrev_b32_e32 v40, 3, v40
	ds_store_b64 v40, v[29:30]
.LBB609_457:
	s_or_b32 exec_lo, exec_lo, s3
	v_and_b32_e32 v29, 1, v58
	s_mov_b32 s1, exec_lo
	s_delay_alu instid0(VALU_DEP_1)
	v_cmpx_eq_u32_e32 1, v29
	s_cbranch_execz .LBB609_459
; %bb.458:
	v_subrev_nc_u32_e32 v29, s12, v51
	s_delay_alu instid0(VALU_DEP_1)
	v_lshlrev_b32_e32 v29, 3, v29
	ds_store_b64 v29, v[31:32]
.LBB609_459:
	s_or_b32 exec_lo, exec_lo, s1
	v_and_b32_e32 v29, 1, v57
	s_mov_b32 s1, exec_lo
	s_delay_alu instid0(VALU_DEP_1)
	v_cmpx_eq_u32_e32 1, v29
	;; [unrolled: 12-line block ×7, first 2 shown]
	s_cbranch_execz .LBB609_471
; %bb.470:
	v_subrev_nc_u32_e32 v17, s12, v39
	s_delay_alu instid0(VALU_DEP_1)
	v_lshlrev_b32_e32 v17, 3, v17
	ds_store_b64 v17, v[19:20]
.LBB609_471:
	s_or_b32 exec_lo, exec_lo, s1
	s_delay_alu instid0(SALU_CYCLE_1)
	s_mov_b32 s3, exec_lo
	s_waitcnt lgkmcnt(0)
	s_waitcnt_vscnt null, 0x0
	s_barrier
	buffer_gl0_inv
	v_cmpx_lt_u32_e64 v0, v33
	s_cbranch_execz .LBB609_474
; %bb.472:
	s_mov_b32 s13, 0
	s_lshl_b64 s[4:5], s[10:11], 3
	s_lshl_b64 s[6:7], s[12:13], 3
	v_dual_mov_b32 v19, v55 :: v_dual_mov_b32 v20, v0
	s_add_u32 s1, s4, s6
	s_addc_u32 s4, s5, s7
	s_add_u32 s1, s16, s1
	s_addc_u32 s4, s17, s4
	v_add_co_u32 v17, s1, s1, v55
	s_delay_alu instid0(VALU_DEP_1)
	v_add_co_ci_u32_e64 v18, null, s4, 0, s1
	.p2align	6
.LBB609_473:                            ; =>This Inner Loop Header: Depth=1
	ds_load_b64 v[21:22], v19
	v_add_nc_u32_e32 v20, 0x200, v20
	v_add_nc_u32_e32 v19, 0x1000, v19
	s_delay_alu instid0(VALU_DEP_2) | instskip(SKIP_4) | instid1(VALU_DEP_1)
	v_cmp_ge_u32_e32 vcc_lo, v20, v33
	s_or_b32 s13, vcc_lo, s13
	s_waitcnt lgkmcnt(0)
	global_store_b64 v[17:18], v[21:22], off
	v_add_co_u32 v17, s1, 0x1000, v17
	v_add_co_ci_u32_e64 v18, s1, 0, v18, s1
	s_and_not1_b32 exec_lo, exec_lo, s13
	s_cbranch_execnz .LBB609_473
.LBB609_474:
	s_or_b32 exec_lo, exec_lo, s3
.LBB609_475:
	s_delay_alu instid0(SALU_CYCLE_1)
	s_and_b32 vcc_lo, exec_lo, s0
	s_mov_b32 s0, -1
	s_waitcnt_vscnt null, 0x0
	s_barrier
	buffer_gl0_inv
	s_cbranch_vccz .LBB609_503
; %bb.476:
	v_cmp_lt_u32_e32 vcc_lo, v53, v59
	s_or_b32 s1, s29, vcc_lo
	s_delay_alu instid0(SALU_CYCLE_1)
	s_and_saveexec_b32 s0, s1
	s_cbranch_execz .LBB609_479
; %bb.477:
	v_cmp_eq_u32_e32 vcc_lo, 1, v35
	s_and_b32 exec_lo, exec_lo, vcc_lo
	s_cbranch_execz .LBB609_479
; %bb.478:
	v_mov_b32_e32 v54, 0
	s_lshl_b64 s[4:5], s[10:11], 3
	s_delay_alu instid0(SALU_CYCLE_1) | instskip(SKIP_1) | instid1(VALU_DEP_1)
	s_add_u32 s1, s18, s4
	s_addc_u32 s3, s19, s5
	v_lshlrev_b64 v[17:18], 3, v[53:54]
	s_delay_alu instid0(VALU_DEP_1) | instskip(NEXT) | instid1(VALU_DEP_2)
	v_add_co_u32 v17, vcc_lo, s1, v17
	v_add_co_ci_u32_e32 v18, vcc_lo, s3, v18, vcc_lo
	global_store_b64 v[17:18], v[13:14], off
.LBB609_479:
	s_or_b32 exec_lo, exec_lo, s0
	v_cmp_lt_u32_e32 vcc_lo, v51, v59
	s_or_b32 s1, s29, vcc_lo
	s_delay_alu instid0(SALU_CYCLE_1)
	s_and_saveexec_b32 s0, s1
	s_cbranch_execz .LBB609_482
; %bb.480:
	v_and_b32_e32 v17, 1, v58
	s_delay_alu instid0(VALU_DEP_1)
	v_cmp_eq_u32_e32 vcc_lo, 1, v17
	s_and_b32 exec_lo, exec_lo, vcc_lo
	s_cbranch_execz .LBB609_482
; %bb.481:
	v_mov_b32_e32 v52, 0
	s_lshl_b64 s[4:5], s[10:11], 3
	s_delay_alu instid0(SALU_CYCLE_1) | instskip(SKIP_1) | instid1(VALU_DEP_1)
	s_add_u32 s1, s18, s4
	s_addc_u32 s3, s19, s5
	v_lshlrev_b64 v[17:18], 3, v[51:52]
	s_delay_alu instid0(VALU_DEP_1) | instskip(NEXT) | instid1(VALU_DEP_2)
	v_add_co_u32 v17, vcc_lo, s1, v17
	v_add_co_ci_u32_e32 v18, vcc_lo, s3, v18, vcc_lo
	global_store_b64 v[17:18], v[15:16], off
.LBB609_482:
	s_or_b32 exec_lo, exec_lo, s0
	v_cmp_lt_u32_e32 vcc_lo, v49, v59
	s_or_b32 s1, s29, vcc_lo
	s_delay_alu instid0(SALU_CYCLE_1)
	s_and_saveexec_b32 s0, s1
	s_cbranch_execz .LBB609_485
; %bb.483:
	v_and_b32_e32 v17, 1, v57
	s_delay_alu instid0(VALU_DEP_1)
	v_cmp_eq_u32_e32 vcc_lo, 1, v17
	s_and_b32 exec_lo, exec_lo, vcc_lo
	s_cbranch_execz .LBB609_485
; %bb.484:
	v_mov_b32_e32 v50, 0
	s_lshl_b64 s[4:5], s[10:11], 3
	s_delay_alu instid0(SALU_CYCLE_1) | instskip(SKIP_1) | instid1(VALU_DEP_1)
	s_add_u32 s1, s18, s4
	s_addc_u32 s3, s19, s5
	v_lshlrev_b64 v[17:18], 3, v[49:50]
	s_delay_alu instid0(VALU_DEP_1) | instskip(NEXT) | instid1(VALU_DEP_2)
	v_add_co_u32 v17, vcc_lo, s1, v17
	v_add_co_ci_u32_e32 v18, vcc_lo, s3, v18, vcc_lo
	global_store_b64 v[17:18], v[9:10], off
.LBB609_485:
	;; [unrolled: 24-line block ×7, first 2 shown]
	s_or_b32 exec_lo, exec_lo, s0
.LBB609_501:
	s_and_b32 s0, s2, s28
	s_delay_alu instid0(SALU_CYCLE_1)
	s_and_saveexec_b32 s1, s0
	s_cbranch_execz .LBB609_524
.LBB609_502:
	v_add_co_u32 v0, s0, s10, v33
	s_delay_alu instid0(VALU_DEP_1) | instskip(SKIP_1) | instid1(VALU_DEP_3)
	v_add_co_ci_u32_e64 v1, null, s11, 0, s0
	v_mov_b32_e32 v2, 0
	v_add_co_u32 v0, vcc_lo, v0, s12
	s_delay_alu instid0(VALU_DEP_3)
	v_add_co_ci_u32_e32 v1, vcc_lo, 0, v1, vcc_lo
	global_store_b64 v2, v[0:1], s[8:9]
	s_nop 0
	s_sendmsg sendmsg(MSG_DEALLOC_VGPRS)
	s_endpgm
.LBB609_503:
	s_and_b32 vcc_lo, exec_lo, s0
	s_cbranch_vccz .LBB609_501
; %bb.504:
	s_mov_b32 s0, exec_lo
	v_cmpx_eq_u32_e32 1, v35
	s_cbranch_execz .LBB609_506
; %bb.505:
	v_subrev_nc_u32_e32 v17, s12, v53
	s_delay_alu instid0(VALU_DEP_1)
	v_lshlrev_b32_e32 v17, 3, v17
	ds_store_b64 v17, v[13:14]
.LBB609_506:
	s_or_b32 exec_lo, exec_lo, s0
	v_and_b32_e32 v13, 1, v58
	s_mov_b32 s0, exec_lo
	s_delay_alu instid0(VALU_DEP_1)
	v_cmpx_eq_u32_e32 1, v13
	s_cbranch_execz .LBB609_508
; %bb.507:
	v_subrev_nc_u32_e32 v13, s12, v51
	s_delay_alu instid0(VALU_DEP_1)
	v_lshlrev_b32_e32 v13, 3, v13
	ds_store_b64 v13, v[15:16]
.LBB609_508:
	s_or_b32 exec_lo, exec_lo, s0
	v_and_b32_e32 v13, 1, v57
	s_mov_b32 s0, exec_lo
	s_delay_alu instid0(VALU_DEP_1)
	;; [unrolled: 12-line block ×7, first 2 shown]
	v_cmpx_eq_u32_e32 1, v1
	s_cbranch_execz .LBB609_520
; %bb.519:
	v_subrev_nc_u32_e32 v1, s12, v39
	s_delay_alu instid0(VALU_DEP_1)
	v_lshlrev_b32_e32 v1, 3, v1
	ds_store_b64 v1, v[3:4]
.LBB609_520:
	s_or_b32 exec_lo, exec_lo, s0
	s_delay_alu instid0(SALU_CYCLE_1)
	s_mov_b32 s1, exec_lo
	s_waitcnt lgkmcnt(0)
	s_waitcnt_vscnt null, 0x0
	s_barrier
	buffer_gl0_inv
	v_cmpx_lt_u32_e64 v0, v33
	s_cbranch_execz .LBB609_523
; %bb.521:
	s_mov_b32 s13, 0
	s_lshl_b64 s[4:5], s[10:11], 3
	s_lshl_b64 s[6:7], s[12:13], 3
	s_delay_alu instid0(SALU_CYCLE_1) | instskip(SKIP_4) | instid1(VALU_DEP_1)
	s_add_u32 s0, s4, s6
	s_addc_u32 s3, s5, s7
	s_add_u32 s0, s18, s0
	s_addc_u32 s3, s19, s3
	v_add_co_u32 v1, s0, s0, v55
	v_add_co_ci_u32_e64 v2, null, s3, 0, s0
	.p2align	6
.LBB609_522:                            ; =>This Inner Loop Header: Depth=1
	ds_load_b64 v[3:4], v55
	v_add_nc_u32_e32 v0, 0x200, v0
	v_add_nc_u32_e32 v55, 0x1000, v55
	s_delay_alu instid0(VALU_DEP_2) | instskip(SKIP_4) | instid1(VALU_DEP_1)
	v_cmp_ge_u32_e32 vcc_lo, v0, v33
	s_or_b32 s13, vcc_lo, s13
	s_waitcnt lgkmcnt(0)
	global_store_b64 v[1:2], v[3:4], off
	v_add_co_u32 v1, s0, 0x1000, v1
	v_add_co_ci_u32_e64 v2, s0, 0, v2, s0
	s_and_not1_b32 exec_lo, exec_lo, s13
	s_cbranch_execnz .LBB609_522
.LBB609_523:
	s_or_b32 exec_lo, exec_lo, s1
	s_and_b32 s0, s2, s28
	s_delay_alu instid0(SALU_CYCLE_1)
	s_and_saveexec_b32 s1, s0
	s_cbranch_execnz .LBB609_502
.LBB609_524:
	s_nop 0
	s_sendmsg sendmsg(MSG_DEALLOC_VGPRS)
	s_endpgm
	.section	.rodata,"a",@progbits
	.p2align	6, 0x0
	.amdhsa_kernel _ZN7rocprim17ROCPRIM_400000_NS6detail17trampoline_kernelINS0_14default_configENS1_25partition_config_selectorILNS1_17partition_subalgoE9EllbEEZZNS1_14partition_implILS5_9ELb0ES3_jPlS8_PNS0_10empty_typeENS0_5tupleIJS8_S9_EEENSB_IJS8_SA_EEENS0_18inequality_wrapperIZN2at6native12_GLOBAL__N_124unique_dim_cuda_templateIlEESt5tupleIJNSF_6TensorESK_SK_EERKSK_lbbbEUlllE0_EEPmJS9_EEE10hipError_tPvRmT3_T4_T5_T6_T7_T9_mT8_P12ihipStream_tbDpT10_ENKUlT_T0_E_clISt17integral_constantIbLb1EES1A_EEDaS15_S16_EUlS15_E_NS1_11comp_targetILNS1_3genE9ELNS1_11target_archE1100ELNS1_3gpuE3ELNS1_3repE0EEENS1_30default_config_static_selectorELNS0_4arch9wavefront6targetE0EEEvT1_
		.amdhsa_group_segment_fixed_size 33804
		.amdhsa_private_segment_fixed_size 0
		.amdhsa_kernarg_size 136
		.amdhsa_user_sgpr_count 15
		.amdhsa_user_sgpr_dispatch_ptr 0
		.amdhsa_user_sgpr_queue_ptr 0
		.amdhsa_user_sgpr_kernarg_segment_ptr 1
		.amdhsa_user_sgpr_dispatch_id 0
		.amdhsa_user_sgpr_private_segment_size 0
		.amdhsa_wavefront_size32 1
		.amdhsa_uses_dynamic_stack 0
		.amdhsa_enable_private_segment 0
		.amdhsa_system_sgpr_workgroup_id_x 1
		.amdhsa_system_sgpr_workgroup_id_y 0
		.amdhsa_system_sgpr_workgroup_id_z 0
		.amdhsa_system_sgpr_workgroup_info 0
		.amdhsa_system_vgpr_workitem_id 0
		.amdhsa_next_free_vgpr 68
		.amdhsa_next_free_sgpr 40
		.amdhsa_reserve_vcc 1
		.amdhsa_float_round_mode_32 0
		.amdhsa_float_round_mode_16_64 0
		.amdhsa_float_denorm_mode_32 3
		.amdhsa_float_denorm_mode_16_64 3
		.amdhsa_dx10_clamp 1
		.amdhsa_ieee_mode 1
		.amdhsa_fp16_overflow 0
		.amdhsa_workgroup_processor_mode 1
		.amdhsa_memory_ordered 1
		.amdhsa_forward_progress 0
		.amdhsa_shared_vgpr_count 0
		.amdhsa_exception_fp_ieee_invalid_op 0
		.amdhsa_exception_fp_denorm_src 0
		.amdhsa_exception_fp_ieee_div_zero 0
		.amdhsa_exception_fp_ieee_overflow 0
		.amdhsa_exception_fp_ieee_underflow 0
		.amdhsa_exception_fp_ieee_inexact 0
		.amdhsa_exception_int_div_zero 0
	.end_amdhsa_kernel
	.section	.text._ZN7rocprim17ROCPRIM_400000_NS6detail17trampoline_kernelINS0_14default_configENS1_25partition_config_selectorILNS1_17partition_subalgoE9EllbEEZZNS1_14partition_implILS5_9ELb0ES3_jPlS8_PNS0_10empty_typeENS0_5tupleIJS8_S9_EEENSB_IJS8_SA_EEENS0_18inequality_wrapperIZN2at6native12_GLOBAL__N_124unique_dim_cuda_templateIlEESt5tupleIJNSF_6TensorESK_SK_EERKSK_lbbbEUlllE0_EEPmJS9_EEE10hipError_tPvRmT3_T4_T5_T6_T7_T9_mT8_P12ihipStream_tbDpT10_ENKUlT_T0_E_clISt17integral_constantIbLb1EES1A_EEDaS15_S16_EUlS15_E_NS1_11comp_targetILNS1_3genE9ELNS1_11target_archE1100ELNS1_3gpuE3ELNS1_3repE0EEENS1_30default_config_static_selectorELNS0_4arch9wavefront6targetE0EEEvT1_,"axG",@progbits,_ZN7rocprim17ROCPRIM_400000_NS6detail17trampoline_kernelINS0_14default_configENS1_25partition_config_selectorILNS1_17partition_subalgoE9EllbEEZZNS1_14partition_implILS5_9ELb0ES3_jPlS8_PNS0_10empty_typeENS0_5tupleIJS8_S9_EEENSB_IJS8_SA_EEENS0_18inequality_wrapperIZN2at6native12_GLOBAL__N_124unique_dim_cuda_templateIlEESt5tupleIJNSF_6TensorESK_SK_EERKSK_lbbbEUlllE0_EEPmJS9_EEE10hipError_tPvRmT3_T4_T5_T6_T7_T9_mT8_P12ihipStream_tbDpT10_ENKUlT_T0_E_clISt17integral_constantIbLb1EES1A_EEDaS15_S16_EUlS15_E_NS1_11comp_targetILNS1_3genE9ELNS1_11target_archE1100ELNS1_3gpuE3ELNS1_3repE0EEENS1_30default_config_static_selectorELNS0_4arch9wavefront6targetE0EEEvT1_,comdat
.Lfunc_end609:
	.size	_ZN7rocprim17ROCPRIM_400000_NS6detail17trampoline_kernelINS0_14default_configENS1_25partition_config_selectorILNS1_17partition_subalgoE9EllbEEZZNS1_14partition_implILS5_9ELb0ES3_jPlS8_PNS0_10empty_typeENS0_5tupleIJS8_S9_EEENSB_IJS8_SA_EEENS0_18inequality_wrapperIZN2at6native12_GLOBAL__N_124unique_dim_cuda_templateIlEESt5tupleIJNSF_6TensorESK_SK_EERKSK_lbbbEUlllE0_EEPmJS9_EEE10hipError_tPvRmT3_T4_T5_T6_T7_T9_mT8_P12ihipStream_tbDpT10_ENKUlT_T0_E_clISt17integral_constantIbLb1EES1A_EEDaS15_S16_EUlS15_E_NS1_11comp_targetILNS1_3genE9ELNS1_11target_archE1100ELNS1_3gpuE3ELNS1_3repE0EEENS1_30default_config_static_selectorELNS0_4arch9wavefront6targetE0EEEvT1_, .Lfunc_end609-_ZN7rocprim17ROCPRIM_400000_NS6detail17trampoline_kernelINS0_14default_configENS1_25partition_config_selectorILNS1_17partition_subalgoE9EllbEEZZNS1_14partition_implILS5_9ELb0ES3_jPlS8_PNS0_10empty_typeENS0_5tupleIJS8_S9_EEENSB_IJS8_SA_EEENS0_18inequality_wrapperIZN2at6native12_GLOBAL__N_124unique_dim_cuda_templateIlEESt5tupleIJNSF_6TensorESK_SK_EERKSK_lbbbEUlllE0_EEPmJS9_EEE10hipError_tPvRmT3_T4_T5_T6_T7_T9_mT8_P12ihipStream_tbDpT10_ENKUlT_T0_E_clISt17integral_constantIbLb1EES1A_EEDaS15_S16_EUlS15_E_NS1_11comp_targetILNS1_3genE9ELNS1_11target_archE1100ELNS1_3gpuE3ELNS1_3repE0EEENS1_30default_config_static_selectorELNS0_4arch9wavefront6targetE0EEEvT1_
                                        ; -- End function
	.section	.AMDGPU.csdata,"",@progbits
; Kernel info:
; codeLenInByte = 20732
; NumSgprs: 42
; NumVgprs: 68
; ScratchSize: 0
; MemoryBound: 1
; FloatMode: 240
; IeeeMode: 1
; LDSByteSize: 33804 bytes/workgroup (compile time only)
; SGPRBlocks: 5
; VGPRBlocks: 8
; NumSGPRsForWavesPerEU: 42
; NumVGPRsForWavesPerEU: 68
; Occupancy: 12
; WaveLimiterHint : 1
; COMPUTE_PGM_RSRC2:SCRATCH_EN: 0
; COMPUTE_PGM_RSRC2:USER_SGPR: 15
; COMPUTE_PGM_RSRC2:TRAP_HANDLER: 0
; COMPUTE_PGM_RSRC2:TGID_X_EN: 1
; COMPUTE_PGM_RSRC2:TGID_Y_EN: 0
; COMPUTE_PGM_RSRC2:TGID_Z_EN: 0
; COMPUTE_PGM_RSRC2:TIDIG_COMP_CNT: 0
	.section	.text._ZN7rocprim17ROCPRIM_400000_NS6detail17trampoline_kernelINS0_14default_configENS1_25partition_config_selectorILNS1_17partition_subalgoE9EllbEEZZNS1_14partition_implILS5_9ELb0ES3_jPlS8_PNS0_10empty_typeENS0_5tupleIJS8_S9_EEENSB_IJS8_SA_EEENS0_18inequality_wrapperIZN2at6native12_GLOBAL__N_124unique_dim_cuda_templateIlEESt5tupleIJNSF_6TensorESK_SK_EERKSK_lbbbEUlllE0_EEPmJS9_EEE10hipError_tPvRmT3_T4_T5_T6_T7_T9_mT8_P12ihipStream_tbDpT10_ENKUlT_T0_E_clISt17integral_constantIbLb1EES1A_EEDaS15_S16_EUlS15_E_NS1_11comp_targetILNS1_3genE8ELNS1_11target_archE1030ELNS1_3gpuE2ELNS1_3repE0EEENS1_30default_config_static_selectorELNS0_4arch9wavefront6targetE0EEEvT1_,"axG",@progbits,_ZN7rocprim17ROCPRIM_400000_NS6detail17trampoline_kernelINS0_14default_configENS1_25partition_config_selectorILNS1_17partition_subalgoE9EllbEEZZNS1_14partition_implILS5_9ELb0ES3_jPlS8_PNS0_10empty_typeENS0_5tupleIJS8_S9_EEENSB_IJS8_SA_EEENS0_18inequality_wrapperIZN2at6native12_GLOBAL__N_124unique_dim_cuda_templateIlEESt5tupleIJNSF_6TensorESK_SK_EERKSK_lbbbEUlllE0_EEPmJS9_EEE10hipError_tPvRmT3_T4_T5_T6_T7_T9_mT8_P12ihipStream_tbDpT10_ENKUlT_T0_E_clISt17integral_constantIbLb1EES1A_EEDaS15_S16_EUlS15_E_NS1_11comp_targetILNS1_3genE8ELNS1_11target_archE1030ELNS1_3gpuE2ELNS1_3repE0EEENS1_30default_config_static_selectorELNS0_4arch9wavefront6targetE0EEEvT1_,comdat
	.globl	_ZN7rocprim17ROCPRIM_400000_NS6detail17trampoline_kernelINS0_14default_configENS1_25partition_config_selectorILNS1_17partition_subalgoE9EllbEEZZNS1_14partition_implILS5_9ELb0ES3_jPlS8_PNS0_10empty_typeENS0_5tupleIJS8_S9_EEENSB_IJS8_SA_EEENS0_18inequality_wrapperIZN2at6native12_GLOBAL__N_124unique_dim_cuda_templateIlEESt5tupleIJNSF_6TensorESK_SK_EERKSK_lbbbEUlllE0_EEPmJS9_EEE10hipError_tPvRmT3_T4_T5_T6_T7_T9_mT8_P12ihipStream_tbDpT10_ENKUlT_T0_E_clISt17integral_constantIbLb1EES1A_EEDaS15_S16_EUlS15_E_NS1_11comp_targetILNS1_3genE8ELNS1_11target_archE1030ELNS1_3gpuE2ELNS1_3repE0EEENS1_30default_config_static_selectorELNS0_4arch9wavefront6targetE0EEEvT1_ ; -- Begin function _ZN7rocprim17ROCPRIM_400000_NS6detail17trampoline_kernelINS0_14default_configENS1_25partition_config_selectorILNS1_17partition_subalgoE9EllbEEZZNS1_14partition_implILS5_9ELb0ES3_jPlS8_PNS0_10empty_typeENS0_5tupleIJS8_S9_EEENSB_IJS8_SA_EEENS0_18inequality_wrapperIZN2at6native12_GLOBAL__N_124unique_dim_cuda_templateIlEESt5tupleIJNSF_6TensorESK_SK_EERKSK_lbbbEUlllE0_EEPmJS9_EEE10hipError_tPvRmT3_T4_T5_T6_T7_T9_mT8_P12ihipStream_tbDpT10_ENKUlT_T0_E_clISt17integral_constantIbLb1EES1A_EEDaS15_S16_EUlS15_E_NS1_11comp_targetILNS1_3genE8ELNS1_11target_archE1030ELNS1_3gpuE2ELNS1_3repE0EEENS1_30default_config_static_selectorELNS0_4arch9wavefront6targetE0EEEvT1_
	.p2align	8
	.type	_ZN7rocprim17ROCPRIM_400000_NS6detail17trampoline_kernelINS0_14default_configENS1_25partition_config_selectorILNS1_17partition_subalgoE9EllbEEZZNS1_14partition_implILS5_9ELb0ES3_jPlS8_PNS0_10empty_typeENS0_5tupleIJS8_S9_EEENSB_IJS8_SA_EEENS0_18inequality_wrapperIZN2at6native12_GLOBAL__N_124unique_dim_cuda_templateIlEESt5tupleIJNSF_6TensorESK_SK_EERKSK_lbbbEUlllE0_EEPmJS9_EEE10hipError_tPvRmT3_T4_T5_T6_T7_T9_mT8_P12ihipStream_tbDpT10_ENKUlT_T0_E_clISt17integral_constantIbLb1EES1A_EEDaS15_S16_EUlS15_E_NS1_11comp_targetILNS1_3genE8ELNS1_11target_archE1030ELNS1_3gpuE2ELNS1_3repE0EEENS1_30default_config_static_selectorELNS0_4arch9wavefront6targetE0EEEvT1_,@function
_ZN7rocprim17ROCPRIM_400000_NS6detail17trampoline_kernelINS0_14default_configENS1_25partition_config_selectorILNS1_17partition_subalgoE9EllbEEZZNS1_14partition_implILS5_9ELb0ES3_jPlS8_PNS0_10empty_typeENS0_5tupleIJS8_S9_EEENSB_IJS8_SA_EEENS0_18inequality_wrapperIZN2at6native12_GLOBAL__N_124unique_dim_cuda_templateIlEESt5tupleIJNSF_6TensorESK_SK_EERKSK_lbbbEUlllE0_EEPmJS9_EEE10hipError_tPvRmT3_T4_T5_T6_T7_T9_mT8_P12ihipStream_tbDpT10_ENKUlT_T0_E_clISt17integral_constantIbLb1EES1A_EEDaS15_S16_EUlS15_E_NS1_11comp_targetILNS1_3genE8ELNS1_11target_archE1030ELNS1_3gpuE2ELNS1_3repE0EEENS1_30default_config_static_selectorELNS0_4arch9wavefront6targetE0EEEvT1_: ; @_ZN7rocprim17ROCPRIM_400000_NS6detail17trampoline_kernelINS0_14default_configENS1_25partition_config_selectorILNS1_17partition_subalgoE9EllbEEZZNS1_14partition_implILS5_9ELb0ES3_jPlS8_PNS0_10empty_typeENS0_5tupleIJS8_S9_EEENSB_IJS8_SA_EEENS0_18inequality_wrapperIZN2at6native12_GLOBAL__N_124unique_dim_cuda_templateIlEESt5tupleIJNSF_6TensorESK_SK_EERKSK_lbbbEUlllE0_EEPmJS9_EEE10hipError_tPvRmT3_T4_T5_T6_T7_T9_mT8_P12ihipStream_tbDpT10_ENKUlT_T0_E_clISt17integral_constantIbLb1EES1A_EEDaS15_S16_EUlS15_E_NS1_11comp_targetILNS1_3genE8ELNS1_11target_archE1030ELNS1_3gpuE2ELNS1_3repE0EEENS1_30default_config_static_selectorELNS0_4arch9wavefront6targetE0EEEvT1_
; %bb.0:
	.section	.rodata,"a",@progbits
	.p2align	6, 0x0
	.amdhsa_kernel _ZN7rocprim17ROCPRIM_400000_NS6detail17trampoline_kernelINS0_14default_configENS1_25partition_config_selectorILNS1_17partition_subalgoE9EllbEEZZNS1_14partition_implILS5_9ELb0ES3_jPlS8_PNS0_10empty_typeENS0_5tupleIJS8_S9_EEENSB_IJS8_SA_EEENS0_18inequality_wrapperIZN2at6native12_GLOBAL__N_124unique_dim_cuda_templateIlEESt5tupleIJNSF_6TensorESK_SK_EERKSK_lbbbEUlllE0_EEPmJS9_EEE10hipError_tPvRmT3_T4_T5_T6_T7_T9_mT8_P12ihipStream_tbDpT10_ENKUlT_T0_E_clISt17integral_constantIbLb1EES1A_EEDaS15_S16_EUlS15_E_NS1_11comp_targetILNS1_3genE8ELNS1_11target_archE1030ELNS1_3gpuE2ELNS1_3repE0EEENS1_30default_config_static_selectorELNS0_4arch9wavefront6targetE0EEEvT1_
		.amdhsa_group_segment_fixed_size 0
		.amdhsa_private_segment_fixed_size 0
		.amdhsa_kernarg_size 136
		.amdhsa_user_sgpr_count 15
		.amdhsa_user_sgpr_dispatch_ptr 0
		.amdhsa_user_sgpr_queue_ptr 0
		.amdhsa_user_sgpr_kernarg_segment_ptr 1
		.amdhsa_user_sgpr_dispatch_id 0
		.amdhsa_user_sgpr_private_segment_size 0
		.amdhsa_wavefront_size32 1
		.amdhsa_uses_dynamic_stack 0
		.amdhsa_enable_private_segment 0
		.amdhsa_system_sgpr_workgroup_id_x 1
		.amdhsa_system_sgpr_workgroup_id_y 0
		.amdhsa_system_sgpr_workgroup_id_z 0
		.amdhsa_system_sgpr_workgroup_info 0
		.amdhsa_system_vgpr_workitem_id 0
		.amdhsa_next_free_vgpr 1
		.amdhsa_next_free_sgpr 1
		.amdhsa_reserve_vcc 0
		.amdhsa_float_round_mode_32 0
		.amdhsa_float_round_mode_16_64 0
		.amdhsa_float_denorm_mode_32 3
		.amdhsa_float_denorm_mode_16_64 3
		.amdhsa_dx10_clamp 1
		.amdhsa_ieee_mode 1
		.amdhsa_fp16_overflow 0
		.amdhsa_workgroup_processor_mode 1
		.amdhsa_memory_ordered 1
		.amdhsa_forward_progress 0
		.amdhsa_shared_vgpr_count 0
		.amdhsa_exception_fp_ieee_invalid_op 0
		.amdhsa_exception_fp_denorm_src 0
		.amdhsa_exception_fp_ieee_div_zero 0
		.amdhsa_exception_fp_ieee_overflow 0
		.amdhsa_exception_fp_ieee_underflow 0
		.amdhsa_exception_fp_ieee_inexact 0
		.amdhsa_exception_int_div_zero 0
	.end_amdhsa_kernel
	.section	.text._ZN7rocprim17ROCPRIM_400000_NS6detail17trampoline_kernelINS0_14default_configENS1_25partition_config_selectorILNS1_17partition_subalgoE9EllbEEZZNS1_14partition_implILS5_9ELb0ES3_jPlS8_PNS0_10empty_typeENS0_5tupleIJS8_S9_EEENSB_IJS8_SA_EEENS0_18inequality_wrapperIZN2at6native12_GLOBAL__N_124unique_dim_cuda_templateIlEESt5tupleIJNSF_6TensorESK_SK_EERKSK_lbbbEUlllE0_EEPmJS9_EEE10hipError_tPvRmT3_T4_T5_T6_T7_T9_mT8_P12ihipStream_tbDpT10_ENKUlT_T0_E_clISt17integral_constantIbLb1EES1A_EEDaS15_S16_EUlS15_E_NS1_11comp_targetILNS1_3genE8ELNS1_11target_archE1030ELNS1_3gpuE2ELNS1_3repE0EEENS1_30default_config_static_selectorELNS0_4arch9wavefront6targetE0EEEvT1_,"axG",@progbits,_ZN7rocprim17ROCPRIM_400000_NS6detail17trampoline_kernelINS0_14default_configENS1_25partition_config_selectorILNS1_17partition_subalgoE9EllbEEZZNS1_14partition_implILS5_9ELb0ES3_jPlS8_PNS0_10empty_typeENS0_5tupleIJS8_S9_EEENSB_IJS8_SA_EEENS0_18inequality_wrapperIZN2at6native12_GLOBAL__N_124unique_dim_cuda_templateIlEESt5tupleIJNSF_6TensorESK_SK_EERKSK_lbbbEUlllE0_EEPmJS9_EEE10hipError_tPvRmT3_T4_T5_T6_T7_T9_mT8_P12ihipStream_tbDpT10_ENKUlT_T0_E_clISt17integral_constantIbLb1EES1A_EEDaS15_S16_EUlS15_E_NS1_11comp_targetILNS1_3genE8ELNS1_11target_archE1030ELNS1_3gpuE2ELNS1_3repE0EEENS1_30default_config_static_selectorELNS0_4arch9wavefront6targetE0EEEvT1_,comdat
.Lfunc_end610:
	.size	_ZN7rocprim17ROCPRIM_400000_NS6detail17trampoline_kernelINS0_14default_configENS1_25partition_config_selectorILNS1_17partition_subalgoE9EllbEEZZNS1_14partition_implILS5_9ELb0ES3_jPlS8_PNS0_10empty_typeENS0_5tupleIJS8_S9_EEENSB_IJS8_SA_EEENS0_18inequality_wrapperIZN2at6native12_GLOBAL__N_124unique_dim_cuda_templateIlEESt5tupleIJNSF_6TensorESK_SK_EERKSK_lbbbEUlllE0_EEPmJS9_EEE10hipError_tPvRmT3_T4_T5_T6_T7_T9_mT8_P12ihipStream_tbDpT10_ENKUlT_T0_E_clISt17integral_constantIbLb1EES1A_EEDaS15_S16_EUlS15_E_NS1_11comp_targetILNS1_3genE8ELNS1_11target_archE1030ELNS1_3gpuE2ELNS1_3repE0EEENS1_30default_config_static_selectorELNS0_4arch9wavefront6targetE0EEEvT1_, .Lfunc_end610-_ZN7rocprim17ROCPRIM_400000_NS6detail17trampoline_kernelINS0_14default_configENS1_25partition_config_selectorILNS1_17partition_subalgoE9EllbEEZZNS1_14partition_implILS5_9ELb0ES3_jPlS8_PNS0_10empty_typeENS0_5tupleIJS8_S9_EEENSB_IJS8_SA_EEENS0_18inequality_wrapperIZN2at6native12_GLOBAL__N_124unique_dim_cuda_templateIlEESt5tupleIJNSF_6TensorESK_SK_EERKSK_lbbbEUlllE0_EEPmJS9_EEE10hipError_tPvRmT3_T4_T5_T6_T7_T9_mT8_P12ihipStream_tbDpT10_ENKUlT_T0_E_clISt17integral_constantIbLb1EES1A_EEDaS15_S16_EUlS15_E_NS1_11comp_targetILNS1_3genE8ELNS1_11target_archE1030ELNS1_3gpuE2ELNS1_3repE0EEENS1_30default_config_static_selectorELNS0_4arch9wavefront6targetE0EEEvT1_
                                        ; -- End function
	.section	.AMDGPU.csdata,"",@progbits
; Kernel info:
; codeLenInByte = 0
; NumSgprs: 0
; NumVgprs: 0
; ScratchSize: 0
; MemoryBound: 0
; FloatMode: 240
; IeeeMode: 1
; LDSByteSize: 0 bytes/workgroup (compile time only)
; SGPRBlocks: 0
; VGPRBlocks: 0
; NumSGPRsForWavesPerEU: 1
; NumVGPRsForWavesPerEU: 1
; Occupancy: 16
; WaveLimiterHint : 0
; COMPUTE_PGM_RSRC2:SCRATCH_EN: 0
; COMPUTE_PGM_RSRC2:USER_SGPR: 15
; COMPUTE_PGM_RSRC2:TRAP_HANDLER: 0
; COMPUTE_PGM_RSRC2:TGID_X_EN: 1
; COMPUTE_PGM_RSRC2:TGID_Y_EN: 0
; COMPUTE_PGM_RSRC2:TGID_Z_EN: 0
; COMPUTE_PGM_RSRC2:TIDIG_COMP_CNT: 0
	.section	.text._ZN7rocprim17ROCPRIM_400000_NS6detail17trampoline_kernelINS0_14default_configENS1_25partition_config_selectorILNS1_17partition_subalgoE9EllbEEZZNS1_14partition_implILS5_9ELb0ES3_jPlS8_PNS0_10empty_typeENS0_5tupleIJS8_S9_EEENSB_IJS8_SA_EEENS0_18inequality_wrapperIZN2at6native12_GLOBAL__N_124unique_dim_cuda_templateIlEESt5tupleIJNSF_6TensorESK_SK_EERKSK_lbbbEUlllE0_EEPmJS9_EEE10hipError_tPvRmT3_T4_T5_T6_T7_T9_mT8_P12ihipStream_tbDpT10_ENKUlT_T0_E_clISt17integral_constantIbLb1EES19_IbLb0EEEEDaS15_S16_EUlS15_E_NS1_11comp_targetILNS1_3genE0ELNS1_11target_archE4294967295ELNS1_3gpuE0ELNS1_3repE0EEENS1_30default_config_static_selectorELNS0_4arch9wavefront6targetE0EEEvT1_,"axG",@progbits,_ZN7rocprim17ROCPRIM_400000_NS6detail17trampoline_kernelINS0_14default_configENS1_25partition_config_selectorILNS1_17partition_subalgoE9EllbEEZZNS1_14partition_implILS5_9ELb0ES3_jPlS8_PNS0_10empty_typeENS0_5tupleIJS8_S9_EEENSB_IJS8_SA_EEENS0_18inequality_wrapperIZN2at6native12_GLOBAL__N_124unique_dim_cuda_templateIlEESt5tupleIJNSF_6TensorESK_SK_EERKSK_lbbbEUlllE0_EEPmJS9_EEE10hipError_tPvRmT3_T4_T5_T6_T7_T9_mT8_P12ihipStream_tbDpT10_ENKUlT_T0_E_clISt17integral_constantIbLb1EES19_IbLb0EEEEDaS15_S16_EUlS15_E_NS1_11comp_targetILNS1_3genE0ELNS1_11target_archE4294967295ELNS1_3gpuE0ELNS1_3repE0EEENS1_30default_config_static_selectorELNS0_4arch9wavefront6targetE0EEEvT1_,comdat
	.globl	_ZN7rocprim17ROCPRIM_400000_NS6detail17trampoline_kernelINS0_14default_configENS1_25partition_config_selectorILNS1_17partition_subalgoE9EllbEEZZNS1_14partition_implILS5_9ELb0ES3_jPlS8_PNS0_10empty_typeENS0_5tupleIJS8_S9_EEENSB_IJS8_SA_EEENS0_18inequality_wrapperIZN2at6native12_GLOBAL__N_124unique_dim_cuda_templateIlEESt5tupleIJNSF_6TensorESK_SK_EERKSK_lbbbEUlllE0_EEPmJS9_EEE10hipError_tPvRmT3_T4_T5_T6_T7_T9_mT8_P12ihipStream_tbDpT10_ENKUlT_T0_E_clISt17integral_constantIbLb1EES19_IbLb0EEEEDaS15_S16_EUlS15_E_NS1_11comp_targetILNS1_3genE0ELNS1_11target_archE4294967295ELNS1_3gpuE0ELNS1_3repE0EEENS1_30default_config_static_selectorELNS0_4arch9wavefront6targetE0EEEvT1_ ; -- Begin function _ZN7rocprim17ROCPRIM_400000_NS6detail17trampoline_kernelINS0_14default_configENS1_25partition_config_selectorILNS1_17partition_subalgoE9EllbEEZZNS1_14partition_implILS5_9ELb0ES3_jPlS8_PNS0_10empty_typeENS0_5tupleIJS8_S9_EEENSB_IJS8_SA_EEENS0_18inequality_wrapperIZN2at6native12_GLOBAL__N_124unique_dim_cuda_templateIlEESt5tupleIJNSF_6TensorESK_SK_EERKSK_lbbbEUlllE0_EEPmJS9_EEE10hipError_tPvRmT3_T4_T5_T6_T7_T9_mT8_P12ihipStream_tbDpT10_ENKUlT_T0_E_clISt17integral_constantIbLb1EES19_IbLb0EEEEDaS15_S16_EUlS15_E_NS1_11comp_targetILNS1_3genE0ELNS1_11target_archE4294967295ELNS1_3gpuE0ELNS1_3repE0EEENS1_30default_config_static_selectorELNS0_4arch9wavefront6targetE0EEEvT1_
	.p2align	8
	.type	_ZN7rocprim17ROCPRIM_400000_NS6detail17trampoline_kernelINS0_14default_configENS1_25partition_config_selectorILNS1_17partition_subalgoE9EllbEEZZNS1_14partition_implILS5_9ELb0ES3_jPlS8_PNS0_10empty_typeENS0_5tupleIJS8_S9_EEENSB_IJS8_SA_EEENS0_18inequality_wrapperIZN2at6native12_GLOBAL__N_124unique_dim_cuda_templateIlEESt5tupleIJNSF_6TensorESK_SK_EERKSK_lbbbEUlllE0_EEPmJS9_EEE10hipError_tPvRmT3_T4_T5_T6_T7_T9_mT8_P12ihipStream_tbDpT10_ENKUlT_T0_E_clISt17integral_constantIbLb1EES19_IbLb0EEEEDaS15_S16_EUlS15_E_NS1_11comp_targetILNS1_3genE0ELNS1_11target_archE4294967295ELNS1_3gpuE0ELNS1_3repE0EEENS1_30default_config_static_selectorELNS0_4arch9wavefront6targetE0EEEvT1_,@function
_ZN7rocprim17ROCPRIM_400000_NS6detail17trampoline_kernelINS0_14default_configENS1_25partition_config_selectorILNS1_17partition_subalgoE9EllbEEZZNS1_14partition_implILS5_9ELb0ES3_jPlS8_PNS0_10empty_typeENS0_5tupleIJS8_S9_EEENSB_IJS8_SA_EEENS0_18inequality_wrapperIZN2at6native12_GLOBAL__N_124unique_dim_cuda_templateIlEESt5tupleIJNSF_6TensorESK_SK_EERKSK_lbbbEUlllE0_EEPmJS9_EEE10hipError_tPvRmT3_T4_T5_T6_T7_T9_mT8_P12ihipStream_tbDpT10_ENKUlT_T0_E_clISt17integral_constantIbLb1EES19_IbLb0EEEEDaS15_S16_EUlS15_E_NS1_11comp_targetILNS1_3genE0ELNS1_11target_archE4294967295ELNS1_3gpuE0ELNS1_3repE0EEENS1_30default_config_static_selectorELNS0_4arch9wavefront6targetE0EEEvT1_: ; @_ZN7rocprim17ROCPRIM_400000_NS6detail17trampoline_kernelINS0_14default_configENS1_25partition_config_selectorILNS1_17partition_subalgoE9EllbEEZZNS1_14partition_implILS5_9ELb0ES3_jPlS8_PNS0_10empty_typeENS0_5tupleIJS8_S9_EEENSB_IJS8_SA_EEENS0_18inequality_wrapperIZN2at6native12_GLOBAL__N_124unique_dim_cuda_templateIlEESt5tupleIJNSF_6TensorESK_SK_EERKSK_lbbbEUlllE0_EEPmJS9_EEE10hipError_tPvRmT3_T4_T5_T6_T7_T9_mT8_P12ihipStream_tbDpT10_ENKUlT_T0_E_clISt17integral_constantIbLb1EES19_IbLb0EEEEDaS15_S16_EUlS15_E_NS1_11comp_targetILNS1_3genE0ELNS1_11target_archE4294967295ELNS1_3gpuE0ELNS1_3repE0EEENS1_30default_config_static_selectorELNS0_4arch9wavefront6targetE0EEEvT1_
; %bb.0:
	.section	.rodata,"a",@progbits
	.p2align	6, 0x0
	.amdhsa_kernel _ZN7rocprim17ROCPRIM_400000_NS6detail17trampoline_kernelINS0_14default_configENS1_25partition_config_selectorILNS1_17partition_subalgoE9EllbEEZZNS1_14partition_implILS5_9ELb0ES3_jPlS8_PNS0_10empty_typeENS0_5tupleIJS8_S9_EEENSB_IJS8_SA_EEENS0_18inequality_wrapperIZN2at6native12_GLOBAL__N_124unique_dim_cuda_templateIlEESt5tupleIJNSF_6TensorESK_SK_EERKSK_lbbbEUlllE0_EEPmJS9_EEE10hipError_tPvRmT3_T4_T5_T6_T7_T9_mT8_P12ihipStream_tbDpT10_ENKUlT_T0_E_clISt17integral_constantIbLb1EES19_IbLb0EEEEDaS15_S16_EUlS15_E_NS1_11comp_targetILNS1_3genE0ELNS1_11target_archE4294967295ELNS1_3gpuE0ELNS1_3repE0EEENS1_30default_config_static_selectorELNS0_4arch9wavefront6targetE0EEEvT1_
		.amdhsa_group_segment_fixed_size 0
		.amdhsa_private_segment_fixed_size 0
		.amdhsa_kernarg_size 120
		.amdhsa_user_sgpr_count 15
		.amdhsa_user_sgpr_dispatch_ptr 0
		.amdhsa_user_sgpr_queue_ptr 0
		.amdhsa_user_sgpr_kernarg_segment_ptr 1
		.amdhsa_user_sgpr_dispatch_id 0
		.amdhsa_user_sgpr_private_segment_size 0
		.amdhsa_wavefront_size32 1
		.amdhsa_uses_dynamic_stack 0
		.amdhsa_enable_private_segment 0
		.amdhsa_system_sgpr_workgroup_id_x 1
		.amdhsa_system_sgpr_workgroup_id_y 0
		.amdhsa_system_sgpr_workgroup_id_z 0
		.amdhsa_system_sgpr_workgroup_info 0
		.amdhsa_system_vgpr_workitem_id 0
		.amdhsa_next_free_vgpr 1
		.amdhsa_next_free_sgpr 1
		.amdhsa_reserve_vcc 0
		.amdhsa_float_round_mode_32 0
		.amdhsa_float_round_mode_16_64 0
		.amdhsa_float_denorm_mode_32 3
		.amdhsa_float_denorm_mode_16_64 3
		.amdhsa_dx10_clamp 1
		.amdhsa_ieee_mode 1
		.amdhsa_fp16_overflow 0
		.amdhsa_workgroup_processor_mode 1
		.amdhsa_memory_ordered 1
		.amdhsa_forward_progress 0
		.amdhsa_shared_vgpr_count 0
		.amdhsa_exception_fp_ieee_invalid_op 0
		.amdhsa_exception_fp_denorm_src 0
		.amdhsa_exception_fp_ieee_div_zero 0
		.amdhsa_exception_fp_ieee_overflow 0
		.amdhsa_exception_fp_ieee_underflow 0
		.amdhsa_exception_fp_ieee_inexact 0
		.amdhsa_exception_int_div_zero 0
	.end_amdhsa_kernel
	.section	.text._ZN7rocprim17ROCPRIM_400000_NS6detail17trampoline_kernelINS0_14default_configENS1_25partition_config_selectorILNS1_17partition_subalgoE9EllbEEZZNS1_14partition_implILS5_9ELb0ES3_jPlS8_PNS0_10empty_typeENS0_5tupleIJS8_S9_EEENSB_IJS8_SA_EEENS0_18inequality_wrapperIZN2at6native12_GLOBAL__N_124unique_dim_cuda_templateIlEESt5tupleIJNSF_6TensorESK_SK_EERKSK_lbbbEUlllE0_EEPmJS9_EEE10hipError_tPvRmT3_T4_T5_T6_T7_T9_mT8_P12ihipStream_tbDpT10_ENKUlT_T0_E_clISt17integral_constantIbLb1EES19_IbLb0EEEEDaS15_S16_EUlS15_E_NS1_11comp_targetILNS1_3genE0ELNS1_11target_archE4294967295ELNS1_3gpuE0ELNS1_3repE0EEENS1_30default_config_static_selectorELNS0_4arch9wavefront6targetE0EEEvT1_,"axG",@progbits,_ZN7rocprim17ROCPRIM_400000_NS6detail17trampoline_kernelINS0_14default_configENS1_25partition_config_selectorILNS1_17partition_subalgoE9EllbEEZZNS1_14partition_implILS5_9ELb0ES3_jPlS8_PNS0_10empty_typeENS0_5tupleIJS8_S9_EEENSB_IJS8_SA_EEENS0_18inequality_wrapperIZN2at6native12_GLOBAL__N_124unique_dim_cuda_templateIlEESt5tupleIJNSF_6TensorESK_SK_EERKSK_lbbbEUlllE0_EEPmJS9_EEE10hipError_tPvRmT3_T4_T5_T6_T7_T9_mT8_P12ihipStream_tbDpT10_ENKUlT_T0_E_clISt17integral_constantIbLb1EES19_IbLb0EEEEDaS15_S16_EUlS15_E_NS1_11comp_targetILNS1_3genE0ELNS1_11target_archE4294967295ELNS1_3gpuE0ELNS1_3repE0EEENS1_30default_config_static_selectorELNS0_4arch9wavefront6targetE0EEEvT1_,comdat
.Lfunc_end611:
	.size	_ZN7rocprim17ROCPRIM_400000_NS6detail17trampoline_kernelINS0_14default_configENS1_25partition_config_selectorILNS1_17partition_subalgoE9EllbEEZZNS1_14partition_implILS5_9ELb0ES3_jPlS8_PNS0_10empty_typeENS0_5tupleIJS8_S9_EEENSB_IJS8_SA_EEENS0_18inequality_wrapperIZN2at6native12_GLOBAL__N_124unique_dim_cuda_templateIlEESt5tupleIJNSF_6TensorESK_SK_EERKSK_lbbbEUlllE0_EEPmJS9_EEE10hipError_tPvRmT3_T4_T5_T6_T7_T9_mT8_P12ihipStream_tbDpT10_ENKUlT_T0_E_clISt17integral_constantIbLb1EES19_IbLb0EEEEDaS15_S16_EUlS15_E_NS1_11comp_targetILNS1_3genE0ELNS1_11target_archE4294967295ELNS1_3gpuE0ELNS1_3repE0EEENS1_30default_config_static_selectorELNS0_4arch9wavefront6targetE0EEEvT1_, .Lfunc_end611-_ZN7rocprim17ROCPRIM_400000_NS6detail17trampoline_kernelINS0_14default_configENS1_25partition_config_selectorILNS1_17partition_subalgoE9EllbEEZZNS1_14partition_implILS5_9ELb0ES3_jPlS8_PNS0_10empty_typeENS0_5tupleIJS8_S9_EEENSB_IJS8_SA_EEENS0_18inequality_wrapperIZN2at6native12_GLOBAL__N_124unique_dim_cuda_templateIlEESt5tupleIJNSF_6TensorESK_SK_EERKSK_lbbbEUlllE0_EEPmJS9_EEE10hipError_tPvRmT3_T4_T5_T6_T7_T9_mT8_P12ihipStream_tbDpT10_ENKUlT_T0_E_clISt17integral_constantIbLb1EES19_IbLb0EEEEDaS15_S16_EUlS15_E_NS1_11comp_targetILNS1_3genE0ELNS1_11target_archE4294967295ELNS1_3gpuE0ELNS1_3repE0EEENS1_30default_config_static_selectorELNS0_4arch9wavefront6targetE0EEEvT1_
                                        ; -- End function
	.section	.AMDGPU.csdata,"",@progbits
; Kernel info:
; codeLenInByte = 0
; NumSgprs: 0
; NumVgprs: 0
; ScratchSize: 0
; MemoryBound: 0
; FloatMode: 240
; IeeeMode: 1
; LDSByteSize: 0 bytes/workgroup (compile time only)
; SGPRBlocks: 0
; VGPRBlocks: 0
; NumSGPRsForWavesPerEU: 1
; NumVGPRsForWavesPerEU: 1
; Occupancy: 16
; WaveLimiterHint : 0
; COMPUTE_PGM_RSRC2:SCRATCH_EN: 0
; COMPUTE_PGM_RSRC2:USER_SGPR: 15
; COMPUTE_PGM_RSRC2:TRAP_HANDLER: 0
; COMPUTE_PGM_RSRC2:TGID_X_EN: 1
; COMPUTE_PGM_RSRC2:TGID_Y_EN: 0
; COMPUTE_PGM_RSRC2:TGID_Z_EN: 0
; COMPUTE_PGM_RSRC2:TIDIG_COMP_CNT: 0
	.section	.text._ZN7rocprim17ROCPRIM_400000_NS6detail17trampoline_kernelINS0_14default_configENS1_25partition_config_selectorILNS1_17partition_subalgoE9EllbEEZZNS1_14partition_implILS5_9ELb0ES3_jPlS8_PNS0_10empty_typeENS0_5tupleIJS8_S9_EEENSB_IJS8_SA_EEENS0_18inequality_wrapperIZN2at6native12_GLOBAL__N_124unique_dim_cuda_templateIlEESt5tupleIJNSF_6TensorESK_SK_EERKSK_lbbbEUlllE0_EEPmJS9_EEE10hipError_tPvRmT3_T4_T5_T6_T7_T9_mT8_P12ihipStream_tbDpT10_ENKUlT_T0_E_clISt17integral_constantIbLb1EES19_IbLb0EEEEDaS15_S16_EUlS15_E_NS1_11comp_targetILNS1_3genE5ELNS1_11target_archE942ELNS1_3gpuE9ELNS1_3repE0EEENS1_30default_config_static_selectorELNS0_4arch9wavefront6targetE0EEEvT1_,"axG",@progbits,_ZN7rocprim17ROCPRIM_400000_NS6detail17trampoline_kernelINS0_14default_configENS1_25partition_config_selectorILNS1_17partition_subalgoE9EllbEEZZNS1_14partition_implILS5_9ELb0ES3_jPlS8_PNS0_10empty_typeENS0_5tupleIJS8_S9_EEENSB_IJS8_SA_EEENS0_18inequality_wrapperIZN2at6native12_GLOBAL__N_124unique_dim_cuda_templateIlEESt5tupleIJNSF_6TensorESK_SK_EERKSK_lbbbEUlllE0_EEPmJS9_EEE10hipError_tPvRmT3_T4_T5_T6_T7_T9_mT8_P12ihipStream_tbDpT10_ENKUlT_T0_E_clISt17integral_constantIbLb1EES19_IbLb0EEEEDaS15_S16_EUlS15_E_NS1_11comp_targetILNS1_3genE5ELNS1_11target_archE942ELNS1_3gpuE9ELNS1_3repE0EEENS1_30default_config_static_selectorELNS0_4arch9wavefront6targetE0EEEvT1_,comdat
	.globl	_ZN7rocprim17ROCPRIM_400000_NS6detail17trampoline_kernelINS0_14default_configENS1_25partition_config_selectorILNS1_17partition_subalgoE9EllbEEZZNS1_14partition_implILS5_9ELb0ES3_jPlS8_PNS0_10empty_typeENS0_5tupleIJS8_S9_EEENSB_IJS8_SA_EEENS0_18inequality_wrapperIZN2at6native12_GLOBAL__N_124unique_dim_cuda_templateIlEESt5tupleIJNSF_6TensorESK_SK_EERKSK_lbbbEUlllE0_EEPmJS9_EEE10hipError_tPvRmT3_T4_T5_T6_T7_T9_mT8_P12ihipStream_tbDpT10_ENKUlT_T0_E_clISt17integral_constantIbLb1EES19_IbLb0EEEEDaS15_S16_EUlS15_E_NS1_11comp_targetILNS1_3genE5ELNS1_11target_archE942ELNS1_3gpuE9ELNS1_3repE0EEENS1_30default_config_static_selectorELNS0_4arch9wavefront6targetE0EEEvT1_ ; -- Begin function _ZN7rocprim17ROCPRIM_400000_NS6detail17trampoline_kernelINS0_14default_configENS1_25partition_config_selectorILNS1_17partition_subalgoE9EllbEEZZNS1_14partition_implILS5_9ELb0ES3_jPlS8_PNS0_10empty_typeENS0_5tupleIJS8_S9_EEENSB_IJS8_SA_EEENS0_18inequality_wrapperIZN2at6native12_GLOBAL__N_124unique_dim_cuda_templateIlEESt5tupleIJNSF_6TensorESK_SK_EERKSK_lbbbEUlllE0_EEPmJS9_EEE10hipError_tPvRmT3_T4_T5_T6_T7_T9_mT8_P12ihipStream_tbDpT10_ENKUlT_T0_E_clISt17integral_constantIbLb1EES19_IbLb0EEEEDaS15_S16_EUlS15_E_NS1_11comp_targetILNS1_3genE5ELNS1_11target_archE942ELNS1_3gpuE9ELNS1_3repE0EEENS1_30default_config_static_selectorELNS0_4arch9wavefront6targetE0EEEvT1_
	.p2align	8
	.type	_ZN7rocprim17ROCPRIM_400000_NS6detail17trampoline_kernelINS0_14default_configENS1_25partition_config_selectorILNS1_17partition_subalgoE9EllbEEZZNS1_14partition_implILS5_9ELb0ES3_jPlS8_PNS0_10empty_typeENS0_5tupleIJS8_S9_EEENSB_IJS8_SA_EEENS0_18inequality_wrapperIZN2at6native12_GLOBAL__N_124unique_dim_cuda_templateIlEESt5tupleIJNSF_6TensorESK_SK_EERKSK_lbbbEUlllE0_EEPmJS9_EEE10hipError_tPvRmT3_T4_T5_T6_T7_T9_mT8_P12ihipStream_tbDpT10_ENKUlT_T0_E_clISt17integral_constantIbLb1EES19_IbLb0EEEEDaS15_S16_EUlS15_E_NS1_11comp_targetILNS1_3genE5ELNS1_11target_archE942ELNS1_3gpuE9ELNS1_3repE0EEENS1_30default_config_static_selectorELNS0_4arch9wavefront6targetE0EEEvT1_,@function
_ZN7rocprim17ROCPRIM_400000_NS6detail17trampoline_kernelINS0_14default_configENS1_25partition_config_selectorILNS1_17partition_subalgoE9EllbEEZZNS1_14partition_implILS5_9ELb0ES3_jPlS8_PNS0_10empty_typeENS0_5tupleIJS8_S9_EEENSB_IJS8_SA_EEENS0_18inequality_wrapperIZN2at6native12_GLOBAL__N_124unique_dim_cuda_templateIlEESt5tupleIJNSF_6TensorESK_SK_EERKSK_lbbbEUlllE0_EEPmJS9_EEE10hipError_tPvRmT3_T4_T5_T6_T7_T9_mT8_P12ihipStream_tbDpT10_ENKUlT_T0_E_clISt17integral_constantIbLb1EES19_IbLb0EEEEDaS15_S16_EUlS15_E_NS1_11comp_targetILNS1_3genE5ELNS1_11target_archE942ELNS1_3gpuE9ELNS1_3repE0EEENS1_30default_config_static_selectorELNS0_4arch9wavefront6targetE0EEEvT1_: ; @_ZN7rocprim17ROCPRIM_400000_NS6detail17trampoline_kernelINS0_14default_configENS1_25partition_config_selectorILNS1_17partition_subalgoE9EllbEEZZNS1_14partition_implILS5_9ELb0ES3_jPlS8_PNS0_10empty_typeENS0_5tupleIJS8_S9_EEENSB_IJS8_SA_EEENS0_18inequality_wrapperIZN2at6native12_GLOBAL__N_124unique_dim_cuda_templateIlEESt5tupleIJNSF_6TensorESK_SK_EERKSK_lbbbEUlllE0_EEPmJS9_EEE10hipError_tPvRmT3_T4_T5_T6_T7_T9_mT8_P12ihipStream_tbDpT10_ENKUlT_T0_E_clISt17integral_constantIbLb1EES19_IbLb0EEEEDaS15_S16_EUlS15_E_NS1_11comp_targetILNS1_3genE5ELNS1_11target_archE942ELNS1_3gpuE9ELNS1_3repE0EEENS1_30default_config_static_selectorELNS0_4arch9wavefront6targetE0EEEvT1_
; %bb.0:
	.section	.rodata,"a",@progbits
	.p2align	6, 0x0
	.amdhsa_kernel _ZN7rocprim17ROCPRIM_400000_NS6detail17trampoline_kernelINS0_14default_configENS1_25partition_config_selectorILNS1_17partition_subalgoE9EllbEEZZNS1_14partition_implILS5_9ELb0ES3_jPlS8_PNS0_10empty_typeENS0_5tupleIJS8_S9_EEENSB_IJS8_SA_EEENS0_18inequality_wrapperIZN2at6native12_GLOBAL__N_124unique_dim_cuda_templateIlEESt5tupleIJNSF_6TensorESK_SK_EERKSK_lbbbEUlllE0_EEPmJS9_EEE10hipError_tPvRmT3_T4_T5_T6_T7_T9_mT8_P12ihipStream_tbDpT10_ENKUlT_T0_E_clISt17integral_constantIbLb1EES19_IbLb0EEEEDaS15_S16_EUlS15_E_NS1_11comp_targetILNS1_3genE5ELNS1_11target_archE942ELNS1_3gpuE9ELNS1_3repE0EEENS1_30default_config_static_selectorELNS0_4arch9wavefront6targetE0EEEvT1_
		.amdhsa_group_segment_fixed_size 0
		.amdhsa_private_segment_fixed_size 0
		.amdhsa_kernarg_size 120
		.amdhsa_user_sgpr_count 15
		.amdhsa_user_sgpr_dispatch_ptr 0
		.amdhsa_user_sgpr_queue_ptr 0
		.amdhsa_user_sgpr_kernarg_segment_ptr 1
		.amdhsa_user_sgpr_dispatch_id 0
		.amdhsa_user_sgpr_private_segment_size 0
		.amdhsa_wavefront_size32 1
		.amdhsa_uses_dynamic_stack 0
		.amdhsa_enable_private_segment 0
		.amdhsa_system_sgpr_workgroup_id_x 1
		.amdhsa_system_sgpr_workgroup_id_y 0
		.amdhsa_system_sgpr_workgroup_id_z 0
		.amdhsa_system_sgpr_workgroup_info 0
		.amdhsa_system_vgpr_workitem_id 0
		.amdhsa_next_free_vgpr 1
		.amdhsa_next_free_sgpr 1
		.amdhsa_reserve_vcc 0
		.amdhsa_float_round_mode_32 0
		.amdhsa_float_round_mode_16_64 0
		.amdhsa_float_denorm_mode_32 3
		.amdhsa_float_denorm_mode_16_64 3
		.amdhsa_dx10_clamp 1
		.amdhsa_ieee_mode 1
		.amdhsa_fp16_overflow 0
		.amdhsa_workgroup_processor_mode 1
		.amdhsa_memory_ordered 1
		.amdhsa_forward_progress 0
		.amdhsa_shared_vgpr_count 0
		.amdhsa_exception_fp_ieee_invalid_op 0
		.amdhsa_exception_fp_denorm_src 0
		.amdhsa_exception_fp_ieee_div_zero 0
		.amdhsa_exception_fp_ieee_overflow 0
		.amdhsa_exception_fp_ieee_underflow 0
		.amdhsa_exception_fp_ieee_inexact 0
		.amdhsa_exception_int_div_zero 0
	.end_amdhsa_kernel
	.section	.text._ZN7rocprim17ROCPRIM_400000_NS6detail17trampoline_kernelINS0_14default_configENS1_25partition_config_selectorILNS1_17partition_subalgoE9EllbEEZZNS1_14partition_implILS5_9ELb0ES3_jPlS8_PNS0_10empty_typeENS0_5tupleIJS8_S9_EEENSB_IJS8_SA_EEENS0_18inequality_wrapperIZN2at6native12_GLOBAL__N_124unique_dim_cuda_templateIlEESt5tupleIJNSF_6TensorESK_SK_EERKSK_lbbbEUlllE0_EEPmJS9_EEE10hipError_tPvRmT3_T4_T5_T6_T7_T9_mT8_P12ihipStream_tbDpT10_ENKUlT_T0_E_clISt17integral_constantIbLb1EES19_IbLb0EEEEDaS15_S16_EUlS15_E_NS1_11comp_targetILNS1_3genE5ELNS1_11target_archE942ELNS1_3gpuE9ELNS1_3repE0EEENS1_30default_config_static_selectorELNS0_4arch9wavefront6targetE0EEEvT1_,"axG",@progbits,_ZN7rocprim17ROCPRIM_400000_NS6detail17trampoline_kernelINS0_14default_configENS1_25partition_config_selectorILNS1_17partition_subalgoE9EllbEEZZNS1_14partition_implILS5_9ELb0ES3_jPlS8_PNS0_10empty_typeENS0_5tupleIJS8_S9_EEENSB_IJS8_SA_EEENS0_18inequality_wrapperIZN2at6native12_GLOBAL__N_124unique_dim_cuda_templateIlEESt5tupleIJNSF_6TensorESK_SK_EERKSK_lbbbEUlllE0_EEPmJS9_EEE10hipError_tPvRmT3_T4_T5_T6_T7_T9_mT8_P12ihipStream_tbDpT10_ENKUlT_T0_E_clISt17integral_constantIbLb1EES19_IbLb0EEEEDaS15_S16_EUlS15_E_NS1_11comp_targetILNS1_3genE5ELNS1_11target_archE942ELNS1_3gpuE9ELNS1_3repE0EEENS1_30default_config_static_selectorELNS0_4arch9wavefront6targetE0EEEvT1_,comdat
.Lfunc_end612:
	.size	_ZN7rocprim17ROCPRIM_400000_NS6detail17trampoline_kernelINS0_14default_configENS1_25partition_config_selectorILNS1_17partition_subalgoE9EllbEEZZNS1_14partition_implILS5_9ELb0ES3_jPlS8_PNS0_10empty_typeENS0_5tupleIJS8_S9_EEENSB_IJS8_SA_EEENS0_18inequality_wrapperIZN2at6native12_GLOBAL__N_124unique_dim_cuda_templateIlEESt5tupleIJNSF_6TensorESK_SK_EERKSK_lbbbEUlllE0_EEPmJS9_EEE10hipError_tPvRmT3_T4_T5_T6_T7_T9_mT8_P12ihipStream_tbDpT10_ENKUlT_T0_E_clISt17integral_constantIbLb1EES19_IbLb0EEEEDaS15_S16_EUlS15_E_NS1_11comp_targetILNS1_3genE5ELNS1_11target_archE942ELNS1_3gpuE9ELNS1_3repE0EEENS1_30default_config_static_selectorELNS0_4arch9wavefront6targetE0EEEvT1_, .Lfunc_end612-_ZN7rocprim17ROCPRIM_400000_NS6detail17trampoline_kernelINS0_14default_configENS1_25partition_config_selectorILNS1_17partition_subalgoE9EllbEEZZNS1_14partition_implILS5_9ELb0ES3_jPlS8_PNS0_10empty_typeENS0_5tupleIJS8_S9_EEENSB_IJS8_SA_EEENS0_18inequality_wrapperIZN2at6native12_GLOBAL__N_124unique_dim_cuda_templateIlEESt5tupleIJNSF_6TensorESK_SK_EERKSK_lbbbEUlllE0_EEPmJS9_EEE10hipError_tPvRmT3_T4_T5_T6_T7_T9_mT8_P12ihipStream_tbDpT10_ENKUlT_T0_E_clISt17integral_constantIbLb1EES19_IbLb0EEEEDaS15_S16_EUlS15_E_NS1_11comp_targetILNS1_3genE5ELNS1_11target_archE942ELNS1_3gpuE9ELNS1_3repE0EEENS1_30default_config_static_selectorELNS0_4arch9wavefront6targetE0EEEvT1_
                                        ; -- End function
	.section	.AMDGPU.csdata,"",@progbits
; Kernel info:
; codeLenInByte = 0
; NumSgprs: 0
; NumVgprs: 0
; ScratchSize: 0
; MemoryBound: 0
; FloatMode: 240
; IeeeMode: 1
; LDSByteSize: 0 bytes/workgroup (compile time only)
; SGPRBlocks: 0
; VGPRBlocks: 0
; NumSGPRsForWavesPerEU: 1
; NumVGPRsForWavesPerEU: 1
; Occupancy: 16
; WaveLimiterHint : 0
; COMPUTE_PGM_RSRC2:SCRATCH_EN: 0
; COMPUTE_PGM_RSRC2:USER_SGPR: 15
; COMPUTE_PGM_RSRC2:TRAP_HANDLER: 0
; COMPUTE_PGM_RSRC2:TGID_X_EN: 1
; COMPUTE_PGM_RSRC2:TGID_Y_EN: 0
; COMPUTE_PGM_RSRC2:TGID_Z_EN: 0
; COMPUTE_PGM_RSRC2:TIDIG_COMP_CNT: 0
	.section	.text._ZN7rocprim17ROCPRIM_400000_NS6detail17trampoline_kernelINS0_14default_configENS1_25partition_config_selectorILNS1_17partition_subalgoE9EllbEEZZNS1_14partition_implILS5_9ELb0ES3_jPlS8_PNS0_10empty_typeENS0_5tupleIJS8_S9_EEENSB_IJS8_SA_EEENS0_18inequality_wrapperIZN2at6native12_GLOBAL__N_124unique_dim_cuda_templateIlEESt5tupleIJNSF_6TensorESK_SK_EERKSK_lbbbEUlllE0_EEPmJS9_EEE10hipError_tPvRmT3_T4_T5_T6_T7_T9_mT8_P12ihipStream_tbDpT10_ENKUlT_T0_E_clISt17integral_constantIbLb1EES19_IbLb0EEEEDaS15_S16_EUlS15_E_NS1_11comp_targetILNS1_3genE4ELNS1_11target_archE910ELNS1_3gpuE8ELNS1_3repE0EEENS1_30default_config_static_selectorELNS0_4arch9wavefront6targetE0EEEvT1_,"axG",@progbits,_ZN7rocprim17ROCPRIM_400000_NS6detail17trampoline_kernelINS0_14default_configENS1_25partition_config_selectorILNS1_17partition_subalgoE9EllbEEZZNS1_14partition_implILS5_9ELb0ES3_jPlS8_PNS0_10empty_typeENS0_5tupleIJS8_S9_EEENSB_IJS8_SA_EEENS0_18inequality_wrapperIZN2at6native12_GLOBAL__N_124unique_dim_cuda_templateIlEESt5tupleIJNSF_6TensorESK_SK_EERKSK_lbbbEUlllE0_EEPmJS9_EEE10hipError_tPvRmT3_T4_T5_T6_T7_T9_mT8_P12ihipStream_tbDpT10_ENKUlT_T0_E_clISt17integral_constantIbLb1EES19_IbLb0EEEEDaS15_S16_EUlS15_E_NS1_11comp_targetILNS1_3genE4ELNS1_11target_archE910ELNS1_3gpuE8ELNS1_3repE0EEENS1_30default_config_static_selectorELNS0_4arch9wavefront6targetE0EEEvT1_,comdat
	.globl	_ZN7rocprim17ROCPRIM_400000_NS6detail17trampoline_kernelINS0_14default_configENS1_25partition_config_selectorILNS1_17partition_subalgoE9EllbEEZZNS1_14partition_implILS5_9ELb0ES3_jPlS8_PNS0_10empty_typeENS0_5tupleIJS8_S9_EEENSB_IJS8_SA_EEENS0_18inequality_wrapperIZN2at6native12_GLOBAL__N_124unique_dim_cuda_templateIlEESt5tupleIJNSF_6TensorESK_SK_EERKSK_lbbbEUlllE0_EEPmJS9_EEE10hipError_tPvRmT3_T4_T5_T6_T7_T9_mT8_P12ihipStream_tbDpT10_ENKUlT_T0_E_clISt17integral_constantIbLb1EES19_IbLb0EEEEDaS15_S16_EUlS15_E_NS1_11comp_targetILNS1_3genE4ELNS1_11target_archE910ELNS1_3gpuE8ELNS1_3repE0EEENS1_30default_config_static_selectorELNS0_4arch9wavefront6targetE0EEEvT1_ ; -- Begin function _ZN7rocprim17ROCPRIM_400000_NS6detail17trampoline_kernelINS0_14default_configENS1_25partition_config_selectorILNS1_17partition_subalgoE9EllbEEZZNS1_14partition_implILS5_9ELb0ES3_jPlS8_PNS0_10empty_typeENS0_5tupleIJS8_S9_EEENSB_IJS8_SA_EEENS0_18inequality_wrapperIZN2at6native12_GLOBAL__N_124unique_dim_cuda_templateIlEESt5tupleIJNSF_6TensorESK_SK_EERKSK_lbbbEUlllE0_EEPmJS9_EEE10hipError_tPvRmT3_T4_T5_T6_T7_T9_mT8_P12ihipStream_tbDpT10_ENKUlT_T0_E_clISt17integral_constantIbLb1EES19_IbLb0EEEEDaS15_S16_EUlS15_E_NS1_11comp_targetILNS1_3genE4ELNS1_11target_archE910ELNS1_3gpuE8ELNS1_3repE0EEENS1_30default_config_static_selectorELNS0_4arch9wavefront6targetE0EEEvT1_
	.p2align	8
	.type	_ZN7rocprim17ROCPRIM_400000_NS6detail17trampoline_kernelINS0_14default_configENS1_25partition_config_selectorILNS1_17partition_subalgoE9EllbEEZZNS1_14partition_implILS5_9ELb0ES3_jPlS8_PNS0_10empty_typeENS0_5tupleIJS8_S9_EEENSB_IJS8_SA_EEENS0_18inequality_wrapperIZN2at6native12_GLOBAL__N_124unique_dim_cuda_templateIlEESt5tupleIJNSF_6TensorESK_SK_EERKSK_lbbbEUlllE0_EEPmJS9_EEE10hipError_tPvRmT3_T4_T5_T6_T7_T9_mT8_P12ihipStream_tbDpT10_ENKUlT_T0_E_clISt17integral_constantIbLb1EES19_IbLb0EEEEDaS15_S16_EUlS15_E_NS1_11comp_targetILNS1_3genE4ELNS1_11target_archE910ELNS1_3gpuE8ELNS1_3repE0EEENS1_30default_config_static_selectorELNS0_4arch9wavefront6targetE0EEEvT1_,@function
_ZN7rocprim17ROCPRIM_400000_NS6detail17trampoline_kernelINS0_14default_configENS1_25partition_config_selectorILNS1_17partition_subalgoE9EllbEEZZNS1_14partition_implILS5_9ELb0ES3_jPlS8_PNS0_10empty_typeENS0_5tupleIJS8_S9_EEENSB_IJS8_SA_EEENS0_18inequality_wrapperIZN2at6native12_GLOBAL__N_124unique_dim_cuda_templateIlEESt5tupleIJNSF_6TensorESK_SK_EERKSK_lbbbEUlllE0_EEPmJS9_EEE10hipError_tPvRmT3_T4_T5_T6_T7_T9_mT8_P12ihipStream_tbDpT10_ENKUlT_T0_E_clISt17integral_constantIbLb1EES19_IbLb0EEEEDaS15_S16_EUlS15_E_NS1_11comp_targetILNS1_3genE4ELNS1_11target_archE910ELNS1_3gpuE8ELNS1_3repE0EEENS1_30default_config_static_selectorELNS0_4arch9wavefront6targetE0EEEvT1_: ; @_ZN7rocprim17ROCPRIM_400000_NS6detail17trampoline_kernelINS0_14default_configENS1_25partition_config_selectorILNS1_17partition_subalgoE9EllbEEZZNS1_14partition_implILS5_9ELb0ES3_jPlS8_PNS0_10empty_typeENS0_5tupleIJS8_S9_EEENSB_IJS8_SA_EEENS0_18inequality_wrapperIZN2at6native12_GLOBAL__N_124unique_dim_cuda_templateIlEESt5tupleIJNSF_6TensorESK_SK_EERKSK_lbbbEUlllE0_EEPmJS9_EEE10hipError_tPvRmT3_T4_T5_T6_T7_T9_mT8_P12ihipStream_tbDpT10_ENKUlT_T0_E_clISt17integral_constantIbLb1EES19_IbLb0EEEEDaS15_S16_EUlS15_E_NS1_11comp_targetILNS1_3genE4ELNS1_11target_archE910ELNS1_3gpuE8ELNS1_3repE0EEENS1_30default_config_static_selectorELNS0_4arch9wavefront6targetE0EEEvT1_
; %bb.0:
	.section	.rodata,"a",@progbits
	.p2align	6, 0x0
	.amdhsa_kernel _ZN7rocprim17ROCPRIM_400000_NS6detail17trampoline_kernelINS0_14default_configENS1_25partition_config_selectorILNS1_17partition_subalgoE9EllbEEZZNS1_14partition_implILS5_9ELb0ES3_jPlS8_PNS0_10empty_typeENS0_5tupleIJS8_S9_EEENSB_IJS8_SA_EEENS0_18inequality_wrapperIZN2at6native12_GLOBAL__N_124unique_dim_cuda_templateIlEESt5tupleIJNSF_6TensorESK_SK_EERKSK_lbbbEUlllE0_EEPmJS9_EEE10hipError_tPvRmT3_T4_T5_T6_T7_T9_mT8_P12ihipStream_tbDpT10_ENKUlT_T0_E_clISt17integral_constantIbLb1EES19_IbLb0EEEEDaS15_S16_EUlS15_E_NS1_11comp_targetILNS1_3genE4ELNS1_11target_archE910ELNS1_3gpuE8ELNS1_3repE0EEENS1_30default_config_static_selectorELNS0_4arch9wavefront6targetE0EEEvT1_
		.amdhsa_group_segment_fixed_size 0
		.amdhsa_private_segment_fixed_size 0
		.amdhsa_kernarg_size 120
		.amdhsa_user_sgpr_count 15
		.amdhsa_user_sgpr_dispatch_ptr 0
		.amdhsa_user_sgpr_queue_ptr 0
		.amdhsa_user_sgpr_kernarg_segment_ptr 1
		.amdhsa_user_sgpr_dispatch_id 0
		.amdhsa_user_sgpr_private_segment_size 0
		.amdhsa_wavefront_size32 1
		.amdhsa_uses_dynamic_stack 0
		.amdhsa_enable_private_segment 0
		.amdhsa_system_sgpr_workgroup_id_x 1
		.amdhsa_system_sgpr_workgroup_id_y 0
		.amdhsa_system_sgpr_workgroup_id_z 0
		.amdhsa_system_sgpr_workgroup_info 0
		.amdhsa_system_vgpr_workitem_id 0
		.amdhsa_next_free_vgpr 1
		.amdhsa_next_free_sgpr 1
		.amdhsa_reserve_vcc 0
		.amdhsa_float_round_mode_32 0
		.amdhsa_float_round_mode_16_64 0
		.amdhsa_float_denorm_mode_32 3
		.amdhsa_float_denorm_mode_16_64 3
		.amdhsa_dx10_clamp 1
		.amdhsa_ieee_mode 1
		.amdhsa_fp16_overflow 0
		.amdhsa_workgroup_processor_mode 1
		.amdhsa_memory_ordered 1
		.amdhsa_forward_progress 0
		.amdhsa_shared_vgpr_count 0
		.amdhsa_exception_fp_ieee_invalid_op 0
		.amdhsa_exception_fp_denorm_src 0
		.amdhsa_exception_fp_ieee_div_zero 0
		.amdhsa_exception_fp_ieee_overflow 0
		.amdhsa_exception_fp_ieee_underflow 0
		.amdhsa_exception_fp_ieee_inexact 0
		.amdhsa_exception_int_div_zero 0
	.end_amdhsa_kernel
	.section	.text._ZN7rocprim17ROCPRIM_400000_NS6detail17trampoline_kernelINS0_14default_configENS1_25partition_config_selectorILNS1_17partition_subalgoE9EllbEEZZNS1_14partition_implILS5_9ELb0ES3_jPlS8_PNS0_10empty_typeENS0_5tupleIJS8_S9_EEENSB_IJS8_SA_EEENS0_18inequality_wrapperIZN2at6native12_GLOBAL__N_124unique_dim_cuda_templateIlEESt5tupleIJNSF_6TensorESK_SK_EERKSK_lbbbEUlllE0_EEPmJS9_EEE10hipError_tPvRmT3_T4_T5_T6_T7_T9_mT8_P12ihipStream_tbDpT10_ENKUlT_T0_E_clISt17integral_constantIbLb1EES19_IbLb0EEEEDaS15_S16_EUlS15_E_NS1_11comp_targetILNS1_3genE4ELNS1_11target_archE910ELNS1_3gpuE8ELNS1_3repE0EEENS1_30default_config_static_selectorELNS0_4arch9wavefront6targetE0EEEvT1_,"axG",@progbits,_ZN7rocprim17ROCPRIM_400000_NS6detail17trampoline_kernelINS0_14default_configENS1_25partition_config_selectorILNS1_17partition_subalgoE9EllbEEZZNS1_14partition_implILS5_9ELb0ES3_jPlS8_PNS0_10empty_typeENS0_5tupleIJS8_S9_EEENSB_IJS8_SA_EEENS0_18inequality_wrapperIZN2at6native12_GLOBAL__N_124unique_dim_cuda_templateIlEESt5tupleIJNSF_6TensorESK_SK_EERKSK_lbbbEUlllE0_EEPmJS9_EEE10hipError_tPvRmT3_T4_T5_T6_T7_T9_mT8_P12ihipStream_tbDpT10_ENKUlT_T0_E_clISt17integral_constantIbLb1EES19_IbLb0EEEEDaS15_S16_EUlS15_E_NS1_11comp_targetILNS1_3genE4ELNS1_11target_archE910ELNS1_3gpuE8ELNS1_3repE0EEENS1_30default_config_static_selectorELNS0_4arch9wavefront6targetE0EEEvT1_,comdat
.Lfunc_end613:
	.size	_ZN7rocprim17ROCPRIM_400000_NS6detail17trampoline_kernelINS0_14default_configENS1_25partition_config_selectorILNS1_17partition_subalgoE9EllbEEZZNS1_14partition_implILS5_9ELb0ES3_jPlS8_PNS0_10empty_typeENS0_5tupleIJS8_S9_EEENSB_IJS8_SA_EEENS0_18inequality_wrapperIZN2at6native12_GLOBAL__N_124unique_dim_cuda_templateIlEESt5tupleIJNSF_6TensorESK_SK_EERKSK_lbbbEUlllE0_EEPmJS9_EEE10hipError_tPvRmT3_T4_T5_T6_T7_T9_mT8_P12ihipStream_tbDpT10_ENKUlT_T0_E_clISt17integral_constantIbLb1EES19_IbLb0EEEEDaS15_S16_EUlS15_E_NS1_11comp_targetILNS1_3genE4ELNS1_11target_archE910ELNS1_3gpuE8ELNS1_3repE0EEENS1_30default_config_static_selectorELNS0_4arch9wavefront6targetE0EEEvT1_, .Lfunc_end613-_ZN7rocprim17ROCPRIM_400000_NS6detail17trampoline_kernelINS0_14default_configENS1_25partition_config_selectorILNS1_17partition_subalgoE9EllbEEZZNS1_14partition_implILS5_9ELb0ES3_jPlS8_PNS0_10empty_typeENS0_5tupleIJS8_S9_EEENSB_IJS8_SA_EEENS0_18inequality_wrapperIZN2at6native12_GLOBAL__N_124unique_dim_cuda_templateIlEESt5tupleIJNSF_6TensorESK_SK_EERKSK_lbbbEUlllE0_EEPmJS9_EEE10hipError_tPvRmT3_T4_T5_T6_T7_T9_mT8_P12ihipStream_tbDpT10_ENKUlT_T0_E_clISt17integral_constantIbLb1EES19_IbLb0EEEEDaS15_S16_EUlS15_E_NS1_11comp_targetILNS1_3genE4ELNS1_11target_archE910ELNS1_3gpuE8ELNS1_3repE0EEENS1_30default_config_static_selectorELNS0_4arch9wavefront6targetE0EEEvT1_
                                        ; -- End function
	.section	.AMDGPU.csdata,"",@progbits
; Kernel info:
; codeLenInByte = 0
; NumSgprs: 0
; NumVgprs: 0
; ScratchSize: 0
; MemoryBound: 0
; FloatMode: 240
; IeeeMode: 1
; LDSByteSize: 0 bytes/workgroup (compile time only)
; SGPRBlocks: 0
; VGPRBlocks: 0
; NumSGPRsForWavesPerEU: 1
; NumVGPRsForWavesPerEU: 1
; Occupancy: 16
; WaveLimiterHint : 0
; COMPUTE_PGM_RSRC2:SCRATCH_EN: 0
; COMPUTE_PGM_RSRC2:USER_SGPR: 15
; COMPUTE_PGM_RSRC2:TRAP_HANDLER: 0
; COMPUTE_PGM_RSRC2:TGID_X_EN: 1
; COMPUTE_PGM_RSRC2:TGID_Y_EN: 0
; COMPUTE_PGM_RSRC2:TGID_Z_EN: 0
; COMPUTE_PGM_RSRC2:TIDIG_COMP_CNT: 0
	.section	.text._ZN7rocprim17ROCPRIM_400000_NS6detail17trampoline_kernelINS0_14default_configENS1_25partition_config_selectorILNS1_17partition_subalgoE9EllbEEZZNS1_14partition_implILS5_9ELb0ES3_jPlS8_PNS0_10empty_typeENS0_5tupleIJS8_S9_EEENSB_IJS8_SA_EEENS0_18inequality_wrapperIZN2at6native12_GLOBAL__N_124unique_dim_cuda_templateIlEESt5tupleIJNSF_6TensorESK_SK_EERKSK_lbbbEUlllE0_EEPmJS9_EEE10hipError_tPvRmT3_T4_T5_T6_T7_T9_mT8_P12ihipStream_tbDpT10_ENKUlT_T0_E_clISt17integral_constantIbLb1EES19_IbLb0EEEEDaS15_S16_EUlS15_E_NS1_11comp_targetILNS1_3genE3ELNS1_11target_archE908ELNS1_3gpuE7ELNS1_3repE0EEENS1_30default_config_static_selectorELNS0_4arch9wavefront6targetE0EEEvT1_,"axG",@progbits,_ZN7rocprim17ROCPRIM_400000_NS6detail17trampoline_kernelINS0_14default_configENS1_25partition_config_selectorILNS1_17partition_subalgoE9EllbEEZZNS1_14partition_implILS5_9ELb0ES3_jPlS8_PNS0_10empty_typeENS0_5tupleIJS8_S9_EEENSB_IJS8_SA_EEENS0_18inequality_wrapperIZN2at6native12_GLOBAL__N_124unique_dim_cuda_templateIlEESt5tupleIJNSF_6TensorESK_SK_EERKSK_lbbbEUlllE0_EEPmJS9_EEE10hipError_tPvRmT3_T4_T5_T6_T7_T9_mT8_P12ihipStream_tbDpT10_ENKUlT_T0_E_clISt17integral_constantIbLb1EES19_IbLb0EEEEDaS15_S16_EUlS15_E_NS1_11comp_targetILNS1_3genE3ELNS1_11target_archE908ELNS1_3gpuE7ELNS1_3repE0EEENS1_30default_config_static_selectorELNS0_4arch9wavefront6targetE0EEEvT1_,comdat
	.globl	_ZN7rocprim17ROCPRIM_400000_NS6detail17trampoline_kernelINS0_14default_configENS1_25partition_config_selectorILNS1_17partition_subalgoE9EllbEEZZNS1_14partition_implILS5_9ELb0ES3_jPlS8_PNS0_10empty_typeENS0_5tupleIJS8_S9_EEENSB_IJS8_SA_EEENS0_18inequality_wrapperIZN2at6native12_GLOBAL__N_124unique_dim_cuda_templateIlEESt5tupleIJNSF_6TensorESK_SK_EERKSK_lbbbEUlllE0_EEPmJS9_EEE10hipError_tPvRmT3_T4_T5_T6_T7_T9_mT8_P12ihipStream_tbDpT10_ENKUlT_T0_E_clISt17integral_constantIbLb1EES19_IbLb0EEEEDaS15_S16_EUlS15_E_NS1_11comp_targetILNS1_3genE3ELNS1_11target_archE908ELNS1_3gpuE7ELNS1_3repE0EEENS1_30default_config_static_selectorELNS0_4arch9wavefront6targetE0EEEvT1_ ; -- Begin function _ZN7rocprim17ROCPRIM_400000_NS6detail17trampoline_kernelINS0_14default_configENS1_25partition_config_selectorILNS1_17partition_subalgoE9EllbEEZZNS1_14partition_implILS5_9ELb0ES3_jPlS8_PNS0_10empty_typeENS0_5tupleIJS8_S9_EEENSB_IJS8_SA_EEENS0_18inequality_wrapperIZN2at6native12_GLOBAL__N_124unique_dim_cuda_templateIlEESt5tupleIJNSF_6TensorESK_SK_EERKSK_lbbbEUlllE0_EEPmJS9_EEE10hipError_tPvRmT3_T4_T5_T6_T7_T9_mT8_P12ihipStream_tbDpT10_ENKUlT_T0_E_clISt17integral_constantIbLb1EES19_IbLb0EEEEDaS15_S16_EUlS15_E_NS1_11comp_targetILNS1_3genE3ELNS1_11target_archE908ELNS1_3gpuE7ELNS1_3repE0EEENS1_30default_config_static_selectorELNS0_4arch9wavefront6targetE0EEEvT1_
	.p2align	8
	.type	_ZN7rocprim17ROCPRIM_400000_NS6detail17trampoline_kernelINS0_14default_configENS1_25partition_config_selectorILNS1_17partition_subalgoE9EllbEEZZNS1_14partition_implILS5_9ELb0ES3_jPlS8_PNS0_10empty_typeENS0_5tupleIJS8_S9_EEENSB_IJS8_SA_EEENS0_18inequality_wrapperIZN2at6native12_GLOBAL__N_124unique_dim_cuda_templateIlEESt5tupleIJNSF_6TensorESK_SK_EERKSK_lbbbEUlllE0_EEPmJS9_EEE10hipError_tPvRmT3_T4_T5_T6_T7_T9_mT8_P12ihipStream_tbDpT10_ENKUlT_T0_E_clISt17integral_constantIbLb1EES19_IbLb0EEEEDaS15_S16_EUlS15_E_NS1_11comp_targetILNS1_3genE3ELNS1_11target_archE908ELNS1_3gpuE7ELNS1_3repE0EEENS1_30default_config_static_selectorELNS0_4arch9wavefront6targetE0EEEvT1_,@function
_ZN7rocprim17ROCPRIM_400000_NS6detail17trampoline_kernelINS0_14default_configENS1_25partition_config_selectorILNS1_17partition_subalgoE9EllbEEZZNS1_14partition_implILS5_9ELb0ES3_jPlS8_PNS0_10empty_typeENS0_5tupleIJS8_S9_EEENSB_IJS8_SA_EEENS0_18inequality_wrapperIZN2at6native12_GLOBAL__N_124unique_dim_cuda_templateIlEESt5tupleIJNSF_6TensorESK_SK_EERKSK_lbbbEUlllE0_EEPmJS9_EEE10hipError_tPvRmT3_T4_T5_T6_T7_T9_mT8_P12ihipStream_tbDpT10_ENKUlT_T0_E_clISt17integral_constantIbLb1EES19_IbLb0EEEEDaS15_S16_EUlS15_E_NS1_11comp_targetILNS1_3genE3ELNS1_11target_archE908ELNS1_3gpuE7ELNS1_3repE0EEENS1_30default_config_static_selectorELNS0_4arch9wavefront6targetE0EEEvT1_: ; @_ZN7rocprim17ROCPRIM_400000_NS6detail17trampoline_kernelINS0_14default_configENS1_25partition_config_selectorILNS1_17partition_subalgoE9EllbEEZZNS1_14partition_implILS5_9ELb0ES3_jPlS8_PNS0_10empty_typeENS0_5tupleIJS8_S9_EEENSB_IJS8_SA_EEENS0_18inequality_wrapperIZN2at6native12_GLOBAL__N_124unique_dim_cuda_templateIlEESt5tupleIJNSF_6TensorESK_SK_EERKSK_lbbbEUlllE0_EEPmJS9_EEE10hipError_tPvRmT3_T4_T5_T6_T7_T9_mT8_P12ihipStream_tbDpT10_ENKUlT_T0_E_clISt17integral_constantIbLb1EES19_IbLb0EEEEDaS15_S16_EUlS15_E_NS1_11comp_targetILNS1_3genE3ELNS1_11target_archE908ELNS1_3gpuE7ELNS1_3repE0EEENS1_30default_config_static_selectorELNS0_4arch9wavefront6targetE0EEEvT1_
; %bb.0:
	.section	.rodata,"a",@progbits
	.p2align	6, 0x0
	.amdhsa_kernel _ZN7rocprim17ROCPRIM_400000_NS6detail17trampoline_kernelINS0_14default_configENS1_25partition_config_selectorILNS1_17partition_subalgoE9EllbEEZZNS1_14partition_implILS5_9ELb0ES3_jPlS8_PNS0_10empty_typeENS0_5tupleIJS8_S9_EEENSB_IJS8_SA_EEENS0_18inequality_wrapperIZN2at6native12_GLOBAL__N_124unique_dim_cuda_templateIlEESt5tupleIJNSF_6TensorESK_SK_EERKSK_lbbbEUlllE0_EEPmJS9_EEE10hipError_tPvRmT3_T4_T5_T6_T7_T9_mT8_P12ihipStream_tbDpT10_ENKUlT_T0_E_clISt17integral_constantIbLb1EES19_IbLb0EEEEDaS15_S16_EUlS15_E_NS1_11comp_targetILNS1_3genE3ELNS1_11target_archE908ELNS1_3gpuE7ELNS1_3repE0EEENS1_30default_config_static_selectorELNS0_4arch9wavefront6targetE0EEEvT1_
		.amdhsa_group_segment_fixed_size 0
		.amdhsa_private_segment_fixed_size 0
		.amdhsa_kernarg_size 120
		.amdhsa_user_sgpr_count 15
		.amdhsa_user_sgpr_dispatch_ptr 0
		.amdhsa_user_sgpr_queue_ptr 0
		.amdhsa_user_sgpr_kernarg_segment_ptr 1
		.amdhsa_user_sgpr_dispatch_id 0
		.amdhsa_user_sgpr_private_segment_size 0
		.amdhsa_wavefront_size32 1
		.amdhsa_uses_dynamic_stack 0
		.amdhsa_enable_private_segment 0
		.amdhsa_system_sgpr_workgroup_id_x 1
		.amdhsa_system_sgpr_workgroup_id_y 0
		.amdhsa_system_sgpr_workgroup_id_z 0
		.amdhsa_system_sgpr_workgroup_info 0
		.amdhsa_system_vgpr_workitem_id 0
		.amdhsa_next_free_vgpr 1
		.amdhsa_next_free_sgpr 1
		.amdhsa_reserve_vcc 0
		.amdhsa_float_round_mode_32 0
		.amdhsa_float_round_mode_16_64 0
		.amdhsa_float_denorm_mode_32 3
		.amdhsa_float_denorm_mode_16_64 3
		.amdhsa_dx10_clamp 1
		.amdhsa_ieee_mode 1
		.amdhsa_fp16_overflow 0
		.amdhsa_workgroup_processor_mode 1
		.amdhsa_memory_ordered 1
		.amdhsa_forward_progress 0
		.amdhsa_shared_vgpr_count 0
		.amdhsa_exception_fp_ieee_invalid_op 0
		.amdhsa_exception_fp_denorm_src 0
		.amdhsa_exception_fp_ieee_div_zero 0
		.amdhsa_exception_fp_ieee_overflow 0
		.amdhsa_exception_fp_ieee_underflow 0
		.amdhsa_exception_fp_ieee_inexact 0
		.amdhsa_exception_int_div_zero 0
	.end_amdhsa_kernel
	.section	.text._ZN7rocprim17ROCPRIM_400000_NS6detail17trampoline_kernelINS0_14default_configENS1_25partition_config_selectorILNS1_17partition_subalgoE9EllbEEZZNS1_14partition_implILS5_9ELb0ES3_jPlS8_PNS0_10empty_typeENS0_5tupleIJS8_S9_EEENSB_IJS8_SA_EEENS0_18inequality_wrapperIZN2at6native12_GLOBAL__N_124unique_dim_cuda_templateIlEESt5tupleIJNSF_6TensorESK_SK_EERKSK_lbbbEUlllE0_EEPmJS9_EEE10hipError_tPvRmT3_T4_T5_T6_T7_T9_mT8_P12ihipStream_tbDpT10_ENKUlT_T0_E_clISt17integral_constantIbLb1EES19_IbLb0EEEEDaS15_S16_EUlS15_E_NS1_11comp_targetILNS1_3genE3ELNS1_11target_archE908ELNS1_3gpuE7ELNS1_3repE0EEENS1_30default_config_static_selectorELNS0_4arch9wavefront6targetE0EEEvT1_,"axG",@progbits,_ZN7rocprim17ROCPRIM_400000_NS6detail17trampoline_kernelINS0_14default_configENS1_25partition_config_selectorILNS1_17partition_subalgoE9EllbEEZZNS1_14partition_implILS5_9ELb0ES3_jPlS8_PNS0_10empty_typeENS0_5tupleIJS8_S9_EEENSB_IJS8_SA_EEENS0_18inequality_wrapperIZN2at6native12_GLOBAL__N_124unique_dim_cuda_templateIlEESt5tupleIJNSF_6TensorESK_SK_EERKSK_lbbbEUlllE0_EEPmJS9_EEE10hipError_tPvRmT3_T4_T5_T6_T7_T9_mT8_P12ihipStream_tbDpT10_ENKUlT_T0_E_clISt17integral_constantIbLb1EES19_IbLb0EEEEDaS15_S16_EUlS15_E_NS1_11comp_targetILNS1_3genE3ELNS1_11target_archE908ELNS1_3gpuE7ELNS1_3repE0EEENS1_30default_config_static_selectorELNS0_4arch9wavefront6targetE0EEEvT1_,comdat
.Lfunc_end614:
	.size	_ZN7rocprim17ROCPRIM_400000_NS6detail17trampoline_kernelINS0_14default_configENS1_25partition_config_selectorILNS1_17partition_subalgoE9EllbEEZZNS1_14partition_implILS5_9ELb0ES3_jPlS8_PNS0_10empty_typeENS0_5tupleIJS8_S9_EEENSB_IJS8_SA_EEENS0_18inequality_wrapperIZN2at6native12_GLOBAL__N_124unique_dim_cuda_templateIlEESt5tupleIJNSF_6TensorESK_SK_EERKSK_lbbbEUlllE0_EEPmJS9_EEE10hipError_tPvRmT3_T4_T5_T6_T7_T9_mT8_P12ihipStream_tbDpT10_ENKUlT_T0_E_clISt17integral_constantIbLb1EES19_IbLb0EEEEDaS15_S16_EUlS15_E_NS1_11comp_targetILNS1_3genE3ELNS1_11target_archE908ELNS1_3gpuE7ELNS1_3repE0EEENS1_30default_config_static_selectorELNS0_4arch9wavefront6targetE0EEEvT1_, .Lfunc_end614-_ZN7rocprim17ROCPRIM_400000_NS6detail17trampoline_kernelINS0_14default_configENS1_25partition_config_selectorILNS1_17partition_subalgoE9EllbEEZZNS1_14partition_implILS5_9ELb0ES3_jPlS8_PNS0_10empty_typeENS0_5tupleIJS8_S9_EEENSB_IJS8_SA_EEENS0_18inequality_wrapperIZN2at6native12_GLOBAL__N_124unique_dim_cuda_templateIlEESt5tupleIJNSF_6TensorESK_SK_EERKSK_lbbbEUlllE0_EEPmJS9_EEE10hipError_tPvRmT3_T4_T5_T6_T7_T9_mT8_P12ihipStream_tbDpT10_ENKUlT_T0_E_clISt17integral_constantIbLb1EES19_IbLb0EEEEDaS15_S16_EUlS15_E_NS1_11comp_targetILNS1_3genE3ELNS1_11target_archE908ELNS1_3gpuE7ELNS1_3repE0EEENS1_30default_config_static_selectorELNS0_4arch9wavefront6targetE0EEEvT1_
                                        ; -- End function
	.section	.AMDGPU.csdata,"",@progbits
; Kernel info:
; codeLenInByte = 0
; NumSgprs: 0
; NumVgprs: 0
; ScratchSize: 0
; MemoryBound: 0
; FloatMode: 240
; IeeeMode: 1
; LDSByteSize: 0 bytes/workgroup (compile time only)
; SGPRBlocks: 0
; VGPRBlocks: 0
; NumSGPRsForWavesPerEU: 1
; NumVGPRsForWavesPerEU: 1
; Occupancy: 16
; WaveLimiterHint : 0
; COMPUTE_PGM_RSRC2:SCRATCH_EN: 0
; COMPUTE_PGM_RSRC2:USER_SGPR: 15
; COMPUTE_PGM_RSRC2:TRAP_HANDLER: 0
; COMPUTE_PGM_RSRC2:TGID_X_EN: 1
; COMPUTE_PGM_RSRC2:TGID_Y_EN: 0
; COMPUTE_PGM_RSRC2:TGID_Z_EN: 0
; COMPUTE_PGM_RSRC2:TIDIG_COMP_CNT: 0
	.section	.text._ZN7rocprim17ROCPRIM_400000_NS6detail17trampoline_kernelINS0_14default_configENS1_25partition_config_selectorILNS1_17partition_subalgoE9EllbEEZZNS1_14partition_implILS5_9ELb0ES3_jPlS8_PNS0_10empty_typeENS0_5tupleIJS8_S9_EEENSB_IJS8_SA_EEENS0_18inequality_wrapperIZN2at6native12_GLOBAL__N_124unique_dim_cuda_templateIlEESt5tupleIJNSF_6TensorESK_SK_EERKSK_lbbbEUlllE0_EEPmJS9_EEE10hipError_tPvRmT3_T4_T5_T6_T7_T9_mT8_P12ihipStream_tbDpT10_ENKUlT_T0_E_clISt17integral_constantIbLb1EES19_IbLb0EEEEDaS15_S16_EUlS15_E_NS1_11comp_targetILNS1_3genE2ELNS1_11target_archE906ELNS1_3gpuE6ELNS1_3repE0EEENS1_30default_config_static_selectorELNS0_4arch9wavefront6targetE0EEEvT1_,"axG",@progbits,_ZN7rocprim17ROCPRIM_400000_NS6detail17trampoline_kernelINS0_14default_configENS1_25partition_config_selectorILNS1_17partition_subalgoE9EllbEEZZNS1_14partition_implILS5_9ELb0ES3_jPlS8_PNS0_10empty_typeENS0_5tupleIJS8_S9_EEENSB_IJS8_SA_EEENS0_18inequality_wrapperIZN2at6native12_GLOBAL__N_124unique_dim_cuda_templateIlEESt5tupleIJNSF_6TensorESK_SK_EERKSK_lbbbEUlllE0_EEPmJS9_EEE10hipError_tPvRmT3_T4_T5_T6_T7_T9_mT8_P12ihipStream_tbDpT10_ENKUlT_T0_E_clISt17integral_constantIbLb1EES19_IbLb0EEEEDaS15_S16_EUlS15_E_NS1_11comp_targetILNS1_3genE2ELNS1_11target_archE906ELNS1_3gpuE6ELNS1_3repE0EEENS1_30default_config_static_selectorELNS0_4arch9wavefront6targetE0EEEvT1_,comdat
	.globl	_ZN7rocprim17ROCPRIM_400000_NS6detail17trampoline_kernelINS0_14default_configENS1_25partition_config_selectorILNS1_17partition_subalgoE9EllbEEZZNS1_14partition_implILS5_9ELb0ES3_jPlS8_PNS0_10empty_typeENS0_5tupleIJS8_S9_EEENSB_IJS8_SA_EEENS0_18inequality_wrapperIZN2at6native12_GLOBAL__N_124unique_dim_cuda_templateIlEESt5tupleIJNSF_6TensorESK_SK_EERKSK_lbbbEUlllE0_EEPmJS9_EEE10hipError_tPvRmT3_T4_T5_T6_T7_T9_mT8_P12ihipStream_tbDpT10_ENKUlT_T0_E_clISt17integral_constantIbLb1EES19_IbLb0EEEEDaS15_S16_EUlS15_E_NS1_11comp_targetILNS1_3genE2ELNS1_11target_archE906ELNS1_3gpuE6ELNS1_3repE0EEENS1_30default_config_static_selectorELNS0_4arch9wavefront6targetE0EEEvT1_ ; -- Begin function _ZN7rocprim17ROCPRIM_400000_NS6detail17trampoline_kernelINS0_14default_configENS1_25partition_config_selectorILNS1_17partition_subalgoE9EllbEEZZNS1_14partition_implILS5_9ELb0ES3_jPlS8_PNS0_10empty_typeENS0_5tupleIJS8_S9_EEENSB_IJS8_SA_EEENS0_18inequality_wrapperIZN2at6native12_GLOBAL__N_124unique_dim_cuda_templateIlEESt5tupleIJNSF_6TensorESK_SK_EERKSK_lbbbEUlllE0_EEPmJS9_EEE10hipError_tPvRmT3_T4_T5_T6_T7_T9_mT8_P12ihipStream_tbDpT10_ENKUlT_T0_E_clISt17integral_constantIbLb1EES19_IbLb0EEEEDaS15_S16_EUlS15_E_NS1_11comp_targetILNS1_3genE2ELNS1_11target_archE906ELNS1_3gpuE6ELNS1_3repE0EEENS1_30default_config_static_selectorELNS0_4arch9wavefront6targetE0EEEvT1_
	.p2align	8
	.type	_ZN7rocprim17ROCPRIM_400000_NS6detail17trampoline_kernelINS0_14default_configENS1_25partition_config_selectorILNS1_17partition_subalgoE9EllbEEZZNS1_14partition_implILS5_9ELb0ES3_jPlS8_PNS0_10empty_typeENS0_5tupleIJS8_S9_EEENSB_IJS8_SA_EEENS0_18inequality_wrapperIZN2at6native12_GLOBAL__N_124unique_dim_cuda_templateIlEESt5tupleIJNSF_6TensorESK_SK_EERKSK_lbbbEUlllE0_EEPmJS9_EEE10hipError_tPvRmT3_T4_T5_T6_T7_T9_mT8_P12ihipStream_tbDpT10_ENKUlT_T0_E_clISt17integral_constantIbLb1EES19_IbLb0EEEEDaS15_S16_EUlS15_E_NS1_11comp_targetILNS1_3genE2ELNS1_11target_archE906ELNS1_3gpuE6ELNS1_3repE0EEENS1_30default_config_static_selectorELNS0_4arch9wavefront6targetE0EEEvT1_,@function
_ZN7rocprim17ROCPRIM_400000_NS6detail17trampoline_kernelINS0_14default_configENS1_25partition_config_selectorILNS1_17partition_subalgoE9EllbEEZZNS1_14partition_implILS5_9ELb0ES3_jPlS8_PNS0_10empty_typeENS0_5tupleIJS8_S9_EEENSB_IJS8_SA_EEENS0_18inequality_wrapperIZN2at6native12_GLOBAL__N_124unique_dim_cuda_templateIlEESt5tupleIJNSF_6TensorESK_SK_EERKSK_lbbbEUlllE0_EEPmJS9_EEE10hipError_tPvRmT3_T4_T5_T6_T7_T9_mT8_P12ihipStream_tbDpT10_ENKUlT_T0_E_clISt17integral_constantIbLb1EES19_IbLb0EEEEDaS15_S16_EUlS15_E_NS1_11comp_targetILNS1_3genE2ELNS1_11target_archE906ELNS1_3gpuE6ELNS1_3repE0EEENS1_30default_config_static_selectorELNS0_4arch9wavefront6targetE0EEEvT1_: ; @_ZN7rocprim17ROCPRIM_400000_NS6detail17trampoline_kernelINS0_14default_configENS1_25partition_config_selectorILNS1_17partition_subalgoE9EllbEEZZNS1_14partition_implILS5_9ELb0ES3_jPlS8_PNS0_10empty_typeENS0_5tupleIJS8_S9_EEENSB_IJS8_SA_EEENS0_18inequality_wrapperIZN2at6native12_GLOBAL__N_124unique_dim_cuda_templateIlEESt5tupleIJNSF_6TensorESK_SK_EERKSK_lbbbEUlllE0_EEPmJS9_EEE10hipError_tPvRmT3_T4_T5_T6_T7_T9_mT8_P12ihipStream_tbDpT10_ENKUlT_T0_E_clISt17integral_constantIbLb1EES19_IbLb0EEEEDaS15_S16_EUlS15_E_NS1_11comp_targetILNS1_3genE2ELNS1_11target_archE906ELNS1_3gpuE6ELNS1_3repE0EEENS1_30default_config_static_selectorELNS0_4arch9wavefront6targetE0EEEvT1_
; %bb.0:
	.section	.rodata,"a",@progbits
	.p2align	6, 0x0
	.amdhsa_kernel _ZN7rocprim17ROCPRIM_400000_NS6detail17trampoline_kernelINS0_14default_configENS1_25partition_config_selectorILNS1_17partition_subalgoE9EllbEEZZNS1_14partition_implILS5_9ELb0ES3_jPlS8_PNS0_10empty_typeENS0_5tupleIJS8_S9_EEENSB_IJS8_SA_EEENS0_18inequality_wrapperIZN2at6native12_GLOBAL__N_124unique_dim_cuda_templateIlEESt5tupleIJNSF_6TensorESK_SK_EERKSK_lbbbEUlllE0_EEPmJS9_EEE10hipError_tPvRmT3_T4_T5_T6_T7_T9_mT8_P12ihipStream_tbDpT10_ENKUlT_T0_E_clISt17integral_constantIbLb1EES19_IbLb0EEEEDaS15_S16_EUlS15_E_NS1_11comp_targetILNS1_3genE2ELNS1_11target_archE906ELNS1_3gpuE6ELNS1_3repE0EEENS1_30default_config_static_selectorELNS0_4arch9wavefront6targetE0EEEvT1_
		.amdhsa_group_segment_fixed_size 0
		.amdhsa_private_segment_fixed_size 0
		.amdhsa_kernarg_size 120
		.amdhsa_user_sgpr_count 15
		.amdhsa_user_sgpr_dispatch_ptr 0
		.amdhsa_user_sgpr_queue_ptr 0
		.amdhsa_user_sgpr_kernarg_segment_ptr 1
		.amdhsa_user_sgpr_dispatch_id 0
		.amdhsa_user_sgpr_private_segment_size 0
		.amdhsa_wavefront_size32 1
		.amdhsa_uses_dynamic_stack 0
		.amdhsa_enable_private_segment 0
		.amdhsa_system_sgpr_workgroup_id_x 1
		.amdhsa_system_sgpr_workgroup_id_y 0
		.amdhsa_system_sgpr_workgroup_id_z 0
		.amdhsa_system_sgpr_workgroup_info 0
		.amdhsa_system_vgpr_workitem_id 0
		.amdhsa_next_free_vgpr 1
		.amdhsa_next_free_sgpr 1
		.amdhsa_reserve_vcc 0
		.amdhsa_float_round_mode_32 0
		.amdhsa_float_round_mode_16_64 0
		.amdhsa_float_denorm_mode_32 3
		.amdhsa_float_denorm_mode_16_64 3
		.amdhsa_dx10_clamp 1
		.amdhsa_ieee_mode 1
		.amdhsa_fp16_overflow 0
		.amdhsa_workgroup_processor_mode 1
		.amdhsa_memory_ordered 1
		.amdhsa_forward_progress 0
		.amdhsa_shared_vgpr_count 0
		.amdhsa_exception_fp_ieee_invalid_op 0
		.amdhsa_exception_fp_denorm_src 0
		.amdhsa_exception_fp_ieee_div_zero 0
		.amdhsa_exception_fp_ieee_overflow 0
		.amdhsa_exception_fp_ieee_underflow 0
		.amdhsa_exception_fp_ieee_inexact 0
		.amdhsa_exception_int_div_zero 0
	.end_amdhsa_kernel
	.section	.text._ZN7rocprim17ROCPRIM_400000_NS6detail17trampoline_kernelINS0_14default_configENS1_25partition_config_selectorILNS1_17partition_subalgoE9EllbEEZZNS1_14partition_implILS5_9ELb0ES3_jPlS8_PNS0_10empty_typeENS0_5tupleIJS8_S9_EEENSB_IJS8_SA_EEENS0_18inequality_wrapperIZN2at6native12_GLOBAL__N_124unique_dim_cuda_templateIlEESt5tupleIJNSF_6TensorESK_SK_EERKSK_lbbbEUlllE0_EEPmJS9_EEE10hipError_tPvRmT3_T4_T5_T6_T7_T9_mT8_P12ihipStream_tbDpT10_ENKUlT_T0_E_clISt17integral_constantIbLb1EES19_IbLb0EEEEDaS15_S16_EUlS15_E_NS1_11comp_targetILNS1_3genE2ELNS1_11target_archE906ELNS1_3gpuE6ELNS1_3repE0EEENS1_30default_config_static_selectorELNS0_4arch9wavefront6targetE0EEEvT1_,"axG",@progbits,_ZN7rocprim17ROCPRIM_400000_NS6detail17trampoline_kernelINS0_14default_configENS1_25partition_config_selectorILNS1_17partition_subalgoE9EllbEEZZNS1_14partition_implILS5_9ELb0ES3_jPlS8_PNS0_10empty_typeENS0_5tupleIJS8_S9_EEENSB_IJS8_SA_EEENS0_18inequality_wrapperIZN2at6native12_GLOBAL__N_124unique_dim_cuda_templateIlEESt5tupleIJNSF_6TensorESK_SK_EERKSK_lbbbEUlllE0_EEPmJS9_EEE10hipError_tPvRmT3_T4_T5_T6_T7_T9_mT8_P12ihipStream_tbDpT10_ENKUlT_T0_E_clISt17integral_constantIbLb1EES19_IbLb0EEEEDaS15_S16_EUlS15_E_NS1_11comp_targetILNS1_3genE2ELNS1_11target_archE906ELNS1_3gpuE6ELNS1_3repE0EEENS1_30default_config_static_selectorELNS0_4arch9wavefront6targetE0EEEvT1_,comdat
.Lfunc_end615:
	.size	_ZN7rocprim17ROCPRIM_400000_NS6detail17trampoline_kernelINS0_14default_configENS1_25partition_config_selectorILNS1_17partition_subalgoE9EllbEEZZNS1_14partition_implILS5_9ELb0ES3_jPlS8_PNS0_10empty_typeENS0_5tupleIJS8_S9_EEENSB_IJS8_SA_EEENS0_18inequality_wrapperIZN2at6native12_GLOBAL__N_124unique_dim_cuda_templateIlEESt5tupleIJNSF_6TensorESK_SK_EERKSK_lbbbEUlllE0_EEPmJS9_EEE10hipError_tPvRmT3_T4_T5_T6_T7_T9_mT8_P12ihipStream_tbDpT10_ENKUlT_T0_E_clISt17integral_constantIbLb1EES19_IbLb0EEEEDaS15_S16_EUlS15_E_NS1_11comp_targetILNS1_3genE2ELNS1_11target_archE906ELNS1_3gpuE6ELNS1_3repE0EEENS1_30default_config_static_selectorELNS0_4arch9wavefront6targetE0EEEvT1_, .Lfunc_end615-_ZN7rocprim17ROCPRIM_400000_NS6detail17trampoline_kernelINS0_14default_configENS1_25partition_config_selectorILNS1_17partition_subalgoE9EllbEEZZNS1_14partition_implILS5_9ELb0ES3_jPlS8_PNS0_10empty_typeENS0_5tupleIJS8_S9_EEENSB_IJS8_SA_EEENS0_18inequality_wrapperIZN2at6native12_GLOBAL__N_124unique_dim_cuda_templateIlEESt5tupleIJNSF_6TensorESK_SK_EERKSK_lbbbEUlllE0_EEPmJS9_EEE10hipError_tPvRmT3_T4_T5_T6_T7_T9_mT8_P12ihipStream_tbDpT10_ENKUlT_T0_E_clISt17integral_constantIbLb1EES19_IbLb0EEEEDaS15_S16_EUlS15_E_NS1_11comp_targetILNS1_3genE2ELNS1_11target_archE906ELNS1_3gpuE6ELNS1_3repE0EEENS1_30default_config_static_selectorELNS0_4arch9wavefront6targetE0EEEvT1_
                                        ; -- End function
	.section	.AMDGPU.csdata,"",@progbits
; Kernel info:
; codeLenInByte = 0
; NumSgprs: 0
; NumVgprs: 0
; ScratchSize: 0
; MemoryBound: 0
; FloatMode: 240
; IeeeMode: 1
; LDSByteSize: 0 bytes/workgroup (compile time only)
; SGPRBlocks: 0
; VGPRBlocks: 0
; NumSGPRsForWavesPerEU: 1
; NumVGPRsForWavesPerEU: 1
; Occupancy: 15
; WaveLimiterHint : 0
; COMPUTE_PGM_RSRC2:SCRATCH_EN: 0
; COMPUTE_PGM_RSRC2:USER_SGPR: 15
; COMPUTE_PGM_RSRC2:TRAP_HANDLER: 0
; COMPUTE_PGM_RSRC2:TGID_X_EN: 1
; COMPUTE_PGM_RSRC2:TGID_Y_EN: 0
; COMPUTE_PGM_RSRC2:TGID_Z_EN: 0
; COMPUTE_PGM_RSRC2:TIDIG_COMP_CNT: 0
	.section	.text._ZN7rocprim17ROCPRIM_400000_NS6detail17trampoline_kernelINS0_14default_configENS1_25partition_config_selectorILNS1_17partition_subalgoE9EllbEEZZNS1_14partition_implILS5_9ELb0ES3_jPlS8_PNS0_10empty_typeENS0_5tupleIJS8_S9_EEENSB_IJS8_SA_EEENS0_18inequality_wrapperIZN2at6native12_GLOBAL__N_124unique_dim_cuda_templateIlEESt5tupleIJNSF_6TensorESK_SK_EERKSK_lbbbEUlllE0_EEPmJS9_EEE10hipError_tPvRmT3_T4_T5_T6_T7_T9_mT8_P12ihipStream_tbDpT10_ENKUlT_T0_E_clISt17integral_constantIbLb1EES19_IbLb0EEEEDaS15_S16_EUlS15_E_NS1_11comp_targetILNS1_3genE10ELNS1_11target_archE1200ELNS1_3gpuE4ELNS1_3repE0EEENS1_30default_config_static_selectorELNS0_4arch9wavefront6targetE0EEEvT1_,"axG",@progbits,_ZN7rocprim17ROCPRIM_400000_NS6detail17trampoline_kernelINS0_14default_configENS1_25partition_config_selectorILNS1_17partition_subalgoE9EllbEEZZNS1_14partition_implILS5_9ELb0ES3_jPlS8_PNS0_10empty_typeENS0_5tupleIJS8_S9_EEENSB_IJS8_SA_EEENS0_18inequality_wrapperIZN2at6native12_GLOBAL__N_124unique_dim_cuda_templateIlEESt5tupleIJNSF_6TensorESK_SK_EERKSK_lbbbEUlllE0_EEPmJS9_EEE10hipError_tPvRmT3_T4_T5_T6_T7_T9_mT8_P12ihipStream_tbDpT10_ENKUlT_T0_E_clISt17integral_constantIbLb1EES19_IbLb0EEEEDaS15_S16_EUlS15_E_NS1_11comp_targetILNS1_3genE10ELNS1_11target_archE1200ELNS1_3gpuE4ELNS1_3repE0EEENS1_30default_config_static_selectorELNS0_4arch9wavefront6targetE0EEEvT1_,comdat
	.globl	_ZN7rocprim17ROCPRIM_400000_NS6detail17trampoline_kernelINS0_14default_configENS1_25partition_config_selectorILNS1_17partition_subalgoE9EllbEEZZNS1_14partition_implILS5_9ELb0ES3_jPlS8_PNS0_10empty_typeENS0_5tupleIJS8_S9_EEENSB_IJS8_SA_EEENS0_18inequality_wrapperIZN2at6native12_GLOBAL__N_124unique_dim_cuda_templateIlEESt5tupleIJNSF_6TensorESK_SK_EERKSK_lbbbEUlllE0_EEPmJS9_EEE10hipError_tPvRmT3_T4_T5_T6_T7_T9_mT8_P12ihipStream_tbDpT10_ENKUlT_T0_E_clISt17integral_constantIbLb1EES19_IbLb0EEEEDaS15_S16_EUlS15_E_NS1_11comp_targetILNS1_3genE10ELNS1_11target_archE1200ELNS1_3gpuE4ELNS1_3repE0EEENS1_30default_config_static_selectorELNS0_4arch9wavefront6targetE0EEEvT1_ ; -- Begin function _ZN7rocprim17ROCPRIM_400000_NS6detail17trampoline_kernelINS0_14default_configENS1_25partition_config_selectorILNS1_17partition_subalgoE9EllbEEZZNS1_14partition_implILS5_9ELb0ES3_jPlS8_PNS0_10empty_typeENS0_5tupleIJS8_S9_EEENSB_IJS8_SA_EEENS0_18inequality_wrapperIZN2at6native12_GLOBAL__N_124unique_dim_cuda_templateIlEESt5tupleIJNSF_6TensorESK_SK_EERKSK_lbbbEUlllE0_EEPmJS9_EEE10hipError_tPvRmT3_T4_T5_T6_T7_T9_mT8_P12ihipStream_tbDpT10_ENKUlT_T0_E_clISt17integral_constantIbLb1EES19_IbLb0EEEEDaS15_S16_EUlS15_E_NS1_11comp_targetILNS1_3genE10ELNS1_11target_archE1200ELNS1_3gpuE4ELNS1_3repE0EEENS1_30default_config_static_selectorELNS0_4arch9wavefront6targetE0EEEvT1_
	.p2align	8
	.type	_ZN7rocprim17ROCPRIM_400000_NS6detail17trampoline_kernelINS0_14default_configENS1_25partition_config_selectorILNS1_17partition_subalgoE9EllbEEZZNS1_14partition_implILS5_9ELb0ES3_jPlS8_PNS0_10empty_typeENS0_5tupleIJS8_S9_EEENSB_IJS8_SA_EEENS0_18inequality_wrapperIZN2at6native12_GLOBAL__N_124unique_dim_cuda_templateIlEESt5tupleIJNSF_6TensorESK_SK_EERKSK_lbbbEUlllE0_EEPmJS9_EEE10hipError_tPvRmT3_T4_T5_T6_T7_T9_mT8_P12ihipStream_tbDpT10_ENKUlT_T0_E_clISt17integral_constantIbLb1EES19_IbLb0EEEEDaS15_S16_EUlS15_E_NS1_11comp_targetILNS1_3genE10ELNS1_11target_archE1200ELNS1_3gpuE4ELNS1_3repE0EEENS1_30default_config_static_selectorELNS0_4arch9wavefront6targetE0EEEvT1_,@function
_ZN7rocprim17ROCPRIM_400000_NS6detail17trampoline_kernelINS0_14default_configENS1_25partition_config_selectorILNS1_17partition_subalgoE9EllbEEZZNS1_14partition_implILS5_9ELb0ES3_jPlS8_PNS0_10empty_typeENS0_5tupleIJS8_S9_EEENSB_IJS8_SA_EEENS0_18inequality_wrapperIZN2at6native12_GLOBAL__N_124unique_dim_cuda_templateIlEESt5tupleIJNSF_6TensorESK_SK_EERKSK_lbbbEUlllE0_EEPmJS9_EEE10hipError_tPvRmT3_T4_T5_T6_T7_T9_mT8_P12ihipStream_tbDpT10_ENKUlT_T0_E_clISt17integral_constantIbLb1EES19_IbLb0EEEEDaS15_S16_EUlS15_E_NS1_11comp_targetILNS1_3genE10ELNS1_11target_archE1200ELNS1_3gpuE4ELNS1_3repE0EEENS1_30default_config_static_selectorELNS0_4arch9wavefront6targetE0EEEvT1_: ; @_ZN7rocprim17ROCPRIM_400000_NS6detail17trampoline_kernelINS0_14default_configENS1_25partition_config_selectorILNS1_17partition_subalgoE9EllbEEZZNS1_14partition_implILS5_9ELb0ES3_jPlS8_PNS0_10empty_typeENS0_5tupleIJS8_S9_EEENSB_IJS8_SA_EEENS0_18inequality_wrapperIZN2at6native12_GLOBAL__N_124unique_dim_cuda_templateIlEESt5tupleIJNSF_6TensorESK_SK_EERKSK_lbbbEUlllE0_EEPmJS9_EEE10hipError_tPvRmT3_T4_T5_T6_T7_T9_mT8_P12ihipStream_tbDpT10_ENKUlT_T0_E_clISt17integral_constantIbLb1EES19_IbLb0EEEEDaS15_S16_EUlS15_E_NS1_11comp_targetILNS1_3genE10ELNS1_11target_archE1200ELNS1_3gpuE4ELNS1_3repE0EEENS1_30default_config_static_selectorELNS0_4arch9wavefront6targetE0EEEvT1_
; %bb.0:
	.section	.rodata,"a",@progbits
	.p2align	6, 0x0
	.amdhsa_kernel _ZN7rocprim17ROCPRIM_400000_NS6detail17trampoline_kernelINS0_14default_configENS1_25partition_config_selectorILNS1_17partition_subalgoE9EllbEEZZNS1_14partition_implILS5_9ELb0ES3_jPlS8_PNS0_10empty_typeENS0_5tupleIJS8_S9_EEENSB_IJS8_SA_EEENS0_18inequality_wrapperIZN2at6native12_GLOBAL__N_124unique_dim_cuda_templateIlEESt5tupleIJNSF_6TensorESK_SK_EERKSK_lbbbEUlllE0_EEPmJS9_EEE10hipError_tPvRmT3_T4_T5_T6_T7_T9_mT8_P12ihipStream_tbDpT10_ENKUlT_T0_E_clISt17integral_constantIbLb1EES19_IbLb0EEEEDaS15_S16_EUlS15_E_NS1_11comp_targetILNS1_3genE10ELNS1_11target_archE1200ELNS1_3gpuE4ELNS1_3repE0EEENS1_30default_config_static_selectorELNS0_4arch9wavefront6targetE0EEEvT1_
		.amdhsa_group_segment_fixed_size 0
		.amdhsa_private_segment_fixed_size 0
		.amdhsa_kernarg_size 120
		.amdhsa_user_sgpr_count 15
		.amdhsa_user_sgpr_dispatch_ptr 0
		.amdhsa_user_sgpr_queue_ptr 0
		.amdhsa_user_sgpr_kernarg_segment_ptr 1
		.amdhsa_user_sgpr_dispatch_id 0
		.amdhsa_user_sgpr_private_segment_size 0
		.amdhsa_wavefront_size32 1
		.amdhsa_uses_dynamic_stack 0
		.amdhsa_enable_private_segment 0
		.amdhsa_system_sgpr_workgroup_id_x 1
		.amdhsa_system_sgpr_workgroup_id_y 0
		.amdhsa_system_sgpr_workgroup_id_z 0
		.amdhsa_system_sgpr_workgroup_info 0
		.amdhsa_system_vgpr_workitem_id 0
		.amdhsa_next_free_vgpr 1
		.amdhsa_next_free_sgpr 1
		.amdhsa_reserve_vcc 0
		.amdhsa_float_round_mode_32 0
		.amdhsa_float_round_mode_16_64 0
		.amdhsa_float_denorm_mode_32 3
		.amdhsa_float_denorm_mode_16_64 3
		.amdhsa_dx10_clamp 1
		.amdhsa_ieee_mode 1
		.amdhsa_fp16_overflow 0
		.amdhsa_workgroup_processor_mode 1
		.amdhsa_memory_ordered 1
		.amdhsa_forward_progress 0
		.amdhsa_shared_vgpr_count 0
		.amdhsa_exception_fp_ieee_invalid_op 0
		.amdhsa_exception_fp_denorm_src 0
		.amdhsa_exception_fp_ieee_div_zero 0
		.amdhsa_exception_fp_ieee_overflow 0
		.amdhsa_exception_fp_ieee_underflow 0
		.amdhsa_exception_fp_ieee_inexact 0
		.amdhsa_exception_int_div_zero 0
	.end_amdhsa_kernel
	.section	.text._ZN7rocprim17ROCPRIM_400000_NS6detail17trampoline_kernelINS0_14default_configENS1_25partition_config_selectorILNS1_17partition_subalgoE9EllbEEZZNS1_14partition_implILS5_9ELb0ES3_jPlS8_PNS0_10empty_typeENS0_5tupleIJS8_S9_EEENSB_IJS8_SA_EEENS0_18inequality_wrapperIZN2at6native12_GLOBAL__N_124unique_dim_cuda_templateIlEESt5tupleIJNSF_6TensorESK_SK_EERKSK_lbbbEUlllE0_EEPmJS9_EEE10hipError_tPvRmT3_T4_T5_T6_T7_T9_mT8_P12ihipStream_tbDpT10_ENKUlT_T0_E_clISt17integral_constantIbLb1EES19_IbLb0EEEEDaS15_S16_EUlS15_E_NS1_11comp_targetILNS1_3genE10ELNS1_11target_archE1200ELNS1_3gpuE4ELNS1_3repE0EEENS1_30default_config_static_selectorELNS0_4arch9wavefront6targetE0EEEvT1_,"axG",@progbits,_ZN7rocprim17ROCPRIM_400000_NS6detail17trampoline_kernelINS0_14default_configENS1_25partition_config_selectorILNS1_17partition_subalgoE9EllbEEZZNS1_14partition_implILS5_9ELb0ES3_jPlS8_PNS0_10empty_typeENS0_5tupleIJS8_S9_EEENSB_IJS8_SA_EEENS0_18inequality_wrapperIZN2at6native12_GLOBAL__N_124unique_dim_cuda_templateIlEESt5tupleIJNSF_6TensorESK_SK_EERKSK_lbbbEUlllE0_EEPmJS9_EEE10hipError_tPvRmT3_T4_T5_T6_T7_T9_mT8_P12ihipStream_tbDpT10_ENKUlT_T0_E_clISt17integral_constantIbLb1EES19_IbLb0EEEEDaS15_S16_EUlS15_E_NS1_11comp_targetILNS1_3genE10ELNS1_11target_archE1200ELNS1_3gpuE4ELNS1_3repE0EEENS1_30default_config_static_selectorELNS0_4arch9wavefront6targetE0EEEvT1_,comdat
.Lfunc_end616:
	.size	_ZN7rocprim17ROCPRIM_400000_NS6detail17trampoline_kernelINS0_14default_configENS1_25partition_config_selectorILNS1_17partition_subalgoE9EllbEEZZNS1_14partition_implILS5_9ELb0ES3_jPlS8_PNS0_10empty_typeENS0_5tupleIJS8_S9_EEENSB_IJS8_SA_EEENS0_18inequality_wrapperIZN2at6native12_GLOBAL__N_124unique_dim_cuda_templateIlEESt5tupleIJNSF_6TensorESK_SK_EERKSK_lbbbEUlllE0_EEPmJS9_EEE10hipError_tPvRmT3_T4_T5_T6_T7_T9_mT8_P12ihipStream_tbDpT10_ENKUlT_T0_E_clISt17integral_constantIbLb1EES19_IbLb0EEEEDaS15_S16_EUlS15_E_NS1_11comp_targetILNS1_3genE10ELNS1_11target_archE1200ELNS1_3gpuE4ELNS1_3repE0EEENS1_30default_config_static_selectorELNS0_4arch9wavefront6targetE0EEEvT1_, .Lfunc_end616-_ZN7rocprim17ROCPRIM_400000_NS6detail17trampoline_kernelINS0_14default_configENS1_25partition_config_selectorILNS1_17partition_subalgoE9EllbEEZZNS1_14partition_implILS5_9ELb0ES3_jPlS8_PNS0_10empty_typeENS0_5tupleIJS8_S9_EEENSB_IJS8_SA_EEENS0_18inequality_wrapperIZN2at6native12_GLOBAL__N_124unique_dim_cuda_templateIlEESt5tupleIJNSF_6TensorESK_SK_EERKSK_lbbbEUlllE0_EEPmJS9_EEE10hipError_tPvRmT3_T4_T5_T6_T7_T9_mT8_P12ihipStream_tbDpT10_ENKUlT_T0_E_clISt17integral_constantIbLb1EES19_IbLb0EEEEDaS15_S16_EUlS15_E_NS1_11comp_targetILNS1_3genE10ELNS1_11target_archE1200ELNS1_3gpuE4ELNS1_3repE0EEENS1_30default_config_static_selectorELNS0_4arch9wavefront6targetE0EEEvT1_
                                        ; -- End function
	.section	.AMDGPU.csdata,"",@progbits
; Kernel info:
; codeLenInByte = 0
; NumSgprs: 0
; NumVgprs: 0
; ScratchSize: 0
; MemoryBound: 0
; FloatMode: 240
; IeeeMode: 1
; LDSByteSize: 0 bytes/workgroup (compile time only)
; SGPRBlocks: 0
; VGPRBlocks: 0
; NumSGPRsForWavesPerEU: 1
; NumVGPRsForWavesPerEU: 1
; Occupancy: 15
; WaveLimiterHint : 0
; COMPUTE_PGM_RSRC2:SCRATCH_EN: 0
; COMPUTE_PGM_RSRC2:USER_SGPR: 15
; COMPUTE_PGM_RSRC2:TRAP_HANDLER: 0
; COMPUTE_PGM_RSRC2:TGID_X_EN: 1
; COMPUTE_PGM_RSRC2:TGID_Y_EN: 0
; COMPUTE_PGM_RSRC2:TGID_Z_EN: 0
; COMPUTE_PGM_RSRC2:TIDIG_COMP_CNT: 0
	.section	.text._ZN7rocprim17ROCPRIM_400000_NS6detail17trampoline_kernelINS0_14default_configENS1_25partition_config_selectorILNS1_17partition_subalgoE9EllbEEZZNS1_14partition_implILS5_9ELb0ES3_jPlS8_PNS0_10empty_typeENS0_5tupleIJS8_S9_EEENSB_IJS8_SA_EEENS0_18inequality_wrapperIZN2at6native12_GLOBAL__N_124unique_dim_cuda_templateIlEESt5tupleIJNSF_6TensorESK_SK_EERKSK_lbbbEUlllE0_EEPmJS9_EEE10hipError_tPvRmT3_T4_T5_T6_T7_T9_mT8_P12ihipStream_tbDpT10_ENKUlT_T0_E_clISt17integral_constantIbLb1EES19_IbLb0EEEEDaS15_S16_EUlS15_E_NS1_11comp_targetILNS1_3genE9ELNS1_11target_archE1100ELNS1_3gpuE3ELNS1_3repE0EEENS1_30default_config_static_selectorELNS0_4arch9wavefront6targetE0EEEvT1_,"axG",@progbits,_ZN7rocprim17ROCPRIM_400000_NS6detail17trampoline_kernelINS0_14default_configENS1_25partition_config_selectorILNS1_17partition_subalgoE9EllbEEZZNS1_14partition_implILS5_9ELb0ES3_jPlS8_PNS0_10empty_typeENS0_5tupleIJS8_S9_EEENSB_IJS8_SA_EEENS0_18inequality_wrapperIZN2at6native12_GLOBAL__N_124unique_dim_cuda_templateIlEESt5tupleIJNSF_6TensorESK_SK_EERKSK_lbbbEUlllE0_EEPmJS9_EEE10hipError_tPvRmT3_T4_T5_T6_T7_T9_mT8_P12ihipStream_tbDpT10_ENKUlT_T0_E_clISt17integral_constantIbLb1EES19_IbLb0EEEEDaS15_S16_EUlS15_E_NS1_11comp_targetILNS1_3genE9ELNS1_11target_archE1100ELNS1_3gpuE3ELNS1_3repE0EEENS1_30default_config_static_selectorELNS0_4arch9wavefront6targetE0EEEvT1_,comdat
	.globl	_ZN7rocprim17ROCPRIM_400000_NS6detail17trampoline_kernelINS0_14default_configENS1_25partition_config_selectorILNS1_17partition_subalgoE9EllbEEZZNS1_14partition_implILS5_9ELb0ES3_jPlS8_PNS0_10empty_typeENS0_5tupleIJS8_S9_EEENSB_IJS8_SA_EEENS0_18inequality_wrapperIZN2at6native12_GLOBAL__N_124unique_dim_cuda_templateIlEESt5tupleIJNSF_6TensorESK_SK_EERKSK_lbbbEUlllE0_EEPmJS9_EEE10hipError_tPvRmT3_T4_T5_T6_T7_T9_mT8_P12ihipStream_tbDpT10_ENKUlT_T0_E_clISt17integral_constantIbLb1EES19_IbLb0EEEEDaS15_S16_EUlS15_E_NS1_11comp_targetILNS1_3genE9ELNS1_11target_archE1100ELNS1_3gpuE3ELNS1_3repE0EEENS1_30default_config_static_selectorELNS0_4arch9wavefront6targetE0EEEvT1_ ; -- Begin function _ZN7rocprim17ROCPRIM_400000_NS6detail17trampoline_kernelINS0_14default_configENS1_25partition_config_selectorILNS1_17partition_subalgoE9EllbEEZZNS1_14partition_implILS5_9ELb0ES3_jPlS8_PNS0_10empty_typeENS0_5tupleIJS8_S9_EEENSB_IJS8_SA_EEENS0_18inequality_wrapperIZN2at6native12_GLOBAL__N_124unique_dim_cuda_templateIlEESt5tupleIJNSF_6TensorESK_SK_EERKSK_lbbbEUlllE0_EEPmJS9_EEE10hipError_tPvRmT3_T4_T5_T6_T7_T9_mT8_P12ihipStream_tbDpT10_ENKUlT_T0_E_clISt17integral_constantIbLb1EES19_IbLb0EEEEDaS15_S16_EUlS15_E_NS1_11comp_targetILNS1_3genE9ELNS1_11target_archE1100ELNS1_3gpuE3ELNS1_3repE0EEENS1_30default_config_static_selectorELNS0_4arch9wavefront6targetE0EEEvT1_
	.p2align	8
	.type	_ZN7rocprim17ROCPRIM_400000_NS6detail17trampoline_kernelINS0_14default_configENS1_25partition_config_selectorILNS1_17partition_subalgoE9EllbEEZZNS1_14partition_implILS5_9ELb0ES3_jPlS8_PNS0_10empty_typeENS0_5tupleIJS8_S9_EEENSB_IJS8_SA_EEENS0_18inequality_wrapperIZN2at6native12_GLOBAL__N_124unique_dim_cuda_templateIlEESt5tupleIJNSF_6TensorESK_SK_EERKSK_lbbbEUlllE0_EEPmJS9_EEE10hipError_tPvRmT3_T4_T5_T6_T7_T9_mT8_P12ihipStream_tbDpT10_ENKUlT_T0_E_clISt17integral_constantIbLb1EES19_IbLb0EEEEDaS15_S16_EUlS15_E_NS1_11comp_targetILNS1_3genE9ELNS1_11target_archE1100ELNS1_3gpuE3ELNS1_3repE0EEENS1_30default_config_static_selectorELNS0_4arch9wavefront6targetE0EEEvT1_,@function
_ZN7rocprim17ROCPRIM_400000_NS6detail17trampoline_kernelINS0_14default_configENS1_25partition_config_selectorILNS1_17partition_subalgoE9EllbEEZZNS1_14partition_implILS5_9ELb0ES3_jPlS8_PNS0_10empty_typeENS0_5tupleIJS8_S9_EEENSB_IJS8_SA_EEENS0_18inequality_wrapperIZN2at6native12_GLOBAL__N_124unique_dim_cuda_templateIlEESt5tupleIJNSF_6TensorESK_SK_EERKSK_lbbbEUlllE0_EEPmJS9_EEE10hipError_tPvRmT3_T4_T5_T6_T7_T9_mT8_P12ihipStream_tbDpT10_ENKUlT_T0_E_clISt17integral_constantIbLb1EES19_IbLb0EEEEDaS15_S16_EUlS15_E_NS1_11comp_targetILNS1_3genE9ELNS1_11target_archE1100ELNS1_3gpuE3ELNS1_3repE0EEENS1_30default_config_static_selectorELNS0_4arch9wavefront6targetE0EEEvT1_: ; @_ZN7rocprim17ROCPRIM_400000_NS6detail17trampoline_kernelINS0_14default_configENS1_25partition_config_selectorILNS1_17partition_subalgoE9EllbEEZZNS1_14partition_implILS5_9ELb0ES3_jPlS8_PNS0_10empty_typeENS0_5tupleIJS8_S9_EEENSB_IJS8_SA_EEENS0_18inequality_wrapperIZN2at6native12_GLOBAL__N_124unique_dim_cuda_templateIlEESt5tupleIJNSF_6TensorESK_SK_EERKSK_lbbbEUlllE0_EEPmJS9_EEE10hipError_tPvRmT3_T4_T5_T6_T7_T9_mT8_P12ihipStream_tbDpT10_ENKUlT_T0_E_clISt17integral_constantIbLb1EES19_IbLb0EEEEDaS15_S16_EUlS15_E_NS1_11comp_targetILNS1_3genE9ELNS1_11target_archE1100ELNS1_3gpuE3ELNS1_3repE0EEENS1_30default_config_static_selectorELNS0_4arch9wavefront6targetE0EEEvT1_
; %bb.0:
	s_clause 0x3
	s_load_b128 s[4:7], s[0:1], 0x8
	s_load_b32 s8, s[0:1], 0x70
	s_load_b256 s[16:23], s[0:1], 0x40
	s_load_b64 s[24:25], s[0:1], 0x18
	s_mov_b32 s3, 0
	v_lshlrev_b32_e32 v55, 3, v0
	v_lshrrev_b32_e32 v33, 2, v0
	v_or_b32_e32 v38, 0x200, v0
	v_or_b32_e32 v36, 0x400, v0
	;; [unrolled: 1-line block ×7, first 2 shown]
	s_waitcnt lgkmcnt(0)
	s_lshl_b64 s[26:27], s[6:7], 3
	s_delay_alu instid0(SALU_CYCLE_1)
	s_add_u32 s9, s4, s26
	s_addc_u32 s10, s5, s27
	s_add_i32 s11, s8, -1
	s_load_b64 s[12:13], s[18:19], 0x0
	s_lshl_b32 s4, s11, 12
	s_lshl_b32 s5, s8, 12
	s_add_i32 s4, s6, s4
	s_lshl_b32 s2, s15, 12
	s_sub_i32 s28, s20, s4
	s_add_u32 s4, s6, s5
	s_addc_u32 s5, s7, 0
	s_cmp_eq_u32 s15, s11
	v_cmp_ge_u64_e64 s4, s[4:5], s[20:21]
	s_cselect_b32 s14, -1, 0
	s_lshl_b64 s[18:19], s[2:3], 3
	s_mov_b32 s3, -1
	s_delay_alu instid0(VALU_DEP_1) | instskip(NEXT) | instid1(SALU_CYCLE_1)
	s_and_b32 s21, s14, s4
	s_xor_b32 s20, s21, -1
	s_add_u32 s4, s9, s18
	s_addc_u32 s5, s10, s19
	s_and_b32 vcc_lo, exec_lo, s20
	s_cbranch_vccz .LBB617_2
; %bb.1:
	v_add_co_u32 v9, s2, s4, v55
	s_delay_alu instid0(VALU_DEP_1)
	v_add_co_ci_u32_e64 v10, null, s5, 0, s2
	global_load_b64 v[1:2], v55, s[4:5]
	v_add_co_u32 v3, vcc_lo, v9, 0x2000
	v_add_co_ci_u32_e32 v4, vcc_lo, 0, v10, vcc_lo
	v_add_co_u32 v5, vcc_lo, v9, 0x4000
	v_add_co_ci_u32_e32 v6, vcc_lo, 0, v10, vcc_lo
	;; [unrolled: 2-line block ×4, first 2 shown]
	s_clause 0x6
	global_load_b64 v[11:12], v[3:4], off offset:-4096
	global_load_b64 v[3:4], v[3:4], off
	global_load_b64 v[13:14], v[5:6], off offset:-4096
	global_load_b64 v[5:6], v[5:6], off
	;; [unrolled: 2-line block ×3, first 2 shown]
	global_load_b64 v[9:10], v[9:10], off
	v_lshrrev_b32_e32 v18, 2, v38
	v_lshrrev_b32_e32 v19, 2, v36
	;; [unrolled: 1-line block ×4, first 2 shown]
	v_and_b32_e32 v17, 0x78, v33
	v_lshrrev_b32_e32 v22, 2, v37
	v_lshrrev_b32_e32 v23, 2, v34
	;; [unrolled: 1-line block ×3, first 2 shown]
	v_and_b32_e32 v18, 0xf8, v18
	v_and_b32_e32 v19, 0x178, v19
	;; [unrolled: 1-line block ×4, first 2 shown]
	v_add_nc_u32_e32 v17, v17, v55
	v_and_b32_e32 v22, 0x2f8, v22
	v_and_b32_e32 v23, 0x378, v23
	v_and_b32_e32 v24, 0x3f8, v24
	v_add_nc_u32_e32 v18, v18, v55
	v_add_nc_u32_e32 v19, v19, v55
	;; [unrolled: 1-line block ×4, first 2 shown]
	s_mov_b32 s3, 0
	v_add_nc_u32_e32 v22, v22, v55
	v_add_nc_u32_e32 v23, v23, v55
	;; [unrolled: 1-line block ×3, first 2 shown]
	s_waitcnt vmcnt(7)
	ds_store_b64 v17, v[1:2]
	s_waitcnt vmcnt(6)
	ds_store_b64 v18, v[11:12] offset:4096
	s_waitcnt vmcnt(5)
	ds_store_b64 v19, v[3:4] offset:8192
	;; [unrolled: 2-line block ×7, first 2 shown]
	s_waitcnt lgkmcnt(0)
	s_barrier
.LBB617_2:
	s_load_b128 s[8:11], s[0:1], 0x60
	v_cmp_gt_u32_e64 s2, s28, v0
	s_and_not1_b32 vcc_lo, exec_lo, s3
	s_cbranch_vccnz .LBB617_20
; %bb.3:
                                        ; implicit-def: $vgpr1_vgpr2_vgpr3_vgpr4_vgpr5_vgpr6_vgpr7_vgpr8_vgpr9_vgpr10_vgpr11_vgpr12_vgpr13_vgpr14_vgpr15_vgpr16
	s_delay_alu instid0(VALU_DEP_1)
	s_and_saveexec_b32 s3, s2
	s_cbranch_execz .LBB617_11
; %bb.4:
	global_load_b64 v[1:2], v55, s[4:5]
	s_or_b32 exec_lo, exec_lo, s3
	s_delay_alu instid0(SALU_CYCLE_1)
	s_mov_b32 s2, exec_lo
	v_cmpx_gt_u32_e64 s28, v38
	s_cbranch_execnz .LBB617_12
.LBB617_5:
	s_or_b32 exec_lo, exec_lo, s2
	s_delay_alu instid0(SALU_CYCLE_1)
	s_mov_b32 s2, exec_lo
	v_cmpx_gt_u32_e64 s28, v36
	s_cbranch_execz .LBB617_13
.LBB617_6:
	v_lshlrev_b32_e32 v5, 3, v36
	global_load_b64 v[5:6], v5, s[4:5]
	s_or_b32 exec_lo, exec_lo, s2
	s_delay_alu instid0(SALU_CYCLE_1)
	s_mov_b32 s2, exec_lo
	v_cmpx_gt_u32_e64 s28, v40
	s_cbranch_execnz .LBB617_14
.LBB617_7:
	s_or_b32 exec_lo, exec_lo, s2
	s_delay_alu instid0(SALU_CYCLE_1)
	s_mov_b32 s2, exec_lo
	v_cmpx_gt_u32_e64 s28, v39
	s_cbranch_execz .LBB617_15
.LBB617_8:
	v_lshlrev_b32_e32 v9, 3, v39
	global_load_b64 v[9:10], v9, s[4:5]
	s_or_b32 exec_lo, exec_lo, s2
	s_delay_alu instid0(SALU_CYCLE_1)
	s_mov_b32 s2, exec_lo
	v_cmpx_gt_u32_e64 s28, v37
	s_cbranch_execnz .LBB617_16
.LBB617_9:
	s_or_b32 exec_lo, exec_lo, s2
	s_delay_alu instid0(SALU_CYCLE_1)
	s_mov_b32 s2, exec_lo
	v_cmpx_gt_u32_e64 s28, v34
	s_cbranch_execz .LBB617_17
.LBB617_10:
	v_lshlrev_b32_e32 v13, 3, v34
	global_load_b64 v[13:14], v13, s[4:5]
	s_or_b32 exec_lo, exec_lo, s2
	s_delay_alu instid0(SALU_CYCLE_1)
	s_mov_b32 s2, exec_lo
	v_cmpx_gt_u32_e64 s28, v35
	s_cbranch_execnz .LBB617_18
	s_branch .LBB617_19
.LBB617_11:
	s_or_b32 exec_lo, exec_lo, s3
	s_delay_alu instid0(SALU_CYCLE_1)
	s_mov_b32 s2, exec_lo
	v_cmpx_gt_u32_e64 s28, v38
	s_cbranch_execz .LBB617_5
.LBB617_12:
	v_lshlrev_b32_e32 v3, 3, v38
	global_load_b64 v[3:4], v3, s[4:5]
	s_or_b32 exec_lo, exec_lo, s2
	s_delay_alu instid0(SALU_CYCLE_1)
	s_mov_b32 s2, exec_lo
	v_cmpx_gt_u32_e64 s28, v36
	s_cbranch_execnz .LBB617_6
.LBB617_13:
	s_or_b32 exec_lo, exec_lo, s2
	s_delay_alu instid0(SALU_CYCLE_1)
	s_mov_b32 s2, exec_lo
	v_cmpx_gt_u32_e64 s28, v40
	s_cbranch_execz .LBB617_7
.LBB617_14:
	v_lshlrev_b32_e32 v7, 3, v40
	global_load_b64 v[7:8], v7, s[4:5]
	s_or_b32 exec_lo, exec_lo, s2
	s_delay_alu instid0(SALU_CYCLE_1)
	s_mov_b32 s2, exec_lo
	v_cmpx_gt_u32_e64 s28, v39
	s_cbranch_execnz .LBB617_8
.LBB617_15:
	s_or_b32 exec_lo, exec_lo, s2
	s_delay_alu instid0(SALU_CYCLE_1)
	s_mov_b32 s2, exec_lo
	v_cmpx_gt_u32_e64 s28, v37
	s_cbranch_execz .LBB617_9
.LBB617_16:
	v_lshlrev_b32_e32 v11, 3, v37
	global_load_b64 v[11:12], v11, s[4:5]
	s_or_b32 exec_lo, exec_lo, s2
	s_delay_alu instid0(SALU_CYCLE_1)
	s_mov_b32 s2, exec_lo
	v_cmpx_gt_u32_e64 s28, v34
	s_cbranch_execnz .LBB617_10
.LBB617_17:
	s_or_b32 exec_lo, exec_lo, s2
	s_delay_alu instid0(SALU_CYCLE_1)
	s_mov_b32 s2, exec_lo
	v_cmpx_gt_u32_e64 s28, v35
	s_cbranch_execz .LBB617_19
.LBB617_18:
	v_lshlrev_b32_e32 v15, 3, v35
	global_load_b64 v[15:16], v15, s[4:5]
.LBB617_19:
	s_or_b32 exec_lo, exec_lo, s2
	v_lshrrev_b32_e32 v17, 2, v38
	v_lshrrev_b32_e32 v18, 2, v36
	;; [unrolled: 1-line block ×4, first 2 shown]
	v_and_b32_e32 v19, 0x78, v33
	v_lshrrev_b32_e32 v22, 2, v37
	v_lshrrev_b32_e32 v23, 2, v34
	;; [unrolled: 1-line block ×3, first 2 shown]
	v_and_b32_e32 v17, 0xf8, v17
	v_and_b32_e32 v18, 0x1f8, v18
	;; [unrolled: 1-line block ×4, first 2 shown]
	v_add_nc_u32_e32 v19, v19, v55
	v_and_b32_e32 v22, 0x3f8, v22
	v_and_b32_e32 v23, 0x3f8, v23
	;; [unrolled: 1-line block ×3, first 2 shown]
	v_add_nc_u32_e32 v17, v17, v55
	v_add_nc_u32_e32 v18, v18, v55
	;; [unrolled: 1-line block ×7, first 2 shown]
	s_waitcnt vmcnt(0)
	ds_store_b64 v19, v[1:2]
	ds_store_b64 v17, v[3:4] offset:4096
	ds_store_b64 v18, v[5:6] offset:8192
	;; [unrolled: 1-line block ×7, first 2 shown]
	s_waitcnt lgkmcnt(0)
	s_barrier
.LBB617_20:
	v_add_lshl_u32 v41, v33, v55, 3
	s_waitcnt lgkmcnt(0)
	buffer_gl0_inv
	s_add_u32 s2, s24, s26
	s_addc_u32 s3, s25, s27
	s_add_u32 s2, s2, s18
	ds_load_2addr_b64 v[29:32], v41 offset1:1
	ds_load_2addr_b64 v[25:28], v41 offset0:2 offset1:3
	ds_load_2addr_b64 v[21:24], v41 offset0:4 offset1:5
	;; [unrolled: 1-line block ×3, first 2 shown]
	s_addc_u32 s3, s3, s19
	s_and_b32 vcc_lo, exec_lo, s20
	s_mov_b32 s18, -1
	s_waitcnt lgkmcnt(0)
	s_barrier
	buffer_gl0_inv
	s_cbranch_vccz .LBB617_22
; %bb.21:
	v_add_co_u32 v9, s18, s2, v55
	s_delay_alu instid0(VALU_DEP_1)
	v_add_co_ci_u32_e64 v10, null, s3, 0, s18
	global_load_b64 v[1:2], v55, s[2:3]
	v_add_co_u32 v3, vcc_lo, v9, 0x2000
	v_add_co_ci_u32_e32 v4, vcc_lo, 0, v10, vcc_lo
	v_add_co_u32 v5, vcc_lo, v9, 0x4000
	v_add_co_ci_u32_e32 v6, vcc_lo, 0, v10, vcc_lo
	;; [unrolled: 2-line block ×4, first 2 shown]
	s_clause 0x6
	global_load_b64 v[11:12], v[3:4], off offset:-4096
	global_load_b64 v[3:4], v[3:4], off
	global_load_b64 v[13:14], v[5:6], off offset:-4096
	global_load_b64 v[5:6], v[5:6], off
	;; [unrolled: 2-line block ×3, first 2 shown]
	global_load_b64 v[9:10], v[9:10], off
	v_lshrrev_b32_e32 v43, 2, v38
	v_lshrrev_b32_e32 v44, 2, v36
	;; [unrolled: 1-line block ×4, first 2 shown]
	v_and_b32_e32 v42, 0x78, v33
	v_lshrrev_b32_e32 v47, 2, v37
	v_lshrrev_b32_e32 v48, 2, v34
	;; [unrolled: 1-line block ×3, first 2 shown]
	v_and_b32_e32 v43, 0xf8, v43
	v_and_b32_e32 v44, 0x178, v44
	;; [unrolled: 1-line block ×4, first 2 shown]
	v_add_nc_u32_e32 v42, v42, v55
	v_and_b32_e32 v47, 0x2f8, v47
	v_and_b32_e32 v48, 0x378, v48
	;; [unrolled: 1-line block ×3, first 2 shown]
	v_add_nc_u32_e32 v43, v43, v55
	v_add_nc_u32_e32 v44, v44, v55
	;; [unrolled: 1-line block ×4, first 2 shown]
	s_mov_b32 s18, 0
	v_add_nc_u32_e32 v47, v47, v55
	v_add_nc_u32_e32 v48, v48, v55
	;; [unrolled: 1-line block ×3, first 2 shown]
	s_waitcnt vmcnt(7)
	ds_store_b64 v42, v[1:2]
	s_waitcnt vmcnt(6)
	ds_store_b64 v43, v[11:12] offset:4096
	s_waitcnt vmcnt(5)
	ds_store_b64 v44, v[3:4] offset:8192
	;; [unrolled: 2-line block ×7, first 2 shown]
	s_waitcnt lgkmcnt(0)
	s_barrier
.LBB617_22:
	s_and_not1_b32 vcc_lo, exec_lo, s18
	s_cbranch_vccnz .LBB617_40
; %bb.23:
	s_mov_b32 s18, exec_lo
                                        ; implicit-def: $vgpr1_vgpr2
	v_cmpx_gt_u32_e64 s28, v0
	s_cbranch_execz .LBB617_25
; %bb.24:
	global_load_b64 v[1:2], v55, s[2:3]
.LBB617_25:
	s_or_b32 exec_lo, exec_lo, s18
	s_delay_alu instid0(SALU_CYCLE_1)
	s_mov_b32 s18, exec_lo
                                        ; implicit-def: $vgpr3_vgpr4
	v_cmpx_gt_u32_e64 s28, v38
	s_cbranch_execz .LBB617_27
; %bb.26:
	v_lshlrev_b32_e32 v3, 3, v38
	global_load_b64 v[3:4], v3, s[2:3]
.LBB617_27:
	s_or_b32 exec_lo, exec_lo, s18
	s_delay_alu instid0(SALU_CYCLE_1)
	s_mov_b32 s18, exec_lo
                                        ; implicit-def: $vgpr5_vgpr6
	v_cmpx_gt_u32_e64 s28, v36
	s_cbranch_execz .LBB617_29
; %bb.28:
	v_lshlrev_b32_e32 v5, 3, v36
	global_load_b64 v[5:6], v5, s[2:3]
.LBB617_29:
	s_or_b32 exec_lo, exec_lo, s18
	s_delay_alu instid0(SALU_CYCLE_1)
	s_mov_b32 s18, exec_lo
                                        ; implicit-def: $vgpr7_vgpr8
	v_cmpx_gt_u32_e64 s28, v40
	s_cbranch_execz .LBB617_31
; %bb.30:
	v_lshlrev_b32_e32 v7, 3, v40
	global_load_b64 v[7:8], v7, s[2:3]
.LBB617_31:
	s_or_b32 exec_lo, exec_lo, s18
	s_delay_alu instid0(SALU_CYCLE_1)
	s_mov_b32 s18, exec_lo
                                        ; implicit-def: $vgpr9_vgpr10
	v_cmpx_gt_u32_e64 s28, v39
	s_cbranch_execz .LBB617_33
; %bb.32:
	v_lshlrev_b32_e32 v9, 3, v39
	global_load_b64 v[9:10], v9, s[2:3]
.LBB617_33:
	s_or_b32 exec_lo, exec_lo, s18
	s_delay_alu instid0(SALU_CYCLE_1)
	s_mov_b32 s18, exec_lo
                                        ; implicit-def: $vgpr11_vgpr12
	v_cmpx_gt_u32_e64 s28, v37
	s_cbranch_execz .LBB617_35
; %bb.34:
	v_lshlrev_b32_e32 v11, 3, v37
	global_load_b64 v[11:12], v11, s[2:3]
.LBB617_35:
	s_or_b32 exec_lo, exec_lo, s18
	s_delay_alu instid0(SALU_CYCLE_1)
	s_mov_b32 s18, exec_lo
                                        ; implicit-def: $vgpr13_vgpr14
	v_cmpx_gt_u32_e64 s28, v34
	s_cbranch_execz .LBB617_37
; %bb.36:
	v_lshlrev_b32_e32 v13, 3, v34
	global_load_b64 v[13:14], v13, s[2:3]
.LBB617_37:
	s_or_b32 exec_lo, exec_lo, s18
	s_delay_alu instid0(SALU_CYCLE_1)
	s_mov_b32 s18, exec_lo
                                        ; implicit-def: $vgpr15_vgpr16
	v_cmpx_gt_u32_e64 s28, v35
	s_cbranch_execz .LBB617_39
; %bb.38:
	v_lshlrev_b32_e32 v15, 3, v35
	global_load_b64 v[15:16], v15, s[2:3]
.LBB617_39:
	s_or_b32 exec_lo, exec_lo, s18
	v_lshrrev_b32_e32 v38, 2, v38
	v_lshrrev_b32_e32 v36, 2, v36
	;; [unrolled: 1-line block ×4, first 2 shown]
	v_and_b32_e32 v33, 0x78, v33
	v_lshrrev_b32_e32 v37, 2, v37
	v_lshrrev_b32_e32 v34, 2, v34
	;; [unrolled: 1-line block ×3, first 2 shown]
	v_and_b32_e32 v38, 0xf8, v38
	v_and_b32_e32 v36, 0x1f8, v36
	;; [unrolled: 1-line block ×4, first 2 shown]
	v_add_nc_u32_e32 v33, v33, v55
	v_and_b32_e32 v37, 0x3f8, v37
	v_and_b32_e32 v34, 0x3f8, v34
	;; [unrolled: 1-line block ×3, first 2 shown]
	v_add_nc_u32_e32 v38, v38, v55
	v_add_nc_u32_e32 v36, v36, v55
	;; [unrolled: 1-line block ×7, first 2 shown]
	s_waitcnt vmcnt(0)
	ds_store_b64 v33, v[1:2]
	ds_store_b64 v38, v[3:4] offset:4096
	ds_store_b64 v36, v[5:6] offset:8192
	;; [unrolled: 1-line block ×7, first 2 shown]
	s_waitcnt lgkmcnt(0)
	s_barrier
.LBB617_40:
	buffer_gl0_inv
	ds_load_2addr_b64 v[13:16], v41 offset1:1
	ds_load_2addr_b64 v[9:12], v41 offset0:2 offset1:3
	ds_load_2addr_b64 v[5:8], v41 offset0:4 offset1:5
	;; [unrolled: 1-line block ×3, first 2 shown]
	s_cmp_lg_u32 s15, 0
	v_cmp_gt_i64_e64 s25, s[22:23], 0
	s_cselect_b32 s24, -1, 0
	s_cmp_lg_u64 s[6:7], 0
	s_mov_b32 s3, 0
	s_cselect_b32 s2, -1, 0
	s_waitcnt lgkmcnt(0)
	s_or_b32 s2, s24, s2
	s_barrier
	s_and_b32 vcc_lo, exec_lo, s2
	buffer_gl0_inv
	s_cbranch_vccz .LBB617_49
; %bb.41:
	s_add_u32 s2, s4, -8
	s_addc_u32 s3, s5, -1
	v_cndmask_b32_e64 v41, 0, 1, s25
	s_load_b64 s[4:5], s[2:3], 0x0
	s_and_b32 vcc_lo, exec_lo, s20
	ds_store_b64 v55, v[19:20]
	v_cmp_ne_u32_e64 s2, 1, v41
	s_cbranch_vccz .LBB617_50
; %bb.42:
	v_mul_lo_u32 v35, v18, s22
	v_mul_lo_u32 v36, v17, s23
	v_mad_u64_u32 v[33:34], null, v17, s22, 0
	s_mov_b32 s3, 0
	s_and_b32 vcc_lo, exec_lo, s2
	s_mov_b32 s26, 0
	s_delay_alu instid0(VALU_DEP_1) | instskip(NEXT) | instid1(VALU_DEP_1)
	v_add3_u32 v34, v34, v36, v35
	v_lshlrev_b64 v[33:34], 3, v[33:34]
	s_cbranch_vccnz .LBB617_53
; %bb.43:
	v_mul_lo_u32 v37, v20, s22
	v_mul_lo_u32 v38, v19, s23
	v_mad_u64_u32 v[35:36], null, v19, s22, 0
	s_mov_b32 s26, -1
	s_mov_b32 s27, exec_lo
	s_delay_alu instid0(VALU_DEP_1) | instskip(SKIP_2) | instid1(VALU_DEP_3)
	v_add3_u32 v36, v36, v38, v37
	v_add_co_u32 v37, vcc_lo, s8, v33
	v_add_co_ci_u32_e32 v38, vcc_lo, s9, v34, vcc_lo
	v_lshlrev_b64 v[35:36], 3, v[35:36]
	s_delay_alu instid0(VALU_DEP_1) | instskip(NEXT) | instid1(VALU_DEP_2)
	v_add_co_u32 v35, vcc_lo, s8, v35
	v_add_co_ci_u32_e32 v36, vcc_lo, s9, v36, vcc_lo
	s_clause 0x1
	global_load_b64 v[39:40], v[37:38], off
	global_load_b64 v[42:43], v[35:36], off
	s_waitcnt vmcnt(0)
	v_cmpx_eq_u64_e64 v[39:40], v[42:43]
	s_cbranch_execz .LBB617_52
; %bb.44:
	v_add_co_u32 v35, vcc_lo, v35, 8
	v_add_co_ci_u32_e32 v36, vcc_lo, 0, v36, vcc_lo
	v_add_co_u32 v37, vcc_lo, v37, 8
	v_add_co_ci_u32_e32 v38, vcc_lo, 0, v38, vcc_lo
	s_add_u32 s6, s22, -1
	s_addc_u32 s7, s23, -1
	s_mov_b64 s[18:19], 0
	s_mov_b32 s26, 0
                                        ; implicit-def: $sgpr29
	s_set_inst_prefetch_distance 0x1
	s_branch .LBB617_47
	.p2align	6
.LBB617_45:                             ;   in Loop: Header=BB617_47 Depth=1
	global_load_b64 v[39:40], v[37:38], off
	global_load_b64 v[42:43], v[35:36], off
	v_add_co_u32 v35, vcc_lo, v35, 8
	v_add_co_ci_u32_e32 v36, vcc_lo, 0, v36, vcc_lo
	v_add_co_u32 v37, s2, v37, 8
	s_delay_alu instid0(VALU_DEP_1)
	v_add_co_ci_u32_e64 v38, s2, 0, v38, s2
	s_add_u32 s18, s18, 1
	s_addc_u32 s19, s19, 0
	s_and_not1_b32 s2, s29, exec_lo
	s_waitcnt vmcnt(0)
	v_cmp_ne_u64_e32 vcc_lo, v[39:40], v[42:43]
	s_and_b32 s29, vcc_lo, exec_lo
	s_delay_alu instid0(SALU_CYCLE_1)
	s_or_b32 s29, s2, s29
.LBB617_46:                             ;   in Loop: Header=BB617_47 Depth=1
	v_dual_mov_b32 v40, s19 :: v_dual_mov_b32 v39, s18
	s_and_b32 s2, exec_lo, s29
	s_delay_alu instid0(SALU_CYCLE_1) | instskip(NEXT) | instid1(SALU_CYCLE_1)
	s_or_b32 s26, s2, s26
	s_and_not1_b32 exec_lo, exec_lo, s26
	s_cbranch_execz .LBB617_51
.LBB617_47:                             ; =>This Inner Loop Header: Depth=1
	s_or_b32 s29, s29, exec_lo
	s_cmp_eq_u64 s[6:7], s[18:19]
	s_cbranch_scc0 .LBB617_45
; %bb.48:                               ;   in Loop: Header=BB617_47 Depth=1
	s_mov_b64 s[18:19], s[22:23]
                                        ; implicit-def: $vgpr35_vgpr36
                                        ; implicit-def: $vgpr37_vgpr38
	s_branch .LBB617_46
.LBB617_49:
                                        ; implicit-def: $sgpr2
                                        ; implicit-def: $vgpr34
	s_branch .LBB617_211
.LBB617_50:
                                        ; implicit-def: $sgpr2
                                        ; implicit-def: $vgpr34
	s_cbranch_execnz .LBB617_119
	s_branch .LBB617_210
.LBB617_51:
	s_set_inst_prefetch_distance 0x2
	s_or_b32 exec_lo, exec_lo, s26
	v_cmp_gt_i64_e32 vcc_lo, s[22:23], v[39:40]
	s_or_not1_b32 s26, vcc_lo, exec_lo
.LBB617_52:
	s_or_b32 exec_lo, exec_lo, s27
.LBB617_53:
	v_mul_lo_u32 v37, v24, s22
	v_mul_lo_u32 v38, v23, s23
	v_mad_u64_u32 v[35:36], null, v23, s22, 0
	s_and_not1_b32 vcc_lo, exec_lo, s25
	s_delay_alu instid0(VALU_DEP_1) | instskip(NEXT) | instid1(VALU_DEP_1)
	v_add3_u32 v36, v36, v38, v37
	v_lshlrev_b64 v[35:36], 3, v[35:36]
	s_cbranch_vccnz .LBB617_62
; %bb.54:
	s_delay_alu instid0(VALU_DEP_1) | instskip(NEXT) | instid1(VALU_DEP_2)
	v_add_co_u32 v37, vcc_lo, s8, v35
	v_add_co_ci_u32_e32 v38, vcc_lo, s9, v36, vcc_lo
	v_add_co_u32 v33, vcc_lo, s8, v33
	v_add_co_ci_u32_e32 v34, vcc_lo, s9, v34, vcc_lo
	s_mov_b32 s3, -1
	s_clause 0x1
	global_load_b64 v[39:40], v[37:38], off
	global_load_b64 v[42:43], v[33:34], off
	s_mov_b32 s27, exec_lo
	s_waitcnt vmcnt(0)
	v_cmpx_eq_u64_e64 v[39:40], v[42:43]
	s_cbranch_execz .LBB617_61
; %bb.55:
	v_add_co_u32 v33, vcc_lo, v33, 8
	v_add_co_ci_u32_e32 v34, vcc_lo, 0, v34, vcc_lo
	v_add_co_u32 v37, vcc_lo, v37, 8
	v_add_co_ci_u32_e32 v38, vcc_lo, 0, v38, vcc_lo
	s_add_u32 s6, s22, -1
	s_addc_u32 s7, s23, -1
	s_mov_b64 s[18:19], 0
	s_mov_b32 s3, 0
                                        ; implicit-def: $sgpr29
	s_set_inst_prefetch_distance 0x1
	s_branch .LBB617_58
	.p2align	6
.LBB617_56:                             ;   in Loop: Header=BB617_58 Depth=1
	global_load_b64 v[39:40], v[37:38], off
	global_load_b64 v[42:43], v[33:34], off
	v_add_co_u32 v33, vcc_lo, v33, 8
	v_add_co_ci_u32_e32 v34, vcc_lo, 0, v34, vcc_lo
	v_add_co_u32 v37, s2, v37, 8
	s_delay_alu instid0(VALU_DEP_1)
	v_add_co_ci_u32_e64 v38, s2, 0, v38, s2
	s_add_u32 s18, s18, 1
	s_addc_u32 s19, s19, 0
	s_and_not1_b32 s2, s29, exec_lo
	s_waitcnt vmcnt(0)
	v_cmp_ne_u64_e32 vcc_lo, v[39:40], v[42:43]
	s_and_b32 s29, vcc_lo, exec_lo
	s_delay_alu instid0(SALU_CYCLE_1)
	s_or_b32 s29, s2, s29
.LBB617_57:                             ;   in Loop: Header=BB617_58 Depth=1
	v_dual_mov_b32 v40, s19 :: v_dual_mov_b32 v39, s18
	s_and_b32 s2, exec_lo, s29
	s_delay_alu instid0(SALU_CYCLE_1) | instskip(NEXT) | instid1(SALU_CYCLE_1)
	s_or_b32 s3, s2, s3
	s_and_not1_b32 exec_lo, exec_lo, s3
	s_cbranch_execz .LBB617_60
.LBB617_58:                             ; =>This Inner Loop Header: Depth=1
	s_or_b32 s29, s29, exec_lo
	s_cmp_eq_u64 s[6:7], s[18:19]
	s_cbranch_scc0 .LBB617_56
; %bb.59:                               ;   in Loop: Header=BB617_58 Depth=1
	s_mov_b64 s[18:19], s[22:23]
                                        ; implicit-def: $vgpr33_vgpr34
                                        ; implicit-def: $vgpr37_vgpr38
	s_branch .LBB617_57
.LBB617_60:
	s_set_inst_prefetch_distance 0x2
	s_or_b32 exec_lo, exec_lo, s3
	v_cmp_gt_i64_e32 vcc_lo, s[22:23], v[39:40]
	s_or_not1_b32 s3, vcc_lo, exec_lo
.LBB617_61:
	s_or_b32 exec_lo, exec_lo, s27
.LBB617_62:
	v_mul_lo_u32 v37, v22, s22
	v_mul_lo_u32 v38, v21, s23
	v_mad_u64_u32 v[33:34], null, v21, s22, 0
	s_mov_b32 s27, 0
	s_and_not1_b32 vcc_lo, exec_lo, s25
	s_mov_b32 s29, 0
	s_delay_alu instid0(VALU_DEP_1) | instskip(NEXT) | instid1(VALU_DEP_1)
	v_add3_u32 v34, v34, v38, v37
	v_lshlrev_b64 v[37:38], 3, v[33:34]
	s_cbranch_vccnz .LBB617_71
; %bb.63:
	s_delay_alu instid0(VALU_DEP_1) | instskip(NEXT) | instid1(VALU_DEP_2)
	v_add_co_u32 v39, vcc_lo, s8, v37
	v_add_co_ci_u32_e32 v40, vcc_lo, s9, v38, vcc_lo
	v_add_co_u32 v33, vcc_lo, s8, v35
	v_add_co_ci_u32_e32 v34, vcc_lo, s9, v36, vcc_lo
	s_mov_b32 s29, -1
	s_clause 0x1
	global_load_b64 v[35:36], v[39:40], off
	global_load_b64 v[42:43], v[33:34], off
	s_mov_b32 s30, exec_lo
	s_waitcnt vmcnt(0)
	v_cmpx_eq_u64_e64 v[35:36], v[42:43]
	s_cbranch_execz .LBB617_70
; %bb.64:
	v_add_co_u32 v33, vcc_lo, v33, 8
	v_add_co_ci_u32_e32 v34, vcc_lo, 0, v34, vcc_lo
	v_add_co_u32 v35, vcc_lo, v39, 8
	v_add_co_ci_u32_e32 v36, vcc_lo, 0, v40, vcc_lo
	s_add_u32 s6, s22, -1
	s_addc_u32 s7, s23, -1
	s_mov_b64 s[18:19], 0
	s_mov_b32 s29, 0
                                        ; implicit-def: $sgpr31
	s_set_inst_prefetch_distance 0x1
	s_branch .LBB617_67
	.p2align	6
.LBB617_65:                             ;   in Loop: Header=BB617_67 Depth=1
	global_load_b64 v[39:40], v[35:36], off
	global_load_b64 v[42:43], v[33:34], off
	v_add_co_u32 v33, vcc_lo, v33, 8
	v_add_co_ci_u32_e32 v34, vcc_lo, 0, v34, vcc_lo
	v_add_co_u32 v35, s2, v35, 8
	s_delay_alu instid0(VALU_DEP_1)
	v_add_co_ci_u32_e64 v36, s2, 0, v36, s2
	s_add_u32 s18, s18, 1
	s_addc_u32 s19, s19, 0
	s_and_not1_b32 s2, s31, exec_lo
	s_waitcnt vmcnt(0)
	v_cmp_ne_u64_e32 vcc_lo, v[39:40], v[42:43]
	s_and_b32 s31, vcc_lo, exec_lo
	s_delay_alu instid0(SALU_CYCLE_1)
	s_or_b32 s31, s2, s31
.LBB617_66:                             ;   in Loop: Header=BB617_67 Depth=1
	v_dual_mov_b32 v40, s19 :: v_dual_mov_b32 v39, s18
	s_and_b32 s2, exec_lo, s31
	s_delay_alu instid0(SALU_CYCLE_1) | instskip(NEXT) | instid1(SALU_CYCLE_1)
	s_or_b32 s29, s2, s29
	s_and_not1_b32 exec_lo, exec_lo, s29
	s_cbranch_execz .LBB617_69
.LBB617_67:                             ; =>This Inner Loop Header: Depth=1
	s_or_b32 s31, s31, exec_lo
	s_cmp_eq_u64 s[6:7], s[18:19]
	s_cbranch_scc0 .LBB617_65
; %bb.68:                               ;   in Loop: Header=BB617_67 Depth=1
	s_mov_b64 s[18:19], s[22:23]
                                        ; implicit-def: $vgpr33_vgpr34
                                        ; implicit-def: $vgpr35_vgpr36
	s_branch .LBB617_66
.LBB617_69:
	s_set_inst_prefetch_distance 0x2
	s_or_b32 exec_lo, exec_lo, s29
	v_cmp_gt_i64_e32 vcc_lo, s[22:23], v[39:40]
	s_or_not1_b32 s29, vcc_lo, exec_lo
.LBB617_70:
	s_or_b32 exec_lo, exec_lo, s30
.LBB617_71:
	v_mul_lo_u32 v35, v28, s22
	v_mul_lo_u32 v36, v27, s23
	v_mad_u64_u32 v[33:34], null, v27, s22, 0
	s_and_not1_b32 vcc_lo, exec_lo, s25
	s_delay_alu instid0(VALU_DEP_1) | instskip(NEXT) | instid1(VALU_DEP_1)
	v_add3_u32 v34, v34, v36, v35
	v_lshlrev_b64 v[33:34], 3, v[33:34]
	s_cbranch_vccnz .LBB617_80
; %bb.72:
	s_delay_alu instid0(VALU_DEP_1) | instskip(NEXT) | instid1(VALU_DEP_2)
	v_add_co_u32 v39, vcc_lo, s8, v33
	v_add_co_ci_u32_e32 v40, vcc_lo, s9, v34, vcc_lo
	v_add_co_u32 v35, vcc_lo, s8, v37
	v_add_co_ci_u32_e32 v36, vcc_lo, s9, v38, vcc_lo
	s_mov_b32 s27, -1
	s_clause 0x1
	global_load_b64 v[37:38], v[39:40], off
	global_load_b64 v[42:43], v[35:36], off
	s_mov_b32 s30, exec_lo
	s_waitcnt vmcnt(0)
	v_cmpx_eq_u64_e64 v[37:38], v[42:43]
	s_cbranch_execz .LBB617_79
; %bb.73:
	v_add_co_u32 v35, vcc_lo, v35, 8
	v_add_co_ci_u32_e32 v36, vcc_lo, 0, v36, vcc_lo
	v_add_co_u32 v37, vcc_lo, v39, 8
	v_add_co_ci_u32_e32 v38, vcc_lo, 0, v40, vcc_lo
	s_add_u32 s6, s22, -1
	s_addc_u32 s7, s23, -1
	s_mov_b64 s[18:19], 0
	s_mov_b32 s27, 0
                                        ; implicit-def: $sgpr31
	s_set_inst_prefetch_distance 0x1
	s_branch .LBB617_76
	.p2align	6
.LBB617_74:                             ;   in Loop: Header=BB617_76 Depth=1
	global_load_b64 v[39:40], v[37:38], off
	global_load_b64 v[42:43], v[35:36], off
	v_add_co_u32 v35, vcc_lo, v35, 8
	v_add_co_ci_u32_e32 v36, vcc_lo, 0, v36, vcc_lo
	v_add_co_u32 v37, s2, v37, 8
	s_delay_alu instid0(VALU_DEP_1)
	v_add_co_ci_u32_e64 v38, s2, 0, v38, s2
	s_add_u32 s18, s18, 1
	s_addc_u32 s19, s19, 0
	s_and_not1_b32 s2, s31, exec_lo
	s_waitcnt vmcnt(0)
	v_cmp_ne_u64_e32 vcc_lo, v[39:40], v[42:43]
	s_and_b32 s31, vcc_lo, exec_lo
	s_delay_alu instid0(SALU_CYCLE_1)
	s_or_b32 s31, s2, s31
.LBB617_75:                             ;   in Loop: Header=BB617_76 Depth=1
	v_dual_mov_b32 v40, s19 :: v_dual_mov_b32 v39, s18
	s_and_b32 s2, exec_lo, s31
	s_delay_alu instid0(SALU_CYCLE_1) | instskip(NEXT) | instid1(SALU_CYCLE_1)
	s_or_b32 s27, s2, s27
	s_and_not1_b32 exec_lo, exec_lo, s27
	s_cbranch_execz .LBB617_78
.LBB617_76:                             ; =>This Inner Loop Header: Depth=1
	s_or_b32 s31, s31, exec_lo
	s_cmp_eq_u64 s[6:7], s[18:19]
	s_cbranch_scc0 .LBB617_74
; %bb.77:                               ;   in Loop: Header=BB617_76 Depth=1
	s_mov_b64 s[18:19], s[22:23]
                                        ; implicit-def: $vgpr35_vgpr36
                                        ; implicit-def: $vgpr37_vgpr38
	s_branch .LBB617_75
.LBB617_78:
	s_set_inst_prefetch_distance 0x2
	s_or_b32 exec_lo, exec_lo, s27
	v_cmp_gt_i64_e32 vcc_lo, s[22:23], v[39:40]
	s_or_not1_b32 s27, vcc_lo, exec_lo
.LBB617_79:
	s_or_b32 exec_lo, exec_lo, s30
.LBB617_80:
	v_mul_lo_u32 v37, v26, s22
	v_mul_lo_u32 v38, v25, s23
	v_mad_u64_u32 v[35:36], null, v25, s22, 0
	s_mov_b32 s30, 0
	s_and_not1_b32 vcc_lo, exec_lo, s25
	s_mov_b32 s31, 0
	s_delay_alu instid0(VALU_DEP_1) | instskip(NEXT) | instid1(VALU_DEP_1)
	v_add3_u32 v36, v36, v38, v37
	v_lshlrev_b64 v[37:38], 3, v[35:36]
	s_cbranch_vccnz .LBB617_89
; %bb.81:
	s_delay_alu instid0(VALU_DEP_1) | instskip(NEXT) | instid1(VALU_DEP_2)
	v_add_co_u32 v35, vcc_lo, s8, v37
	v_add_co_ci_u32_e32 v36, vcc_lo, s9, v38, vcc_lo
	v_add_co_u32 v33, vcc_lo, s8, v33
	v_add_co_ci_u32_e32 v34, vcc_lo, s9, v34, vcc_lo
	s_mov_b32 s31, -1
	s_clause 0x1
	global_load_b64 v[39:40], v[35:36], off
	global_load_b64 v[42:43], v[33:34], off
	s_mov_b32 s33, exec_lo
	s_waitcnt vmcnt(0)
	v_cmpx_eq_u64_e64 v[39:40], v[42:43]
	s_cbranch_execz .LBB617_88
; %bb.82:
	v_add_co_u32 v33, vcc_lo, v33, 8
	v_add_co_ci_u32_e32 v34, vcc_lo, 0, v34, vcc_lo
	v_add_co_u32 v35, vcc_lo, v35, 8
	v_add_co_ci_u32_e32 v36, vcc_lo, 0, v36, vcc_lo
	s_add_u32 s6, s22, -1
	s_addc_u32 s7, s23, -1
	s_mov_b64 s[18:19], 0
	s_mov_b32 s31, 0
                                        ; implicit-def: $sgpr34
	s_set_inst_prefetch_distance 0x1
	s_branch .LBB617_85
	.p2align	6
.LBB617_83:                             ;   in Loop: Header=BB617_85 Depth=1
	global_load_b64 v[39:40], v[35:36], off
	global_load_b64 v[42:43], v[33:34], off
	v_add_co_u32 v33, vcc_lo, v33, 8
	v_add_co_ci_u32_e32 v34, vcc_lo, 0, v34, vcc_lo
	v_add_co_u32 v35, s2, v35, 8
	s_delay_alu instid0(VALU_DEP_1)
	v_add_co_ci_u32_e64 v36, s2, 0, v36, s2
	s_add_u32 s18, s18, 1
	s_addc_u32 s19, s19, 0
	s_and_not1_b32 s2, s34, exec_lo
	s_waitcnt vmcnt(0)
	v_cmp_ne_u64_e32 vcc_lo, v[39:40], v[42:43]
	s_and_b32 s34, vcc_lo, exec_lo
	s_delay_alu instid0(SALU_CYCLE_1)
	s_or_b32 s34, s2, s34
.LBB617_84:                             ;   in Loop: Header=BB617_85 Depth=1
	v_dual_mov_b32 v40, s19 :: v_dual_mov_b32 v39, s18
	s_and_b32 s2, exec_lo, s34
	s_delay_alu instid0(SALU_CYCLE_1) | instskip(NEXT) | instid1(SALU_CYCLE_1)
	s_or_b32 s31, s2, s31
	s_and_not1_b32 exec_lo, exec_lo, s31
	s_cbranch_execz .LBB617_87
.LBB617_85:                             ; =>This Inner Loop Header: Depth=1
	s_or_b32 s34, s34, exec_lo
	s_cmp_eq_u64 s[6:7], s[18:19]
	s_cbranch_scc0 .LBB617_83
; %bb.86:                               ;   in Loop: Header=BB617_85 Depth=1
	s_mov_b64 s[18:19], s[22:23]
                                        ; implicit-def: $vgpr33_vgpr34
                                        ; implicit-def: $vgpr35_vgpr36
	s_branch .LBB617_84
.LBB617_87:
	s_set_inst_prefetch_distance 0x2
	s_or_b32 exec_lo, exec_lo, s31
	v_cmp_gt_i64_e32 vcc_lo, s[22:23], v[39:40]
	s_or_not1_b32 s31, vcc_lo, exec_lo
.LBB617_88:
	s_or_b32 exec_lo, exec_lo, s33
.LBB617_89:
	v_mul_lo_u32 v35, v32, s22
	v_mul_lo_u32 v36, v31, s23
	v_mad_u64_u32 v[33:34], null, v31, s22, 0
	s_and_not1_b32 vcc_lo, exec_lo, s25
	s_delay_alu instid0(VALU_DEP_1) | instskip(NEXT) | instid1(VALU_DEP_1)
	v_add3_u32 v34, v34, v36, v35
	v_lshlrev_b64 v[35:36], 3, v[33:34]
	s_cbranch_vccnz .LBB617_98
; %bb.90:
	s_delay_alu instid0(VALU_DEP_1) | instskip(NEXT) | instid1(VALU_DEP_2)
	v_add_co_u32 v39, vcc_lo, s8, v35
	v_add_co_ci_u32_e32 v40, vcc_lo, s9, v36, vcc_lo
	v_add_co_u32 v33, vcc_lo, s8, v37
	v_add_co_ci_u32_e32 v34, vcc_lo, s9, v38, vcc_lo
	s_mov_b32 s30, -1
	s_clause 0x1
	global_load_b64 v[37:38], v[39:40], off
	global_load_b64 v[42:43], v[33:34], off
	s_mov_b32 s33, exec_lo
	s_waitcnt vmcnt(0)
	v_cmpx_eq_u64_e64 v[37:38], v[42:43]
	s_cbranch_execz .LBB617_97
; %bb.91:
	v_add_co_u32 v33, vcc_lo, v33, 8
	v_add_co_ci_u32_e32 v34, vcc_lo, 0, v34, vcc_lo
	v_add_co_u32 v37, vcc_lo, v39, 8
	v_add_co_ci_u32_e32 v38, vcc_lo, 0, v40, vcc_lo
	s_add_u32 s6, s22, -1
	s_addc_u32 s7, s23, -1
	s_mov_b64 s[18:19], 0
	s_mov_b32 s30, 0
                                        ; implicit-def: $sgpr34
	s_set_inst_prefetch_distance 0x1
	s_branch .LBB617_94
	.p2align	6
.LBB617_92:                             ;   in Loop: Header=BB617_94 Depth=1
	global_load_b64 v[39:40], v[37:38], off
	global_load_b64 v[42:43], v[33:34], off
	v_add_co_u32 v33, vcc_lo, v33, 8
	v_add_co_ci_u32_e32 v34, vcc_lo, 0, v34, vcc_lo
	v_add_co_u32 v37, s2, v37, 8
	s_delay_alu instid0(VALU_DEP_1)
	v_add_co_ci_u32_e64 v38, s2, 0, v38, s2
	s_add_u32 s18, s18, 1
	s_addc_u32 s19, s19, 0
	s_and_not1_b32 s2, s34, exec_lo
	s_waitcnt vmcnt(0)
	v_cmp_ne_u64_e32 vcc_lo, v[39:40], v[42:43]
	s_and_b32 s34, vcc_lo, exec_lo
	s_delay_alu instid0(SALU_CYCLE_1)
	s_or_b32 s34, s2, s34
.LBB617_93:                             ;   in Loop: Header=BB617_94 Depth=1
	v_dual_mov_b32 v40, s19 :: v_dual_mov_b32 v39, s18
	s_and_b32 s2, exec_lo, s34
	s_delay_alu instid0(SALU_CYCLE_1) | instskip(NEXT) | instid1(SALU_CYCLE_1)
	s_or_b32 s30, s2, s30
	s_and_not1_b32 exec_lo, exec_lo, s30
	s_cbranch_execz .LBB617_96
.LBB617_94:                             ; =>This Inner Loop Header: Depth=1
	s_or_b32 s34, s34, exec_lo
	s_cmp_eq_u64 s[6:7], s[18:19]
	s_cbranch_scc0 .LBB617_92
; %bb.95:                               ;   in Loop: Header=BB617_94 Depth=1
	s_mov_b64 s[18:19], s[22:23]
                                        ; implicit-def: $vgpr33_vgpr34
                                        ; implicit-def: $vgpr37_vgpr38
	s_branch .LBB617_93
.LBB617_96:
	s_set_inst_prefetch_distance 0x2
	s_or_b32 exec_lo, exec_lo, s30
	v_cmp_gt_i64_e32 vcc_lo, s[22:23], v[39:40]
	s_or_not1_b32 s30, vcc_lo, exec_lo
.LBB617_97:
	s_or_b32 exec_lo, exec_lo, s33
.LBB617_98:
	v_mul_lo_u32 v37, v30, s22
	v_mul_lo_u32 v38, v29, s23
	v_mad_u64_u32 v[33:34], null, v29, s22, 0
	s_and_not1_b32 vcc_lo, exec_lo, s25
	s_mov_b32 s2, 0
	s_delay_alu instid0(VALU_DEP_1) | instskip(NEXT) | instid1(VALU_DEP_1)
	v_add3_u32 v34, v34, v38, v37
	v_lshlrev_b64 v[33:34], 3, v[33:34]
	s_cbranch_vccnz .LBB617_107
; %bb.99:
	s_delay_alu instid0(VALU_DEP_1) | instskip(NEXT) | instid1(VALU_DEP_2)
	v_add_co_u32 v37, vcc_lo, s8, v33
	v_add_co_ci_u32_e32 v38, vcc_lo, s9, v34, vcc_lo
	v_add_co_u32 v35, vcc_lo, s8, v35
	v_add_co_ci_u32_e32 v36, vcc_lo, s9, v36, vcc_lo
	s_mov_b32 s2, -1
	s_clause 0x1
	global_load_b64 v[39:40], v[37:38], off
	global_load_b64 v[42:43], v[35:36], off
	s_mov_b32 s33, exec_lo
	s_waitcnt vmcnt(0)
	v_cmpx_eq_u64_e64 v[39:40], v[42:43]
	s_cbranch_execz .LBB617_106
; %bb.100:
	v_add_co_u32 v35, vcc_lo, v35, 8
	v_add_co_ci_u32_e32 v36, vcc_lo, 0, v36, vcc_lo
	v_add_co_u32 v37, vcc_lo, v37, 8
	v_add_co_ci_u32_e32 v38, vcc_lo, 0, v38, vcc_lo
	s_add_u32 s6, s22, -1
	s_addc_u32 s7, s23, -1
	s_mov_b64 s[18:19], 0
	s_mov_b32 s34, 0
                                        ; implicit-def: $sgpr35
	s_set_inst_prefetch_distance 0x1
	s_branch .LBB617_103
	.p2align	6
.LBB617_101:                            ;   in Loop: Header=BB617_103 Depth=1
	global_load_b64 v[39:40], v[37:38], off
	global_load_b64 v[42:43], v[35:36], off
	v_add_co_u32 v35, vcc_lo, v35, 8
	v_add_co_ci_u32_e32 v36, vcc_lo, 0, v36, vcc_lo
	v_add_co_u32 v37, s2, v37, 8
	s_delay_alu instid0(VALU_DEP_1)
	v_add_co_ci_u32_e64 v38, s2, 0, v38, s2
	s_add_u32 s18, s18, 1
	s_addc_u32 s19, s19, 0
	s_and_not1_b32 s2, s35, exec_lo
	s_waitcnt vmcnt(0)
	v_cmp_ne_u64_e32 vcc_lo, v[39:40], v[42:43]
	s_and_b32 s35, vcc_lo, exec_lo
	s_delay_alu instid0(SALU_CYCLE_1)
	s_or_b32 s35, s2, s35
.LBB617_102:                            ;   in Loop: Header=BB617_103 Depth=1
	v_dual_mov_b32 v40, s19 :: v_dual_mov_b32 v39, s18
	s_and_b32 s2, exec_lo, s35
	s_delay_alu instid0(SALU_CYCLE_1) | instskip(NEXT) | instid1(SALU_CYCLE_1)
	s_or_b32 s34, s2, s34
	s_and_not1_b32 exec_lo, exec_lo, s34
	s_cbranch_execz .LBB617_105
.LBB617_103:                            ; =>This Inner Loop Header: Depth=1
	s_or_b32 s35, s35, exec_lo
	s_cmp_eq_u64 s[6:7], s[18:19]
	s_cbranch_scc0 .LBB617_101
; %bb.104:                              ;   in Loop: Header=BB617_103 Depth=1
	s_mov_b64 s[18:19], s[22:23]
                                        ; implicit-def: $vgpr35_vgpr36
                                        ; implicit-def: $vgpr37_vgpr38
	s_branch .LBB617_102
.LBB617_105:
	s_set_inst_prefetch_distance 0x2
	s_or_b32 exec_lo, exec_lo, s34
	v_cmp_gt_i64_e32 vcc_lo, s[22:23], v[39:40]
	s_or_not1_b32 s2, vcc_lo, exec_lo
.LBB617_106:
	s_or_b32 exec_lo, exec_lo, s33
.LBB617_107:
	s_waitcnt lgkmcnt(0)
	v_dual_mov_b32 v36, s5 :: v_dual_mov_b32 v35, s4
	s_mov_b32 s6, exec_lo
	s_barrier
	buffer_gl0_inv
	v_cmpx_ne_u32_e32 0, v0
	s_cbranch_execz .LBB617_109
; %bb.108:
	v_add_nc_u32_e32 v35, -8, v55
	ds_load_b64 v[35:36], v35
.LBB617_109:
	s_or_b32 exec_lo, exec_lo, s6
	v_cndmask_b32_e64 v38, 0, 1, s31
	v_cndmask_b32_e64 v40, 0, 1, s29
	;; [unrolled: 1-line block ×7, first 2 shown]
	v_lshlrev_b16 v38, 8, v38
	v_lshlrev_b16 v40, 8, v40
	;; [unrolled: 1-line block ×4, first 2 shown]
	s_mov_b32 s3, 0
	v_or_b32_e32 v37, v37, v38
	v_or_b32_e32 v38, v39, v40
	;; [unrolled: 1-line block ×3, first 2 shown]
	v_and_b32_e32 v39, 0xffff, v43
	s_and_not1_b32 vcc_lo, exec_lo, s25
	v_lshlrev_b32_e32 v40, 16, v37
	v_and_b32_e32 v42, 0xffff, v38
	v_lshlrev_b32_e32 v43, 16, v44
	s_mov_b32 s2, 0
	s_cbranch_vccnz .LBB617_118
; %bb.110:
	s_waitcnt lgkmcnt(0)
	v_mul_lo_u32 v38, v36, s22
	v_mul_lo_u32 v44, v35, s23
	v_mad_u64_u32 v[36:37], null, v35, s22, 0
	s_mov_b32 s2, -1
	s_mov_b32 s26, exec_lo
	s_delay_alu instid0(VALU_DEP_1) | instskip(NEXT) | instid1(VALU_DEP_1)
	v_add3_u32 v37, v37, v44, v38
	v_lshlrev_b64 v[35:36], 3, v[36:37]
	s_delay_alu instid0(VALU_DEP_1) | instskip(NEXT) | instid1(VALU_DEP_2)
	v_add_co_u32 v35, vcc_lo, s8, v35
	v_add_co_ci_u32_e32 v36, vcc_lo, s9, v36, vcc_lo
	v_add_co_u32 v33, vcc_lo, s8, v33
	v_add_co_ci_u32_e32 v34, vcc_lo, s9, v34, vcc_lo
	s_clause 0x1
	global_load_b64 v[37:38], v[35:36], off
	global_load_b64 v[44:45], v[33:34], off
	s_waitcnt vmcnt(0)
	v_cmpx_eq_u64_e64 v[37:38], v[44:45]
	s_cbranch_execz .LBB617_117
; %bb.111:
	v_add_co_u32 v33, vcc_lo, v33, 8
	v_add_co_ci_u32_e32 v34, vcc_lo, 0, v34, vcc_lo
	v_add_co_u32 v35, vcc_lo, v35, 8
	v_add_co_ci_u32_e32 v36, vcc_lo, 0, v36, vcc_lo
	s_add_u32 s6, s22, -1
	s_addc_u32 s7, s23, -1
	s_mov_b64 s[18:19], 0
	s_mov_b32 s27, 0
                                        ; implicit-def: $sgpr29
	s_set_inst_prefetch_distance 0x1
	s_branch .LBB617_114
	.p2align	6
.LBB617_112:                            ;   in Loop: Header=BB617_114 Depth=1
	global_load_b64 v[37:38], v[35:36], off
	global_load_b64 v[44:45], v[33:34], off
	v_add_co_u32 v33, vcc_lo, v33, 8
	v_add_co_ci_u32_e32 v34, vcc_lo, 0, v34, vcc_lo
	v_add_co_u32 v35, s2, v35, 8
	s_delay_alu instid0(VALU_DEP_1)
	v_add_co_ci_u32_e64 v36, s2, 0, v36, s2
	s_add_u32 s18, s18, 1
	s_addc_u32 s19, s19, 0
	s_and_not1_b32 s2, s29, exec_lo
	s_waitcnt vmcnt(0)
	v_cmp_ne_u64_e32 vcc_lo, v[37:38], v[44:45]
	s_and_b32 s29, vcc_lo, exec_lo
	s_delay_alu instid0(SALU_CYCLE_1)
	s_or_b32 s29, s2, s29
.LBB617_113:                            ;   in Loop: Header=BB617_114 Depth=1
	v_dual_mov_b32 v38, s19 :: v_dual_mov_b32 v37, s18
	s_and_b32 s2, exec_lo, s29
	s_delay_alu instid0(SALU_CYCLE_1) | instskip(NEXT) | instid1(SALU_CYCLE_1)
	s_or_b32 s27, s2, s27
	s_and_not1_b32 exec_lo, exec_lo, s27
	s_cbranch_execz .LBB617_116
.LBB617_114:                            ; =>This Inner Loop Header: Depth=1
	s_or_b32 s29, s29, exec_lo
	s_cmp_eq_u64 s[6:7], s[18:19]
	s_cbranch_scc0 .LBB617_112
; %bb.115:                              ;   in Loop: Header=BB617_114 Depth=1
	s_mov_b64 s[18:19], s[22:23]
                                        ; implicit-def: $vgpr33_vgpr34
                                        ; implicit-def: $vgpr35_vgpr36
	s_branch .LBB617_113
.LBB617_116:
	s_set_inst_prefetch_distance 0x2
	s_or_b32 exec_lo, exec_lo, s27
	v_cmp_gt_i64_e32 vcc_lo, s[22:23], v[37:38]
	s_or_not1_b32 s2, vcc_lo, exec_lo
.LBB617_117:
	s_or_b32 exec_lo, exec_lo, s26
.LBB617_118:
	v_or_b32_e32 v33, v39, v40
	s_delay_alu instid0(VALU_DEP_2)
	v_or_b32_e32 v34, v42, v43
	s_and_b32 vcc_lo, exec_lo, s3
	s_cbranch_vccz .LBB617_210
.LBB617_119:
	v_or_b32_e32 v33, 7, v55
	s_mov_b32 s3, 0
	s_mov_b32 s26, 0
	s_mov_b32 s27, exec_lo
	s_delay_alu instid0(VALU_DEP_1)
	v_cmpx_gt_u32_e64 s28, v33
	s_cbranch_execz .LBB617_130
; %bb.120:
	s_and_not1_b32 vcc_lo, exec_lo, s25
	s_mov_b32 s2, 0
	s_cbranch_vccnz .LBB617_129
; %bb.121:
	v_mul_lo_u32 v37, v18, s22
	v_mul_lo_u32 v38, v17, s23
	v_mad_u64_u32 v[33:34], null, v17, s22, 0
	v_mul_lo_u32 v39, v20, s22
	v_mul_lo_u32 v40, v19, s23
	s_waitcnt lgkmcnt(0)
	v_mad_u64_u32 v[35:36], null, v19, s22, 0
	s_mov_b32 s2, -1
	s_mov_b32 s25, exec_lo
	s_delay_alu instid0(VALU_DEP_4) | instskip(NEXT) | instid1(VALU_DEP_2)
	v_add3_u32 v34, v34, v38, v37
	v_add3_u32 v36, v36, v40, v39
	s_delay_alu instid0(VALU_DEP_2) | instskip(NEXT) | instid1(VALU_DEP_2)
	v_lshlrev_b64 v[33:34], 3, v[33:34]
	v_lshlrev_b64 v[37:38], 3, v[35:36]
	s_delay_alu instid0(VALU_DEP_2) | instskip(NEXT) | instid1(VALU_DEP_3)
	v_add_co_u32 v35, vcc_lo, s8, v33
	v_add_co_ci_u32_e32 v36, vcc_lo, s9, v34, vcc_lo
	s_delay_alu instid0(VALU_DEP_3) | instskip(NEXT) | instid1(VALU_DEP_4)
	v_add_co_u32 v33, vcc_lo, s8, v37
	v_add_co_ci_u32_e32 v34, vcc_lo, s9, v38, vcc_lo
	s_clause 0x1
	global_load_b64 v[37:38], v[35:36], off
	global_load_b64 v[39:40], v[33:34], off
	s_waitcnt vmcnt(0)
	v_cmpx_eq_u64_e64 v[37:38], v[39:40]
	s_cbranch_execz .LBB617_128
; %bb.122:
	v_add_co_u32 v33, vcc_lo, v33, 8
	v_add_co_ci_u32_e32 v34, vcc_lo, 0, v34, vcc_lo
	v_add_co_u32 v35, vcc_lo, v35, 8
	v_add_co_ci_u32_e32 v36, vcc_lo, 0, v36, vcc_lo
	s_add_u32 s6, s22, -1
	s_addc_u32 s7, s23, -1
	s_mov_b64 s[18:19], 0
                                        ; implicit-def: $sgpr29
	s_set_inst_prefetch_distance 0x1
	s_branch .LBB617_125
	.p2align	6
.LBB617_123:                            ;   in Loop: Header=BB617_125 Depth=1
	global_load_b64 v[37:38], v[35:36], off
	global_load_b64 v[39:40], v[33:34], off
	v_add_co_u32 v33, vcc_lo, v33, 8
	v_add_co_ci_u32_e32 v34, vcc_lo, 0, v34, vcc_lo
	v_add_co_u32 v35, s2, v35, 8
	s_delay_alu instid0(VALU_DEP_1)
	v_add_co_ci_u32_e64 v36, s2, 0, v36, s2
	s_add_u32 s18, s18, 1
	s_addc_u32 s19, s19, 0
	s_and_not1_b32 s2, s29, exec_lo
	s_waitcnt vmcnt(0)
	v_cmp_ne_u64_e32 vcc_lo, v[37:38], v[39:40]
	s_and_b32 s29, vcc_lo, exec_lo
	s_delay_alu instid0(SALU_CYCLE_1)
	s_or_b32 s29, s2, s29
.LBB617_124:                            ;   in Loop: Header=BB617_125 Depth=1
	v_dual_mov_b32 v38, s19 :: v_dual_mov_b32 v37, s18
	s_and_b32 s2, exec_lo, s29
	s_delay_alu instid0(SALU_CYCLE_1) | instskip(NEXT) | instid1(SALU_CYCLE_1)
	s_or_b32 s26, s2, s26
	s_and_not1_b32 exec_lo, exec_lo, s26
	s_cbranch_execz .LBB617_127
.LBB617_125:                            ; =>This Inner Loop Header: Depth=1
	s_or_b32 s29, s29, exec_lo
	s_cmp_eq_u64 s[6:7], s[18:19]
	s_cbranch_scc0 .LBB617_123
; %bb.126:                              ;   in Loop: Header=BB617_125 Depth=1
	s_mov_b64 s[18:19], s[22:23]
                                        ; implicit-def: $vgpr33_vgpr34
                                        ; implicit-def: $vgpr35_vgpr36
	s_branch .LBB617_124
.LBB617_127:
	s_set_inst_prefetch_distance 0x2
	s_or_b32 exec_lo, exec_lo, s26
	v_cmp_gt_i64_e32 vcc_lo, s[22:23], v[37:38]
	s_or_not1_b32 s2, vcc_lo, exec_lo
.LBB617_128:
	s_or_b32 exec_lo, exec_lo, s25
.LBB617_129:
	s_delay_alu instid0(SALU_CYCLE_1)
	s_and_b32 s26, s2, exec_lo
.LBB617_130:
	s_or_b32 exec_lo, exec_lo, s27
	v_or_b32_e32 v33, 6, v55
	s_mov_b32 s25, exec_lo
	s_delay_alu instid0(VALU_DEP_1)
	v_cmpx_gt_u32_e64 s28, v33
	s_cbranch_execz .LBB617_141
; %bb.131:
	v_cmp_ne_u32_e32 vcc_lo, 1, v41
	s_mov_b32 s2, 0
	s_cbranch_vccnz .LBB617_140
; %bb.132:
	v_mul_lo_u32 v37, v24, s22
	v_mul_lo_u32 v38, v23, s23
	v_mad_u64_u32 v[33:34], null, v23, s22, 0
	v_mul_lo_u32 v39, v18, s22
	v_mul_lo_u32 v40, v17, s23
	s_waitcnt lgkmcnt(0)
	v_mad_u64_u32 v[35:36], null, v17, s22, 0
	s_mov_b32 s2, -1
	s_mov_b32 s3, exec_lo
	s_delay_alu instid0(VALU_DEP_4) | instskip(NEXT) | instid1(VALU_DEP_2)
	v_add3_u32 v34, v34, v38, v37
	v_add3_u32 v36, v36, v40, v39
	s_delay_alu instid0(VALU_DEP_2) | instskip(NEXT) | instid1(VALU_DEP_2)
	v_lshlrev_b64 v[33:34], 3, v[33:34]
	v_lshlrev_b64 v[37:38], 3, v[35:36]
	s_delay_alu instid0(VALU_DEP_2) | instskip(NEXT) | instid1(VALU_DEP_3)
	v_add_co_u32 v35, vcc_lo, s8, v33
	v_add_co_ci_u32_e32 v36, vcc_lo, s9, v34, vcc_lo
	s_delay_alu instid0(VALU_DEP_3) | instskip(NEXT) | instid1(VALU_DEP_4)
	v_add_co_u32 v33, vcc_lo, s8, v37
	v_add_co_ci_u32_e32 v34, vcc_lo, s9, v38, vcc_lo
	s_clause 0x1
	global_load_b64 v[37:38], v[35:36], off
	global_load_b64 v[39:40], v[33:34], off
	s_waitcnt vmcnt(0)
	v_cmpx_eq_u64_e64 v[37:38], v[39:40]
	s_cbranch_execz .LBB617_139
; %bb.133:
	v_add_co_u32 v33, vcc_lo, v33, 8
	v_add_co_ci_u32_e32 v34, vcc_lo, 0, v34, vcc_lo
	v_add_co_u32 v35, vcc_lo, v35, 8
	v_add_co_ci_u32_e32 v36, vcc_lo, 0, v36, vcc_lo
	s_add_u32 s6, s22, -1
	s_addc_u32 s7, s23, -1
	s_mov_b64 s[18:19], 0
	s_mov_b32 s27, 0
                                        ; implicit-def: $sgpr29
	s_set_inst_prefetch_distance 0x1
	s_branch .LBB617_136
	.p2align	6
.LBB617_134:                            ;   in Loop: Header=BB617_136 Depth=1
	global_load_b64 v[37:38], v[35:36], off
	global_load_b64 v[39:40], v[33:34], off
	v_add_co_u32 v33, vcc_lo, v33, 8
	v_add_co_ci_u32_e32 v34, vcc_lo, 0, v34, vcc_lo
	v_add_co_u32 v35, s2, v35, 8
	s_delay_alu instid0(VALU_DEP_1)
	v_add_co_ci_u32_e64 v36, s2, 0, v36, s2
	s_add_u32 s18, s18, 1
	s_addc_u32 s19, s19, 0
	s_and_not1_b32 s2, s29, exec_lo
	s_waitcnt vmcnt(0)
	v_cmp_ne_u64_e32 vcc_lo, v[37:38], v[39:40]
	s_and_b32 s29, vcc_lo, exec_lo
	s_delay_alu instid0(SALU_CYCLE_1)
	s_or_b32 s29, s2, s29
.LBB617_135:                            ;   in Loop: Header=BB617_136 Depth=1
	v_dual_mov_b32 v38, s19 :: v_dual_mov_b32 v37, s18
	s_and_b32 s2, exec_lo, s29
	s_delay_alu instid0(SALU_CYCLE_1) | instskip(NEXT) | instid1(SALU_CYCLE_1)
	s_or_b32 s27, s2, s27
	s_and_not1_b32 exec_lo, exec_lo, s27
	s_cbranch_execz .LBB617_138
.LBB617_136:                            ; =>This Inner Loop Header: Depth=1
	s_or_b32 s29, s29, exec_lo
	s_cmp_eq_u64 s[6:7], s[18:19]
	s_cbranch_scc0 .LBB617_134
; %bb.137:                              ;   in Loop: Header=BB617_136 Depth=1
	s_mov_b64 s[18:19], s[22:23]
                                        ; implicit-def: $vgpr33_vgpr34
                                        ; implicit-def: $vgpr35_vgpr36
	s_branch .LBB617_135
.LBB617_138:
	s_set_inst_prefetch_distance 0x2
	s_or_b32 exec_lo, exec_lo, s27
	v_cmp_gt_i64_e32 vcc_lo, s[22:23], v[37:38]
	s_or_not1_b32 s2, vcc_lo, exec_lo
.LBB617_139:
	s_or_b32 exec_lo, exec_lo, s3
.LBB617_140:
	s_delay_alu instid0(SALU_CYCLE_1)
	s_and_b32 s3, s2, exec_lo
.LBB617_141:
	s_or_b32 exec_lo, exec_lo, s25
	v_or_b32_e32 v33, 5, v55
	s_mov_b32 s27, 0
	s_mov_b32 s25, 0
	s_mov_b32 s29, exec_lo
	s_delay_alu instid0(VALU_DEP_1)
	v_cmpx_gt_u32_e64 s28, v33
	s_cbranch_execz .LBB617_152
; %bb.142:
	v_cmp_ne_u32_e32 vcc_lo, 1, v41
	s_mov_b32 s2, 0
	s_cbranch_vccnz .LBB617_151
; %bb.143:
	v_mul_lo_u32 v37, v22, s22
	v_mul_lo_u32 v38, v21, s23
	v_mad_u64_u32 v[33:34], null, v21, s22, 0
	v_mul_lo_u32 v39, v24, s22
	v_mul_lo_u32 v40, v23, s23
	s_waitcnt lgkmcnt(0)
	v_mad_u64_u32 v[35:36], null, v23, s22, 0
	s_mov_b32 s2, -1
	s_mov_b32 s25, exec_lo
	s_delay_alu instid0(VALU_DEP_4) | instskip(NEXT) | instid1(VALU_DEP_2)
	v_add3_u32 v34, v34, v38, v37
	v_add3_u32 v36, v36, v40, v39
	s_delay_alu instid0(VALU_DEP_2) | instskip(NEXT) | instid1(VALU_DEP_2)
	v_lshlrev_b64 v[33:34], 3, v[33:34]
	v_lshlrev_b64 v[37:38], 3, v[35:36]
	s_delay_alu instid0(VALU_DEP_2) | instskip(NEXT) | instid1(VALU_DEP_3)
	v_add_co_u32 v35, vcc_lo, s8, v33
	v_add_co_ci_u32_e32 v36, vcc_lo, s9, v34, vcc_lo
	s_delay_alu instid0(VALU_DEP_3) | instskip(NEXT) | instid1(VALU_DEP_4)
	v_add_co_u32 v33, vcc_lo, s8, v37
	v_add_co_ci_u32_e32 v34, vcc_lo, s9, v38, vcc_lo
	s_clause 0x1
	global_load_b64 v[37:38], v[35:36], off
	global_load_b64 v[39:40], v[33:34], off
	s_waitcnt vmcnt(0)
	v_cmpx_eq_u64_e64 v[37:38], v[39:40]
	s_cbranch_execz .LBB617_150
; %bb.144:
	v_add_co_u32 v33, vcc_lo, v33, 8
	v_add_co_ci_u32_e32 v34, vcc_lo, 0, v34, vcc_lo
	v_add_co_u32 v35, vcc_lo, v35, 8
	v_add_co_ci_u32_e32 v36, vcc_lo, 0, v36, vcc_lo
	s_add_u32 s6, s22, -1
	s_addc_u32 s7, s23, -1
	s_mov_b64 s[18:19], 0
	s_mov_b32 s30, 0
                                        ; implicit-def: $sgpr31
	s_set_inst_prefetch_distance 0x1
	s_branch .LBB617_147
	.p2align	6
.LBB617_145:                            ;   in Loop: Header=BB617_147 Depth=1
	global_load_b64 v[37:38], v[35:36], off
	global_load_b64 v[39:40], v[33:34], off
	v_add_co_u32 v33, vcc_lo, v33, 8
	v_add_co_ci_u32_e32 v34, vcc_lo, 0, v34, vcc_lo
	v_add_co_u32 v35, s2, v35, 8
	s_delay_alu instid0(VALU_DEP_1)
	v_add_co_ci_u32_e64 v36, s2, 0, v36, s2
	s_add_u32 s18, s18, 1
	s_addc_u32 s19, s19, 0
	s_and_not1_b32 s2, s31, exec_lo
	s_waitcnt vmcnt(0)
	v_cmp_ne_u64_e32 vcc_lo, v[37:38], v[39:40]
	s_and_b32 s31, vcc_lo, exec_lo
	s_delay_alu instid0(SALU_CYCLE_1)
	s_or_b32 s31, s2, s31
.LBB617_146:                            ;   in Loop: Header=BB617_147 Depth=1
	v_dual_mov_b32 v38, s19 :: v_dual_mov_b32 v37, s18
	s_and_b32 s2, exec_lo, s31
	s_delay_alu instid0(SALU_CYCLE_1) | instskip(NEXT) | instid1(SALU_CYCLE_1)
	s_or_b32 s30, s2, s30
	s_and_not1_b32 exec_lo, exec_lo, s30
	s_cbranch_execz .LBB617_149
.LBB617_147:                            ; =>This Inner Loop Header: Depth=1
	s_or_b32 s31, s31, exec_lo
	s_cmp_eq_u64 s[6:7], s[18:19]
	s_cbranch_scc0 .LBB617_145
; %bb.148:                              ;   in Loop: Header=BB617_147 Depth=1
	s_mov_b64 s[18:19], s[22:23]
                                        ; implicit-def: $vgpr33_vgpr34
                                        ; implicit-def: $vgpr35_vgpr36
	s_branch .LBB617_146
.LBB617_149:
	s_set_inst_prefetch_distance 0x2
	s_or_b32 exec_lo, exec_lo, s30
	v_cmp_gt_i64_e32 vcc_lo, s[22:23], v[37:38]
	s_or_not1_b32 s2, vcc_lo, exec_lo
.LBB617_150:
	s_or_b32 exec_lo, exec_lo, s25
.LBB617_151:
	s_delay_alu instid0(SALU_CYCLE_1)
	s_and_b32 s25, s2, exec_lo
.LBB617_152:
	s_or_b32 exec_lo, exec_lo, s29
	v_or_b32_e32 v33, 4, v55
	s_mov_b32 s29, exec_lo
	s_delay_alu instid0(VALU_DEP_1)
	v_cmpx_gt_u32_e64 s28, v33
	s_cbranch_execz .LBB617_163
; %bb.153:
	v_cmp_ne_u32_e32 vcc_lo, 1, v41
	s_mov_b32 s2, 0
	s_cbranch_vccnz .LBB617_162
; %bb.154:
	v_mul_lo_u32 v37, v28, s22
	v_mul_lo_u32 v38, v27, s23
	v_mad_u64_u32 v[33:34], null, v27, s22, 0
	v_mul_lo_u32 v39, v22, s22
	v_mul_lo_u32 v40, v21, s23
	s_waitcnt lgkmcnt(0)
	v_mad_u64_u32 v[35:36], null, v21, s22, 0
	s_mov_b32 s2, -1
	s_mov_b32 s27, exec_lo
	s_delay_alu instid0(VALU_DEP_4) | instskip(NEXT) | instid1(VALU_DEP_2)
	v_add3_u32 v34, v34, v38, v37
	v_add3_u32 v36, v36, v40, v39
	s_delay_alu instid0(VALU_DEP_2) | instskip(NEXT) | instid1(VALU_DEP_2)
	v_lshlrev_b64 v[33:34], 3, v[33:34]
	v_lshlrev_b64 v[37:38], 3, v[35:36]
	s_delay_alu instid0(VALU_DEP_2) | instskip(NEXT) | instid1(VALU_DEP_3)
	v_add_co_u32 v35, vcc_lo, s8, v33
	v_add_co_ci_u32_e32 v36, vcc_lo, s9, v34, vcc_lo
	s_delay_alu instid0(VALU_DEP_3) | instskip(NEXT) | instid1(VALU_DEP_4)
	v_add_co_u32 v33, vcc_lo, s8, v37
	v_add_co_ci_u32_e32 v34, vcc_lo, s9, v38, vcc_lo
	s_clause 0x1
	global_load_b64 v[37:38], v[35:36], off
	global_load_b64 v[39:40], v[33:34], off
	s_waitcnt vmcnt(0)
	v_cmpx_eq_u64_e64 v[37:38], v[39:40]
	s_cbranch_execz .LBB617_161
; %bb.155:
	v_add_co_u32 v33, vcc_lo, v33, 8
	v_add_co_ci_u32_e32 v34, vcc_lo, 0, v34, vcc_lo
	v_add_co_u32 v35, vcc_lo, v35, 8
	v_add_co_ci_u32_e32 v36, vcc_lo, 0, v36, vcc_lo
	s_add_u32 s6, s22, -1
	s_addc_u32 s7, s23, -1
	s_mov_b64 s[18:19], 0
	s_mov_b32 s30, 0
                                        ; implicit-def: $sgpr31
	s_set_inst_prefetch_distance 0x1
	s_branch .LBB617_158
	.p2align	6
.LBB617_156:                            ;   in Loop: Header=BB617_158 Depth=1
	global_load_b64 v[37:38], v[35:36], off
	global_load_b64 v[39:40], v[33:34], off
	v_add_co_u32 v33, vcc_lo, v33, 8
	v_add_co_ci_u32_e32 v34, vcc_lo, 0, v34, vcc_lo
	v_add_co_u32 v35, s2, v35, 8
	s_delay_alu instid0(VALU_DEP_1)
	v_add_co_ci_u32_e64 v36, s2, 0, v36, s2
	s_add_u32 s18, s18, 1
	s_addc_u32 s19, s19, 0
	s_and_not1_b32 s2, s31, exec_lo
	s_waitcnt vmcnt(0)
	v_cmp_ne_u64_e32 vcc_lo, v[37:38], v[39:40]
	s_and_b32 s31, vcc_lo, exec_lo
	s_delay_alu instid0(SALU_CYCLE_1)
	s_or_b32 s31, s2, s31
.LBB617_157:                            ;   in Loop: Header=BB617_158 Depth=1
	v_dual_mov_b32 v38, s19 :: v_dual_mov_b32 v37, s18
	s_and_b32 s2, exec_lo, s31
	s_delay_alu instid0(SALU_CYCLE_1) | instskip(NEXT) | instid1(SALU_CYCLE_1)
	s_or_b32 s30, s2, s30
	s_and_not1_b32 exec_lo, exec_lo, s30
	s_cbranch_execz .LBB617_160
.LBB617_158:                            ; =>This Inner Loop Header: Depth=1
	s_or_b32 s31, s31, exec_lo
	s_cmp_eq_u64 s[6:7], s[18:19]
	s_cbranch_scc0 .LBB617_156
; %bb.159:                              ;   in Loop: Header=BB617_158 Depth=1
	s_mov_b64 s[18:19], s[22:23]
                                        ; implicit-def: $vgpr33_vgpr34
                                        ; implicit-def: $vgpr35_vgpr36
	s_branch .LBB617_157
.LBB617_160:
	s_set_inst_prefetch_distance 0x2
	s_or_b32 exec_lo, exec_lo, s30
	v_cmp_gt_i64_e32 vcc_lo, s[22:23], v[37:38]
	s_or_not1_b32 s2, vcc_lo, exec_lo
.LBB617_161:
	s_or_b32 exec_lo, exec_lo, s27
.LBB617_162:
	s_delay_alu instid0(SALU_CYCLE_1)
	s_and_b32 s27, s2, exec_lo
.LBB617_163:
	s_or_b32 exec_lo, exec_lo, s29
	v_or_b32_e32 v33, 3, v55
	s_mov_b32 s30, 0
	s_mov_b32 s29, 0
	s_mov_b32 s31, exec_lo
	s_delay_alu instid0(VALU_DEP_1)
	v_cmpx_gt_u32_e64 s28, v33
	s_cbranch_execz .LBB617_174
; %bb.164:
	v_cmp_ne_u32_e32 vcc_lo, 1, v41
	s_mov_b32 s2, 0
	s_cbranch_vccnz .LBB617_173
; %bb.165:
	v_mul_lo_u32 v37, v26, s22
	v_mul_lo_u32 v38, v25, s23
	v_mad_u64_u32 v[33:34], null, v25, s22, 0
	v_mul_lo_u32 v39, v28, s22
	v_mul_lo_u32 v40, v27, s23
	s_waitcnt lgkmcnt(0)
	v_mad_u64_u32 v[35:36], null, v27, s22, 0
	s_mov_b32 s2, -1
	s_mov_b32 s29, exec_lo
	s_delay_alu instid0(VALU_DEP_4) | instskip(NEXT) | instid1(VALU_DEP_2)
	v_add3_u32 v34, v34, v38, v37
	v_add3_u32 v36, v36, v40, v39
	s_delay_alu instid0(VALU_DEP_2) | instskip(NEXT) | instid1(VALU_DEP_2)
	v_lshlrev_b64 v[33:34], 3, v[33:34]
	v_lshlrev_b64 v[37:38], 3, v[35:36]
	s_delay_alu instid0(VALU_DEP_2) | instskip(NEXT) | instid1(VALU_DEP_3)
	v_add_co_u32 v35, vcc_lo, s8, v33
	v_add_co_ci_u32_e32 v36, vcc_lo, s9, v34, vcc_lo
	s_delay_alu instid0(VALU_DEP_3) | instskip(NEXT) | instid1(VALU_DEP_4)
	v_add_co_u32 v33, vcc_lo, s8, v37
	v_add_co_ci_u32_e32 v34, vcc_lo, s9, v38, vcc_lo
	s_clause 0x1
	global_load_b64 v[37:38], v[35:36], off
	global_load_b64 v[39:40], v[33:34], off
	s_waitcnt vmcnt(0)
	v_cmpx_eq_u64_e64 v[37:38], v[39:40]
	s_cbranch_execz .LBB617_172
; %bb.166:
	v_add_co_u32 v33, vcc_lo, v33, 8
	v_add_co_ci_u32_e32 v34, vcc_lo, 0, v34, vcc_lo
	v_add_co_u32 v35, vcc_lo, v35, 8
	v_add_co_ci_u32_e32 v36, vcc_lo, 0, v36, vcc_lo
	s_add_u32 s6, s22, -1
	s_addc_u32 s7, s23, -1
	s_mov_b64 s[18:19], 0
	s_mov_b32 s33, 0
                                        ; implicit-def: $sgpr34
	s_set_inst_prefetch_distance 0x1
	s_branch .LBB617_169
	.p2align	6
.LBB617_167:                            ;   in Loop: Header=BB617_169 Depth=1
	global_load_b64 v[37:38], v[35:36], off
	global_load_b64 v[39:40], v[33:34], off
	v_add_co_u32 v33, vcc_lo, v33, 8
	v_add_co_ci_u32_e32 v34, vcc_lo, 0, v34, vcc_lo
	v_add_co_u32 v35, s2, v35, 8
	s_delay_alu instid0(VALU_DEP_1)
	v_add_co_ci_u32_e64 v36, s2, 0, v36, s2
	s_add_u32 s18, s18, 1
	s_addc_u32 s19, s19, 0
	s_and_not1_b32 s2, s34, exec_lo
	s_waitcnt vmcnt(0)
	v_cmp_ne_u64_e32 vcc_lo, v[37:38], v[39:40]
	s_and_b32 s34, vcc_lo, exec_lo
	s_delay_alu instid0(SALU_CYCLE_1)
	s_or_b32 s34, s2, s34
.LBB617_168:                            ;   in Loop: Header=BB617_169 Depth=1
	v_dual_mov_b32 v38, s19 :: v_dual_mov_b32 v37, s18
	s_and_b32 s2, exec_lo, s34
	s_delay_alu instid0(SALU_CYCLE_1) | instskip(NEXT) | instid1(SALU_CYCLE_1)
	s_or_b32 s33, s2, s33
	s_and_not1_b32 exec_lo, exec_lo, s33
	s_cbranch_execz .LBB617_171
.LBB617_169:                            ; =>This Inner Loop Header: Depth=1
	s_or_b32 s34, s34, exec_lo
	s_cmp_eq_u64 s[6:7], s[18:19]
	s_cbranch_scc0 .LBB617_167
; %bb.170:                              ;   in Loop: Header=BB617_169 Depth=1
	s_mov_b64 s[18:19], s[22:23]
                                        ; implicit-def: $vgpr33_vgpr34
                                        ; implicit-def: $vgpr35_vgpr36
	s_branch .LBB617_168
.LBB617_171:
	s_set_inst_prefetch_distance 0x2
	s_or_b32 exec_lo, exec_lo, s33
	v_cmp_gt_i64_e32 vcc_lo, s[22:23], v[37:38]
	s_or_not1_b32 s2, vcc_lo, exec_lo
.LBB617_172:
	s_or_b32 exec_lo, exec_lo, s29
.LBB617_173:
	s_delay_alu instid0(SALU_CYCLE_1)
	s_and_b32 s29, s2, exec_lo
.LBB617_174:
	s_or_b32 exec_lo, exec_lo, s31
	v_or_b32_e32 v33, 2, v55
	s_mov_b32 s31, exec_lo
	s_delay_alu instid0(VALU_DEP_1)
	v_cmpx_gt_u32_e64 s28, v33
	s_cbranch_execz .LBB617_185
; %bb.175:
	v_cmp_ne_u32_e32 vcc_lo, 1, v41
	s_mov_b32 s2, 0
	s_cbranch_vccnz .LBB617_184
; %bb.176:
	v_mul_lo_u32 v37, v32, s22
	v_mul_lo_u32 v38, v31, s23
	v_mad_u64_u32 v[33:34], null, v31, s22, 0
	v_mul_lo_u32 v39, v26, s22
	v_mul_lo_u32 v40, v25, s23
	s_waitcnt lgkmcnt(0)
	v_mad_u64_u32 v[35:36], null, v25, s22, 0
	s_mov_b32 s2, -1
	s_mov_b32 s30, exec_lo
	s_delay_alu instid0(VALU_DEP_4) | instskip(NEXT) | instid1(VALU_DEP_2)
	v_add3_u32 v34, v34, v38, v37
	v_add3_u32 v36, v36, v40, v39
	s_delay_alu instid0(VALU_DEP_2) | instskip(NEXT) | instid1(VALU_DEP_2)
	v_lshlrev_b64 v[33:34], 3, v[33:34]
	v_lshlrev_b64 v[37:38], 3, v[35:36]
	s_delay_alu instid0(VALU_DEP_2) | instskip(NEXT) | instid1(VALU_DEP_3)
	v_add_co_u32 v35, vcc_lo, s8, v33
	v_add_co_ci_u32_e32 v36, vcc_lo, s9, v34, vcc_lo
	s_delay_alu instid0(VALU_DEP_3) | instskip(NEXT) | instid1(VALU_DEP_4)
	v_add_co_u32 v33, vcc_lo, s8, v37
	v_add_co_ci_u32_e32 v34, vcc_lo, s9, v38, vcc_lo
	s_clause 0x1
	global_load_b64 v[37:38], v[35:36], off
	global_load_b64 v[39:40], v[33:34], off
	s_waitcnt vmcnt(0)
	v_cmpx_eq_u64_e64 v[37:38], v[39:40]
	s_cbranch_execz .LBB617_183
; %bb.177:
	v_add_co_u32 v33, vcc_lo, v33, 8
	v_add_co_ci_u32_e32 v34, vcc_lo, 0, v34, vcc_lo
	v_add_co_u32 v35, vcc_lo, v35, 8
	v_add_co_ci_u32_e32 v36, vcc_lo, 0, v36, vcc_lo
	s_add_u32 s6, s22, -1
	s_addc_u32 s7, s23, -1
	s_mov_b64 s[18:19], 0
	s_mov_b32 s33, 0
                                        ; implicit-def: $sgpr34
	s_set_inst_prefetch_distance 0x1
	s_branch .LBB617_180
	.p2align	6
.LBB617_178:                            ;   in Loop: Header=BB617_180 Depth=1
	global_load_b64 v[37:38], v[35:36], off
	global_load_b64 v[39:40], v[33:34], off
	v_add_co_u32 v33, vcc_lo, v33, 8
	v_add_co_ci_u32_e32 v34, vcc_lo, 0, v34, vcc_lo
	v_add_co_u32 v35, s2, v35, 8
	s_delay_alu instid0(VALU_DEP_1)
	v_add_co_ci_u32_e64 v36, s2, 0, v36, s2
	s_add_u32 s18, s18, 1
	s_addc_u32 s19, s19, 0
	s_and_not1_b32 s2, s34, exec_lo
	s_waitcnt vmcnt(0)
	v_cmp_ne_u64_e32 vcc_lo, v[37:38], v[39:40]
	s_and_b32 s34, vcc_lo, exec_lo
	s_delay_alu instid0(SALU_CYCLE_1)
	s_or_b32 s34, s2, s34
.LBB617_179:                            ;   in Loop: Header=BB617_180 Depth=1
	v_dual_mov_b32 v38, s19 :: v_dual_mov_b32 v37, s18
	s_and_b32 s2, exec_lo, s34
	s_delay_alu instid0(SALU_CYCLE_1) | instskip(NEXT) | instid1(SALU_CYCLE_1)
	s_or_b32 s33, s2, s33
	s_and_not1_b32 exec_lo, exec_lo, s33
	s_cbranch_execz .LBB617_182
.LBB617_180:                            ; =>This Inner Loop Header: Depth=1
	s_or_b32 s34, s34, exec_lo
	s_cmp_eq_u64 s[6:7], s[18:19]
	s_cbranch_scc0 .LBB617_178
; %bb.181:                              ;   in Loop: Header=BB617_180 Depth=1
	s_mov_b64 s[18:19], s[22:23]
                                        ; implicit-def: $vgpr33_vgpr34
                                        ; implicit-def: $vgpr35_vgpr36
	s_branch .LBB617_179
.LBB617_182:
	s_set_inst_prefetch_distance 0x2
	s_or_b32 exec_lo, exec_lo, s33
	v_cmp_gt_i64_e32 vcc_lo, s[22:23], v[37:38]
	s_or_not1_b32 s2, vcc_lo, exec_lo
.LBB617_183:
	s_or_b32 exec_lo, exec_lo, s30
.LBB617_184:
	s_delay_alu instid0(SALU_CYCLE_1)
	s_and_b32 s30, s2, exec_lo
.LBB617_185:
	s_or_b32 exec_lo, exec_lo, s31
	v_or_b32_e32 v33, 1, v55
	s_mov_b32 s2, 0
	s_mov_b32 s31, exec_lo
	s_delay_alu instid0(VALU_DEP_1)
	v_cmpx_gt_u32_e64 s28, v33
	s_cbranch_execz .LBB617_196
; %bb.186:
	v_cmp_ne_u32_e32 vcc_lo, 1, v41
	s_cbranch_vccnz .LBB617_195
; %bb.187:
	v_mul_lo_u32 v37, v30, s22
	v_mul_lo_u32 v38, v29, s23
	v_mad_u64_u32 v[33:34], null, v29, s22, 0
	v_mul_lo_u32 v39, v32, s22
	v_mul_lo_u32 v40, v31, s23
	s_waitcnt lgkmcnt(0)
	v_mad_u64_u32 v[35:36], null, v31, s22, 0
	s_mov_b32 s2, -1
	s_mov_b32 s33, exec_lo
	s_delay_alu instid0(VALU_DEP_4) | instskip(NEXT) | instid1(VALU_DEP_2)
	v_add3_u32 v34, v34, v38, v37
	v_add3_u32 v36, v36, v40, v39
	s_delay_alu instid0(VALU_DEP_2) | instskip(NEXT) | instid1(VALU_DEP_2)
	v_lshlrev_b64 v[33:34], 3, v[33:34]
	v_lshlrev_b64 v[37:38], 3, v[35:36]
	s_delay_alu instid0(VALU_DEP_2) | instskip(NEXT) | instid1(VALU_DEP_3)
	v_add_co_u32 v35, vcc_lo, s8, v33
	v_add_co_ci_u32_e32 v36, vcc_lo, s9, v34, vcc_lo
	s_delay_alu instid0(VALU_DEP_3) | instskip(NEXT) | instid1(VALU_DEP_4)
	v_add_co_u32 v33, vcc_lo, s8, v37
	v_add_co_ci_u32_e32 v34, vcc_lo, s9, v38, vcc_lo
	s_clause 0x1
	global_load_b64 v[37:38], v[35:36], off
	global_load_b64 v[39:40], v[33:34], off
	s_waitcnt vmcnt(0)
	v_cmpx_eq_u64_e64 v[37:38], v[39:40]
	s_cbranch_execz .LBB617_194
; %bb.188:
	v_add_co_u32 v33, vcc_lo, v33, 8
	v_add_co_ci_u32_e32 v34, vcc_lo, 0, v34, vcc_lo
	v_add_co_u32 v35, vcc_lo, v35, 8
	v_add_co_ci_u32_e32 v36, vcc_lo, 0, v36, vcc_lo
	s_add_u32 s6, s22, -1
	s_addc_u32 s7, s23, -1
	s_mov_b64 s[18:19], 0
	s_mov_b32 s34, 0
                                        ; implicit-def: $sgpr35
	s_set_inst_prefetch_distance 0x1
	s_branch .LBB617_191
	.p2align	6
.LBB617_189:                            ;   in Loop: Header=BB617_191 Depth=1
	global_load_b64 v[37:38], v[35:36], off
	global_load_b64 v[39:40], v[33:34], off
	v_add_co_u32 v33, vcc_lo, v33, 8
	v_add_co_ci_u32_e32 v34, vcc_lo, 0, v34, vcc_lo
	v_add_co_u32 v35, s2, v35, 8
	s_delay_alu instid0(VALU_DEP_1)
	v_add_co_ci_u32_e64 v36, s2, 0, v36, s2
	s_add_u32 s18, s18, 1
	s_addc_u32 s19, s19, 0
	s_and_not1_b32 s2, s35, exec_lo
	s_waitcnt vmcnt(0)
	v_cmp_ne_u64_e32 vcc_lo, v[37:38], v[39:40]
	s_and_b32 s35, vcc_lo, exec_lo
	s_delay_alu instid0(SALU_CYCLE_1)
	s_or_b32 s35, s2, s35
.LBB617_190:                            ;   in Loop: Header=BB617_191 Depth=1
	v_dual_mov_b32 v38, s19 :: v_dual_mov_b32 v37, s18
	s_and_b32 s2, exec_lo, s35
	s_delay_alu instid0(SALU_CYCLE_1) | instskip(NEXT) | instid1(SALU_CYCLE_1)
	s_or_b32 s34, s2, s34
	s_and_not1_b32 exec_lo, exec_lo, s34
	s_cbranch_execz .LBB617_193
.LBB617_191:                            ; =>This Inner Loop Header: Depth=1
	s_or_b32 s35, s35, exec_lo
	s_cmp_eq_u64 s[6:7], s[18:19]
	s_cbranch_scc0 .LBB617_189
; %bb.192:                              ;   in Loop: Header=BB617_191 Depth=1
	s_mov_b64 s[18:19], s[22:23]
                                        ; implicit-def: $vgpr33_vgpr34
                                        ; implicit-def: $vgpr35_vgpr36
	s_branch .LBB617_190
.LBB617_193:
	s_set_inst_prefetch_distance 0x2
	s_or_b32 exec_lo, exec_lo, s34
	v_cmp_gt_i64_e32 vcc_lo, s[22:23], v[37:38]
	s_or_not1_b32 s2, vcc_lo, exec_lo
.LBB617_194:
	s_or_b32 exec_lo, exec_lo, s33
.LBB617_195:
	s_delay_alu instid0(SALU_CYCLE_1)
	s_and_b32 s2, s2, exec_lo
.LBB617_196:
	s_or_b32 exec_lo, exec_lo, s31
	s_waitcnt lgkmcnt(0)
	v_dual_mov_b32 v34, s5 :: v_dual_mov_b32 v33, s4
	s_mov_b32 s4, exec_lo
	s_barrier
	buffer_gl0_inv
	v_cmpx_ne_u32_e32 0, v0
	s_cbranch_execz .LBB617_198
; %bb.197:
	v_add_nc_u32_e32 v33, -8, v55
	ds_load_b64 v[33:34], v33
.LBB617_198:
	s_or_b32 exec_lo, exec_lo, s4
	v_cndmask_b32_e64 v36, 0, 1, s29
	v_cndmask_b32_e64 v38, 0, 1, s25
	;; [unrolled: 1-line block ×7, first 2 shown]
	v_lshlrev_b16 v36, 8, v36
	v_lshlrev_b16 v38, 8, v38
	;; [unrolled: 1-line block ×3, first 2 shown]
	s_mov_b32 s2, 0
	v_lshlrev_b16 v42, 8, v42
	v_or_b32_e32 v35, v35, v36
	v_or_b32_e32 v36, v37, v38
	v_or_b32_e32 v37, v40, v39
	s_mov_b32 s3, exec_lo
	v_and_b32_e32 v39, 0xffff, v42
	v_lshlrev_b32_e32 v40, 16, v35
	v_and_b32_e32 v42, 0xffff, v36
	v_lshlrev_b32_e32 v43, 16, v37
	v_cmpx_gt_u32_e64 s28, v55
	s_cbranch_execz .LBB617_209
; %bb.199:
	v_cmp_ne_u32_e32 vcc_lo, 1, v41
	s_cbranch_vccnz .LBB617_208
; %bb.200:
	s_waitcnt lgkmcnt(0)
	v_mul_lo_u32 v38, v34, s22
	v_mul_lo_u32 v41, v33, s23
	v_mad_u64_u32 v[34:35], null, v33, s22, 0
	v_mul_lo_u32 v33, v30, s22
	v_mul_lo_u32 v44, v29, s23
	v_mad_u64_u32 v[36:37], null, v29, s22, 0
	s_mov_b32 s2, -1
	s_mov_b32 s18, exec_lo
	s_delay_alu instid0(VALU_DEP_4) | instskip(NEXT) | instid1(VALU_DEP_2)
	v_add3_u32 v35, v35, v41, v38
	v_add3_u32 v37, v37, v44, v33
	s_delay_alu instid0(VALU_DEP_2) | instskip(NEXT) | instid1(VALU_DEP_2)
	v_lshlrev_b64 v[33:34], 3, v[34:35]
	v_lshlrev_b64 v[37:38], 3, v[36:37]
	s_delay_alu instid0(VALU_DEP_2) | instskip(NEXT) | instid1(VALU_DEP_3)
	v_add_co_u32 v35, vcc_lo, s8, v33
	v_add_co_ci_u32_e32 v36, vcc_lo, s9, v34, vcc_lo
	s_delay_alu instid0(VALU_DEP_3) | instskip(NEXT) | instid1(VALU_DEP_4)
	v_add_co_u32 v33, vcc_lo, s8, v37
	v_add_co_ci_u32_e32 v34, vcc_lo, s9, v38, vcc_lo
	s_clause 0x1
	global_load_b64 v[37:38], v[35:36], off
	global_load_b64 v[44:45], v[33:34], off
	s_waitcnt vmcnt(0)
	v_cmpx_eq_u64_e64 v[37:38], v[44:45]
	s_cbranch_execz .LBB617_207
; %bb.201:
	v_add_co_u32 v33, vcc_lo, v33, 8
	v_add_co_ci_u32_e32 v34, vcc_lo, 0, v34, vcc_lo
	v_add_co_u32 v35, vcc_lo, v35, 8
	v_add_co_ci_u32_e32 v36, vcc_lo, 0, v36, vcc_lo
	s_add_u32 s4, s22, -1
	s_addc_u32 s5, s23, -1
	s_mov_b64 s[6:7], 0
	s_mov_b32 s19, 0
                                        ; implicit-def: $sgpr25
	s_set_inst_prefetch_distance 0x1
	s_branch .LBB617_204
	.p2align	6
.LBB617_202:                            ;   in Loop: Header=BB617_204 Depth=1
	global_load_b64 v[37:38], v[35:36], off
	global_load_b64 v[44:45], v[33:34], off
	v_add_co_u32 v33, vcc_lo, v33, 8
	v_add_co_ci_u32_e32 v34, vcc_lo, 0, v34, vcc_lo
	v_add_co_u32 v35, s2, v35, 8
	s_delay_alu instid0(VALU_DEP_1)
	v_add_co_ci_u32_e64 v36, s2, 0, v36, s2
	s_add_u32 s6, s6, 1
	s_addc_u32 s7, s7, 0
	s_and_not1_b32 s2, s25, exec_lo
	s_waitcnt vmcnt(0)
	v_cmp_ne_u64_e32 vcc_lo, v[37:38], v[44:45]
	s_and_b32 s25, vcc_lo, exec_lo
	s_delay_alu instid0(SALU_CYCLE_1)
	s_or_b32 s25, s2, s25
.LBB617_203:                            ;   in Loop: Header=BB617_204 Depth=1
	v_dual_mov_b32 v38, s7 :: v_dual_mov_b32 v37, s6
	s_and_b32 s2, exec_lo, s25
	s_delay_alu instid0(SALU_CYCLE_1) | instskip(NEXT) | instid1(SALU_CYCLE_1)
	s_or_b32 s19, s2, s19
	s_and_not1_b32 exec_lo, exec_lo, s19
	s_cbranch_execz .LBB617_206
.LBB617_204:                            ; =>This Inner Loop Header: Depth=1
	s_or_b32 s25, s25, exec_lo
	s_cmp_eq_u64 s[4:5], s[6:7]
	s_cbranch_scc0 .LBB617_202
; %bb.205:                              ;   in Loop: Header=BB617_204 Depth=1
	s_mov_b64 s[6:7], s[22:23]
                                        ; implicit-def: $vgpr33_vgpr34
                                        ; implicit-def: $vgpr35_vgpr36
	s_branch .LBB617_203
.LBB617_206:
	s_set_inst_prefetch_distance 0x2
	s_or_b32 exec_lo, exec_lo, s19
	v_cmp_gt_i64_e32 vcc_lo, s[22:23], v[37:38]
	s_or_not1_b32 s2, vcc_lo, exec_lo
.LBB617_207:
	s_or_b32 exec_lo, exec_lo, s18
.LBB617_208:
	s_delay_alu instid0(SALU_CYCLE_1)
	s_and_b32 s2, s2, exec_lo
.LBB617_209:
	s_or_b32 exec_lo, exec_lo, s3
	s_waitcnt lgkmcnt(0)
	v_or_b32_e32 v33, v39, v40
	v_or_b32_e32 v34, v42, v43
.LBB617_210:
	s_waitcnt lgkmcnt(0)
	s_mov_b32 s3, -1
	s_cbranch_execnz .LBB617_379
.LBB617_211:
	v_cmp_gt_i64_e64 s18, s[22:23], 0
	s_and_b32 vcc_lo, exec_lo, s20
	ds_store_b64 v55, v[19:20]
	s_cbranch_vccz .LBB617_219
; %bb.212:
	v_mul_lo_u32 v35, v18, s22
	v_mul_lo_u32 v36, v17, s23
	v_mad_u64_u32 v[33:34], null, v17, s22, 0
	s_mov_b32 s19, 0
	s_and_not1_b32 vcc_lo, exec_lo, s18
	s_mov_b32 s25, 0
	s_delay_alu instid0(VALU_DEP_1) | instskip(NEXT) | instid1(VALU_DEP_1)
	v_add3_u32 v34, v34, v36, v35
	v_lshlrev_b64 v[33:34], 3, v[33:34]
	s_cbranch_vccnz .LBB617_222
; %bb.213:
	v_mul_lo_u32 v37, v20, s22
	v_mul_lo_u32 v38, v19, s23
	v_mad_u64_u32 v[35:36], null, v19, s22, 0
	s_mov_b32 s25, -1
	s_mov_b32 s26, exec_lo
	s_delay_alu instid0(VALU_DEP_1) | instskip(SKIP_2) | instid1(VALU_DEP_3)
	v_add3_u32 v36, v36, v38, v37
	v_add_co_u32 v37, vcc_lo, s8, v33
	v_add_co_ci_u32_e32 v38, vcc_lo, s9, v34, vcc_lo
	v_lshlrev_b64 v[35:36], 3, v[35:36]
	s_delay_alu instid0(VALU_DEP_1) | instskip(NEXT) | instid1(VALU_DEP_2)
	v_add_co_u32 v35, vcc_lo, s8, v35
	v_add_co_ci_u32_e32 v36, vcc_lo, s9, v36, vcc_lo
	s_clause 0x1
	global_load_b64 v[39:40], v[37:38], off
	global_load_b64 v[41:42], v[35:36], off
	s_waitcnt vmcnt(0)
	v_cmpx_eq_u64_e64 v[39:40], v[41:42]
	s_cbranch_execz .LBB617_221
; %bb.214:
	v_add_co_u32 v35, vcc_lo, v35, 8
	v_add_co_ci_u32_e32 v36, vcc_lo, 0, v36, vcc_lo
	v_add_co_u32 v37, vcc_lo, v37, 8
	v_add_co_ci_u32_e32 v38, vcc_lo, 0, v38, vcc_lo
	s_add_u32 s4, s22, -1
	s_addc_u32 s5, s23, -1
	s_mov_b64 s[6:7], 0
	s_mov_b32 s25, 0
                                        ; implicit-def: $sgpr27
	s_set_inst_prefetch_distance 0x1
	s_branch .LBB617_217
	.p2align	6
.LBB617_215:                            ;   in Loop: Header=BB617_217 Depth=1
	global_load_b64 v[39:40], v[37:38], off
	global_load_b64 v[41:42], v[35:36], off
	v_add_co_u32 v35, vcc_lo, v35, 8
	v_add_co_ci_u32_e32 v36, vcc_lo, 0, v36, vcc_lo
	v_add_co_u32 v37, s2, v37, 8
	s_delay_alu instid0(VALU_DEP_1)
	v_add_co_ci_u32_e64 v38, s2, 0, v38, s2
	s_add_u32 s6, s6, 1
	s_addc_u32 s7, s7, 0
	s_and_not1_b32 s2, s27, exec_lo
	s_waitcnt vmcnt(0)
	v_cmp_ne_u64_e32 vcc_lo, v[39:40], v[41:42]
	s_and_b32 s27, vcc_lo, exec_lo
	s_delay_alu instid0(SALU_CYCLE_1)
	s_or_b32 s27, s2, s27
.LBB617_216:                            ;   in Loop: Header=BB617_217 Depth=1
	v_dual_mov_b32 v40, s7 :: v_dual_mov_b32 v39, s6
	s_and_b32 s2, exec_lo, s27
	s_delay_alu instid0(SALU_CYCLE_1) | instskip(NEXT) | instid1(SALU_CYCLE_1)
	s_or_b32 s25, s2, s25
	s_and_not1_b32 exec_lo, exec_lo, s25
	s_cbranch_execz .LBB617_220
.LBB617_217:                            ; =>This Inner Loop Header: Depth=1
	s_or_b32 s27, s27, exec_lo
	s_cmp_eq_u64 s[4:5], s[6:7]
	s_cbranch_scc0 .LBB617_215
; %bb.218:                              ;   in Loop: Header=BB617_217 Depth=1
	s_mov_b64 s[6:7], s[22:23]
                                        ; implicit-def: $vgpr35_vgpr36
                                        ; implicit-def: $vgpr37_vgpr38
	s_branch .LBB617_216
.LBB617_219:
                                        ; implicit-def: $sgpr2
                                        ; implicit-def: $vgpr34
	s_cbranch_execnz .LBB617_288
	s_branch .LBB617_379
.LBB617_220:
	s_set_inst_prefetch_distance 0x2
	s_or_b32 exec_lo, exec_lo, s25
	v_cmp_gt_i64_e32 vcc_lo, s[22:23], v[39:40]
	s_or_not1_b32 s25, vcc_lo, exec_lo
.LBB617_221:
	s_or_b32 exec_lo, exec_lo, s26
.LBB617_222:
	v_mul_lo_u32 v37, v24, s22
	v_mul_lo_u32 v38, v23, s23
	v_mad_u64_u32 v[35:36], null, v23, s22, 0
	s_and_not1_b32 vcc_lo, exec_lo, s18
	s_delay_alu instid0(VALU_DEP_1) | instskip(NEXT) | instid1(VALU_DEP_1)
	v_add3_u32 v36, v36, v38, v37
	v_lshlrev_b64 v[35:36], 3, v[35:36]
	s_cbranch_vccnz .LBB617_231
; %bb.223:
	s_delay_alu instid0(VALU_DEP_1) | instskip(NEXT) | instid1(VALU_DEP_2)
	v_add_co_u32 v37, vcc_lo, s8, v35
	v_add_co_ci_u32_e32 v38, vcc_lo, s9, v36, vcc_lo
	v_add_co_u32 v33, vcc_lo, s8, v33
	v_add_co_ci_u32_e32 v34, vcc_lo, s9, v34, vcc_lo
	s_mov_b32 s19, -1
	s_clause 0x1
	global_load_b64 v[39:40], v[37:38], off
	global_load_b64 v[41:42], v[33:34], off
	s_mov_b32 s26, exec_lo
	s_waitcnt vmcnt(0)
	v_cmpx_eq_u64_e64 v[39:40], v[41:42]
	s_cbranch_execz .LBB617_230
; %bb.224:
	v_add_co_u32 v33, vcc_lo, v33, 8
	v_add_co_ci_u32_e32 v34, vcc_lo, 0, v34, vcc_lo
	v_add_co_u32 v37, vcc_lo, v37, 8
	v_add_co_ci_u32_e32 v38, vcc_lo, 0, v38, vcc_lo
	s_add_u32 s4, s22, -1
	s_addc_u32 s5, s23, -1
	s_mov_b64 s[6:7], 0
	s_mov_b32 s19, 0
                                        ; implicit-def: $sgpr27
	s_set_inst_prefetch_distance 0x1
	s_branch .LBB617_227
	.p2align	6
.LBB617_225:                            ;   in Loop: Header=BB617_227 Depth=1
	global_load_b64 v[39:40], v[37:38], off
	global_load_b64 v[41:42], v[33:34], off
	v_add_co_u32 v33, vcc_lo, v33, 8
	v_add_co_ci_u32_e32 v34, vcc_lo, 0, v34, vcc_lo
	v_add_co_u32 v37, s2, v37, 8
	s_delay_alu instid0(VALU_DEP_1)
	v_add_co_ci_u32_e64 v38, s2, 0, v38, s2
	s_add_u32 s6, s6, 1
	s_addc_u32 s7, s7, 0
	s_and_not1_b32 s2, s27, exec_lo
	s_waitcnt vmcnt(0)
	v_cmp_ne_u64_e32 vcc_lo, v[39:40], v[41:42]
	s_and_b32 s27, vcc_lo, exec_lo
	s_delay_alu instid0(SALU_CYCLE_1)
	s_or_b32 s27, s2, s27
.LBB617_226:                            ;   in Loop: Header=BB617_227 Depth=1
	v_dual_mov_b32 v40, s7 :: v_dual_mov_b32 v39, s6
	s_and_b32 s2, exec_lo, s27
	s_delay_alu instid0(SALU_CYCLE_1) | instskip(NEXT) | instid1(SALU_CYCLE_1)
	s_or_b32 s19, s2, s19
	s_and_not1_b32 exec_lo, exec_lo, s19
	s_cbranch_execz .LBB617_229
.LBB617_227:                            ; =>This Inner Loop Header: Depth=1
	s_or_b32 s27, s27, exec_lo
	s_cmp_eq_u64 s[4:5], s[6:7]
	s_cbranch_scc0 .LBB617_225
; %bb.228:                              ;   in Loop: Header=BB617_227 Depth=1
	s_mov_b64 s[6:7], s[22:23]
                                        ; implicit-def: $vgpr33_vgpr34
                                        ; implicit-def: $vgpr37_vgpr38
	s_branch .LBB617_226
.LBB617_229:
	s_set_inst_prefetch_distance 0x2
	s_or_b32 exec_lo, exec_lo, s19
	v_cmp_gt_i64_e32 vcc_lo, s[22:23], v[39:40]
	s_or_not1_b32 s19, vcc_lo, exec_lo
.LBB617_230:
	s_or_b32 exec_lo, exec_lo, s26
.LBB617_231:
	v_mul_lo_u32 v37, v22, s22
	v_mul_lo_u32 v38, v21, s23
	v_mad_u64_u32 v[33:34], null, v21, s22, 0
	s_mov_b32 s26, 0
	s_and_not1_b32 vcc_lo, exec_lo, s18
	s_mov_b32 s27, 0
	s_delay_alu instid0(VALU_DEP_1) | instskip(NEXT) | instid1(VALU_DEP_1)
	v_add3_u32 v34, v34, v38, v37
	v_lshlrev_b64 v[37:38], 3, v[33:34]
	s_cbranch_vccnz .LBB617_240
; %bb.232:
	s_delay_alu instid0(VALU_DEP_1) | instskip(NEXT) | instid1(VALU_DEP_2)
	v_add_co_u32 v39, vcc_lo, s8, v37
	v_add_co_ci_u32_e32 v40, vcc_lo, s9, v38, vcc_lo
	v_add_co_u32 v33, vcc_lo, s8, v35
	v_add_co_ci_u32_e32 v34, vcc_lo, s9, v36, vcc_lo
	s_mov_b32 s27, -1
	s_clause 0x1
	global_load_b64 v[35:36], v[39:40], off
	global_load_b64 v[41:42], v[33:34], off
	s_mov_b32 s29, exec_lo
	s_waitcnt vmcnt(0)
	v_cmpx_eq_u64_e64 v[35:36], v[41:42]
	s_cbranch_execz .LBB617_239
; %bb.233:
	v_add_co_u32 v33, vcc_lo, v33, 8
	v_add_co_ci_u32_e32 v34, vcc_lo, 0, v34, vcc_lo
	v_add_co_u32 v35, vcc_lo, v39, 8
	v_add_co_ci_u32_e32 v36, vcc_lo, 0, v40, vcc_lo
	s_add_u32 s4, s22, -1
	s_addc_u32 s5, s23, -1
	s_mov_b64 s[6:7], 0
	s_mov_b32 s27, 0
                                        ; implicit-def: $sgpr30
	s_set_inst_prefetch_distance 0x1
	s_branch .LBB617_236
	.p2align	6
.LBB617_234:                            ;   in Loop: Header=BB617_236 Depth=1
	global_load_b64 v[39:40], v[35:36], off
	global_load_b64 v[41:42], v[33:34], off
	v_add_co_u32 v33, vcc_lo, v33, 8
	v_add_co_ci_u32_e32 v34, vcc_lo, 0, v34, vcc_lo
	v_add_co_u32 v35, s2, v35, 8
	s_delay_alu instid0(VALU_DEP_1)
	v_add_co_ci_u32_e64 v36, s2, 0, v36, s2
	s_add_u32 s6, s6, 1
	s_addc_u32 s7, s7, 0
	s_and_not1_b32 s2, s30, exec_lo
	s_waitcnt vmcnt(0)
	v_cmp_ne_u64_e32 vcc_lo, v[39:40], v[41:42]
	s_and_b32 s30, vcc_lo, exec_lo
	s_delay_alu instid0(SALU_CYCLE_1)
	s_or_b32 s30, s2, s30
.LBB617_235:                            ;   in Loop: Header=BB617_236 Depth=1
	v_dual_mov_b32 v40, s7 :: v_dual_mov_b32 v39, s6
	s_and_b32 s2, exec_lo, s30
	s_delay_alu instid0(SALU_CYCLE_1) | instskip(NEXT) | instid1(SALU_CYCLE_1)
	s_or_b32 s27, s2, s27
	s_and_not1_b32 exec_lo, exec_lo, s27
	s_cbranch_execz .LBB617_238
.LBB617_236:                            ; =>This Inner Loop Header: Depth=1
	s_or_b32 s30, s30, exec_lo
	s_cmp_eq_u64 s[4:5], s[6:7]
	s_cbranch_scc0 .LBB617_234
; %bb.237:                              ;   in Loop: Header=BB617_236 Depth=1
	s_mov_b64 s[6:7], s[22:23]
                                        ; implicit-def: $vgpr33_vgpr34
                                        ; implicit-def: $vgpr35_vgpr36
	s_branch .LBB617_235
.LBB617_238:
	s_set_inst_prefetch_distance 0x2
	s_or_b32 exec_lo, exec_lo, s27
	v_cmp_gt_i64_e32 vcc_lo, s[22:23], v[39:40]
	s_or_not1_b32 s27, vcc_lo, exec_lo
.LBB617_239:
	s_or_b32 exec_lo, exec_lo, s29
.LBB617_240:
	v_mul_lo_u32 v35, v28, s22
	v_mul_lo_u32 v36, v27, s23
	v_mad_u64_u32 v[33:34], null, v27, s22, 0
	s_and_not1_b32 vcc_lo, exec_lo, s18
	s_delay_alu instid0(VALU_DEP_1) | instskip(NEXT) | instid1(VALU_DEP_1)
	v_add3_u32 v34, v34, v36, v35
	v_lshlrev_b64 v[33:34], 3, v[33:34]
	s_cbranch_vccnz .LBB617_249
; %bb.241:
	s_delay_alu instid0(VALU_DEP_1) | instskip(NEXT) | instid1(VALU_DEP_2)
	v_add_co_u32 v39, vcc_lo, s8, v33
	v_add_co_ci_u32_e32 v40, vcc_lo, s9, v34, vcc_lo
	v_add_co_u32 v35, vcc_lo, s8, v37
	v_add_co_ci_u32_e32 v36, vcc_lo, s9, v38, vcc_lo
	s_mov_b32 s26, -1
	s_clause 0x1
	global_load_b64 v[37:38], v[39:40], off
	global_load_b64 v[41:42], v[35:36], off
	s_mov_b32 s29, exec_lo
	s_waitcnt vmcnt(0)
	v_cmpx_eq_u64_e64 v[37:38], v[41:42]
	s_cbranch_execz .LBB617_248
; %bb.242:
	v_add_co_u32 v35, vcc_lo, v35, 8
	v_add_co_ci_u32_e32 v36, vcc_lo, 0, v36, vcc_lo
	v_add_co_u32 v37, vcc_lo, v39, 8
	v_add_co_ci_u32_e32 v38, vcc_lo, 0, v40, vcc_lo
	s_add_u32 s4, s22, -1
	s_addc_u32 s5, s23, -1
	s_mov_b64 s[6:7], 0
	s_mov_b32 s26, 0
                                        ; implicit-def: $sgpr30
	s_set_inst_prefetch_distance 0x1
	s_branch .LBB617_245
	.p2align	6
.LBB617_243:                            ;   in Loop: Header=BB617_245 Depth=1
	global_load_b64 v[39:40], v[37:38], off
	global_load_b64 v[41:42], v[35:36], off
	v_add_co_u32 v35, vcc_lo, v35, 8
	v_add_co_ci_u32_e32 v36, vcc_lo, 0, v36, vcc_lo
	v_add_co_u32 v37, s2, v37, 8
	s_delay_alu instid0(VALU_DEP_1)
	v_add_co_ci_u32_e64 v38, s2, 0, v38, s2
	s_add_u32 s6, s6, 1
	s_addc_u32 s7, s7, 0
	s_and_not1_b32 s2, s30, exec_lo
	s_waitcnt vmcnt(0)
	v_cmp_ne_u64_e32 vcc_lo, v[39:40], v[41:42]
	s_and_b32 s30, vcc_lo, exec_lo
	s_delay_alu instid0(SALU_CYCLE_1)
	s_or_b32 s30, s2, s30
.LBB617_244:                            ;   in Loop: Header=BB617_245 Depth=1
	v_dual_mov_b32 v40, s7 :: v_dual_mov_b32 v39, s6
	s_and_b32 s2, exec_lo, s30
	s_delay_alu instid0(SALU_CYCLE_1) | instskip(NEXT) | instid1(SALU_CYCLE_1)
	s_or_b32 s26, s2, s26
	s_and_not1_b32 exec_lo, exec_lo, s26
	s_cbranch_execz .LBB617_247
.LBB617_245:                            ; =>This Inner Loop Header: Depth=1
	s_or_b32 s30, s30, exec_lo
	s_cmp_eq_u64 s[4:5], s[6:7]
	s_cbranch_scc0 .LBB617_243
; %bb.246:                              ;   in Loop: Header=BB617_245 Depth=1
	s_mov_b64 s[6:7], s[22:23]
                                        ; implicit-def: $vgpr35_vgpr36
                                        ; implicit-def: $vgpr37_vgpr38
	s_branch .LBB617_244
.LBB617_247:
	s_set_inst_prefetch_distance 0x2
	s_or_b32 exec_lo, exec_lo, s26
	v_cmp_gt_i64_e32 vcc_lo, s[22:23], v[39:40]
	s_or_not1_b32 s26, vcc_lo, exec_lo
.LBB617_248:
	s_or_b32 exec_lo, exec_lo, s29
.LBB617_249:
	v_mul_lo_u32 v37, v26, s22
	v_mul_lo_u32 v38, v25, s23
	v_mad_u64_u32 v[35:36], null, v25, s22, 0
	s_mov_b32 s29, 0
	s_and_not1_b32 vcc_lo, exec_lo, s18
	s_mov_b32 s30, 0
	s_delay_alu instid0(VALU_DEP_1) | instskip(NEXT) | instid1(VALU_DEP_1)
	v_add3_u32 v36, v36, v38, v37
	v_lshlrev_b64 v[35:36], 3, v[35:36]
	s_cbranch_vccnz .LBB617_258
; %bb.250:
	s_delay_alu instid0(VALU_DEP_1) | instskip(NEXT) | instid1(VALU_DEP_2)
	v_add_co_u32 v37, vcc_lo, s8, v35
	v_add_co_ci_u32_e32 v38, vcc_lo, s9, v36, vcc_lo
	v_add_co_u32 v33, vcc_lo, s8, v33
	v_add_co_ci_u32_e32 v34, vcc_lo, s9, v34, vcc_lo
	s_mov_b32 s30, -1
	s_clause 0x1
	global_load_b64 v[39:40], v[37:38], off
	global_load_b64 v[41:42], v[33:34], off
	s_mov_b32 s31, exec_lo
	s_waitcnt vmcnt(0)
	v_cmpx_eq_u64_e64 v[39:40], v[41:42]
	s_cbranch_execz .LBB617_257
; %bb.251:
	v_add_co_u32 v33, vcc_lo, v33, 8
	v_add_co_ci_u32_e32 v34, vcc_lo, 0, v34, vcc_lo
	v_add_co_u32 v37, vcc_lo, v37, 8
	v_add_co_ci_u32_e32 v38, vcc_lo, 0, v38, vcc_lo
	s_add_u32 s4, s22, -1
	s_addc_u32 s5, s23, -1
	s_mov_b64 s[6:7], 0
	s_mov_b32 s30, 0
                                        ; implicit-def: $sgpr33
	s_set_inst_prefetch_distance 0x1
	s_branch .LBB617_254
	.p2align	6
.LBB617_252:                            ;   in Loop: Header=BB617_254 Depth=1
	global_load_b64 v[39:40], v[37:38], off
	global_load_b64 v[41:42], v[33:34], off
	v_add_co_u32 v33, vcc_lo, v33, 8
	v_add_co_ci_u32_e32 v34, vcc_lo, 0, v34, vcc_lo
	v_add_co_u32 v37, s2, v37, 8
	s_delay_alu instid0(VALU_DEP_1)
	v_add_co_ci_u32_e64 v38, s2, 0, v38, s2
	s_add_u32 s6, s6, 1
	s_addc_u32 s7, s7, 0
	s_and_not1_b32 s2, s33, exec_lo
	s_waitcnt vmcnt(0)
	v_cmp_ne_u64_e32 vcc_lo, v[39:40], v[41:42]
	s_and_b32 s33, vcc_lo, exec_lo
	s_delay_alu instid0(SALU_CYCLE_1)
	s_or_b32 s33, s2, s33
.LBB617_253:                            ;   in Loop: Header=BB617_254 Depth=1
	v_dual_mov_b32 v40, s7 :: v_dual_mov_b32 v39, s6
	s_and_b32 s2, exec_lo, s33
	s_delay_alu instid0(SALU_CYCLE_1) | instskip(NEXT) | instid1(SALU_CYCLE_1)
	s_or_b32 s30, s2, s30
	s_and_not1_b32 exec_lo, exec_lo, s30
	s_cbranch_execz .LBB617_256
.LBB617_254:                            ; =>This Inner Loop Header: Depth=1
	s_or_b32 s33, s33, exec_lo
	s_cmp_eq_u64 s[4:5], s[6:7]
	s_cbranch_scc0 .LBB617_252
; %bb.255:                              ;   in Loop: Header=BB617_254 Depth=1
	s_mov_b64 s[6:7], s[22:23]
                                        ; implicit-def: $vgpr33_vgpr34
                                        ; implicit-def: $vgpr37_vgpr38
	s_branch .LBB617_253
.LBB617_256:
	s_set_inst_prefetch_distance 0x2
	s_or_b32 exec_lo, exec_lo, s30
	v_cmp_gt_i64_e32 vcc_lo, s[22:23], v[39:40]
	s_or_not1_b32 s30, vcc_lo, exec_lo
.LBB617_257:
	s_or_b32 exec_lo, exec_lo, s31
.LBB617_258:
	v_mul_lo_u32 v37, v32, s22
	v_mul_lo_u32 v38, v31, s23
	v_mad_u64_u32 v[33:34], null, v31, s22, 0
	s_and_not1_b32 vcc_lo, exec_lo, s18
	s_delay_alu instid0(VALU_DEP_1) | instskip(NEXT) | instid1(VALU_DEP_1)
	v_add3_u32 v34, v34, v38, v37
	v_lshlrev_b64 v[33:34], 3, v[33:34]
	s_cbranch_vccnz .LBB617_267
; %bb.259:
	s_delay_alu instid0(VALU_DEP_1) | instskip(NEXT) | instid1(VALU_DEP_2)
	v_add_co_u32 v37, vcc_lo, s8, v33
	v_add_co_ci_u32_e32 v38, vcc_lo, s9, v34, vcc_lo
	v_add_co_u32 v35, vcc_lo, s8, v35
	v_add_co_ci_u32_e32 v36, vcc_lo, s9, v36, vcc_lo
	s_mov_b32 s29, -1
	s_clause 0x1
	global_load_b64 v[39:40], v[37:38], off
	global_load_b64 v[41:42], v[35:36], off
	s_mov_b32 s31, exec_lo
	s_waitcnt vmcnt(0)
	v_cmpx_eq_u64_e64 v[39:40], v[41:42]
	s_cbranch_execz .LBB617_266
; %bb.260:
	v_add_co_u32 v35, vcc_lo, v35, 8
	v_add_co_ci_u32_e32 v36, vcc_lo, 0, v36, vcc_lo
	v_add_co_u32 v37, vcc_lo, v37, 8
	v_add_co_ci_u32_e32 v38, vcc_lo, 0, v38, vcc_lo
	s_add_u32 s4, s22, -1
	s_addc_u32 s5, s23, -1
	s_mov_b64 s[6:7], 0
	s_mov_b32 s29, 0
                                        ; implicit-def: $sgpr33
	s_set_inst_prefetch_distance 0x1
	s_branch .LBB617_263
	.p2align	6
.LBB617_261:                            ;   in Loop: Header=BB617_263 Depth=1
	global_load_b64 v[39:40], v[37:38], off
	global_load_b64 v[41:42], v[35:36], off
	v_add_co_u32 v35, vcc_lo, v35, 8
	v_add_co_ci_u32_e32 v36, vcc_lo, 0, v36, vcc_lo
	v_add_co_u32 v37, s2, v37, 8
	s_delay_alu instid0(VALU_DEP_1)
	v_add_co_ci_u32_e64 v38, s2, 0, v38, s2
	s_add_u32 s6, s6, 1
	s_addc_u32 s7, s7, 0
	s_and_not1_b32 s2, s33, exec_lo
	s_waitcnt vmcnt(0)
	v_cmp_ne_u64_e32 vcc_lo, v[39:40], v[41:42]
	s_and_b32 s33, vcc_lo, exec_lo
	s_delay_alu instid0(SALU_CYCLE_1)
	s_or_b32 s33, s2, s33
.LBB617_262:                            ;   in Loop: Header=BB617_263 Depth=1
	v_dual_mov_b32 v40, s7 :: v_dual_mov_b32 v39, s6
	s_and_b32 s2, exec_lo, s33
	s_delay_alu instid0(SALU_CYCLE_1) | instskip(NEXT) | instid1(SALU_CYCLE_1)
	s_or_b32 s29, s2, s29
	s_and_not1_b32 exec_lo, exec_lo, s29
	s_cbranch_execz .LBB617_265
.LBB617_263:                            ; =>This Inner Loop Header: Depth=1
	s_or_b32 s33, s33, exec_lo
	s_cmp_eq_u64 s[4:5], s[6:7]
	s_cbranch_scc0 .LBB617_261
; %bb.264:                              ;   in Loop: Header=BB617_263 Depth=1
	s_mov_b64 s[6:7], s[22:23]
                                        ; implicit-def: $vgpr35_vgpr36
                                        ; implicit-def: $vgpr37_vgpr38
	s_branch .LBB617_262
.LBB617_265:
	s_set_inst_prefetch_distance 0x2
	s_or_b32 exec_lo, exec_lo, s29
	v_cmp_gt_i64_e32 vcc_lo, s[22:23], v[39:40]
	s_or_not1_b32 s29, vcc_lo, exec_lo
.LBB617_266:
	s_or_b32 exec_lo, exec_lo, s31
.LBB617_267:
	v_mul_lo_u32 v37, v30, s22
	v_mul_lo_u32 v38, v29, s23
	v_mad_u64_u32 v[35:36], null, v29, s22, 0
	s_and_not1_b32 vcc_lo, exec_lo, s18
	s_mov_b32 s2, 0
	s_delay_alu instid0(VALU_DEP_1)
	v_add3_u32 v36, v36, v38, v37
	s_cbranch_vccnz .LBB617_276
; %bb.268:
	s_delay_alu instid0(VALU_DEP_1) | instskip(SKIP_2) | instid1(VALU_DEP_1)
	v_lshlrev_b64 v[37:38], 3, v[35:36]
	s_mov_b32 s2, -1
	s_mov_b32 s31, exec_lo
	v_add_co_u32 v37, vcc_lo, s8, v37
	s_delay_alu instid0(VALU_DEP_2)
	v_add_co_ci_u32_e32 v38, vcc_lo, s9, v38, vcc_lo
	v_add_co_u32 v33, vcc_lo, s8, v33
	v_add_co_ci_u32_e32 v34, vcc_lo, s9, v34, vcc_lo
	s_clause 0x1
	global_load_b64 v[39:40], v[37:38], off
	global_load_b64 v[41:42], v[33:34], off
	s_waitcnt vmcnt(0)
	v_cmpx_eq_u64_e64 v[39:40], v[41:42]
	s_cbranch_execz .LBB617_275
; %bb.269:
	v_add_co_u32 v33, vcc_lo, v33, 8
	v_add_co_ci_u32_e32 v34, vcc_lo, 0, v34, vcc_lo
	v_add_co_u32 v37, vcc_lo, v37, 8
	v_add_co_ci_u32_e32 v38, vcc_lo, 0, v38, vcc_lo
	s_add_u32 s4, s22, -1
	s_addc_u32 s5, s23, -1
	s_mov_b64 s[6:7], 0
	s_mov_b32 s33, 0
                                        ; implicit-def: $sgpr34
	s_set_inst_prefetch_distance 0x1
	s_branch .LBB617_272
	.p2align	6
.LBB617_270:                            ;   in Loop: Header=BB617_272 Depth=1
	global_load_b64 v[39:40], v[37:38], off
	global_load_b64 v[41:42], v[33:34], off
	v_add_co_u32 v33, vcc_lo, v33, 8
	v_add_co_ci_u32_e32 v34, vcc_lo, 0, v34, vcc_lo
	v_add_co_u32 v37, s2, v37, 8
	s_delay_alu instid0(VALU_DEP_1)
	v_add_co_ci_u32_e64 v38, s2, 0, v38, s2
	s_add_u32 s6, s6, 1
	s_addc_u32 s7, s7, 0
	s_and_not1_b32 s2, s34, exec_lo
	s_waitcnt vmcnt(0)
	v_cmp_ne_u64_e32 vcc_lo, v[39:40], v[41:42]
	s_and_b32 s34, vcc_lo, exec_lo
	s_delay_alu instid0(SALU_CYCLE_1)
	s_or_b32 s34, s2, s34
.LBB617_271:                            ;   in Loop: Header=BB617_272 Depth=1
	v_dual_mov_b32 v40, s7 :: v_dual_mov_b32 v39, s6
	s_and_b32 s2, exec_lo, s34
	s_delay_alu instid0(SALU_CYCLE_1) | instskip(NEXT) | instid1(SALU_CYCLE_1)
	s_or_b32 s33, s2, s33
	s_and_not1_b32 exec_lo, exec_lo, s33
	s_cbranch_execz .LBB617_274
.LBB617_272:                            ; =>This Inner Loop Header: Depth=1
	s_or_b32 s34, s34, exec_lo
	s_cmp_eq_u64 s[4:5], s[6:7]
	s_cbranch_scc0 .LBB617_270
; %bb.273:                              ;   in Loop: Header=BB617_272 Depth=1
	s_mov_b64 s[6:7], s[22:23]
                                        ; implicit-def: $vgpr33_vgpr34
                                        ; implicit-def: $vgpr37_vgpr38
	s_branch .LBB617_271
.LBB617_274:
	s_set_inst_prefetch_distance 0x2
	s_or_b32 exec_lo, exec_lo, s33
	v_cmp_gt_i64_e32 vcc_lo, s[22:23], v[39:40]
	s_or_not1_b32 s2, vcc_lo, exec_lo
.LBB617_275:
	s_or_b32 exec_lo, exec_lo, s31
.LBB617_276:
	v_cndmask_b32_e64 v34, 0, 1, s30
	v_cndmask_b32_e64 v37, 0, 1, s27
	v_cndmask_b32_e64 v38, 0, 1, s25
	v_cndmask_b32_e64 v39, 0, 1, s2
	v_cndmask_b32_e64 v33, 0, 1, s29
	v_cndmask_b32_e64 v40, 0, 1, s26
	v_cndmask_b32_e64 v41, 0, 1, s19
	v_lshlrev_b16 v37, 8, v37
	v_lshlrev_b16 v38, 8, v38
	;; [unrolled: 1-line block ×4, first 2 shown]
	s_waitcnt lgkmcnt(0)
	v_or_b32_e32 v37, v40, v37
	v_or_b32_e32 v38, v41, v38
	;; [unrolled: 1-line block ×4, first 2 shown]
	s_barrier
	v_and_b32_e32 v34, 0xffff, v37
	v_lshlrev_b32_e32 v37, 16, v38
	v_and_b32_e32 v38, 0xffff, v39
	v_lshlrev_b32_e32 v33, 16, v33
	buffer_gl0_inv
                                        ; implicit-def: $sgpr2
	s_mov_b32 s4, exec_lo
	v_or_b32_e32 v34, v34, v37
	v_or_b32_e32 v33, v38, v33
	v_cmpx_ne_u32_e32 0, v0
	s_xor_b32 s19, exec_lo, s4
	s_cbranch_execz .LBB617_287
; %bb.277:
	s_and_not1_b32 vcc_lo, exec_lo, s18
	s_mov_b32 s2, 0
	s_cbranch_vccnz .LBB617_286
; %bb.278:
	v_add_nc_u32_e32 v37, -8, v55
	v_lshlrev_b64 v[35:36], 3, v[35:36]
	s_mov_b32 s2, -1
	s_mov_b32 s25, exec_lo
	ds_load_b64 v[37:38], v37
	s_waitcnt lgkmcnt(0)
	v_mul_lo_u32 v40, v38, s22
	v_mul_lo_u32 v41, v37, s23
	v_mad_u64_u32 v[38:39], null, v37, s22, 0
	s_delay_alu instid0(VALU_DEP_1) | instskip(NEXT) | instid1(VALU_DEP_1)
	v_add3_u32 v39, v39, v41, v40
	v_lshlrev_b64 v[37:38], 3, v[38:39]
	s_delay_alu instid0(VALU_DEP_1) | instskip(NEXT) | instid1(VALU_DEP_2)
	v_add_co_u32 v37, vcc_lo, s8, v37
	v_add_co_ci_u32_e32 v38, vcc_lo, s9, v38, vcc_lo
	v_add_co_u32 v35, vcc_lo, s8, v35
	v_add_co_ci_u32_e32 v36, vcc_lo, s9, v36, vcc_lo
	s_clause 0x1
	global_load_b64 v[39:40], v[37:38], off
	global_load_b64 v[41:42], v[35:36], off
	s_waitcnt vmcnt(0)
	v_cmpx_eq_u64_e64 v[39:40], v[41:42]
	s_cbranch_execz .LBB617_285
; %bb.279:
	v_add_co_u32 v35, vcc_lo, v35, 8
	v_add_co_ci_u32_e32 v36, vcc_lo, 0, v36, vcc_lo
	v_add_co_u32 v37, vcc_lo, v37, 8
	v_add_co_ci_u32_e32 v38, vcc_lo, 0, v38, vcc_lo
	s_add_u32 s4, s22, -1
	s_addc_u32 s5, s23, -1
	s_mov_b64 s[6:7], 0
	s_mov_b32 s26, 0
                                        ; implicit-def: $sgpr27
	s_set_inst_prefetch_distance 0x1
	s_branch .LBB617_282
	.p2align	6
.LBB617_280:                            ;   in Loop: Header=BB617_282 Depth=1
	global_load_b64 v[39:40], v[37:38], off
	global_load_b64 v[41:42], v[35:36], off
	v_add_co_u32 v35, vcc_lo, v35, 8
	v_add_co_ci_u32_e32 v36, vcc_lo, 0, v36, vcc_lo
	v_add_co_u32 v37, s2, v37, 8
	s_delay_alu instid0(VALU_DEP_1)
	v_add_co_ci_u32_e64 v38, s2, 0, v38, s2
	s_add_u32 s6, s6, 1
	s_addc_u32 s7, s7, 0
	s_and_not1_b32 s2, s27, exec_lo
	s_waitcnt vmcnt(0)
	v_cmp_ne_u64_e32 vcc_lo, v[39:40], v[41:42]
	s_and_b32 s27, vcc_lo, exec_lo
	s_delay_alu instid0(SALU_CYCLE_1)
	s_or_b32 s27, s2, s27
.LBB617_281:                            ;   in Loop: Header=BB617_282 Depth=1
	v_dual_mov_b32 v40, s7 :: v_dual_mov_b32 v39, s6
	s_and_b32 s2, exec_lo, s27
	s_delay_alu instid0(SALU_CYCLE_1) | instskip(NEXT) | instid1(SALU_CYCLE_1)
	s_or_b32 s26, s2, s26
	s_and_not1_b32 exec_lo, exec_lo, s26
	s_cbranch_execz .LBB617_284
.LBB617_282:                            ; =>This Inner Loop Header: Depth=1
	s_or_b32 s27, s27, exec_lo
	s_cmp_eq_u64 s[4:5], s[6:7]
	s_cbranch_scc0 .LBB617_280
; %bb.283:                              ;   in Loop: Header=BB617_282 Depth=1
	s_mov_b64 s[6:7], s[22:23]
                                        ; implicit-def: $vgpr35_vgpr36
                                        ; implicit-def: $vgpr37_vgpr38
	s_branch .LBB617_281
.LBB617_284:
	s_set_inst_prefetch_distance 0x2
	s_or_b32 exec_lo, exec_lo, s26
	v_cmp_gt_i64_e32 vcc_lo, s[22:23], v[39:40]
	s_or_not1_b32 s2, vcc_lo, exec_lo
.LBB617_285:
	s_or_b32 exec_lo, exec_lo, s25
.LBB617_286:
	s_delay_alu instid0(SALU_CYCLE_1)
	s_and_b32 s2, s2, exec_lo
	s_or_b32 s3, s3, exec_lo
.LBB617_287:
	s_or_b32 exec_lo, exec_lo, s19
	s_branch .LBB617_379
.LBB617_288:
	v_or_b32_e32 v33, 7, v55
	s_mov_b32 s19, 0
	s_mov_b32 s25, 0
	s_mov_b32 s26, exec_lo
	s_delay_alu instid0(VALU_DEP_1)
	v_cmpx_gt_u32_e64 s28, v33
	s_cbranch_execz .LBB617_299
; %bb.289:
	s_and_not1_b32 vcc_lo, exec_lo, s18
	s_mov_b32 s2, 0
	s_cbranch_vccnz .LBB617_298
; %bb.290:
	v_mul_lo_u32 v37, v18, s22
	v_mul_lo_u32 v38, v17, s23
	v_mad_u64_u32 v[33:34], null, v17, s22, 0
	v_mul_lo_u32 v39, v20, s22
	v_mul_lo_u32 v40, v19, s23
	v_mad_u64_u32 v[35:36], null, v19, s22, 0
	s_mov_b32 s2, -1
	s_mov_b32 s25, exec_lo
	s_delay_alu instid0(VALU_DEP_4) | instskip(NEXT) | instid1(VALU_DEP_2)
	v_add3_u32 v34, v34, v38, v37
	v_add3_u32 v36, v36, v40, v39
	s_delay_alu instid0(VALU_DEP_2) | instskip(NEXT) | instid1(VALU_DEP_2)
	v_lshlrev_b64 v[33:34], 3, v[33:34]
	v_lshlrev_b64 v[37:38], 3, v[35:36]
	s_delay_alu instid0(VALU_DEP_2) | instskip(NEXT) | instid1(VALU_DEP_3)
	v_add_co_u32 v35, vcc_lo, s8, v33
	v_add_co_ci_u32_e32 v36, vcc_lo, s9, v34, vcc_lo
	s_delay_alu instid0(VALU_DEP_3) | instskip(NEXT) | instid1(VALU_DEP_4)
	v_add_co_u32 v33, vcc_lo, s8, v37
	v_add_co_ci_u32_e32 v34, vcc_lo, s9, v38, vcc_lo
	s_clause 0x1
	global_load_b64 v[37:38], v[35:36], off
	global_load_b64 v[39:40], v[33:34], off
	s_waitcnt vmcnt(0)
	v_cmpx_eq_u64_e64 v[37:38], v[39:40]
	s_cbranch_execz .LBB617_297
; %bb.291:
	v_add_co_u32 v33, vcc_lo, v33, 8
	v_add_co_ci_u32_e32 v34, vcc_lo, 0, v34, vcc_lo
	v_add_co_u32 v35, vcc_lo, v35, 8
	v_add_co_ci_u32_e32 v36, vcc_lo, 0, v36, vcc_lo
	s_add_u32 s4, s22, -1
	s_addc_u32 s5, s23, -1
	s_mov_b64 s[6:7], 0
	s_mov_b32 s27, 0
                                        ; implicit-def: $sgpr29
	s_set_inst_prefetch_distance 0x1
	s_branch .LBB617_294
	.p2align	6
.LBB617_292:                            ;   in Loop: Header=BB617_294 Depth=1
	global_load_b64 v[37:38], v[35:36], off
	global_load_b64 v[39:40], v[33:34], off
	v_add_co_u32 v33, vcc_lo, v33, 8
	v_add_co_ci_u32_e32 v34, vcc_lo, 0, v34, vcc_lo
	v_add_co_u32 v35, s2, v35, 8
	s_delay_alu instid0(VALU_DEP_1)
	v_add_co_ci_u32_e64 v36, s2, 0, v36, s2
	s_add_u32 s6, s6, 1
	s_addc_u32 s7, s7, 0
	s_and_not1_b32 s2, s29, exec_lo
	s_waitcnt vmcnt(0)
	v_cmp_ne_u64_e32 vcc_lo, v[37:38], v[39:40]
	s_and_b32 s29, vcc_lo, exec_lo
	s_delay_alu instid0(SALU_CYCLE_1)
	s_or_b32 s29, s2, s29
.LBB617_293:                            ;   in Loop: Header=BB617_294 Depth=1
	v_dual_mov_b32 v38, s7 :: v_dual_mov_b32 v37, s6
	s_and_b32 s2, exec_lo, s29
	s_delay_alu instid0(SALU_CYCLE_1) | instskip(NEXT) | instid1(SALU_CYCLE_1)
	s_or_b32 s27, s2, s27
	s_and_not1_b32 exec_lo, exec_lo, s27
	s_cbranch_execz .LBB617_296
.LBB617_294:                            ; =>This Inner Loop Header: Depth=1
	s_or_b32 s29, s29, exec_lo
	s_cmp_eq_u64 s[4:5], s[6:7]
	s_cbranch_scc0 .LBB617_292
; %bb.295:                              ;   in Loop: Header=BB617_294 Depth=1
	s_mov_b64 s[6:7], s[22:23]
                                        ; implicit-def: $vgpr33_vgpr34
                                        ; implicit-def: $vgpr35_vgpr36
	s_branch .LBB617_293
.LBB617_296:
	s_set_inst_prefetch_distance 0x2
	s_or_b32 exec_lo, exec_lo, s27
	v_cmp_gt_i64_e32 vcc_lo, s[22:23], v[37:38]
	s_or_not1_b32 s2, vcc_lo, exec_lo
.LBB617_297:
	s_or_b32 exec_lo, exec_lo, s25
.LBB617_298:
	s_delay_alu instid0(SALU_CYCLE_1)
	s_and_b32 s25, s2, exec_lo
.LBB617_299:
	s_or_b32 exec_lo, exec_lo, s26
	v_or_b32_e32 v33, 6, v55
	s_mov_b32 s26, exec_lo
	s_delay_alu instid0(VALU_DEP_1)
	v_cmpx_gt_u32_e64 s28, v33
	s_cbranch_execz .LBB617_310
; %bb.300:
	s_and_not1_b32 vcc_lo, exec_lo, s18
	s_mov_b32 s2, 0
	s_cbranch_vccnz .LBB617_309
; %bb.301:
	v_mul_lo_u32 v37, v24, s22
	v_mul_lo_u32 v38, v23, s23
	v_mad_u64_u32 v[33:34], null, v23, s22, 0
	v_mul_lo_u32 v39, v18, s22
	v_mul_lo_u32 v40, v17, s23
	v_mad_u64_u32 v[35:36], null, v17, s22, 0
	s_mov_b32 s2, -1
	s_mov_b32 s19, exec_lo
	s_delay_alu instid0(VALU_DEP_4) | instskip(NEXT) | instid1(VALU_DEP_2)
	v_add3_u32 v34, v34, v38, v37
	v_add3_u32 v36, v36, v40, v39
	s_delay_alu instid0(VALU_DEP_2) | instskip(NEXT) | instid1(VALU_DEP_2)
	v_lshlrev_b64 v[33:34], 3, v[33:34]
	v_lshlrev_b64 v[37:38], 3, v[35:36]
	s_delay_alu instid0(VALU_DEP_2) | instskip(NEXT) | instid1(VALU_DEP_3)
	v_add_co_u32 v35, vcc_lo, s8, v33
	v_add_co_ci_u32_e32 v36, vcc_lo, s9, v34, vcc_lo
	s_delay_alu instid0(VALU_DEP_3) | instskip(NEXT) | instid1(VALU_DEP_4)
	v_add_co_u32 v33, vcc_lo, s8, v37
	v_add_co_ci_u32_e32 v34, vcc_lo, s9, v38, vcc_lo
	s_clause 0x1
	global_load_b64 v[37:38], v[35:36], off
	global_load_b64 v[39:40], v[33:34], off
	s_waitcnt vmcnt(0)
	v_cmpx_eq_u64_e64 v[37:38], v[39:40]
	s_cbranch_execz .LBB617_308
; %bb.302:
	v_add_co_u32 v33, vcc_lo, v33, 8
	v_add_co_ci_u32_e32 v34, vcc_lo, 0, v34, vcc_lo
	v_add_co_u32 v35, vcc_lo, v35, 8
	v_add_co_ci_u32_e32 v36, vcc_lo, 0, v36, vcc_lo
	s_add_u32 s4, s22, -1
	s_addc_u32 s5, s23, -1
	s_mov_b64 s[6:7], 0
	s_mov_b32 s27, 0
                                        ; implicit-def: $sgpr29
	s_set_inst_prefetch_distance 0x1
	s_branch .LBB617_305
	.p2align	6
.LBB617_303:                            ;   in Loop: Header=BB617_305 Depth=1
	global_load_b64 v[37:38], v[35:36], off
	global_load_b64 v[39:40], v[33:34], off
	v_add_co_u32 v33, vcc_lo, v33, 8
	v_add_co_ci_u32_e32 v34, vcc_lo, 0, v34, vcc_lo
	v_add_co_u32 v35, s2, v35, 8
	s_delay_alu instid0(VALU_DEP_1)
	v_add_co_ci_u32_e64 v36, s2, 0, v36, s2
	s_add_u32 s6, s6, 1
	s_addc_u32 s7, s7, 0
	s_and_not1_b32 s2, s29, exec_lo
	s_waitcnt vmcnt(0)
	v_cmp_ne_u64_e32 vcc_lo, v[37:38], v[39:40]
	s_and_b32 s29, vcc_lo, exec_lo
	s_delay_alu instid0(SALU_CYCLE_1)
	s_or_b32 s29, s2, s29
.LBB617_304:                            ;   in Loop: Header=BB617_305 Depth=1
	v_dual_mov_b32 v38, s7 :: v_dual_mov_b32 v37, s6
	s_and_b32 s2, exec_lo, s29
	s_delay_alu instid0(SALU_CYCLE_1) | instskip(NEXT) | instid1(SALU_CYCLE_1)
	s_or_b32 s27, s2, s27
	s_and_not1_b32 exec_lo, exec_lo, s27
	s_cbranch_execz .LBB617_307
.LBB617_305:                            ; =>This Inner Loop Header: Depth=1
	s_or_b32 s29, s29, exec_lo
	s_cmp_eq_u64 s[4:5], s[6:7]
	s_cbranch_scc0 .LBB617_303
; %bb.306:                              ;   in Loop: Header=BB617_305 Depth=1
	s_mov_b64 s[6:7], s[22:23]
                                        ; implicit-def: $vgpr33_vgpr34
                                        ; implicit-def: $vgpr35_vgpr36
	s_branch .LBB617_304
.LBB617_307:
	s_set_inst_prefetch_distance 0x2
	s_or_b32 exec_lo, exec_lo, s27
	v_cmp_gt_i64_e32 vcc_lo, s[22:23], v[37:38]
	s_or_not1_b32 s2, vcc_lo, exec_lo
.LBB617_308:
	s_or_b32 exec_lo, exec_lo, s19
.LBB617_309:
	s_delay_alu instid0(SALU_CYCLE_1)
	s_and_b32 s19, s2, exec_lo
.LBB617_310:
	s_or_b32 exec_lo, exec_lo, s26
	v_or_b32_e32 v33, 5, v55
	s_mov_b32 s26, 0
	s_mov_b32 s27, 0
	s_mov_b32 s29, exec_lo
	s_delay_alu instid0(VALU_DEP_1)
	v_cmpx_gt_u32_e64 s28, v33
	s_cbranch_execz .LBB617_321
; %bb.311:
	s_and_not1_b32 vcc_lo, exec_lo, s18
	s_mov_b32 s2, 0
	s_cbranch_vccnz .LBB617_320
; %bb.312:
	v_mul_lo_u32 v37, v22, s22
	v_mul_lo_u32 v38, v21, s23
	v_mad_u64_u32 v[33:34], null, v21, s22, 0
	v_mul_lo_u32 v39, v24, s22
	v_mul_lo_u32 v40, v23, s23
	v_mad_u64_u32 v[35:36], null, v23, s22, 0
	s_mov_b32 s2, -1
	s_mov_b32 s27, exec_lo
	s_delay_alu instid0(VALU_DEP_4) | instskip(NEXT) | instid1(VALU_DEP_2)
	v_add3_u32 v34, v34, v38, v37
	v_add3_u32 v36, v36, v40, v39
	s_delay_alu instid0(VALU_DEP_2) | instskip(NEXT) | instid1(VALU_DEP_2)
	v_lshlrev_b64 v[33:34], 3, v[33:34]
	v_lshlrev_b64 v[37:38], 3, v[35:36]
	s_delay_alu instid0(VALU_DEP_2) | instskip(NEXT) | instid1(VALU_DEP_3)
	v_add_co_u32 v35, vcc_lo, s8, v33
	v_add_co_ci_u32_e32 v36, vcc_lo, s9, v34, vcc_lo
	s_delay_alu instid0(VALU_DEP_3) | instskip(NEXT) | instid1(VALU_DEP_4)
	v_add_co_u32 v33, vcc_lo, s8, v37
	v_add_co_ci_u32_e32 v34, vcc_lo, s9, v38, vcc_lo
	s_clause 0x1
	global_load_b64 v[37:38], v[35:36], off
	global_load_b64 v[39:40], v[33:34], off
	s_waitcnt vmcnt(0)
	v_cmpx_eq_u64_e64 v[37:38], v[39:40]
	s_cbranch_execz .LBB617_319
; %bb.313:
	v_add_co_u32 v33, vcc_lo, v33, 8
	v_add_co_ci_u32_e32 v34, vcc_lo, 0, v34, vcc_lo
	v_add_co_u32 v35, vcc_lo, v35, 8
	v_add_co_ci_u32_e32 v36, vcc_lo, 0, v36, vcc_lo
	s_add_u32 s4, s22, -1
	s_addc_u32 s5, s23, -1
	s_mov_b64 s[6:7], 0
	s_mov_b32 s30, 0
                                        ; implicit-def: $sgpr31
	s_set_inst_prefetch_distance 0x1
	s_branch .LBB617_316
	.p2align	6
.LBB617_314:                            ;   in Loop: Header=BB617_316 Depth=1
	global_load_b64 v[37:38], v[35:36], off
	global_load_b64 v[39:40], v[33:34], off
	v_add_co_u32 v33, vcc_lo, v33, 8
	v_add_co_ci_u32_e32 v34, vcc_lo, 0, v34, vcc_lo
	v_add_co_u32 v35, s2, v35, 8
	s_delay_alu instid0(VALU_DEP_1)
	v_add_co_ci_u32_e64 v36, s2, 0, v36, s2
	s_add_u32 s6, s6, 1
	s_addc_u32 s7, s7, 0
	s_and_not1_b32 s2, s31, exec_lo
	s_waitcnt vmcnt(0)
	v_cmp_ne_u64_e32 vcc_lo, v[37:38], v[39:40]
	s_and_b32 s31, vcc_lo, exec_lo
	s_delay_alu instid0(SALU_CYCLE_1)
	s_or_b32 s31, s2, s31
.LBB617_315:                            ;   in Loop: Header=BB617_316 Depth=1
	v_dual_mov_b32 v38, s7 :: v_dual_mov_b32 v37, s6
	s_and_b32 s2, exec_lo, s31
	s_delay_alu instid0(SALU_CYCLE_1) | instskip(NEXT) | instid1(SALU_CYCLE_1)
	s_or_b32 s30, s2, s30
	s_and_not1_b32 exec_lo, exec_lo, s30
	s_cbranch_execz .LBB617_318
.LBB617_316:                            ; =>This Inner Loop Header: Depth=1
	s_or_b32 s31, s31, exec_lo
	s_cmp_eq_u64 s[4:5], s[6:7]
	s_cbranch_scc0 .LBB617_314
; %bb.317:                              ;   in Loop: Header=BB617_316 Depth=1
	s_mov_b64 s[6:7], s[22:23]
                                        ; implicit-def: $vgpr33_vgpr34
                                        ; implicit-def: $vgpr35_vgpr36
	s_branch .LBB617_315
.LBB617_318:
	s_set_inst_prefetch_distance 0x2
	s_or_b32 exec_lo, exec_lo, s30
	v_cmp_gt_i64_e32 vcc_lo, s[22:23], v[37:38]
	s_or_not1_b32 s2, vcc_lo, exec_lo
.LBB617_319:
	s_or_b32 exec_lo, exec_lo, s27
.LBB617_320:
	s_delay_alu instid0(SALU_CYCLE_1)
	s_and_b32 s27, s2, exec_lo
.LBB617_321:
	s_or_b32 exec_lo, exec_lo, s29
	v_or_b32_e32 v33, 4, v55
	s_mov_b32 s29, exec_lo
	s_delay_alu instid0(VALU_DEP_1)
	v_cmpx_gt_u32_e64 s28, v33
	s_cbranch_execz .LBB617_332
; %bb.322:
	s_and_not1_b32 vcc_lo, exec_lo, s18
	s_mov_b32 s2, 0
	s_cbranch_vccnz .LBB617_331
; %bb.323:
	v_mul_lo_u32 v37, v28, s22
	v_mul_lo_u32 v38, v27, s23
	v_mad_u64_u32 v[33:34], null, v27, s22, 0
	v_mul_lo_u32 v39, v22, s22
	v_mul_lo_u32 v40, v21, s23
	v_mad_u64_u32 v[35:36], null, v21, s22, 0
	s_mov_b32 s2, -1
	s_mov_b32 s26, exec_lo
	s_delay_alu instid0(VALU_DEP_4) | instskip(NEXT) | instid1(VALU_DEP_2)
	v_add3_u32 v34, v34, v38, v37
	v_add3_u32 v36, v36, v40, v39
	s_delay_alu instid0(VALU_DEP_2) | instskip(NEXT) | instid1(VALU_DEP_2)
	v_lshlrev_b64 v[33:34], 3, v[33:34]
	v_lshlrev_b64 v[37:38], 3, v[35:36]
	s_delay_alu instid0(VALU_DEP_2) | instskip(NEXT) | instid1(VALU_DEP_3)
	v_add_co_u32 v35, vcc_lo, s8, v33
	v_add_co_ci_u32_e32 v36, vcc_lo, s9, v34, vcc_lo
	s_delay_alu instid0(VALU_DEP_3) | instskip(NEXT) | instid1(VALU_DEP_4)
	v_add_co_u32 v33, vcc_lo, s8, v37
	v_add_co_ci_u32_e32 v34, vcc_lo, s9, v38, vcc_lo
	s_clause 0x1
	global_load_b64 v[37:38], v[35:36], off
	global_load_b64 v[39:40], v[33:34], off
	s_waitcnt vmcnt(0)
	v_cmpx_eq_u64_e64 v[37:38], v[39:40]
	s_cbranch_execz .LBB617_330
; %bb.324:
	v_add_co_u32 v33, vcc_lo, v33, 8
	v_add_co_ci_u32_e32 v34, vcc_lo, 0, v34, vcc_lo
	v_add_co_u32 v35, vcc_lo, v35, 8
	v_add_co_ci_u32_e32 v36, vcc_lo, 0, v36, vcc_lo
	s_add_u32 s4, s22, -1
	s_addc_u32 s5, s23, -1
	s_mov_b64 s[6:7], 0
	s_mov_b32 s30, 0
                                        ; implicit-def: $sgpr31
	s_set_inst_prefetch_distance 0x1
	s_branch .LBB617_327
	.p2align	6
.LBB617_325:                            ;   in Loop: Header=BB617_327 Depth=1
	global_load_b64 v[37:38], v[35:36], off
	global_load_b64 v[39:40], v[33:34], off
	v_add_co_u32 v33, vcc_lo, v33, 8
	v_add_co_ci_u32_e32 v34, vcc_lo, 0, v34, vcc_lo
	v_add_co_u32 v35, s2, v35, 8
	s_delay_alu instid0(VALU_DEP_1)
	v_add_co_ci_u32_e64 v36, s2, 0, v36, s2
	s_add_u32 s6, s6, 1
	s_addc_u32 s7, s7, 0
	s_and_not1_b32 s2, s31, exec_lo
	s_waitcnt vmcnt(0)
	v_cmp_ne_u64_e32 vcc_lo, v[37:38], v[39:40]
	s_and_b32 s31, vcc_lo, exec_lo
	s_delay_alu instid0(SALU_CYCLE_1)
	s_or_b32 s31, s2, s31
.LBB617_326:                            ;   in Loop: Header=BB617_327 Depth=1
	v_dual_mov_b32 v38, s7 :: v_dual_mov_b32 v37, s6
	s_and_b32 s2, exec_lo, s31
	s_delay_alu instid0(SALU_CYCLE_1) | instskip(NEXT) | instid1(SALU_CYCLE_1)
	s_or_b32 s30, s2, s30
	s_and_not1_b32 exec_lo, exec_lo, s30
	s_cbranch_execz .LBB617_329
.LBB617_327:                            ; =>This Inner Loop Header: Depth=1
	s_or_b32 s31, s31, exec_lo
	s_cmp_eq_u64 s[4:5], s[6:7]
	s_cbranch_scc0 .LBB617_325
; %bb.328:                              ;   in Loop: Header=BB617_327 Depth=1
	s_mov_b64 s[6:7], s[22:23]
                                        ; implicit-def: $vgpr33_vgpr34
                                        ; implicit-def: $vgpr35_vgpr36
	s_branch .LBB617_326
.LBB617_329:
	s_set_inst_prefetch_distance 0x2
	s_or_b32 exec_lo, exec_lo, s30
	v_cmp_gt_i64_e32 vcc_lo, s[22:23], v[37:38]
	s_or_not1_b32 s2, vcc_lo, exec_lo
.LBB617_330:
	s_or_b32 exec_lo, exec_lo, s26
.LBB617_331:
	s_delay_alu instid0(SALU_CYCLE_1)
	s_and_b32 s26, s2, exec_lo
.LBB617_332:
	s_or_b32 exec_lo, exec_lo, s29
	v_or_b32_e32 v33, 3, v55
	s_mov_b32 s30, 0
	s_mov_b32 s29, 0
	s_mov_b32 s31, exec_lo
	s_delay_alu instid0(VALU_DEP_1)
	v_cmpx_gt_u32_e64 s28, v33
	s_cbranch_execz .LBB617_343
; %bb.333:
	s_and_not1_b32 vcc_lo, exec_lo, s18
	s_mov_b32 s2, 0
	s_cbranch_vccnz .LBB617_342
; %bb.334:
	v_mul_lo_u32 v37, v26, s22
	v_mul_lo_u32 v38, v25, s23
	v_mad_u64_u32 v[33:34], null, v25, s22, 0
	v_mul_lo_u32 v39, v28, s22
	v_mul_lo_u32 v40, v27, s23
	v_mad_u64_u32 v[35:36], null, v27, s22, 0
	s_mov_b32 s2, -1
	s_mov_b32 s29, exec_lo
	s_delay_alu instid0(VALU_DEP_4) | instskip(NEXT) | instid1(VALU_DEP_2)
	v_add3_u32 v34, v34, v38, v37
	v_add3_u32 v36, v36, v40, v39
	s_delay_alu instid0(VALU_DEP_2) | instskip(NEXT) | instid1(VALU_DEP_2)
	v_lshlrev_b64 v[33:34], 3, v[33:34]
	v_lshlrev_b64 v[37:38], 3, v[35:36]
	s_delay_alu instid0(VALU_DEP_2) | instskip(NEXT) | instid1(VALU_DEP_3)
	v_add_co_u32 v35, vcc_lo, s8, v33
	v_add_co_ci_u32_e32 v36, vcc_lo, s9, v34, vcc_lo
	s_delay_alu instid0(VALU_DEP_3) | instskip(NEXT) | instid1(VALU_DEP_4)
	v_add_co_u32 v33, vcc_lo, s8, v37
	v_add_co_ci_u32_e32 v34, vcc_lo, s9, v38, vcc_lo
	s_clause 0x1
	global_load_b64 v[37:38], v[35:36], off
	global_load_b64 v[39:40], v[33:34], off
	s_waitcnt vmcnt(0)
	v_cmpx_eq_u64_e64 v[37:38], v[39:40]
	s_cbranch_execz .LBB617_341
; %bb.335:
	v_add_co_u32 v33, vcc_lo, v33, 8
	v_add_co_ci_u32_e32 v34, vcc_lo, 0, v34, vcc_lo
	v_add_co_u32 v35, vcc_lo, v35, 8
	v_add_co_ci_u32_e32 v36, vcc_lo, 0, v36, vcc_lo
	s_add_u32 s4, s22, -1
	s_addc_u32 s5, s23, -1
	s_mov_b64 s[6:7], 0
	s_mov_b32 s33, 0
                                        ; implicit-def: $sgpr34
	s_set_inst_prefetch_distance 0x1
	s_branch .LBB617_338
	.p2align	6
.LBB617_336:                            ;   in Loop: Header=BB617_338 Depth=1
	global_load_b64 v[37:38], v[35:36], off
	global_load_b64 v[39:40], v[33:34], off
	v_add_co_u32 v33, vcc_lo, v33, 8
	v_add_co_ci_u32_e32 v34, vcc_lo, 0, v34, vcc_lo
	v_add_co_u32 v35, s2, v35, 8
	s_delay_alu instid0(VALU_DEP_1)
	v_add_co_ci_u32_e64 v36, s2, 0, v36, s2
	s_add_u32 s6, s6, 1
	s_addc_u32 s7, s7, 0
	s_and_not1_b32 s2, s34, exec_lo
	s_waitcnt vmcnt(0)
	v_cmp_ne_u64_e32 vcc_lo, v[37:38], v[39:40]
	s_and_b32 s34, vcc_lo, exec_lo
	s_delay_alu instid0(SALU_CYCLE_1)
	s_or_b32 s34, s2, s34
.LBB617_337:                            ;   in Loop: Header=BB617_338 Depth=1
	v_dual_mov_b32 v38, s7 :: v_dual_mov_b32 v37, s6
	s_and_b32 s2, exec_lo, s34
	s_delay_alu instid0(SALU_CYCLE_1) | instskip(NEXT) | instid1(SALU_CYCLE_1)
	s_or_b32 s33, s2, s33
	s_and_not1_b32 exec_lo, exec_lo, s33
	s_cbranch_execz .LBB617_340
.LBB617_338:                            ; =>This Inner Loop Header: Depth=1
	s_or_b32 s34, s34, exec_lo
	s_cmp_eq_u64 s[4:5], s[6:7]
	s_cbranch_scc0 .LBB617_336
; %bb.339:                              ;   in Loop: Header=BB617_338 Depth=1
	s_mov_b64 s[6:7], s[22:23]
                                        ; implicit-def: $vgpr33_vgpr34
                                        ; implicit-def: $vgpr35_vgpr36
	s_branch .LBB617_337
.LBB617_340:
	s_set_inst_prefetch_distance 0x2
	s_or_b32 exec_lo, exec_lo, s33
	v_cmp_gt_i64_e32 vcc_lo, s[22:23], v[37:38]
	s_or_not1_b32 s2, vcc_lo, exec_lo
.LBB617_341:
	s_or_b32 exec_lo, exec_lo, s29
.LBB617_342:
	s_delay_alu instid0(SALU_CYCLE_1)
	s_and_b32 s29, s2, exec_lo
.LBB617_343:
	s_or_b32 exec_lo, exec_lo, s31
	v_or_b32_e32 v33, 2, v55
	s_mov_b32 s31, exec_lo
	s_delay_alu instid0(VALU_DEP_1)
	v_cmpx_gt_u32_e64 s28, v33
	s_cbranch_execz .LBB617_354
; %bb.344:
	s_and_not1_b32 vcc_lo, exec_lo, s18
	s_mov_b32 s2, 0
	s_cbranch_vccnz .LBB617_353
; %bb.345:
	v_mul_lo_u32 v37, v32, s22
	v_mul_lo_u32 v38, v31, s23
	v_mad_u64_u32 v[33:34], null, v31, s22, 0
	v_mul_lo_u32 v39, v26, s22
	v_mul_lo_u32 v40, v25, s23
	v_mad_u64_u32 v[35:36], null, v25, s22, 0
	s_mov_b32 s2, -1
	s_mov_b32 s30, exec_lo
	s_delay_alu instid0(VALU_DEP_4) | instskip(NEXT) | instid1(VALU_DEP_2)
	v_add3_u32 v34, v34, v38, v37
	v_add3_u32 v36, v36, v40, v39
	s_delay_alu instid0(VALU_DEP_2) | instskip(NEXT) | instid1(VALU_DEP_2)
	v_lshlrev_b64 v[33:34], 3, v[33:34]
	v_lshlrev_b64 v[37:38], 3, v[35:36]
	s_delay_alu instid0(VALU_DEP_2) | instskip(NEXT) | instid1(VALU_DEP_3)
	v_add_co_u32 v35, vcc_lo, s8, v33
	v_add_co_ci_u32_e32 v36, vcc_lo, s9, v34, vcc_lo
	s_delay_alu instid0(VALU_DEP_3) | instskip(NEXT) | instid1(VALU_DEP_4)
	v_add_co_u32 v33, vcc_lo, s8, v37
	v_add_co_ci_u32_e32 v34, vcc_lo, s9, v38, vcc_lo
	s_clause 0x1
	global_load_b64 v[37:38], v[35:36], off
	global_load_b64 v[39:40], v[33:34], off
	s_waitcnt vmcnt(0)
	v_cmpx_eq_u64_e64 v[37:38], v[39:40]
	s_cbranch_execz .LBB617_352
; %bb.346:
	v_add_co_u32 v33, vcc_lo, v33, 8
	v_add_co_ci_u32_e32 v34, vcc_lo, 0, v34, vcc_lo
	v_add_co_u32 v35, vcc_lo, v35, 8
	v_add_co_ci_u32_e32 v36, vcc_lo, 0, v36, vcc_lo
	s_add_u32 s4, s22, -1
	s_addc_u32 s5, s23, -1
	s_mov_b64 s[6:7], 0
	s_mov_b32 s33, 0
                                        ; implicit-def: $sgpr34
	s_set_inst_prefetch_distance 0x1
	s_branch .LBB617_349
	.p2align	6
.LBB617_347:                            ;   in Loop: Header=BB617_349 Depth=1
	global_load_b64 v[37:38], v[35:36], off
	global_load_b64 v[39:40], v[33:34], off
	v_add_co_u32 v33, vcc_lo, v33, 8
	v_add_co_ci_u32_e32 v34, vcc_lo, 0, v34, vcc_lo
	v_add_co_u32 v35, s2, v35, 8
	s_delay_alu instid0(VALU_DEP_1)
	v_add_co_ci_u32_e64 v36, s2, 0, v36, s2
	s_add_u32 s6, s6, 1
	s_addc_u32 s7, s7, 0
	s_and_not1_b32 s2, s34, exec_lo
	s_waitcnt vmcnt(0)
	v_cmp_ne_u64_e32 vcc_lo, v[37:38], v[39:40]
	s_and_b32 s34, vcc_lo, exec_lo
	s_delay_alu instid0(SALU_CYCLE_1)
	s_or_b32 s34, s2, s34
.LBB617_348:                            ;   in Loop: Header=BB617_349 Depth=1
	v_dual_mov_b32 v38, s7 :: v_dual_mov_b32 v37, s6
	s_and_b32 s2, exec_lo, s34
	s_delay_alu instid0(SALU_CYCLE_1) | instskip(NEXT) | instid1(SALU_CYCLE_1)
	s_or_b32 s33, s2, s33
	s_and_not1_b32 exec_lo, exec_lo, s33
	s_cbranch_execz .LBB617_351
.LBB617_349:                            ; =>This Inner Loop Header: Depth=1
	s_or_b32 s34, s34, exec_lo
	s_cmp_eq_u64 s[4:5], s[6:7]
	s_cbranch_scc0 .LBB617_347
; %bb.350:                              ;   in Loop: Header=BB617_349 Depth=1
	s_mov_b64 s[6:7], s[22:23]
                                        ; implicit-def: $vgpr33_vgpr34
                                        ; implicit-def: $vgpr35_vgpr36
	s_branch .LBB617_348
.LBB617_351:
	s_set_inst_prefetch_distance 0x2
	s_or_b32 exec_lo, exec_lo, s33
	v_cmp_gt_i64_e32 vcc_lo, s[22:23], v[37:38]
	s_or_not1_b32 s2, vcc_lo, exec_lo
.LBB617_352:
	s_or_b32 exec_lo, exec_lo, s30
.LBB617_353:
	s_delay_alu instid0(SALU_CYCLE_1)
	s_and_b32 s30, s2, exec_lo
.LBB617_354:
	s_or_b32 exec_lo, exec_lo, s31
	v_or_b32_e32 v33, 1, v55
	s_mov_b32 s2, 0
	s_mov_b32 s31, exec_lo
	s_delay_alu instid0(VALU_DEP_1)
	v_cmpx_gt_u32_e64 s28, v33
	s_cbranch_execz .LBB617_365
; %bb.355:
	s_and_not1_b32 vcc_lo, exec_lo, s18
	s_cbranch_vccnz .LBB617_364
; %bb.356:
	v_mul_lo_u32 v37, v30, s22
	v_mul_lo_u32 v38, v29, s23
	v_mad_u64_u32 v[33:34], null, v29, s22, 0
	v_mul_lo_u32 v39, v32, s22
	v_mul_lo_u32 v40, v31, s23
	v_mad_u64_u32 v[35:36], null, v31, s22, 0
	s_mov_b32 s2, -1
	s_mov_b32 s33, exec_lo
	s_delay_alu instid0(VALU_DEP_4) | instskip(NEXT) | instid1(VALU_DEP_2)
	v_add3_u32 v34, v34, v38, v37
	v_add3_u32 v36, v36, v40, v39
	s_delay_alu instid0(VALU_DEP_2) | instskip(NEXT) | instid1(VALU_DEP_2)
	v_lshlrev_b64 v[33:34], 3, v[33:34]
	v_lshlrev_b64 v[37:38], 3, v[35:36]
	s_delay_alu instid0(VALU_DEP_2) | instskip(NEXT) | instid1(VALU_DEP_3)
	v_add_co_u32 v35, vcc_lo, s8, v33
	v_add_co_ci_u32_e32 v36, vcc_lo, s9, v34, vcc_lo
	s_delay_alu instid0(VALU_DEP_3) | instskip(NEXT) | instid1(VALU_DEP_4)
	v_add_co_u32 v33, vcc_lo, s8, v37
	v_add_co_ci_u32_e32 v34, vcc_lo, s9, v38, vcc_lo
	s_clause 0x1
	global_load_b64 v[37:38], v[35:36], off
	global_load_b64 v[39:40], v[33:34], off
	s_waitcnt vmcnt(0)
	v_cmpx_eq_u64_e64 v[37:38], v[39:40]
	s_cbranch_execz .LBB617_363
; %bb.357:
	v_add_co_u32 v33, vcc_lo, v33, 8
	v_add_co_ci_u32_e32 v34, vcc_lo, 0, v34, vcc_lo
	v_add_co_u32 v35, vcc_lo, v35, 8
	v_add_co_ci_u32_e32 v36, vcc_lo, 0, v36, vcc_lo
	s_add_u32 s4, s22, -1
	s_addc_u32 s5, s23, -1
	s_mov_b64 s[6:7], 0
	s_mov_b32 s34, 0
                                        ; implicit-def: $sgpr35
	s_set_inst_prefetch_distance 0x1
	s_branch .LBB617_360
	.p2align	6
.LBB617_358:                            ;   in Loop: Header=BB617_360 Depth=1
	global_load_b64 v[37:38], v[35:36], off
	global_load_b64 v[39:40], v[33:34], off
	v_add_co_u32 v33, vcc_lo, v33, 8
	v_add_co_ci_u32_e32 v34, vcc_lo, 0, v34, vcc_lo
	v_add_co_u32 v35, s2, v35, 8
	s_delay_alu instid0(VALU_DEP_1)
	v_add_co_ci_u32_e64 v36, s2, 0, v36, s2
	s_add_u32 s6, s6, 1
	s_addc_u32 s7, s7, 0
	s_and_not1_b32 s2, s35, exec_lo
	s_waitcnt vmcnt(0)
	v_cmp_ne_u64_e32 vcc_lo, v[37:38], v[39:40]
	s_and_b32 s35, vcc_lo, exec_lo
	s_delay_alu instid0(SALU_CYCLE_1)
	s_or_b32 s35, s2, s35
.LBB617_359:                            ;   in Loop: Header=BB617_360 Depth=1
	v_dual_mov_b32 v38, s7 :: v_dual_mov_b32 v37, s6
	s_and_b32 s2, exec_lo, s35
	s_delay_alu instid0(SALU_CYCLE_1) | instskip(NEXT) | instid1(SALU_CYCLE_1)
	s_or_b32 s34, s2, s34
	s_and_not1_b32 exec_lo, exec_lo, s34
	s_cbranch_execz .LBB617_362
.LBB617_360:                            ; =>This Inner Loop Header: Depth=1
	s_or_b32 s35, s35, exec_lo
	s_cmp_eq_u64 s[4:5], s[6:7]
	s_cbranch_scc0 .LBB617_358
; %bb.361:                              ;   in Loop: Header=BB617_360 Depth=1
	s_mov_b64 s[6:7], s[22:23]
                                        ; implicit-def: $vgpr33_vgpr34
                                        ; implicit-def: $vgpr35_vgpr36
	s_branch .LBB617_359
.LBB617_362:
	s_set_inst_prefetch_distance 0x2
	s_or_b32 exec_lo, exec_lo, s34
	v_cmp_gt_i64_e32 vcc_lo, s[22:23], v[37:38]
	s_or_not1_b32 s2, vcc_lo, exec_lo
.LBB617_363:
	s_or_b32 exec_lo, exec_lo, s33
.LBB617_364:
	s_delay_alu instid0(SALU_CYCLE_1)
	s_and_b32 s2, s2, exec_lo
.LBB617_365:
	s_or_b32 exec_lo, exec_lo, s31
	v_cndmask_b32_e64 v34, 0, 1, s29
	v_cndmask_b32_e64 v35, 0, 1, s27
	v_cndmask_b32_e64 v36, 0, 1, s25
	v_cndmask_b32_e64 v37, 0, 1, s2
	v_cndmask_b32_e64 v33, 0, 1, s30
	v_cndmask_b32_e64 v38, 0, 1, s26
	v_cndmask_b32_e64 v39, 0, 1, s19
	v_lshlrev_b16 v35, 8, v35
	v_lshlrev_b16 v36, 8, v36
	;; [unrolled: 1-line block ×4, first 2 shown]
	s_mov_b32 s19, exec_lo
	v_or_b32_e32 v35, v38, v35
	v_or_b32_e32 v36, v39, v36
	;; [unrolled: 1-line block ×4, first 2 shown]
	s_waitcnt lgkmcnt(0)
	v_and_b32_e32 v34, 0xffff, v35
	v_lshlrev_b32_e32 v35, 16, v36
	v_and_b32_e32 v36, 0xffff, v37
	v_lshlrev_b32_e32 v33, 16, v33
	s_barrier
	buffer_gl0_inv
	v_or_b32_e32 v34, v34, v35
                                        ; implicit-def: $sgpr2
	v_or_b32_e32 v33, v36, v33
	v_cmpx_ne_u32_e32 0, v0
	s_cbranch_execz .LBB617_378
; %bb.366:
	s_mov_b32 s2, 0
	s_mov_b32 s25, exec_lo
	v_cmpx_gt_u32_e64 s28, v55
	s_cbranch_execz .LBB617_377
; %bb.367:
	s_and_not1_b32 vcc_lo, exec_lo, s18
	s_cbranch_vccnz .LBB617_376
; %bb.368:
	v_add_nc_u32_e32 v35, -8, v55
	v_mul_lo_u32 v42, v29, s23
	v_mad_u64_u32 v[38:39], null, v29, s22, 0
	s_mov_b32 s2, -1
	ds_load_b64 v[35:36], v35
	s_waitcnt lgkmcnt(0)
	v_mul_lo_u32 v40, v36, s22
	v_mul_lo_u32 v41, v35, s23
	v_mad_u64_u32 v[36:37], null, v35, s22, 0
	v_mul_lo_u32 v35, v30, s22
	s_delay_alu instid0(VALU_DEP_2) | instskip(NEXT) | instid1(VALU_DEP_2)
	v_add3_u32 v37, v37, v41, v40
	v_add3_u32 v39, v39, v42, v35
	s_delay_alu instid0(VALU_DEP_2) | instskip(NEXT) | instid1(VALU_DEP_2)
	v_lshlrev_b64 v[35:36], 3, v[36:37]
	v_lshlrev_b64 v[39:40], 3, v[38:39]
	s_delay_alu instid0(VALU_DEP_2) | instskip(NEXT) | instid1(VALU_DEP_3)
	v_add_co_u32 v37, vcc_lo, s8, v35
	v_add_co_ci_u32_e32 v38, vcc_lo, s9, v36, vcc_lo
	s_delay_alu instid0(VALU_DEP_3) | instskip(NEXT) | instid1(VALU_DEP_4)
	v_add_co_u32 v35, vcc_lo, s8, v39
	v_add_co_ci_u32_e32 v36, vcc_lo, s9, v40, vcc_lo
	s_clause 0x1
	global_load_b64 v[39:40], v[37:38], off
	global_load_b64 v[41:42], v[35:36], off
	s_mov_b32 s8, exec_lo
	s_waitcnt vmcnt(0)
	v_cmpx_eq_u64_e64 v[39:40], v[41:42]
	s_cbranch_execz .LBB617_375
; %bb.369:
	v_add_co_u32 v35, vcc_lo, v35, 8
	v_add_co_ci_u32_e32 v36, vcc_lo, 0, v36, vcc_lo
	v_add_co_u32 v37, vcc_lo, v37, 8
	v_add_co_ci_u32_e32 v38, vcc_lo, 0, v38, vcc_lo
	s_add_u32 s4, s22, -1
	s_addc_u32 s5, s23, -1
	s_mov_b64 s[6:7], 0
	s_mov_b32 s9, 0
                                        ; implicit-def: $sgpr18
	s_set_inst_prefetch_distance 0x1
	s_branch .LBB617_372
	.p2align	6
.LBB617_370:                            ;   in Loop: Header=BB617_372 Depth=1
	global_load_b64 v[39:40], v[37:38], off
	global_load_b64 v[41:42], v[35:36], off
	v_add_co_u32 v35, vcc_lo, v35, 8
	v_add_co_ci_u32_e32 v36, vcc_lo, 0, v36, vcc_lo
	v_add_co_u32 v37, s2, v37, 8
	s_delay_alu instid0(VALU_DEP_1)
	v_add_co_ci_u32_e64 v38, s2, 0, v38, s2
	s_add_u32 s6, s6, 1
	s_addc_u32 s7, s7, 0
	s_and_not1_b32 s2, s18, exec_lo
	s_waitcnt vmcnt(0)
	v_cmp_ne_u64_e32 vcc_lo, v[39:40], v[41:42]
	s_and_b32 s18, vcc_lo, exec_lo
	s_delay_alu instid0(SALU_CYCLE_1)
	s_or_b32 s18, s2, s18
.LBB617_371:                            ;   in Loop: Header=BB617_372 Depth=1
	v_dual_mov_b32 v40, s7 :: v_dual_mov_b32 v39, s6
	s_and_b32 s2, exec_lo, s18
	s_delay_alu instid0(SALU_CYCLE_1) | instskip(NEXT) | instid1(SALU_CYCLE_1)
	s_or_b32 s9, s2, s9
	s_and_not1_b32 exec_lo, exec_lo, s9
	s_cbranch_execz .LBB617_374
.LBB617_372:                            ; =>This Inner Loop Header: Depth=1
	s_or_b32 s18, s18, exec_lo
	s_cmp_eq_u64 s[4:5], s[6:7]
	s_cbranch_scc0 .LBB617_370
; %bb.373:                              ;   in Loop: Header=BB617_372 Depth=1
	s_mov_b64 s[6:7], s[22:23]
                                        ; implicit-def: $vgpr35_vgpr36
                                        ; implicit-def: $vgpr37_vgpr38
	s_branch .LBB617_371
.LBB617_374:
	s_set_inst_prefetch_distance 0x2
	s_or_b32 exec_lo, exec_lo, s9
	v_cmp_gt_i64_e32 vcc_lo, s[22:23], v[39:40]
	s_or_not1_b32 s2, vcc_lo, exec_lo
.LBB617_375:
	s_or_b32 exec_lo, exec_lo, s8
.LBB617_376:
	s_delay_alu instid0(SALU_CYCLE_1)
	s_and_b32 s2, s2, exec_lo
.LBB617_377:
	s_or_b32 exec_lo, exec_lo, s25
	s_delay_alu instid0(SALU_CYCLE_1)
	s_and_b32 s2, s2, exec_lo
	s_or_b32 s3, s3, exec_lo
.LBB617_378:
	s_or_b32 exec_lo, exec_lo, s19
.LBB617_379:
	s_and_saveexec_b32 s4, s3
; %bb.380:
	v_and_b32_e32 v35, 0xffffff00, v33
	v_cndmask_b32_e64 v36, 0, 1, s2
	s_delay_alu instid0(VALU_DEP_1) | instskip(NEXT) | instid1(VALU_DEP_1)
	v_or_b32_e32 v35, v36, v35
	v_and_b32_e32 v35, 0xffff, v35
	s_delay_alu instid0(VALU_DEP_1)
	v_and_or_b32 v33, 0xffff0000, v33, v35
; %bb.381:
	s_or_b32 exec_lo, exec_lo, s4
	s_delay_alu instid0(SALU_CYCLE_1)
	s_and_not1_b32 vcc_lo, exec_lo, s21
	s_cbranch_vccnz .LBB617_383
; %bb.382:
	v_cmp_gt_u32_e32 vcc_lo, s28, v55
	v_or_b32_e32 v36, 1, v55
	v_and_b32_e32 v37, 0xffffff00, v34
	v_or_b32_e32 v38, 2, v55
	v_cndmask_b32_e32 v35, 0, v33, vcc_lo
	s_delay_alu instid0(VALU_DEP_4) | instskip(SKIP_1) | instid1(VALU_DEP_4)
	v_cmp_gt_u32_e32 vcc_lo, s28, v36
	v_or_b32_e32 v36, 4, v55
	v_cmp_gt_u32_e64 s2, s28, v38
	v_or_b32_e32 v38, 3, v55
	v_and_b32_e32 v35, 0xff, v35
	s_delay_alu instid0(VALU_DEP_2) | instskip(NEXT) | instid1(VALU_DEP_2)
	v_cmp_gt_u32_e64 s3, s28, v38
	v_cndmask_b32_e32 v35, v35, v33, vcc_lo
	v_cmp_gt_u32_e32 vcc_lo, s28, v36
	v_cndmask_b32_e32 v36, v37, v34, vcc_lo
	v_or_b32_e32 v37, 5, v55
	s_delay_alu instid0(VALU_DEP_2) | instskip(SKIP_1) | instid1(VALU_DEP_1)
	v_and_b32_e32 v36, 0xffff00ff, v36
	v_and_b32_e32 v35, 0xffff, v35
	v_cndmask_b32_e64 v35, v35, v33, s2
	s_delay_alu instid0(VALU_DEP_4) | instskip(SKIP_1) | instid1(VALU_DEP_3)
	v_cmp_gt_u32_e64 s2, s28, v37
	v_or_b32_e32 v37, 6, v55
	v_and_b32_e32 v35, 0xffffff, v35
	s_delay_alu instid0(VALU_DEP_3) | instskip(NEXT) | instid1(VALU_DEP_2)
	v_cndmask_b32_e64 v36, v36, v34, s2
	v_cndmask_b32_e64 v35, v35, v33, s3
	s_delay_alu instid0(VALU_DEP_1) | instskip(SKIP_2) | instid1(VALU_DEP_3)
	v_dual_cndmask_b32 v35, v35, v33 :: v_dual_and_b32 v36, 0xff00ffff, v36
	v_cmp_gt_u32_e32 vcc_lo, s28, v37
	v_or_b32_e32 v37, 7, v55
	v_cndmask_b32_e64 v35, v35, v33, s2
	s_delay_alu instid0(VALU_DEP_1) | instskip(NEXT) | instid1(VALU_DEP_1)
	v_dual_cndmask_b32 v36, v36, v34 :: v_dual_cndmask_b32 v35, v35, v33
	v_and_b32_e32 v36, 0xffffff, v36
	s_delay_alu instid0(VALU_DEP_4) | instskip(NEXT) | instid1(VALU_DEP_2)
	v_cmp_gt_u32_e32 vcc_lo, s28, v37
	v_dual_cndmask_b32 v34, v36, v34 :: v_dual_cndmask_b32 v33, v35, v33
.LBB617_383:
	s_delay_alu instid0(VALU_DEP_1) | instskip(NEXT) | instid1(VALU_DEP_2)
	v_and_b32_e32 v42, 0xff, v33
	v_alignbit_b32 v35, v34, v33, 24
	v_bfe_u32 v44, v33, 8, 8
	v_bfe_u32 v46, v33, 16, 8
	v_and_b32_e32 v50, 0xff, v34
	v_bfe_u32 v52, v34, 8, 8
	v_and_b32_e32 v48, 0xff, v35
	v_add_nc_u32_e32 v35, v44, v42
	v_mbcnt_lo_u32_b32 v57, -1, 0
	v_bfe_u32 v54, v34, 16, 8
	v_lshrrev_b32_e32 v56, 24, v34
	v_lshrrev_b32_e32 v58, 5, v0
	v_add3_u32 v35, v35, v46, v48
	v_and_b32_e32 v36, 15, v57
	v_and_b32_e32 v37, 16, v57
	s_and_b32 vcc_lo, exec_lo, s24
	s_mov_b32 s9, -1
	v_add3_u32 v35, v35, v50, v52
	v_cmp_eq_u32_e64 s4, 0, v36
	v_cmp_lt_u32_e64 s2, 1, v36
	v_cmp_lt_u32_e64 s5, 3, v36
	;; [unrolled: 1-line block ×3, first 2 shown]
	v_add3_u32 v59, v35, v54, v56
	v_or_b32_e32 v35, 31, v0
	v_cmp_eq_u32_e64 s7, 0, v37
	s_waitcnt lgkmcnt(0)
	s_barrier
	buffer_gl0_inv
	v_cmp_eq_u32_e64 s6, v35, v0
	s_cbranch_vccz .LBB617_414
; %bb.384:
	v_mov_b32_dpp v35, v59 row_shr:1 row_mask:0xf bank_mask:0xf
	s_delay_alu instid0(VALU_DEP_1) | instskip(NEXT) | instid1(VALU_DEP_1)
	v_cndmask_b32_e64 v35, v35, 0, s4
	v_add_nc_u32_e32 v35, v35, v59
	s_delay_alu instid0(VALU_DEP_1) | instskip(NEXT) | instid1(VALU_DEP_1)
	v_mov_b32_dpp v36, v35 row_shr:2 row_mask:0xf bank_mask:0xf
	v_cndmask_b32_e64 v36, 0, v36, s2
	s_delay_alu instid0(VALU_DEP_1) | instskip(NEXT) | instid1(VALU_DEP_1)
	v_add_nc_u32_e32 v35, v35, v36
	v_mov_b32_dpp v36, v35 row_shr:4 row_mask:0xf bank_mask:0xf
	s_delay_alu instid0(VALU_DEP_1) | instskip(NEXT) | instid1(VALU_DEP_1)
	v_cndmask_b32_e64 v36, 0, v36, s5
	v_add_nc_u32_e32 v35, v35, v36
	s_delay_alu instid0(VALU_DEP_1) | instskip(NEXT) | instid1(VALU_DEP_1)
	v_mov_b32_dpp v36, v35 row_shr:8 row_mask:0xf bank_mask:0xf
	v_cndmask_b32_e64 v36, 0, v36, s3
	s_delay_alu instid0(VALU_DEP_1) | instskip(SKIP_3) | instid1(VALU_DEP_1)
	v_add_nc_u32_e32 v35, v35, v36
	ds_swizzle_b32 v36, v35 offset:swizzle(BROADCAST,32,15)
	s_waitcnt lgkmcnt(0)
	v_cndmask_b32_e64 v36, v36, 0, s7
	v_add_nc_u32_e32 v35, v35, v36
	s_and_saveexec_b32 s8, s6
	s_cbranch_execz .LBB617_386
; %bb.385:
	v_lshlrev_b32_e32 v36, 2, v58
	ds_store_b32 v36, v35
.LBB617_386:
	s_or_b32 exec_lo, exec_lo, s8
	s_delay_alu instid0(SALU_CYCLE_1)
	s_mov_b32 s8, exec_lo
	s_waitcnt lgkmcnt(0)
	s_barrier
	buffer_gl0_inv
	v_cmpx_gt_u32_e32 16, v0
	s_cbranch_execz .LBB617_388
; %bb.387:
	v_lshlrev_b32_e32 v36, 2, v0
	ds_load_b32 v37, v36
	s_waitcnt lgkmcnt(0)
	v_mov_b32_dpp v38, v37 row_shr:1 row_mask:0xf bank_mask:0xf
	s_delay_alu instid0(VALU_DEP_1) | instskip(NEXT) | instid1(VALU_DEP_1)
	v_cndmask_b32_e64 v38, v38, 0, s4
	v_add_nc_u32_e32 v37, v38, v37
	s_delay_alu instid0(VALU_DEP_1) | instskip(NEXT) | instid1(VALU_DEP_1)
	v_mov_b32_dpp v38, v37 row_shr:2 row_mask:0xf bank_mask:0xf
	v_cndmask_b32_e64 v38, 0, v38, s2
	s_delay_alu instid0(VALU_DEP_1) | instskip(NEXT) | instid1(VALU_DEP_1)
	v_add_nc_u32_e32 v37, v37, v38
	v_mov_b32_dpp v38, v37 row_shr:4 row_mask:0xf bank_mask:0xf
	s_delay_alu instid0(VALU_DEP_1) | instskip(NEXT) | instid1(VALU_DEP_1)
	v_cndmask_b32_e64 v38, 0, v38, s5
	v_add_nc_u32_e32 v37, v37, v38
	s_delay_alu instid0(VALU_DEP_1) | instskip(NEXT) | instid1(VALU_DEP_1)
	v_mov_b32_dpp v38, v37 row_shr:8 row_mask:0xf bank_mask:0xf
	v_cndmask_b32_e64 v38, 0, v38, s3
	s_delay_alu instid0(VALU_DEP_1)
	v_add_nc_u32_e32 v37, v37, v38
	ds_store_b32 v36, v37
.LBB617_388:
	s_or_b32 exec_lo, exec_lo, s8
	v_cmp_gt_u32_e32 vcc_lo, 32, v0
	s_mov_b32 s9, exec_lo
	s_waitcnt lgkmcnt(0)
	s_barrier
	buffer_gl0_inv
                                        ; implicit-def: $vgpr43
	v_cmpx_lt_u32_e32 31, v0
	s_cbranch_execz .LBB617_390
; %bb.389:
	v_lshl_add_u32 v36, v58, 2, -4
	ds_load_b32 v43, v36
	s_waitcnt lgkmcnt(0)
	v_add_nc_u32_e32 v35, v43, v35
.LBB617_390:
	s_or_b32 exec_lo, exec_lo, s9
	v_add_nc_u32_e32 v36, -1, v57
	s_delay_alu instid0(VALU_DEP_1) | instskip(NEXT) | instid1(VALU_DEP_1)
	v_cmp_gt_i32_e64 s8, 0, v36
	v_cndmask_b32_e64 v36, v36, v57, s8
	v_cmp_eq_u32_e64 s8, 0, v57
	s_delay_alu instid0(VALU_DEP_2)
	v_lshlrev_b32_e32 v36, 2, v36
	ds_bpermute_b32 v45, v36, v35
	s_and_saveexec_b32 s9, vcc_lo
	s_cbranch_execz .LBB617_413
; %bb.391:
	v_mov_b32_e32 v38, 0
	ds_load_b32 v35, v38 offset:60
	s_and_saveexec_b32 s18, s8
	s_cbranch_execz .LBB617_393
; %bb.392:
	s_add_i32 s22, s15, 32
	s_mov_b32 s23, 0
	v_mov_b32_e32 v36, 1
	s_lshl_b64 s[22:23], s[22:23], 3
	s_delay_alu instid0(SALU_CYCLE_1)
	s_add_u32 s22, s10, s22
	s_addc_u32 s23, s11, s23
	s_waitcnt lgkmcnt(0)
	global_store_b64 v38, v[35:36], s[22:23]
.LBB617_393:
	s_or_b32 exec_lo, exec_lo, s18
	v_xad_u32 v36, v57, -1, s15
	s_mov_b32 s19, 0
	s_mov_b32 s18, exec_lo
	s_delay_alu instid0(VALU_DEP_1) | instskip(NEXT) | instid1(VALU_DEP_1)
	v_add_nc_u32_e32 v37, 32, v36
	v_lshlrev_b64 v[37:38], 3, v[37:38]
	s_delay_alu instid0(VALU_DEP_1) | instskip(NEXT) | instid1(VALU_DEP_2)
	v_add_co_u32 v40, vcc_lo, s10, v37
	v_add_co_ci_u32_e32 v41, vcc_lo, s11, v38, vcc_lo
	global_load_b64 v[38:39], v[40:41], off glc
	s_waitcnt vmcnt(0)
	v_and_b32_e32 v37, 0xff, v39
	s_delay_alu instid0(VALU_DEP_1)
	v_cmpx_eq_u16_e32 0, v37
	s_cbranch_execz .LBB617_399
; %bb.394:
	s_mov_b32 s21, 1
	.p2align	6
.LBB617_395:                            ; =>This Loop Header: Depth=1
                                        ;     Child Loop BB617_396 Depth 2
	s_delay_alu instid0(SALU_CYCLE_1)
	s_max_u32 s22, s21, 1
.LBB617_396:                            ;   Parent Loop BB617_395 Depth=1
                                        ; =>  This Inner Loop Header: Depth=2
	s_delay_alu instid0(SALU_CYCLE_1)
	s_add_i32 s22, s22, -1
	s_sleep 1
	s_cmp_eq_u32 s22, 0
	s_cbranch_scc0 .LBB617_396
; %bb.397:                              ;   in Loop: Header=BB617_395 Depth=1
	global_load_b64 v[38:39], v[40:41], off glc
	s_cmp_lt_u32 s21, 32
	s_cselect_b32 s22, -1, 0
	s_delay_alu instid0(SALU_CYCLE_1) | instskip(SKIP_3) | instid1(VALU_DEP_1)
	s_cmp_lg_u32 s22, 0
	s_addc_u32 s21, s21, 0
	s_waitcnt vmcnt(0)
	v_and_b32_e32 v37, 0xff, v39
	v_cmp_ne_u16_e32 vcc_lo, 0, v37
	s_or_b32 s19, vcc_lo, s19
	s_delay_alu instid0(SALU_CYCLE_1)
	s_and_not1_b32 exec_lo, exec_lo, s19
	s_cbranch_execnz .LBB617_395
; %bb.398:
	s_or_b32 exec_lo, exec_lo, s19
.LBB617_399:
	s_delay_alu instid0(SALU_CYCLE_1)
	s_or_b32 exec_lo, exec_lo, s18
	v_cmp_ne_u32_e32 vcc_lo, 31, v57
	v_lshlrev_b32_e64 v49, v57, -1
	v_add_nc_u32_e32 v53, 2, v57
	v_add_nc_u32_e32 v62, 4, v57
	;; [unrolled: 1-line block ×3, first 2 shown]
	v_add_co_ci_u32_e32 v37, vcc_lo, 0, v57, vcc_lo
	v_add_nc_u32_e32 v66, 16, v57
	s_delay_alu instid0(VALU_DEP_2)
	v_lshlrev_b32_e32 v47, 2, v37
	v_and_b32_e32 v37, 0xff, v39
	ds_bpermute_b32 v40, v47, v38
	v_cmp_eq_u16_e32 vcc_lo, 2, v37
	v_and_or_b32 v37, vcc_lo, v49, 0x80000000
	v_cmp_gt_u32_e32 vcc_lo, 30, v57
	s_delay_alu instid0(VALU_DEP_2) | instskip(SKIP_1) | instid1(VALU_DEP_2)
	v_ctz_i32_b32_e32 v37, v37
	v_cndmask_b32_e64 v41, 0, 1, vcc_lo
	v_cmp_lt_u32_e32 vcc_lo, v57, v37
	s_waitcnt lgkmcnt(0)
	s_delay_alu instid0(VALU_DEP_2) | instskip(NEXT) | instid1(VALU_DEP_1)
	v_dual_cndmask_b32 v40, 0, v40 :: v_dual_lshlrev_b32 v41, 1, v41
	v_add_lshl_u32 v51, v41, v57, 2
	v_cmp_gt_u32_e32 vcc_lo, 28, v57
	s_delay_alu instid0(VALU_DEP_3) | instskip(SKIP_4) | instid1(VALU_DEP_1)
	v_add_nc_u32_e32 v38, v40, v38
	v_cndmask_b32_e64 v41, 0, 1, vcc_lo
	v_cmp_le_u32_e32 vcc_lo, v53, v37
	ds_bpermute_b32 v40, v51, v38
	v_lshlrev_b32_e32 v41, 2, v41
	v_add_lshl_u32 v60, v41, v57, 2
	s_waitcnt lgkmcnt(0)
	v_cndmask_b32_e32 v40, 0, v40, vcc_lo
	v_cmp_gt_u32_e32 vcc_lo, 24, v57
	s_delay_alu instid0(VALU_DEP_2) | instskip(SKIP_4) | instid1(VALU_DEP_1)
	v_add_nc_u32_e32 v38, v38, v40
	v_cndmask_b32_e64 v41, 0, 1, vcc_lo
	v_cmp_le_u32_e32 vcc_lo, v62, v37
	ds_bpermute_b32 v40, v60, v38
	v_lshlrev_b32_e32 v41, 3, v41
	v_add_lshl_u32 v63, v41, v57, 2
	s_waitcnt lgkmcnt(0)
	v_cndmask_b32_e32 v40, 0, v40, vcc_lo
	v_cmp_gt_u32_e32 vcc_lo, 16, v57
	s_delay_alu instid0(VALU_DEP_2) | instskip(SKIP_4) | instid1(VALU_DEP_1)
	v_add_nc_u32_e32 v38, v38, v40
	v_cndmask_b32_e64 v41, 0, 1, vcc_lo
	v_cmp_le_u32_e32 vcc_lo, v64, v37
	ds_bpermute_b32 v40, v63, v38
	v_lshlrev_b32_e32 v41, 4, v41
	v_add_lshl_u32 v65, v41, v57, 2
	s_waitcnt lgkmcnt(0)
	v_cndmask_b32_e32 v40, 0, v40, vcc_lo
	v_cmp_le_u32_e32 vcc_lo, v66, v37
	s_delay_alu instid0(VALU_DEP_2) | instskip(SKIP_3) | instid1(VALU_DEP_1)
	v_add_nc_u32_e32 v38, v38, v40
	ds_bpermute_b32 v40, v65, v38
	s_waitcnt lgkmcnt(0)
	v_cndmask_b32_e32 v37, 0, v40, vcc_lo
	v_dual_mov_b32 v37, 0 :: v_dual_add_nc_u32 v38, v38, v37
	s_branch .LBB617_401
.LBB617_400:                            ;   in Loop: Header=BB617_401 Depth=1
	s_or_b32 exec_lo, exec_lo, s18
	ds_bpermute_b32 v41, v47, v38
	v_and_b32_e32 v40, 0xff, v39
	v_subrev_nc_u32_e32 v36, 32, v36
	s_delay_alu instid0(VALU_DEP_2) | instskip(SKIP_1) | instid1(VALU_DEP_1)
	v_cmp_eq_u16_e32 vcc_lo, 2, v40
	v_and_or_b32 v40, vcc_lo, v49, 0x80000000
	v_ctz_i32_b32_e32 v40, v40
	s_delay_alu instid0(VALU_DEP_1) | instskip(SKIP_3) | instid1(VALU_DEP_2)
	v_cmp_lt_u32_e32 vcc_lo, v57, v40
	s_waitcnt lgkmcnt(0)
	v_cndmask_b32_e32 v41, 0, v41, vcc_lo
	v_cmp_le_u32_e32 vcc_lo, v53, v40
	v_add_nc_u32_e32 v38, v41, v38
	ds_bpermute_b32 v41, v51, v38
	s_waitcnt lgkmcnt(0)
	v_cndmask_b32_e32 v41, 0, v41, vcc_lo
	v_cmp_le_u32_e32 vcc_lo, v62, v40
	s_delay_alu instid0(VALU_DEP_2) | instskip(SKIP_4) | instid1(VALU_DEP_2)
	v_add_nc_u32_e32 v38, v38, v41
	ds_bpermute_b32 v41, v60, v38
	s_waitcnt lgkmcnt(0)
	v_cndmask_b32_e32 v41, 0, v41, vcc_lo
	v_cmp_le_u32_e32 vcc_lo, v64, v40
	v_add_nc_u32_e32 v38, v38, v41
	ds_bpermute_b32 v41, v63, v38
	s_waitcnt lgkmcnt(0)
	v_cndmask_b32_e32 v41, 0, v41, vcc_lo
	v_cmp_le_u32_e32 vcc_lo, v66, v40
	s_delay_alu instid0(VALU_DEP_2) | instskip(SKIP_3) | instid1(VALU_DEP_1)
	v_add_nc_u32_e32 v38, v38, v41
	ds_bpermute_b32 v41, v65, v38
	s_waitcnt lgkmcnt(0)
	v_cndmask_b32_e32 v40, 0, v41, vcc_lo
	v_add3_u32 v38, v40, v61, v38
.LBB617_401:                            ; =>This Loop Header: Depth=1
                                        ;     Child Loop BB617_404 Depth 2
                                        ;       Child Loop BB617_405 Depth 3
	v_and_b32_e32 v39, 0xff, v39
	s_delay_alu instid0(VALU_DEP_2) | instskip(NEXT) | instid1(VALU_DEP_2)
	v_mov_b32_e32 v61, v38
	v_cmp_ne_u16_e32 vcc_lo, 2, v39
	v_cndmask_b32_e64 v39, 0, 1, vcc_lo
	;;#ASMSTART
	;;#ASMEND
	s_delay_alu instid0(VALU_DEP_1)
	v_cmp_ne_u32_e32 vcc_lo, 0, v39
	s_cmp_lg_u32 vcc_lo, exec_lo
	s_cbranch_scc1 .LBB617_408
; %bb.402:                              ;   in Loop: Header=BB617_401 Depth=1
	v_lshlrev_b64 v[38:39], 3, v[36:37]
	s_mov_b32 s18, exec_lo
	s_delay_alu instid0(VALU_DEP_1) | instskip(NEXT) | instid1(VALU_DEP_2)
	v_add_co_u32 v40, vcc_lo, s10, v38
	v_add_co_ci_u32_e32 v41, vcc_lo, s11, v39, vcc_lo
	global_load_b64 v[38:39], v[40:41], off glc
	s_waitcnt vmcnt(0)
	v_and_b32_e32 v67, 0xff, v39
	s_delay_alu instid0(VALU_DEP_1)
	v_cmpx_eq_u16_e32 0, v67
	s_cbranch_execz .LBB617_400
; %bb.403:                              ;   in Loop: Header=BB617_401 Depth=1
	s_mov_b32 s21, 1
	s_mov_b32 s19, 0
	.p2align	6
.LBB617_404:                            ;   Parent Loop BB617_401 Depth=1
                                        ; =>  This Loop Header: Depth=2
                                        ;       Child Loop BB617_405 Depth 3
	s_max_u32 s22, s21, 1
.LBB617_405:                            ;   Parent Loop BB617_401 Depth=1
                                        ;     Parent Loop BB617_404 Depth=2
                                        ; =>    This Inner Loop Header: Depth=3
	s_delay_alu instid0(SALU_CYCLE_1)
	s_add_i32 s22, s22, -1
	s_sleep 1
	s_cmp_eq_u32 s22, 0
	s_cbranch_scc0 .LBB617_405
; %bb.406:                              ;   in Loop: Header=BB617_404 Depth=2
	global_load_b64 v[38:39], v[40:41], off glc
	s_cmp_lt_u32 s21, 32
	s_cselect_b32 s22, -1, 0
	s_delay_alu instid0(SALU_CYCLE_1) | instskip(SKIP_3) | instid1(VALU_DEP_1)
	s_cmp_lg_u32 s22, 0
	s_addc_u32 s21, s21, 0
	s_waitcnt vmcnt(0)
	v_and_b32_e32 v67, 0xff, v39
	v_cmp_ne_u16_e32 vcc_lo, 0, v67
	s_or_b32 s19, vcc_lo, s19
	s_delay_alu instid0(SALU_CYCLE_1)
	s_and_not1_b32 exec_lo, exec_lo, s19
	s_cbranch_execnz .LBB617_404
; %bb.407:                              ;   in Loop: Header=BB617_401 Depth=1
	s_or_b32 exec_lo, exec_lo, s19
	s_branch .LBB617_400
.LBB617_408:                            ;   in Loop: Header=BB617_401 Depth=1
                                        ; implicit-def: $vgpr38
                                        ; implicit-def: $vgpr39
	s_cbranch_execz .LBB617_401
; %bb.409:
	s_and_saveexec_b32 s18, s8
	s_cbranch_execz .LBB617_411
; %bb.410:
	s_add_i32 s22, s15, 32
	s_mov_b32 s23, 0
	v_dual_mov_b32 v37, 2 :: v_dual_add_nc_u32 v36, v61, v35
	s_lshl_b64 s[22:23], s[22:23], 3
	v_mov_b32_e32 v38, 0
	v_add_nc_u32_e64 v39, 0x8400, 0
	s_add_u32 s22, s10, s22
	s_addc_u32 s23, s11, s23
	global_store_b64 v38, v[36:37], s[22:23]
	ds_store_2addr_b32 v39, v35, v61 offset1:2
.LBB617_411:
	s_or_b32 exec_lo, exec_lo, s18
	v_cmp_eq_u32_e32 vcc_lo, 0, v0
	s_and_b32 exec_lo, exec_lo, vcc_lo
	s_cbranch_execz .LBB617_413
; %bb.412:
	v_mov_b32_e32 v35, 0
	ds_store_b32 v35, v61 offset:60
.LBB617_413:
	s_or_b32 exec_lo, exec_lo, s9
	s_waitcnt lgkmcnt(0)
	v_cndmask_b32_e64 v36, v45, v43, s8
	v_cmp_ne_u32_e32 vcc_lo, 0, v0
	v_mov_b32_e32 v35, 0
	s_waitcnt_vscnt null, 0x0
	s_barrier
	buffer_gl0_inv
	v_cndmask_b32_e32 v36, 0, v36, vcc_lo
	ds_load_b32 v35, v35 offset:60
	s_waitcnt lgkmcnt(0)
	s_barrier
	buffer_gl0_inv
	v_add_nc_u32_e32 v53, v35, v36
	v_add_nc_u32_e64 v35, 0x8400, 0
	s_delay_alu instid0(VALU_DEP_2) | instskip(SKIP_2) | instid1(VALU_DEP_1)
	v_add_nc_u32_e32 v51, v53, v42
	ds_load_2addr_b32 v[35:36], v35 offset1:2
	v_add_nc_u32_e32 v49, v51, v44
	v_add_nc_u32_e32 v47, v49, v46
	s_delay_alu instid0(VALU_DEP_1) | instskip(NEXT) | instid1(VALU_DEP_1)
	v_add_nc_u32_e32 v45, v47, v48
	v_add_nc_u32_e32 v43, v45, v50
	s_waitcnt lgkmcnt(0)
	v_readfirstlane_b32 s8, v36
	s_delay_alu instid0(VALU_DEP_2) | instskip(NEXT) | instid1(VALU_DEP_1)
	v_add_nc_u32_e32 v41, v43, v52
	v_add_nc_u32_e32 v39, v41, v54
	v_lshrrev_b64 v[37:38], 24, v[33:34]
	s_branch .LBB617_424
.LBB617_414:
                                        ; implicit-def: $vgpr39
                                        ; implicit-def: $vgpr41
                                        ; implicit-def: $vgpr43
                                        ; implicit-def: $vgpr45
                                        ; implicit-def: $vgpr47
                                        ; implicit-def: $vgpr49
                                        ; implicit-def: $vgpr51
                                        ; implicit-def: $vgpr53
                                        ; implicit-def: $sgpr8
                                        ; implicit-def: $vgpr35
	v_lshrrev_b64 v[37:38], 24, v[33:34]
	s_and_b32 vcc_lo, exec_lo, s9
	s_cbranch_vccz .LBB617_424
; %bb.415:
	v_mov_b32_dpp v35, v59 row_shr:1 row_mask:0xf bank_mask:0xf
	s_delay_alu instid0(VALU_DEP_1) | instskip(NEXT) | instid1(VALU_DEP_1)
	v_cndmask_b32_e64 v35, v35, 0, s4
	v_add_nc_u32_e32 v35, v35, v59
	s_delay_alu instid0(VALU_DEP_1) | instskip(NEXT) | instid1(VALU_DEP_1)
	v_mov_b32_dpp v36, v35 row_shr:2 row_mask:0xf bank_mask:0xf
	v_cndmask_b32_e64 v36, 0, v36, s2
	s_delay_alu instid0(VALU_DEP_1) | instskip(NEXT) | instid1(VALU_DEP_1)
	v_add_nc_u32_e32 v35, v35, v36
	v_mov_b32_dpp v36, v35 row_shr:4 row_mask:0xf bank_mask:0xf
	s_delay_alu instid0(VALU_DEP_1) | instskip(NEXT) | instid1(VALU_DEP_1)
	v_cndmask_b32_e64 v36, 0, v36, s5
	v_add_nc_u32_e32 v35, v35, v36
	s_delay_alu instid0(VALU_DEP_1) | instskip(NEXT) | instid1(VALU_DEP_1)
	v_mov_b32_dpp v36, v35 row_shr:8 row_mask:0xf bank_mask:0xf
	v_cndmask_b32_e64 v36, 0, v36, s3
	s_delay_alu instid0(VALU_DEP_1) | instskip(SKIP_3) | instid1(VALU_DEP_1)
	v_add_nc_u32_e32 v35, v35, v36
	ds_swizzle_b32 v36, v35 offset:swizzle(BROADCAST,32,15)
	s_waitcnt lgkmcnt(0)
	v_cndmask_b32_e64 v36, v36, 0, s7
	v_add_nc_u32_e32 v35, v35, v36
	s_and_saveexec_b32 s7, s6
	s_cbranch_execz .LBB617_417
; %bb.416:
	v_lshlrev_b32_e32 v36, 2, v58
	ds_store_b32 v36, v35
.LBB617_417:
	s_or_b32 exec_lo, exec_lo, s7
	s_delay_alu instid0(SALU_CYCLE_1)
	s_mov_b32 s6, exec_lo
	s_waitcnt lgkmcnt(0)
	s_barrier
	buffer_gl0_inv
	v_cmpx_gt_u32_e32 16, v0
	s_cbranch_execz .LBB617_419
; %bb.418:
	v_lshlrev_b32_e32 v36, 2, v0
	ds_load_b32 v38, v36
	s_waitcnt lgkmcnt(0)
	v_mov_b32_dpp v39, v38 row_shr:1 row_mask:0xf bank_mask:0xf
	s_delay_alu instid0(VALU_DEP_1) | instskip(NEXT) | instid1(VALU_DEP_1)
	v_cndmask_b32_e64 v39, v39, 0, s4
	v_add_nc_u32_e32 v38, v39, v38
	s_delay_alu instid0(VALU_DEP_1) | instskip(NEXT) | instid1(VALU_DEP_1)
	v_mov_b32_dpp v39, v38 row_shr:2 row_mask:0xf bank_mask:0xf
	v_cndmask_b32_e64 v39, 0, v39, s2
	s_delay_alu instid0(VALU_DEP_1) | instskip(NEXT) | instid1(VALU_DEP_1)
	v_add_nc_u32_e32 v38, v38, v39
	v_mov_b32_dpp v39, v38 row_shr:4 row_mask:0xf bank_mask:0xf
	s_delay_alu instid0(VALU_DEP_1) | instskip(NEXT) | instid1(VALU_DEP_1)
	v_cndmask_b32_e64 v39, 0, v39, s5
	v_add_nc_u32_e32 v38, v38, v39
	s_delay_alu instid0(VALU_DEP_1) | instskip(NEXT) | instid1(VALU_DEP_1)
	v_mov_b32_dpp v39, v38 row_shr:8 row_mask:0xf bank_mask:0xf
	v_cndmask_b32_e64 v39, 0, v39, s3
	s_delay_alu instid0(VALU_DEP_1)
	v_add_nc_u32_e32 v38, v38, v39
	ds_store_b32 v36, v38
.LBB617_419:
	s_or_b32 exec_lo, exec_lo, s6
	v_mov_b32_e32 v36, 0
	v_mov_b32_e32 v38, 0
	s_mov_b32 s2, exec_lo
	s_waitcnt lgkmcnt(0)
	s_barrier
	buffer_gl0_inv
	v_cmpx_lt_u32_e32 31, v0
	s_cbranch_execz .LBB617_421
; %bb.420:
	v_lshl_add_u32 v38, v58, 2, -4
	ds_load_b32 v38, v38
.LBB617_421:
	s_or_b32 exec_lo, exec_lo, s2
	v_add_nc_u32_e32 v39, -1, v57
	s_waitcnt lgkmcnt(0)
	v_add_nc_u32_e32 v35, v38, v35
	s_mov_b32 s8, 0
	s_delay_alu instid0(VALU_DEP_2) | instskip(SKIP_2) | instid1(VALU_DEP_2)
	v_cmp_gt_i32_e32 vcc_lo, 0, v39
	v_cndmask_b32_e32 v39, v39, v57, vcc_lo
	v_cmp_eq_u32_e32 vcc_lo, 0, v0
	v_lshlrev_b32_e32 v39, 2, v39
	ds_bpermute_b32 v39, v39, v35
	ds_load_b32 v35, v36 offset:60
	s_and_saveexec_b32 s2, vcc_lo
	s_cbranch_execz .LBB617_423
; %bb.422:
	v_mov_b32_e32 v40, 0
	v_mov_b32_e32 v36, 2
	s_waitcnt lgkmcnt(0)
	global_store_b64 v40, v[35:36], s[10:11] offset:256
.LBB617_423:
	s_or_b32 exec_lo, exec_lo, s2
	v_cmp_eq_u32_e64 s2, 0, v57
	s_waitcnt lgkmcnt(0)
	s_waitcnt_vscnt null, 0x0
	s_barrier
	buffer_gl0_inv
	v_cndmask_b32_e64 v36, v39, v38, s2
	s_delay_alu instid0(VALU_DEP_1) | instskip(NEXT) | instid1(VALU_DEP_1)
	v_cndmask_b32_e64 v53, v36, 0, vcc_lo
	v_add_nc_u32_e32 v51, v53, v42
	s_delay_alu instid0(VALU_DEP_1) | instskip(NEXT) | instid1(VALU_DEP_1)
	v_add_nc_u32_e32 v49, v51, v44
	v_add_nc_u32_e32 v47, v49, v46
	s_delay_alu instid0(VALU_DEP_1) | instskip(NEXT) | instid1(VALU_DEP_1)
	v_add_nc_u32_e32 v45, v47, v48
	;; [unrolled: 3-line block ×3, first 2 shown]
	v_add_nc_u32_e32 v39, v41, v54
.LBB617_424:
	s_load_b128 s[4:7], s[0:1], 0x28
	v_add_nc_u32_e32 v59, s8, v35
	v_cmp_gt_u32_e64 s0, 0x201, v35
	v_lshrrev_b32_e32 v58, 8, v33
	v_lshrrev_b32_e32 v57, 16, v33
	;; [unrolled: 1-line block ×4, first 2 shown]
	v_cmp_lt_u32_e64 s1, v53, v59
	s_and_b32 vcc_lo, exec_lo, s0
	s_mov_b32 s2, -1
	s_cbranch_vccz .LBB617_450
; %bb.425:
	s_delay_alu instid0(VALU_DEP_1) | instskip(NEXT) | instid1(SALU_CYCLE_1)
	s_or_b32 s2, s20, s1
	s_and_saveexec_b32 s1, s2
	s_cbranch_execz .LBB617_428
; %bb.426:
	v_and_b32_e32 v40, 1, v33
	s_delay_alu instid0(VALU_DEP_1)
	v_cmp_eq_u32_e32 vcc_lo, 1, v40
	s_and_b32 exec_lo, exec_lo, vcc_lo
	s_cbranch_execz .LBB617_428
; %bb.427:
	v_mov_b32_e32 v54, 0
	s_lshl_b64 s[2:3], s[12:13], 3
	s_waitcnt lgkmcnt(0)
	s_add_u32 s2, s4, s2
	s_addc_u32 s3, s5, s3
	v_lshlrev_b64 v[60:61], 3, v[53:54]
	s_delay_alu instid0(VALU_DEP_1) | instskip(NEXT) | instid1(VALU_DEP_2)
	v_add_co_u32 v60, vcc_lo, s2, v60
	v_add_co_ci_u32_e32 v61, vcc_lo, s3, v61, vcc_lo
	global_store_b64 v[60:61], v[29:30], off
.LBB617_428:
	s_or_b32 exec_lo, exec_lo, s1
	v_cmp_lt_u32_e32 vcc_lo, v51, v59
	s_or_b32 s2, s20, vcc_lo
	s_delay_alu instid0(SALU_CYCLE_1)
	s_and_saveexec_b32 s1, s2
	s_cbranch_execz .LBB617_431
; %bb.429:
	v_and_b32_e32 v40, 1, v58
	s_delay_alu instid0(VALU_DEP_1)
	v_cmp_eq_u32_e32 vcc_lo, 1, v40
	s_and_b32 exec_lo, exec_lo, vcc_lo
	s_cbranch_execz .LBB617_431
; %bb.430:
	v_mov_b32_e32 v52, 0
	s_lshl_b64 s[2:3], s[12:13], 3
	s_waitcnt lgkmcnt(0)
	s_add_u32 s2, s4, s2
	s_addc_u32 s3, s5, s3
	v_lshlrev_b64 v[60:61], 3, v[51:52]
	s_delay_alu instid0(VALU_DEP_1) | instskip(NEXT) | instid1(VALU_DEP_2)
	v_add_co_u32 v60, vcc_lo, s2, v60
	v_add_co_ci_u32_e32 v61, vcc_lo, s3, v61, vcc_lo
	global_store_b64 v[60:61], v[31:32], off
.LBB617_431:
	s_or_b32 exec_lo, exec_lo, s1
	v_cmp_lt_u32_e32 vcc_lo, v49, v59
	s_or_b32 s2, s20, vcc_lo
	s_delay_alu instid0(SALU_CYCLE_1)
	;; [unrolled: 24-line block ×7, first 2 shown]
	s_and_saveexec_b32 s1, s2
	s_cbranch_execz .LBB617_449
; %bb.447:
	v_and_b32_e32 v40, 1, v56
	s_delay_alu instid0(VALU_DEP_1)
	v_cmp_eq_u32_e32 vcc_lo, 1, v40
	s_and_b32 exec_lo, exec_lo, vcc_lo
	s_cbranch_execz .LBB617_449
; %bb.448:
	v_mov_b32_e32 v40, 0
	s_lshl_b64 s[2:3], s[12:13], 3
	s_waitcnt lgkmcnt(0)
	s_add_u32 s2, s4, s2
	s_addc_u32 s3, s5, s3
	v_lshlrev_b64 v[60:61], 3, v[39:40]
	s_delay_alu instid0(VALU_DEP_1) | instskip(NEXT) | instid1(VALU_DEP_2)
	v_add_co_u32 v60, vcc_lo, s2, v60
	v_add_co_ci_u32_e32 v61, vcc_lo, s3, v61, vcc_lo
	global_store_b64 v[60:61], v[19:20], off
.LBB617_449:
	s_or_b32 exec_lo, exec_lo, s1
	s_mov_b32 s2, 0
.LBB617_450:
	v_and_b32_e32 v33, 1, v33
	s_and_b32 vcc_lo, exec_lo, s2
	s_delay_alu instid0(VALU_DEP_1)
	v_cmp_eq_u32_e64 s1, 1, v33
	s_cbranch_vccz .LBB617_471
; %bb.451:
	s_delay_alu instid0(VALU_DEP_1)
	s_and_saveexec_b32 s2, s1
	s_cbranch_execz .LBB617_453
; %bb.452:
	v_subrev_nc_u32_e32 v40, s8, v53
	s_delay_alu instid0(VALU_DEP_1)
	v_lshlrev_b32_e32 v40, 3, v40
	ds_store_b64 v40, v[29:30]
.LBB617_453:
	s_or_b32 exec_lo, exec_lo, s2
	v_and_b32_e32 v29, 1, v58
	s_mov_b32 s1, exec_lo
	s_delay_alu instid0(VALU_DEP_1)
	v_cmpx_eq_u32_e32 1, v29
	s_cbranch_execz .LBB617_455
; %bb.454:
	v_subrev_nc_u32_e32 v29, s8, v51
	s_delay_alu instid0(VALU_DEP_1)
	v_lshlrev_b32_e32 v29, 3, v29
	ds_store_b64 v29, v[31:32]
.LBB617_455:
	s_or_b32 exec_lo, exec_lo, s1
	v_and_b32_e32 v29, 1, v57
	s_mov_b32 s1, exec_lo
	s_delay_alu instid0(VALU_DEP_1)
	v_cmpx_eq_u32_e32 1, v29
	;; [unrolled: 12-line block ×7, first 2 shown]
	s_cbranch_execz .LBB617_467
; %bb.466:
	v_subrev_nc_u32_e32 v17, s8, v39
	s_delay_alu instid0(VALU_DEP_1)
	v_lshlrev_b32_e32 v17, 3, v17
	ds_store_b64 v17, v[19:20]
.LBB617_467:
	s_or_b32 exec_lo, exec_lo, s1
	s_delay_alu instid0(SALU_CYCLE_1)
	s_mov_b32 s2, exec_lo
	s_waitcnt lgkmcnt(0)
	s_waitcnt_vscnt null, 0x0
	s_barrier
	buffer_gl0_inv
	v_cmpx_lt_u32_e64 v0, v35
	s_cbranch_execz .LBB617_470
; %bb.468:
	s_mov_b32 s9, 0
	s_lshl_b64 s[10:11], s[12:13], 3
	s_lshl_b64 s[18:19], s[8:9], 3
	v_dual_mov_b32 v19, v55 :: v_dual_mov_b32 v20, v0
	s_add_u32 s1, s10, s18
	s_addc_u32 s3, s11, s19
	s_add_u32 s1, s4, s1
	s_addc_u32 s3, s5, s3
	v_add_co_u32 v17, s1, s1, v55
	s_delay_alu instid0(VALU_DEP_1)
	v_add_co_ci_u32_e64 v18, null, s3, 0, s1
	.p2align	6
.LBB617_469:                            ; =>This Inner Loop Header: Depth=1
	ds_load_b64 v[21:22], v19
	v_add_nc_u32_e32 v20, 0x200, v20
	v_add_nc_u32_e32 v19, 0x1000, v19
	s_delay_alu instid0(VALU_DEP_2) | instskip(SKIP_4) | instid1(VALU_DEP_1)
	v_cmp_ge_u32_e32 vcc_lo, v20, v35
	s_or_b32 s9, vcc_lo, s9
	s_waitcnt lgkmcnt(0)
	global_store_b64 v[17:18], v[21:22], off
	v_add_co_u32 v17, s1, 0x1000, v17
	v_add_co_ci_u32_e64 v18, s1, 0, v18, s1
	s_and_not1_b32 exec_lo, exec_lo, s9
	s_cbranch_execnz .LBB617_469
.LBB617_470:
	s_or_b32 exec_lo, exec_lo, s2
.LBB617_471:
	s_delay_alu instid0(SALU_CYCLE_1)
	s_and_b32 vcc_lo, exec_lo, s0
	s_mov_b32 s0, -1
	s_waitcnt lgkmcnt(0)
	s_waitcnt_vscnt null, 0x0
	s_barrier
	buffer_gl0_inv
	s_cbranch_vccz .LBB617_499
; %bb.472:
	v_cmp_lt_u32_e32 vcc_lo, v53, v59
	s_or_b32 s1, s20, vcc_lo
	s_delay_alu instid0(SALU_CYCLE_1)
	s_and_saveexec_b32 s0, s1
	s_cbranch_execz .LBB617_475
; %bb.473:
	v_cmp_eq_u32_e32 vcc_lo, 1, v33
	s_and_b32 exec_lo, exec_lo, vcc_lo
	s_cbranch_execz .LBB617_475
; %bb.474:
	v_mov_b32_e32 v54, 0
	s_lshl_b64 s[2:3], s[12:13], 3
	s_delay_alu instid0(SALU_CYCLE_1) | instskip(SKIP_1) | instid1(VALU_DEP_1)
	s_add_u32 s1, s6, s2
	s_addc_u32 s2, s7, s3
	v_lshlrev_b64 v[17:18], 3, v[53:54]
	s_delay_alu instid0(VALU_DEP_1) | instskip(NEXT) | instid1(VALU_DEP_2)
	v_add_co_u32 v17, vcc_lo, s1, v17
	v_add_co_ci_u32_e32 v18, vcc_lo, s2, v18, vcc_lo
	global_store_b64 v[17:18], v[13:14], off
.LBB617_475:
	s_or_b32 exec_lo, exec_lo, s0
	v_cmp_lt_u32_e32 vcc_lo, v51, v59
	s_or_b32 s1, s20, vcc_lo
	s_delay_alu instid0(SALU_CYCLE_1)
	s_and_saveexec_b32 s0, s1
	s_cbranch_execz .LBB617_478
; %bb.476:
	v_and_b32_e32 v17, 1, v58
	s_delay_alu instid0(VALU_DEP_1)
	v_cmp_eq_u32_e32 vcc_lo, 1, v17
	s_and_b32 exec_lo, exec_lo, vcc_lo
	s_cbranch_execz .LBB617_478
; %bb.477:
	v_mov_b32_e32 v52, 0
	s_lshl_b64 s[2:3], s[12:13], 3
	s_delay_alu instid0(SALU_CYCLE_1) | instskip(SKIP_1) | instid1(VALU_DEP_1)
	s_add_u32 s1, s6, s2
	s_addc_u32 s2, s7, s3
	v_lshlrev_b64 v[17:18], 3, v[51:52]
	s_delay_alu instid0(VALU_DEP_1) | instskip(NEXT) | instid1(VALU_DEP_2)
	v_add_co_u32 v17, vcc_lo, s1, v17
	v_add_co_ci_u32_e32 v18, vcc_lo, s2, v18, vcc_lo
	global_store_b64 v[17:18], v[15:16], off
.LBB617_478:
	s_or_b32 exec_lo, exec_lo, s0
	v_cmp_lt_u32_e32 vcc_lo, v49, v59
	s_or_b32 s1, s20, vcc_lo
	s_delay_alu instid0(SALU_CYCLE_1)
	s_and_saveexec_b32 s0, s1
	s_cbranch_execz .LBB617_481
; %bb.479:
	v_and_b32_e32 v17, 1, v57
	s_delay_alu instid0(VALU_DEP_1)
	v_cmp_eq_u32_e32 vcc_lo, 1, v17
	s_and_b32 exec_lo, exec_lo, vcc_lo
	s_cbranch_execz .LBB617_481
; %bb.480:
	v_mov_b32_e32 v50, 0
	s_lshl_b64 s[2:3], s[12:13], 3
	s_delay_alu instid0(SALU_CYCLE_1) | instskip(SKIP_1) | instid1(VALU_DEP_1)
	s_add_u32 s1, s6, s2
	s_addc_u32 s2, s7, s3
	v_lshlrev_b64 v[17:18], 3, v[49:50]
	s_delay_alu instid0(VALU_DEP_1) | instskip(NEXT) | instid1(VALU_DEP_2)
	v_add_co_u32 v17, vcc_lo, s1, v17
	v_add_co_ci_u32_e32 v18, vcc_lo, s2, v18, vcc_lo
	global_store_b64 v[17:18], v[9:10], off
.LBB617_481:
	;; [unrolled: 24-line block ×7, first 2 shown]
	s_or_b32 exec_lo, exec_lo, s0
.LBB617_497:
	v_cmp_eq_u32_e32 vcc_lo, 0, v0
	s_and_b32 s0, vcc_lo, s14
	s_delay_alu instid0(SALU_CYCLE_1)
	s_and_saveexec_b32 s1, s0
	s_cbranch_execz .LBB617_520
.LBB617_498:
	v_add_co_u32 v0, s0, s12, v35
	s_delay_alu instid0(VALU_DEP_1) | instskip(SKIP_1) | instid1(VALU_DEP_3)
	v_add_co_ci_u32_e64 v1, null, s13, 0, s0
	v_mov_b32_e32 v2, 0
	v_add_co_u32 v0, vcc_lo, v0, s8
	s_delay_alu instid0(VALU_DEP_3)
	v_add_co_ci_u32_e32 v1, vcc_lo, 0, v1, vcc_lo
	global_store_b64 v2, v[0:1], s[16:17]
	s_nop 0
	s_sendmsg sendmsg(MSG_DEALLOC_VGPRS)
	s_endpgm
.LBB617_499:
	s_and_b32 vcc_lo, exec_lo, s0
	s_cbranch_vccz .LBB617_497
; %bb.500:
	s_mov_b32 s0, exec_lo
	v_cmpx_eq_u32_e32 1, v33
	s_cbranch_execz .LBB617_502
; %bb.501:
	v_subrev_nc_u32_e32 v17, s8, v53
	s_delay_alu instid0(VALU_DEP_1)
	v_lshlrev_b32_e32 v17, 3, v17
	ds_store_b64 v17, v[13:14]
.LBB617_502:
	s_or_b32 exec_lo, exec_lo, s0
	v_and_b32_e32 v13, 1, v58
	s_mov_b32 s0, exec_lo
	s_delay_alu instid0(VALU_DEP_1)
	v_cmpx_eq_u32_e32 1, v13
	s_cbranch_execz .LBB617_504
; %bb.503:
	v_subrev_nc_u32_e32 v13, s8, v51
	s_delay_alu instid0(VALU_DEP_1)
	v_lshlrev_b32_e32 v13, 3, v13
	ds_store_b64 v13, v[15:16]
.LBB617_504:
	s_or_b32 exec_lo, exec_lo, s0
	v_and_b32_e32 v13, 1, v57
	s_mov_b32 s0, exec_lo
	s_delay_alu instid0(VALU_DEP_1)
	;; [unrolled: 12-line block ×7, first 2 shown]
	v_cmpx_eq_u32_e32 1, v1
	s_cbranch_execz .LBB617_516
; %bb.515:
	v_subrev_nc_u32_e32 v1, s8, v39
	s_delay_alu instid0(VALU_DEP_1)
	v_lshlrev_b32_e32 v1, 3, v1
	ds_store_b64 v1, v[3:4]
.LBB617_516:
	s_or_b32 exec_lo, exec_lo, s0
	s_delay_alu instid0(SALU_CYCLE_1)
	s_mov_b32 s1, exec_lo
	s_waitcnt lgkmcnt(0)
	s_waitcnt_vscnt null, 0x0
	s_barrier
	buffer_gl0_inv
	v_cmpx_lt_u32_e64 v0, v35
	s_cbranch_execz .LBB617_519
; %bb.517:
	s_mov_b32 s9, 0
	s_lshl_b64 s[2:3], s[12:13], 3
	s_lshl_b64 s[4:5], s[8:9], 3
	v_mov_b32_e32 v3, v0
	s_add_u32 s0, s2, s4
	s_addc_u32 s2, s3, s5
	s_add_u32 s0, s6, s0
	s_addc_u32 s2, s7, s2
	v_add_co_u32 v1, s0, s0, v55
	s_delay_alu instid0(VALU_DEP_1)
	v_add_co_ci_u32_e64 v2, null, s2, 0, s0
	.p2align	6
.LBB617_518:                            ; =>This Inner Loop Header: Depth=1
	ds_load_b64 v[4:5], v55
	v_add_nc_u32_e32 v3, 0x200, v3
	v_add_nc_u32_e32 v55, 0x1000, v55
	s_delay_alu instid0(VALU_DEP_2) | instskip(SKIP_4) | instid1(VALU_DEP_1)
	v_cmp_ge_u32_e32 vcc_lo, v3, v35
	s_or_b32 s9, vcc_lo, s9
	s_waitcnt lgkmcnt(0)
	global_store_b64 v[1:2], v[4:5], off
	v_add_co_u32 v1, s0, 0x1000, v1
	v_add_co_ci_u32_e64 v2, s0, 0, v2, s0
	s_and_not1_b32 exec_lo, exec_lo, s9
	s_cbranch_execnz .LBB617_518
.LBB617_519:
	s_or_b32 exec_lo, exec_lo, s1
	v_cmp_eq_u32_e32 vcc_lo, 0, v0
	s_and_b32 s0, vcc_lo, s14
	s_delay_alu instid0(SALU_CYCLE_1)
	s_and_saveexec_b32 s1, s0
	s_cbranch_execnz .LBB617_498
.LBB617_520:
	s_nop 0
	s_sendmsg sendmsg(MSG_DEALLOC_VGPRS)
	s_endpgm
	.section	.rodata,"a",@progbits
	.p2align	6, 0x0
	.amdhsa_kernel _ZN7rocprim17ROCPRIM_400000_NS6detail17trampoline_kernelINS0_14default_configENS1_25partition_config_selectorILNS1_17partition_subalgoE9EllbEEZZNS1_14partition_implILS5_9ELb0ES3_jPlS8_PNS0_10empty_typeENS0_5tupleIJS8_S9_EEENSB_IJS8_SA_EEENS0_18inequality_wrapperIZN2at6native12_GLOBAL__N_124unique_dim_cuda_templateIlEESt5tupleIJNSF_6TensorESK_SK_EERKSK_lbbbEUlllE0_EEPmJS9_EEE10hipError_tPvRmT3_T4_T5_T6_T7_T9_mT8_P12ihipStream_tbDpT10_ENKUlT_T0_E_clISt17integral_constantIbLb1EES19_IbLb0EEEEDaS15_S16_EUlS15_E_NS1_11comp_targetILNS1_3genE9ELNS1_11target_archE1100ELNS1_3gpuE3ELNS1_3repE0EEENS1_30default_config_static_selectorELNS0_4arch9wavefront6targetE0EEEvT1_
		.amdhsa_group_segment_fixed_size 33804
		.amdhsa_private_segment_fixed_size 0
		.amdhsa_kernarg_size 120
		.amdhsa_user_sgpr_count 15
		.amdhsa_user_sgpr_dispatch_ptr 0
		.amdhsa_user_sgpr_queue_ptr 0
		.amdhsa_user_sgpr_kernarg_segment_ptr 1
		.amdhsa_user_sgpr_dispatch_id 0
		.amdhsa_user_sgpr_private_segment_size 0
		.amdhsa_wavefront_size32 1
		.amdhsa_uses_dynamic_stack 0
		.amdhsa_enable_private_segment 0
		.amdhsa_system_sgpr_workgroup_id_x 1
		.amdhsa_system_sgpr_workgroup_id_y 0
		.amdhsa_system_sgpr_workgroup_id_z 0
		.amdhsa_system_sgpr_workgroup_info 0
		.amdhsa_system_vgpr_workitem_id 0
		.amdhsa_next_free_vgpr 68
		.amdhsa_next_free_sgpr 36
		.amdhsa_reserve_vcc 1
		.amdhsa_float_round_mode_32 0
		.amdhsa_float_round_mode_16_64 0
		.amdhsa_float_denorm_mode_32 3
		.amdhsa_float_denorm_mode_16_64 3
		.amdhsa_dx10_clamp 1
		.amdhsa_ieee_mode 1
		.amdhsa_fp16_overflow 0
		.amdhsa_workgroup_processor_mode 1
		.amdhsa_memory_ordered 1
		.amdhsa_forward_progress 0
		.amdhsa_shared_vgpr_count 0
		.amdhsa_exception_fp_ieee_invalid_op 0
		.amdhsa_exception_fp_denorm_src 0
		.amdhsa_exception_fp_ieee_div_zero 0
		.amdhsa_exception_fp_ieee_overflow 0
		.amdhsa_exception_fp_ieee_underflow 0
		.amdhsa_exception_fp_ieee_inexact 0
		.amdhsa_exception_int_div_zero 0
	.end_amdhsa_kernel
	.section	.text._ZN7rocprim17ROCPRIM_400000_NS6detail17trampoline_kernelINS0_14default_configENS1_25partition_config_selectorILNS1_17partition_subalgoE9EllbEEZZNS1_14partition_implILS5_9ELb0ES3_jPlS8_PNS0_10empty_typeENS0_5tupleIJS8_S9_EEENSB_IJS8_SA_EEENS0_18inequality_wrapperIZN2at6native12_GLOBAL__N_124unique_dim_cuda_templateIlEESt5tupleIJNSF_6TensorESK_SK_EERKSK_lbbbEUlllE0_EEPmJS9_EEE10hipError_tPvRmT3_T4_T5_T6_T7_T9_mT8_P12ihipStream_tbDpT10_ENKUlT_T0_E_clISt17integral_constantIbLb1EES19_IbLb0EEEEDaS15_S16_EUlS15_E_NS1_11comp_targetILNS1_3genE9ELNS1_11target_archE1100ELNS1_3gpuE3ELNS1_3repE0EEENS1_30default_config_static_selectorELNS0_4arch9wavefront6targetE0EEEvT1_,"axG",@progbits,_ZN7rocprim17ROCPRIM_400000_NS6detail17trampoline_kernelINS0_14default_configENS1_25partition_config_selectorILNS1_17partition_subalgoE9EllbEEZZNS1_14partition_implILS5_9ELb0ES3_jPlS8_PNS0_10empty_typeENS0_5tupleIJS8_S9_EEENSB_IJS8_SA_EEENS0_18inequality_wrapperIZN2at6native12_GLOBAL__N_124unique_dim_cuda_templateIlEESt5tupleIJNSF_6TensorESK_SK_EERKSK_lbbbEUlllE0_EEPmJS9_EEE10hipError_tPvRmT3_T4_T5_T6_T7_T9_mT8_P12ihipStream_tbDpT10_ENKUlT_T0_E_clISt17integral_constantIbLb1EES19_IbLb0EEEEDaS15_S16_EUlS15_E_NS1_11comp_targetILNS1_3genE9ELNS1_11target_archE1100ELNS1_3gpuE3ELNS1_3repE0EEENS1_30default_config_static_selectorELNS0_4arch9wavefront6targetE0EEEvT1_,comdat
.Lfunc_end617:
	.size	_ZN7rocprim17ROCPRIM_400000_NS6detail17trampoline_kernelINS0_14default_configENS1_25partition_config_selectorILNS1_17partition_subalgoE9EllbEEZZNS1_14partition_implILS5_9ELb0ES3_jPlS8_PNS0_10empty_typeENS0_5tupleIJS8_S9_EEENSB_IJS8_SA_EEENS0_18inequality_wrapperIZN2at6native12_GLOBAL__N_124unique_dim_cuda_templateIlEESt5tupleIJNSF_6TensorESK_SK_EERKSK_lbbbEUlllE0_EEPmJS9_EEE10hipError_tPvRmT3_T4_T5_T6_T7_T9_mT8_P12ihipStream_tbDpT10_ENKUlT_T0_E_clISt17integral_constantIbLb1EES19_IbLb0EEEEDaS15_S16_EUlS15_E_NS1_11comp_targetILNS1_3genE9ELNS1_11target_archE1100ELNS1_3gpuE3ELNS1_3repE0EEENS1_30default_config_static_selectorELNS0_4arch9wavefront6targetE0EEEvT1_, .Lfunc_end617-_ZN7rocprim17ROCPRIM_400000_NS6detail17trampoline_kernelINS0_14default_configENS1_25partition_config_selectorILNS1_17partition_subalgoE9EllbEEZZNS1_14partition_implILS5_9ELb0ES3_jPlS8_PNS0_10empty_typeENS0_5tupleIJS8_S9_EEENSB_IJS8_SA_EEENS0_18inequality_wrapperIZN2at6native12_GLOBAL__N_124unique_dim_cuda_templateIlEESt5tupleIJNSF_6TensorESK_SK_EERKSK_lbbbEUlllE0_EEPmJS9_EEE10hipError_tPvRmT3_T4_T5_T6_T7_T9_mT8_P12ihipStream_tbDpT10_ENKUlT_T0_E_clISt17integral_constantIbLb1EES19_IbLb0EEEEDaS15_S16_EUlS15_E_NS1_11comp_targetILNS1_3genE9ELNS1_11target_archE1100ELNS1_3gpuE3ELNS1_3repE0EEENS1_30default_config_static_selectorELNS0_4arch9wavefront6targetE0EEEvT1_
                                        ; -- End function
	.section	.AMDGPU.csdata,"",@progbits
; Kernel info:
; codeLenInByte = 20588
; NumSgprs: 38
; NumVgprs: 68
; ScratchSize: 0
; MemoryBound: 1
; FloatMode: 240
; IeeeMode: 1
; LDSByteSize: 33804 bytes/workgroup (compile time only)
; SGPRBlocks: 4
; VGPRBlocks: 8
; NumSGPRsForWavesPerEU: 38
; NumVGPRsForWavesPerEU: 68
; Occupancy: 12
; WaveLimiterHint : 1
; COMPUTE_PGM_RSRC2:SCRATCH_EN: 0
; COMPUTE_PGM_RSRC2:USER_SGPR: 15
; COMPUTE_PGM_RSRC2:TRAP_HANDLER: 0
; COMPUTE_PGM_RSRC2:TGID_X_EN: 1
; COMPUTE_PGM_RSRC2:TGID_Y_EN: 0
; COMPUTE_PGM_RSRC2:TGID_Z_EN: 0
; COMPUTE_PGM_RSRC2:TIDIG_COMP_CNT: 0
	.section	.text._ZN7rocprim17ROCPRIM_400000_NS6detail17trampoline_kernelINS0_14default_configENS1_25partition_config_selectorILNS1_17partition_subalgoE9EllbEEZZNS1_14partition_implILS5_9ELb0ES3_jPlS8_PNS0_10empty_typeENS0_5tupleIJS8_S9_EEENSB_IJS8_SA_EEENS0_18inequality_wrapperIZN2at6native12_GLOBAL__N_124unique_dim_cuda_templateIlEESt5tupleIJNSF_6TensorESK_SK_EERKSK_lbbbEUlllE0_EEPmJS9_EEE10hipError_tPvRmT3_T4_T5_T6_T7_T9_mT8_P12ihipStream_tbDpT10_ENKUlT_T0_E_clISt17integral_constantIbLb1EES19_IbLb0EEEEDaS15_S16_EUlS15_E_NS1_11comp_targetILNS1_3genE8ELNS1_11target_archE1030ELNS1_3gpuE2ELNS1_3repE0EEENS1_30default_config_static_selectorELNS0_4arch9wavefront6targetE0EEEvT1_,"axG",@progbits,_ZN7rocprim17ROCPRIM_400000_NS6detail17trampoline_kernelINS0_14default_configENS1_25partition_config_selectorILNS1_17partition_subalgoE9EllbEEZZNS1_14partition_implILS5_9ELb0ES3_jPlS8_PNS0_10empty_typeENS0_5tupleIJS8_S9_EEENSB_IJS8_SA_EEENS0_18inequality_wrapperIZN2at6native12_GLOBAL__N_124unique_dim_cuda_templateIlEESt5tupleIJNSF_6TensorESK_SK_EERKSK_lbbbEUlllE0_EEPmJS9_EEE10hipError_tPvRmT3_T4_T5_T6_T7_T9_mT8_P12ihipStream_tbDpT10_ENKUlT_T0_E_clISt17integral_constantIbLb1EES19_IbLb0EEEEDaS15_S16_EUlS15_E_NS1_11comp_targetILNS1_3genE8ELNS1_11target_archE1030ELNS1_3gpuE2ELNS1_3repE0EEENS1_30default_config_static_selectorELNS0_4arch9wavefront6targetE0EEEvT1_,comdat
	.globl	_ZN7rocprim17ROCPRIM_400000_NS6detail17trampoline_kernelINS0_14default_configENS1_25partition_config_selectorILNS1_17partition_subalgoE9EllbEEZZNS1_14partition_implILS5_9ELb0ES3_jPlS8_PNS0_10empty_typeENS0_5tupleIJS8_S9_EEENSB_IJS8_SA_EEENS0_18inequality_wrapperIZN2at6native12_GLOBAL__N_124unique_dim_cuda_templateIlEESt5tupleIJNSF_6TensorESK_SK_EERKSK_lbbbEUlllE0_EEPmJS9_EEE10hipError_tPvRmT3_T4_T5_T6_T7_T9_mT8_P12ihipStream_tbDpT10_ENKUlT_T0_E_clISt17integral_constantIbLb1EES19_IbLb0EEEEDaS15_S16_EUlS15_E_NS1_11comp_targetILNS1_3genE8ELNS1_11target_archE1030ELNS1_3gpuE2ELNS1_3repE0EEENS1_30default_config_static_selectorELNS0_4arch9wavefront6targetE0EEEvT1_ ; -- Begin function _ZN7rocprim17ROCPRIM_400000_NS6detail17trampoline_kernelINS0_14default_configENS1_25partition_config_selectorILNS1_17partition_subalgoE9EllbEEZZNS1_14partition_implILS5_9ELb0ES3_jPlS8_PNS0_10empty_typeENS0_5tupleIJS8_S9_EEENSB_IJS8_SA_EEENS0_18inequality_wrapperIZN2at6native12_GLOBAL__N_124unique_dim_cuda_templateIlEESt5tupleIJNSF_6TensorESK_SK_EERKSK_lbbbEUlllE0_EEPmJS9_EEE10hipError_tPvRmT3_T4_T5_T6_T7_T9_mT8_P12ihipStream_tbDpT10_ENKUlT_T0_E_clISt17integral_constantIbLb1EES19_IbLb0EEEEDaS15_S16_EUlS15_E_NS1_11comp_targetILNS1_3genE8ELNS1_11target_archE1030ELNS1_3gpuE2ELNS1_3repE0EEENS1_30default_config_static_selectorELNS0_4arch9wavefront6targetE0EEEvT1_
	.p2align	8
	.type	_ZN7rocprim17ROCPRIM_400000_NS6detail17trampoline_kernelINS0_14default_configENS1_25partition_config_selectorILNS1_17partition_subalgoE9EllbEEZZNS1_14partition_implILS5_9ELb0ES3_jPlS8_PNS0_10empty_typeENS0_5tupleIJS8_S9_EEENSB_IJS8_SA_EEENS0_18inequality_wrapperIZN2at6native12_GLOBAL__N_124unique_dim_cuda_templateIlEESt5tupleIJNSF_6TensorESK_SK_EERKSK_lbbbEUlllE0_EEPmJS9_EEE10hipError_tPvRmT3_T4_T5_T6_T7_T9_mT8_P12ihipStream_tbDpT10_ENKUlT_T0_E_clISt17integral_constantIbLb1EES19_IbLb0EEEEDaS15_S16_EUlS15_E_NS1_11comp_targetILNS1_3genE8ELNS1_11target_archE1030ELNS1_3gpuE2ELNS1_3repE0EEENS1_30default_config_static_selectorELNS0_4arch9wavefront6targetE0EEEvT1_,@function
_ZN7rocprim17ROCPRIM_400000_NS6detail17trampoline_kernelINS0_14default_configENS1_25partition_config_selectorILNS1_17partition_subalgoE9EllbEEZZNS1_14partition_implILS5_9ELb0ES3_jPlS8_PNS0_10empty_typeENS0_5tupleIJS8_S9_EEENSB_IJS8_SA_EEENS0_18inequality_wrapperIZN2at6native12_GLOBAL__N_124unique_dim_cuda_templateIlEESt5tupleIJNSF_6TensorESK_SK_EERKSK_lbbbEUlllE0_EEPmJS9_EEE10hipError_tPvRmT3_T4_T5_T6_T7_T9_mT8_P12ihipStream_tbDpT10_ENKUlT_T0_E_clISt17integral_constantIbLb1EES19_IbLb0EEEEDaS15_S16_EUlS15_E_NS1_11comp_targetILNS1_3genE8ELNS1_11target_archE1030ELNS1_3gpuE2ELNS1_3repE0EEENS1_30default_config_static_selectorELNS0_4arch9wavefront6targetE0EEEvT1_: ; @_ZN7rocprim17ROCPRIM_400000_NS6detail17trampoline_kernelINS0_14default_configENS1_25partition_config_selectorILNS1_17partition_subalgoE9EllbEEZZNS1_14partition_implILS5_9ELb0ES3_jPlS8_PNS0_10empty_typeENS0_5tupleIJS8_S9_EEENSB_IJS8_SA_EEENS0_18inequality_wrapperIZN2at6native12_GLOBAL__N_124unique_dim_cuda_templateIlEESt5tupleIJNSF_6TensorESK_SK_EERKSK_lbbbEUlllE0_EEPmJS9_EEE10hipError_tPvRmT3_T4_T5_T6_T7_T9_mT8_P12ihipStream_tbDpT10_ENKUlT_T0_E_clISt17integral_constantIbLb1EES19_IbLb0EEEEDaS15_S16_EUlS15_E_NS1_11comp_targetILNS1_3genE8ELNS1_11target_archE1030ELNS1_3gpuE2ELNS1_3repE0EEENS1_30default_config_static_selectorELNS0_4arch9wavefront6targetE0EEEvT1_
; %bb.0:
	.section	.rodata,"a",@progbits
	.p2align	6, 0x0
	.amdhsa_kernel _ZN7rocprim17ROCPRIM_400000_NS6detail17trampoline_kernelINS0_14default_configENS1_25partition_config_selectorILNS1_17partition_subalgoE9EllbEEZZNS1_14partition_implILS5_9ELb0ES3_jPlS8_PNS0_10empty_typeENS0_5tupleIJS8_S9_EEENSB_IJS8_SA_EEENS0_18inequality_wrapperIZN2at6native12_GLOBAL__N_124unique_dim_cuda_templateIlEESt5tupleIJNSF_6TensorESK_SK_EERKSK_lbbbEUlllE0_EEPmJS9_EEE10hipError_tPvRmT3_T4_T5_T6_T7_T9_mT8_P12ihipStream_tbDpT10_ENKUlT_T0_E_clISt17integral_constantIbLb1EES19_IbLb0EEEEDaS15_S16_EUlS15_E_NS1_11comp_targetILNS1_3genE8ELNS1_11target_archE1030ELNS1_3gpuE2ELNS1_3repE0EEENS1_30default_config_static_selectorELNS0_4arch9wavefront6targetE0EEEvT1_
		.amdhsa_group_segment_fixed_size 0
		.amdhsa_private_segment_fixed_size 0
		.amdhsa_kernarg_size 120
		.amdhsa_user_sgpr_count 15
		.amdhsa_user_sgpr_dispatch_ptr 0
		.amdhsa_user_sgpr_queue_ptr 0
		.amdhsa_user_sgpr_kernarg_segment_ptr 1
		.amdhsa_user_sgpr_dispatch_id 0
		.amdhsa_user_sgpr_private_segment_size 0
		.amdhsa_wavefront_size32 1
		.amdhsa_uses_dynamic_stack 0
		.amdhsa_enable_private_segment 0
		.amdhsa_system_sgpr_workgroup_id_x 1
		.amdhsa_system_sgpr_workgroup_id_y 0
		.amdhsa_system_sgpr_workgroup_id_z 0
		.amdhsa_system_sgpr_workgroup_info 0
		.amdhsa_system_vgpr_workitem_id 0
		.amdhsa_next_free_vgpr 1
		.amdhsa_next_free_sgpr 1
		.amdhsa_reserve_vcc 0
		.amdhsa_float_round_mode_32 0
		.amdhsa_float_round_mode_16_64 0
		.amdhsa_float_denorm_mode_32 3
		.amdhsa_float_denorm_mode_16_64 3
		.amdhsa_dx10_clamp 1
		.amdhsa_ieee_mode 1
		.amdhsa_fp16_overflow 0
		.amdhsa_workgroup_processor_mode 1
		.amdhsa_memory_ordered 1
		.amdhsa_forward_progress 0
		.amdhsa_shared_vgpr_count 0
		.amdhsa_exception_fp_ieee_invalid_op 0
		.amdhsa_exception_fp_denorm_src 0
		.amdhsa_exception_fp_ieee_div_zero 0
		.amdhsa_exception_fp_ieee_overflow 0
		.amdhsa_exception_fp_ieee_underflow 0
		.amdhsa_exception_fp_ieee_inexact 0
		.amdhsa_exception_int_div_zero 0
	.end_amdhsa_kernel
	.section	.text._ZN7rocprim17ROCPRIM_400000_NS6detail17trampoline_kernelINS0_14default_configENS1_25partition_config_selectorILNS1_17partition_subalgoE9EllbEEZZNS1_14partition_implILS5_9ELb0ES3_jPlS8_PNS0_10empty_typeENS0_5tupleIJS8_S9_EEENSB_IJS8_SA_EEENS0_18inequality_wrapperIZN2at6native12_GLOBAL__N_124unique_dim_cuda_templateIlEESt5tupleIJNSF_6TensorESK_SK_EERKSK_lbbbEUlllE0_EEPmJS9_EEE10hipError_tPvRmT3_T4_T5_T6_T7_T9_mT8_P12ihipStream_tbDpT10_ENKUlT_T0_E_clISt17integral_constantIbLb1EES19_IbLb0EEEEDaS15_S16_EUlS15_E_NS1_11comp_targetILNS1_3genE8ELNS1_11target_archE1030ELNS1_3gpuE2ELNS1_3repE0EEENS1_30default_config_static_selectorELNS0_4arch9wavefront6targetE0EEEvT1_,"axG",@progbits,_ZN7rocprim17ROCPRIM_400000_NS6detail17trampoline_kernelINS0_14default_configENS1_25partition_config_selectorILNS1_17partition_subalgoE9EllbEEZZNS1_14partition_implILS5_9ELb0ES3_jPlS8_PNS0_10empty_typeENS0_5tupleIJS8_S9_EEENSB_IJS8_SA_EEENS0_18inequality_wrapperIZN2at6native12_GLOBAL__N_124unique_dim_cuda_templateIlEESt5tupleIJNSF_6TensorESK_SK_EERKSK_lbbbEUlllE0_EEPmJS9_EEE10hipError_tPvRmT3_T4_T5_T6_T7_T9_mT8_P12ihipStream_tbDpT10_ENKUlT_T0_E_clISt17integral_constantIbLb1EES19_IbLb0EEEEDaS15_S16_EUlS15_E_NS1_11comp_targetILNS1_3genE8ELNS1_11target_archE1030ELNS1_3gpuE2ELNS1_3repE0EEENS1_30default_config_static_selectorELNS0_4arch9wavefront6targetE0EEEvT1_,comdat
.Lfunc_end618:
	.size	_ZN7rocprim17ROCPRIM_400000_NS6detail17trampoline_kernelINS0_14default_configENS1_25partition_config_selectorILNS1_17partition_subalgoE9EllbEEZZNS1_14partition_implILS5_9ELb0ES3_jPlS8_PNS0_10empty_typeENS0_5tupleIJS8_S9_EEENSB_IJS8_SA_EEENS0_18inequality_wrapperIZN2at6native12_GLOBAL__N_124unique_dim_cuda_templateIlEESt5tupleIJNSF_6TensorESK_SK_EERKSK_lbbbEUlllE0_EEPmJS9_EEE10hipError_tPvRmT3_T4_T5_T6_T7_T9_mT8_P12ihipStream_tbDpT10_ENKUlT_T0_E_clISt17integral_constantIbLb1EES19_IbLb0EEEEDaS15_S16_EUlS15_E_NS1_11comp_targetILNS1_3genE8ELNS1_11target_archE1030ELNS1_3gpuE2ELNS1_3repE0EEENS1_30default_config_static_selectorELNS0_4arch9wavefront6targetE0EEEvT1_, .Lfunc_end618-_ZN7rocprim17ROCPRIM_400000_NS6detail17trampoline_kernelINS0_14default_configENS1_25partition_config_selectorILNS1_17partition_subalgoE9EllbEEZZNS1_14partition_implILS5_9ELb0ES3_jPlS8_PNS0_10empty_typeENS0_5tupleIJS8_S9_EEENSB_IJS8_SA_EEENS0_18inequality_wrapperIZN2at6native12_GLOBAL__N_124unique_dim_cuda_templateIlEESt5tupleIJNSF_6TensorESK_SK_EERKSK_lbbbEUlllE0_EEPmJS9_EEE10hipError_tPvRmT3_T4_T5_T6_T7_T9_mT8_P12ihipStream_tbDpT10_ENKUlT_T0_E_clISt17integral_constantIbLb1EES19_IbLb0EEEEDaS15_S16_EUlS15_E_NS1_11comp_targetILNS1_3genE8ELNS1_11target_archE1030ELNS1_3gpuE2ELNS1_3repE0EEENS1_30default_config_static_selectorELNS0_4arch9wavefront6targetE0EEEvT1_
                                        ; -- End function
	.section	.AMDGPU.csdata,"",@progbits
; Kernel info:
; codeLenInByte = 0
; NumSgprs: 0
; NumVgprs: 0
; ScratchSize: 0
; MemoryBound: 0
; FloatMode: 240
; IeeeMode: 1
; LDSByteSize: 0 bytes/workgroup (compile time only)
; SGPRBlocks: 0
; VGPRBlocks: 0
; NumSGPRsForWavesPerEU: 1
; NumVGPRsForWavesPerEU: 1
; Occupancy: 16
; WaveLimiterHint : 0
; COMPUTE_PGM_RSRC2:SCRATCH_EN: 0
; COMPUTE_PGM_RSRC2:USER_SGPR: 15
; COMPUTE_PGM_RSRC2:TRAP_HANDLER: 0
; COMPUTE_PGM_RSRC2:TGID_X_EN: 1
; COMPUTE_PGM_RSRC2:TGID_Y_EN: 0
; COMPUTE_PGM_RSRC2:TGID_Z_EN: 0
; COMPUTE_PGM_RSRC2:TIDIG_COMP_CNT: 0
	.section	.text._ZN7rocprim17ROCPRIM_400000_NS6detail17trampoline_kernelINS0_14default_configENS1_25partition_config_selectorILNS1_17partition_subalgoE9EllbEEZZNS1_14partition_implILS5_9ELb0ES3_jPlS8_PNS0_10empty_typeENS0_5tupleIJS8_S9_EEENSB_IJS8_SA_EEENS0_18inequality_wrapperIZN2at6native12_GLOBAL__N_124unique_dim_cuda_templateIlEESt5tupleIJNSF_6TensorESK_SK_EERKSK_lbbbEUlllE0_EEPmJS9_EEE10hipError_tPvRmT3_T4_T5_T6_T7_T9_mT8_P12ihipStream_tbDpT10_ENKUlT_T0_E_clISt17integral_constantIbLb0EES19_IbLb1EEEEDaS15_S16_EUlS15_E_NS1_11comp_targetILNS1_3genE0ELNS1_11target_archE4294967295ELNS1_3gpuE0ELNS1_3repE0EEENS1_30default_config_static_selectorELNS0_4arch9wavefront6targetE0EEEvT1_,"axG",@progbits,_ZN7rocprim17ROCPRIM_400000_NS6detail17trampoline_kernelINS0_14default_configENS1_25partition_config_selectorILNS1_17partition_subalgoE9EllbEEZZNS1_14partition_implILS5_9ELb0ES3_jPlS8_PNS0_10empty_typeENS0_5tupleIJS8_S9_EEENSB_IJS8_SA_EEENS0_18inequality_wrapperIZN2at6native12_GLOBAL__N_124unique_dim_cuda_templateIlEESt5tupleIJNSF_6TensorESK_SK_EERKSK_lbbbEUlllE0_EEPmJS9_EEE10hipError_tPvRmT3_T4_T5_T6_T7_T9_mT8_P12ihipStream_tbDpT10_ENKUlT_T0_E_clISt17integral_constantIbLb0EES19_IbLb1EEEEDaS15_S16_EUlS15_E_NS1_11comp_targetILNS1_3genE0ELNS1_11target_archE4294967295ELNS1_3gpuE0ELNS1_3repE0EEENS1_30default_config_static_selectorELNS0_4arch9wavefront6targetE0EEEvT1_,comdat
	.globl	_ZN7rocprim17ROCPRIM_400000_NS6detail17trampoline_kernelINS0_14default_configENS1_25partition_config_selectorILNS1_17partition_subalgoE9EllbEEZZNS1_14partition_implILS5_9ELb0ES3_jPlS8_PNS0_10empty_typeENS0_5tupleIJS8_S9_EEENSB_IJS8_SA_EEENS0_18inequality_wrapperIZN2at6native12_GLOBAL__N_124unique_dim_cuda_templateIlEESt5tupleIJNSF_6TensorESK_SK_EERKSK_lbbbEUlllE0_EEPmJS9_EEE10hipError_tPvRmT3_T4_T5_T6_T7_T9_mT8_P12ihipStream_tbDpT10_ENKUlT_T0_E_clISt17integral_constantIbLb0EES19_IbLb1EEEEDaS15_S16_EUlS15_E_NS1_11comp_targetILNS1_3genE0ELNS1_11target_archE4294967295ELNS1_3gpuE0ELNS1_3repE0EEENS1_30default_config_static_selectorELNS0_4arch9wavefront6targetE0EEEvT1_ ; -- Begin function _ZN7rocprim17ROCPRIM_400000_NS6detail17trampoline_kernelINS0_14default_configENS1_25partition_config_selectorILNS1_17partition_subalgoE9EllbEEZZNS1_14partition_implILS5_9ELb0ES3_jPlS8_PNS0_10empty_typeENS0_5tupleIJS8_S9_EEENSB_IJS8_SA_EEENS0_18inequality_wrapperIZN2at6native12_GLOBAL__N_124unique_dim_cuda_templateIlEESt5tupleIJNSF_6TensorESK_SK_EERKSK_lbbbEUlllE0_EEPmJS9_EEE10hipError_tPvRmT3_T4_T5_T6_T7_T9_mT8_P12ihipStream_tbDpT10_ENKUlT_T0_E_clISt17integral_constantIbLb0EES19_IbLb1EEEEDaS15_S16_EUlS15_E_NS1_11comp_targetILNS1_3genE0ELNS1_11target_archE4294967295ELNS1_3gpuE0ELNS1_3repE0EEENS1_30default_config_static_selectorELNS0_4arch9wavefront6targetE0EEEvT1_
	.p2align	8
	.type	_ZN7rocprim17ROCPRIM_400000_NS6detail17trampoline_kernelINS0_14default_configENS1_25partition_config_selectorILNS1_17partition_subalgoE9EllbEEZZNS1_14partition_implILS5_9ELb0ES3_jPlS8_PNS0_10empty_typeENS0_5tupleIJS8_S9_EEENSB_IJS8_SA_EEENS0_18inequality_wrapperIZN2at6native12_GLOBAL__N_124unique_dim_cuda_templateIlEESt5tupleIJNSF_6TensorESK_SK_EERKSK_lbbbEUlllE0_EEPmJS9_EEE10hipError_tPvRmT3_T4_T5_T6_T7_T9_mT8_P12ihipStream_tbDpT10_ENKUlT_T0_E_clISt17integral_constantIbLb0EES19_IbLb1EEEEDaS15_S16_EUlS15_E_NS1_11comp_targetILNS1_3genE0ELNS1_11target_archE4294967295ELNS1_3gpuE0ELNS1_3repE0EEENS1_30default_config_static_selectorELNS0_4arch9wavefront6targetE0EEEvT1_,@function
_ZN7rocprim17ROCPRIM_400000_NS6detail17trampoline_kernelINS0_14default_configENS1_25partition_config_selectorILNS1_17partition_subalgoE9EllbEEZZNS1_14partition_implILS5_9ELb0ES3_jPlS8_PNS0_10empty_typeENS0_5tupleIJS8_S9_EEENSB_IJS8_SA_EEENS0_18inequality_wrapperIZN2at6native12_GLOBAL__N_124unique_dim_cuda_templateIlEESt5tupleIJNSF_6TensorESK_SK_EERKSK_lbbbEUlllE0_EEPmJS9_EEE10hipError_tPvRmT3_T4_T5_T6_T7_T9_mT8_P12ihipStream_tbDpT10_ENKUlT_T0_E_clISt17integral_constantIbLb0EES19_IbLb1EEEEDaS15_S16_EUlS15_E_NS1_11comp_targetILNS1_3genE0ELNS1_11target_archE4294967295ELNS1_3gpuE0ELNS1_3repE0EEENS1_30default_config_static_selectorELNS0_4arch9wavefront6targetE0EEEvT1_: ; @_ZN7rocprim17ROCPRIM_400000_NS6detail17trampoline_kernelINS0_14default_configENS1_25partition_config_selectorILNS1_17partition_subalgoE9EllbEEZZNS1_14partition_implILS5_9ELb0ES3_jPlS8_PNS0_10empty_typeENS0_5tupleIJS8_S9_EEENSB_IJS8_SA_EEENS0_18inequality_wrapperIZN2at6native12_GLOBAL__N_124unique_dim_cuda_templateIlEESt5tupleIJNSF_6TensorESK_SK_EERKSK_lbbbEUlllE0_EEPmJS9_EEE10hipError_tPvRmT3_T4_T5_T6_T7_T9_mT8_P12ihipStream_tbDpT10_ENKUlT_T0_E_clISt17integral_constantIbLb0EES19_IbLb1EEEEDaS15_S16_EUlS15_E_NS1_11comp_targetILNS1_3genE0ELNS1_11target_archE4294967295ELNS1_3gpuE0ELNS1_3repE0EEENS1_30default_config_static_selectorELNS0_4arch9wavefront6targetE0EEEvT1_
; %bb.0:
	.section	.rodata,"a",@progbits
	.p2align	6, 0x0
	.amdhsa_kernel _ZN7rocprim17ROCPRIM_400000_NS6detail17trampoline_kernelINS0_14default_configENS1_25partition_config_selectorILNS1_17partition_subalgoE9EllbEEZZNS1_14partition_implILS5_9ELb0ES3_jPlS8_PNS0_10empty_typeENS0_5tupleIJS8_S9_EEENSB_IJS8_SA_EEENS0_18inequality_wrapperIZN2at6native12_GLOBAL__N_124unique_dim_cuda_templateIlEESt5tupleIJNSF_6TensorESK_SK_EERKSK_lbbbEUlllE0_EEPmJS9_EEE10hipError_tPvRmT3_T4_T5_T6_T7_T9_mT8_P12ihipStream_tbDpT10_ENKUlT_T0_E_clISt17integral_constantIbLb0EES19_IbLb1EEEEDaS15_S16_EUlS15_E_NS1_11comp_targetILNS1_3genE0ELNS1_11target_archE4294967295ELNS1_3gpuE0ELNS1_3repE0EEENS1_30default_config_static_selectorELNS0_4arch9wavefront6targetE0EEEvT1_
		.amdhsa_group_segment_fixed_size 0
		.amdhsa_private_segment_fixed_size 0
		.amdhsa_kernarg_size 136
		.amdhsa_user_sgpr_count 15
		.amdhsa_user_sgpr_dispatch_ptr 0
		.amdhsa_user_sgpr_queue_ptr 0
		.amdhsa_user_sgpr_kernarg_segment_ptr 1
		.amdhsa_user_sgpr_dispatch_id 0
		.amdhsa_user_sgpr_private_segment_size 0
		.amdhsa_wavefront_size32 1
		.amdhsa_uses_dynamic_stack 0
		.amdhsa_enable_private_segment 0
		.amdhsa_system_sgpr_workgroup_id_x 1
		.amdhsa_system_sgpr_workgroup_id_y 0
		.amdhsa_system_sgpr_workgroup_id_z 0
		.amdhsa_system_sgpr_workgroup_info 0
		.amdhsa_system_vgpr_workitem_id 0
		.amdhsa_next_free_vgpr 1
		.amdhsa_next_free_sgpr 1
		.amdhsa_reserve_vcc 0
		.amdhsa_float_round_mode_32 0
		.amdhsa_float_round_mode_16_64 0
		.amdhsa_float_denorm_mode_32 3
		.amdhsa_float_denorm_mode_16_64 3
		.amdhsa_dx10_clamp 1
		.amdhsa_ieee_mode 1
		.amdhsa_fp16_overflow 0
		.amdhsa_workgroup_processor_mode 1
		.amdhsa_memory_ordered 1
		.amdhsa_forward_progress 0
		.amdhsa_shared_vgpr_count 0
		.amdhsa_exception_fp_ieee_invalid_op 0
		.amdhsa_exception_fp_denorm_src 0
		.amdhsa_exception_fp_ieee_div_zero 0
		.amdhsa_exception_fp_ieee_overflow 0
		.amdhsa_exception_fp_ieee_underflow 0
		.amdhsa_exception_fp_ieee_inexact 0
		.amdhsa_exception_int_div_zero 0
	.end_amdhsa_kernel
	.section	.text._ZN7rocprim17ROCPRIM_400000_NS6detail17trampoline_kernelINS0_14default_configENS1_25partition_config_selectorILNS1_17partition_subalgoE9EllbEEZZNS1_14partition_implILS5_9ELb0ES3_jPlS8_PNS0_10empty_typeENS0_5tupleIJS8_S9_EEENSB_IJS8_SA_EEENS0_18inequality_wrapperIZN2at6native12_GLOBAL__N_124unique_dim_cuda_templateIlEESt5tupleIJNSF_6TensorESK_SK_EERKSK_lbbbEUlllE0_EEPmJS9_EEE10hipError_tPvRmT3_T4_T5_T6_T7_T9_mT8_P12ihipStream_tbDpT10_ENKUlT_T0_E_clISt17integral_constantIbLb0EES19_IbLb1EEEEDaS15_S16_EUlS15_E_NS1_11comp_targetILNS1_3genE0ELNS1_11target_archE4294967295ELNS1_3gpuE0ELNS1_3repE0EEENS1_30default_config_static_selectorELNS0_4arch9wavefront6targetE0EEEvT1_,"axG",@progbits,_ZN7rocprim17ROCPRIM_400000_NS6detail17trampoline_kernelINS0_14default_configENS1_25partition_config_selectorILNS1_17partition_subalgoE9EllbEEZZNS1_14partition_implILS5_9ELb0ES3_jPlS8_PNS0_10empty_typeENS0_5tupleIJS8_S9_EEENSB_IJS8_SA_EEENS0_18inequality_wrapperIZN2at6native12_GLOBAL__N_124unique_dim_cuda_templateIlEESt5tupleIJNSF_6TensorESK_SK_EERKSK_lbbbEUlllE0_EEPmJS9_EEE10hipError_tPvRmT3_T4_T5_T6_T7_T9_mT8_P12ihipStream_tbDpT10_ENKUlT_T0_E_clISt17integral_constantIbLb0EES19_IbLb1EEEEDaS15_S16_EUlS15_E_NS1_11comp_targetILNS1_3genE0ELNS1_11target_archE4294967295ELNS1_3gpuE0ELNS1_3repE0EEENS1_30default_config_static_selectorELNS0_4arch9wavefront6targetE0EEEvT1_,comdat
.Lfunc_end619:
	.size	_ZN7rocprim17ROCPRIM_400000_NS6detail17trampoline_kernelINS0_14default_configENS1_25partition_config_selectorILNS1_17partition_subalgoE9EllbEEZZNS1_14partition_implILS5_9ELb0ES3_jPlS8_PNS0_10empty_typeENS0_5tupleIJS8_S9_EEENSB_IJS8_SA_EEENS0_18inequality_wrapperIZN2at6native12_GLOBAL__N_124unique_dim_cuda_templateIlEESt5tupleIJNSF_6TensorESK_SK_EERKSK_lbbbEUlllE0_EEPmJS9_EEE10hipError_tPvRmT3_T4_T5_T6_T7_T9_mT8_P12ihipStream_tbDpT10_ENKUlT_T0_E_clISt17integral_constantIbLb0EES19_IbLb1EEEEDaS15_S16_EUlS15_E_NS1_11comp_targetILNS1_3genE0ELNS1_11target_archE4294967295ELNS1_3gpuE0ELNS1_3repE0EEENS1_30default_config_static_selectorELNS0_4arch9wavefront6targetE0EEEvT1_, .Lfunc_end619-_ZN7rocprim17ROCPRIM_400000_NS6detail17trampoline_kernelINS0_14default_configENS1_25partition_config_selectorILNS1_17partition_subalgoE9EllbEEZZNS1_14partition_implILS5_9ELb0ES3_jPlS8_PNS0_10empty_typeENS0_5tupleIJS8_S9_EEENSB_IJS8_SA_EEENS0_18inequality_wrapperIZN2at6native12_GLOBAL__N_124unique_dim_cuda_templateIlEESt5tupleIJNSF_6TensorESK_SK_EERKSK_lbbbEUlllE0_EEPmJS9_EEE10hipError_tPvRmT3_T4_T5_T6_T7_T9_mT8_P12ihipStream_tbDpT10_ENKUlT_T0_E_clISt17integral_constantIbLb0EES19_IbLb1EEEEDaS15_S16_EUlS15_E_NS1_11comp_targetILNS1_3genE0ELNS1_11target_archE4294967295ELNS1_3gpuE0ELNS1_3repE0EEENS1_30default_config_static_selectorELNS0_4arch9wavefront6targetE0EEEvT1_
                                        ; -- End function
	.section	.AMDGPU.csdata,"",@progbits
; Kernel info:
; codeLenInByte = 0
; NumSgprs: 0
; NumVgprs: 0
; ScratchSize: 0
; MemoryBound: 0
; FloatMode: 240
; IeeeMode: 1
; LDSByteSize: 0 bytes/workgroup (compile time only)
; SGPRBlocks: 0
; VGPRBlocks: 0
; NumSGPRsForWavesPerEU: 1
; NumVGPRsForWavesPerEU: 1
; Occupancy: 16
; WaveLimiterHint : 0
; COMPUTE_PGM_RSRC2:SCRATCH_EN: 0
; COMPUTE_PGM_RSRC2:USER_SGPR: 15
; COMPUTE_PGM_RSRC2:TRAP_HANDLER: 0
; COMPUTE_PGM_RSRC2:TGID_X_EN: 1
; COMPUTE_PGM_RSRC2:TGID_Y_EN: 0
; COMPUTE_PGM_RSRC2:TGID_Z_EN: 0
; COMPUTE_PGM_RSRC2:TIDIG_COMP_CNT: 0
	.section	.text._ZN7rocprim17ROCPRIM_400000_NS6detail17trampoline_kernelINS0_14default_configENS1_25partition_config_selectorILNS1_17partition_subalgoE9EllbEEZZNS1_14partition_implILS5_9ELb0ES3_jPlS8_PNS0_10empty_typeENS0_5tupleIJS8_S9_EEENSB_IJS8_SA_EEENS0_18inequality_wrapperIZN2at6native12_GLOBAL__N_124unique_dim_cuda_templateIlEESt5tupleIJNSF_6TensorESK_SK_EERKSK_lbbbEUlllE0_EEPmJS9_EEE10hipError_tPvRmT3_T4_T5_T6_T7_T9_mT8_P12ihipStream_tbDpT10_ENKUlT_T0_E_clISt17integral_constantIbLb0EES19_IbLb1EEEEDaS15_S16_EUlS15_E_NS1_11comp_targetILNS1_3genE5ELNS1_11target_archE942ELNS1_3gpuE9ELNS1_3repE0EEENS1_30default_config_static_selectorELNS0_4arch9wavefront6targetE0EEEvT1_,"axG",@progbits,_ZN7rocprim17ROCPRIM_400000_NS6detail17trampoline_kernelINS0_14default_configENS1_25partition_config_selectorILNS1_17partition_subalgoE9EllbEEZZNS1_14partition_implILS5_9ELb0ES3_jPlS8_PNS0_10empty_typeENS0_5tupleIJS8_S9_EEENSB_IJS8_SA_EEENS0_18inequality_wrapperIZN2at6native12_GLOBAL__N_124unique_dim_cuda_templateIlEESt5tupleIJNSF_6TensorESK_SK_EERKSK_lbbbEUlllE0_EEPmJS9_EEE10hipError_tPvRmT3_T4_T5_T6_T7_T9_mT8_P12ihipStream_tbDpT10_ENKUlT_T0_E_clISt17integral_constantIbLb0EES19_IbLb1EEEEDaS15_S16_EUlS15_E_NS1_11comp_targetILNS1_3genE5ELNS1_11target_archE942ELNS1_3gpuE9ELNS1_3repE0EEENS1_30default_config_static_selectorELNS0_4arch9wavefront6targetE0EEEvT1_,comdat
	.globl	_ZN7rocprim17ROCPRIM_400000_NS6detail17trampoline_kernelINS0_14default_configENS1_25partition_config_selectorILNS1_17partition_subalgoE9EllbEEZZNS1_14partition_implILS5_9ELb0ES3_jPlS8_PNS0_10empty_typeENS0_5tupleIJS8_S9_EEENSB_IJS8_SA_EEENS0_18inequality_wrapperIZN2at6native12_GLOBAL__N_124unique_dim_cuda_templateIlEESt5tupleIJNSF_6TensorESK_SK_EERKSK_lbbbEUlllE0_EEPmJS9_EEE10hipError_tPvRmT3_T4_T5_T6_T7_T9_mT8_P12ihipStream_tbDpT10_ENKUlT_T0_E_clISt17integral_constantIbLb0EES19_IbLb1EEEEDaS15_S16_EUlS15_E_NS1_11comp_targetILNS1_3genE5ELNS1_11target_archE942ELNS1_3gpuE9ELNS1_3repE0EEENS1_30default_config_static_selectorELNS0_4arch9wavefront6targetE0EEEvT1_ ; -- Begin function _ZN7rocprim17ROCPRIM_400000_NS6detail17trampoline_kernelINS0_14default_configENS1_25partition_config_selectorILNS1_17partition_subalgoE9EllbEEZZNS1_14partition_implILS5_9ELb0ES3_jPlS8_PNS0_10empty_typeENS0_5tupleIJS8_S9_EEENSB_IJS8_SA_EEENS0_18inequality_wrapperIZN2at6native12_GLOBAL__N_124unique_dim_cuda_templateIlEESt5tupleIJNSF_6TensorESK_SK_EERKSK_lbbbEUlllE0_EEPmJS9_EEE10hipError_tPvRmT3_T4_T5_T6_T7_T9_mT8_P12ihipStream_tbDpT10_ENKUlT_T0_E_clISt17integral_constantIbLb0EES19_IbLb1EEEEDaS15_S16_EUlS15_E_NS1_11comp_targetILNS1_3genE5ELNS1_11target_archE942ELNS1_3gpuE9ELNS1_3repE0EEENS1_30default_config_static_selectorELNS0_4arch9wavefront6targetE0EEEvT1_
	.p2align	8
	.type	_ZN7rocprim17ROCPRIM_400000_NS6detail17trampoline_kernelINS0_14default_configENS1_25partition_config_selectorILNS1_17partition_subalgoE9EllbEEZZNS1_14partition_implILS5_9ELb0ES3_jPlS8_PNS0_10empty_typeENS0_5tupleIJS8_S9_EEENSB_IJS8_SA_EEENS0_18inequality_wrapperIZN2at6native12_GLOBAL__N_124unique_dim_cuda_templateIlEESt5tupleIJNSF_6TensorESK_SK_EERKSK_lbbbEUlllE0_EEPmJS9_EEE10hipError_tPvRmT3_T4_T5_T6_T7_T9_mT8_P12ihipStream_tbDpT10_ENKUlT_T0_E_clISt17integral_constantIbLb0EES19_IbLb1EEEEDaS15_S16_EUlS15_E_NS1_11comp_targetILNS1_3genE5ELNS1_11target_archE942ELNS1_3gpuE9ELNS1_3repE0EEENS1_30default_config_static_selectorELNS0_4arch9wavefront6targetE0EEEvT1_,@function
_ZN7rocprim17ROCPRIM_400000_NS6detail17trampoline_kernelINS0_14default_configENS1_25partition_config_selectorILNS1_17partition_subalgoE9EllbEEZZNS1_14partition_implILS5_9ELb0ES3_jPlS8_PNS0_10empty_typeENS0_5tupleIJS8_S9_EEENSB_IJS8_SA_EEENS0_18inequality_wrapperIZN2at6native12_GLOBAL__N_124unique_dim_cuda_templateIlEESt5tupleIJNSF_6TensorESK_SK_EERKSK_lbbbEUlllE0_EEPmJS9_EEE10hipError_tPvRmT3_T4_T5_T6_T7_T9_mT8_P12ihipStream_tbDpT10_ENKUlT_T0_E_clISt17integral_constantIbLb0EES19_IbLb1EEEEDaS15_S16_EUlS15_E_NS1_11comp_targetILNS1_3genE5ELNS1_11target_archE942ELNS1_3gpuE9ELNS1_3repE0EEENS1_30default_config_static_selectorELNS0_4arch9wavefront6targetE0EEEvT1_: ; @_ZN7rocprim17ROCPRIM_400000_NS6detail17trampoline_kernelINS0_14default_configENS1_25partition_config_selectorILNS1_17partition_subalgoE9EllbEEZZNS1_14partition_implILS5_9ELb0ES3_jPlS8_PNS0_10empty_typeENS0_5tupleIJS8_S9_EEENSB_IJS8_SA_EEENS0_18inequality_wrapperIZN2at6native12_GLOBAL__N_124unique_dim_cuda_templateIlEESt5tupleIJNSF_6TensorESK_SK_EERKSK_lbbbEUlllE0_EEPmJS9_EEE10hipError_tPvRmT3_T4_T5_T6_T7_T9_mT8_P12ihipStream_tbDpT10_ENKUlT_T0_E_clISt17integral_constantIbLb0EES19_IbLb1EEEEDaS15_S16_EUlS15_E_NS1_11comp_targetILNS1_3genE5ELNS1_11target_archE942ELNS1_3gpuE9ELNS1_3repE0EEENS1_30default_config_static_selectorELNS0_4arch9wavefront6targetE0EEEvT1_
; %bb.0:
	.section	.rodata,"a",@progbits
	.p2align	6, 0x0
	.amdhsa_kernel _ZN7rocprim17ROCPRIM_400000_NS6detail17trampoline_kernelINS0_14default_configENS1_25partition_config_selectorILNS1_17partition_subalgoE9EllbEEZZNS1_14partition_implILS5_9ELb0ES3_jPlS8_PNS0_10empty_typeENS0_5tupleIJS8_S9_EEENSB_IJS8_SA_EEENS0_18inequality_wrapperIZN2at6native12_GLOBAL__N_124unique_dim_cuda_templateIlEESt5tupleIJNSF_6TensorESK_SK_EERKSK_lbbbEUlllE0_EEPmJS9_EEE10hipError_tPvRmT3_T4_T5_T6_T7_T9_mT8_P12ihipStream_tbDpT10_ENKUlT_T0_E_clISt17integral_constantIbLb0EES19_IbLb1EEEEDaS15_S16_EUlS15_E_NS1_11comp_targetILNS1_3genE5ELNS1_11target_archE942ELNS1_3gpuE9ELNS1_3repE0EEENS1_30default_config_static_selectorELNS0_4arch9wavefront6targetE0EEEvT1_
		.amdhsa_group_segment_fixed_size 0
		.amdhsa_private_segment_fixed_size 0
		.amdhsa_kernarg_size 136
		.amdhsa_user_sgpr_count 15
		.amdhsa_user_sgpr_dispatch_ptr 0
		.amdhsa_user_sgpr_queue_ptr 0
		.amdhsa_user_sgpr_kernarg_segment_ptr 1
		.amdhsa_user_sgpr_dispatch_id 0
		.amdhsa_user_sgpr_private_segment_size 0
		.amdhsa_wavefront_size32 1
		.amdhsa_uses_dynamic_stack 0
		.amdhsa_enable_private_segment 0
		.amdhsa_system_sgpr_workgroup_id_x 1
		.amdhsa_system_sgpr_workgroup_id_y 0
		.amdhsa_system_sgpr_workgroup_id_z 0
		.amdhsa_system_sgpr_workgroup_info 0
		.amdhsa_system_vgpr_workitem_id 0
		.amdhsa_next_free_vgpr 1
		.amdhsa_next_free_sgpr 1
		.amdhsa_reserve_vcc 0
		.amdhsa_float_round_mode_32 0
		.amdhsa_float_round_mode_16_64 0
		.amdhsa_float_denorm_mode_32 3
		.amdhsa_float_denorm_mode_16_64 3
		.amdhsa_dx10_clamp 1
		.amdhsa_ieee_mode 1
		.amdhsa_fp16_overflow 0
		.amdhsa_workgroup_processor_mode 1
		.amdhsa_memory_ordered 1
		.amdhsa_forward_progress 0
		.amdhsa_shared_vgpr_count 0
		.amdhsa_exception_fp_ieee_invalid_op 0
		.amdhsa_exception_fp_denorm_src 0
		.amdhsa_exception_fp_ieee_div_zero 0
		.amdhsa_exception_fp_ieee_overflow 0
		.amdhsa_exception_fp_ieee_underflow 0
		.amdhsa_exception_fp_ieee_inexact 0
		.amdhsa_exception_int_div_zero 0
	.end_amdhsa_kernel
	.section	.text._ZN7rocprim17ROCPRIM_400000_NS6detail17trampoline_kernelINS0_14default_configENS1_25partition_config_selectorILNS1_17partition_subalgoE9EllbEEZZNS1_14partition_implILS5_9ELb0ES3_jPlS8_PNS0_10empty_typeENS0_5tupleIJS8_S9_EEENSB_IJS8_SA_EEENS0_18inequality_wrapperIZN2at6native12_GLOBAL__N_124unique_dim_cuda_templateIlEESt5tupleIJNSF_6TensorESK_SK_EERKSK_lbbbEUlllE0_EEPmJS9_EEE10hipError_tPvRmT3_T4_T5_T6_T7_T9_mT8_P12ihipStream_tbDpT10_ENKUlT_T0_E_clISt17integral_constantIbLb0EES19_IbLb1EEEEDaS15_S16_EUlS15_E_NS1_11comp_targetILNS1_3genE5ELNS1_11target_archE942ELNS1_3gpuE9ELNS1_3repE0EEENS1_30default_config_static_selectorELNS0_4arch9wavefront6targetE0EEEvT1_,"axG",@progbits,_ZN7rocprim17ROCPRIM_400000_NS6detail17trampoline_kernelINS0_14default_configENS1_25partition_config_selectorILNS1_17partition_subalgoE9EllbEEZZNS1_14partition_implILS5_9ELb0ES3_jPlS8_PNS0_10empty_typeENS0_5tupleIJS8_S9_EEENSB_IJS8_SA_EEENS0_18inequality_wrapperIZN2at6native12_GLOBAL__N_124unique_dim_cuda_templateIlEESt5tupleIJNSF_6TensorESK_SK_EERKSK_lbbbEUlllE0_EEPmJS9_EEE10hipError_tPvRmT3_T4_T5_T6_T7_T9_mT8_P12ihipStream_tbDpT10_ENKUlT_T0_E_clISt17integral_constantIbLb0EES19_IbLb1EEEEDaS15_S16_EUlS15_E_NS1_11comp_targetILNS1_3genE5ELNS1_11target_archE942ELNS1_3gpuE9ELNS1_3repE0EEENS1_30default_config_static_selectorELNS0_4arch9wavefront6targetE0EEEvT1_,comdat
.Lfunc_end620:
	.size	_ZN7rocprim17ROCPRIM_400000_NS6detail17trampoline_kernelINS0_14default_configENS1_25partition_config_selectorILNS1_17partition_subalgoE9EllbEEZZNS1_14partition_implILS5_9ELb0ES3_jPlS8_PNS0_10empty_typeENS0_5tupleIJS8_S9_EEENSB_IJS8_SA_EEENS0_18inequality_wrapperIZN2at6native12_GLOBAL__N_124unique_dim_cuda_templateIlEESt5tupleIJNSF_6TensorESK_SK_EERKSK_lbbbEUlllE0_EEPmJS9_EEE10hipError_tPvRmT3_T4_T5_T6_T7_T9_mT8_P12ihipStream_tbDpT10_ENKUlT_T0_E_clISt17integral_constantIbLb0EES19_IbLb1EEEEDaS15_S16_EUlS15_E_NS1_11comp_targetILNS1_3genE5ELNS1_11target_archE942ELNS1_3gpuE9ELNS1_3repE0EEENS1_30default_config_static_selectorELNS0_4arch9wavefront6targetE0EEEvT1_, .Lfunc_end620-_ZN7rocprim17ROCPRIM_400000_NS6detail17trampoline_kernelINS0_14default_configENS1_25partition_config_selectorILNS1_17partition_subalgoE9EllbEEZZNS1_14partition_implILS5_9ELb0ES3_jPlS8_PNS0_10empty_typeENS0_5tupleIJS8_S9_EEENSB_IJS8_SA_EEENS0_18inequality_wrapperIZN2at6native12_GLOBAL__N_124unique_dim_cuda_templateIlEESt5tupleIJNSF_6TensorESK_SK_EERKSK_lbbbEUlllE0_EEPmJS9_EEE10hipError_tPvRmT3_T4_T5_T6_T7_T9_mT8_P12ihipStream_tbDpT10_ENKUlT_T0_E_clISt17integral_constantIbLb0EES19_IbLb1EEEEDaS15_S16_EUlS15_E_NS1_11comp_targetILNS1_3genE5ELNS1_11target_archE942ELNS1_3gpuE9ELNS1_3repE0EEENS1_30default_config_static_selectorELNS0_4arch9wavefront6targetE0EEEvT1_
                                        ; -- End function
	.section	.AMDGPU.csdata,"",@progbits
; Kernel info:
; codeLenInByte = 0
; NumSgprs: 0
; NumVgprs: 0
; ScratchSize: 0
; MemoryBound: 0
; FloatMode: 240
; IeeeMode: 1
; LDSByteSize: 0 bytes/workgroup (compile time only)
; SGPRBlocks: 0
; VGPRBlocks: 0
; NumSGPRsForWavesPerEU: 1
; NumVGPRsForWavesPerEU: 1
; Occupancy: 16
; WaveLimiterHint : 0
; COMPUTE_PGM_RSRC2:SCRATCH_EN: 0
; COMPUTE_PGM_RSRC2:USER_SGPR: 15
; COMPUTE_PGM_RSRC2:TRAP_HANDLER: 0
; COMPUTE_PGM_RSRC2:TGID_X_EN: 1
; COMPUTE_PGM_RSRC2:TGID_Y_EN: 0
; COMPUTE_PGM_RSRC2:TGID_Z_EN: 0
; COMPUTE_PGM_RSRC2:TIDIG_COMP_CNT: 0
	.section	.text._ZN7rocprim17ROCPRIM_400000_NS6detail17trampoline_kernelINS0_14default_configENS1_25partition_config_selectorILNS1_17partition_subalgoE9EllbEEZZNS1_14partition_implILS5_9ELb0ES3_jPlS8_PNS0_10empty_typeENS0_5tupleIJS8_S9_EEENSB_IJS8_SA_EEENS0_18inequality_wrapperIZN2at6native12_GLOBAL__N_124unique_dim_cuda_templateIlEESt5tupleIJNSF_6TensorESK_SK_EERKSK_lbbbEUlllE0_EEPmJS9_EEE10hipError_tPvRmT3_T4_T5_T6_T7_T9_mT8_P12ihipStream_tbDpT10_ENKUlT_T0_E_clISt17integral_constantIbLb0EES19_IbLb1EEEEDaS15_S16_EUlS15_E_NS1_11comp_targetILNS1_3genE4ELNS1_11target_archE910ELNS1_3gpuE8ELNS1_3repE0EEENS1_30default_config_static_selectorELNS0_4arch9wavefront6targetE0EEEvT1_,"axG",@progbits,_ZN7rocprim17ROCPRIM_400000_NS6detail17trampoline_kernelINS0_14default_configENS1_25partition_config_selectorILNS1_17partition_subalgoE9EllbEEZZNS1_14partition_implILS5_9ELb0ES3_jPlS8_PNS0_10empty_typeENS0_5tupleIJS8_S9_EEENSB_IJS8_SA_EEENS0_18inequality_wrapperIZN2at6native12_GLOBAL__N_124unique_dim_cuda_templateIlEESt5tupleIJNSF_6TensorESK_SK_EERKSK_lbbbEUlllE0_EEPmJS9_EEE10hipError_tPvRmT3_T4_T5_T6_T7_T9_mT8_P12ihipStream_tbDpT10_ENKUlT_T0_E_clISt17integral_constantIbLb0EES19_IbLb1EEEEDaS15_S16_EUlS15_E_NS1_11comp_targetILNS1_3genE4ELNS1_11target_archE910ELNS1_3gpuE8ELNS1_3repE0EEENS1_30default_config_static_selectorELNS0_4arch9wavefront6targetE0EEEvT1_,comdat
	.globl	_ZN7rocprim17ROCPRIM_400000_NS6detail17trampoline_kernelINS0_14default_configENS1_25partition_config_selectorILNS1_17partition_subalgoE9EllbEEZZNS1_14partition_implILS5_9ELb0ES3_jPlS8_PNS0_10empty_typeENS0_5tupleIJS8_S9_EEENSB_IJS8_SA_EEENS0_18inequality_wrapperIZN2at6native12_GLOBAL__N_124unique_dim_cuda_templateIlEESt5tupleIJNSF_6TensorESK_SK_EERKSK_lbbbEUlllE0_EEPmJS9_EEE10hipError_tPvRmT3_T4_T5_T6_T7_T9_mT8_P12ihipStream_tbDpT10_ENKUlT_T0_E_clISt17integral_constantIbLb0EES19_IbLb1EEEEDaS15_S16_EUlS15_E_NS1_11comp_targetILNS1_3genE4ELNS1_11target_archE910ELNS1_3gpuE8ELNS1_3repE0EEENS1_30default_config_static_selectorELNS0_4arch9wavefront6targetE0EEEvT1_ ; -- Begin function _ZN7rocprim17ROCPRIM_400000_NS6detail17trampoline_kernelINS0_14default_configENS1_25partition_config_selectorILNS1_17partition_subalgoE9EllbEEZZNS1_14partition_implILS5_9ELb0ES3_jPlS8_PNS0_10empty_typeENS0_5tupleIJS8_S9_EEENSB_IJS8_SA_EEENS0_18inequality_wrapperIZN2at6native12_GLOBAL__N_124unique_dim_cuda_templateIlEESt5tupleIJNSF_6TensorESK_SK_EERKSK_lbbbEUlllE0_EEPmJS9_EEE10hipError_tPvRmT3_T4_T5_T6_T7_T9_mT8_P12ihipStream_tbDpT10_ENKUlT_T0_E_clISt17integral_constantIbLb0EES19_IbLb1EEEEDaS15_S16_EUlS15_E_NS1_11comp_targetILNS1_3genE4ELNS1_11target_archE910ELNS1_3gpuE8ELNS1_3repE0EEENS1_30default_config_static_selectorELNS0_4arch9wavefront6targetE0EEEvT1_
	.p2align	8
	.type	_ZN7rocprim17ROCPRIM_400000_NS6detail17trampoline_kernelINS0_14default_configENS1_25partition_config_selectorILNS1_17partition_subalgoE9EllbEEZZNS1_14partition_implILS5_9ELb0ES3_jPlS8_PNS0_10empty_typeENS0_5tupleIJS8_S9_EEENSB_IJS8_SA_EEENS0_18inequality_wrapperIZN2at6native12_GLOBAL__N_124unique_dim_cuda_templateIlEESt5tupleIJNSF_6TensorESK_SK_EERKSK_lbbbEUlllE0_EEPmJS9_EEE10hipError_tPvRmT3_T4_T5_T6_T7_T9_mT8_P12ihipStream_tbDpT10_ENKUlT_T0_E_clISt17integral_constantIbLb0EES19_IbLb1EEEEDaS15_S16_EUlS15_E_NS1_11comp_targetILNS1_3genE4ELNS1_11target_archE910ELNS1_3gpuE8ELNS1_3repE0EEENS1_30default_config_static_selectorELNS0_4arch9wavefront6targetE0EEEvT1_,@function
_ZN7rocprim17ROCPRIM_400000_NS6detail17trampoline_kernelINS0_14default_configENS1_25partition_config_selectorILNS1_17partition_subalgoE9EllbEEZZNS1_14partition_implILS5_9ELb0ES3_jPlS8_PNS0_10empty_typeENS0_5tupleIJS8_S9_EEENSB_IJS8_SA_EEENS0_18inequality_wrapperIZN2at6native12_GLOBAL__N_124unique_dim_cuda_templateIlEESt5tupleIJNSF_6TensorESK_SK_EERKSK_lbbbEUlllE0_EEPmJS9_EEE10hipError_tPvRmT3_T4_T5_T6_T7_T9_mT8_P12ihipStream_tbDpT10_ENKUlT_T0_E_clISt17integral_constantIbLb0EES19_IbLb1EEEEDaS15_S16_EUlS15_E_NS1_11comp_targetILNS1_3genE4ELNS1_11target_archE910ELNS1_3gpuE8ELNS1_3repE0EEENS1_30default_config_static_selectorELNS0_4arch9wavefront6targetE0EEEvT1_: ; @_ZN7rocprim17ROCPRIM_400000_NS6detail17trampoline_kernelINS0_14default_configENS1_25partition_config_selectorILNS1_17partition_subalgoE9EllbEEZZNS1_14partition_implILS5_9ELb0ES3_jPlS8_PNS0_10empty_typeENS0_5tupleIJS8_S9_EEENSB_IJS8_SA_EEENS0_18inequality_wrapperIZN2at6native12_GLOBAL__N_124unique_dim_cuda_templateIlEESt5tupleIJNSF_6TensorESK_SK_EERKSK_lbbbEUlllE0_EEPmJS9_EEE10hipError_tPvRmT3_T4_T5_T6_T7_T9_mT8_P12ihipStream_tbDpT10_ENKUlT_T0_E_clISt17integral_constantIbLb0EES19_IbLb1EEEEDaS15_S16_EUlS15_E_NS1_11comp_targetILNS1_3genE4ELNS1_11target_archE910ELNS1_3gpuE8ELNS1_3repE0EEENS1_30default_config_static_selectorELNS0_4arch9wavefront6targetE0EEEvT1_
; %bb.0:
	.section	.rodata,"a",@progbits
	.p2align	6, 0x0
	.amdhsa_kernel _ZN7rocprim17ROCPRIM_400000_NS6detail17trampoline_kernelINS0_14default_configENS1_25partition_config_selectorILNS1_17partition_subalgoE9EllbEEZZNS1_14partition_implILS5_9ELb0ES3_jPlS8_PNS0_10empty_typeENS0_5tupleIJS8_S9_EEENSB_IJS8_SA_EEENS0_18inequality_wrapperIZN2at6native12_GLOBAL__N_124unique_dim_cuda_templateIlEESt5tupleIJNSF_6TensorESK_SK_EERKSK_lbbbEUlllE0_EEPmJS9_EEE10hipError_tPvRmT3_T4_T5_T6_T7_T9_mT8_P12ihipStream_tbDpT10_ENKUlT_T0_E_clISt17integral_constantIbLb0EES19_IbLb1EEEEDaS15_S16_EUlS15_E_NS1_11comp_targetILNS1_3genE4ELNS1_11target_archE910ELNS1_3gpuE8ELNS1_3repE0EEENS1_30default_config_static_selectorELNS0_4arch9wavefront6targetE0EEEvT1_
		.amdhsa_group_segment_fixed_size 0
		.amdhsa_private_segment_fixed_size 0
		.amdhsa_kernarg_size 136
		.amdhsa_user_sgpr_count 15
		.amdhsa_user_sgpr_dispatch_ptr 0
		.amdhsa_user_sgpr_queue_ptr 0
		.amdhsa_user_sgpr_kernarg_segment_ptr 1
		.amdhsa_user_sgpr_dispatch_id 0
		.amdhsa_user_sgpr_private_segment_size 0
		.amdhsa_wavefront_size32 1
		.amdhsa_uses_dynamic_stack 0
		.amdhsa_enable_private_segment 0
		.amdhsa_system_sgpr_workgroup_id_x 1
		.amdhsa_system_sgpr_workgroup_id_y 0
		.amdhsa_system_sgpr_workgroup_id_z 0
		.amdhsa_system_sgpr_workgroup_info 0
		.amdhsa_system_vgpr_workitem_id 0
		.amdhsa_next_free_vgpr 1
		.amdhsa_next_free_sgpr 1
		.amdhsa_reserve_vcc 0
		.amdhsa_float_round_mode_32 0
		.amdhsa_float_round_mode_16_64 0
		.amdhsa_float_denorm_mode_32 3
		.amdhsa_float_denorm_mode_16_64 3
		.amdhsa_dx10_clamp 1
		.amdhsa_ieee_mode 1
		.amdhsa_fp16_overflow 0
		.amdhsa_workgroup_processor_mode 1
		.amdhsa_memory_ordered 1
		.amdhsa_forward_progress 0
		.amdhsa_shared_vgpr_count 0
		.amdhsa_exception_fp_ieee_invalid_op 0
		.amdhsa_exception_fp_denorm_src 0
		.amdhsa_exception_fp_ieee_div_zero 0
		.amdhsa_exception_fp_ieee_overflow 0
		.amdhsa_exception_fp_ieee_underflow 0
		.amdhsa_exception_fp_ieee_inexact 0
		.amdhsa_exception_int_div_zero 0
	.end_amdhsa_kernel
	.section	.text._ZN7rocprim17ROCPRIM_400000_NS6detail17trampoline_kernelINS0_14default_configENS1_25partition_config_selectorILNS1_17partition_subalgoE9EllbEEZZNS1_14partition_implILS5_9ELb0ES3_jPlS8_PNS0_10empty_typeENS0_5tupleIJS8_S9_EEENSB_IJS8_SA_EEENS0_18inequality_wrapperIZN2at6native12_GLOBAL__N_124unique_dim_cuda_templateIlEESt5tupleIJNSF_6TensorESK_SK_EERKSK_lbbbEUlllE0_EEPmJS9_EEE10hipError_tPvRmT3_T4_T5_T6_T7_T9_mT8_P12ihipStream_tbDpT10_ENKUlT_T0_E_clISt17integral_constantIbLb0EES19_IbLb1EEEEDaS15_S16_EUlS15_E_NS1_11comp_targetILNS1_3genE4ELNS1_11target_archE910ELNS1_3gpuE8ELNS1_3repE0EEENS1_30default_config_static_selectorELNS0_4arch9wavefront6targetE0EEEvT1_,"axG",@progbits,_ZN7rocprim17ROCPRIM_400000_NS6detail17trampoline_kernelINS0_14default_configENS1_25partition_config_selectorILNS1_17partition_subalgoE9EllbEEZZNS1_14partition_implILS5_9ELb0ES3_jPlS8_PNS0_10empty_typeENS0_5tupleIJS8_S9_EEENSB_IJS8_SA_EEENS0_18inequality_wrapperIZN2at6native12_GLOBAL__N_124unique_dim_cuda_templateIlEESt5tupleIJNSF_6TensorESK_SK_EERKSK_lbbbEUlllE0_EEPmJS9_EEE10hipError_tPvRmT3_T4_T5_T6_T7_T9_mT8_P12ihipStream_tbDpT10_ENKUlT_T0_E_clISt17integral_constantIbLb0EES19_IbLb1EEEEDaS15_S16_EUlS15_E_NS1_11comp_targetILNS1_3genE4ELNS1_11target_archE910ELNS1_3gpuE8ELNS1_3repE0EEENS1_30default_config_static_selectorELNS0_4arch9wavefront6targetE0EEEvT1_,comdat
.Lfunc_end621:
	.size	_ZN7rocprim17ROCPRIM_400000_NS6detail17trampoline_kernelINS0_14default_configENS1_25partition_config_selectorILNS1_17partition_subalgoE9EllbEEZZNS1_14partition_implILS5_9ELb0ES3_jPlS8_PNS0_10empty_typeENS0_5tupleIJS8_S9_EEENSB_IJS8_SA_EEENS0_18inequality_wrapperIZN2at6native12_GLOBAL__N_124unique_dim_cuda_templateIlEESt5tupleIJNSF_6TensorESK_SK_EERKSK_lbbbEUlllE0_EEPmJS9_EEE10hipError_tPvRmT3_T4_T5_T6_T7_T9_mT8_P12ihipStream_tbDpT10_ENKUlT_T0_E_clISt17integral_constantIbLb0EES19_IbLb1EEEEDaS15_S16_EUlS15_E_NS1_11comp_targetILNS1_3genE4ELNS1_11target_archE910ELNS1_3gpuE8ELNS1_3repE0EEENS1_30default_config_static_selectorELNS0_4arch9wavefront6targetE0EEEvT1_, .Lfunc_end621-_ZN7rocprim17ROCPRIM_400000_NS6detail17trampoline_kernelINS0_14default_configENS1_25partition_config_selectorILNS1_17partition_subalgoE9EllbEEZZNS1_14partition_implILS5_9ELb0ES3_jPlS8_PNS0_10empty_typeENS0_5tupleIJS8_S9_EEENSB_IJS8_SA_EEENS0_18inequality_wrapperIZN2at6native12_GLOBAL__N_124unique_dim_cuda_templateIlEESt5tupleIJNSF_6TensorESK_SK_EERKSK_lbbbEUlllE0_EEPmJS9_EEE10hipError_tPvRmT3_T4_T5_T6_T7_T9_mT8_P12ihipStream_tbDpT10_ENKUlT_T0_E_clISt17integral_constantIbLb0EES19_IbLb1EEEEDaS15_S16_EUlS15_E_NS1_11comp_targetILNS1_3genE4ELNS1_11target_archE910ELNS1_3gpuE8ELNS1_3repE0EEENS1_30default_config_static_selectorELNS0_4arch9wavefront6targetE0EEEvT1_
                                        ; -- End function
	.section	.AMDGPU.csdata,"",@progbits
; Kernel info:
; codeLenInByte = 0
; NumSgprs: 0
; NumVgprs: 0
; ScratchSize: 0
; MemoryBound: 0
; FloatMode: 240
; IeeeMode: 1
; LDSByteSize: 0 bytes/workgroup (compile time only)
; SGPRBlocks: 0
; VGPRBlocks: 0
; NumSGPRsForWavesPerEU: 1
; NumVGPRsForWavesPerEU: 1
; Occupancy: 16
; WaveLimiterHint : 0
; COMPUTE_PGM_RSRC2:SCRATCH_EN: 0
; COMPUTE_PGM_RSRC2:USER_SGPR: 15
; COMPUTE_PGM_RSRC2:TRAP_HANDLER: 0
; COMPUTE_PGM_RSRC2:TGID_X_EN: 1
; COMPUTE_PGM_RSRC2:TGID_Y_EN: 0
; COMPUTE_PGM_RSRC2:TGID_Z_EN: 0
; COMPUTE_PGM_RSRC2:TIDIG_COMP_CNT: 0
	.section	.text._ZN7rocprim17ROCPRIM_400000_NS6detail17trampoline_kernelINS0_14default_configENS1_25partition_config_selectorILNS1_17partition_subalgoE9EllbEEZZNS1_14partition_implILS5_9ELb0ES3_jPlS8_PNS0_10empty_typeENS0_5tupleIJS8_S9_EEENSB_IJS8_SA_EEENS0_18inequality_wrapperIZN2at6native12_GLOBAL__N_124unique_dim_cuda_templateIlEESt5tupleIJNSF_6TensorESK_SK_EERKSK_lbbbEUlllE0_EEPmJS9_EEE10hipError_tPvRmT3_T4_T5_T6_T7_T9_mT8_P12ihipStream_tbDpT10_ENKUlT_T0_E_clISt17integral_constantIbLb0EES19_IbLb1EEEEDaS15_S16_EUlS15_E_NS1_11comp_targetILNS1_3genE3ELNS1_11target_archE908ELNS1_3gpuE7ELNS1_3repE0EEENS1_30default_config_static_selectorELNS0_4arch9wavefront6targetE0EEEvT1_,"axG",@progbits,_ZN7rocprim17ROCPRIM_400000_NS6detail17trampoline_kernelINS0_14default_configENS1_25partition_config_selectorILNS1_17partition_subalgoE9EllbEEZZNS1_14partition_implILS5_9ELb0ES3_jPlS8_PNS0_10empty_typeENS0_5tupleIJS8_S9_EEENSB_IJS8_SA_EEENS0_18inequality_wrapperIZN2at6native12_GLOBAL__N_124unique_dim_cuda_templateIlEESt5tupleIJNSF_6TensorESK_SK_EERKSK_lbbbEUlllE0_EEPmJS9_EEE10hipError_tPvRmT3_T4_T5_T6_T7_T9_mT8_P12ihipStream_tbDpT10_ENKUlT_T0_E_clISt17integral_constantIbLb0EES19_IbLb1EEEEDaS15_S16_EUlS15_E_NS1_11comp_targetILNS1_3genE3ELNS1_11target_archE908ELNS1_3gpuE7ELNS1_3repE0EEENS1_30default_config_static_selectorELNS0_4arch9wavefront6targetE0EEEvT1_,comdat
	.globl	_ZN7rocprim17ROCPRIM_400000_NS6detail17trampoline_kernelINS0_14default_configENS1_25partition_config_selectorILNS1_17partition_subalgoE9EllbEEZZNS1_14partition_implILS5_9ELb0ES3_jPlS8_PNS0_10empty_typeENS0_5tupleIJS8_S9_EEENSB_IJS8_SA_EEENS0_18inequality_wrapperIZN2at6native12_GLOBAL__N_124unique_dim_cuda_templateIlEESt5tupleIJNSF_6TensorESK_SK_EERKSK_lbbbEUlllE0_EEPmJS9_EEE10hipError_tPvRmT3_T4_T5_T6_T7_T9_mT8_P12ihipStream_tbDpT10_ENKUlT_T0_E_clISt17integral_constantIbLb0EES19_IbLb1EEEEDaS15_S16_EUlS15_E_NS1_11comp_targetILNS1_3genE3ELNS1_11target_archE908ELNS1_3gpuE7ELNS1_3repE0EEENS1_30default_config_static_selectorELNS0_4arch9wavefront6targetE0EEEvT1_ ; -- Begin function _ZN7rocprim17ROCPRIM_400000_NS6detail17trampoline_kernelINS0_14default_configENS1_25partition_config_selectorILNS1_17partition_subalgoE9EllbEEZZNS1_14partition_implILS5_9ELb0ES3_jPlS8_PNS0_10empty_typeENS0_5tupleIJS8_S9_EEENSB_IJS8_SA_EEENS0_18inequality_wrapperIZN2at6native12_GLOBAL__N_124unique_dim_cuda_templateIlEESt5tupleIJNSF_6TensorESK_SK_EERKSK_lbbbEUlllE0_EEPmJS9_EEE10hipError_tPvRmT3_T4_T5_T6_T7_T9_mT8_P12ihipStream_tbDpT10_ENKUlT_T0_E_clISt17integral_constantIbLb0EES19_IbLb1EEEEDaS15_S16_EUlS15_E_NS1_11comp_targetILNS1_3genE3ELNS1_11target_archE908ELNS1_3gpuE7ELNS1_3repE0EEENS1_30default_config_static_selectorELNS0_4arch9wavefront6targetE0EEEvT1_
	.p2align	8
	.type	_ZN7rocprim17ROCPRIM_400000_NS6detail17trampoline_kernelINS0_14default_configENS1_25partition_config_selectorILNS1_17partition_subalgoE9EllbEEZZNS1_14partition_implILS5_9ELb0ES3_jPlS8_PNS0_10empty_typeENS0_5tupleIJS8_S9_EEENSB_IJS8_SA_EEENS0_18inequality_wrapperIZN2at6native12_GLOBAL__N_124unique_dim_cuda_templateIlEESt5tupleIJNSF_6TensorESK_SK_EERKSK_lbbbEUlllE0_EEPmJS9_EEE10hipError_tPvRmT3_T4_T5_T6_T7_T9_mT8_P12ihipStream_tbDpT10_ENKUlT_T0_E_clISt17integral_constantIbLb0EES19_IbLb1EEEEDaS15_S16_EUlS15_E_NS1_11comp_targetILNS1_3genE3ELNS1_11target_archE908ELNS1_3gpuE7ELNS1_3repE0EEENS1_30default_config_static_selectorELNS0_4arch9wavefront6targetE0EEEvT1_,@function
_ZN7rocprim17ROCPRIM_400000_NS6detail17trampoline_kernelINS0_14default_configENS1_25partition_config_selectorILNS1_17partition_subalgoE9EllbEEZZNS1_14partition_implILS5_9ELb0ES3_jPlS8_PNS0_10empty_typeENS0_5tupleIJS8_S9_EEENSB_IJS8_SA_EEENS0_18inequality_wrapperIZN2at6native12_GLOBAL__N_124unique_dim_cuda_templateIlEESt5tupleIJNSF_6TensorESK_SK_EERKSK_lbbbEUlllE0_EEPmJS9_EEE10hipError_tPvRmT3_T4_T5_T6_T7_T9_mT8_P12ihipStream_tbDpT10_ENKUlT_T0_E_clISt17integral_constantIbLb0EES19_IbLb1EEEEDaS15_S16_EUlS15_E_NS1_11comp_targetILNS1_3genE3ELNS1_11target_archE908ELNS1_3gpuE7ELNS1_3repE0EEENS1_30default_config_static_selectorELNS0_4arch9wavefront6targetE0EEEvT1_: ; @_ZN7rocprim17ROCPRIM_400000_NS6detail17trampoline_kernelINS0_14default_configENS1_25partition_config_selectorILNS1_17partition_subalgoE9EllbEEZZNS1_14partition_implILS5_9ELb0ES3_jPlS8_PNS0_10empty_typeENS0_5tupleIJS8_S9_EEENSB_IJS8_SA_EEENS0_18inequality_wrapperIZN2at6native12_GLOBAL__N_124unique_dim_cuda_templateIlEESt5tupleIJNSF_6TensorESK_SK_EERKSK_lbbbEUlllE0_EEPmJS9_EEE10hipError_tPvRmT3_T4_T5_T6_T7_T9_mT8_P12ihipStream_tbDpT10_ENKUlT_T0_E_clISt17integral_constantIbLb0EES19_IbLb1EEEEDaS15_S16_EUlS15_E_NS1_11comp_targetILNS1_3genE3ELNS1_11target_archE908ELNS1_3gpuE7ELNS1_3repE0EEENS1_30default_config_static_selectorELNS0_4arch9wavefront6targetE0EEEvT1_
; %bb.0:
	.section	.rodata,"a",@progbits
	.p2align	6, 0x0
	.amdhsa_kernel _ZN7rocprim17ROCPRIM_400000_NS6detail17trampoline_kernelINS0_14default_configENS1_25partition_config_selectorILNS1_17partition_subalgoE9EllbEEZZNS1_14partition_implILS5_9ELb0ES3_jPlS8_PNS0_10empty_typeENS0_5tupleIJS8_S9_EEENSB_IJS8_SA_EEENS0_18inequality_wrapperIZN2at6native12_GLOBAL__N_124unique_dim_cuda_templateIlEESt5tupleIJNSF_6TensorESK_SK_EERKSK_lbbbEUlllE0_EEPmJS9_EEE10hipError_tPvRmT3_T4_T5_T6_T7_T9_mT8_P12ihipStream_tbDpT10_ENKUlT_T0_E_clISt17integral_constantIbLb0EES19_IbLb1EEEEDaS15_S16_EUlS15_E_NS1_11comp_targetILNS1_3genE3ELNS1_11target_archE908ELNS1_3gpuE7ELNS1_3repE0EEENS1_30default_config_static_selectorELNS0_4arch9wavefront6targetE0EEEvT1_
		.amdhsa_group_segment_fixed_size 0
		.amdhsa_private_segment_fixed_size 0
		.amdhsa_kernarg_size 136
		.amdhsa_user_sgpr_count 15
		.amdhsa_user_sgpr_dispatch_ptr 0
		.amdhsa_user_sgpr_queue_ptr 0
		.amdhsa_user_sgpr_kernarg_segment_ptr 1
		.amdhsa_user_sgpr_dispatch_id 0
		.amdhsa_user_sgpr_private_segment_size 0
		.amdhsa_wavefront_size32 1
		.amdhsa_uses_dynamic_stack 0
		.amdhsa_enable_private_segment 0
		.amdhsa_system_sgpr_workgroup_id_x 1
		.amdhsa_system_sgpr_workgroup_id_y 0
		.amdhsa_system_sgpr_workgroup_id_z 0
		.amdhsa_system_sgpr_workgroup_info 0
		.amdhsa_system_vgpr_workitem_id 0
		.amdhsa_next_free_vgpr 1
		.amdhsa_next_free_sgpr 1
		.amdhsa_reserve_vcc 0
		.amdhsa_float_round_mode_32 0
		.amdhsa_float_round_mode_16_64 0
		.amdhsa_float_denorm_mode_32 3
		.amdhsa_float_denorm_mode_16_64 3
		.amdhsa_dx10_clamp 1
		.amdhsa_ieee_mode 1
		.amdhsa_fp16_overflow 0
		.amdhsa_workgroup_processor_mode 1
		.amdhsa_memory_ordered 1
		.amdhsa_forward_progress 0
		.amdhsa_shared_vgpr_count 0
		.amdhsa_exception_fp_ieee_invalid_op 0
		.amdhsa_exception_fp_denorm_src 0
		.amdhsa_exception_fp_ieee_div_zero 0
		.amdhsa_exception_fp_ieee_overflow 0
		.amdhsa_exception_fp_ieee_underflow 0
		.amdhsa_exception_fp_ieee_inexact 0
		.amdhsa_exception_int_div_zero 0
	.end_amdhsa_kernel
	.section	.text._ZN7rocprim17ROCPRIM_400000_NS6detail17trampoline_kernelINS0_14default_configENS1_25partition_config_selectorILNS1_17partition_subalgoE9EllbEEZZNS1_14partition_implILS5_9ELb0ES3_jPlS8_PNS0_10empty_typeENS0_5tupleIJS8_S9_EEENSB_IJS8_SA_EEENS0_18inequality_wrapperIZN2at6native12_GLOBAL__N_124unique_dim_cuda_templateIlEESt5tupleIJNSF_6TensorESK_SK_EERKSK_lbbbEUlllE0_EEPmJS9_EEE10hipError_tPvRmT3_T4_T5_T6_T7_T9_mT8_P12ihipStream_tbDpT10_ENKUlT_T0_E_clISt17integral_constantIbLb0EES19_IbLb1EEEEDaS15_S16_EUlS15_E_NS1_11comp_targetILNS1_3genE3ELNS1_11target_archE908ELNS1_3gpuE7ELNS1_3repE0EEENS1_30default_config_static_selectorELNS0_4arch9wavefront6targetE0EEEvT1_,"axG",@progbits,_ZN7rocprim17ROCPRIM_400000_NS6detail17trampoline_kernelINS0_14default_configENS1_25partition_config_selectorILNS1_17partition_subalgoE9EllbEEZZNS1_14partition_implILS5_9ELb0ES3_jPlS8_PNS0_10empty_typeENS0_5tupleIJS8_S9_EEENSB_IJS8_SA_EEENS0_18inequality_wrapperIZN2at6native12_GLOBAL__N_124unique_dim_cuda_templateIlEESt5tupleIJNSF_6TensorESK_SK_EERKSK_lbbbEUlllE0_EEPmJS9_EEE10hipError_tPvRmT3_T4_T5_T6_T7_T9_mT8_P12ihipStream_tbDpT10_ENKUlT_T0_E_clISt17integral_constantIbLb0EES19_IbLb1EEEEDaS15_S16_EUlS15_E_NS1_11comp_targetILNS1_3genE3ELNS1_11target_archE908ELNS1_3gpuE7ELNS1_3repE0EEENS1_30default_config_static_selectorELNS0_4arch9wavefront6targetE0EEEvT1_,comdat
.Lfunc_end622:
	.size	_ZN7rocprim17ROCPRIM_400000_NS6detail17trampoline_kernelINS0_14default_configENS1_25partition_config_selectorILNS1_17partition_subalgoE9EllbEEZZNS1_14partition_implILS5_9ELb0ES3_jPlS8_PNS0_10empty_typeENS0_5tupleIJS8_S9_EEENSB_IJS8_SA_EEENS0_18inequality_wrapperIZN2at6native12_GLOBAL__N_124unique_dim_cuda_templateIlEESt5tupleIJNSF_6TensorESK_SK_EERKSK_lbbbEUlllE0_EEPmJS9_EEE10hipError_tPvRmT3_T4_T5_T6_T7_T9_mT8_P12ihipStream_tbDpT10_ENKUlT_T0_E_clISt17integral_constantIbLb0EES19_IbLb1EEEEDaS15_S16_EUlS15_E_NS1_11comp_targetILNS1_3genE3ELNS1_11target_archE908ELNS1_3gpuE7ELNS1_3repE0EEENS1_30default_config_static_selectorELNS0_4arch9wavefront6targetE0EEEvT1_, .Lfunc_end622-_ZN7rocprim17ROCPRIM_400000_NS6detail17trampoline_kernelINS0_14default_configENS1_25partition_config_selectorILNS1_17partition_subalgoE9EllbEEZZNS1_14partition_implILS5_9ELb0ES3_jPlS8_PNS0_10empty_typeENS0_5tupleIJS8_S9_EEENSB_IJS8_SA_EEENS0_18inequality_wrapperIZN2at6native12_GLOBAL__N_124unique_dim_cuda_templateIlEESt5tupleIJNSF_6TensorESK_SK_EERKSK_lbbbEUlllE0_EEPmJS9_EEE10hipError_tPvRmT3_T4_T5_T6_T7_T9_mT8_P12ihipStream_tbDpT10_ENKUlT_T0_E_clISt17integral_constantIbLb0EES19_IbLb1EEEEDaS15_S16_EUlS15_E_NS1_11comp_targetILNS1_3genE3ELNS1_11target_archE908ELNS1_3gpuE7ELNS1_3repE0EEENS1_30default_config_static_selectorELNS0_4arch9wavefront6targetE0EEEvT1_
                                        ; -- End function
	.section	.AMDGPU.csdata,"",@progbits
; Kernel info:
; codeLenInByte = 0
; NumSgprs: 0
; NumVgprs: 0
; ScratchSize: 0
; MemoryBound: 0
; FloatMode: 240
; IeeeMode: 1
; LDSByteSize: 0 bytes/workgroup (compile time only)
; SGPRBlocks: 0
; VGPRBlocks: 0
; NumSGPRsForWavesPerEU: 1
; NumVGPRsForWavesPerEU: 1
; Occupancy: 16
; WaveLimiterHint : 0
; COMPUTE_PGM_RSRC2:SCRATCH_EN: 0
; COMPUTE_PGM_RSRC2:USER_SGPR: 15
; COMPUTE_PGM_RSRC2:TRAP_HANDLER: 0
; COMPUTE_PGM_RSRC2:TGID_X_EN: 1
; COMPUTE_PGM_RSRC2:TGID_Y_EN: 0
; COMPUTE_PGM_RSRC2:TGID_Z_EN: 0
; COMPUTE_PGM_RSRC2:TIDIG_COMP_CNT: 0
	.section	.text._ZN7rocprim17ROCPRIM_400000_NS6detail17trampoline_kernelINS0_14default_configENS1_25partition_config_selectorILNS1_17partition_subalgoE9EllbEEZZNS1_14partition_implILS5_9ELb0ES3_jPlS8_PNS0_10empty_typeENS0_5tupleIJS8_S9_EEENSB_IJS8_SA_EEENS0_18inequality_wrapperIZN2at6native12_GLOBAL__N_124unique_dim_cuda_templateIlEESt5tupleIJNSF_6TensorESK_SK_EERKSK_lbbbEUlllE0_EEPmJS9_EEE10hipError_tPvRmT3_T4_T5_T6_T7_T9_mT8_P12ihipStream_tbDpT10_ENKUlT_T0_E_clISt17integral_constantIbLb0EES19_IbLb1EEEEDaS15_S16_EUlS15_E_NS1_11comp_targetILNS1_3genE2ELNS1_11target_archE906ELNS1_3gpuE6ELNS1_3repE0EEENS1_30default_config_static_selectorELNS0_4arch9wavefront6targetE0EEEvT1_,"axG",@progbits,_ZN7rocprim17ROCPRIM_400000_NS6detail17trampoline_kernelINS0_14default_configENS1_25partition_config_selectorILNS1_17partition_subalgoE9EllbEEZZNS1_14partition_implILS5_9ELb0ES3_jPlS8_PNS0_10empty_typeENS0_5tupleIJS8_S9_EEENSB_IJS8_SA_EEENS0_18inequality_wrapperIZN2at6native12_GLOBAL__N_124unique_dim_cuda_templateIlEESt5tupleIJNSF_6TensorESK_SK_EERKSK_lbbbEUlllE0_EEPmJS9_EEE10hipError_tPvRmT3_T4_T5_T6_T7_T9_mT8_P12ihipStream_tbDpT10_ENKUlT_T0_E_clISt17integral_constantIbLb0EES19_IbLb1EEEEDaS15_S16_EUlS15_E_NS1_11comp_targetILNS1_3genE2ELNS1_11target_archE906ELNS1_3gpuE6ELNS1_3repE0EEENS1_30default_config_static_selectorELNS0_4arch9wavefront6targetE0EEEvT1_,comdat
	.globl	_ZN7rocprim17ROCPRIM_400000_NS6detail17trampoline_kernelINS0_14default_configENS1_25partition_config_selectorILNS1_17partition_subalgoE9EllbEEZZNS1_14partition_implILS5_9ELb0ES3_jPlS8_PNS0_10empty_typeENS0_5tupleIJS8_S9_EEENSB_IJS8_SA_EEENS0_18inequality_wrapperIZN2at6native12_GLOBAL__N_124unique_dim_cuda_templateIlEESt5tupleIJNSF_6TensorESK_SK_EERKSK_lbbbEUlllE0_EEPmJS9_EEE10hipError_tPvRmT3_T4_T5_T6_T7_T9_mT8_P12ihipStream_tbDpT10_ENKUlT_T0_E_clISt17integral_constantIbLb0EES19_IbLb1EEEEDaS15_S16_EUlS15_E_NS1_11comp_targetILNS1_3genE2ELNS1_11target_archE906ELNS1_3gpuE6ELNS1_3repE0EEENS1_30default_config_static_selectorELNS0_4arch9wavefront6targetE0EEEvT1_ ; -- Begin function _ZN7rocprim17ROCPRIM_400000_NS6detail17trampoline_kernelINS0_14default_configENS1_25partition_config_selectorILNS1_17partition_subalgoE9EllbEEZZNS1_14partition_implILS5_9ELb0ES3_jPlS8_PNS0_10empty_typeENS0_5tupleIJS8_S9_EEENSB_IJS8_SA_EEENS0_18inequality_wrapperIZN2at6native12_GLOBAL__N_124unique_dim_cuda_templateIlEESt5tupleIJNSF_6TensorESK_SK_EERKSK_lbbbEUlllE0_EEPmJS9_EEE10hipError_tPvRmT3_T4_T5_T6_T7_T9_mT8_P12ihipStream_tbDpT10_ENKUlT_T0_E_clISt17integral_constantIbLb0EES19_IbLb1EEEEDaS15_S16_EUlS15_E_NS1_11comp_targetILNS1_3genE2ELNS1_11target_archE906ELNS1_3gpuE6ELNS1_3repE0EEENS1_30default_config_static_selectorELNS0_4arch9wavefront6targetE0EEEvT1_
	.p2align	8
	.type	_ZN7rocprim17ROCPRIM_400000_NS6detail17trampoline_kernelINS0_14default_configENS1_25partition_config_selectorILNS1_17partition_subalgoE9EllbEEZZNS1_14partition_implILS5_9ELb0ES3_jPlS8_PNS0_10empty_typeENS0_5tupleIJS8_S9_EEENSB_IJS8_SA_EEENS0_18inequality_wrapperIZN2at6native12_GLOBAL__N_124unique_dim_cuda_templateIlEESt5tupleIJNSF_6TensorESK_SK_EERKSK_lbbbEUlllE0_EEPmJS9_EEE10hipError_tPvRmT3_T4_T5_T6_T7_T9_mT8_P12ihipStream_tbDpT10_ENKUlT_T0_E_clISt17integral_constantIbLb0EES19_IbLb1EEEEDaS15_S16_EUlS15_E_NS1_11comp_targetILNS1_3genE2ELNS1_11target_archE906ELNS1_3gpuE6ELNS1_3repE0EEENS1_30default_config_static_selectorELNS0_4arch9wavefront6targetE0EEEvT1_,@function
_ZN7rocprim17ROCPRIM_400000_NS6detail17trampoline_kernelINS0_14default_configENS1_25partition_config_selectorILNS1_17partition_subalgoE9EllbEEZZNS1_14partition_implILS5_9ELb0ES3_jPlS8_PNS0_10empty_typeENS0_5tupleIJS8_S9_EEENSB_IJS8_SA_EEENS0_18inequality_wrapperIZN2at6native12_GLOBAL__N_124unique_dim_cuda_templateIlEESt5tupleIJNSF_6TensorESK_SK_EERKSK_lbbbEUlllE0_EEPmJS9_EEE10hipError_tPvRmT3_T4_T5_T6_T7_T9_mT8_P12ihipStream_tbDpT10_ENKUlT_T0_E_clISt17integral_constantIbLb0EES19_IbLb1EEEEDaS15_S16_EUlS15_E_NS1_11comp_targetILNS1_3genE2ELNS1_11target_archE906ELNS1_3gpuE6ELNS1_3repE0EEENS1_30default_config_static_selectorELNS0_4arch9wavefront6targetE0EEEvT1_: ; @_ZN7rocprim17ROCPRIM_400000_NS6detail17trampoline_kernelINS0_14default_configENS1_25partition_config_selectorILNS1_17partition_subalgoE9EllbEEZZNS1_14partition_implILS5_9ELb0ES3_jPlS8_PNS0_10empty_typeENS0_5tupleIJS8_S9_EEENSB_IJS8_SA_EEENS0_18inequality_wrapperIZN2at6native12_GLOBAL__N_124unique_dim_cuda_templateIlEESt5tupleIJNSF_6TensorESK_SK_EERKSK_lbbbEUlllE0_EEPmJS9_EEE10hipError_tPvRmT3_T4_T5_T6_T7_T9_mT8_P12ihipStream_tbDpT10_ENKUlT_T0_E_clISt17integral_constantIbLb0EES19_IbLb1EEEEDaS15_S16_EUlS15_E_NS1_11comp_targetILNS1_3genE2ELNS1_11target_archE906ELNS1_3gpuE6ELNS1_3repE0EEENS1_30default_config_static_selectorELNS0_4arch9wavefront6targetE0EEEvT1_
; %bb.0:
	.section	.rodata,"a",@progbits
	.p2align	6, 0x0
	.amdhsa_kernel _ZN7rocprim17ROCPRIM_400000_NS6detail17trampoline_kernelINS0_14default_configENS1_25partition_config_selectorILNS1_17partition_subalgoE9EllbEEZZNS1_14partition_implILS5_9ELb0ES3_jPlS8_PNS0_10empty_typeENS0_5tupleIJS8_S9_EEENSB_IJS8_SA_EEENS0_18inequality_wrapperIZN2at6native12_GLOBAL__N_124unique_dim_cuda_templateIlEESt5tupleIJNSF_6TensorESK_SK_EERKSK_lbbbEUlllE0_EEPmJS9_EEE10hipError_tPvRmT3_T4_T5_T6_T7_T9_mT8_P12ihipStream_tbDpT10_ENKUlT_T0_E_clISt17integral_constantIbLb0EES19_IbLb1EEEEDaS15_S16_EUlS15_E_NS1_11comp_targetILNS1_3genE2ELNS1_11target_archE906ELNS1_3gpuE6ELNS1_3repE0EEENS1_30default_config_static_selectorELNS0_4arch9wavefront6targetE0EEEvT1_
		.amdhsa_group_segment_fixed_size 0
		.amdhsa_private_segment_fixed_size 0
		.amdhsa_kernarg_size 136
		.amdhsa_user_sgpr_count 15
		.amdhsa_user_sgpr_dispatch_ptr 0
		.amdhsa_user_sgpr_queue_ptr 0
		.amdhsa_user_sgpr_kernarg_segment_ptr 1
		.amdhsa_user_sgpr_dispatch_id 0
		.amdhsa_user_sgpr_private_segment_size 0
		.amdhsa_wavefront_size32 1
		.amdhsa_uses_dynamic_stack 0
		.amdhsa_enable_private_segment 0
		.amdhsa_system_sgpr_workgroup_id_x 1
		.amdhsa_system_sgpr_workgroup_id_y 0
		.amdhsa_system_sgpr_workgroup_id_z 0
		.amdhsa_system_sgpr_workgroup_info 0
		.amdhsa_system_vgpr_workitem_id 0
		.amdhsa_next_free_vgpr 1
		.amdhsa_next_free_sgpr 1
		.amdhsa_reserve_vcc 0
		.amdhsa_float_round_mode_32 0
		.amdhsa_float_round_mode_16_64 0
		.amdhsa_float_denorm_mode_32 3
		.amdhsa_float_denorm_mode_16_64 3
		.amdhsa_dx10_clamp 1
		.amdhsa_ieee_mode 1
		.amdhsa_fp16_overflow 0
		.amdhsa_workgroup_processor_mode 1
		.amdhsa_memory_ordered 1
		.amdhsa_forward_progress 0
		.amdhsa_shared_vgpr_count 0
		.amdhsa_exception_fp_ieee_invalid_op 0
		.amdhsa_exception_fp_denorm_src 0
		.amdhsa_exception_fp_ieee_div_zero 0
		.amdhsa_exception_fp_ieee_overflow 0
		.amdhsa_exception_fp_ieee_underflow 0
		.amdhsa_exception_fp_ieee_inexact 0
		.amdhsa_exception_int_div_zero 0
	.end_amdhsa_kernel
	.section	.text._ZN7rocprim17ROCPRIM_400000_NS6detail17trampoline_kernelINS0_14default_configENS1_25partition_config_selectorILNS1_17partition_subalgoE9EllbEEZZNS1_14partition_implILS5_9ELb0ES3_jPlS8_PNS0_10empty_typeENS0_5tupleIJS8_S9_EEENSB_IJS8_SA_EEENS0_18inequality_wrapperIZN2at6native12_GLOBAL__N_124unique_dim_cuda_templateIlEESt5tupleIJNSF_6TensorESK_SK_EERKSK_lbbbEUlllE0_EEPmJS9_EEE10hipError_tPvRmT3_T4_T5_T6_T7_T9_mT8_P12ihipStream_tbDpT10_ENKUlT_T0_E_clISt17integral_constantIbLb0EES19_IbLb1EEEEDaS15_S16_EUlS15_E_NS1_11comp_targetILNS1_3genE2ELNS1_11target_archE906ELNS1_3gpuE6ELNS1_3repE0EEENS1_30default_config_static_selectorELNS0_4arch9wavefront6targetE0EEEvT1_,"axG",@progbits,_ZN7rocprim17ROCPRIM_400000_NS6detail17trampoline_kernelINS0_14default_configENS1_25partition_config_selectorILNS1_17partition_subalgoE9EllbEEZZNS1_14partition_implILS5_9ELb0ES3_jPlS8_PNS0_10empty_typeENS0_5tupleIJS8_S9_EEENSB_IJS8_SA_EEENS0_18inequality_wrapperIZN2at6native12_GLOBAL__N_124unique_dim_cuda_templateIlEESt5tupleIJNSF_6TensorESK_SK_EERKSK_lbbbEUlllE0_EEPmJS9_EEE10hipError_tPvRmT3_T4_T5_T6_T7_T9_mT8_P12ihipStream_tbDpT10_ENKUlT_T0_E_clISt17integral_constantIbLb0EES19_IbLb1EEEEDaS15_S16_EUlS15_E_NS1_11comp_targetILNS1_3genE2ELNS1_11target_archE906ELNS1_3gpuE6ELNS1_3repE0EEENS1_30default_config_static_selectorELNS0_4arch9wavefront6targetE0EEEvT1_,comdat
.Lfunc_end623:
	.size	_ZN7rocprim17ROCPRIM_400000_NS6detail17trampoline_kernelINS0_14default_configENS1_25partition_config_selectorILNS1_17partition_subalgoE9EllbEEZZNS1_14partition_implILS5_9ELb0ES3_jPlS8_PNS0_10empty_typeENS0_5tupleIJS8_S9_EEENSB_IJS8_SA_EEENS0_18inequality_wrapperIZN2at6native12_GLOBAL__N_124unique_dim_cuda_templateIlEESt5tupleIJNSF_6TensorESK_SK_EERKSK_lbbbEUlllE0_EEPmJS9_EEE10hipError_tPvRmT3_T4_T5_T6_T7_T9_mT8_P12ihipStream_tbDpT10_ENKUlT_T0_E_clISt17integral_constantIbLb0EES19_IbLb1EEEEDaS15_S16_EUlS15_E_NS1_11comp_targetILNS1_3genE2ELNS1_11target_archE906ELNS1_3gpuE6ELNS1_3repE0EEENS1_30default_config_static_selectorELNS0_4arch9wavefront6targetE0EEEvT1_, .Lfunc_end623-_ZN7rocprim17ROCPRIM_400000_NS6detail17trampoline_kernelINS0_14default_configENS1_25partition_config_selectorILNS1_17partition_subalgoE9EllbEEZZNS1_14partition_implILS5_9ELb0ES3_jPlS8_PNS0_10empty_typeENS0_5tupleIJS8_S9_EEENSB_IJS8_SA_EEENS0_18inequality_wrapperIZN2at6native12_GLOBAL__N_124unique_dim_cuda_templateIlEESt5tupleIJNSF_6TensorESK_SK_EERKSK_lbbbEUlllE0_EEPmJS9_EEE10hipError_tPvRmT3_T4_T5_T6_T7_T9_mT8_P12ihipStream_tbDpT10_ENKUlT_T0_E_clISt17integral_constantIbLb0EES19_IbLb1EEEEDaS15_S16_EUlS15_E_NS1_11comp_targetILNS1_3genE2ELNS1_11target_archE906ELNS1_3gpuE6ELNS1_3repE0EEENS1_30default_config_static_selectorELNS0_4arch9wavefront6targetE0EEEvT1_
                                        ; -- End function
	.section	.AMDGPU.csdata,"",@progbits
; Kernel info:
; codeLenInByte = 0
; NumSgprs: 0
; NumVgprs: 0
; ScratchSize: 0
; MemoryBound: 0
; FloatMode: 240
; IeeeMode: 1
; LDSByteSize: 0 bytes/workgroup (compile time only)
; SGPRBlocks: 0
; VGPRBlocks: 0
; NumSGPRsForWavesPerEU: 1
; NumVGPRsForWavesPerEU: 1
; Occupancy: 15
; WaveLimiterHint : 0
; COMPUTE_PGM_RSRC2:SCRATCH_EN: 0
; COMPUTE_PGM_RSRC2:USER_SGPR: 15
; COMPUTE_PGM_RSRC2:TRAP_HANDLER: 0
; COMPUTE_PGM_RSRC2:TGID_X_EN: 1
; COMPUTE_PGM_RSRC2:TGID_Y_EN: 0
; COMPUTE_PGM_RSRC2:TGID_Z_EN: 0
; COMPUTE_PGM_RSRC2:TIDIG_COMP_CNT: 0
	.section	.text._ZN7rocprim17ROCPRIM_400000_NS6detail17trampoline_kernelINS0_14default_configENS1_25partition_config_selectorILNS1_17partition_subalgoE9EllbEEZZNS1_14partition_implILS5_9ELb0ES3_jPlS8_PNS0_10empty_typeENS0_5tupleIJS8_S9_EEENSB_IJS8_SA_EEENS0_18inequality_wrapperIZN2at6native12_GLOBAL__N_124unique_dim_cuda_templateIlEESt5tupleIJNSF_6TensorESK_SK_EERKSK_lbbbEUlllE0_EEPmJS9_EEE10hipError_tPvRmT3_T4_T5_T6_T7_T9_mT8_P12ihipStream_tbDpT10_ENKUlT_T0_E_clISt17integral_constantIbLb0EES19_IbLb1EEEEDaS15_S16_EUlS15_E_NS1_11comp_targetILNS1_3genE10ELNS1_11target_archE1200ELNS1_3gpuE4ELNS1_3repE0EEENS1_30default_config_static_selectorELNS0_4arch9wavefront6targetE0EEEvT1_,"axG",@progbits,_ZN7rocprim17ROCPRIM_400000_NS6detail17trampoline_kernelINS0_14default_configENS1_25partition_config_selectorILNS1_17partition_subalgoE9EllbEEZZNS1_14partition_implILS5_9ELb0ES3_jPlS8_PNS0_10empty_typeENS0_5tupleIJS8_S9_EEENSB_IJS8_SA_EEENS0_18inequality_wrapperIZN2at6native12_GLOBAL__N_124unique_dim_cuda_templateIlEESt5tupleIJNSF_6TensorESK_SK_EERKSK_lbbbEUlllE0_EEPmJS9_EEE10hipError_tPvRmT3_T4_T5_T6_T7_T9_mT8_P12ihipStream_tbDpT10_ENKUlT_T0_E_clISt17integral_constantIbLb0EES19_IbLb1EEEEDaS15_S16_EUlS15_E_NS1_11comp_targetILNS1_3genE10ELNS1_11target_archE1200ELNS1_3gpuE4ELNS1_3repE0EEENS1_30default_config_static_selectorELNS0_4arch9wavefront6targetE0EEEvT1_,comdat
	.globl	_ZN7rocprim17ROCPRIM_400000_NS6detail17trampoline_kernelINS0_14default_configENS1_25partition_config_selectorILNS1_17partition_subalgoE9EllbEEZZNS1_14partition_implILS5_9ELb0ES3_jPlS8_PNS0_10empty_typeENS0_5tupleIJS8_S9_EEENSB_IJS8_SA_EEENS0_18inequality_wrapperIZN2at6native12_GLOBAL__N_124unique_dim_cuda_templateIlEESt5tupleIJNSF_6TensorESK_SK_EERKSK_lbbbEUlllE0_EEPmJS9_EEE10hipError_tPvRmT3_T4_T5_T6_T7_T9_mT8_P12ihipStream_tbDpT10_ENKUlT_T0_E_clISt17integral_constantIbLb0EES19_IbLb1EEEEDaS15_S16_EUlS15_E_NS1_11comp_targetILNS1_3genE10ELNS1_11target_archE1200ELNS1_3gpuE4ELNS1_3repE0EEENS1_30default_config_static_selectorELNS0_4arch9wavefront6targetE0EEEvT1_ ; -- Begin function _ZN7rocprim17ROCPRIM_400000_NS6detail17trampoline_kernelINS0_14default_configENS1_25partition_config_selectorILNS1_17partition_subalgoE9EllbEEZZNS1_14partition_implILS5_9ELb0ES3_jPlS8_PNS0_10empty_typeENS0_5tupleIJS8_S9_EEENSB_IJS8_SA_EEENS0_18inequality_wrapperIZN2at6native12_GLOBAL__N_124unique_dim_cuda_templateIlEESt5tupleIJNSF_6TensorESK_SK_EERKSK_lbbbEUlllE0_EEPmJS9_EEE10hipError_tPvRmT3_T4_T5_T6_T7_T9_mT8_P12ihipStream_tbDpT10_ENKUlT_T0_E_clISt17integral_constantIbLb0EES19_IbLb1EEEEDaS15_S16_EUlS15_E_NS1_11comp_targetILNS1_3genE10ELNS1_11target_archE1200ELNS1_3gpuE4ELNS1_3repE0EEENS1_30default_config_static_selectorELNS0_4arch9wavefront6targetE0EEEvT1_
	.p2align	8
	.type	_ZN7rocprim17ROCPRIM_400000_NS6detail17trampoline_kernelINS0_14default_configENS1_25partition_config_selectorILNS1_17partition_subalgoE9EllbEEZZNS1_14partition_implILS5_9ELb0ES3_jPlS8_PNS0_10empty_typeENS0_5tupleIJS8_S9_EEENSB_IJS8_SA_EEENS0_18inequality_wrapperIZN2at6native12_GLOBAL__N_124unique_dim_cuda_templateIlEESt5tupleIJNSF_6TensorESK_SK_EERKSK_lbbbEUlllE0_EEPmJS9_EEE10hipError_tPvRmT3_T4_T5_T6_T7_T9_mT8_P12ihipStream_tbDpT10_ENKUlT_T0_E_clISt17integral_constantIbLb0EES19_IbLb1EEEEDaS15_S16_EUlS15_E_NS1_11comp_targetILNS1_3genE10ELNS1_11target_archE1200ELNS1_3gpuE4ELNS1_3repE0EEENS1_30default_config_static_selectorELNS0_4arch9wavefront6targetE0EEEvT1_,@function
_ZN7rocprim17ROCPRIM_400000_NS6detail17trampoline_kernelINS0_14default_configENS1_25partition_config_selectorILNS1_17partition_subalgoE9EllbEEZZNS1_14partition_implILS5_9ELb0ES3_jPlS8_PNS0_10empty_typeENS0_5tupleIJS8_S9_EEENSB_IJS8_SA_EEENS0_18inequality_wrapperIZN2at6native12_GLOBAL__N_124unique_dim_cuda_templateIlEESt5tupleIJNSF_6TensorESK_SK_EERKSK_lbbbEUlllE0_EEPmJS9_EEE10hipError_tPvRmT3_T4_T5_T6_T7_T9_mT8_P12ihipStream_tbDpT10_ENKUlT_T0_E_clISt17integral_constantIbLb0EES19_IbLb1EEEEDaS15_S16_EUlS15_E_NS1_11comp_targetILNS1_3genE10ELNS1_11target_archE1200ELNS1_3gpuE4ELNS1_3repE0EEENS1_30default_config_static_selectorELNS0_4arch9wavefront6targetE0EEEvT1_: ; @_ZN7rocprim17ROCPRIM_400000_NS6detail17trampoline_kernelINS0_14default_configENS1_25partition_config_selectorILNS1_17partition_subalgoE9EllbEEZZNS1_14partition_implILS5_9ELb0ES3_jPlS8_PNS0_10empty_typeENS0_5tupleIJS8_S9_EEENSB_IJS8_SA_EEENS0_18inequality_wrapperIZN2at6native12_GLOBAL__N_124unique_dim_cuda_templateIlEESt5tupleIJNSF_6TensorESK_SK_EERKSK_lbbbEUlllE0_EEPmJS9_EEE10hipError_tPvRmT3_T4_T5_T6_T7_T9_mT8_P12ihipStream_tbDpT10_ENKUlT_T0_E_clISt17integral_constantIbLb0EES19_IbLb1EEEEDaS15_S16_EUlS15_E_NS1_11comp_targetILNS1_3genE10ELNS1_11target_archE1200ELNS1_3gpuE4ELNS1_3repE0EEENS1_30default_config_static_selectorELNS0_4arch9wavefront6targetE0EEEvT1_
; %bb.0:
	.section	.rodata,"a",@progbits
	.p2align	6, 0x0
	.amdhsa_kernel _ZN7rocprim17ROCPRIM_400000_NS6detail17trampoline_kernelINS0_14default_configENS1_25partition_config_selectorILNS1_17partition_subalgoE9EllbEEZZNS1_14partition_implILS5_9ELb0ES3_jPlS8_PNS0_10empty_typeENS0_5tupleIJS8_S9_EEENSB_IJS8_SA_EEENS0_18inequality_wrapperIZN2at6native12_GLOBAL__N_124unique_dim_cuda_templateIlEESt5tupleIJNSF_6TensorESK_SK_EERKSK_lbbbEUlllE0_EEPmJS9_EEE10hipError_tPvRmT3_T4_T5_T6_T7_T9_mT8_P12ihipStream_tbDpT10_ENKUlT_T0_E_clISt17integral_constantIbLb0EES19_IbLb1EEEEDaS15_S16_EUlS15_E_NS1_11comp_targetILNS1_3genE10ELNS1_11target_archE1200ELNS1_3gpuE4ELNS1_3repE0EEENS1_30default_config_static_selectorELNS0_4arch9wavefront6targetE0EEEvT1_
		.amdhsa_group_segment_fixed_size 0
		.amdhsa_private_segment_fixed_size 0
		.amdhsa_kernarg_size 136
		.amdhsa_user_sgpr_count 15
		.amdhsa_user_sgpr_dispatch_ptr 0
		.amdhsa_user_sgpr_queue_ptr 0
		.amdhsa_user_sgpr_kernarg_segment_ptr 1
		.amdhsa_user_sgpr_dispatch_id 0
		.amdhsa_user_sgpr_private_segment_size 0
		.amdhsa_wavefront_size32 1
		.amdhsa_uses_dynamic_stack 0
		.amdhsa_enable_private_segment 0
		.amdhsa_system_sgpr_workgroup_id_x 1
		.amdhsa_system_sgpr_workgroup_id_y 0
		.amdhsa_system_sgpr_workgroup_id_z 0
		.amdhsa_system_sgpr_workgroup_info 0
		.amdhsa_system_vgpr_workitem_id 0
		.amdhsa_next_free_vgpr 1
		.amdhsa_next_free_sgpr 1
		.amdhsa_reserve_vcc 0
		.amdhsa_float_round_mode_32 0
		.amdhsa_float_round_mode_16_64 0
		.amdhsa_float_denorm_mode_32 3
		.amdhsa_float_denorm_mode_16_64 3
		.amdhsa_dx10_clamp 1
		.amdhsa_ieee_mode 1
		.amdhsa_fp16_overflow 0
		.amdhsa_workgroup_processor_mode 1
		.amdhsa_memory_ordered 1
		.amdhsa_forward_progress 0
		.amdhsa_shared_vgpr_count 0
		.amdhsa_exception_fp_ieee_invalid_op 0
		.amdhsa_exception_fp_denorm_src 0
		.amdhsa_exception_fp_ieee_div_zero 0
		.amdhsa_exception_fp_ieee_overflow 0
		.amdhsa_exception_fp_ieee_underflow 0
		.amdhsa_exception_fp_ieee_inexact 0
		.amdhsa_exception_int_div_zero 0
	.end_amdhsa_kernel
	.section	.text._ZN7rocprim17ROCPRIM_400000_NS6detail17trampoline_kernelINS0_14default_configENS1_25partition_config_selectorILNS1_17partition_subalgoE9EllbEEZZNS1_14partition_implILS5_9ELb0ES3_jPlS8_PNS0_10empty_typeENS0_5tupleIJS8_S9_EEENSB_IJS8_SA_EEENS0_18inequality_wrapperIZN2at6native12_GLOBAL__N_124unique_dim_cuda_templateIlEESt5tupleIJNSF_6TensorESK_SK_EERKSK_lbbbEUlllE0_EEPmJS9_EEE10hipError_tPvRmT3_T4_T5_T6_T7_T9_mT8_P12ihipStream_tbDpT10_ENKUlT_T0_E_clISt17integral_constantIbLb0EES19_IbLb1EEEEDaS15_S16_EUlS15_E_NS1_11comp_targetILNS1_3genE10ELNS1_11target_archE1200ELNS1_3gpuE4ELNS1_3repE0EEENS1_30default_config_static_selectorELNS0_4arch9wavefront6targetE0EEEvT1_,"axG",@progbits,_ZN7rocprim17ROCPRIM_400000_NS6detail17trampoline_kernelINS0_14default_configENS1_25partition_config_selectorILNS1_17partition_subalgoE9EllbEEZZNS1_14partition_implILS5_9ELb0ES3_jPlS8_PNS0_10empty_typeENS0_5tupleIJS8_S9_EEENSB_IJS8_SA_EEENS0_18inequality_wrapperIZN2at6native12_GLOBAL__N_124unique_dim_cuda_templateIlEESt5tupleIJNSF_6TensorESK_SK_EERKSK_lbbbEUlllE0_EEPmJS9_EEE10hipError_tPvRmT3_T4_T5_T6_T7_T9_mT8_P12ihipStream_tbDpT10_ENKUlT_T0_E_clISt17integral_constantIbLb0EES19_IbLb1EEEEDaS15_S16_EUlS15_E_NS1_11comp_targetILNS1_3genE10ELNS1_11target_archE1200ELNS1_3gpuE4ELNS1_3repE0EEENS1_30default_config_static_selectorELNS0_4arch9wavefront6targetE0EEEvT1_,comdat
.Lfunc_end624:
	.size	_ZN7rocprim17ROCPRIM_400000_NS6detail17trampoline_kernelINS0_14default_configENS1_25partition_config_selectorILNS1_17partition_subalgoE9EllbEEZZNS1_14partition_implILS5_9ELb0ES3_jPlS8_PNS0_10empty_typeENS0_5tupleIJS8_S9_EEENSB_IJS8_SA_EEENS0_18inequality_wrapperIZN2at6native12_GLOBAL__N_124unique_dim_cuda_templateIlEESt5tupleIJNSF_6TensorESK_SK_EERKSK_lbbbEUlllE0_EEPmJS9_EEE10hipError_tPvRmT3_T4_T5_T6_T7_T9_mT8_P12ihipStream_tbDpT10_ENKUlT_T0_E_clISt17integral_constantIbLb0EES19_IbLb1EEEEDaS15_S16_EUlS15_E_NS1_11comp_targetILNS1_3genE10ELNS1_11target_archE1200ELNS1_3gpuE4ELNS1_3repE0EEENS1_30default_config_static_selectorELNS0_4arch9wavefront6targetE0EEEvT1_, .Lfunc_end624-_ZN7rocprim17ROCPRIM_400000_NS6detail17trampoline_kernelINS0_14default_configENS1_25partition_config_selectorILNS1_17partition_subalgoE9EllbEEZZNS1_14partition_implILS5_9ELb0ES3_jPlS8_PNS0_10empty_typeENS0_5tupleIJS8_S9_EEENSB_IJS8_SA_EEENS0_18inequality_wrapperIZN2at6native12_GLOBAL__N_124unique_dim_cuda_templateIlEESt5tupleIJNSF_6TensorESK_SK_EERKSK_lbbbEUlllE0_EEPmJS9_EEE10hipError_tPvRmT3_T4_T5_T6_T7_T9_mT8_P12ihipStream_tbDpT10_ENKUlT_T0_E_clISt17integral_constantIbLb0EES19_IbLb1EEEEDaS15_S16_EUlS15_E_NS1_11comp_targetILNS1_3genE10ELNS1_11target_archE1200ELNS1_3gpuE4ELNS1_3repE0EEENS1_30default_config_static_selectorELNS0_4arch9wavefront6targetE0EEEvT1_
                                        ; -- End function
	.section	.AMDGPU.csdata,"",@progbits
; Kernel info:
; codeLenInByte = 0
; NumSgprs: 0
; NumVgprs: 0
; ScratchSize: 0
; MemoryBound: 0
; FloatMode: 240
; IeeeMode: 1
; LDSByteSize: 0 bytes/workgroup (compile time only)
; SGPRBlocks: 0
; VGPRBlocks: 0
; NumSGPRsForWavesPerEU: 1
; NumVGPRsForWavesPerEU: 1
; Occupancy: 15
; WaveLimiterHint : 0
; COMPUTE_PGM_RSRC2:SCRATCH_EN: 0
; COMPUTE_PGM_RSRC2:USER_SGPR: 15
; COMPUTE_PGM_RSRC2:TRAP_HANDLER: 0
; COMPUTE_PGM_RSRC2:TGID_X_EN: 1
; COMPUTE_PGM_RSRC2:TGID_Y_EN: 0
; COMPUTE_PGM_RSRC2:TGID_Z_EN: 0
; COMPUTE_PGM_RSRC2:TIDIG_COMP_CNT: 0
	.section	.text._ZN7rocprim17ROCPRIM_400000_NS6detail17trampoline_kernelINS0_14default_configENS1_25partition_config_selectorILNS1_17partition_subalgoE9EllbEEZZNS1_14partition_implILS5_9ELb0ES3_jPlS8_PNS0_10empty_typeENS0_5tupleIJS8_S9_EEENSB_IJS8_SA_EEENS0_18inequality_wrapperIZN2at6native12_GLOBAL__N_124unique_dim_cuda_templateIlEESt5tupleIJNSF_6TensorESK_SK_EERKSK_lbbbEUlllE0_EEPmJS9_EEE10hipError_tPvRmT3_T4_T5_T6_T7_T9_mT8_P12ihipStream_tbDpT10_ENKUlT_T0_E_clISt17integral_constantIbLb0EES19_IbLb1EEEEDaS15_S16_EUlS15_E_NS1_11comp_targetILNS1_3genE9ELNS1_11target_archE1100ELNS1_3gpuE3ELNS1_3repE0EEENS1_30default_config_static_selectorELNS0_4arch9wavefront6targetE0EEEvT1_,"axG",@progbits,_ZN7rocprim17ROCPRIM_400000_NS6detail17trampoline_kernelINS0_14default_configENS1_25partition_config_selectorILNS1_17partition_subalgoE9EllbEEZZNS1_14partition_implILS5_9ELb0ES3_jPlS8_PNS0_10empty_typeENS0_5tupleIJS8_S9_EEENSB_IJS8_SA_EEENS0_18inequality_wrapperIZN2at6native12_GLOBAL__N_124unique_dim_cuda_templateIlEESt5tupleIJNSF_6TensorESK_SK_EERKSK_lbbbEUlllE0_EEPmJS9_EEE10hipError_tPvRmT3_T4_T5_T6_T7_T9_mT8_P12ihipStream_tbDpT10_ENKUlT_T0_E_clISt17integral_constantIbLb0EES19_IbLb1EEEEDaS15_S16_EUlS15_E_NS1_11comp_targetILNS1_3genE9ELNS1_11target_archE1100ELNS1_3gpuE3ELNS1_3repE0EEENS1_30default_config_static_selectorELNS0_4arch9wavefront6targetE0EEEvT1_,comdat
	.globl	_ZN7rocprim17ROCPRIM_400000_NS6detail17trampoline_kernelINS0_14default_configENS1_25partition_config_selectorILNS1_17partition_subalgoE9EllbEEZZNS1_14partition_implILS5_9ELb0ES3_jPlS8_PNS0_10empty_typeENS0_5tupleIJS8_S9_EEENSB_IJS8_SA_EEENS0_18inequality_wrapperIZN2at6native12_GLOBAL__N_124unique_dim_cuda_templateIlEESt5tupleIJNSF_6TensorESK_SK_EERKSK_lbbbEUlllE0_EEPmJS9_EEE10hipError_tPvRmT3_T4_T5_T6_T7_T9_mT8_P12ihipStream_tbDpT10_ENKUlT_T0_E_clISt17integral_constantIbLb0EES19_IbLb1EEEEDaS15_S16_EUlS15_E_NS1_11comp_targetILNS1_3genE9ELNS1_11target_archE1100ELNS1_3gpuE3ELNS1_3repE0EEENS1_30default_config_static_selectorELNS0_4arch9wavefront6targetE0EEEvT1_ ; -- Begin function _ZN7rocprim17ROCPRIM_400000_NS6detail17trampoline_kernelINS0_14default_configENS1_25partition_config_selectorILNS1_17partition_subalgoE9EllbEEZZNS1_14partition_implILS5_9ELb0ES3_jPlS8_PNS0_10empty_typeENS0_5tupleIJS8_S9_EEENSB_IJS8_SA_EEENS0_18inequality_wrapperIZN2at6native12_GLOBAL__N_124unique_dim_cuda_templateIlEESt5tupleIJNSF_6TensorESK_SK_EERKSK_lbbbEUlllE0_EEPmJS9_EEE10hipError_tPvRmT3_T4_T5_T6_T7_T9_mT8_P12ihipStream_tbDpT10_ENKUlT_T0_E_clISt17integral_constantIbLb0EES19_IbLb1EEEEDaS15_S16_EUlS15_E_NS1_11comp_targetILNS1_3genE9ELNS1_11target_archE1100ELNS1_3gpuE3ELNS1_3repE0EEENS1_30default_config_static_selectorELNS0_4arch9wavefront6targetE0EEEvT1_
	.p2align	8
	.type	_ZN7rocprim17ROCPRIM_400000_NS6detail17trampoline_kernelINS0_14default_configENS1_25partition_config_selectorILNS1_17partition_subalgoE9EllbEEZZNS1_14partition_implILS5_9ELb0ES3_jPlS8_PNS0_10empty_typeENS0_5tupleIJS8_S9_EEENSB_IJS8_SA_EEENS0_18inequality_wrapperIZN2at6native12_GLOBAL__N_124unique_dim_cuda_templateIlEESt5tupleIJNSF_6TensorESK_SK_EERKSK_lbbbEUlllE0_EEPmJS9_EEE10hipError_tPvRmT3_T4_T5_T6_T7_T9_mT8_P12ihipStream_tbDpT10_ENKUlT_T0_E_clISt17integral_constantIbLb0EES19_IbLb1EEEEDaS15_S16_EUlS15_E_NS1_11comp_targetILNS1_3genE9ELNS1_11target_archE1100ELNS1_3gpuE3ELNS1_3repE0EEENS1_30default_config_static_selectorELNS0_4arch9wavefront6targetE0EEEvT1_,@function
_ZN7rocprim17ROCPRIM_400000_NS6detail17trampoline_kernelINS0_14default_configENS1_25partition_config_selectorILNS1_17partition_subalgoE9EllbEEZZNS1_14partition_implILS5_9ELb0ES3_jPlS8_PNS0_10empty_typeENS0_5tupleIJS8_S9_EEENSB_IJS8_SA_EEENS0_18inequality_wrapperIZN2at6native12_GLOBAL__N_124unique_dim_cuda_templateIlEESt5tupleIJNSF_6TensorESK_SK_EERKSK_lbbbEUlllE0_EEPmJS9_EEE10hipError_tPvRmT3_T4_T5_T6_T7_T9_mT8_P12ihipStream_tbDpT10_ENKUlT_T0_E_clISt17integral_constantIbLb0EES19_IbLb1EEEEDaS15_S16_EUlS15_E_NS1_11comp_targetILNS1_3genE9ELNS1_11target_archE1100ELNS1_3gpuE3ELNS1_3repE0EEENS1_30default_config_static_selectorELNS0_4arch9wavefront6targetE0EEEvT1_: ; @_ZN7rocprim17ROCPRIM_400000_NS6detail17trampoline_kernelINS0_14default_configENS1_25partition_config_selectorILNS1_17partition_subalgoE9EllbEEZZNS1_14partition_implILS5_9ELb0ES3_jPlS8_PNS0_10empty_typeENS0_5tupleIJS8_S9_EEENSB_IJS8_SA_EEENS0_18inequality_wrapperIZN2at6native12_GLOBAL__N_124unique_dim_cuda_templateIlEESt5tupleIJNSF_6TensorESK_SK_EERKSK_lbbbEUlllE0_EEPmJS9_EEE10hipError_tPvRmT3_T4_T5_T6_T7_T9_mT8_P12ihipStream_tbDpT10_ENKUlT_T0_E_clISt17integral_constantIbLb0EES19_IbLb1EEEEDaS15_S16_EUlS15_E_NS1_11comp_targetILNS1_3genE9ELNS1_11target_archE1100ELNS1_3gpuE3ELNS1_3repE0EEENS1_30default_config_static_selectorELNS0_4arch9wavefront6targetE0EEEvT1_
; %bb.0:
	s_clause 0x3
	s_load_b128 s[4:7], s[0:1], 0x8
	s_load_b64 s[24:25], s[0:1], 0x18
	s_load_b256 s[8:15], s[0:1], 0x40
	s_load_b128 s[20:23], s[0:1], 0x60
	v_cmp_ne_u32_e64 s3, 0, v0
	v_cmp_eq_u32_e64 s2, 0, v0
	s_delay_alu instid0(VALU_DEP_1)
	s_and_saveexec_b32 s16, s2
	s_cbranch_execz .LBB625_4
; %bb.1:
	s_mov_b32 s18, exec_lo
	s_mov_b32 s17, exec_lo
	v_mbcnt_lo_u32_b32 v1, s18, 0
                                        ; implicit-def: $vgpr2
	s_delay_alu instid0(VALU_DEP_1)
	v_cmpx_eq_u32_e32 0, v1
	s_cbranch_execz .LBB625_3
; %bb.2:
	s_load_b64 s[26:27], s[0:1], 0x78
	s_bcnt1_i32_b32 s18, s18
	s_delay_alu instid0(SALU_CYCLE_1)
	v_dual_mov_b32 v2, 0 :: v_dual_mov_b32 v3, s18
	s_waitcnt lgkmcnt(0)
	global_atomic_add_u32 v2, v2, v3, s[26:27] glc
.LBB625_3:
	s_or_b32 exec_lo, exec_lo, s17
	s_waitcnt vmcnt(0)
	v_readfirstlane_b32 s17, v2
	s_delay_alu instid0(VALU_DEP_1)
	v_dual_mov_b32 v2, 0 :: v_dual_add_nc_u32 v1, s17, v1
	ds_store_b32 v2, v1
.LBB625_4:
	s_or_b32 exec_lo, exec_lo, s16
	v_mov_b32_e32 v1, 0
	s_clause 0x1
	s_load_b128 s[16:19], s[0:1], 0x28
	s_load_b32 s0, s[0:1], 0x70
	s_waitcnt lgkmcnt(0)
	s_barrier
	buffer_gl0_inv
	ds_load_b32 v3, v1
	s_waitcnt lgkmcnt(0)
	s_barrier
	buffer_gl0_inv
	global_load_b64 v[1:2], v1, s[10:11]
	s_lshl_b64 s[26:27], s[6:7], 3
	s_mov_b32 s1, 0
	s_add_u32 s10, s4, s26
	s_addc_u32 s11, s5, s27
	v_lshlrev_b32_e32 v55, 3, v0
	v_lshrrev_b32_e32 v34, 2, v0
	v_or_b32_e32 v39, 0x200, v0
	v_or_b32_e32 v38, 0x400, v0
	;; [unrolled: 1-line block ×5, first 2 shown]
	s_add_i32 s28, s0, -1
	s_lshl_b32 s5, s0, 12
	s_lshl_b32 s4, s28, 12
	v_or_b32_e32 v33, 0xc00, v0
	v_readfirstlane_b32 s30, v3
	s_add_i32 s4, s6, s4
	v_or_b32_e32 v36, 0xe00, v0
	s_sub_i32 s31, s12, s4
	s_delay_alu instid0(VALU_DEP_2)
	s_lshl_b32 s0, s30, 12
	s_add_u32 s4, s6, s5
	s_addc_u32 s5, s7, 0
	s_cmp_eq_u32 s30, s28
	v_cmp_ge_u64_e64 s4, s[4:5], s[12:13]
	s_cselect_b32 s28, -1, 0
	s_lshl_b64 s[12:13], s[0:1], 3
	s_mov_b32 s1, -1
	s_delay_alu instid0(VALU_DEP_1) | instskip(NEXT) | instid1(SALU_CYCLE_1)
	s_and_b32 s33, s4, s28
	s_xor_b32 s29, s33, -1
	s_add_u32 s4, s10, s12
	s_addc_u32 s5, s11, s13
	s_and_b32 vcc_lo, exec_lo, s29
	s_waitcnt vmcnt(0)
	v_readfirstlane_b32 s10, v1
	v_readfirstlane_b32 s11, v2
	s_cbranch_vccz .LBB625_6
; %bb.5:
	v_add_co_u32 v9, s0, s4, v55
	s_delay_alu instid0(VALU_DEP_1)
	v_add_co_ci_u32_e64 v10, null, s5, 0, s0
	global_load_b64 v[1:2], v55, s[4:5]
	v_add_co_u32 v3, vcc_lo, v9, 0x2000
	v_add_co_ci_u32_e32 v4, vcc_lo, 0, v10, vcc_lo
	v_add_co_u32 v5, vcc_lo, v9, 0x4000
	v_add_co_ci_u32_e32 v6, vcc_lo, 0, v10, vcc_lo
	;; [unrolled: 2-line block ×4, first 2 shown]
	s_clause 0x6
	global_load_b64 v[11:12], v[3:4], off offset:-4096
	global_load_b64 v[3:4], v[3:4], off
	global_load_b64 v[13:14], v[5:6], off offset:-4096
	global_load_b64 v[5:6], v[5:6], off
	;; [unrolled: 2-line block ×3, first 2 shown]
	global_load_b64 v[9:10], v[9:10], off
	v_lshrrev_b32_e32 v18, 2, v39
	v_lshrrev_b32_e32 v19, 2, v38
	;; [unrolled: 1-line block ×4, first 2 shown]
	v_and_b32_e32 v17, 0x78, v34
	v_lshrrev_b32_e32 v22, 2, v35
	v_lshrrev_b32_e32 v23, 2, v33
	;; [unrolled: 1-line block ×3, first 2 shown]
	v_and_b32_e32 v18, 0xf8, v18
	v_and_b32_e32 v19, 0x178, v19
	;; [unrolled: 1-line block ×4, first 2 shown]
	v_add_nc_u32_e32 v17, v17, v55
	v_and_b32_e32 v22, 0x2f8, v22
	v_and_b32_e32 v23, 0x378, v23
	;; [unrolled: 1-line block ×3, first 2 shown]
	v_add_nc_u32_e32 v18, v18, v55
	v_add_nc_u32_e32 v19, v19, v55
	;; [unrolled: 1-line block ×4, first 2 shown]
	s_mov_b32 s1, 0
	v_add_nc_u32_e32 v22, v22, v55
	v_add_nc_u32_e32 v23, v23, v55
	;; [unrolled: 1-line block ×3, first 2 shown]
	s_waitcnt vmcnt(7)
	ds_store_b64 v17, v[1:2]
	s_waitcnt vmcnt(6)
	ds_store_b64 v18, v[11:12] offset:4096
	s_waitcnt vmcnt(5)
	ds_store_b64 v19, v[3:4] offset:8192
	;; [unrolled: 2-line block ×7, first 2 shown]
	s_waitcnt lgkmcnt(0)
	s_barrier
.LBB625_6:
	v_cmp_gt_u32_e64 s0, s31, v0
	s_and_not1_b32 vcc_lo, exec_lo, s1
	s_cbranch_vccnz .LBB625_24
; %bb.7:
                                        ; implicit-def: $vgpr1_vgpr2_vgpr3_vgpr4_vgpr5_vgpr6_vgpr7_vgpr8_vgpr9_vgpr10_vgpr11_vgpr12_vgpr13_vgpr14_vgpr15_vgpr16
	s_delay_alu instid0(VALU_DEP_1)
	s_and_saveexec_b32 s1, s0
	s_cbranch_execz .LBB625_15
; %bb.8:
	global_load_b64 v[1:2], v55, s[4:5]
	s_or_b32 exec_lo, exec_lo, s1
	s_delay_alu instid0(SALU_CYCLE_1)
	s_mov_b32 s0, exec_lo
	v_cmpx_gt_u32_e64 s31, v39
	s_cbranch_execnz .LBB625_16
.LBB625_9:
	s_or_b32 exec_lo, exec_lo, s0
	s_delay_alu instid0(SALU_CYCLE_1)
	s_mov_b32 s0, exec_lo
	v_cmpx_gt_u32_e64 s31, v38
	s_cbranch_execz .LBB625_17
.LBB625_10:
	v_lshlrev_b32_e32 v5, 3, v38
	global_load_b64 v[5:6], v5, s[4:5]
	s_or_b32 exec_lo, exec_lo, s0
	s_delay_alu instid0(SALU_CYCLE_1)
	s_mov_b32 s0, exec_lo
	v_cmpx_gt_u32_e64 s31, v40
	s_cbranch_execnz .LBB625_18
.LBB625_11:
	s_or_b32 exec_lo, exec_lo, s0
	s_delay_alu instid0(SALU_CYCLE_1)
	s_mov_b32 s0, exec_lo
	v_cmpx_gt_u32_e64 s31, v37
	s_cbranch_execz .LBB625_19
.LBB625_12:
	v_lshlrev_b32_e32 v9, 3, v37
	global_load_b64 v[9:10], v9, s[4:5]
	s_or_b32 exec_lo, exec_lo, s0
	s_delay_alu instid0(SALU_CYCLE_1)
	s_mov_b32 s0, exec_lo
	v_cmpx_gt_u32_e64 s31, v35
	s_cbranch_execnz .LBB625_20
.LBB625_13:
	s_or_b32 exec_lo, exec_lo, s0
	s_delay_alu instid0(SALU_CYCLE_1)
	s_mov_b32 s0, exec_lo
	v_cmpx_gt_u32_e64 s31, v33
	s_cbranch_execz .LBB625_21
.LBB625_14:
	v_lshlrev_b32_e32 v13, 3, v33
	global_load_b64 v[13:14], v13, s[4:5]
	s_or_b32 exec_lo, exec_lo, s0
	s_delay_alu instid0(SALU_CYCLE_1)
	s_mov_b32 s0, exec_lo
	v_cmpx_gt_u32_e64 s31, v36
	s_cbranch_execnz .LBB625_22
	s_branch .LBB625_23
.LBB625_15:
	s_or_b32 exec_lo, exec_lo, s1
	s_delay_alu instid0(SALU_CYCLE_1)
	s_mov_b32 s0, exec_lo
	v_cmpx_gt_u32_e64 s31, v39
	s_cbranch_execz .LBB625_9
.LBB625_16:
	v_lshlrev_b32_e32 v3, 3, v39
	global_load_b64 v[3:4], v3, s[4:5]
	s_or_b32 exec_lo, exec_lo, s0
	s_delay_alu instid0(SALU_CYCLE_1)
	s_mov_b32 s0, exec_lo
	v_cmpx_gt_u32_e64 s31, v38
	s_cbranch_execnz .LBB625_10
.LBB625_17:
	s_or_b32 exec_lo, exec_lo, s0
	s_delay_alu instid0(SALU_CYCLE_1)
	s_mov_b32 s0, exec_lo
	v_cmpx_gt_u32_e64 s31, v40
	s_cbranch_execz .LBB625_11
.LBB625_18:
	v_lshlrev_b32_e32 v7, 3, v40
	global_load_b64 v[7:8], v7, s[4:5]
	s_or_b32 exec_lo, exec_lo, s0
	s_delay_alu instid0(SALU_CYCLE_1)
	s_mov_b32 s0, exec_lo
	v_cmpx_gt_u32_e64 s31, v37
	s_cbranch_execnz .LBB625_12
.LBB625_19:
	s_or_b32 exec_lo, exec_lo, s0
	s_delay_alu instid0(SALU_CYCLE_1)
	s_mov_b32 s0, exec_lo
	v_cmpx_gt_u32_e64 s31, v35
	s_cbranch_execz .LBB625_13
.LBB625_20:
	v_lshlrev_b32_e32 v11, 3, v35
	global_load_b64 v[11:12], v11, s[4:5]
	s_or_b32 exec_lo, exec_lo, s0
	s_delay_alu instid0(SALU_CYCLE_1)
	s_mov_b32 s0, exec_lo
	v_cmpx_gt_u32_e64 s31, v33
	s_cbranch_execnz .LBB625_14
.LBB625_21:
	s_or_b32 exec_lo, exec_lo, s0
	s_delay_alu instid0(SALU_CYCLE_1)
	s_mov_b32 s0, exec_lo
	v_cmpx_gt_u32_e64 s31, v36
	s_cbranch_execz .LBB625_23
.LBB625_22:
	v_lshlrev_b32_e32 v15, 3, v36
	global_load_b64 v[15:16], v15, s[4:5]
.LBB625_23:
	s_or_b32 exec_lo, exec_lo, s0
	v_lshrrev_b32_e32 v17, 2, v39
	v_lshrrev_b32_e32 v18, 2, v38
	;; [unrolled: 1-line block ×4, first 2 shown]
	v_and_b32_e32 v19, 0x78, v34
	v_lshrrev_b32_e32 v22, 2, v35
	v_lshrrev_b32_e32 v23, 2, v33
	;; [unrolled: 1-line block ×3, first 2 shown]
	v_and_b32_e32 v17, 0xf8, v17
	v_and_b32_e32 v18, 0x1f8, v18
	;; [unrolled: 1-line block ×4, first 2 shown]
	v_add_nc_u32_e32 v19, v19, v55
	v_and_b32_e32 v22, 0x3f8, v22
	v_and_b32_e32 v23, 0x3f8, v23
	;; [unrolled: 1-line block ×3, first 2 shown]
	v_add_nc_u32_e32 v17, v17, v55
	v_add_nc_u32_e32 v18, v18, v55
	;; [unrolled: 1-line block ×7, first 2 shown]
	s_waitcnt vmcnt(0)
	ds_store_b64 v19, v[1:2]
	ds_store_b64 v17, v[3:4] offset:4096
	ds_store_b64 v18, v[5:6] offset:8192
	ds_store_b64 v20, v[7:8] offset:12288
	ds_store_b64 v21, v[9:10] offset:16384
	ds_store_b64 v22, v[11:12] offset:20480
	ds_store_b64 v23, v[13:14] offset:24576
	ds_store_b64 v24, v[15:16] offset:28672
	s_waitcnt lgkmcnt(0)
	s_barrier
.LBB625_24:
	v_add_lshl_u32 v41, v34, v55, 3
	buffer_gl0_inv
	s_add_u32 s0, s24, s26
	s_addc_u32 s1, s25, s27
	s_add_u32 s0, s0, s12
	ds_load_2addr_b64 v[29:32], v41 offset1:1
	ds_load_2addr_b64 v[25:28], v41 offset0:2 offset1:3
	ds_load_2addr_b64 v[21:24], v41 offset0:4 offset1:5
	;; [unrolled: 1-line block ×3, first 2 shown]
	s_addc_u32 s1, s1, s13
	s_and_b32 vcc_lo, exec_lo, s29
	s_mov_b32 s12, -1
	s_waitcnt lgkmcnt(0)
	s_barrier
	buffer_gl0_inv
	s_cbranch_vccz .LBB625_26
; %bb.25:
	v_add_co_u32 v9, s12, s0, v55
	s_delay_alu instid0(VALU_DEP_1)
	v_add_co_ci_u32_e64 v10, null, s1, 0, s12
	global_load_b64 v[1:2], v55, s[0:1]
	v_add_co_u32 v3, vcc_lo, v9, 0x2000
	v_add_co_ci_u32_e32 v4, vcc_lo, 0, v10, vcc_lo
	v_add_co_u32 v5, vcc_lo, v9, 0x4000
	v_add_co_ci_u32_e32 v6, vcc_lo, 0, v10, vcc_lo
	;; [unrolled: 2-line block ×4, first 2 shown]
	s_clause 0x6
	global_load_b64 v[11:12], v[3:4], off offset:-4096
	global_load_b64 v[3:4], v[3:4], off
	global_load_b64 v[13:14], v[5:6], off offset:-4096
	global_load_b64 v[5:6], v[5:6], off
	global_load_b64 v[15:16], v[7:8], off offset:-4096
	global_load_b64 v[7:8], v[7:8], off
	global_load_b64 v[9:10], v[9:10], off
	v_lshrrev_b32_e32 v43, 2, v39
	v_lshrrev_b32_e32 v44, 2, v38
	;; [unrolled: 1-line block ×4, first 2 shown]
	v_and_b32_e32 v42, 0x78, v34
	v_lshrrev_b32_e32 v47, 2, v35
	v_lshrrev_b32_e32 v48, 2, v33
	;; [unrolled: 1-line block ×3, first 2 shown]
	v_and_b32_e32 v43, 0xf8, v43
	v_and_b32_e32 v44, 0x178, v44
	;; [unrolled: 1-line block ×4, first 2 shown]
	v_add_nc_u32_e32 v42, v42, v55
	v_and_b32_e32 v47, 0x2f8, v47
	v_and_b32_e32 v48, 0x378, v48
	;; [unrolled: 1-line block ×3, first 2 shown]
	v_add_nc_u32_e32 v43, v43, v55
	v_add_nc_u32_e32 v44, v44, v55
	;; [unrolled: 1-line block ×4, first 2 shown]
	s_mov_b32 s12, 0
	v_add_nc_u32_e32 v47, v47, v55
	v_add_nc_u32_e32 v48, v48, v55
	;; [unrolled: 1-line block ×3, first 2 shown]
	s_waitcnt vmcnt(7)
	ds_store_b64 v42, v[1:2]
	s_waitcnt vmcnt(6)
	ds_store_b64 v43, v[11:12] offset:4096
	s_waitcnt vmcnt(5)
	ds_store_b64 v44, v[3:4] offset:8192
	;; [unrolled: 2-line block ×7, first 2 shown]
	s_waitcnt lgkmcnt(0)
	s_barrier
.LBB625_26:
	s_and_not1_b32 vcc_lo, exec_lo, s12
	s_cbranch_vccnz .LBB625_44
; %bb.27:
	s_mov_b32 s12, exec_lo
                                        ; implicit-def: $vgpr1_vgpr2
	v_cmpx_gt_u32_e64 s31, v0
	s_cbranch_execz .LBB625_29
; %bb.28:
	global_load_b64 v[1:2], v55, s[0:1]
.LBB625_29:
	s_or_b32 exec_lo, exec_lo, s12
	s_delay_alu instid0(SALU_CYCLE_1)
	s_mov_b32 s12, exec_lo
                                        ; implicit-def: $vgpr3_vgpr4
	v_cmpx_gt_u32_e64 s31, v39
	s_cbranch_execz .LBB625_31
; %bb.30:
	v_lshlrev_b32_e32 v3, 3, v39
	global_load_b64 v[3:4], v3, s[0:1]
.LBB625_31:
	s_or_b32 exec_lo, exec_lo, s12
	s_delay_alu instid0(SALU_CYCLE_1)
	s_mov_b32 s12, exec_lo
                                        ; implicit-def: $vgpr5_vgpr6
	v_cmpx_gt_u32_e64 s31, v38
	s_cbranch_execz .LBB625_33
; %bb.32:
	v_lshlrev_b32_e32 v5, 3, v38
	global_load_b64 v[5:6], v5, s[0:1]
.LBB625_33:
	s_or_b32 exec_lo, exec_lo, s12
	s_delay_alu instid0(SALU_CYCLE_1)
	s_mov_b32 s12, exec_lo
                                        ; implicit-def: $vgpr7_vgpr8
	v_cmpx_gt_u32_e64 s31, v40
	s_cbranch_execz .LBB625_35
; %bb.34:
	v_lshlrev_b32_e32 v7, 3, v40
	global_load_b64 v[7:8], v7, s[0:1]
.LBB625_35:
	s_or_b32 exec_lo, exec_lo, s12
	s_delay_alu instid0(SALU_CYCLE_1)
	s_mov_b32 s12, exec_lo
                                        ; implicit-def: $vgpr9_vgpr10
	v_cmpx_gt_u32_e64 s31, v37
	s_cbranch_execz .LBB625_37
; %bb.36:
	v_lshlrev_b32_e32 v9, 3, v37
	global_load_b64 v[9:10], v9, s[0:1]
.LBB625_37:
	s_or_b32 exec_lo, exec_lo, s12
	s_delay_alu instid0(SALU_CYCLE_1)
	s_mov_b32 s12, exec_lo
                                        ; implicit-def: $vgpr11_vgpr12
	v_cmpx_gt_u32_e64 s31, v35
	s_cbranch_execz .LBB625_39
; %bb.38:
	v_lshlrev_b32_e32 v11, 3, v35
	global_load_b64 v[11:12], v11, s[0:1]
.LBB625_39:
	s_or_b32 exec_lo, exec_lo, s12
	s_delay_alu instid0(SALU_CYCLE_1)
	s_mov_b32 s12, exec_lo
                                        ; implicit-def: $vgpr13_vgpr14
	v_cmpx_gt_u32_e64 s31, v33
	s_cbranch_execz .LBB625_41
; %bb.40:
	v_lshlrev_b32_e32 v13, 3, v33
	global_load_b64 v[13:14], v13, s[0:1]
.LBB625_41:
	s_or_b32 exec_lo, exec_lo, s12
	s_delay_alu instid0(SALU_CYCLE_1)
	s_mov_b32 s12, exec_lo
                                        ; implicit-def: $vgpr15_vgpr16
	v_cmpx_gt_u32_e64 s31, v36
	s_cbranch_execz .LBB625_43
; %bb.42:
	v_lshlrev_b32_e32 v15, 3, v36
	global_load_b64 v[15:16], v15, s[0:1]
.LBB625_43:
	s_or_b32 exec_lo, exec_lo, s12
	v_lshrrev_b32_e32 v39, 2, v39
	v_lshrrev_b32_e32 v38, 2, v38
	;; [unrolled: 1-line block ×4, first 2 shown]
	v_and_b32_e32 v34, 0x78, v34
	v_lshrrev_b32_e32 v35, 2, v35
	v_lshrrev_b32_e32 v33, 2, v33
	;; [unrolled: 1-line block ×3, first 2 shown]
	v_and_b32_e32 v39, 0xf8, v39
	v_and_b32_e32 v38, 0x1f8, v38
	v_and_b32_e32 v40, 0x1f8, v40
	v_and_b32_e32 v37, 0x3f8, v37
	v_add_nc_u32_e32 v34, v34, v55
	v_and_b32_e32 v35, 0x3f8, v35
	v_and_b32_e32 v33, 0x3f8, v33
	;; [unrolled: 1-line block ×3, first 2 shown]
	v_add_nc_u32_e32 v39, v39, v55
	v_add_nc_u32_e32 v38, v38, v55
	v_add_nc_u32_e32 v40, v40, v55
	v_add_nc_u32_e32 v37, v37, v55
	v_add_nc_u32_e32 v35, v35, v55
	v_add_nc_u32_e32 v33, v33, v55
	v_add_nc_u32_e32 v36, v36, v55
	s_waitcnt vmcnt(0)
	ds_store_b64 v34, v[1:2]
	ds_store_b64 v39, v[3:4] offset:4096
	ds_store_b64 v38, v[5:6] offset:8192
	;; [unrolled: 1-line block ×7, first 2 shown]
	s_waitcnt lgkmcnt(0)
	s_barrier
.LBB625_44:
	buffer_gl0_inv
	ds_load_2addr_b64 v[13:16], v41 offset1:1
	ds_load_2addr_b64 v[9:12], v41 offset0:2 offset1:3
	ds_load_2addr_b64 v[5:8], v41 offset0:4 offset1:5
	;; [unrolled: 1-line block ×3, first 2 shown]
	s_cmp_lg_u32 s30, 0
	v_cmp_gt_i64_e64 s13, s[14:15], 0
	s_cselect_b32 s12, -1, 0
	s_cmp_lg_u64 s[6:7], 0
	s_mov_b32 s1, 0
	s_cselect_b32 s0, -1, 0
	s_waitcnt lgkmcnt(0)
	s_or_b32 s0, s0, s12
	s_barrier
	s_and_b32 vcc_lo, exec_lo, s0
	buffer_gl0_inv
	s_cbranch_vccz .LBB625_53
; %bb.45:
	v_mov_b32_e32 v33, 0
	v_cndmask_b32_e64 v43, 0, 1, s13
	s_and_b32 vcc_lo, exec_lo, s29
	ds_store_b64 v55, v[19:20]
	global_load_b64 v[33:34], v33, s[4:5] offset:-8
	v_cmp_ne_u32_e64 s0, 1, v43
	s_cbranch_vccz .LBB625_54
; %bb.46:
	v_mul_lo_u32 v37, v18, s14
	v_mul_lo_u32 v38, v17, s15
	v_mad_u64_u32 v[35:36], null, v17, s14, 0
	s_and_b32 vcc_lo, exec_lo, s0
	s_mov_b32 s24, 0
	s_delay_alu instid0(VALU_DEP_1) | instskip(NEXT) | instid1(VALU_DEP_1)
	v_add3_u32 v36, v36, v38, v37
	v_lshlrev_b64 v[35:36], 3, v[35:36]
	s_cbranch_vccnz .LBB625_57
; %bb.47:
	v_mul_lo_u32 v39, v20, s14
	v_mul_lo_u32 v40, v19, s15
	v_mad_u64_u32 v[37:38], null, v19, s14, 0
	s_mov_b32 s24, -1
	s_mov_b32 s25, exec_lo
	s_delay_alu instid0(VALU_DEP_1) | instskip(SKIP_2) | instid1(VALU_DEP_3)
	v_add3_u32 v38, v38, v40, v39
	v_add_co_u32 v39, vcc_lo, s20, v35
	v_add_co_ci_u32_e32 v40, vcc_lo, s21, v36, vcc_lo
	v_lshlrev_b64 v[37:38], 3, v[37:38]
	s_delay_alu instid0(VALU_DEP_1) | instskip(NEXT) | instid1(VALU_DEP_2)
	v_add_co_u32 v37, vcc_lo, s20, v37
	v_add_co_ci_u32_e32 v38, vcc_lo, s21, v38, vcc_lo
	s_clause 0x1
	global_load_b64 v[41:42], v[39:40], off
	global_load_b64 v[44:45], v[37:38], off
	s_waitcnt vmcnt(0)
	v_cmpx_eq_u64_e64 v[41:42], v[44:45]
	s_cbranch_execz .LBB625_56
; %bb.48:
	v_add_co_u32 v37, vcc_lo, v37, 8
	v_add_co_ci_u32_e32 v38, vcc_lo, 0, v38, vcc_lo
	v_add_co_u32 v39, vcc_lo, v39, 8
	v_add_co_ci_u32_e32 v40, vcc_lo, 0, v40, vcc_lo
	s_add_u32 s4, s14, -1
	s_addc_u32 s5, s15, -1
	s_mov_b64 s[6:7], 0
	s_mov_b32 s24, 0
                                        ; implicit-def: $sgpr26
	s_set_inst_prefetch_distance 0x1
	s_branch .LBB625_51
	.p2align	6
.LBB625_49:                             ;   in Loop: Header=BB625_51 Depth=1
	global_load_b64 v[41:42], v[39:40], off
	global_load_b64 v[44:45], v[37:38], off
	v_add_co_u32 v37, vcc_lo, v37, 8
	v_add_co_ci_u32_e32 v38, vcc_lo, 0, v38, vcc_lo
	v_add_co_u32 v39, s0, v39, 8
	s_delay_alu instid0(VALU_DEP_1)
	v_add_co_ci_u32_e64 v40, s0, 0, v40, s0
	s_add_u32 s6, s6, 1
	s_addc_u32 s7, s7, 0
	s_and_not1_b32 s0, s26, exec_lo
	s_waitcnt vmcnt(0)
	v_cmp_ne_u64_e32 vcc_lo, v[41:42], v[44:45]
	s_and_b32 s26, vcc_lo, exec_lo
	s_delay_alu instid0(SALU_CYCLE_1)
	s_or_b32 s26, s0, s26
.LBB625_50:                             ;   in Loop: Header=BB625_51 Depth=1
	v_dual_mov_b32 v42, s7 :: v_dual_mov_b32 v41, s6
	s_and_b32 s0, exec_lo, s26
	s_delay_alu instid0(SALU_CYCLE_1) | instskip(NEXT) | instid1(SALU_CYCLE_1)
	s_or_b32 s24, s0, s24
	s_and_not1_b32 exec_lo, exec_lo, s24
	s_cbranch_execz .LBB625_55
.LBB625_51:                             ; =>This Inner Loop Header: Depth=1
	s_or_b32 s26, s26, exec_lo
	s_cmp_eq_u64 s[4:5], s[6:7]
	s_cbranch_scc0 .LBB625_49
; %bb.52:                               ;   in Loop: Header=BB625_51 Depth=1
	s_mov_b64 s[6:7], s[14:15]
                                        ; implicit-def: $vgpr37_vgpr38
                                        ; implicit-def: $vgpr39_vgpr40
	s_branch .LBB625_50
.LBB625_53:
                                        ; implicit-def: $sgpr0
                                        ; implicit-def: $vgpr36
	s_branch .LBB625_215
.LBB625_54:
                                        ; implicit-def: $sgpr0
                                        ; implicit-def: $vgpr36
	s_cbranch_execnz .LBB625_123
	s_branch .LBB625_214
.LBB625_55:
	s_set_inst_prefetch_distance 0x2
	s_or_b32 exec_lo, exec_lo, s24
	v_cmp_gt_i64_e32 vcc_lo, s[14:15], v[41:42]
	s_or_not1_b32 s24, vcc_lo, exec_lo
.LBB625_56:
	s_or_b32 exec_lo, exec_lo, s25
.LBB625_57:
	v_mul_lo_u32 v39, v24, s14
	v_mul_lo_u32 v40, v23, s15
	v_mad_u64_u32 v[37:38], null, v23, s14, 0
	s_and_not1_b32 vcc_lo, exec_lo, s13
	s_delay_alu instid0(VALU_DEP_1) | instskip(NEXT) | instid1(VALU_DEP_1)
	v_add3_u32 v38, v38, v40, v39
	v_lshlrev_b64 v[37:38], 3, v[37:38]
	s_cbranch_vccnz .LBB625_66
; %bb.58:
	s_delay_alu instid0(VALU_DEP_1) | instskip(NEXT) | instid1(VALU_DEP_2)
	v_add_co_u32 v39, vcc_lo, s20, v37
	v_add_co_ci_u32_e32 v40, vcc_lo, s21, v38, vcc_lo
	v_add_co_u32 v35, vcc_lo, s20, v35
	v_add_co_ci_u32_e32 v36, vcc_lo, s21, v36, vcc_lo
	s_mov_b32 s1, -1
	s_clause 0x1
	global_load_b64 v[41:42], v[39:40], off
	global_load_b64 v[44:45], v[35:36], off
	s_mov_b32 s25, exec_lo
	s_waitcnt vmcnt(0)
	v_cmpx_eq_u64_e64 v[41:42], v[44:45]
	s_cbranch_execz .LBB625_65
; %bb.59:
	v_add_co_u32 v35, vcc_lo, v35, 8
	v_add_co_ci_u32_e32 v36, vcc_lo, 0, v36, vcc_lo
	v_add_co_u32 v39, vcc_lo, v39, 8
	v_add_co_ci_u32_e32 v40, vcc_lo, 0, v40, vcc_lo
	s_add_u32 s4, s14, -1
	s_addc_u32 s5, s15, -1
	s_mov_b64 s[6:7], 0
	s_mov_b32 s1, 0
                                        ; implicit-def: $sgpr26
	s_set_inst_prefetch_distance 0x1
	s_branch .LBB625_62
	.p2align	6
.LBB625_60:                             ;   in Loop: Header=BB625_62 Depth=1
	global_load_b64 v[41:42], v[39:40], off
	global_load_b64 v[44:45], v[35:36], off
	v_add_co_u32 v35, vcc_lo, v35, 8
	v_add_co_ci_u32_e32 v36, vcc_lo, 0, v36, vcc_lo
	v_add_co_u32 v39, s0, v39, 8
	s_delay_alu instid0(VALU_DEP_1)
	v_add_co_ci_u32_e64 v40, s0, 0, v40, s0
	s_add_u32 s6, s6, 1
	s_addc_u32 s7, s7, 0
	s_and_not1_b32 s0, s26, exec_lo
	s_waitcnt vmcnt(0)
	v_cmp_ne_u64_e32 vcc_lo, v[41:42], v[44:45]
	s_and_b32 s26, vcc_lo, exec_lo
	s_delay_alu instid0(SALU_CYCLE_1)
	s_or_b32 s26, s0, s26
.LBB625_61:                             ;   in Loop: Header=BB625_62 Depth=1
	v_dual_mov_b32 v42, s7 :: v_dual_mov_b32 v41, s6
	s_and_b32 s0, exec_lo, s26
	s_delay_alu instid0(SALU_CYCLE_1) | instskip(NEXT) | instid1(SALU_CYCLE_1)
	s_or_b32 s1, s0, s1
	s_and_not1_b32 exec_lo, exec_lo, s1
	s_cbranch_execz .LBB625_64
.LBB625_62:                             ; =>This Inner Loop Header: Depth=1
	s_or_b32 s26, s26, exec_lo
	s_cmp_eq_u64 s[4:5], s[6:7]
	s_cbranch_scc0 .LBB625_60
; %bb.63:                               ;   in Loop: Header=BB625_62 Depth=1
	s_mov_b64 s[6:7], s[14:15]
                                        ; implicit-def: $vgpr35_vgpr36
                                        ; implicit-def: $vgpr39_vgpr40
	s_branch .LBB625_61
.LBB625_64:
	s_set_inst_prefetch_distance 0x2
	s_or_b32 exec_lo, exec_lo, s1
	v_cmp_gt_i64_e32 vcc_lo, s[14:15], v[41:42]
	s_or_not1_b32 s1, vcc_lo, exec_lo
.LBB625_65:
	s_or_b32 exec_lo, exec_lo, s25
.LBB625_66:
	v_mul_lo_u32 v39, v22, s14
	v_mul_lo_u32 v40, v21, s15
	v_mad_u64_u32 v[35:36], null, v21, s14, 0
	s_mov_b32 s25, 0
	s_and_not1_b32 vcc_lo, exec_lo, s13
	s_mov_b32 s26, 0
	s_delay_alu instid0(VALU_DEP_1) | instskip(NEXT) | instid1(VALU_DEP_1)
	v_add3_u32 v36, v36, v40, v39
	v_lshlrev_b64 v[39:40], 3, v[35:36]
	s_cbranch_vccnz .LBB625_75
; %bb.67:
	s_delay_alu instid0(VALU_DEP_1) | instskip(NEXT) | instid1(VALU_DEP_2)
	v_add_co_u32 v41, vcc_lo, s20, v39
	v_add_co_ci_u32_e32 v42, vcc_lo, s21, v40, vcc_lo
	v_add_co_u32 v35, vcc_lo, s20, v37
	v_add_co_ci_u32_e32 v36, vcc_lo, s21, v38, vcc_lo
	s_mov_b32 s26, -1
	s_clause 0x1
	global_load_b64 v[37:38], v[41:42], off
	global_load_b64 v[44:45], v[35:36], off
	s_mov_b32 s27, exec_lo
	s_waitcnt vmcnt(0)
	v_cmpx_eq_u64_e64 v[37:38], v[44:45]
	s_cbranch_execz .LBB625_74
; %bb.68:
	v_add_co_u32 v35, vcc_lo, v35, 8
	v_add_co_ci_u32_e32 v36, vcc_lo, 0, v36, vcc_lo
	v_add_co_u32 v37, vcc_lo, v41, 8
	v_add_co_ci_u32_e32 v38, vcc_lo, 0, v42, vcc_lo
	s_add_u32 s4, s14, -1
	s_addc_u32 s5, s15, -1
	s_mov_b64 s[6:7], 0
	s_mov_b32 s26, 0
                                        ; implicit-def: $sgpr34
	s_set_inst_prefetch_distance 0x1
	s_branch .LBB625_71
	.p2align	6
.LBB625_69:                             ;   in Loop: Header=BB625_71 Depth=1
	global_load_b64 v[41:42], v[37:38], off
	global_load_b64 v[44:45], v[35:36], off
	v_add_co_u32 v35, vcc_lo, v35, 8
	v_add_co_ci_u32_e32 v36, vcc_lo, 0, v36, vcc_lo
	v_add_co_u32 v37, s0, v37, 8
	s_delay_alu instid0(VALU_DEP_1)
	v_add_co_ci_u32_e64 v38, s0, 0, v38, s0
	s_add_u32 s6, s6, 1
	s_addc_u32 s7, s7, 0
	s_and_not1_b32 s0, s34, exec_lo
	s_waitcnt vmcnt(0)
	v_cmp_ne_u64_e32 vcc_lo, v[41:42], v[44:45]
	s_and_b32 s34, vcc_lo, exec_lo
	s_delay_alu instid0(SALU_CYCLE_1)
	s_or_b32 s34, s0, s34
.LBB625_70:                             ;   in Loop: Header=BB625_71 Depth=1
	v_dual_mov_b32 v42, s7 :: v_dual_mov_b32 v41, s6
	s_and_b32 s0, exec_lo, s34
	s_delay_alu instid0(SALU_CYCLE_1) | instskip(NEXT) | instid1(SALU_CYCLE_1)
	s_or_b32 s26, s0, s26
	s_and_not1_b32 exec_lo, exec_lo, s26
	s_cbranch_execz .LBB625_73
.LBB625_71:                             ; =>This Inner Loop Header: Depth=1
	s_or_b32 s34, s34, exec_lo
	s_cmp_eq_u64 s[4:5], s[6:7]
	s_cbranch_scc0 .LBB625_69
; %bb.72:                               ;   in Loop: Header=BB625_71 Depth=1
	s_mov_b64 s[6:7], s[14:15]
                                        ; implicit-def: $vgpr35_vgpr36
                                        ; implicit-def: $vgpr37_vgpr38
	s_branch .LBB625_70
.LBB625_73:
	s_set_inst_prefetch_distance 0x2
	s_or_b32 exec_lo, exec_lo, s26
	v_cmp_gt_i64_e32 vcc_lo, s[14:15], v[41:42]
	s_or_not1_b32 s26, vcc_lo, exec_lo
.LBB625_74:
	s_or_b32 exec_lo, exec_lo, s27
.LBB625_75:
	v_mul_lo_u32 v37, v28, s14
	v_mul_lo_u32 v38, v27, s15
	v_mad_u64_u32 v[35:36], null, v27, s14, 0
	s_and_not1_b32 vcc_lo, exec_lo, s13
	s_delay_alu instid0(VALU_DEP_1) | instskip(NEXT) | instid1(VALU_DEP_1)
	v_add3_u32 v36, v36, v38, v37
	v_lshlrev_b64 v[35:36], 3, v[35:36]
	s_cbranch_vccnz .LBB625_84
; %bb.76:
	s_delay_alu instid0(VALU_DEP_1) | instskip(NEXT) | instid1(VALU_DEP_2)
	v_add_co_u32 v41, vcc_lo, s20, v35
	v_add_co_ci_u32_e32 v42, vcc_lo, s21, v36, vcc_lo
	v_add_co_u32 v37, vcc_lo, s20, v39
	v_add_co_ci_u32_e32 v38, vcc_lo, s21, v40, vcc_lo
	s_mov_b32 s25, -1
	s_clause 0x1
	global_load_b64 v[39:40], v[41:42], off
	global_load_b64 v[44:45], v[37:38], off
	s_mov_b32 s27, exec_lo
	s_waitcnt vmcnt(0)
	v_cmpx_eq_u64_e64 v[39:40], v[44:45]
	s_cbranch_execz .LBB625_83
; %bb.77:
	v_add_co_u32 v37, vcc_lo, v37, 8
	v_add_co_ci_u32_e32 v38, vcc_lo, 0, v38, vcc_lo
	v_add_co_u32 v39, vcc_lo, v41, 8
	v_add_co_ci_u32_e32 v40, vcc_lo, 0, v42, vcc_lo
	s_add_u32 s4, s14, -1
	s_addc_u32 s5, s15, -1
	s_mov_b64 s[6:7], 0
	s_mov_b32 s25, 0
                                        ; implicit-def: $sgpr34
	s_set_inst_prefetch_distance 0x1
	s_branch .LBB625_80
	.p2align	6
.LBB625_78:                             ;   in Loop: Header=BB625_80 Depth=1
	global_load_b64 v[41:42], v[39:40], off
	global_load_b64 v[44:45], v[37:38], off
	v_add_co_u32 v37, vcc_lo, v37, 8
	v_add_co_ci_u32_e32 v38, vcc_lo, 0, v38, vcc_lo
	v_add_co_u32 v39, s0, v39, 8
	s_delay_alu instid0(VALU_DEP_1)
	v_add_co_ci_u32_e64 v40, s0, 0, v40, s0
	s_add_u32 s6, s6, 1
	s_addc_u32 s7, s7, 0
	s_and_not1_b32 s0, s34, exec_lo
	s_waitcnt vmcnt(0)
	v_cmp_ne_u64_e32 vcc_lo, v[41:42], v[44:45]
	s_and_b32 s34, vcc_lo, exec_lo
	s_delay_alu instid0(SALU_CYCLE_1)
	s_or_b32 s34, s0, s34
.LBB625_79:                             ;   in Loop: Header=BB625_80 Depth=1
	v_dual_mov_b32 v42, s7 :: v_dual_mov_b32 v41, s6
	s_and_b32 s0, exec_lo, s34
	s_delay_alu instid0(SALU_CYCLE_1) | instskip(NEXT) | instid1(SALU_CYCLE_1)
	s_or_b32 s25, s0, s25
	s_and_not1_b32 exec_lo, exec_lo, s25
	s_cbranch_execz .LBB625_82
.LBB625_80:                             ; =>This Inner Loop Header: Depth=1
	s_or_b32 s34, s34, exec_lo
	s_cmp_eq_u64 s[4:5], s[6:7]
	s_cbranch_scc0 .LBB625_78
; %bb.81:                               ;   in Loop: Header=BB625_80 Depth=1
	s_mov_b64 s[6:7], s[14:15]
                                        ; implicit-def: $vgpr37_vgpr38
                                        ; implicit-def: $vgpr39_vgpr40
	s_branch .LBB625_79
.LBB625_82:
	s_set_inst_prefetch_distance 0x2
	s_or_b32 exec_lo, exec_lo, s25
	v_cmp_gt_i64_e32 vcc_lo, s[14:15], v[41:42]
	s_or_not1_b32 s25, vcc_lo, exec_lo
.LBB625_83:
	s_or_b32 exec_lo, exec_lo, s27
.LBB625_84:
	v_mul_lo_u32 v39, v26, s14
	v_mul_lo_u32 v40, v25, s15
	v_mad_u64_u32 v[37:38], null, v25, s14, 0
	s_mov_b32 s27, 0
	s_and_not1_b32 vcc_lo, exec_lo, s13
	s_mov_b32 s34, 0
	s_delay_alu instid0(VALU_DEP_1) | instskip(NEXT) | instid1(VALU_DEP_1)
	v_add3_u32 v38, v38, v40, v39
	v_lshlrev_b64 v[39:40], 3, v[37:38]
	s_cbranch_vccnz .LBB625_93
; %bb.85:
	s_delay_alu instid0(VALU_DEP_1) | instskip(NEXT) | instid1(VALU_DEP_2)
	v_add_co_u32 v37, vcc_lo, s20, v39
	v_add_co_ci_u32_e32 v38, vcc_lo, s21, v40, vcc_lo
	v_add_co_u32 v35, vcc_lo, s20, v35
	v_add_co_ci_u32_e32 v36, vcc_lo, s21, v36, vcc_lo
	s_mov_b32 s34, -1
	s_clause 0x1
	global_load_b64 v[41:42], v[37:38], off
	global_load_b64 v[44:45], v[35:36], off
	s_mov_b32 s35, exec_lo
	s_waitcnt vmcnt(0)
	v_cmpx_eq_u64_e64 v[41:42], v[44:45]
	s_cbranch_execz .LBB625_92
; %bb.86:
	v_add_co_u32 v35, vcc_lo, v35, 8
	v_add_co_ci_u32_e32 v36, vcc_lo, 0, v36, vcc_lo
	v_add_co_u32 v37, vcc_lo, v37, 8
	v_add_co_ci_u32_e32 v38, vcc_lo, 0, v38, vcc_lo
	s_add_u32 s4, s14, -1
	s_addc_u32 s5, s15, -1
	s_mov_b64 s[6:7], 0
	s_mov_b32 s34, 0
                                        ; implicit-def: $sgpr36
	s_set_inst_prefetch_distance 0x1
	s_branch .LBB625_89
	.p2align	6
.LBB625_87:                             ;   in Loop: Header=BB625_89 Depth=1
	global_load_b64 v[41:42], v[37:38], off
	global_load_b64 v[44:45], v[35:36], off
	v_add_co_u32 v35, vcc_lo, v35, 8
	v_add_co_ci_u32_e32 v36, vcc_lo, 0, v36, vcc_lo
	v_add_co_u32 v37, s0, v37, 8
	s_delay_alu instid0(VALU_DEP_1)
	v_add_co_ci_u32_e64 v38, s0, 0, v38, s0
	s_add_u32 s6, s6, 1
	s_addc_u32 s7, s7, 0
	s_and_not1_b32 s0, s36, exec_lo
	s_waitcnt vmcnt(0)
	v_cmp_ne_u64_e32 vcc_lo, v[41:42], v[44:45]
	s_and_b32 s36, vcc_lo, exec_lo
	s_delay_alu instid0(SALU_CYCLE_1)
	s_or_b32 s36, s0, s36
.LBB625_88:                             ;   in Loop: Header=BB625_89 Depth=1
	v_dual_mov_b32 v42, s7 :: v_dual_mov_b32 v41, s6
	s_and_b32 s0, exec_lo, s36
	s_delay_alu instid0(SALU_CYCLE_1) | instskip(NEXT) | instid1(SALU_CYCLE_1)
	s_or_b32 s34, s0, s34
	s_and_not1_b32 exec_lo, exec_lo, s34
	s_cbranch_execz .LBB625_91
.LBB625_89:                             ; =>This Inner Loop Header: Depth=1
	s_or_b32 s36, s36, exec_lo
	s_cmp_eq_u64 s[4:5], s[6:7]
	s_cbranch_scc0 .LBB625_87
; %bb.90:                               ;   in Loop: Header=BB625_89 Depth=1
	s_mov_b64 s[6:7], s[14:15]
                                        ; implicit-def: $vgpr35_vgpr36
                                        ; implicit-def: $vgpr37_vgpr38
	s_branch .LBB625_88
.LBB625_91:
	s_set_inst_prefetch_distance 0x2
	s_or_b32 exec_lo, exec_lo, s34
	v_cmp_gt_i64_e32 vcc_lo, s[14:15], v[41:42]
	s_or_not1_b32 s34, vcc_lo, exec_lo
.LBB625_92:
	s_or_b32 exec_lo, exec_lo, s35
.LBB625_93:
	v_mul_lo_u32 v37, v32, s14
	v_mul_lo_u32 v38, v31, s15
	v_mad_u64_u32 v[35:36], null, v31, s14, 0
	s_and_not1_b32 vcc_lo, exec_lo, s13
	s_delay_alu instid0(VALU_DEP_1) | instskip(NEXT) | instid1(VALU_DEP_1)
	v_add3_u32 v36, v36, v38, v37
	v_lshlrev_b64 v[37:38], 3, v[35:36]
	s_cbranch_vccnz .LBB625_102
; %bb.94:
	s_delay_alu instid0(VALU_DEP_1) | instskip(NEXT) | instid1(VALU_DEP_2)
	v_add_co_u32 v41, vcc_lo, s20, v37
	v_add_co_ci_u32_e32 v42, vcc_lo, s21, v38, vcc_lo
	v_add_co_u32 v35, vcc_lo, s20, v39
	v_add_co_ci_u32_e32 v36, vcc_lo, s21, v40, vcc_lo
	s_mov_b32 s27, -1
	s_clause 0x1
	global_load_b64 v[39:40], v[41:42], off
	global_load_b64 v[44:45], v[35:36], off
	s_mov_b32 s35, exec_lo
	s_waitcnt vmcnt(0)
	v_cmpx_eq_u64_e64 v[39:40], v[44:45]
	s_cbranch_execz .LBB625_101
; %bb.95:
	v_add_co_u32 v35, vcc_lo, v35, 8
	v_add_co_ci_u32_e32 v36, vcc_lo, 0, v36, vcc_lo
	v_add_co_u32 v39, vcc_lo, v41, 8
	v_add_co_ci_u32_e32 v40, vcc_lo, 0, v42, vcc_lo
	s_add_u32 s4, s14, -1
	s_addc_u32 s5, s15, -1
	s_mov_b64 s[6:7], 0
	s_mov_b32 s27, 0
                                        ; implicit-def: $sgpr36
	s_set_inst_prefetch_distance 0x1
	s_branch .LBB625_98
	.p2align	6
.LBB625_96:                             ;   in Loop: Header=BB625_98 Depth=1
	global_load_b64 v[41:42], v[39:40], off
	global_load_b64 v[44:45], v[35:36], off
	v_add_co_u32 v35, vcc_lo, v35, 8
	v_add_co_ci_u32_e32 v36, vcc_lo, 0, v36, vcc_lo
	v_add_co_u32 v39, s0, v39, 8
	s_delay_alu instid0(VALU_DEP_1)
	v_add_co_ci_u32_e64 v40, s0, 0, v40, s0
	s_add_u32 s6, s6, 1
	s_addc_u32 s7, s7, 0
	s_and_not1_b32 s0, s36, exec_lo
	s_waitcnt vmcnt(0)
	v_cmp_ne_u64_e32 vcc_lo, v[41:42], v[44:45]
	s_and_b32 s36, vcc_lo, exec_lo
	s_delay_alu instid0(SALU_CYCLE_1)
	s_or_b32 s36, s0, s36
.LBB625_97:                             ;   in Loop: Header=BB625_98 Depth=1
	v_dual_mov_b32 v42, s7 :: v_dual_mov_b32 v41, s6
	s_and_b32 s0, exec_lo, s36
	s_delay_alu instid0(SALU_CYCLE_1) | instskip(NEXT) | instid1(SALU_CYCLE_1)
	s_or_b32 s27, s0, s27
	s_and_not1_b32 exec_lo, exec_lo, s27
	s_cbranch_execz .LBB625_100
.LBB625_98:                             ; =>This Inner Loop Header: Depth=1
	s_or_b32 s36, s36, exec_lo
	s_cmp_eq_u64 s[4:5], s[6:7]
	s_cbranch_scc0 .LBB625_96
; %bb.99:                               ;   in Loop: Header=BB625_98 Depth=1
	s_mov_b64 s[6:7], s[14:15]
                                        ; implicit-def: $vgpr35_vgpr36
                                        ; implicit-def: $vgpr39_vgpr40
	s_branch .LBB625_97
.LBB625_100:
	s_set_inst_prefetch_distance 0x2
	s_or_b32 exec_lo, exec_lo, s27
	v_cmp_gt_i64_e32 vcc_lo, s[14:15], v[41:42]
	s_or_not1_b32 s27, vcc_lo, exec_lo
.LBB625_101:
	s_or_b32 exec_lo, exec_lo, s35
.LBB625_102:
	v_mul_lo_u32 v39, v30, s14
	v_mul_lo_u32 v40, v29, s15
	v_mad_u64_u32 v[35:36], null, v29, s14, 0
	s_and_not1_b32 vcc_lo, exec_lo, s13
	s_mov_b32 s0, 0
	s_delay_alu instid0(VALU_DEP_1) | instskip(NEXT) | instid1(VALU_DEP_1)
	v_add3_u32 v36, v36, v40, v39
	v_lshlrev_b64 v[35:36], 3, v[35:36]
	s_cbranch_vccnz .LBB625_111
; %bb.103:
	s_delay_alu instid0(VALU_DEP_1) | instskip(NEXT) | instid1(VALU_DEP_2)
	v_add_co_u32 v39, vcc_lo, s20, v35
	v_add_co_ci_u32_e32 v40, vcc_lo, s21, v36, vcc_lo
	v_add_co_u32 v37, vcc_lo, s20, v37
	v_add_co_ci_u32_e32 v38, vcc_lo, s21, v38, vcc_lo
	s_mov_b32 s0, -1
	s_clause 0x1
	global_load_b64 v[41:42], v[39:40], off
	global_load_b64 v[44:45], v[37:38], off
	s_mov_b32 s35, exec_lo
	s_waitcnt vmcnt(0)
	v_cmpx_eq_u64_e64 v[41:42], v[44:45]
	s_cbranch_execz .LBB625_110
; %bb.104:
	v_add_co_u32 v37, vcc_lo, v37, 8
	v_add_co_ci_u32_e32 v38, vcc_lo, 0, v38, vcc_lo
	v_add_co_u32 v39, vcc_lo, v39, 8
	v_add_co_ci_u32_e32 v40, vcc_lo, 0, v40, vcc_lo
	s_add_u32 s4, s14, -1
	s_addc_u32 s5, s15, -1
	s_mov_b64 s[6:7], 0
	s_mov_b32 s36, 0
                                        ; implicit-def: $sgpr37
	s_set_inst_prefetch_distance 0x1
	s_branch .LBB625_107
	.p2align	6
.LBB625_105:                            ;   in Loop: Header=BB625_107 Depth=1
	global_load_b64 v[41:42], v[39:40], off
	global_load_b64 v[44:45], v[37:38], off
	v_add_co_u32 v37, vcc_lo, v37, 8
	v_add_co_ci_u32_e32 v38, vcc_lo, 0, v38, vcc_lo
	v_add_co_u32 v39, s0, v39, 8
	s_delay_alu instid0(VALU_DEP_1)
	v_add_co_ci_u32_e64 v40, s0, 0, v40, s0
	s_add_u32 s6, s6, 1
	s_addc_u32 s7, s7, 0
	s_and_not1_b32 s0, s37, exec_lo
	s_waitcnt vmcnt(0)
	v_cmp_ne_u64_e32 vcc_lo, v[41:42], v[44:45]
	s_and_b32 s37, vcc_lo, exec_lo
	s_delay_alu instid0(SALU_CYCLE_1)
	s_or_b32 s37, s0, s37
.LBB625_106:                            ;   in Loop: Header=BB625_107 Depth=1
	v_dual_mov_b32 v42, s7 :: v_dual_mov_b32 v41, s6
	s_and_b32 s0, exec_lo, s37
	s_delay_alu instid0(SALU_CYCLE_1) | instskip(NEXT) | instid1(SALU_CYCLE_1)
	s_or_b32 s36, s0, s36
	s_and_not1_b32 exec_lo, exec_lo, s36
	s_cbranch_execz .LBB625_109
.LBB625_107:                            ; =>This Inner Loop Header: Depth=1
	s_or_b32 s37, s37, exec_lo
	s_cmp_eq_u64 s[4:5], s[6:7]
	s_cbranch_scc0 .LBB625_105
; %bb.108:                              ;   in Loop: Header=BB625_107 Depth=1
	s_mov_b64 s[6:7], s[14:15]
                                        ; implicit-def: $vgpr37_vgpr38
                                        ; implicit-def: $vgpr39_vgpr40
	s_branch .LBB625_106
.LBB625_109:
	s_set_inst_prefetch_distance 0x2
	s_or_b32 exec_lo, exec_lo, s36
	v_cmp_gt_i64_e32 vcc_lo, s[14:15], v[41:42]
	s_or_not1_b32 s0, vcc_lo, exec_lo
.LBB625_110:
	s_or_b32 exec_lo, exec_lo, s35
.LBB625_111:
	s_waitcnt vmcnt(0)
	v_dual_mov_b32 v38, v34 :: v_dual_mov_b32 v37, v33
	s_waitcnt lgkmcnt(0)
	s_barrier
	buffer_gl0_inv
	s_and_saveexec_b32 s4, s3
	s_cbranch_execz .LBB625_113
; %bb.112:
	v_add_nc_u32_e32 v37, -8, v55
	ds_load_b64 v[37:38], v37
.LBB625_113:
	s_or_b32 exec_lo, exec_lo, s4
	v_cndmask_b32_e64 v40, 0, 1, s34
	v_cndmask_b32_e64 v42, 0, 1, s26
	;; [unrolled: 1-line block ×7, first 2 shown]
	v_lshlrev_b16 v40, 8, v40
	v_lshlrev_b16 v42, 8, v42
	;; [unrolled: 1-line block ×4, first 2 shown]
	s_mov_b32 s1, 0
	v_or_b32_e32 v39, v39, v40
	v_or_b32_e32 v40, v41, v42
	;; [unrolled: 1-line block ×3, first 2 shown]
	v_and_b32_e32 v41, 0xffff, v45
	s_and_not1_b32 vcc_lo, exec_lo, s13
	v_lshlrev_b32_e32 v42, 16, v39
	v_and_b32_e32 v44, 0xffff, v40
	v_lshlrev_b32_e32 v45, 16, v46
	s_mov_b32 s0, 0
	s_cbranch_vccnz .LBB625_122
; %bb.114:
	s_waitcnt lgkmcnt(0)
	v_mul_lo_u32 v40, v38, s14
	v_mul_lo_u32 v46, v37, s15
	v_mad_u64_u32 v[38:39], null, v37, s14, 0
	s_mov_b32 s0, -1
	s_mov_b32 s24, exec_lo
	s_delay_alu instid0(VALU_DEP_1) | instskip(NEXT) | instid1(VALU_DEP_1)
	v_add3_u32 v39, v39, v46, v40
	v_lshlrev_b64 v[37:38], 3, v[38:39]
	s_delay_alu instid0(VALU_DEP_1) | instskip(NEXT) | instid1(VALU_DEP_2)
	v_add_co_u32 v37, vcc_lo, s20, v37
	v_add_co_ci_u32_e32 v38, vcc_lo, s21, v38, vcc_lo
	v_add_co_u32 v35, vcc_lo, s20, v35
	v_add_co_ci_u32_e32 v36, vcc_lo, s21, v36, vcc_lo
	s_clause 0x1
	global_load_b64 v[39:40], v[37:38], off
	global_load_b64 v[46:47], v[35:36], off
	s_waitcnt vmcnt(0)
	v_cmpx_eq_u64_e64 v[39:40], v[46:47]
	s_cbranch_execz .LBB625_121
; %bb.115:
	v_add_co_u32 v35, vcc_lo, v35, 8
	v_add_co_ci_u32_e32 v36, vcc_lo, 0, v36, vcc_lo
	v_add_co_u32 v37, vcc_lo, v37, 8
	v_add_co_ci_u32_e32 v38, vcc_lo, 0, v38, vcc_lo
	s_add_u32 s4, s14, -1
	s_addc_u32 s5, s15, -1
	s_mov_b64 s[6:7], 0
	s_mov_b32 s25, 0
                                        ; implicit-def: $sgpr26
	s_set_inst_prefetch_distance 0x1
	s_branch .LBB625_118
	.p2align	6
.LBB625_116:                            ;   in Loop: Header=BB625_118 Depth=1
	global_load_b64 v[39:40], v[37:38], off
	global_load_b64 v[46:47], v[35:36], off
	v_add_co_u32 v35, vcc_lo, v35, 8
	v_add_co_ci_u32_e32 v36, vcc_lo, 0, v36, vcc_lo
	v_add_co_u32 v37, s0, v37, 8
	s_delay_alu instid0(VALU_DEP_1)
	v_add_co_ci_u32_e64 v38, s0, 0, v38, s0
	s_add_u32 s6, s6, 1
	s_addc_u32 s7, s7, 0
	s_and_not1_b32 s0, s26, exec_lo
	s_waitcnt vmcnt(0)
	v_cmp_ne_u64_e32 vcc_lo, v[39:40], v[46:47]
	s_and_b32 s26, vcc_lo, exec_lo
	s_delay_alu instid0(SALU_CYCLE_1)
	s_or_b32 s26, s0, s26
.LBB625_117:                            ;   in Loop: Header=BB625_118 Depth=1
	v_dual_mov_b32 v40, s7 :: v_dual_mov_b32 v39, s6
	s_and_b32 s0, exec_lo, s26
	s_delay_alu instid0(SALU_CYCLE_1) | instskip(NEXT) | instid1(SALU_CYCLE_1)
	s_or_b32 s25, s0, s25
	s_and_not1_b32 exec_lo, exec_lo, s25
	s_cbranch_execz .LBB625_120
.LBB625_118:                            ; =>This Inner Loop Header: Depth=1
	s_or_b32 s26, s26, exec_lo
	s_cmp_eq_u64 s[4:5], s[6:7]
	s_cbranch_scc0 .LBB625_116
; %bb.119:                              ;   in Loop: Header=BB625_118 Depth=1
	s_mov_b64 s[6:7], s[14:15]
                                        ; implicit-def: $vgpr35_vgpr36
                                        ; implicit-def: $vgpr37_vgpr38
	s_branch .LBB625_117
.LBB625_120:
	s_set_inst_prefetch_distance 0x2
	s_or_b32 exec_lo, exec_lo, s25
	v_cmp_gt_i64_e32 vcc_lo, s[14:15], v[39:40]
	s_or_not1_b32 s0, vcc_lo, exec_lo
.LBB625_121:
	s_or_b32 exec_lo, exec_lo, s24
.LBB625_122:
	v_or_b32_e32 v35, v41, v42
	s_delay_alu instid0(VALU_DEP_2)
	v_or_b32_e32 v36, v44, v45
	s_and_b32 vcc_lo, exec_lo, s1
	s_cbranch_vccz .LBB625_214
.LBB625_123:
	v_or_b32_e32 v35, 7, v55
	s_mov_b32 s1, 0
	s_mov_b32 s24, 0
	s_mov_b32 s25, exec_lo
	s_delay_alu instid0(VALU_DEP_1)
	v_cmpx_gt_u32_e64 s31, v35
	s_cbranch_execz .LBB625_134
; %bb.124:
	s_and_not1_b32 vcc_lo, exec_lo, s13
	s_mov_b32 s0, 0
	s_cbranch_vccnz .LBB625_133
; %bb.125:
	v_mul_lo_u32 v39, v18, s14
	v_mul_lo_u32 v40, v17, s15
	v_mad_u64_u32 v[35:36], null, v17, s14, 0
	v_mul_lo_u32 v41, v20, s14
	v_mul_lo_u32 v42, v19, s15
	s_waitcnt lgkmcnt(0)
	v_mad_u64_u32 v[37:38], null, v19, s14, 0
	s_mov_b32 s0, -1
	s_mov_b32 s13, exec_lo
	s_delay_alu instid0(VALU_DEP_4) | instskip(NEXT) | instid1(VALU_DEP_2)
	v_add3_u32 v36, v36, v40, v39
	v_add3_u32 v38, v38, v42, v41
	s_delay_alu instid0(VALU_DEP_2) | instskip(NEXT) | instid1(VALU_DEP_2)
	v_lshlrev_b64 v[35:36], 3, v[35:36]
	v_lshlrev_b64 v[39:40], 3, v[37:38]
	s_delay_alu instid0(VALU_DEP_2) | instskip(NEXT) | instid1(VALU_DEP_3)
	v_add_co_u32 v37, vcc_lo, s20, v35
	v_add_co_ci_u32_e32 v38, vcc_lo, s21, v36, vcc_lo
	s_delay_alu instid0(VALU_DEP_3) | instskip(NEXT) | instid1(VALU_DEP_4)
	v_add_co_u32 v35, vcc_lo, s20, v39
	v_add_co_ci_u32_e32 v36, vcc_lo, s21, v40, vcc_lo
	s_clause 0x1
	global_load_b64 v[39:40], v[37:38], off
	global_load_b64 v[41:42], v[35:36], off
	s_waitcnt vmcnt(0)
	v_cmpx_eq_u64_e64 v[39:40], v[41:42]
	s_cbranch_execz .LBB625_132
; %bb.126:
	v_add_co_u32 v35, vcc_lo, v35, 8
	v_add_co_ci_u32_e32 v36, vcc_lo, 0, v36, vcc_lo
	v_add_co_u32 v37, vcc_lo, v37, 8
	v_add_co_ci_u32_e32 v38, vcc_lo, 0, v38, vcc_lo
	s_add_u32 s4, s14, -1
	s_addc_u32 s5, s15, -1
	s_mov_b64 s[6:7], 0
                                        ; implicit-def: $sgpr26
	s_set_inst_prefetch_distance 0x1
	s_branch .LBB625_129
	.p2align	6
.LBB625_127:                            ;   in Loop: Header=BB625_129 Depth=1
	global_load_b64 v[39:40], v[37:38], off
	global_load_b64 v[41:42], v[35:36], off
	v_add_co_u32 v35, vcc_lo, v35, 8
	v_add_co_ci_u32_e32 v36, vcc_lo, 0, v36, vcc_lo
	v_add_co_u32 v37, s0, v37, 8
	s_delay_alu instid0(VALU_DEP_1)
	v_add_co_ci_u32_e64 v38, s0, 0, v38, s0
	s_add_u32 s6, s6, 1
	s_addc_u32 s7, s7, 0
	s_and_not1_b32 s0, s26, exec_lo
	s_waitcnt vmcnt(0)
	v_cmp_ne_u64_e32 vcc_lo, v[39:40], v[41:42]
	s_and_b32 s26, vcc_lo, exec_lo
	s_delay_alu instid0(SALU_CYCLE_1)
	s_or_b32 s26, s0, s26
.LBB625_128:                            ;   in Loop: Header=BB625_129 Depth=1
	v_dual_mov_b32 v40, s7 :: v_dual_mov_b32 v39, s6
	s_and_b32 s0, exec_lo, s26
	s_delay_alu instid0(SALU_CYCLE_1) | instskip(NEXT) | instid1(SALU_CYCLE_1)
	s_or_b32 s24, s0, s24
	s_and_not1_b32 exec_lo, exec_lo, s24
	s_cbranch_execz .LBB625_131
.LBB625_129:                            ; =>This Inner Loop Header: Depth=1
	s_or_b32 s26, s26, exec_lo
	s_cmp_eq_u64 s[4:5], s[6:7]
	s_cbranch_scc0 .LBB625_127
; %bb.130:                              ;   in Loop: Header=BB625_129 Depth=1
	s_mov_b64 s[6:7], s[14:15]
                                        ; implicit-def: $vgpr35_vgpr36
                                        ; implicit-def: $vgpr37_vgpr38
	s_branch .LBB625_128
.LBB625_131:
	s_set_inst_prefetch_distance 0x2
	s_or_b32 exec_lo, exec_lo, s24
	v_cmp_gt_i64_e32 vcc_lo, s[14:15], v[39:40]
	s_or_not1_b32 s0, vcc_lo, exec_lo
.LBB625_132:
	s_or_b32 exec_lo, exec_lo, s13
.LBB625_133:
	s_delay_alu instid0(SALU_CYCLE_1)
	s_and_b32 s24, s0, exec_lo
.LBB625_134:
	s_or_b32 exec_lo, exec_lo, s25
	v_or_b32_e32 v35, 6, v55
	s_mov_b32 s13, exec_lo
	s_delay_alu instid0(VALU_DEP_1)
	v_cmpx_gt_u32_e64 s31, v35
	s_cbranch_execz .LBB625_145
; %bb.135:
	v_cmp_ne_u32_e32 vcc_lo, 1, v43
	s_mov_b32 s0, 0
	s_cbranch_vccnz .LBB625_144
; %bb.136:
	v_mul_lo_u32 v39, v24, s14
	v_mul_lo_u32 v40, v23, s15
	v_mad_u64_u32 v[35:36], null, v23, s14, 0
	v_mul_lo_u32 v41, v18, s14
	v_mul_lo_u32 v42, v17, s15
	s_waitcnt lgkmcnt(0)
	v_mad_u64_u32 v[37:38], null, v17, s14, 0
	s_mov_b32 s0, -1
	s_mov_b32 s1, exec_lo
	s_delay_alu instid0(VALU_DEP_4) | instskip(NEXT) | instid1(VALU_DEP_2)
	v_add3_u32 v36, v36, v40, v39
	v_add3_u32 v38, v38, v42, v41
	s_delay_alu instid0(VALU_DEP_2) | instskip(NEXT) | instid1(VALU_DEP_2)
	v_lshlrev_b64 v[35:36], 3, v[35:36]
	v_lshlrev_b64 v[39:40], 3, v[37:38]
	s_delay_alu instid0(VALU_DEP_2) | instskip(NEXT) | instid1(VALU_DEP_3)
	v_add_co_u32 v37, vcc_lo, s20, v35
	v_add_co_ci_u32_e32 v38, vcc_lo, s21, v36, vcc_lo
	s_delay_alu instid0(VALU_DEP_3) | instskip(NEXT) | instid1(VALU_DEP_4)
	v_add_co_u32 v35, vcc_lo, s20, v39
	v_add_co_ci_u32_e32 v36, vcc_lo, s21, v40, vcc_lo
	s_clause 0x1
	global_load_b64 v[39:40], v[37:38], off
	global_load_b64 v[41:42], v[35:36], off
	s_waitcnt vmcnt(0)
	v_cmpx_eq_u64_e64 v[39:40], v[41:42]
	s_cbranch_execz .LBB625_143
; %bb.137:
	v_add_co_u32 v35, vcc_lo, v35, 8
	v_add_co_ci_u32_e32 v36, vcc_lo, 0, v36, vcc_lo
	v_add_co_u32 v37, vcc_lo, v37, 8
	v_add_co_ci_u32_e32 v38, vcc_lo, 0, v38, vcc_lo
	s_add_u32 s4, s14, -1
	s_addc_u32 s5, s15, -1
	s_mov_b64 s[6:7], 0
	s_mov_b32 s25, 0
                                        ; implicit-def: $sgpr26
	s_set_inst_prefetch_distance 0x1
	s_branch .LBB625_140
	.p2align	6
.LBB625_138:                            ;   in Loop: Header=BB625_140 Depth=1
	global_load_b64 v[39:40], v[37:38], off
	global_load_b64 v[41:42], v[35:36], off
	v_add_co_u32 v35, vcc_lo, v35, 8
	v_add_co_ci_u32_e32 v36, vcc_lo, 0, v36, vcc_lo
	v_add_co_u32 v37, s0, v37, 8
	s_delay_alu instid0(VALU_DEP_1)
	v_add_co_ci_u32_e64 v38, s0, 0, v38, s0
	s_add_u32 s6, s6, 1
	s_addc_u32 s7, s7, 0
	s_and_not1_b32 s0, s26, exec_lo
	s_waitcnt vmcnt(0)
	v_cmp_ne_u64_e32 vcc_lo, v[39:40], v[41:42]
	s_and_b32 s26, vcc_lo, exec_lo
	s_delay_alu instid0(SALU_CYCLE_1)
	s_or_b32 s26, s0, s26
.LBB625_139:                            ;   in Loop: Header=BB625_140 Depth=1
	v_dual_mov_b32 v40, s7 :: v_dual_mov_b32 v39, s6
	s_and_b32 s0, exec_lo, s26
	s_delay_alu instid0(SALU_CYCLE_1) | instskip(NEXT) | instid1(SALU_CYCLE_1)
	s_or_b32 s25, s0, s25
	s_and_not1_b32 exec_lo, exec_lo, s25
	s_cbranch_execz .LBB625_142
.LBB625_140:                            ; =>This Inner Loop Header: Depth=1
	s_or_b32 s26, s26, exec_lo
	s_cmp_eq_u64 s[4:5], s[6:7]
	s_cbranch_scc0 .LBB625_138
; %bb.141:                              ;   in Loop: Header=BB625_140 Depth=1
	s_mov_b64 s[6:7], s[14:15]
                                        ; implicit-def: $vgpr35_vgpr36
                                        ; implicit-def: $vgpr37_vgpr38
	s_branch .LBB625_139
.LBB625_142:
	s_set_inst_prefetch_distance 0x2
	s_or_b32 exec_lo, exec_lo, s25
	v_cmp_gt_i64_e32 vcc_lo, s[14:15], v[39:40]
	s_or_not1_b32 s0, vcc_lo, exec_lo
.LBB625_143:
	s_or_b32 exec_lo, exec_lo, s1
.LBB625_144:
	s_delay_alu instid0(SALU_CYCLE_1)
	s_and_b32 s1, s0, exec_lo
.LBB625_145:
	s_or_b32 exec_lo, exec_lo, s13
	v_or_b32_e32 v35, 5, v55
	s_mov_b32 s25, 0
	s_mov_b32 s13, 0
	s_mov_b32 s26, exec_lo
	s_delay_alu instid0(VALU_DEP_1)
	v_cmpx_gt_u32_e64 s31, v35
	s_cbranch_execz .LBB625_156
; %bb.146:
	v_cmp_ne_u32_e32 vcc_lo, 1, v43
	s_mov_b32 s0, 0
	s_cbranch_vccnz .LBB625_155
; %bb.147:
	v_mul_lo_u32 v39, v22, s14
	v_mul_lo_u32 v40, v21, s15
	v_mad_u64_u32 v[35:36], null, v21, s14, 0
	v_mul_lo_u32 v41, v24, s14
	v_mul_lo_u32 v42, v23, s15
	s_waitcnt lgkmcnt(0)
	v_mad_u64_u32 v[37:38], null, v23, s14, 0
	s_mov_b32 s0, -1
	s_mov_b32 s13, exec_lo
	s_delay_alu instid0(VALU_DEP_4) | instskip(NEXT) | instid1(VALU_DEP_2)
	v_add3_u32 v36, v36, v40, v39
	v_add3_u32 v38, v38, v42, v41
	s_delay_alu instid0(VALU_DEP_2) | instskip(NEXT) | instid1(VALU_DEP_2)
	v_lshlrev_b64 v[35:36], 3, v[35:36]
	v_lshlrev_b64 v[39:40], 3, v[37:38]
	s_delay_alu instid0(VALU_DEP_2) | instskip(NEXT) | instid1(VALU_DEP_3)
	v_add_co_u32 v37, vcc_lo, s20, v35
	v_add_co_ci_u32_e32 v38, vcc_lo, s21, v36, vcc_lo
	s_delay_alu instid0(VALU_DEP_3) | instskip(NEXT) | instid1(VALU_DEP_4)
	v_add_co_u32 v35, vcc_lo, s20, v39
	v_add_co_ci_u32_e32 v36, vcc_lo, s21, v40, vcc_lo
	s_clause 0x1
	global_load_b64 v[39:40], v[37:38], off
	global_load_b64 v[41:42], v[35:36], off
	s_waitcnt vmcnt(0)
	v_cmpx_eq_u64_e64 v[39:40], v[41:42]
	s_cbranch_execz .LBB625_154
; %bb.148:
	v_add_co_u32 v35, vcc_lo, v35, 8
	v_add_co_ci_u32_e32 v36, vcc_lo, 0, v36, vcc_lo
	v_add_co_u32 v37, vcc_lo, v37, 8
	v_add_co_ci_u32_e32 v38, vcc_lo, 0, v38, vcc_lo
	s_add_u32 s4, s14, -1
	s_addc_u32 s5, s15, -1
	s_mov_b64 s[6:7], 0
	s_mov_b32 s27, 0
                                        ; implicit-def: $sgpr34
	s_set_inst_prefetch_distance 0x1
	s_branch .LBB625_151
	.p2align	6
.LBB625_149:                            ;   in Loop: Header=BB625_151 Depth=1
	global_load_b64 v[39:40], v[37:38], off
	global_load_b64 v[41:42], v[35:36], off
	v_add_co_u32 v35, vcc_lo, v35, 8
	v_add_co_ci_u32_e32 v36, vcc_lo, 0, v36, vcc_lo
	v_add_co_u32 v37, s0, v37, 8
	s_delay_alu instid0(VALU_DEP_1)
	v_add_co_ci_u32_e64 v38, s0, 0, v38, s0
	s_add_u32 s6, s6, 1
	s_addc_u32 s7, s7, 0
	s_and_not1_b32 s0, s34, exec_lo
	s_waitcnt vmcnt(0)
	v_cmp_ne_u64_e32 vcc_lo, v[39:40], v[41:42]
	s_and_b32 s34, vcc_lo, exec_lo
	s_delay_alu instid0(SALU_CYCLE_1)
	s_or_b32 s34, s0, s34
.LBB625_150:                            ;   in Loop: Header=BB625_151 Depth=1
	v_dual_mov_b32 v40, s7 :: v_dual_mov_b32 v39, s6
	s_and_b32 s0, exec_lo, s34
	s_delay_alu instid0(SALU_CYCLE_1) | instskip(NEXT) | instid1(SALU_CYCLE_1)
	s_or_b32 s27, s0, s27
	s_and_not1_b32 exec_lo, exec_lo, s27
	s_cbranch_execz .LBB625_153
.LBB625_151:                            ; =>This Inner Loop Header: Depth=1
	s_or_b32 s34, s34, exec_lo
	s_cmp_eq_u64 s[4:5], s[6:7]
	s_cbranch_scc0 .LBB625_149
; %bb.152:                              ;   in Loop: Header=BB625_151 Depth=1
	s_mov_b64 s[6:7], s[14:15]
                                        ; implicit-def: $vgpr35_vgpr36
                                        ; implicit-def: $vgpr37_vgpr38
	s_branch .LBB625_150
.LBB625_153:
	s_set_inst_prefetch_distance 0x2
	s_or_b32 exec_lo, exec_lo, s27
	v_cmp_gt_i64_e32 vcc_lo, s[14:15], v[39:40]
	s_or_not1_b32 s0, vcc_lo, exec_lo
.LBB625_154:
	s_or_b32 exec_lo, exec_lo, s13
.LBB625_155:
	s_delay_alu instid0(SALU_CYCLE_1)
	s_and_b32 s13, s0, exec_lo
.LBB625_156:
	s_or_b32 exec_lo, exec_lo, s26
	v_or_b32_e32 v35, 4, v55
	s_mov_b32 s26, exec_lo
	s_delay_alu instid0(VALU_DEP_1)
	v_cmpx_gt_u32_e64 s31, v35
	s_cbranch_execz .LBB625_167
; %bb.157:
	v_cmp_ne_u32_e32 vcc_lo, 1, v43
	s_mov_b32 s0, 0
	s_cbranch_vccnz .LBB625_166
; %bb.158:
	v_mul_lo_u32 v39, v28, s14
	v_mul_lo_u32 v40, v27, s15
	v_mad_u64_u32 v[35:36], null, v27, s14, 0
	v_mul_lo_u32 v41, v22, s14
	v_mul_lo_u32 v42, v21, s15
	s_waitcnt lgkmcnt(0)
	v_mad_u64_u32 v[37:38], null, v21, s14, 0
	s_mov_b32 s0, -1
	s_mov_b32 s25, exec_lo
	s_delay_alu instid0(VALU_DEP_4) | instskip(NEXT) | instid1(VALU_DEP_2)
	v_add3_u32 v36, v36, v40, v39
	v_add3_u32 v38, v38, v42, v41
	s_delay_alu instid0(VALU_DEP_2) | instskip(NEXT) | instid1(VALU_DEP_2)
	v_lshlrev_b64 v[35:36], 3, v[35:36]
	v_lshlrev_b64 v[39:40], 3, v[37:38]
	s_delay_alu instid0(VALU_DEP_2) | instskip(NEXT) | instid1(VALU_DEP_3)
	v_add_co_u32 v37, vcc_lo, s20, v35
	v_add_co_ci_u32_e32 v38, vcc_lo, s21, v36, vcc_lo
	s_delay_alu instid0(VALU_DEP_3) | instskip(NEXT) | instid1(VALU_DEP_4)
	v_add_co_u32 v35, vcc_lo, s20, v39
	v_add_co_ci_u32_e32 v36, vcc_lo, s21, v40, vcc_lo
	s_clause 0x1
	global_load_b64 v[39:40], v[37:38], off
	global_load_b64 v[41:42], v[35:36], off
	s_waitcnt vmcnt(0)
	v_cmpx_eq_u64_e64 v[39:40], v[41:42]
	s_cbranch_execz .LBB625_165
; %bb.159:
	v_add_co_u32 v35, vcc_lo, v35, 8
	v_add_co_ci_u32_e32 v36, vcc_lo, 0, v36, vcc_lo
	v_add_co_u32 v37, vcc_lo, v37, 8
	v_add_co_ci_u32_e32 v38, vcc_lo, 0, v38, vcc_lo
	s_add_u32 s4, s14, -1
	s_addc_u32 s5, s15, -1
	s_mov_b64 s[6:7], 0
	s_mov_b32 s27, 0
                                        ; implicit-def: $sgpr34
	s_set_inst_prefetch_distance 0x1
	s_branch .LBB625_162
	.p2align	6
.LBB625_160:                            ;   in Loop: Header=BB625_162 Depth=1
	global_load_b64 v[39:40], v[37:38], off
	global_load_b64 v[41:42], v[35:36], off
	v_add_co_u32 v35, vcc_lo, v35, 8
	v_add_co_ci_u32_e32 v36, vcc_lo, 0, v36, vcc_lo
	v_add_co_u32 v37, s0, v37, 8
	s_delay_alu instid0(VALU_DEP_1)
	v_add_co_ci_u32_e64 v38, s0, 0, v38, s0
	s_add_u32 s6, s6, 1
	s_addc_u32 s7, s7, 0
	s_and_not1_b32 s0, s34, exec_lo
	s_waitcnt vmcnt(0)
	v_cmp_ne_u64_e32 vcc_lo, v[39:40], v[41:42]
	s_and_b32 s34, vcc_lo, exec_lo
	s_delay_alu instid0(SALU_CYCLE_1)
	s_or_b32 s34, s0, s34
.LBB625_161:                            ;   in Loop: Header=BB625_162 Depth=1
	v_dual_mov_b32 v40, s7 :: v_dual_mov_b32 v39, s6
	s_and_b32 s0, exec_lo, s34
	s_delay_alu instid0(SALU_CYCLE_1) | instskip(NEXT) | instid1(SALU_CYCLE_1)
	s_or_b32 s27, s0, s27
	s_and_not1_b32 exec_lo, exec_lo, s27
	s_cbranch_execz .LBB625_164
.LBB625_162:                            ; =>This Inner Loop Header: Depth=1
	s_or_b32 s34, s34, exec_lo
	s_cmp_eq_u64 s[4:5], s[6:7]
	s_cbranch_scc0 .LBB625_160
; %bb.163:                              ;   in Loop: Header=BB625_162 Depth=1
	s_mov_b64 s[6:7], s[14:15]
                                        ; implicit-def: $vgpr35_vgpr36
                                        ; implicit-def: $vgpr37_vgpr38
	s_branch .LBB625_161
.LBB625_164:
	s_set_inst_prefetch_distance 0x2
	s_or_b32 exec_lo, exec_lo, s27
	v_cmp_gt_i64_e32 vcc_lo, s[14:15], v[39:40]
	s_or_not1_b32 s0, vcc_lo, exec_lo
.LBB625_165:
	s_or_b32 exec_lo, exec_lo, s25
.LBB625_166:
	s_delay_alu instid0(SALU_CYCLE_1)
	s_and_b32 s25, s0, exec_lo
.LBB625_167:
	s_or_b32 exec_lo, exec_lo, s26
	v_or_b32_e32 v35, 3, v55
	s_mov_b32 s27, 0
	s_mov_b32 s26, 0
	s_mov_b32 s34, exec_lo
	s_delay_alu instid0(VALU_DEP_1)
	v_cmpx_gt_u32_e64 s31, v35
	s_cbranch_execz .LBB625_178
; %bb.168:
	v_cmp_ne_u32_e32 vcc_lo, 1, v43
	s_mov_b32 s0, 0
	s_cbranch_vccnz .LBB625_177
; %bb.169:
	v_mul_lo_u32 v39, v26, s14
	v_mul_lo_u32 v40, v25, s15
	v_mad_u64_u32 v[35:36], null, v25, s14, 0
	v_mul_lo_u32 v41, v28, s14
	v_mul_lo_u32 v42, v27, s15
	s_waitcnt lgkmcnt(0)
	v_mad_u64_u32 v[37:38], null, v27, s14, 0
	s_mov_b32 s0, -1
	s_mov_b32 s26, exec_lo
	s_delay_alu instid0(VALU_DEP_4) | instskip(NEXT) | instid1(VALU_DEP_2)
	v_add3_u32 v36, v36, v40, v39
	v_add3_u32 v38, v38, v42, v41
	s_delay_alu instid0(VALU_DEP_2) | instskip(NEXT) | instid1(VALU_DEP_2)
	v_lshlrev_b64 v[35:36], 3, v[35:36]
	v_lshlrev_b64 v[39:40], 3, v[37:38]
	s_delay_alu instid0(VALU_DEP_2) | instskip(NEXT) | instid1(VALU_DEP_3)
	v_add_co_u32 v37, vcc_lo, s20, v35
	v_add_co_ci_u32_e32 v38, vcc_lo, s21, v36, vcc_lo
	s_delay_alu instid0(VALU_DEP_3) | instskip(NEXT) | instid1(VALU_DEP_4)
	v_add_co_u32 v35, vcc_lo, s20, v39
	v_add_co_ci_u32_e32 v36, vcc_lo, s21, v40, vcc_lo
	s_clause 0x1
	global_load_b64 v[39:40], v[37:38], off
	global_load_b64 v[41:42], v[35:36], off
	s_waitcnt vmcnt(0)
	v_cmpx_eq_u64_e64 v[39:40], v[41:42]
	s_cbranch_execz .LBB625_176
; %bb.170:
	v_add_co_u32 v35, vcc_lo, v35, 8
	v_add_co_ci_u32_e32 v36, vcc_lo, 0, v36, vcc_lo
	v_add_co_u32 v37, vcc_lo, v37, 8
	v_add_co_ci_u32_e32 v38, vcc_lo, 0, v38, vcc_lo
	s_add_u32 s4, s14, -1
	s_addc_u32 s5, s15, -1
	s_mov_b64 s[6:7], 0
	s_mov_b32 s35, 0
                                        ; implicit-def: $sgpr36
	s_set_inst_prefetch_distance 0x1
	s_branch .LBB625_173
	.p2align	6
.LBB625_171:                            ;   in Loop: Header=BB625_173 Depth=1
	global_load_b64 v[39:40], v[37:38], off
	global_load_b64 v[41:42], v[35:36], off
	v_add_co_u32 v35, vcc_lo, v35, 8
	v_add_co_ci_u32_e32 v36, vcc_lo, 0, v36, vcc_lo
	v_add_co_u32 v37, s0, v37, 8
	s_delay_alu instid0(VALU_DEP_1)
	v_add_co_ci_u32_e64 v38, s0, 0, v38, s0
	s_add_u32 s6, s6, 1
	s_addc_u32 s7, s7, 0
	s_and_not1_b32 s0, s36, exec_lo
	s_waitcnt vmcnt(0)
	v_cmp_ne_u64_e32 vcc_lo, v[39:40], v[41:42]
	s_and_b32 s36, vcc_lo, exec_lo
	s_delay_alu instid0(SALU_CYCLE_1)
	s_or_b32 s36, s0, s36
.LBB625_172:                            ;   in Loop: Header=BB625_173 Depth=1
	v_dual_mov_b32 v40, s7 :: v_dual_mov_b32 v39, s6
	s_and_b32 s0, exec_lo, s36
	s_delay_alu instid0(SALU_CYCLE_1) | instskip(NEXT) | instid1(SALU_CYCLE_1)
	s_or_b32 s35, s0, s35
	s_and_not1_b32 exec_lo, exec_lo, s35
	s_cbranch_execz .LBB625_175
.LBB625_173:                            ; =>This Inner Loop Header: Depth=1
	s_or_b32 s36, s36, exec_lo
	s_cmp_eq_u64 s[4:5], s[6:7]
	s_cbranch_scc0 .LBB625_171
; %bb.174:                              ;   in Loop: Header=BB625_173 Depth=1
	s_mov_b64 s[6:7], s[14:15]
                                        ; implicit-def: $vgpr35_vgpr36
                                        ; implicit-def: $vgpr37_vgpr38
	s_branch .LBB625_172
.LBB625_175:
	s_set_inst_prefetch_distance 0x2
	s_or_b32 exec_lo, exec_lo, s35
	v_cmp_gt_i64_e32 vcc_lo, s[14:15], v[39:40]
	s_or_not1_b32 s0, vcc_lo, exec_lo
.LBB625_176:
	s_or_b32 exec_lo, exec_lo, s26
.LBB625_177:
	s_delay_alu instid0(SALU_CYCLE_1)
	s_and_b32 s26, s0, exec_lo
.LBB625_178:
	s_or_b32 exec_lo, exec_lo, s34
	v_or_b32_e32 v35, 2, v55
	s_mov_b32 s34, exec_lo
	s_delay_alu instid0(VALU_DEP_1)
	v_cmpx_gt_u32_e64 s31, v35
	s_cbranch_execz .LBB625_189
; %bb.179:
	v_cmp_ne_u32_e32 vcc_lo, 1, v43
	s_mov_b32 s0, 0
	s_cbranch_vccnz .LBB625_188
; %bb.180:
	v_mul_lo_u32 v39, v32, s14
	v_mul_lo_u32 v40, v31, s15
	v_mad_u64_u32 v[35:36], null, v31, s14, 0
	v_mul_lo_u32 v41, v26, s14
	v_mul_lo_u32 v42, v25, s15
	s_waitcnt lgkmcnt(0)
	v_mad_u64_u32 v[37:38], null, v25, s14, 0
	s_mov_b32 s0, -1
	s_mov_b32 s27, exec_lo
	s_delay_alu instid0(VALU_DEP_4) | instskip(NEXT) | instid1(VALU_DEP_2)
	v_add3_u32 v36, v36, v40, v39
	v_add3_u32 v38, v38, v42, v41
	s_delay_alu instid0(VALU_DEP_2) | instskip(NEXT) | instid1(VALU_DEP_2)
	v_lshlrev_b64 v[35:36], 3, v[35:36]
	v_lshlrev_b64 v[39:40], 3, v[37:38]
	s_delay_alu instid0(VALU_DEP_2) | instskip(NEXT) | instid1(VALU_DEP_3)
	v_add_co_u32 v37, vcc_lo, s20, v35
	v_add_co_ci_u32_e32 v38, vcc_lo, s21, v36, vcc_lo
	s_delay_alu instid0(VALU_DEP_3) | instskip(NEXT) | instid1(VALU_DEP_4)
	v_add_co_u32 v35, vcc_lo, s20, v39
	v_add_co_ci_u32_e32 v36, vcc_lo, s21, v40, vcc_lo
	s_clause 0x1
	global_load_b64 v[39:40], v[37:38], off
	global_load_b64 v[41:42], v[35:36], off
	s_waitcnt vmcnt(0)
	v_cmpx_eq_u64_e64 v[39:40], v[41:42]
	s_cbranch_execz .LBB625_187
; %bb.181:
	v_add_co_u32 v35, vcc_lo, v35, 8
	v_add_co_ci_u32_e32 v36, vcc_lo, 0, v36, vcc_lo
	v_add_co_u32 v37, vcc_lo, v37, 8
	v_add_co_ci_u32_e32 v38, vcc_lo, 0, v38, vcc_lo
	s_add_u32 s4, s14, -1
	s_addc_u32 s5, s15, -1
	s_mov_b64 s[6:7], 0
	s_mov_b32 s35, 0
                                        ; implicit-def: $sgpr36
	s_set_inst_prefetch_distance 0x1
	s_branch .LBB625_184
	.p2align	6
.LBB625_182:                            ;   in Loop: Header=BB625_184 Depth=1
	global_load_b64 v[39:40], v[37:38], off
	global_load_b64 v[41:42], v[35:36], off
	v_add_co_u32 v35, vcc_lo, v35, 8
	v_add_co_ci_u32_e32 v36, vcc_lo, 0, v36, vcc_lo
	v_add_co_u32 v37, s0, v37, 8
	s_delay_alu instid0(VALU_DEP_1)
	v_add_co_ci_u32_e64 v38, s0, 0, v38, s0
	s_add_u32 s6, s6, 1
	s_addc_u32 s7, s7, 0
	s_and_not1_b32 s0, s36, exec_lo
	s_waitcnt vmcnt(0)
	v_cmp_ne_u64_e32 vcc_lo, v[39:40], v[41:42]
	s_and_b32 s36, vcc_lo, exec_lo
	s_delay_alu instid0(SALU_CYCLE_1)
	s_or_b32 s36, s0, s36
.LBB625_183:                            ;   in Loop: Header=BB625_184 Depth=1
	v_dual_mov_b32 v40, s7 :: v_dual_mov_b32 v39, s6
	s_and_b32 s0, exec_lo, s36
	s_delay_alu instid0(SALU_CYCLE_1) | instskip(NEXT) | instid1(SALU_CYCLE_1)
	s_or_b32 s35, s0, s35
	s_and_not1_b32 exec_lo, exec_lo, s35
	s_cbranch_execz .LBB625_186
.LBB625_184:                            ; =>This Inner Loop Header: Depth=1
	s_or_b32 s36, s36, exec_lo
	s_cmp_eq_u64 s[4:5], s[6:7]
	s_cbranch_scc0 .LBB625_182
; %bb.185:                              ;   in Loop: Header=BB625_184 Depth=1
	s_mov_b64 s[6:7], s[14:15]
                                        ; implicit-def: $vgpr35_vgpr36
                                        ; implicit-def: $vgpr37_vgpr38
	s_branch .LBB625_183
.LBB625_186:
	s_set_inst_prefetch_distance 0x2
	s_or_b32 exec_lo, exec_lo, s35
	v_cmp_gt_i64_e32 vcc_lo, s[14:15], v[39:40]
	s_or_not1_b32 s0, vcc_lo, exec_lo
.LBB625_187:
	s_or_b32 exec_lo, exec_lo, s27
.LBB625_188:
	s_delay_alu instid0(SALU_CYCLE_1)
	s_and_b32 s27, s0, exec_lo
.LBB625_189:
	s_or_b32 exec_lo, exec_lo, s34
	v_or_b32_e32 v35, 1, v55
	s_mov_b32 s0, 0
	s_mov_b32 s34, exec_lo
	s_delay_alu instid0(VALU_DEP_1)
	v_cmpx_gt_u32_e64 s31, v35
	s_cbranch_execz .LBB625_200
; %bb.190:
	v_cmp_ne_u32_e32 vcc_lo, 1, v43
	s_cbranch_vccnz .LBB625_199
; %bb.191:
	v_mul_lo_u32 v39, v30, s14
	v_mul_lo_u32 v40, v29, s15
	v_mad_u64_u32 v[35:36], null, v29, s14, 0
	v_mul_lo_u32 v41, v32, s14
	v_mul_lo_u32 v42, v31, s15
	s_waitcnt lgkmcnt(0)
	v_mad_u64_u32 v[37:38], null, v31, s14, 0
	s_mov_b32 s0, -1
	s_mov_b32 s35, exec_lo
	s_delay_alu instid0(VALU_DEP_4) | instskip(NEXT) | instid1(VALU_DEP_2)
	v_add3_u32 v36, v36, v40, v39
	v_add3_u32 v38, v38, v42, v41
	s_delay_alu instid0(VALU_DEP_2) | instskip(NEXT) | instid1(VALU_DEP_2)
	v_lshlrev_b64 v[35:36], 3, v[35:36]
	v_lshlrev_b64 v[39:40], 3, v[37:38]
	s_delay_alu instid0(VALU_DEP_2) | instskip(NEXT) | instid1(VALU_DEP_3)
	v_add_co_u32 v37, vcc_lo, s20, v35
	v_add_co_ci_u32_e32 v38, vcc_lo, s21, v36, vcc_lo
	s_delay_alu instid0(VALU_DEP_3) | instskip(NEXT) | instid1(VALU_DEP_4)
	v_add_co_u32 v35, vcc_lo, s20, v39
	v_add_co_ci_u32_e32 v36, vcc_lo, s21, v40, vcc_lo
	s_clause 0x1
	global_load_b64 v[39:40], v[37:38], off
	global_load_b64 v[41:42], v[35:36], off
	s_waitcnt vmcnt(0)
	v_cmpx_eq_u64_e64 v[39:40], v[41:42]
	s_cbranch_execz .LBB625_198
; %bb.192:
	v_add_co_u32 v35, vcc_lo, v35, 8
	v_add_co_ci_u32_e32 v36, vcc_lo, 0, v36, vcc_lo
	v_add_co_u32 v37, vcc_lo, v37, 8
	v_add_co_ci_u32_e32 v38, vcc_lo, 0, v38, vcc_lo
	s_add_u32 s4, s14, -1
	s_addc_u32 s5, s15, -1
	s_mov_b64 s[6:7], 0
	s_mov_b32 s36, 0
                                        ; implicit-def: $sgpr37
	s_set_inst_prefetch_distance 0x1
	s_branch .LBB625_195
	.p2align	6
.LBB625_193:                            ;   in Loop: Header=BB625_195 Depth=1
	global_load_b64 v[39:40], v[37:38], off
	global_load_b64 v[41:42], v[35:36], off
	v_add_co_u32 v35, vcc_lo, v35, 8
	v_add_co_ci_u32_e32 v36, vcc_lo, 0, v36, vcc_lo
	v_add_co_u32 v37, s0, v37, 8
	s_delay_alu instid0(VALU_DEP_1)
	v_add_co_ci_u32_e64 v38, s0, 0, v38, s0
	s_add_u32 s6, s6, 1
	s_addc_u32 s7, s7, 0
	s_and_not1_b32 s0, s37, exec_lo
	s_waitcnt vmcnt(0)
	v_cmp_ne_u64_e32 vcc_lo, v[39:40], v[41:42]
	s_and_b32 s37, vcc_lo, exec_lo
	s_delay_alu instid0(SALU_CYCLE_1)
	s_or_b32 s37, s0, s37
.LBB625_194:                            ;   in Loop: Header=BB625_195 Depth=1
	v_dual_mov_b32 v40, s7 :: v_dual_mov_b32 v39, s6
	s_and_b32 s0, exec_lo, s37
	s_delay_alu instid0(SALU_CYCLE_1) | instskip(NEXT) | instid1(SALU_CYCLE_1)
	s_or_b32 s36, s0, s36
	s_and_not1_b32 exec_lo, exec_lo, s36
	s_cbranch_execz .LBB625_197
.LBB625_195:                            ; =>This Inner Loop Header: Depth=1
	s_or_b32 s37, s37, exec_lo
	s_cmp_eq_u64 s[4:5], s[6:7]
	s_cbranch_scc0 .LBB625_193
; %bb.196:                              ;   in Loop: Header=BB625_195 Depth=1
	s_mov_b64 s[6:7], s[14:15]
                                        ; implicit-def: $vgpr35_vgpr36
                                        ; implicit-def: $vgpr37_vgpr38
	s_branch .LBB625_194
.LBB625_197:
	s_set_inst_prefetch_distance 0x2
	s_or_b32 exec_lo, exec_lo, s36
	v_cmp_gt_i64_e32 vcc_lo, s[14:15], v[39:40]
	s_or_not1_b32 s0, vcc_lo, exec_lo
.LBB625_198:
	s_or_b32 exec_lo, exec_lo, s35
.LBB625_199:
	s_delay_alu instid0(SALU_CYCLE_1)
	s_and_b32 s0, s0, exec_lo
.LBB625_200:
	s_or_b32 exec_lo, exec_lo, s34
	s_waitcnt vmcnt(0) lgkmcnt(0)
	s_barrier
	buffer_gl0_inv
	s_and_saveexec_b32 s4, s3
	s_cbranch_execz .LBB625_202
; %bb.201:
	v_add_nc_u32_e32 v33, -8, v55
	ds_load_b64 v[33:34], v33
.LBB625_202:
	s_or_b32 exec_lo, exec_lo, s4
	v_cndmask_b32_e64 v36, 0, 1, s26
	v_cndmask_b32_e64 v38, 0, 1, s13
	;; [unrolled: 1-line block ×7, first 2 shown]
	v_lshlrev_b16 v36, 8, v36
	v_lshlrev_b16 v38, 8, v38
	;; [unrolled: 1-line block ×3, first 2 shown]
	s_mov_b32 s0, 0
	v_lshlrev_b16 v41, 8, v41
	v_or_b32_e32 v35, v35, v36
	v_or_b32_e32 v36, v37, v38
	;; [unrolled: 1-line block ×3, first 2 shown]
	s_mov_b32 s1, exec_lo
	v_and_b32_e32 v39, 0xffff, v41
	v_lshlrev_b32_e32 v40, 16, v35
	v_and_b32_e32 v41, 0xffff, v36
	v_lshlrev_b32_e32 v42, 16, v37
	v_cmpx_gt_u32_e64 s31, v55
	s_cbranch_execz .LBB625_213
; %bb.203:
	v_cmp_ne_u32_e32 vcc_lo, 1, v43
	s_cbranch_vccnz .LBB625_212
; %bb.204:
	s_waitcnt lgkmcnt(0)
	v_mul_lo_u32 v38, v34, s14
	v_mul_lo_u32 v43, v33, s15
	v_mad_u64_u32 v[34:35], null, v33, s14, 0
	v_mul_lo_u32 v33, v30, s14
	v_mul_lo_u32 v44, v29, s15
	v_mad_u64_u32 v[36:37], null, v29, s14, 0
	s_mov_b32 s0, -1
	s_mov_b32 s13, exec_lo
	s_delay_alu instid0(VALU_DEP_4) | instskip(NEXT) | instid1(VALU_DEP_2)
	v_add3_u32 v35, v35, v43, v38
	v_add3_u32 v37, v37, v44, v33
	s_delay_alu instid0(VALU_DEP_2) | instskip(NEXT) | instid1(VALU_DEP_2)
	v_lshlrev_b64 v[33:34], 3, v[34:35]
	v_lshlrev_b64 v[37:38], 3, v[36:37]
	s_delay_alu instid0(VALU_DEP_2) | instskip(NEXT) | instid1(VALU_DEP_3)
	v_add_co_u32 v35, vcc_lo, s20, v33
	v_add_co_ci_u32_e32 v36, vcc_lo, s21, v34, vcc_lo
	s_delay_alu instid0(VALU_DEP_3) | instskip(NEXT) | instid1(VALU_DEP_4)
	v_add_co_u32 v33, vcc_lo, s20, v37
	v_add_co_ci_u32_e32 v34, vcc_lo, s21, v38, vcc_lo
	s_clause 0x1
	global_load_b64 v[37:38], v[35:36], off
	global_load_b64 v[43:44], v[33:34], off
	s_waitcnt vmcnt(0)
	v_cmpx_eq_u64_e64 v[37:38], v[43:44]
	s_cbranch_execz .LBB625_211
; %bb.205:
	v_add_co_u32 v33, vcc_lo, v33, 8
	v_add_co_ci_u32_e32 v34, vcc_lo, 0, v34, vcc_lo
	v_add_co_u32 v35, vcc_lo, v35, 8
	v_add_co_ci_u32_e32 v36, vcc_lo, 0, v36, vcc_lo
	s_add_u32 s4, s14, -1
	s_addc_u32 s5, s15, -1
	s_mov_b64 s[6:7], 0
	s_mov_b32 s24, 0
                                        ; implicit-def: $sgpr25
	s_set_inst_prefetch_distance 0x1
	s_branch .LBB625_208
	.p2align	6
.LBB625_206:                            ;   in Loop: Header=BB625_208 Depth=1
	global_load_b64 v[37:38], v[35:36], off
	global_load_b64 v[43:44], v[33:34], off
	v_add_co_u32 v33, vcc_lo, v33, 8
	v_add_co_ci_u32_e32 v34, vcc_lo, 0, v34, vcc_lo
	v_add_co_u32 v35, s0, v35, 8
	s_delay_alu instid0(VALU_DEP_1)
	v_add_co_ci_u32_e64 v36, s0, 0, v36, s0
	s_add_u32 s6, s6, 1
	s_addc_u32 s7, s7, 0
	s_and_not1_b32 s0, s25, exec_lo
	s_waitcnt vmcnt(0)
	v_cmp_ne_u64_e32 vcc_lo, v[37:38], v[43:44]
	s_and_b32 s25, vcc_lo, exec_lo
	s_delay_alu instid0(SALU_CYCLE_1)
	s_or_b32 s25, s0, s25
.LBB625_207:                            ;   in Loop: Header=BB625_208 Depth=1
	v_dual_mov_b32 v38, s7 :: v_dual_mov_b32 v37, s6
	s_and_b32 s0, exec_lo, s25
	s_delay_alu instid0(SALU_CYCLE_1) | instskip(NEXT) | instid1(SALU_CYCLE_1)
	s_or_b32 s24, s0, s24
	s_and_not1_b32 exec_lo, exec_lo, s24
	s_cbranch_execz .LBB625_210
.LBB625_208:                            ; =>This Inner Loop Header: Depth=1
	s_or_b32 s25, s25, exec_lo
	s_cmp_eq_u64 s[4:5], s[6:7]
	s_cbranch_scc0 .LBB625_206
; %bb.209:                              ;   in Loop: Header=BB625_208 Depth=1
	s_mov_b64 s[6:7], s[14:15]
                                        ; implicit-def: $vgpr33_vgpr34
                                        ; implicit-def: $vgpr35_vgpr36
	s_branch .LBB625_207
.LBB625_210:
	s_set_inst_prefetch_distance 0x2
	s_or_b32 exec_lo, exec_lo, s24
	v_cmp_gt_i64_e32 vcc_lo, s[14:15], v[37:38]
	s_or_not1_b32 s0, vcc_lo, exec_lo
.LBB625_211:
	s_or_b32 exec_lo, exec_lo, s13
.LBB625_212:
	s_delay_alu instid0(SALU_CYCLE_1)
	s_and_b32 s0, s0, exec_lo
.LBB625_213:
	s_or_b32 exec_lo, exec_lo, s1
	v_or_b32_e32 v35, v39, v40
	v_or_b32_e32 v36, v41, v42
.LBB625_214:
	s_mov_b32 s1, -1
	s_cbranch_execnz .LBB625_383
.LBB625_215:
	v_cmp_gt_i64_e64 s13, s[14:15], 0
	s_and_b32 vcc_lo, exec_lo, s29
	ds_store_b64 v55, v[19:20]
	s_cbranch_vccz .LBB625_223
; %bb.216:
	v_mul_lo_u32 v35, v18, s14
	v_mul_lo_u32 v36, v17, s15
	s_waitcnt vmcnt(0) lgkmcnt(1)
	v_mad_u64_u32 v[33:34], null, v17, s14, 0
	s_mov_b32 s24, 0
	s_and_not1_b32 vcc_lo, exec_lo, s13
	s_mov_b32 s25, 0
	s_delay_alu instid0(VALU_DEP_1) | instskip(NEXT) | instid1(VALU_DEP_1)
	v_add3_u32 v34, v34, v36, v35
	v_lshlrev_b64 v[33:34], 3, v[33:34]
	s_cbranch_vccnz .LBB625_226
; %bb.217:
	v_mul_lo_u32 v37, v20, s14
	v_mul_lo_u32 v38, v19, s15
	v_mad_u64_u32 v[35:36], null, v19, s14, 0
	s_mov_b32 s25, -1
	s_mov_b32 s26, exec_lo
	s_delay_alu instid0(VALU_DEP_1) | instskip(SKIP_2) | instid1(VALU_DEP_3)
	v_add3_u32 v36, v36, v38, v37
	v_add_co_u32 v37, vcc_lo, s20, v33
	v_add_co_ci_u32_e32 v38, vcc_lo, s21, v34, vcc_lo
	v_lshlrev_b64 v[35:36], 3, v[35:36]
	s_delay_alu instid0(VALU_DEP_1) | instskip(NEXT) | instid1(VALU_DEP_2)
	v_add_co_u32 v35, vcc_lo, s20, v35
	v_add_co_ci_u32_e32 v36, vcc_lo, s21, v36, vcc_lo
	s_clause 0x1
	global_load_b64 v[39:40], v[37:38], off
	global_load_b64 v[41:42], v[35:36], off
	s_waitcnt vmcnt(0)
	v_cmpx_eq_u64_e64 v[39:40], v[41:42]
	s_cbranch_execz .LBB625_225
; %bb.218:
	v_add_co_u32 v35, vcc_lo, v35, 8
	v_add_co_ci_u32_e32 v36, vcc_lo, 0, v36, vcc_lo
	v_add_co_u32 v37, vcc_lo, v37, 8
	v_add_co_ci_u32_e32 v38, vcc_lo, 0, v38, vcc_lo
	s_add_u32 s4, s14, -1
	s_addc_u32 s5, s15, -1
	s_mov_b64 s[6:7], 0
	s_mov_b32 s25, 0
                                        ; implicit-def: $sgpr27
	s_set_inst_prefetch_distance 0x1
	s_branch .LBB625_221
	.p2align	6
.LBB625_219:                            ;   in Loop: Header=BB625_221 Depth=1
	global_load_b64 v[39:40], v[37:38], off
	global_load_b64 v[41:42], v[35:36], off
	v_add_co_u32 v35, vcc_lo, v35, 8
	v_add_co_ci_u32_e32 v36, vcc_lo, 0, v36, vcc_lo
	v_add_co_u32 v37, s0, v37, 8
	s_delay_alu instid0(VALU_DEP_1)
	v_add_co_ci_u32_e64 v38, s0, 0, v38, s0
	s_add_u32 s6, s6, 1
	s_addc_u32 s7, s7, 0
	s_and_not1_b32 s0, s27, exec_lo
	s_waitcnt vmcnt(0)
	v_cmp_ne_u64_e32 vcc_lo, v[39:40], v[41:42]
	s_and_b32 s27, vcc_lo, exec_lo
	s_delay_alu instid0(SALU_CYCLE_1)
	s_or_b32 s27, s0, s27
.LBB625_220:                            ;   in Loop: Header=BB625_221 Depth=1
	v_dual_mov_b32 v40, s7 :: v_dual_mov_b32 v39, s6
	s_and_b32 s0, exec_lo, s27
	s_delay_alu instid0(SALU_CYCLE_1) | instskip(NEXT) | instid1(SALU_CYCLE_1)
	s_or_b32 s25, s0, s25
	s_and_not1_b32 exec_lo, exec_lo, s25
	s_cbranch_execz .LBB625_224
.LBB625_221:                            ; =>This Inner Loop Header: Depth=1
	s_or_b32 s27, s27, exec_lo
	s_cmp_eq_u64 s[4:5], s[6:7]
	s_cbranch_scc0 .LBB625_219
; %bb.222:                              ;   in Loop: Header=BB625_221 Depth=1
	s_mov_b64 s[6:7], s[14:15]
                                        ; implicit-def: $vgpr35_vgpr36
                                        ; implicit-def: $vgpr37_vgpr38
	s_branch .LBB625_220
.LBB625_223:
                                        ; implicit-def: $sgpr0
                                        ; implicit-def: $vgpr36
	s_cbranch_execnz .LBB625_292
	s_branch .LBB625_383
.LBB625_224:
	s_set_inst_prefetch_distance 0x2
	s_or_b32 exec_lo, exec_lo, s25
	v_cmp_gt_i64_e32 vcc_lo, s[14:15], v[39:40]
	s_or_not1_b32 s25, vcc_lo, exec_lo
.LBB625_225:
	s_or_b32 exec_lo, exec_lo, s26
.LBB625_226:
	v_mul_lo_u32 v37, v24, s14
	v_mul_lo_u32 v38, v23, s15
	v_mad_u64_u32 v[35:36], null, v23, s14, 0
	s_and_not1_b32 vcc_lo, exec_lo, s13
	s_delay_alu instid0(VALU_DEP_1) | instskip(NEXT) | instid1(VALU_DEP_1)
	v_add3_u32 v36, v36, v38, v37
	v_lshlrev_b64 v[35:36], 3, v[35:36]
	s_cbranch_vccnz .LBB625_235
; %bb.227:
	s_delay_alu instid0(VALU_DEP_1) | instskip(NEXT) | instid1(VALU_DEP_2)
	v_add_co_u32 v37, vcc_lo, s20, v35
	v_add_co_ci_u32_e32 v38, vcc_lo, s21, v36, vcc_lo
	v_add_co_u32 v33, vcc_lo, s20, v33
	v_add_co_ci_u32_e32 v34, vcc_lo, s21, v34, vcc_lo
	s_mov_b32 s24, -1
	s_clause 0x1
	global_load_b64 v[39:40], v[37:38], off
	global_load_b64 v[41:42], v[33:34], off
	s_mov_b32 s26, exec_lo
	s_waitcnt vmcnt(0)
	v_cmpx_eq_u64_e64 v[39:40], v[41:42]
	s_cbranch_execz .LBB625_234
; %bb.228:
	v_add_co_u32 v33, vcc_lo, v33, 8
	v_add_co_ci_u32_e32 v34, vcc_lo, 0, v34, vcc_lo
	v_add_co_u32 v37, vcc_lo, v37, 8
	v_add_co_ci_u32_e32 v38, vcc_lo, 0, v38, vcc_lo
	s_add_u32 s4, s14, -1
	s_addc_u32 s5, s15, -1
	s_mov_b64 s[6:7], 0
	s_mov_b32 s24, 0
                                        ; implicit-def: $sgpr27
	s_set_inst_prefetch_distance 0x1
	s_branch .LBB625_231
	.p2align	6
.LBB625_229:                            ;   in Loop: Header=BB625_231 Depth=1
	global_load_b64 v[39:40], v[37:38], off
	global_load_b64 v[41:42], v[33:34], off
	v_add_co_u32 v33, vcc_lo, v33, 8
	v_add_co_ci_u32_e32 v34, vcc_lo, 0, v34, vcc_lo
	v_add_co_u32 v37, s0, v37, 8
	s_delay_alu instid0(VALU_DEP_1)
	v_add_co_ci_u32_e64 v38, s0, 0, v38, s0
	s_add_u32 s6, s6, 1
	s_addc_u32 s7, s7, 0
	s_and_not1_b32 s0, s27, exec_lo
	s_waitcnt vmcnt(0)
	v_cmp_ne_u64_e32 vcc_lo, v[39:40], v[41:42]
	s_and_b32 s27, vcc_lo, exec_lo
	s_delay_alu instid0(SALU_CYCLE_1)
	s_or_b32 s27, s0, s27
.LBB625_230:                            ;   in Loop: Header=BB625_231 Depth=1
	v_dual_mov_b32 v40, s7 :: v_dual_mov_b32 v39, s6
	s_and_b32 s0, exec_lo, s27
	s_delay_alu instid0(SALU_CYCLE_1) | instskip(NEXT) | instid1(SALU_CYCLE_1)
	s_or_b32 s24, s0, s24
	s_and_not1_b32 exec_lo, exec_lo, s24
	s_cbranch_execz .LBB625_233
.LBB625_231:                            ; =>This Inner Loop Header: Depth=1
	s_or_b32 s27, s27, exec_lo
	s_cmp_eq_u64 s[4:5], s[6:7]
	s_cbranch_scc0 .LBB625_229
; %bb.232:                              ;   in Loop: Header=BB625_231 Depth=1
	s_mov_b64 s[6:7], s[14:15]
                                        ; implicit-def: $vgpr33_vgpr34
                                        ; implicit-def: $vgpr37_vgpr38
	s_branch .LBB625_230
.LBB625_233:
	s_set_inst_prefetch_distance 0x2
	s_or_b32 exec_lo, exec_lo, s24
	v_cmp_gt_i64_e32 vcc_lo, s[14:15], v[39:40]
	s_or_not1_b32 s24, vcc_lo, exec_lo
.LBB625_234:
	s_or_b32 exec_lo, exec_lo, s26
.LBB625_235:
	v_mul_lo_u32 v37, v22, s14
	v_mul_lo_u32 v38, v21, s15
	v_mad_u64_u32 v[33:34], null, v21, s14, 0
	s_mov_b32 s26, 0
	s_and_not1_b32 vcc_lo, exec_lo, s13
	s_mov_b32 s27, 0
	s_delay_alu instid0(VALU_DEP_1) | instskip(NEXT) | instid1(VALU_DEP_1)
	v_add3_u32 v34, v34, v38, v37
	v_lshlrev_b64 v[37:38], 3, v[33:34]
	s_cbranch_vccnz .LBB625_244
; %bb.236:
	s_delay_alu instid0(VALU_DEP_1) | instskip(NEXT) | instid1(VALU_DEP_2)
	v_add_co_u32 v39, vcc_lo, s20, v37
	v_add_co_ci_u32_e32 v40, vcc_lo, s21, v38, vcc_lo
	v_add_co_u32 v33, vcc_lo, s20, v35
	v_add_co_ci_u32_e32 v34, vcc_lo, s21, v36, vcc_lo
	s_mov_b32 s27, -1
	s_clause 0x1
	global_load_b64 v[35:36], v[39:40], off
	global_load_b64 v[41:42], v[33:34], off
	s_mov_b32 s34, exec_lo
	s_waitcnt vmcnt(0)
	v_cmpx_eq_u64_e64 v[35:36], v[41:42]
	s_cbranch_execz .LBB625_243
; %bb.237:
	v_add_co_u32 v33, vcc_lo, v33, 8
	v_add_co_ci_u32_e32 v34, vcc_lo, 0, v34, vcc_lo
	v_add_co_u32 v35, vcc_lo, v39, 8
	v_add_co_ci_u32_e32 v36, vcc_lo, 0, v40, vcc_lo
	s_add_u32 s4, s14, -1
	s_addc_u32 s5, s15, -1
	s_mov_b64 s[6:7], 0
	s_mov_b32 s27, 0
                                        ; implicit-def: $sgpr35
	s_set_inst_prefetch_distance 0x1
	s_branch .LBB625_240
	.p2align	6
.LBB625_238:                            ;   in Loop: Header=BB625_240 Depth=1
	global_load_b64 v[39:40], v[35:36], off
	global_load_b64 v[41:42], v[33:34], off
	v_add_co_u32 v33, vcc_lo, v33, 8
	v_add_co_ci_u32_e32 v34, vcc_lo, 0, v34, vcc_lo
	v_add_co_u32 v35, s0, v35, 8
	s_delay_alu instid0(VALU_DEP_1)
	v_add_co_ci_u32_e64 v36, s0, 0, v36, s0
	s_add_u32 s6, s6, 1
	s_addc_u32 s7, s7, 0
	s_and_not1_b32 s0, s35, exec_lo
	s_waitcnt vmcnt(0)
	v_cmp_ne_u64_e32 vcc_lo, v[39:40], v[41:42]
	s_and_b32 s35, vcc_lo, exec_lo
	s_delay_alu instid0(SALU_CYCLE_1)
	s_or_b32 s35, s0, s35
.LBB625_239:                            ;   in Loop: Header=BB625_240 Depth=1
	v_dual_mov_b32 v40, s7 :: v_dual_mov_b32 v39, s6
	s_and_b32 s0, exec_lo, s35
	s_delay_alu instid0(SALU_CYCLE_1) | instskip(NEXT) | instid1(SALU_CYCLE_1)
	s_or_b32 s27, s0, s27
	s_and_not1_b32 exec_lo, exec_lo, s27
	s_cbranch_execz .LBB625_242
.LBB625_240:                            ; =>This Inner Loop Header: Depth=1
	s_or_b32 s35, s35, exec_lo
	s_cmp_eq_u64 s[4:5], s[6:7]
	s_cbranch_scc0 .LBB625_238
; %bb.241:                              ;   in Loop: Header=BB625_240 Depth=1
	s_mov_b64 s[6:7], s[14:15]
                                        ; implicit-def: $vgpr33_vgpr34
                                        ; implicit-def: $vgpr35_vgpr36
	s_branch .LBB625_239
.LBB625_242:
	s_set_inst_prefetch_distance 0x2
	s_or_b32 exec_lo, exec_lo, s27
	v_cmp_gt_i64_e32 vcc_lo, s[14:15], v[39:40]
	s_or_not1_b32 s27, vcc_lo, exec_lo
.LBB625_243:
	s_or_b32 exec_lo, exec_lo, s34
.LBB625_244:
	v_mul_lo_u32 v35, v28, s14
	v_mul_lo_u32 v36, v27, s15
	v_mad_u64_u32 v[33:34], null, v27, s14, 0
	s_and_not1_b32 vcc_lo, exec_lo, s13
	s_delay_alu instid0(VALU_DEP_1) | instskip(NEXT) | instid1(VALU_DEP_1)
	v_add3_u32 v34, v34, v36, v35
	v_lshlrev_b64 v[33:34], 3, v[33:34]
	s_cbranch_vccnz .LBB625_253
; %bb.245:
	s_delay_alu instid0(VALU_DEP_1) | instskip(NEXT) | instid1(VALU_DEP_2)
	v_add_co_u32 v39, vcc_lo, s20, v33
	v_add_co_ci_u32_e32 v40, vcc_lo, s21, v34, vcc_lo
	v_add_co_u32 v35, vcc_lo, s20, v37
	v_add_co_ci_u32_e32 v36, vcc_lo, s21, v38, vcc_lo
	s_mov_b32 s26, -1
	s_clause 0x1
	global_load_b64 v[37:38], v[39:40], off
	global_load_b64 v[41:42], v[35:36], off
	s_mov_b32 s34, exec_lo
	s_waitcnt vmcnt(0)
	v_cmpx_eq_u64_e64 v[37:38], v[41:42]
	s_cbranch_execz .LBB625_252
; %bb.246:
	v_add_co_u32 v35, vcc_lo, v35, 8
	v_add_co_ci_u32_e32 v36, vcc_lo, 0, v36, vcc_lo
	v_add_co_u32 v37, vcc_lo, v39, 8
	v_add_co_ci_u32_e32 v38, vcc_lo, 0, v40, vcc_lo
	s_add_u32 s4, s14, -1
	s_addc_u32 s5, s15, -1
	s_mov_b64 s[6:7], 0
	s_mov_b32 s26, 0
                                        ; implicit-def: $sgpr35
	s_set_inst_prefetch_distance 0x1
	s_branch .LBB625_249
	.p2align	6
.LBB625_247:                            ;   in Loop: Header=BB625_249 Depth=1
	global_load_b64 v[39:40], v[37:38], off
	global_load_b64 v[41:42], v[35:36], off
	v_add_co_u32 v35, vcc_lo, v35, 8
	v_add_co_ci_u32_e32 v36, vcc_lo, 0, v36, vcc_lo
	v_add_co_u32 v37, s0, v37, 8
	s_delay_alu instid0(VALU_DEP_1)
	v_add_co_ci_u32_e64 v38, s0, 0, v38, s0
	s_add_u32 s6, s6, 1
	s_addc_u32 s7, s7, 0
	s_and_not1_b32 s0, s35, exec_lo
	s_waitcnt vmcnt(0)
	v_cmp_ne_u64_e32 vcc_lo, v[39:40], v[41:42]
	s_and_b32 s35, vcc_lo, exec_lo
	s_delay_alu instid0(SALU_CYCLE_1)
	s_or_b32 s35, s0, s35
.LBB625_248:                            ;   in Loop: Header=BB625_249 Depth=1
	v_dual_mov_b32 v40, s7 :: v_dual_mov_b32 v39, s6
	s_and_b32 s0, exec_lo, s35
	s_delay_alu instid0(SALU_CYCLE_1) | instskip(NEXT) | instid1(SALU_CYCLE_1)
	s_or_b32 s26, s0, s26
	s_and_not1_b32 exec_lo, exec_lo, s26
	s_cbranch_execz .LBB625_251
.LBB625_249:                            ; =>This Inner Loop Header: Depth=1
	s_or_b32 s35, s35, exec_lo
	s_cmp_eq_u64 s[4:5], s[6:7]
	s_cbranch_scc0 .LBB625_247
; %bb.250:                              ;   in Loop: Header=BB625_249 Depth=1
	s_mov_b64 s[6:7], s[14:15]
                                        ; implicit-def: $vgpr35_vgpr36
                                        ; implicit-def: $vgpr37_vgpr38
	s_branch .LBB625_248
.LBB625_251:
	s_set_inst_prefetch_distance 0x2
	s_or_b32 exec_lo, exec_lo, s26
	v_cmp_gt_i64_e32 vcc_lo, s[14:15], v[39:40]
	s_or_not1_b32 s26, vcc_lo, exec_lo
.LBB625_252:
	s_or_b32 exec_lo, exec_lo, s34
.LBB625_253:
	v_mul_lo_u32 v37, v26, s14
	v_mul_lo_u32 v38, v25, s15
	v_mad_u64_u32 v[35:36], null, v25, s14, 0
	s_mov_b32 s34, 0
	s_and_not1_b32 vcc_lo, exec_lo, s13
	s_mov_b32 s35, 0
	s_delay_alu instid0(VALU_DEP_1) | instskip(NEXT) | instid1(VALU_DEP_1)
	v_add3_u32 v36, v36, v38, v37
	v_lshlrev_b64 v[37:38], 3, v[35:36]
	s_cbranch_vccnz .LBB625_262
; %bb.254:
	s_delay_alu instid0(VALU_DEP_1) | instskip(NEXT) | instid1(VALU_DEP_2)
	v_add_co_u32 v35, vcc_lo, s20, v37
	v_add_co_ci_u32_e32 v36, vcc_lo, s21, v38, vcc_lo
	v_add_co_u32 v33, vcc_lo, s20, v33
	v_add_co_ci_u32_e32 v34, vcc_lo, s21, v34, vcc_lo
	s_mov_b32 s35, -1
	s_clause 0x1
	global_load_b64 v[39:40], v[35:36], off
	global_load_b64 v[41:42], v[33:34], off
	s_mov_b32 s36, exec_lo
	s_waitcnt vmcnt(0)
	v_cmpx_eq_u64_e64 v[39:40], v[41:42]
	s_cbranch_execz .LBB625_261
; %bb.255:
	v_add_co_u32 v33, vcc_lo, v33, 8
	v_add_co_ci_u32_e32 v34, vcc_lo, 0, v34, vcc_lo
	v_add_co_u32 v35, vcc_lo, v35, 8
	v_add_co_ci_u32_e32 v36, vcc_lo, 0, v36, vcc_lo
	s_add_u32 s4, s14, -1
	s_addc_u32 s5, s15, -1
	s_mov_b64 s[6:7], 0
	s_mov_b32 s35, 0
                                        ; implicit-def: $sgpr37
	s_set_inst_prefetch_distance 0x1
	s_branch .LBB625_258
	.p2align	6
.LBB625_256:                            ;   in Loop: Header=BB625_258 Depth=1
	global_load_b64 v[39:40], v[35:36], off
	global_load_b64 v[41:42], v[33:34], off
	v_add_co_u32 v33, vcc_lo, v33, 8
	v_add_co_ci_u32_e32 v34, vcc_lo, 0, v34, vcc_lo
	v_add_co_u32 v35, s0, v35, 8
	s_delay_alu instid0(VALU_DEP_1)
	v_add_co_ci_u32_e64 v36, s0, 0, v36, s0
	s_add_u32 s6, s6, 1
	s_addc_u32 s7, s7, 0
	s_and_not1_b32 s0, s37, exec_lo
	s_waitcnt vmcnt(0)
	v_cmp_ne_u64_e32 vcc_lo, v[39:40], v[41:42]
	s_and_b32 s37, vcc_lo, exec_lo
	s_delay_alu instid0(SALU_CYCLE_1)
	s_or_b32 s37, s0, s37
.LBB625_257:                            ;   in Loop: Header=BB625_258 Depth=1
	v_dual_mov_b32 v40, s7 :: v_dual_mov_b32 v39, s6
	s_and_b32 s0, exec_lo, s37
	s_delay_alu instid0(SALU_CYCLE_1) | instskip(NEXT) | instid1(SALU_CYCLE_1)
	s_or_b32 s35, s0, s35
	s_and_not1_b32 exec_lo, exec_lo, s35
	s_cbranch_execz .LBB625_260
.LBB625_258:                            ; =>This Inner Loop Header: Depth=1
	s_or_b32 s37, s37, exec_lo
	s_cmp_eq_u64 s[4:5], s[6:7]
	s_cbranch_scc0 .LBB625_256
; %bb.259:                              ;   in Loop: Header=BB625_258 Depth=1
	s_mov_b64 s[6:7], s[14:15]
                                        ; implicit-def: $vgpr33_vgpr34
                                        ; implicit-def: $vgpr35_vgpr36
	s_branch .LBB625_257
.LBB625_260:
	s_set_inst_prefetch_distance 0x2
	s_or_b32 exec_lo, exec_lo, s35
	v_cmp_gt_i64_e32 vcc_lo, s[14:15], v[39:40]
	s_or_not1_b32 s35, vcc_lo, exec_lo
.LBB625_261:
	s_or_b32 exec_lo, exec_lo, s36
.LBB625_262:
	v_mul_lo_u32 v35, v32, s14
	v_mul_lo_u32 v36, v31, s15
	v_mad_u64_u32 v[33:34], null, v31, s14, 0
	s_and_not1_b32 vcc_lo, exec_lo, s13
	s_delay_alu instid0(VALU_DEP_1) | instskip(NEXT) | instid1(VALU_DEP_1)
	v_add3_u32 v34, v34, v36, v35
	v_lshlrev_b64 v[35:36], 3, v[33:34]
	s_cbranch_vccnz .LBB625_271
; %bb.263:
	s_delay_alu instid0(VALU_DEP_1) | instskip(NEXT) | instid1(VALU_DEP_2)
	v_add_co_u32 v39, vcc_lo, s20, v35
	v_add_co_ci_u32_e32 v40, vcc_lo, s21, v36, vcc_lo
	v_add_co_u32 v33, vcc_lo, s20, v37
	v_add_co_ci_u32_e32 v34, vcc_lo, s21, v38, vcc_lo
	s_mov_b32 s34, -1
	s_clause 0x1
	global_load_b64 v[37:38], v[39:40], off
	global_load_b64 v[41:42], v[33:34], off
	s_mov_b32 s36, exec_lo
	s_waitcnt vmcnt(0)
	v_cmpx_eq_u64_e64 v[37:38], v[41:42]
	s_cbranch_execz .LBB625_270
; %bb.264:
	v_add_co_u32 v33, vcc_lo, v33, 8
	v_add_co_ci_u32_e32 v34, vcc_lo, 0, v34, vcc_lo
	v_add_co_u32 v37, vcc_lo, v39, 8
	v_add_co_ci_u32_e32 v38, vcc_lo, 0, v40, vcc_lo
	s_add_u32 s4, s14, -1
	s_addc_u32 s5, s15, -1
	s_mov_b64 s[6:7], 0
	s_mov_b32 s34, 0
                                        ; implicit-def: $sgpr37
	s_set_inst_prefetch_distance 0x1
	s_branch .LBB625_267
	.p2align	6
.LBB625_265:                            ;   in Loop: Header=BB625_267 Depth=1
	global_load_b64 v[39:40], v[37:38], off
	global_load_b64 v[41:42], v[33:34], off
	v_add_co_u32 v33, vcc_lo, v33, 8
	v_add_co_ci_u32_e32 v34, vcc_lo, 0, v34, vcc_lo
	v_add_co_u32 v37, s0, v37, 8
	s_delay_alu instid0(VALU_DEP_1)
	v_add_co_ci_u32_e64 v38, s0, 0, v38, s0
	s_add_u32 s6, s6, 1
	s_addc_u32 s7, s7, 0
	s_and_not1_b32 s0, s37, exec_lo
	s_waitcnt vmcnt(0)
	v_cmp_ne_u64_e32 vcc_lo, v[39:40], v[41:42]
	s_and_b32 s37, vcc_lo, exec_lo
	s_delay_alu instid0(SALU_CYCLE_1)
	s_or_b32 s37, s0, s37
.LBB625_266:                            ;   in Loop: Header=BB625_267 Depth=1
	v_dual_mov_b32 v40, s7 :: v_dual_mov_b32 v39, s6
	s_and_b32 s0, exec_lo, s37
	s_delay_alu instid0(SALU_CYCLE_1) | instskip(NEXT) | instid1(SALU_CYCLE_1)
	s_or_b32 s34, s0, s34
	s_and_not1_b32 exec_lo, exec_lo, s34
	s_cbranch_execz .LBB625_269
.LBB625_267:                            ; =>This Inner Loop Header: Depth=1
	s_or_b32 s37, s37, exec_lo
	s_cmp_eq_u64 s[4:5], s[6:7]
	s_cbranch_scc0 .LBB625_265
; %bb.268:                              ;   in Loop: Header=BB625_267 Depth=1
	s_mov_b64 s[6:7], s[14:15]
                                        ; implicit-def: $vgpr33_vgpr34
                                        ; implicit-def: $vgpr37_vgpr38
	s_branch .LBB625_266
.LBB625_269:
	s_set_inst_prefetch_distance 0x2
	s_or_b32 exec_lo, exec_lo, s34
	v_cmp_gt_i64_e32 vcc_lo, s[14:15], v[39:40]
	s_or_not1_b32 s34, vcc_lo, exec_lo
.LBB625_270:
	s_or_b32 exec_lo, exec_lo, s36
.LBB625_271:
	v_mul_lo_u32 v37, v30, s14
	v_mul_lo_u32 v38, v29, s15
	v_mad_u64_u32 v[33:34], null, v29, s14, 0
	s_and_not1_b32 vcc_lo, exec_lo, s13
	s_mov_b32 s0, 0
	s_delay_alu instid0(VALU_DEP_1)
	v_add3_u32 v34, v34, v38, v37
	s_cbranch_vccnz .LBB625_280
; %bb.272:
	s_delay_alu instid0(VALU_DEP_1) | instskip(SKIP_2) | instid1(VALU_DEP_1)
	v_lshlrev_b64 v[37:38], 3, v[33:34]
	s_mov_b32 s0, -1
	s_mov_b32 s36, exec_lo
	v_add_co_u32 v37, vcc_lo, s20, v37
	s_delay_alu instid0(VALU_DEP_2)
	v_add_co_ci_u32_e32 v38, vcc_lo, s21, v38, vcc_lo
	v_add_co_u32 v35, vcc_lo, s20, v35
	v_add_co_ci_u32_e32 v36, vcc_lo, s21, v36, vcc_lo
	s_clause 0x1
	global_load_b64 v[39:40], v[37:38], off
	global_load_b64 v[41:42], v[35:36], off
	s_waitcnt vmcnt(0)
	v_cmpx_eq_u64_e64 v[39:40], v[41:42]
	s_cbranch_execz .LBB625_279
; %bb.273:
	v_add_co_u32 v35, vcc_lo, v35, 8
	v_add_co_ci_u32_e32 v36, vcc_lo, 0, v36, vcc_lo
	v_add_co_u32 v37, vcc_lo, v37, 8
	v_add_co_ci_u32_e32 v38, vcc_lo, 0, v38, vcc_lo
	s_add_u32 s4, s14, -1
	s_addc_u32 s5, s15, -1
	s_mov_b64 s[6:7], 0
	s_mov_b32 s37, 0
                                        ; implicit-def: $sgpr38
	s_set_inst_prefetch_distance 0x1
	s_branch .LBB625_276
	.p2align	6
.LBB625_274:                            ;   in Loop: Header=BB625_276 Depth=1
	global_load_b64 v[39:40], v[37:38], off
	global_load_b64 v[41:42], v[35:36], off
	v_add_co_u32 v35, vcc_lo, v35, 8
	v_add_co_ci_u32_e32 v36, vcc_lo, 0, v36, vcc_lo
	v_add_co_u32 v37, s0, v37, 8
	s_delay_alu instid0(VALU_DEP_1)
	v_add_co_ci_u32_e64 v38, s0, 0, v38, s0
	s_add_u32 s6, s6, 1
	s_addc_u32 s7, s7, 0
	s_and_not1_b32 s0, s38, exec_lo
	s_waitcnt vmcnt(0)
	v_cmp_ne_u64_e32 vcc_lo, v[39:40], v[41:42]
	s_and_b32 s38, vcc_lo, exec_lo
	s_delay_alu instid0(SALU_CYCLE_1)
	s_or_b32 s38, s0, s38
.LBB625_275:                            ;   in Loop: Header=BB625_276 Depth=1
	v_dual_mov_b32 v40, s7 :: v_dual_mov_b32 v39, s6
	s_and_b32 s0, exec_lo, s38
	s_delay_alu instid0(SALU_CYCLE_1) | instskip(NEXT) | instid1(SALU_CYCLE_1)
	s_or_b32 s37, s0, s37
	s_and_not1_b32 exec_lo, exec_lo, s37
	s_cbranch_execz .LBB625_278
.LBB625_276:                            ; =>This Inner Loop Header: Depth=1
	s_or_b32 s38, s38, exec_lo
	s_cmp_eq_u64 s[4:5], s[6:7]
	s_cbranch_scc0 .LBB625_274
; %bb.277:                              ;   in Loop: Header=BB625_276 Depth=1
	s_mov_b64 s[6:7], s[14:15]
                                        ; implicit-def: $vgpr35_vgpr36
                                        ; implicit-def: $vgpr37_vgpr38
	s_branch .LBB625_275
.LBB625_278:
	s_set_inst_prefetch_distance 0x2
	s_or_b32 exec_lo, exec_lo, s37
	v_cmp_gt_i64_e32 vcc_lo, s[14:15], v[39:40]
	s_or_not1_b32 s0, vcc_lo, exec_lo
.LBB625_279:
	s_or_b32 exec_lo, exec_lo, s36
.LBB625_280:
	v_cndmask_b32_e64 v36, 0, 1, s35
	v_cndmask_b32_e64 v37, 0, 1, s27
	;; [unrolled: 1-line block ×7, first 2 shown]
	v_lshlrev_b16 v37, 8, v37
	v_lshlrev_b16 v38, 8, v38
	;; [unrolled: 1-line block ×4, first 2 shown]
	s_waitcnt lgkmcnt(0)
	v_or_b32_e32 v37, v40, v37
	v_or_b32_e32 v38, v41, v38
	;; [unrolled: 1-line block ×4, first 2 shown]
	s_barrier
	v_and_b32_e32 v36, 0xffff, v37
	v_lshlrev_b32_e32 v37, 16, v38
	v_and_b32_e32 v38, 0xffff, v39
	v_lshlrev_b32_e32 v35, 16, v35
	buffer_gl0_inv
                                        ; implicit-def: $sgpr0
	v_or_b32_e32 v36, v36, v37
	v_or_b32_e32 v35, v38, v35
	s_and_saveexec_b32 s4, s3
	s_delay_alu instid0(SALU_CYCLE_1)
	s_xor_b32 s24, exec_lo, s4
	s_cbranch_execz .LBB625_291
; %bb.281:
	s_and_not1_b32 vcc_lo, exec_lo, s13
	s_mov_b32 s0, 0
	s_cbranch_vccnz .LBB625_290
; %bb.282:
	v_add_nc_u32_e32 v37, -8, v55
	v_lshlrev_b64 v[33:34], 3, v[33:34]
	s_mov_b32 s0, -1
	s_mov_b32 s25, exec_lo
	ds_load_b64 v[37:38], v37
	s_waitcnt lgkmcnt(0)
	v_mul_lo_u32 v40, v38, s14
	v_mul_lo_u32 v41, v37, s15
	v_mad_u64_u32 v[38:39], null, v37, s14, 0
	s_delay_alu instid0(VALU_DEP_1) | instskip(NEXT) | instid1(VALU_DEP_1)
	v_add3_u32 v39, v39, v41, v40
	v_lshlrev_b64 v[37:38], 3, v[38:39]
	s_delay_alu instid0(VALU_DEP_1) | instskip(NEXT) | instid1(VALU_DEP_2)
	v_add_co_u32 v37, vcc_lo, s20, v37
	v_add_co_ci_u32_e32 v38, vcc_lo, s21, v38, vcc_lo
	v_add_co_u32 v33, vcc_lo, s20, v33
	v_add_co_ci_u32_e32 v34, vcc_lo, s21, v34, vcc_lo
	s_clause 0x1
	global_load_b64 v[39:40], v[37:38], off
	global_load_b64 v[41:42], v[33:34], off
	s_waitcnt vmcnt(0)
	v_cmpx_eq_u64_e64 v[39:40], v[41:42]
	s_cbranch_execz .LBB625_289
; %bb.283:
	v_add_co_u32 v33, vcc_lo, v33, 8
	v_add_co_ci_u32_e32 v34, vcc_lo, 0, v34, vcc_lo
	v_add_co_u32 v37, vcc_lo, v37, 8
	v_add_co_ci_u32_e32 v38, vcc_lo, 0, v38, vcc_lo
	s_add_u32 s4, s14, -1
	s_addc_u32 s5, s15, -1
	s_mov_b64 s[6:7], 0
	s_mov_b32 s26, 0
                                        ; implicit-def: $sgpr27
	s_set_inst_prefetch_distance 0x1
	s_branch .LBB625_286
	.p2align	6
.LBB625_284:                            ;   in Loop: Header=BB625_286 Depth=1
	global_load_b64 v[39:40], v[37:38], off
	global_load_b64 v[41:42], v[33:34], off
	v_add_co_u32 v33, vcc_lo, v33, 8
	v_add_co_ci_u32_e32 v34, vcc_lo, 0, v34, vcc_lo
	v_add_co_u32 v37, s0, v37, 8
	s_delay_alu instid0(VALU_DEP_1)
	v_add_co_ci_u32_e64 v38, s0, 0, v38, s0
	s_add_u32 s6, s6, 1
	s_addc_u32 s7, s7, 0
	s_and_not1_b32 s0, s27, exec_lo
	s_waitcnt vmcnt(0)
	v_cmp_ne_u64_e32 vcc_lo, v[39:40], v[41:42]
	s_and_b32 s27, vcc_lo, exec_lo
	s_delay_alu instid0(SALU_CYCLE_1)
	s_or_b32 s27, s0, s27
.LBB625_285:                            ;   in Loop: Header=BB625_286 Depth=1
	v_dual_mov_b32 v40, s7 :: v_dual_mov_b32 v39, s6
	s_and_b32 s0, exec_lo, s27
	s_delay_alu instid0(SALU_CYCLE_1) | instskip(NEXT) | instid1(SALU_CYCLE_1)
	s_or_b32 s26, s0, s26
	s_and_not1_b32 exec_lo, exec_lo, s26
	s_cbranch_execz .LBB625_288
.LBB625_286:                            ; =>This Inner Loop Header: Depth=1
	s_or_b32 s27, s27, exec_lo
	s_cmp_eq_u64 s[4:5], s[6:7]
	s_cbranch_scc0 .LBB625_284
; %bb.287:                              ;   in Loop: Header=BB625_286 Depth=1
	s_mov_b64 s[6:7], s[14:15]
                                        ; implicit-def: $vgpr33_vgpr34
                                        ; implicit-def: $vgpr37_vgpr38
	s_branch .LBB625_285
.LBB625_288:
	s_set_inst_prefetch_distance 0x2
	s_or_b32 exec_lo, exec_lo, s26
	v_cmp_gt_i64_e32 vcc_lo, s[14:15], v[39:40]
	s_or_not1_b32 s0, vcc_lo, exec_lo
.LBB625_289:
	s_or_b32 exec_lo, exec_lo, s25
.LBB625_290:
	s_delay_alu instid0(SALU_CYCLE_1)
	s_and_b32 s0, s0, exec_lo
	s_or_b32 s1, s1, exec_lo
.LBB625_291:
	s_or_b32 exec_lo, exec_lo, s24
	s_branch .LBB625_383
.LBB625_292:
	s_waitcnt vmcnt(0) lgkmcnt(1)
	v_or_b32_e32 v33, 7, v55
	s_mov_b32 s24, 0
	s_mov_b32 s25, 0
	s_mov_b32 s26, exec_lo
	s_delay_alu instid0(VALU_DEP_1)
	v_cmpx_gt_u32_e64 s31, v33
	s_cbranch_execz .LBB625_303
; %bb.293:
	s_and_not1_b32 vcc_lo, exec_lo, s13
	s_mov_b32 s0, 0
	s_cbranch_vccnz .LBB625_302
; %bb.294:
	v_mul_lo_u32 v37, v18, s14
	v_mul_lo_u32 v38, v17, s15
	v_mad_u64_u32 v[33:34], null, v17, s14, 0
	v_mul_lo_u32 v39, v20, s14
	v_mul_lo_u32 v40, v19, s15
	v_mad_u64_u32 v[35:36], null, v19, s14, 0
	s_mov_b32 s0, -1
	s_mov_b32 s25, exec_lo
	s_delay_alu instid0(VALU_DEP_4) | instskip(NEXT) | instid1(VALU_DEP_2)
	v_add3_u32 v34, v34, v38, v37
	v_add3_u32 v36, v36, v40, v39
	s_delay_alu instid0(VALU_DEP_2) | instskip(NEXT) | instid1(VALU_DEP_2)
	v_lshlrev_b64 v[33:34], 3, v[33:34]
	v_lshlrev_b64 v[37:38], 3, v[35:36]
	s_delay_alu instid0(VALU_DEP_2) | instskip(NEXT) | instid1(VALU_DEP_3)
	v_add_co_u32 v35, vcc_lo, s20, v33
	v_add_co_ci_u32_e32 v36, vcc_lo, s21, v34, vcc_lo
	s_delay_alu instid0(VALU_DEP_3) | instskip(NEXT) | instid1(VALU_DEP_4)
	v_add_co_u32 v33, vcc_lo, s20, v37
	v_add_co_ci_u32_e32 v34, vcc_lo, s21, v38, vcc_lo
	s_clause 0x1
	global_load_b64 v[37:38], v[35:36], off
	global_load_b64 v[39:40], v[33:34], off
	s_waitcnt vmcnt(0)
	v_cmpx_eq_u64_e64 v[37:38], v[39:40]
	s_cbranch_execz .LBB625_301
; %bb.295:
	v_add_co_u32 v33, vcc_lo, v33, 8
	v_add_co_ci_u32_e32 v34, vcc_lo, 0, v34, vcc_lo
	v_add_co_u32 v35, vcc_lo, v35, 8
	v_add_co_ci_u32_e32 v36, vcc_lo, 0, v36, vcc_lo
	s_add_u32 s4, s14, -1
	s_addc_u32 s5, s15, -1
	s_mov_b64 s[6:7], 0
	s_mov_b32 s27, 0
                                        ; implicit-def: $sgpr34
	s_set_inst_prefetch_distance 0x1
	s_branch .LBB625_298
	.p2align	6
.LBB625_296:                            ;   in Loop: Header=BB625_298 Depth=1
	global_load_b64 v[37:38], v[35:36], off
	global_load_b64 v[39:40], v[33:34], off
	v_add_co_u32 v33, vcc_lo, v33, 8
	v_add_co_ci_u32_e32 v34, vcc_lo, 0, v34, vcc_lo
	v_add_co_u32 v35, s0, v35, 8
	s_delay_alu instid0(VALU_DEP_1)
	v_add_co_ci_u32_e64 v36, s0, 0, v36, s0
	s_add_u32 s6, s6, 1
	s_addc_u32 s7, s7, 0
	s_and_not1_b32 s0, s34, exec_lo
	s_waitcnt vmcnt(0)
	v_cmp_ne_u64_e32 vcc_lo, v[37:38], v[39:40]
	s_and_b32 s34, vcc_lo, exec_lo
	s_delay_alu instid0(SALU_CYCLE_1)
	s_or_b32 s34, s0, s34
.LBB625_297:                            ;   in Loop: Header=BB625_298 Depth=1
	v_dual_mov_b32 v38, s7 :: v_dual_mov_b32 v37, s6
	s_and_b32 s0, exec_lo, s34
	s_delay_alu instid0(SALU_CYCLE_1) | instskip(NEXT) | instid1(SALU_CYCLE_1)
	s_or_b32 s27, s0, s27
	s_and_not1_b32 exec_lo, exec_lo, s27
	s_cbranch_execz .LBB625_300
.LBB625_298:                            ; =>This Inner Loop Header: Depth=1
	s_or_b32 s34, s34, exec_lo
	s_cmp_eq_u64 s[4:5], s[6:7]
	s_cbranch_scc0 .LBB625_296
; %bb.299:                              ;   in Loop: Header=BB625_298 Depth=1
	s_mov_b64 s[6:7], s[14:15]
                                        ; implicit-def: $vgpr33_vgpr34
                                        ; implicit-def: $vgpr35_vgpr36
	s_branch .LBB625_297
.LBB625_300:
	s_set_inst_prefetch_distance 0x2
	s_or_b32 exec_lo, exec_lo, s27
	v_cmp_gt_i64_e32 vcc_lo, s[14:15], v[37:38]
	s_or_not1_b32 s0, vcc_lo, exec_lo
.LBB625_301:
	s_or_b32 exec_lo, exec_lo, s25
.LBB625_302:
	s_delay_alu instid0(SALU_CYCLE_1)
	s_and_b32 s25, s0, exec_lo
.LBB625_303:
	s_or_b32 exec_lo, exec_lo, s26
	v_or_b32_e32 v33, 6, v55
	s_mov_b32 s26, exec_lo
	s_delay_alu instid0(VALU_DEP_1)
	v_cmpx_gt_u32_e64 s31, v33
	s_cbranch_execz .LBB625_314
; %bb.304:
	s_and_not1_b32 vcc_lo, exec_lo, s13
	s_mov_b32 s0, 0
	s_cbranch_vccnz .LBB625_313
; %bb.305:
	v_mul_lo_u32 v37, v24, s14
	v_mul_lo_u32 v38, v23, s15
	v_mad_u64_u32 v[33:34], null, v23, s14, 0
	v_mul_lo_u32 v39, v18, s14
	v_mul_lo_u32 v40, v17, s15
	v_mad_u64_u32 v[35:36], null, v17, s14, 0
	s_mov_b32 s0, -1
	s_mov_b32 s24, exec_lo
	s_delay_alu instid0(VALU_DEP_4) | instskip(NEXT) | instid1(VALU_DEP_2)
	v_add3_u32 v34, v34, v38, v37
	v_add3_u32 v36, v36, v40, v39
	s_delay_alu instid0(VALU_DEP_2) | instskip(NEXT) | instid1(VALU_DEP_2)
	v_lshlrev_b64 v[33:34], 3, v[33:34]
	v_lshlrev_b64 v[37:38], 3, v[35:36]
	s_delay_alu instid0(VALU_DEP_2) | instskip(NEXT) | instid1(VALU_DEP_3)
	v_add_co_u32 v35, vcc_lo, s20, v33
	v_add_co_ci_u32_e32 v36, vcc_lo, s21, v34, vcc_lo
	s_delay_alu instid0(VALU_DEP_3) | instskip(NEXT) | instid1(VALU_DEP_4)
	v_add_co_u32 v33, vcc_lo, s20, v37
	v_add_co_ci_u32_e32 v34, vcc_lo, s21, v38, vcc_lo
	s_clause 0x1
	global_load_b64 v[37:38], v[35:36], off
	global_load_b64 v[39:40], v[33:34], off
	s_waitcnt vmcnt(0)
	v_cmpx_eq_u64_e64 v[37:38], v[39:40]
	s_cbranch_execz .LBB625_312
; %bb.306:
	v_add_co_u32 v33, vcc_lo, v33, 8
	v_add_co_ci_u32_e32 v34, vcc_lo, 0, v34, vcc_lo
	v_add_co_u32 v35, vcc_lo, v35, 8
	v_add_co_ci_u32_e32 v36, vcc_lo, 0, v36, vcc_lo
	s_add_u32 s4, s14, -1
	s_addc_u32 s5, s15, -1
	s_mov_b64 s[6:7], 0
	s_mov_b32 s27, 0
                                        ; implicit-def: $sgpr34
	s_set_inst_prefetch_distance 0x1
	s_branch .LBB625_309
	.p2align	6
.LBB625_307:                            ;   in Loop: Header=BB625_309 Depth=1
	global_load_b64 v[37:38], v[35:36], off
	global_load_b64 v[39:40], v[33:34], off
	v_add_co_u32 v33, vcc_lo, v33, 8
	v_add_co_ci_u32_e32 v34, vcc_lo, 0, v34, vcc_lo
	v_add_co_u32 v35, s0, v35, 8
	s_delay_alu instid0(VALU_DEP_1)
	v_add_co_ci_u32_e64 v36, s0, 0, v36, s0
	s_add_u32 s6, s6, 1
	s_addc_u32 s7, s7, 0
	s_and_not1_b32 s0, s34, exec_lo
	s_waitcnt vmcnt(0)
	v_cmp_ne_u64_e32 vcc_lo, v[37:38], v[39:40]
	s_and_b32 s34, vcc_lo, exec_lo
	s_delay_alu instid0(SALU_CYCLE_1)
	s_or_b32 s34, s0, s34
.LBB625_308:                            ;   in Loop: Header=BB625_309 Depth=1
	v_dual_mov_b32 v38, s7 :: v_dual_mov_b32 v37, s6
	s_and_b32 s0, exec_lo, s34
	s_delay_alu instid0(SALU_CYCLE_1) | instskip(NEXT) | instid1(SALU_CYCLE_1)
	s_or_b32 s27, s0, s27
	s_and_not1_b32 exec_lo, exec_lo, s27
	s_cbranch_execz .LBB625_311
.LBB625_309:                            ; =>This Inner Loop Header: Depth=1
	s_or_b32 s34, s34, exec_lo
	s_cmp_eq_u64 s[4:5], s[6:7]
	s_cbranch_scc0 .LBB625_307
; %bb.310:                              ;   in Loop: Header=BB625_309 Depth=1
	s_mov_b64 s[6:7], s[14:15]
                                        ; implicit-def: $vgpr33_vgpr34
                                        ; implicit-def: $vgpr35_vgpr36
	s_branch .LBB625_308
.LBB625_311:
	s_set_inst_prefetch_distance 0x2
	s_or_b32 exec_lo, exec_lo, s27
	v_cmp_gt_i64_e32 vcc_lo, s[14:15], v[37:38]
	s_or_not1_b32 s0, vcc_lo, exec_lo
.LBB625_312:
	s_or_b32 exec_lo, exec_lo, s24
.LBB625_313:
	s_delay_alu instid0(SALU_CYCLE_1)
	s_and_b32 s24, s0, exec_lo
.LBB625_314:
	s_or_b32 exec_lo, exec_lo, s26
	v_or_b32_e32 v33, 5, v55
	s_mov_b32 s26, 0
	s_mov_b32 s27, 0
	s_mov_b32 s34, exec_lo
	s_delay_alu instid0(VALU_DEP_1)
	v_cmpx_gt_u32_e64 s31, v33
	s_cbranch_execz .LBB625_325
; %bb.315:
	s_and_not1_b32 vcc_lo, exec_lo, s13
	s_mov_b32 s0, 0
	s_cbranch_vccnz .LBB625_324
; %bb.316:
	v_mul_lo_u32 v37, v22, s14
	v_mul_lo_u32 v38, v21, s15
	v_mad_u64_u32 v[33:34], null, v21, s14, 0
	v_mul_lo_u32 v39, v24, s14
	v_mul_lo_u32 v40, v23, s15
	v_mad_u64_u32 v[35:36], null, v23, s14, 0
	s_mov_b32 s0, -1
	s_mov_b32 s27, exec_lo
	s_delay_alu instid0(VALU_DEP_4) | instskip(NEXT) | instid1(VALU_DEP_2)
	v_add3_u32 v34, v34, v38, v37
	v_add3_u32 v36, v36, v40, v39
	s_delay_alu instid0(VALU_DEP_2) | instskip(NEXT) | instid1(VALU_DEP_2)
	v_lshlrev_b64 v[33:34], 3, v[33:34]
	v_lshlrev_b64 v[37:38], 3, v[35:36]
	s_delay_alu instid0(VALU_DEP_2) | instskip(NEXT) | instid1(VALU_DEP_3)
	v_add_co_u32 v35, vcc_lo, s20, v33
	v_add_co_ci_u32_e32 v36, vcc_lo, s21, v34, vcc_lo
	s_delay_alu instid0(VALU_DEP_3) | instskip(NEXT) | instid1(VALU_DEP_4)
	v_add_co_u32 v33, vcc_lo, s20, v37
	v_add_co_ci_u32_e32 v34, vcc_lo, s21, v38, vcc_lo
	s_clause 0x1
	global_load_b64 v[37:38], v[35:36], off
	global_load_b64 v[39:40], v[33:34], off
	s_waitcnt vmcnt(0)
	v_cmpx_eq_u64_e64 v[37:38], v[39:40]
	s_cbranch_execz .LBB625_323
; %bb.317:
	v_add_co_u32 v33, vcc_lo, v33, 8
	v_add_co_ci_u32_e32 v34, vcc_lo, 0, v34, vcc_lo
	v_add_co_u32 v35, vcc_lo, v35, 8
	v_add_co_ci_u32_e32 v36, vcc_lo, 0, v36, vcc_lo
	s_add_u32 s4, s14, -1
	s_addc_u32 s5, s15, -1
	s_mov_b64 s[6:7], 0
	s_mov_b32 s35, 0
                                        ; implicit-def: $sgpr36
	s_set_inst_prefetch_distance 0x1
	s_branch .LBB625_320
	.p2align	6
.LBB625_318:                            ;   in Loop: Header=BB625_320 Depth=1
	global_load_b64 v[37:38], v[35:36], off
	global_load_b64 v[39:40], v[33:34], off
	v_add_co_u32 v33, vcc_lo, v33, 8
	v_add_co_ci_u32_e32 v34, vcc_lo, 0, v34, vcc_lo
	v_add_co_u32 v35, s0, v35, 8
	s_delay_alu instid0(VALU_DEP_1)
	v_add_co_ci_u32_e64 v36, s0, 0, v36, s0
	s_add_u32 s6, s6, 1
	s_addc_u32 s7, s7, 0
	s_and_not1_b32 s0, s36, exec_lo
	s_waitcnt vmcnt(0)
	v_cmp_ne_u64_e32 vcc_lo, v[37:38], v[39:40]
	s_and_b32 s36, vcc_lo, exec_lo
	s_delay_alu instid0(SALU_CYCLE_1)
	s_or_b32 s36, s0, s36
.LBB625_319:                            ;   in Loop: Header=BB625_320 Depth=1
	v_dual_mov_b32 v38, s7 :: v_dual_mov_b32 v37, s6
	s_and_b32 s0, exec_lo, s36
	s_delay_alu instid0(SALU_CYCLE_1) | instskip(NEXT) | instid1(SALU_CYCLE_1)
	s_or_b32 s35, s0, s35
	s_and_not1_b32 exec_lo, exec_lo, s35
	s_cbranch_execz .LBB625_322
.LBB625_320:                            ; =>This Inner Loop Header: Depth=1
	s_or_b32 s36, s36, exec_lo
	s_cmp_eq_u64 s[4:5], s[6:7]
	s_cbranch_scc0 .LBB625_318
; %bb.321:                              ;   in Loop: Header=BB625_320 Depth=1
	s_mov_b64 s[6:7], s[14:15]
                                        ; implicit-def: $vgpr33_vgpr34
                                        ; implicit-def: $vgpr35_vgpr36
	s_branch .LBB625_319
.LBB625_322:
	s_set_inst_prefetch_distance 0x2
	s_or_b32 exec_lo, exec_lo, s35
	v_cmp_gt_i64_e32 vcc_lo, s[14:15], v[37:38]
	s_or_not1_b32 s0, vcc_lo, exec_lo
.LBB625_323:
	s_or_b32 exec_lo, exec_lo, s27
.LBB625_324:
	s_delay_alu instid0(SALU_CYCLE_1)
	s_and_b32 s27, s0, exec_lo
.LBB625_325:
	s_or_b32 exec_lo, exec_lo, s34
	v_or_b32_e32 v33, 4, v55
	s_mov_b32 s34, exec_lo
	s_delay_alu instid0(VALU_DEP_1)
	v_cmpx_gt_u32_e64 s31, v33
	s_cbranch_execz .LBB625_336
; %bb.326:
	s_and_not1_b32 vcc_lo, exec_lo, s13
	s_mov_b32 s0, 0
	s_cbranch_vccnz .LBB625_335
; %bb.327:
	v_mul_lo_u32 v37, v28, s14
	v_mul_lo_u32 v38, v27, s15
	v_mad_u64_u32 v[33:34], null, v27, s14, 0
	v_mul_lo_u32 v39, v22, s14
	v_mul_lo_u32 v40, v21, s15
	v_mad_u64_u32 v[35:36], null, v21, s14, 0
	s_mov_b32 s0, -1
	s_mov_b32 s26, exec_lo
	s_delay_alu instid0(VALU_DEP_4) | instskip(NEXT) | instid1(VALU_DEP_2)
	v_add3_u32 v34, v34, v38, v37
	v_add3_u32 v36, v36, v40, v39
	s_delay_alu instid0(VALU_DEP_2) | instskip(NEXT) | instid1(VALU_DEP_2)
	v_lshlrev_b64 v[33:34], 3, v[33:34]
	v_lshlrev_b64 v[37:38], 3, v[35:36]
	s_delay_alu instid0(VALU_DEP_2) | instskip(NEXT) | instid1(VALU_DEP_3)
	v_add_co_u32 v35, vcc_lo, s20, v33
	v_add_co_ci_u32_e32 v36, vcc_lo, s21, v34, vcc_lo
	s_delay_alu instid0(VALU_DEP_3) | instskip(NEXT) | instid1(VALU_DEP_4)
	v_add_co_u32 v33, vcc_lo, s20, v37
	v_add_co_ci_u32_e32 v34, vcc_lo, s21, v38, vcc_lo
	s_clause 0x1
	global_load_b64 v[37:38], v[35:36], off
	global_load_b64 v[39:40], v[33:34], off
	s_waitcnt vmcnt(0)
	v_cmpx_eq_u64_e64 v[37:38], v[39:40]
	s_cbranch_execz .LBB625_334
; %bb.328:
	v_add_co_u32 v33, vcc_lo, v33, 8
	v_add_co_ci_u32_e32 v34, vcc_lo, 0, v34, vcc_lo
	v_add_co_u32 v35, vcc_lo, v35, 8
	v_add_co_ci_u32_e32 v36, vcc_lo, 0, v36, vcc_lo
	s_add_u32 s4, s14, -1
	s_addc_u32 s5, s15, -1
	s_mov_b64 s[6:7], 0
	s_mov_b32 s35, 0
                                        ; implicit-def: $sgpr36
	s_set_inst_prefetch_distance 0x1
	s_branch .LBB625_331
	.p2align	6
.LBB625_329:                            ;   in Loop: Header=BB625_331 Depth=1
	global_load_b64 v[37:38], v[35:36], off
	global_load_b64 v[39:40], v[33:34], off
	v_add_co_u32 v33, vcc_lo, v33, 8
	v_add_co_ci_u32_e32 v34, vcc_lo, 0, v34, vcc_lo
	v_add_co_u32 v35, s0, v35, 8
	s_delay_alu instid0(VALU_DEP_1)
	v_add_co_ci_u32_e64 v36, s0, 0, v36, s0
	s_add_u32 s6, s6, 1
	s_addc_u32 s7, s7, 0
	s_and_not1_b32 s0, s36, exec_lo
	s_waitcnt vmcnt(0)
	v_cmp_ne_u64_e32 vcc_lo, v[37:38], v[39:40]
	s_and_b32 s36, vcc_lo, exec_lo
	s_delay_alu instid0(SALU_CYCLE_1)
	s_or_b32 s36, s0, s36
.LBB625_330:                            ;   in Loop: Header=BB625_331 Depth=1
	v_dual_mov_b32 v38, s7 :: v_dual_mov_b32 v37, s6
	s_and_b32 s0, exec_lo, s36
	s_delay_alu instid0(SALU_CYCLE_1) | instskip(NEXT) | instid1(SALU_CYCLE_1)
	s_or_b32 s35, s0, s35
	s_and_not1_b32 exec_lo, exec_lo, s35
	s_cbranch_execz .LBB625_333
.LBB625_331:                            ; =>This Inner Loop Header: Depth=1
	s_or_b32 s36, s36, exec_lo
	s_cmp_eq_u64 s[4:5], s[6:7]
	s_cbranch_scc0 .LBB625_329
; %bb.332:                              ;   in Loop: Header=BB625_331 Depth=1
	s_mov_b64 s[6:7], s[14:15]
                                        ; implicit-def: $vgpr33_vgpr34
                                        ; implicit-def: $vgpr35_vgpr36
	s_branch .LBB625_330
.LBB625_333:
	s_set_inst_prefetch_distance 0x2
	s_or_b32 exec_lo, exec_lo, s35
	v_cmp_gt_i64_e32 vcc_lo, s[14:15], v[37:38]
	s_or_not1_b32 s0, vcc_lo, exec_lo
.LBB625_334:
	s_or_b32 exec_lo, exec_lo, s26
.LBB625_335:
	s_delay_alu instid0(SALU_CYCLE_1)
	s_and_b32 s26, s0, exec_lo
.LBB625_336:
	s_or_b32 exec_lo, exec_lo, s34
	v_or_b32_e32 v33, 3, v55
	s_mov_b32 s35, 0
	s_mov_b32 s34, 0
	s_mov_b32 s36, exec_lo
	s_delay_alu instid0(VALU_DEP_1)
	v_cmpx_gt_u32_e64 s31, v33
	s_cbranch_execz .LBB625_347
; %bb.337:
	s_and_not1_b32 vcc_lo, exec_lo, s13
	s_mov_b32 s0, 0
	s_cbranch_vccnz .LBB625_346
; %bb.338:
	v_mul_lo_u32 v37, v26, s14
	v_mul_lo_u32 v38, v25, s15
	v_mad_u64_u32 v[33:34], null, v25, s14, 0
	v_mul_lo_u32 v39, v28, s14
	v_mul_lo_u32 v40, v27, s15
	v_mad_u64_u32 v[35:36], null, v27, s14, 0
	s_mov_b32 s0, -1
	s_mov_b32 s34, exec_lo
	s_delay_alu instid0(VALU_DEP_4) | instskip(NEXT) | instid1(VALU_DEP_2)
	v_add3_u32 v34, v34, v38, v37
	v_add3_u32 v36, v36, v40, v39
	s_delay_alu instid0(VALU_DEP_2) | instskip(NEXT) | instid1(VALU_DEP_2)
	v_lshlrev_b64 v[33:34], 3, v[33:34]
	v_lshlrev_b64 v[37:38], 3, v[35:36]
	s_delay_alu instid0(VALU_DEP_2) | instskip(NEXT) | instid1(VALU_DEP_3)
	v_add_co_u32 v35, vcc_lo, s20, v33
	v_add_co_ci_u32_e32 v36, vcc_lo, s21, v34, vcc_lo
	s_delay_alu instid0(VALU_DEP_3) | instskip(NEXT) | instid1(VALU_DEP_4)
	v_add_co_u32 v33, vcc_lo, s20, v37
	v_add_co_ci_u32_e32 v34, vcc_lo, s21, v38, vcc_lo
	s_clause 0x1
	global_load_b64 v[37:38], v[35:36], off
	global_load_b64 v[39:40], v[33:34], off
	s_waitcnt vmcnt(0)
	v_cmpx_eq_u64_e64 v[37:38], v[39:40]
	s_cbranch_execz .LBB625_345
; %bb.339:
	v_add_co_u32 v33, vcc_lo, v33, 8
	v_add_co_ci_u32_e32 v34, vcc_lo, 0, v34, vcc_lo
	v_add_co_u32 v35, vcc_lo, v35, 8
	v_add_co_ci_u32_e32 v36, vcc_lo, 0, v36, vcc_lo
	s_add_u32 s4, s14, -1
	s_addc_u32 s5, s15, -1
	s_mov_b64 s[6:7], 0
	s_mov_b32 s37, 0
                                        ; implicit-def: $sgpr38
	s_set_inst_prefetch_distance 0x1
	s_branch .LBB625_342
	.p2align	6
.LBB625_340:                            ;   in Loop: Header=BB625_342 Depth=1
	global_load_b64 v[37:38], v[35:36], off
	global_load_b64 v[39:40], v[33:34], off
	v_add_co_u32 v33, vcc_lo, v33, 8
	v_add_co_ci_u32_e32 v34, vcc_lo, 0, v34, vcc_lo
	v_add_co_u32 v35, s0, v35, 8
	s_delay_alu instid0(VALU_DEP_1)
	v_add_co_ci_u32_e64 v36, s0, 0, v36, s0
	s_add_u32 s6, s6, 1
	s_addc_u32 s7, s7, 0
	s_and_not1_b32 s0, s38, exec_lo
	s_waitcnt vmcnt(0)
	v_cmp_ne_u64_e32 vcc_lo, v[37:38], v[39:40]
	s_and_b32 s38, vcc_lo, exec_lo
	s_delay_alu instid0(SALU_CYCLE_1)
	s_or_b32 s38, s0, s38
.LBB625_341:                            ;   in Loop: Header=BB625_342 Depth=1
	v_dual_mov_b32 v38, s7 :: v_dual_mov_b32 v37, s6
	s_and_b32 s0, exec_lo, s38
	s_delay_alu instid0(SALU_CYCLE_1) | instskip(NEXT) | instid1(SALU_CYCLE_1)
	s_or_b32 s37, s0, s37
	s_and_not1_b32 exec_lo, exec_lo, s37
	s_cbranch_execz .LBB625_344
.LBB625_342:                            ; =>This Inner Loop Header: Depth=1
	s_or_b32 s38, s38, exec_lo
	s_cmp_eq_u64 s[4:5], s[6:7]
	s_cbranch_scc0 .LBB625_340
; %bb.343:                              ;   in Loop: Header=BB625_342 Depth=1
	s_mov_b64 s[6:7], s[14:15]
                                        ; implicit-def: $vgpr33_vgpr34
                                        ; implicit-def: $vgpr35_vgpr36
	s_branch .LBB625_341
.LBB625_344:
	s_set_inst_prefetch_distance 0x2
	s_or_b32 exec_lo, exec_lo, s37
	v_cmp_gt_i64_e32 vcc_lo, s[14:15], v[37:38]
	s_or_not1_b32 s0, vcc_lo, exec_lo
.LBB625_345:
	s_or_b32 exec_lo, exec_lo, s34
.LBB625_346:
	s_delay_alu instid0(SALU_CYCLE_1)
	s_and_b32 s34, s0, exec_lo
.LBB625_347:
	s_or_b32 exec_lo, exec_lo, s36
	v_or_b32_e32 v33, 2, v55
	s_mov_b32 s36, exec_lo
	s_delay_alu instid0(VALU_DEP_1)
	v_cmpx_gt_u32_e64 s31, v33
	s_cbranch_execz .LBB625_358
; %bb.348:
	s_and_not1_b32 vcc_lo, exec_lo, s13
	s_mov_b32 s0, 0
	s_cbranch_vccnz .LBB625_357
; %bb.349:
	v_mul_lo_u32 v37, v32, s14
	v_mul_lo_u32 v38, v31, s15
	v_mad_u64_u32 v[33:34], null, v31, s14, 0
	v_mul_lo_u32 v39, v26, s14
	v_mul_lo_u32 v40, v25, s15
	v_mad_u64_u32 v[35:36], null, v25, s14, 0
	s_mov_b32 s0, -1
	s_mov_b32 s35, exec_lo
	s_delay_alu instid0(VALU_DEP_4) | instskip(NEXT) | instid1(VALU_DEP_2)
	v_add3_u32 v34, v34, v38, v37
	v_add3_u32 v36, v36, v40, v39
	s_delay_alu instid0(VALU_DEP_2) | instskip(NEXT) | instid1(VALU_DEP_2)
	v_lshlrev_b64 v[33:34], 3, v[33:34]
	v_lshlrev_b64 v[37:38], 3, v[35:36]
	s_delay_alu instid0(VALU_DEP_2) | instskip(NEXT) | instid1(VALU_DEP_3)
	v_add_co_u32 v35, vcc_lo, s20, v33
	v_add_co_ci_u32_e32 v36, vcc_lo, s21, v34, vcc_lo
	s_delay_alu instid0(VALU_DEP_3) | instskip(NEXT) | instid1(VALU_DEP_4)
	v_add_co_u32 v33, vcc_lo, s20, v37
	v_add_co_ci_u32_e32 v34, vcc_lo, s21, v38, vcc_lo
	s_clause 0x1
	global_load_b64 v[37:38], v[35:36], off
	global_load_b64 v[39:40], v[33:34], off
	s_waitcnt vmcnt(0)
	v_cmpx_eq_u64_e64 v[37:38], v[39:40]
	s_cbranch_execz .LBB625_356
; %bb.350:
	v_add_co_u32 v33, vcc_lo, v33, 8
	v_add_co_ci_u32_e32 v34, vcc_lo, 0, v34, vcc_lo
	v_add_co_u32 v35, vcc_lo, v35, 8
	v_add_co_ci_u32_e32 v36, vcc_lo, 0, v36, vcc_lo
	s_add_u32 s4, s14, -1
	s_addc_u32 s5, s15, -1
	s_mov_b64 s[6:7], 0
	s_mov_b32 s37, 0
                                        ; implicit-def: $sgpr38
	s_set_inst_prefetch_distance 0x1
	s_branch .LBB625_353
	.p2align	6
.LBB625_351:                            ;   in Loop: Header=BB625_353 Depth=1
	global_load_b64 v[37:38], v[35:36], off
	global_load_b64 v[39:40], v[33:34], off
	v_add_co_u32 v33, vcc_lo, v33, 8
	v_add_co_ci_u32_e32 v34, vcc_lo, 0, v34, vcc_lo
	v_add_co_u32 v35, s0, v35, 8
	s_delay_alu instid0(VALU_DEP_1)
	v_add_co_ci_u32_e64 v36, s0, 0, v36, s0
	s_add_u32 s6, s6, 1
	s_addc_u32 s7, s7, 0
	s_and_not1_b32 s0, s38, exec_lo
	s_waitcnt vmcnt(0)
	v_cmp_ne_u64_e32 vcc_lo, v[37:38], v[39:40]
	s_and_b32 s38, vcc_lo, exec_lo
	s_delay_alu instid0(SALU_CYCLE_1)
	s_or_b32 s38, s0, s38
.LBB625_352:                            ;   in Loop: Header=BB625_353 Depth=1
	v_dual_mov_b32 v38, s7 :: v_dual_mov_b32 v37, s6
	s_and_b32 s0, exec_lo, s38
	s_delay_alu instid0(SALU_CYCLE_1) | instskip(NEXT) | instid1(SALU_CYCLE_1)
	s_or_b32 s37, s0, s37
	s_and_not1_b32 exec_lo, exec_lo, s37
	s_cbranch_execz .LBB625_355
.LBB625_353:                            ; =>This Inner Loop Header: Depth=1
	s_or_b32 s38, s38, exec_lo
	s_cmp_eq_u64 s[4:5], s[6:7]
	s_cbranch_scc0 .LBB625_351
; %bb.354:                              ;   in Loop: Header=BB625_353 Depth=1
	s_mov_b64 s[6:7], s[14:15]
                                        ; implicit-def: $vgpr33_vgpr34
                                        ; implicit-def: $vgpr35_vgpr36
	s_branch .LBB625_352
.LBB625_355:
	s_set_inst_prefetch_distance 0x2
	s_or_b32 exec_lo, exec_lo, s37
	v_cmp_gt_i64_e32 vcc_lo, s[14:15], v[37:38]
	s_or_not1_b32 s0, vcc_lo, exec_lo
.LBB625_356:
	s_or_b32 exec_lo, exec_lo, s35
.LBB625_357:
	s_delay_alu instid0(SALU_CYCLE_1)
	s_and_b32 s35, s0, exec_lo
.LBB625_358:
	s_or_b32 exec_lo, exec_lo, s36
	v_or_b32_e32 v33, 1, v55
	s_mov_b32 s0, 0
	s_mov_b32 s36, exec_lo
	s_delay_alu instid0(VALU_DEP_1)
	v_cmpx_gt_u32_e64 s31, v33
	s_cbranch_execz .LBB625_369
; %bb.359:
	s_and_not1_b32 vcc_lo, exec_lo, s13
	s_cbranch_vccnz .LBB625_368
; %bb.360:
	v_mul_lo_u32 v37, v30, s14
	v_mul_lo_u32 v38, v29, s15
	v_mad_u64_u32 v[33:34], null, v29, s14, 0
	v_mul_lo_u32 v39, v32, s14
	v_mul_lo_u32 v40, v31, s15
	v_mad_u64_u32 v[35:36], null, v31, s14, 0
	s_mov_b32 s0, -1
	s_mov_b32 s37, exec_lo
	s_delay_alu instid0(VALU_DEP_4) | instskip(NEXT) | instid1(VALU_DEP_2)
	v_add3_u32 v34, v34, v38, v37
	v_add3_u32 v36, v36, v40, v39
	s_delay_alu instid0(VALU_DEP_2) | instskip(NEXT) | instid1(VALU_DEP_2)
	v_lshlrev_b64 v[33:34], 3, v[33:34]
	v_lshlrev_b64 v[37:38], 3, v[35:36]
	s_delay_alu instid0(VALU_DEP_2) | instskip(NEXT) | instid1(VALU_DEP_3)
	v_add_co_u32 v35, vcc_lo, s20, v33
	v_add_co_ci_u32_e32 v36, vcc_lo, s21, v34, vcc_lo
	s_delay_alu instid0(VALU_DEP_3) | instskip(NEXT) | instid1(VALU_DEP_4)
	v_add_co_u32 v33, vcc_lo, s20, v37
	v_add_co_ci_u32_e32 v34, vcc_lo, s21, v38, vcc_lo
	s_clause 0x1
	global_load_b64 v[37:38], v[35:36], off
	global_load_b64 v[39:40], v[33:34], off
	s_waitcnt vmcnt(0)
	v_cmpx_eq_u64_e64 v[37:38], v[39:40]
	s_cbranch_execz .LBB625_367
; %bb.361:
	v_add_co_u32 v33, vcc_lo, v33, 8
	v_add_co_ci_u32_e32 v34, vcc_lo, 0, v34, vcc_lo
	v_add_co_u32 v35, vcc_lo, v35, 8
	v_add_co_ci_u32_e32 v36, vcc_lo, 0, v36, vcc_lo
	s_add_u32 s4, s14, -1
	s_addc_u32 s5, s15, -1
	s_mov_b64 s[6:7], 0
	s_mov_b32 s38, 0
                                        ; implicit-def: $sgpr39
	s_set_inst_prefetch_distance 0x1
	s_branch .LBB625_364
	.p2align	6
.LBB625_362:                            ;   in Loop: Header=BB625_364 Depth=1
	global_load_b64 v[37:38], v[35:36], off
	global_load_b64 v[39:40], v[33:34], off
	v_add_co_u32 v33, vcc_lo, v33, 8
	v_add_co_ci_u32_e32 v34, vcc_lo, 0, v34, vcc_lo
	v_add_co_u32 v35, s0, v35, 8
	s_delay_alu instid0(VALU_DEP_1)
	v_add_co_ci_u32_e64 v36, s0, 0, v36, s0
	s_add_u32 s6, s6, 1
	s_addc_u32 s7, s7, 0
	s_and_not1_b32 s0, s39, exec_lo
	s_waitcnt vmcnt(0)
	v_cmp_ne_u64_e32 vcc_lo, v[37:38], v[39:40]
	s_and_b32 s39, vcc_lo, exec_lo
	s_delay_alu instid0(SALU_CYCLE_1)
	s_or_b32 s39, s0, s39
.LBB625_363:                            ;   in Loop: Header=BB625_364 Depth=1
	v_dual_mov_b32 v38, s7 :: v_dual_mov_b32 v37, s6
	s_and_b32 s0, exec_lo, s39
	s_delay_alu instid0(SALU_CYCLE_1) | instskip(NEXT) | instid1(SALU_CYCLE_1)
	s_or_b32 s38, s0, s38
	s_and_not1_b32 exec_lo, exec_lo, s38
	s_cbranch_execz .LBB625_366
.LBB625_364:                            ; =>This Inner Loop Header: Depth=1
	s_or_b32 s39, s39, exec_lo
	s_cmp_eq_u64 s[4:5], s[6:7]
	s_cbranch_scc0 .LBB625_362
; %bb.365:                              ;   in Loop: Header=BB625_364 Depth=1
	s_mov_b64 s[6:7], s[14:15]
                                        ; implicit-def: $vgpr33_vgpr34
                                        ; implicit-def: $vgpr35_vgpr36
	s_branch .LBB625_363
.LBB625_366:
	s_set_inst_prefetch_distance 0x2
	s_or_b32 exec_lo, exec_lo, s38
	v_cmp_gt_i64_e32 vcc_lo, s[14:15], v[37:38]
	s_or_not1_b32 s0, vcc_lo, exec_lo
.LBB625_367:
	s_or_b32 exec_lo, exec_lo, s37
.LBB625_368:
	s_delay_alu instid0(SALU_CYCLE_1)
	s_and_b32 s0, s0, exec_lo
.LBB625_369:
	s_or_b32 exec_lo, exec_lo, s36
	v_cndmask_b32_e64 v34, 0, 1, s34
	v_cndmask_b32_e64 v35, 0, 1, s27
	;; [unrolled: 1-line block ×7, first 2 shown]
	v_lshlrev_b16 v35, 8, v35
	v_lshlrev_b16 v36, 8, v36
	;; [unrolled: 1-line block ×4, first 2 shown]
	s_waitcnt lgkmcnt(0)
	v_or_b32_e32 v35, v38, v35
	v_or_b32_e32 v36, v39, v36
	;; [unrolled: 1-line block ×4, first 2 shown]
	s_barrier
	v_and_b32_e32 v34, 0xffff, v35
	v_lshlrev_b32_e32 v35, 16, v36
	v_and_b32_e32 v37, 0xffff, v37
	v_lshlrev_b32_e32 v33, 16, v33
	buffer_gl0_inv
                                        ; implicit-def: $sgpr0
	v_or_b32_e32 v36, v34, v35
	v_or_b32_e32 v35, v37, v33
	s_and_saveexec_b32 s24, s3
	s_cbranch_execz .LBB625_382
; %bb.370:
	s_mov_b32 s0, 0
	s_mov_b32 s3, exec_lo
	v_cmpx_gt_u32_e64 s31, v55
	s_cbranch_execz .LBB625_381
; %bb.371:
	s_and_not1_b32 vcc_lo, exec_lo, s13
	s_cbranch_vccnz .LBB625_380
; %bb.372:
	v_add_nc_u32_e32 v33, -8, v55
	v_mul_lo_u32 v41, v30, s14
	v_mul_lo_u32 v42, v29, s15
	s_mov_b32 s0, -1
	s_mov_b32 s13, exec_lo
	ds_load_b64 v[33:34], v33
	s_waitcnt lgkmcnt(0)
	v_mul_lo_u32 v39, v34, s14
	v_mul_lo_u32 v40, v33, s15
	v_mad_u64_u32 v[37:38], null, v33, s14, 0
	v_mad_u64_u32 v[33:34], null, v29, s14, 0
	s_delay_alu instid0(VALU_DEP_2) | instskip(NEXT) | instid1(VALU_DEP_2)
	v_add3_u32 v38, v38, v40, v39
	v_add3_u32 v34, v34, v42, v41
	s_delay_alu instid0(VALU_DEP_2) | instskip(NEXT) | instid1(VALU_DEP_2)
	v_lshlrev_b64 v[37:38], 3, v[37:38]
	v_lshlrev_b64 v[33:34], 3, v[33:34]
	s_delay_alu instid0(VALU_DEP_2) | instskip(NEXT) | instid1(VALU_DEP_3)
	v_add_co_u32 v37, vcc_lo, s20, v37
	v_add_co_ci_u32_e32 v38, vcc_lo, s21, v38, vcc_lo
	s_delay_alu instid0(VALU_DEP_3) | instskip(NEXT) | instid1(VALU_DEP_4)
	v_add_co_u32 v33, vcc_lo, s20, v33
	v_add_co_ci_u32_e32 v34, vcc_lo, s21, v34, vcc_lo
	s_clause 0x1
	global_load_b64 v[39:40], v[37:38], off
	global_load_b64 v[41:42], v[33:34], off
	s_waitcnt vmcnt(0)
	v_cmpx_eq_u64_e64 v[39:40], v[41:42]
	s_cbranch_execz .LBB625_379
; %bb.373:
	v_add_co_u32 v33, vcc_lo, v33, 8
	v_add_co_ci_u32_e32 v34, vcc_lo, 0, v34, vcc_lo
	v_add_co_u32 v37, vcc_lo, v37, 8
	v_add_co_ci_u32_e32 v38, vcc_lo, 0, v38, vcc_lo
	s_add_u32 s4, s14, -1
	s_addc_u32 s5, s15, -1
	s_mov_b64 s[6:7], 0
	s_mov_b32 s20, 0
                                        ; implicit-def: $sgpr21
	s_set_inst_prefetch_distance 0x1
	s_branch .LBB625_376
	.p2align	6
.LBB625_374:                            ;   in Loop: Header=BB625_376 Depth=1
	global_load_b64 v[39:40], v[37:38], off
	global_load_b64 v[41:42], v[33:34], off
	v_add_co_u32 v33, vcc_lo, v33, 8
	v_add_co_ci_u32_e32 v34, vcc_lo, 0, v34, vcc_lo
	v_add_co_u32 v37, s0, v37, 8
	s_delay_alu instid0(VALU_DEP_1)
	v_add_co_ci_u32_e64 v38, s0, 0, v38, s0
	s_add_u32 s6, s6, 1
	s_addc_u32 s7, s7, 0
	s_and_not1_b32 s0, s21, exec_lo
	s_waitcnt vmcnt(0)
	v_cmp_ne_u64_e32 vcc_lo, v[39:40], v[41:42]
	s_and_b32 s21, vcc_lo, exec_lo
	s_delay_alu instid0(SALU_CYCLE_1)
	s_or_b32 s21, s0, s21
.LBB625_375:                            ;   in Loop: Header=BB625_376 Depth=1
	v_dual_mov_b32 v40, s7 :: v_dual_mov_b32 v39, s6
	s_and_b32 s0, exec_lo, s21
	s_delay_alu instid0(SALU_CYCLE_1) | instskip(NEXT) | instid1(SALU_CYCLE_1)
	s_or_b32 s20, s0, s20
	s_and_not1_b32 exec_lo, exec_lo, s20
	s_cbranch_execz .LBB625_378
.LBB625_376:                            ; =>This Inner Loop Header: Depth=1
	s_or_b32 s21, s21, exec_lo
	s_cmp_eq_u64 s[4:5], s[6:7]
	s_cbranch_scc0 .LBB625_374
; %bb.377:                              ;   in Loop: Header=BB625_376 Depth=1
	s_mov_b64 s[6:7], s[14:15]
                                        ; implicit-def: $vgpr33_vgpr34
                                        ; implicit-def: $vgpr37_vgpr38
	s_branch .LBB625_375
.LBB625_378:
	s_set_inst_prefetch_distance 0x2
	s_or_b32 exec_lo, exec_lo, s20
	v_cmp_gt_i64_e32 vcc_lo, s[14:15], v[39:40]
	s_or_not1_b32 s0, vcc_lo, exec_lo
.LBB625_379:
	s_or_b32 exec_lo, exec_lo, s13
.LBB625_380:
	s_delay_alu instid0(SALU_CYCLE_1)
	s_and_b32 s0, s0, exec_lo
.LBB625_381:
	s_or_b32 exec_lo, exec_lo, s3
	s_delay_alu instid0(SALU_CYCLE_1)
	s_and_b32 s0, s0, exec_lo
	s_or_b32 s1, s1, exec_lo
.LBB625_382:
	s_or_b32 exec_lo, exec_lo, s24
.LBB625_383:
	s_and_saveexec_b32 s3, s1
	s_cbranch_execz .LBB625_385
; %bb.384:
	s_waitcnt vmcnt(0) lgkmcnt(0)
	v_and_b32_e32 v33, 0xffffff00, v35
	v_cndmask_b32_e64 v34, 0, 1, s0
	s_delay_alu instid0(VALU_DEP_1) | instskip(NEXT) | instid1(VALU_DEP_1)
	v_or_b32_e32 v33, v34, v33
	v_and_b32_e32 v33, 0xffff, v33
	s_delay_alu instid0(VALU_DEP_1)
	v_and_or_b32 v35, 0xffff0000, v35, v33
.LBB625_385:
	s_or_b32 exec_lo, exec_lo, s3
	s_delay_alu instid0(SALU_CYCLE_1)
	s_and_not1_b32 vcc_lo, exec_lo, s33
	s_cbranch_vccnz .LBB625_387
; %bb.386:
	v_cmp_gt_u32_e32 vcc_lo, s31, v55
	s_waitcnt vmcnt(0) lgkmcnt(0)
	v_or_b32_e32 v34, 1, v55
	v_and_b32_e32 v37, 0xffffff00, v36
	v_or_b32_e32 v38, 2, v55
	v_cndmask_b32_e32 v33, 0, v35, vcc_lo
	s_delay_alu instid0(VALU_DEP_4) | instskip(SKIP_1) | instid1(VALU_DEP_4)
	v_cmp_gt_u32_e32 vcc_lo, s31, v34
	v_or_b32_e32 v34, 4, v55
	v_cmp_gt_u32_e64 s0, s31, v38
	v_or_b32_e32 v38, 3, v55
	v_and_b32_e32 v33, 0xff, v33
	s_delay_alu instid0(VALU_DEP_2) | instskip(NEXT) | instid1(VALU_DEP_2)
	v_cmp_gt_u32_e64 s1, s31, v38
	v_cndmask_b32_e32 v33, v33, v35, vcc_lo
	v_cmp_gt_u32_e32 vcc_lo, s31, v34
	v_cndmask_b32_e32 v34, v37, v36, vcc_lo
	v_or_b32_e32 v37, 5, v55
	s_delay_alu instid0(VALU_DEP_2) | instskip(SKIP_1) | instid1(VALU_DEP_1)
	v_and_b32_e32 v34, 0xffff00ff, v34
	v_and_b32_e32 v33, 0xffff, v33
	v_cndmask_b32_e64 v33, v33, v35, s0
	s_delay_alu instid0(VALU_DEP_4) | instskip(SKIP_1) | instid1(VALU_DEP_3)
	v_cmp_gt_u32_e64 s0, s31, v37
	v_or_b32_e32 v37, 6, v55
	v_and_b32_e32 v33, 0xffffff, v33
	s_delay_alu instid0(VALU_DEP_3) | instskip(NEXT) | instid1(VALU_DEP_2)
	v_cndmask_b32_e64 v34, v34, v36, s0
	v_cndmask_b32_e64 v33, v33, v35, s1
	s_delay_alu instid0(VALU_DEP_1) | instskip(SKIP_2) | instid1(VALU_DEP_3)
	v_dual_cndmask_b32 v33, v33, v35 :: v_dual_and_b32 v34, 0xff00ffff, v34
	v_cmp_gt_u32_e32 vcc_lo, s31, v37
	v_or_b32_e32 v37, 7, v55
	v_cndmask_b32_e64 v33, v33, v35, s0
	s_delay_alu instid0(VALU_DEP_1) | instskip(NEXT) | instid1(VALU_DEP_1)
	v_dual_cndmask_b32 v34, v34, v36 :: v_dual_cndmask_b32 v33, v33, v35
	v_and_b32_e32 v34, 0xffffff, v34
	s_delay_alu instid0(VALU_DEP_4) | instskip(NEXT) | instid1(VALU_DEP_2)
	v_cmp_gt_u32_e32 vcc_lo, s31, v37
	v_dual_cndmask_b32 v36, v34, v36 :: v_dual_cndmask_b32 v35, v33, v35
.LBB625_387:
	s_delay_alu instid0(VALU_DEP_1) | instskip(SKIP_1) | instid1(VALU_DEP_2)
	v_and_b32_e32 v44, 0xff, v35
	s_waitcnt vmcnt(0) lgkmcnt(0)
	v_alignbit_b32 v33, v36, v35, 24
	v_bfe_u32 v46, v35, 8, 8
	v_bfe_u32 v48, v35, 16, 8
	v_and_b32_e32 v52, 0xff, v36
	v_bfe_u32 v54, v36, 8, 8
	v_and_b32_e32 v50, 0xff, v33
	v_add_nc_u32_e32 v33, v46, v44
	v_mbcnt_lo_u32_b32 v58, -1, 0
	v_bfe_u32 v57, v36, 16, 8
	v_lshrrev_b32_e32 v56, 24, v36
	v_lshrrev_b32_e32 v59, 5, v0
	v_add3_u32 v33, v33, v48, v50
	v_and_b32_e32 v34, 15, v58
	v_and_b32_e32 v37, 16, v58
	s_and_b32 vcc_lo, exec_lo, s12
	s_mov_b32 s7, -1
	v_add3_u32 v33, v33, v52, v54
	v_cmp_eq_u32_e64 s3, 0, v34
	v_cmp_lt_u32_e64 s0, 1, v34
	v_cmp_lt_u32_e64 s4, 3, v34
	;; [unrolled: 1-line block ×3, first 2 shown]
	v_add3_u32 v60, v33, v57, v56
	v_or_b32_e32 v33, 31, v0
	v_cmp_eq_u32_e64 s6, 0, v37
	s_barrier
	buffer_gl0_inv
	v_cmp_eq_u32_e64 s5, v33, v0
	s_cbranch_vccz .LBB625_413
; %bb.388:
	v_mov_b32_dpp v33, v60 row_shr:1 row_mask:0xf bank_mask:0xf
	s_delay_alu instid0(VALU_DEP_1) | instskip(NEXT) | instid1(VALU_DEP_1)
	v_cndmask_b32_e64 v33, v33, 0, s3
	v_add_nc_u32_e32 v33, v33, v60
	s_delay_alu instid0(VALU_DEP_1) | instskip(NEXT) | instid1(VALU_DEP_1)
	v_mov_b32_dpp v34, v33 row_shr:2 row_mask:0xf bank_mask:0xf
	v_cndmask_b32_e64 v34, 0, v34, s0
	s_delay_alu instid0(VALU_DEP_1) | instskip(NEXT) | instid1(VALU_DEP_1)
	v_add_nc_u32_e32 v33, v33, v34
	v_mov_b32_dpp v34, v33 row_shr:4 row_mask:0xf bank_mask:0xf
	s_delay_alu instid0(VALU_DEP_1) | instskip(NEXT) | instid1(VALU_DEP_1)
	v_cndmask_b32_e64 v34, 0, v34, s4
	v_add_nc_u32_e32 v33, v33, v34
	s_delay_alu instid0(VALU_DEP_1) | instskip(NEXT) | instid1(VALU_DEP_1)
	v_mov_b32_dpp v34, v33 row_shr:8 row_mask:0xf bank_mask:0xf
	v_cndmask_b32_e64 v34, 0, v34, s1
	s_delay_alu instid0(VALU_DEP_1) | instskip(SKIP_3) | instid1(VALU_DEP_1)
	v_add_nc_u32_e32 v33, v33, v34
	ds_swizzle_b32 v34, v33 offset:swizzle(BROADCAST,32,15)
	s_waitcnt lgkmcnt(0)
	v_cndmask_b32_e64 v34, v34, 0, s6
	v_add_nc_u32_e32 v33, v33, v34
	s_and_saveexec_b32 s7, s5
	s_cbranch_execz .LBB625_390
; %bb.389:
	v_lshlrev_b32_e32 v34, 2, v59
	ds_store_b32 v34, v33
.LBB625_390:
	s_or_b32 exec_lo, exec_lo, s7
	s_delay_alu instid0(SALU_CYCLE_1)
	s_mov_b32 s7, exec_lo
	s_waitcnt lgkmcnt(0)
	s_barrier
	buffer_gl0_inv
	v_cmpx_gt_u32_e32 16, v0
	s_cbranch_execz .LBB625_392
; %bb.391:
	v_lshlrev_b32_e32 v34, 2, v0
	ds_load_b32 v37, v34
	s_waitcnt lgkmcnt(0)
	v_mov_b32_dpp v38, v37 row_shr:1 row_mask:0xf bank_mask:0xf
	s_delay_alu instid0(VALU_DEP_1) | instskip(NEXT) | instid1(VALU_DEP_1)
	v_cndmask_b32_e64 v38, v38, 0, s3
	v_add_nc_u32_e32 v37, v38, v37
	s_delay_alu instid0(VALU_DEP_1) | instskip(NEXT) | instid1(VALU_DEP_1)
	v_mov_b32_dpp v38, v37 row_shr:2 row_mask:0xf bank_mask:0xf
	v_cndmask_b32_e64 v38, 0, v38, s0
	s_delay_alu instid0(VALU_DEP_1) | instskip(NEXT) | instid1(VALU_DEP_1)
	v_add_nc_u32_e32 v37, v37, v38
	v_mov_b32_dpp v38, v37 row_shr:4 row_mask:0xf bank_mask:0xf
	s_delay_alu instid0(VALU_DEP_1) | instskip(NEXT) | instid1(VALU_DEP_1)
	v_cndmask_b32_e64 v38, 0, v38, s4
	v_add_nc_u32_e32 v37, v37, v38
	s_delay_alu instid0(VALU_DEP_1) | instskip(NEXT) | instid1(VALU_DEP_1)
	v_mov_b32_dpp v38, v37 row_shr:8 row_mask:0xf bank_mask:0xf
	v_cndmask_b32_e64 v38, 0, v38, s1
	s_delay_alu instid0(VALU_DEP_1)
	v_add_nc_u32_e32 v37, v37, v38
	ds_store_b32 v34, v37
.LBB625_392:
	s_or_b32 exec_lo, exec_lo, s7
	v_cmp_gt_u32_e32 vcc_lo, 32, v0
	s_mov_b32 s12, exec_lo
	s_waitcnt lgkmcnt(0)
	s_barrier
	buffer_gl0_inv
                                        ; implicit-def: $vgpr43
	v_cmpx_lt_u32_e32 31, v0
	s_cbranch_execz .LBB625_394
; %bb.393:
	v_lshl_add_u32 v34, v59, 2, -4
	ds_load_b32 v43, v34
	s_waitcnt lgkmcnt(0)
	v_add_nc_u32_e32 v33, v43, v33
.LBB625_394:
	s_or_b32 exec_lo, exec_lo, s12
	v_add_nc_u32_e32 v34, -1, v58
	s_delay_alu instid0(VALU_DEP_1) | instskip(NEXT) | instid1(VALU_DEP_1)
	v_cmp_gt_i32_e64 s7, 0, v34
	v_cndmask_b32_e64 v34, v34, v58, s7
	v_cmp_eq_u32_e64 s7, 0, v58
	s_delay_alu instid0(VALU_DEP_2)
	v_lshlrev_b32_e32 v34, 2, v34
	ds_bpermute_b32 v45, v34, v33
	s_and_saveexec_b32 s12, vcc_lo
	s_cbranch_execz .LBB625_412
; %bb.395:
	v_mov_b32_e32 v39, 0
	ds_load_b32 v33, v39 offset:60
	s_and_saveexec_b32 s13, s7
	s_cbranch_execz .LBB625_397
; %bb.396:
	s_add_i32 s14, s30, 32
	s_mov_b32 s15, 0
	v_mov_b32_e32 v34, 1
	s_lshl_b64 s[14:15], s[14:15], 3
	s_delay_alu instid0(SALU_CYCLE_1)
	s_add_u32 s14, s22, s14
	s_addc_u32 s15, s23, s15
	s_waitcnt lgkmcnt(0)
	global_store_b64 v39, v[33:34], s[14:15]
.LBB625_397:
	s_or_b32 exec_lo, exec_lo, s13
	v_xad_u32 v37, v58, -1, s30
	s_mov_b32 s14, 0
	s_mov_b32 s13, exec_lo
	s_delay_alu instid0(VALU_DEP_1) | instskip(NEXT) | instid1(VALU_DEP_1)
	v_add_nc_u32_e32 v38, 32, v37
	v_lshlrev_b64 v[38:39], 3, v[38:39]
	s_delay_alu instid0(VALU_DEP_1) | instskip(NEXT) | instid1(VALU_DEP_2)
	v_add_co_u32 v41, vcc_lo, s22, v38
	v_add_co_ci_u32_e32 v42, vcc_lo, s23, v39, vcc_lo
	global_load_b64 v[39:40], v[41:42], off glc
	s_waitcnt vmcnt(0)
	v_and_b32_e32 v34, 0xff, v40
	s_delay_alu instid0(VALU_DEP_1)
	v_cmpx_eq_u16_e32 0, v34
	s_cbranch_execz .LBB625_400
.LBB625_398:                            ; =>This Inner Loop Header: Depth=1
	global_load_b64 v[39:40], v[41:42], off glc
	s_waitcnt vmcnt(0)
	v_and_b32_e32 v34, 0xff, v40
	s_delay_alu instid0(VALU_DEP_1) | instskip(SKIP_1) | instid1(SALU_CYCLE_1)
	v_cmp_ne_u16_e32 vcc_lo, 0, v34
	s_or_b32 s14, vcc_lo, s14
	s_and_not1_b32 exec_lo, exec_lo, s14
	s_cbranch_execnz .LBB625_398
; %bb.399:
	s_or_b32 exec_lo, exec_lo, s14
.LBB625_400:
	s_delay_alu instid0(SALU_CYCLE_1)
	s_or_b32 exec_lo, exec_lo, s13
	v_cmp_ne_u32_e32 vcc_lo, 31, v58
	v_and_b32_e32 v38, 0xff, v40
	v_lshlrev_b32_e64 v47, v58, -1
	v_add_nc_u32_e32 v51, 2, v58
	v_add_nc_u32_e32 v61, 4, v58
	v_add_co_ci_u32_e32 v34, vcc_lo, 0, v58, vcc_lo
	v_cmp_eq_u16_e32 vcc_lo, 2, v38
	v_add_nc_u32_e32 v64, 8, v58
	v_add_nc_u32_e32 v66, 16, v58
	v_and_or_b32 v38, vcc_lo, v47, 0x80000000
	v_cmp_gt_u32_e32 vcc_lo, 30, v58
	s_delay_alu instid0(VALU_DEP_2) | instskip(SKIP_1) | instid1(VALU_DEP_2)
	v_ctz_i32_b32_e32 v38, v38
	v_cndmask_b32_e64 v42, 0, 1, vcc_lo
	v_cmp_lt_u32_e32 vcc_lo, v58, v38
	v_lshlrev_b32_e32 v34, 2, v34
	s_delay_alu instid0(VALU_DEP_3)
	v_lshlrev_b32_e32 v42, 1, v42
	ds_bpermute_b32 v41, v34, v39
	v_add_lshl_u32 v49, v42, v58, 2
	s_waitcnt lgkmcnt(0)
	v_cndmask_b32_e32 v41, 0, v41, vcc_lo
	v_cmp_gt_u32_e32 vcc_lo, 28, v58
	s_delay_alu instid0(VALU_DEP_2) | instskip(SKIP_4) | instid1(VALU_DEP_1)
	v_add_nc_u32_e32 v39, v41, v39
	v_cndmask_b32_e64 v42, 0, 1, vcc_lo
	v_cmp_le_u32_e32 vcc_lo, v51, v38
	ds_bpermute_b32 v41, v49, v39
	v_lshlrev_b32_e32 v42, 2, v42
	v_add_lshl_u32 v53, v42, v58, 2
	s_waitcnt lgkmcnt(0)
	v_cndmask_b32_e32 v41, 0, v41, vcc_lo
	v_cmp_gt_u32_e32 vcc_lo, 24, v58
	s_delay_alu instid0(VALU_DEP_2) | instskip(SKIP_4) | instid1(VALU_DEP_1)
	v_add_nc_u32_e32 v39, v39, v41
	v_cndmask_b32_e64 v42, 0, 1, vcc_lo
	v_cmp_le_u32_e32 vcc_lo, v61, v38
	ds_bpermute_b32 v41, v53, v39
	v_lshlrev_b32_e32 v42, 3, v42
	;; [unrolled: 10-line block ×3, first 2 shown]
	v_add_lshl_u32 v65, v42, v58, 2
	s_waitcnt lgkmcnt(0)
	v_cndmask_b32_e32 v41, 0, v41, vcc_lo
	v_cmp_le_u32_e32 vcc_lo, v66, v38
	s_delay_alu instid0(VALU_DEP_2) | instskip(SKIP_3) | instid1(VALU_DEP_1)
	v_add_nc_u32_e32 v39, v39, v41
	ds_bpermute_b32 v41, v65, v39
	s_waitcnt lgkmcnt(0)
	v_cndmask_b32_e32 v38, 0, v41, vcc_lo
	v_dual_mov_b32 v38, 0 :: v_dual_add_nc_u32 v39, v39, v38
	s_branch .LBB625_402
.LBB625_401:                            ;   in Loop: Header=BB625_402 Depth=1
	s_or_b32 exec_lo, exec_lo, s13
	ds_bpermute_b32 v42, v34, v39
	v_and_b32_e32 v41, 0xff, v40
	v_subrev_nc_u32_e32 v37, 32, v37
	s_delay_alu instid0(VALU_DEP_2) | instskip(SKIP_1) | instid1(VALU_DEP_1)
	v_cmp_eq_u16_e32 vcc_lo, 2, v41
	v_and_or_b32 v41, vcc_lo, v47, 0x80000000
	v_ctz_i32_b32_e32 v41, v41
	s_delay_alu instid0(VALU_DEP_1) | instskip(SKIP_3) | instid1(VALU_DEP_2)
	v_cmp_lt_u32_e32 vcc_lo, v58, v41
	s_waitcnt lgkmcnt(0)
	v_cndmask_b32_e32 v42, 0, v42, vcc_lo
	v_cmp_le_u32_e32 vcc_lo, v51, v41
	v_add_nc_u32_e32 v39, v42, v39
	ds_bpermute_b32 v42, v49, v39
	s_waitcnt lgkmcnt(0)
	v_cndmask_b32_e32 v42, 0, v42, vcc_lo
	v_cmp_le_u32_e32 vcc_lo, v61, v41
	s_delay_alu instid0(VALU_DEP_2) | instskip(SKIP_4) | instid1(VALU_DEP_2)
	v_add_nc_u32_e32 v39, v39, v42
	ds_bpermute_b32 v42, v53, v39
	s_waitcnt lgkmcnt(0)
	v_cndmask_b32_e32 v42, 0, v42, vcc_lo
	v_cmp_le_u32_e32 vcc_lo, v64, v41
	v_add_nc_u32_e32 v39, v39, v42
	ds_bpermute_b32 v42, v63, v39
	s_waitcnt lgkmcnt(0)
	v_cndmask_b32_e32 v42, 0, v42, vcc_lo
	v_cmp_le_u32_e32 vcc_lo, v66, v41
	s_delay_alu instid0(VALU_DEP_2) | instskip(SKIP_3) | instid1(VALU_DEP_1)
	v_add_nc_u32_e32 v39, v39, v42
	ds_bpermute_b32 v42, v65, v39
	s_waitcnt lgkmcnt(0)
	v_cndmask_b32_e32 v41, 0, v42, vcc_lo
	v_add3_u32 v39, v41, v62, v39
.LBB625_402:                            ; =>This Loop Header: Depth=1
                                        ;     Child Loop BB625_405 Depth 2
	v_and_b32_e32 v40, 0xff, v40
	s_delay_alu instid0(VALU_DEP_2) | instskip(NEXT) | instid1(VALU_DEP_2)
	v_mov_b32_e32 v62, v39
	v_cmp_ne_u16_e32 vcc_lo, 2, v40
	v_cndmask_b32_e64 v40, 0, 1, vcc_lo
	;;#ASMSTART
	;;#ASMEND
	s_delay_alu instid0(VALU_DEP_1)
	v_cmp_ne_u32_e32 vcc_lo, 0, v40
	s_cmp_lg_u32 vcc_lo, exec_lo
	s_cbranch_scc1 .LBB625_407
; %bb.403:                              ;   in Loop: Header=BB625_402 Depth=1
	v_lshlrev_b64 v[39:40], 3, v[37:38]
	s_mov_b32 s13, exec_lo
	s_delay_alu instid0(VALU_DEP_1) | instskip(NEXT) | instid1(VALU_DEP_2)
	v_add_co_u32 v41, vcc_lo, s22, v39
	v_add_co_ci_u32_e32 v42, vcc_lo, s23, v40, vcc_lo
	global_load_b64 v[39:40], v[41:42], off glc
	s_waitcnt vmcnt(0)
	v_and_b32_e32 v67, 0xff, v40
	s_delay_alu instid0(VALU_DEP_1)
	v_cmpx_eq_u16_e32 0, v67
	s_cbranch_execz .LBB625_401
; %bb.404:                              ;   in Loop: Header=BB625_402 Depth=1
	s_mov_b32 s14, 0
.LBB625_405:                            ;   Parent Loop BB625_402 Depth=1
                                        ; =>  This Inner Loop Header: Depth=2
	global_load_b64 v[39:40], v[41:42], off glc
	s_waitcnt vmcnt(0)
	v_and_b32_e32 v67, 0xff, v40
	s_delay_alu instid0(VALU_DEP_1) | instskip(SKIP_1) | instid1(SALU_CYCLE_1)
	v_cmp_ne_u16_e32 vcc_lo, 0, v67
	s_or_b32 s14, vcc_lo, s14
	s_and_not1_b32 exec_lo, exec_lo, s14
	s_cbranch_execnz .LBB625_405
; %bb.406:                              ;   in Loop: Header=BB625_402 Depth=1
	s_or_b32 exec_lo, exec_lo, s14
	s_branch .LBB625_401
.LBB625_407:                            ;   in Loop: Header=BB625_402 Depth=1
                                        ; implicit-def: $vgpr39
                                        ; implicit-def: $vgpr40
	s_cbranch_execz .LBB625_402
; %bb.408:
	s_and_saveexec_b32 s13, s7
	s_cbranch_execz .LBB625_410
; %bb.409:
	s_add_i32 s14, s30, 32
	s_mov_b32 s15, 0
	v_dual_mov_b32 v38, 2 :: v_dual_add_nc_u32 v37, v62, v33
	s_lshl_b64 s[14:15], s[14:15], 3
	v_mov_b32_e32 v34, 0
	v_add_nc_u32_e64 v39, 0x8400, 0
	s_add_u32 s14, s22, s14
	s_addc_u32 s15, s23, s15
	global_store_b64 v34, v[37:38], s[14:15]
	ds_store_2addr_b32 v39, v33, v62 offset1:2
.LBB625_410:
	s_or_b32 exec_lo, exec_lo, s13
	s_delay_alu instid0(SALU_CYCLE_1)
	s_and_b32 exec_lo, exec_lo, s2
	s_cbranch_execz .LBB625_412
; %bb.411:
	v_mov_b32_e32 v33, 0
	ds_store_b32 v33, v62 offset:60
.LBB625_412:
	s_or_b32 exec_lo, exec_lo, s12
	v_mov_b32_e32 v33, 0
	s_waitcnt lgkmcnt(0)
	s_waitcnt_vscnt null, 0x0
	s_barrier
	buffer_gl0_inv
	v_cndmask_b32_e64 v34, v45, v43, s7
	ds_load_b32 v33, v33 offset:60
	s_waitcnt lgkmcnt(0)
	s_barrier
	buffer_gl0_inv
	v_cndmask_b32_e64 v34, v34, 0, s2
	s_delay_alu instid0(VALU_DEP_1) | instskip(SKIP_1) | instid1(VALU_DEP_2)
	v_add_nc_u32_e32 v53, v33, v34
	v_add_nc_u32_e64 v33, 0x8400, 0
	v_add_nc_u32_e32 v51, v53, v44
	ds_load_2addr_b32 v[33:34], v33 offset1:2
	v_add_nc_u32_e32 v49, v51, v46
	s_delay_alu instid0(VALU_DEP_1) | instskip(NEXT) | instid1(VALU_DEP_1)
	v_add_nc_u32_e32 v47, v49, v48
	v_add_nc_u32_e32 v45, v47, v50
	s_delay_alu instid0(VALU_DEP_1) | instskip(SKIP_2) | instid1(VALU_DEP_2)
	v_add_nc_u32_e32 v43, v45, v52
	s_waitcnt lgkmcnt(0)
	v_readfirstlane_b32 s12, v34
	v_add_nc_u32_e32 v41, v43, v54
	s_delay_alu instid0(VALU_DEP_1)
	v_add_nc_u32_e32 v39, v41, v57
	v_lshrrev_b64 v[37:38], 24, v[35:36]
	s_branch .LBB625_423
.LBB625_413:
                                        ; implicit-def: $vgpr39
                                        ; implicit-def: $vgpr41
                                        ; implicit-def: $vgpr43
                                        ; implicit-def: $vgpr45
                                        ; implicit-def: $vgpr47
                                        ; implicit-def: $vgpr49
                                        ; implicit-def: $vgpr51
                                        ; implicit-def: $vgpr53
                                        ; implicit-def: $sgpr12
                                        ; implicit-def: $vgpr33
	v_lshrrev_b64 v[37:38], 24, v[35:36]
	s_and_b32 vcc_lo, exec_lo, s7
	s_cbranch_vccz .LBB625_423
; %bb.414:
	v_mov_b32_dpp v33, v60 row_shr:1 row_mask:0xf bank_mask:0xf
	s_delay_alu instid0(VALU_DEP_1) | instskip(NEXT) | instid1(VALU_DEP_1)
	v_cndmask_b32_e64 v33, v33, 0, s3
	v_add_nc_u32_e32 v33, v33, v60
	s_delay_alu instid0(VALU_DEP_1) | instskip(NEXT) | instid1(VALU_DEP_1)
	v_mov_b32_dpp v34, v33 row_shr:2 row_mask:0xf bank_mask:0xf
	v_cndmask_b32_e64 v34, 0, v34, s0
	s_delay_alu instid0(VALU_DEP_1) | instskip(NEXT) | instid1(VALU_DEP_1)
	v_add_nc_u32_e32 v33, v33, v34
	v_mov_b32_dpp v34, v33 row_shr:4 row_mask:0xf bank_mask:0xf
	s_delay_alu instid0(VALU_DEP_1) | instskip(NEXT) | instid1(VALU_DEP_1)
	v_cndmask_b32_e64 v34, 0, v34, s4
	v_add_nc_u32_e32 v33, v33, v34
	s_delay_alu instid0(VALU_DEP_1) | instskip(NEXT) | instid1(VALU_DEP_1)
	v_mov_b32_dpp v34, v33 row_shr:8 row_mask:0xf bank_mask:0xf
	v_cndmask_b32_e64 v34, 0, v34, s1
	s_delay_alu instid0(VALU_DEP_1) | instskip(SKIP_3) | instid1(VALU_DEP_1)
	v_add_nc_u32_e32 v33, v33, v34
	ds_swizzle_b32 v34, v33 offset:swizzle(BROADCAST,32,15)
	s_waitcnt lgkmcnt(0)
	v_cndmask_b32_e64 v34, v34, 0, s6
	v_add_nc_u32_e32 v33, v33, v34
	s_and_saveexec_b32 s6, s5
	s_cbranch_execz .LBB625_416
; %bb.415:
	v_lshlrev_b32_e32 v34, 2, v59
	ds_store_b32 v34, v33
.LBB625_416:
	s_or_b32 exec_lo, exec_lo, s6
	s_delay_alu instid0(SALU_CYCLE_1)
	s_mov_b32 s5, exec_lo
	s_waitcnt lgkmcnt(0)
	s_barrier
	buffer_gl0_inv
	v_cmpx_gt_u32_e32 16, v0
	s_cbranch_execz .LBB625_418
; %bb.417:
	v_lshlrev_b32_e32 v34, 2, v0
	ds_load_b32 v38, v34
	s_waitcnt lgkmcnt(0)
	v_mov_b32_dpp v39, v38 row_shr:1 row_mask:0xf bank_mask:0xf
	s_delay_alu instid0(VALU_DEP_1) | instskip(NEXT) | instid1(VALU_DEP_1)
	v_cndmask_b32_e64 v39, v39, 0, s3
	v_add_nc_u32_e32 v38, v39, v38
	s_delay_alu instid0(VALU_DEP_1) | instskip(NEXT) | instid1(VALU_DEP_1)
	v_mov_b32_dpp v39, v38 row_shr:2 row_mask:0xf bank_mask:0xf
	v_cndmask_b32_e64 v39, 0, v39, s0
	s_delay_alu instid0(VALU_DEP_1) | instskip(NEXT) | instid1(VALU_DEP_1)
	v_add_nc_u32_e32 v38, v38, v39
	v_mov_b32_dpp v39, v38 row_shr:4 row_mask:0xf bank_mask:0xf
	s_delay_alu instid0(VALU_DEP_1) | instskip(NEXT) | instid1(VALU_DEP_1)
	v_cndmask_b32_e64 v39, 0, v39, s4
	v_add_nc_u32_e32 v38, v38, v39
	s_delay_alu instid0(VALU_DEP_1) | instskip(NEXT) | instid1(VALU_DEP_1)
	v_mov_b32_dpp v39, v38 row_shr:8 row_mask:0xf bank_mask:0xf
	v_cndmask_b32_e64 v39, 0, v39, s1
	s_delay_alu instid0(VALU_DEP_1)
	v_add_nc_u32_e32 v38, v38, v39
	ds_store_b32 v34, v38
.LBB625_418:
	s_or_b32 exec_lo, exec_lo, s5
	v_mov_b32_e32 v34, 0
	v_mov_b32_e32 v38, 0
	s_mov_b32 s0, exec_lo
	s_waitcnt lgkmcnt(0)
	s_barrier
	buffer_gl0_inv
	v_cmpx_lt_u32_e32 31, v0
	s_cbranch_execz .LBB625_420
; %bb.419:
	v_lshl_add_u32 v38, v59, 2, -4
	ds_load_b32 v38, v38
.LBB625_420:
	s_or_b32 exec_lo, exec_lo, s0
	v_add_nc_u32_e32 v39, -1, v58
	s_waitcnt lgkmcnt(0)
	v_add_nc_u32_e32 v33, v38, v33
	s_mov_b32 s12, 0
	s_delay_alu instid0(VALU_DEP_2) | instskip(SKIP_1) | instid1(VALU_DEP_1)
	v_cmp_gt_i32_e32 vcc_lo, 0, v39
	v_cndmask_b32_e32 v39, v39, v58, vcc_lo
	v_lshlrev_b32_e32 v39, 2, v39
	ds_bpermute_b32 v39, v39, v33
	ds_load_b32 v33, v34 offset:60
	s_and_saveexec_b32 s0, s2
	s_cbranch_execz .LBB625_422
; %bb.421:
	v_mov_b32_e32 v40, 0
	v_mov_b32_e32 v34, 2
	s_waitcnt lgkmcnt(0)
	global_store_b64 v40, v[33:34], s[22:23] offset:256
.LBB625_422:
	s_or_b32 exec_lo, exec_lo, s0
	v_cmp_eq_u32_e32 vcc_lo, 0, v58
	s_waitcnt lgkmcnt(0)
	s_waitcnt_vscnt null, 0x0
	s_barrier
	buffer_gl0_inv
	v_cndmask_b32_e32 v34, v39, v38, vcc_lo
	s_delay_alu instid0(VALU_DEP_1) | instskip(NEXT) | instid1(VALU_DEP_1)
	v_cndmask_b32_e64 v53, v34, 0, s2
	v_add_nc_u32_e32 v51, v53, v44
	s_delay_alu instid0(VALU_DEP_1) | instskip(NEXT) | instid1(VALU_DEP_1)
	v_add_nc_u32_e32 v49, v51, v46
	v_add_nc_u32_e32 v47, v49, v48
	s_delay_alu instid0(VALU_DEP_1) | instskip(NEXT) | instid1(VALU_DEP_1)
	v_add_nc_u32_e32 v45, v47, v50
	;; [unrolled: 3-line block ×3, first 2 shown]
	v_add_nc_u32_e32 v39, v41, v57
.LBB625_423:
	v_add_nc_u32_e32 v59, s12, v33
	v_cmp_gt_u32_e64 s0, 0x201, v33
	v_lshrrev_b32_e32 v58, 8, v35
	v_lshrrev_b32_e32 v57, 16, v35
	;; [unrolled: 1-line block ×4, first 2 shown]
	v_cmp_lt_u32_e64 s1, v53, v59
	s_and_b32 vcc_lo, exec_lo, s0
	s_mov_b32 s3, -1
	s_cbranch_vccz .LBB625_449
; %bb.424:
	s_delay_alu instid0(VALU_DEP_1) | instskip(NEXT) | instid1(SALU_CYCLE_1)
	s_or_b32 s3, s29, s1
	s_and_saveexec_b32 s1, s3
	s_cbranch_execz .LBB625_427
; %bb.425:
	v_and_b32_e32 v40, 1, v35
	s_delay_alu instid0(VALU_DEP_1)
	v_cmp_eq_u32_e32 vcc_lo, 1, v40
	s_and_b32 exec_lo, exec_lo, vcc_lo
	s_cbranch_execz .LBB625_427
; %bb.426:
	v_mov_b32_e32 v54, 0
	s_lshl_b64 s[4:5], s[10:11], 3
	s_delay_alu instid0(SALU_CYCLE_1) | instskip(SKIP_1) | instid1(VALU_DEP_1)
	s_add_u32 s3, s16, s4
	s_addc_u32 s4, s17, s5
	v_lshlrev_b64 v[60:61], 3, v[53:54]
	s_delay_alu instid0(VALU_DEP_1) | instskip(NEXT) | instid1(VALU_DEP_2)
	v_add_co_u32 v60, vcc_lo, s3, v60
	v_add_co_ci_u32_e32 v61, vcc_lo, s4, v61, vcc_lo
	global_store_b64 v[60:61], v[29:30], off
.LBB625_427:
	s_or_b32 exec_lo, exec_lo, s1
	v_cmp_lt_u32_e32 vcc_lo, v51, v59
	s_or_b32 s3, s29, vcc_lo
	s_delay_alu instid0(SALU_CYCLE_1)
	s_and_saveexec_b32 s1, s3
	s_cbranch_execz .LBB625_430
; %bb.428:
	v_and_b32_e32 v40, 1, v58
	s_delay_alu instid0(VALU_DEP_1)
	v_cmp_eq_u32_e32 vcc_lo, 1, v40
	s_and_b32 exec_lo, exec_lo, vcc_lo
	s_cbranch_execz .LBB625_430
; %bb.429:
	v_mov_b32_e32 v52, 0
	s_lshl_b64 s[4:5], s[10:11], 3
	s_delay_alu instid0(SALU_CYCLE_1) | instskip(SKIP_1) | instid1(VALU_DEP_1)
	s_add_u32 s3, s16, s4
	s_addc_u32 s4, s17, s5
	v_lshlrev_b64 v[60:61], 3, v[51:52]
	s_delay_alu instid0(VALU_DEP_1) | instskip(NEXT) | instid1(VALU_DEP_2)
	v_add_co_u32 v60, vcc_lo, s3, v60
	v_add_co_ci_u32_e32 v61, vcc_lo, s4, v61, vcc_lo
	global_store_b64 v[60:61], v[31:32], off
.LBB625_430:
	s_or_b32 exec_lo, exec_lo, s1
	v_cmp_lt_u32_e32 vcc_lo, v49, v59
	s_or_b32 s3, s29, vcc_lo
	s_delay_alu instid0(SALU_CYCLE_1)
	;; [unrolled: 24-line block ×7, first 2 shown]
	s_and_saveexec_b32 s1, s3
	s_cbranch_execz .LBB625_448
; %bb.446:
	v_and_b32_e32 v40, 1, v56
	s_delay_alu instid0(VALU_DEP_1)
	v_cmp_eq_u32_e32 vcc_lo, 1, v40
	s_and_b32 exec_lo, exec_lo, vcc_lo
	s_cbranch_execz .LBB625_448
; %bb.447:
	v_mov_b32_e32 v40, 0
	s_lshl_b64 s[4:5], s[10:11], 3
	s_delay_alu instid0(SALU_CYCLE_1) | instskip(SKIP_1) | instid1(VALU_DEP_1)
	s_add_u32 s3, s16, s4
	s_addc_u32 s4, s17, s5
	v_lshlrev_b64 v[60:61], 3, v[39:40]
	s_delay_alu instid0(VALU_DEP_1) | instskip(NEXT) | instid1(VALU_DEP_2)
	v_add_co_u32 v60, vcc_lo, s3, v60
	v_add_co_ci_u32_e32 v61, vcc_lo, s4, v61, vcc_lo
	global_store_b64 v[60:61], v[19:20], off
.LBB625_448:
	s_or_b32 exec_lo, exec_lo, s1
	s_mov_b32 s3, 0
.LBB625_449:
	v_and_b32_e32 v35, 1, v35
	s_and_b32 vcc_lo, exec_lo, s3
	s_delay_alu instid0(VALU_DEP_1)
	v_cmp_eq_u32_e64 s1, 1, v35
	s_cbranch_vccz .LBB625_470
; %bb.450:
	s_delay_alu instid0(VALU_DEP_1)
	s_and_saveexec_b32 s3, s1
	s_cbranch_execz .LBB625_452
; %bb.451:
	v_subrev_nc_u32_e32 v40, s12, v53
	s_delay_alu instid0(VALU_DEP_1)
	v_lshlrev_b32_e32 v40, 3, v40
	ds_store_b64 v40, v[29:30]
.LBB625_452:
	s_or_b32 exec_lo, exec_lo, s3
	v_and_b32_e32 v29, 1, v58
	s_mov_b32 s1, exec_lo
	s_delay_alu instid0(VALU_DEP_1)
	v_cmpx_eq_u32_e32 1, v29
	s_cbranch_execz .LBB625_454
; %bb.453:
	v_subrev_nc_u32_e32 v29, s12, v51
	s_delay_alu instid0(VALU_DEP_1)
	v_lshlrev_b32_e32 v29, 3, v29
	ds_store_b64 v29, v[31:32]
.LBB625_454:
	s_or_b32 exec_lo, exec_lo, s1
	v_and_b32_e32 v29, 1, v57
	s_mov_b32 s1, exec_lo
	s_delay_alu instid0(VALU_DEP_1)
	v_cmpx_eq_u32_e32 1, v29
	;; [unrolled: 12-line block ×7, first 2 shown]
	s_cbranch_execz .LBB625_466
; %bb.465:
	v_subrev_nc_u32_e32 v17, s12, v39
	s_delay_alu instid0(VALU_DEP_1)
	v_lshlrev_b32_e32 v17, 3, v17
	ds_store_b64 v17, v[19:20]
.LBB625_466:
	s_or_b32 exec_lo, exec_lo, s1
	s_delay_alu instid0(SALU_CYCLE_1)
	s_mov_b32 s3, exec_lo
	s_waitcnt lgkmcnt(0)
	s_waitcnt_vscnt null, 0x0
	s_barrier
	buffer_gl0_inv
	v_cmpx_lt_u32_e64 v0, v33
	s_cbranch_execz .LBB625_469
; %bb.467:
	s_mov_b32 s13, 0
	s_lshl_b64 s[4:5], s[10:11], 3
	s_lshl_b64 s[6:7], s[12:13], 3
	v_dual_mov_b32 v19, v55 :: v_dual_mov_b32 v20, v0
	s_add_u32 s1, s4, s6
	s_addc_u32 s4, s5, s7
	s_add_u32 s1, s16, s1
	s_addc_u32 s4, s17, s4
	v_add_co_u32 v17, s1, s1, v55
	s_delay_alu instid0(VALU_DEP_1)
	v_add_co_ci_u32_e64 v18, null, s4, 0, s1
	.p2align	6
.LBB625_468:                            ; =>This Inner Loop Header: Depth=1
	ds_load_b64 v[21:22], v19
	v_add_nc_u32_e32 v20, 0x200, v20
	v_add_nc_u32_e32 v19, 0x1000, v19
	s_delay_alu instid0(VALU_DEP_2) | instskip(SKIP_4) | instid1(VALU_DEP_1)
	v_cmp_ge_u32_e32 vcc_lo, v20, v33
	s_or_b32 s13, vcc_lo, s13
	s_waitcnt lgkmcnt(0)
	global_store_b64 v[17:18], v[21:22], off
	v_add_co_u32 v17, s1, 0x1000, v17
	v_add_co_ci_u32_e64 v18, s1, 0, v18, s1
	s_and_not1_b32 exec_lo, exec_lo, s13
	s_cbranch_execnz .LBB625_468
.LBB625_469:
	s_or_b32 exec_lo, exec_lo, s3
.LBB625_470:
	s_delay_alu instid0(SALU_CYCLE_1)
	s_and_b32 vcc_lo, exec_lo, s0
	s_mov_b32 s0, -1
	s_waitcnt_vscnt null, 0x0
	s_barrier
	buffer_gl0_inv
	s_cbranch_vccz .LBB625_498
; %bb.471:
	v_cmp_lt_u32_e32 vcc_lo, v53, v59
	s_or_b32 s1, s29, vcc_lo
	s_delay_alu instid0(SALU_CYCLE_1)
	s_and_saveexec_b32 s0, s1
	s_cbranch_execz .LBB625_474
; %bb.472:
	v_cmp_eq_u32_e32 vcc_lo, 1, v35
	s_and_b32 exec_lo, exec_lo, vcc_lo
	s_cbranch_execz .LBB625_474
; %bb.473:
	v_mov_b32_e32 v54, 0
	s_lshl_b64 s[4:5], s[10:11], 3
	s_delay_alu instid0(SALU_CYCLE_1) | instskip(SKIP_1) | instid1(VALU_DEP_1)
	s_add_u32 s1, s18, s4
	s_addc_u32 s3, s19, s5
	v_lshlrev_b64 v[17:18], 3, v[53:54]
	s_delay_alu instid0(VALU_DEP_1) | instskip(NEXT) | instid1(VALU_DEP_2)
	v_add_co_u32 v17, vcc_lo, s1, v17
	v_add_co_ci_u32_e32 v18, vcc_lo, s3, v18, vcc_lo
	global_store_b64 v[17:18], v[13:14], off
.LBB625_474:
	s_or_b32 exec_lo, exec_lo, s0
	v_cmp_lt_u32_e32 vcc_lo, v51, v59
	s_or_b32 s1, s29, vcc_lo
	s_delay_alu instid0(SALU_CYCLE_1)
	s_and_saveexec_b32 s0, s1
	s_cbranch_execz .LBB625_477
; %bb.475:
	v_and_b32_e32 v17, 1, v58
	s_delay_alu instid0(VALU_DEP_1)
	v_cmp_eq_u32_e32 vcc_lo, 1, v17
	s_and_b32 exec_lo, exec_lo, vcc_lo
	s_cbranch_execz .LBB625_477
; %bb.476:
	v_mov_b32_e32 v52, 0
	s_lshl_b64 s[4:5], s[10:11], 3
	s_delay_alu instid0(SALU_CYCLE_1) | instskip(SKIP_1) | instid1(VALU_DEP_1)
	s_add_u32 s1, s18, s4
	s_addc_u32 s3, s19, s5
	v_lshlrev_b64 v[17:18], 3, v[51:52]
	s_delay_alu instid0(VALU_DEP_1) | instskip(NEXT) | instid1(VALU_DEP_2)
	v_add_co_u32 v17, vcc_lo, s1, v17
	v_add_co_ci_u32_e32 v18, vcc_lo, s3, v18, vcc_lo
	global_store_b64 v[17:18], v[15:16], off
.LBB625_477:
	s_or_b32 exec_lo, exec_lo, s0
	v_cmp_lt_u32_e32 vcc_lo, v49, v59
	s_or_b32 s1, s29, vcc_lo
	s_delay_alu instid0(SALU_CYCLE_1)
	s_and_saveexec_b32 s0, s1
	s_cbranch_execz .LBB625_480
; %bb.478:
	v_and_b32_e32 v17, 1, v57
	s_delay_alu instid0(VALU_DEP_1)
	v_cmp_eq_u32_e32 vcc_lo, 1, v17
	s_and_b32 exec_lo, exec_lo, vcc_lo
	s_cbranch_execz .LBB625_480
; %bb.479:
	v_mov_b32_e32 v50, 0
	s_lshl_b64 s[4:5], s[10:11], 3
	s_delay_alu instid0(SALU_CYCLE_1) | instskip(SKIP_1) | instid1(VALU_DEP_1)
	s_add_u32 s1, s18, s4
	s_addc_u32 s3, s19, s5
	v_lshlrev_b64 v[17:18], 3, v[49:50]
	s_delay_alu instid0(VALU_DEP_1) | instskip(NEXT) | instid1(VALU_DEP_2)
	v_add_co_u32 v17, vcc_lo, s1, v17
	v_add_co_ci_u32_e32 v18, vcc_lo, s3, v18, vcc_lo
	global_store_b64 v[17:18], v[9:10], off
.LBB625_480:
	;; [unrolled: 24-line block ×7, first 2 shown]
	s_or_b32 exec_lo, exec_lo, s0
.LBB625_496:
	s_and_b32 s0, s2, s28
	s_delay_alu instid0(SALU_CYCLE_1)
	s_and_saveexec_b32 s1, s0
	s_cbranch_execz .LBB625_519
.LBB625_497:
	v_add_co_u32 v0, s0, s10, v33
	s_delay_alu instid0(VALU_DEP_1) | instskip(SKIP_1) | instid1(VALU_DEP_3)
	v_add_co_ci_u32_e64 v1, null, s11, 0, s0
	v_mov_b32_e32 v2, 0
	v_add_co_u32 v0, vcc_lo, v0, s12
	s_delay_alu instid0(VALU_DEP_3)
	v_add_co_ci_u32_e32 v1, vcc_lo, 0, v1, vcc_lo
	global_store_b64 v2, v[0:1], s[8:9]
	s_nop 0
	s_sendmsg sendmsg(MSG_DEALLOC_VGPRS)
	s_endpgm
.LBB625_498:
	s_and_b32 vcc_lo, exec_lo, s0
	s_cbranch_vccz .LBB625_496
; %bb.499:
	s_mov_b32 s0, exec_lo
	v_cmpx_eq_u32_e32 1, v35
	s_cbranch_execz .LBB625_501
; %bb.500:
	v_subrev_nc_u32_e32 v17, s12, v53
	s_delay_alu instid0(VALU_DEP_1)
	v_lshlrev_b32_e32 v17, 3, v17
	ds_store_b64 v17, v[13:14]
.LBB625_501:
	s_or_b32 exec_lo, exec_lo, s0
	v_and_b32_e32 v13, 1, v58
	s_mov_b32 s0, exec_lo
	s_delay_alu instid0(VALU_DEP_1)
	v_cmpx_eq_u32_e32 1, v13
	s_cbranch_execz .LBB625_503
; %bb.502:
	v_subrev_nc_u32_e32 v13, s12, v51
	s_delay_alu instid0(VALU_DEP_1)
	v_lshlrev_b32_e32 v13, 3, v13
	ds_store_b64 v13, v[15:16]
.LBB625_503:
	s_or_b32 exec_lo, exec_lo, s0
	v_and_b32_e32 v13, 1, v57
	s_mov_b32 s0, exec_lo
	s_delay_alu instid0(VALU_DEP_1)
	v_cmpx_eq_u32_e32 1, v13
	s_cbranch_execz .LBB625_505
; %bb.504:
	v_subrev_nc_u32_e32 v13, s12, v49
	s_delay_alu instid0(VALU_DEP_1)
	v_lshlrev_b32_e32 v13, 3, v13
	ds_store_b64 v13, v[9:10]
.LBB625_505:
	s_or_b32 exec_lo, exec_lo, s0
	v_and_b32_e32 v9, 1, v37
	s_mov_b32 s0, exec_lo
	s_delay_alu instid0(VALU_DEP_1)
	v_cmpx_eq_u32_e32 1, v9
	s_cbranch_execz .LBB625_507
; %bb.506:
	v_subrev_nc_u32_e32 v9, s12, v47
	s_delay_alu instid0(VALU_DEP_1)
	v_lshlrev_b32_e32 v9, 3, v9
	ds_store_b64 v9, v[11:12]
.LBB625_507:
	s_or_b32 exec_lo, exec_lo, s0
	v_and_b32_e32 v9, 1, v36
	s_mov_b32 s0, exec_lo
	s_delay_alu instid0(VALU_DEP_1)
	v_cmpx_eq_u32_e32 1, v9
	s_cbranch_execz .LBB625_509
; %bb.508:
	v_subrev_nc_u32_e32 v9, s12, v45
	s_delay_alu instid0(VALU_DEP_1)
	v_lshlrev_b32_e32 v9, 3, v9
	ds_store_b64 v9, v[5:6]
.LBB625_509:
	s_or_b32 exec_lo, exec_lo, s0
	v_and_b32_e32 v5, 1, v38
	s_mov_b32 s0, exec_lo
	s_delay_alu instid0(VALU_DEP_1)
	v_cmpx_eq_u32_e32 1, v5
	s_cbranch_execz .LBB625_511
; %bb.510:
	v_subrev_nc_u32_e32 v5, s12, v43
	s_delay_alu instid0(VALU_DEP_1)
	v_lshlrev_b32_e32 v5, 3, v5
	ds_store_b64 v5, v[7:8]
.LBB625_511:
	s_or_b32 exec_lo, exec_lo, s0
	v_and_b32_e32 v5, 1, v34
	s_mov_b32 s0, exec_lo
	s_delay_alu instid0(VALU_DEP_1)
	v_cmpx_eq_u32_e32 1, v5
	s_cbranch_execz .LBB625_513
; %bb.512:
	v_subrev_nc_u32_e32 v5, s12, v41
	s_delay_alu instid0(VALU_DEP_1)
	v_lshlrev_b32_e32 v5, 3, v5
	ds_store_b64 v5, v[1:2]
.LBB625_513:
	s_or_b32 exec_lo, exec_lo, s0
	v_and_b32_e32 v1, 1, v56
	s_mov_b32 s0, exec_lo
	s_delay_alu instid0(VALU_DEP_1)
	v_cmpx_eq_u32_e32 1, v1
	s_cbranch_execz .LBB625_515
; %bb.514:
	v_subrev_nc_u32_e32 v1, s12, v39
	s_delay_alu instid0(VALU_DEP_1)
	v_lshlrev_b32_e32 v1, 3, v1
	ds_store_b64 v1, v[3:4]
.LBB625_515:
	s_or_b32 exec_lo, exec_lo, s0
	s_delay_alu instid0(SALU_CYCLE_1)
	s_mov_b32 s1, exec_lo
	s_waitcnt lgkmcnt(0)
	s_waitcnt_vscnt null, 0x0
	s_barrier
	buffer_gl0_inv
	v_cmpx_lt_u32_e64 v0, v33
	s_cbranch_execz .LBB625_518
; %bb.516:
	s_mov_b32 s13, 0
	s_lshl_b64 s[4:5], s[10:11], 3
	s_lshl_b64 s[6:7], s[12:13], 3
	s_delay_alu instid0(SALU_CYCLE_1) | instskip(SKIP_4) | instid1(VALU_DEP_1)
	s_add_u32 s0, s4, s6
	s_addc_u32 s3, s5, s7
	s_add_u32 s0, s18, s0
	s_addc_u32 s3, s19, s3
	v_add_co_u32 v1, s0, s0, v55
	v_add_co_ci_u32_e64 v2, null, s3, 0, s0
	.p2align	6
.LBB625_517:                            ; =>This Inner Loop Header: Depth=1
	ds_load_b64 v[3:4], v55
	v_add_nc_u32_e32 v0, 0x200, v0
	v_add_nc_u32_e32 v55, 0x1000, v55
	s_delay_alu instid0(VALU_DEP_2) | instskip(SKIP_4) | instid1(VALU_DEP_1)
	v_cmp_ge_u32_e32 vcc_lo, v0, v33
	s_or_b32 s13, vcc_lo, s13
	s_waitcnt lgkmcnt(0)
	global_store_b64 v[1:2], v[3:4], off
	v_add_co_u32 v1, s0, 0x1000, v1
	v_add_co_ci_u32_e64 v2, s0, 0, v2, s0
	s_and_not1_b32 exec_lo, exec_lo, s13
	s_cbranch_execnz .LBB625_517
.LBB625_518:
	s_or_b32 exec_lo, exec_lo, s1
	s_and_b32 s0, s2, s28
	s_delay_alu instid0(SALU_CYCLE_1)
	s_and_saveexec_b32 s1, s0
	s_cbranch_execnz .LBB625_497
.LBB625_519:
	s_nop 0
	s_sendmsg sendmsg(MSG_DEALLOC_VGPRS)
	s_endpgm
	.section	.rodata,"a",@progbits
	.p2align	6, 0x0
	.amdhsa_kernel _ZN7rocprim17ROCPRIM_400000_NS6detail17trampoline_kernelINS0_14default_configENS1_25partition_config_selectorILNS1_17partition_subalgoE9EllbEEZZNS1_14partition_implILS5_9ELb0ES3_jPlS8_PNS0_10empty_typeENS0_5tupleIJS8_S9_EEENSB_IJS8_SA_EEENS0_18inequality_wrapperIZN2at6native12_GLOBAL__N_124unique_dim_cuda_templateIlEESt5tupleIJNSF_6TensorESK_SK_EERKSK_lbbbEUlllE0_EEPmJS9_EEE10hipError_tPvRmT3_T4_T5_T6_T7_T9_mT8_P12ihipStream_tbDpT10_ENKUlT_T0_E_clISt17integral_constantIbLb0EES19_IbLb1EEEEDaS15_S16_EUlS15_E_NS1_11comp_targetILNS1_3genE9ELNS1_11target_archE1100ELNS1_3gpuE3ELNS1_3repE0EEENS1_30default_config_static_selectorELNS0_4arch9wavefront6targetE0EEEvT1_
		.amdhsa_group_segment_fixed_size 33804
		.amdhsa_private_segment_fixed_size 0
		.amdhsa_kernarg_size 136
		.amdhsa_user_sgpr_count 15
		.amdhsa_user_sgpr_dispatch_ptr 0
		.amdhsa_user_sgpr_queue_ptr 0
		.amdhsa_user_sgpr_kernarg_segment_ptr 1
		.amdhsa_user_sgpr_dispatch_id 0
		.amdhsa_user_sgpr_private_segment_size 0
		.amdhsa_wavefront_size32 1
		.amdhsa_uses_dynamic_stack 0
		.amdhsa_enable_private_segment 0
		.amdhsa_system_sgpr_workgroup_id_x 1
		.amdhsa_system_sgpr_workgroup_id_y 0
		.amdhsa_system_sgpr_workgroup_id_z 0
		.amdhsa_system_sgpr_workgroup_info 0
		.amdhsa_system_vgpr_workitem_id 0
		.amdhsa_next_free_vgpr 68
		.amdhsa_next_free_sgpr 40
		.amdhsa_reserve_vcc 1
		.amdhsa_float_round_mode_32 0
		.amdhsa_float_round_mode_16_64 0
		.amdhsa_float_denorm_mode_32 3
		.amdhsa_float_denorm_mode_16_64 3
		.amdhsa_dx10_clamp 1
		.amdhsa_ieee_mode 1
		.amdhsa_fp16_overflow 0
		.amdhsa_workgroup_processor_mode 1
		.amdhsa_memory_ordered 1
		.amdhsa_forward_progress 0
		.amdhsa_shared_vgpr_count 0
		.amdhsa_exception_fp_ieee_invalid_op 0
		.amdhsa_exception_fp_denorm_src 0
		.amdhsa_exception_fp_ieee_div_zero 0
		.amdhsa_exception_fp_ieee_overflow 0
		.amdhsa_exception_fp_ieee_underflow 0
		.amdhsa_exception_fp_ieee_inexact 0
		.amdhsa_exception_int_div_zero 0
	.end_amdhsa_kernel
	.section	.text._ZN7rocprim17ROCPRIM_400000_NS6detail17trampoline_kernelINS0_14default_configENS1_25partition_config_selectorILNS1_17partition_subalgoE9EllbEEZZNS1_14partition_implILS5_9ELb0ES3_jPlS8_PNS0_10empty_typeENS0_5tupleIJS8_S9_EEENSB_IJS8_SA_EEENS0_18inequality_wrapperIZN2at6native12_GLOBAL__N_124unique_dim_cuda_templateIlEESt5tupleIJNSF_6TensorESK_SK_EERKSK_lbbbEUlllE0_EEPmJS9_EEE10hipError_tPvRmT3_T4_T5_T6_T7_T9_mT8_P12ihipStream_tbDpT10_ENKUlT_T0_E_clISt17integral_constantIbLb0EES19_IbLb1EEEEDaS15_S16_EUlS15_E_NS1_11comp_targetILNS1_3genE9ELNS1_11target_archE1100ELNS1_3gpuE3ELNS1_3repE0EEENS1_30default_config_static_selectorELNS0_4arch9wavefront6targetE0EEEvT1_,"axG",@progbits,_ZN7rocprim17ROCPRIM_400000_NS6detail17trampoline_kernelINS0_14default_configENS1_25partition_config_selectorILNS1_17partition_subalgoE9EllbEEZZNS1_14partition_implILS5_9ELb0ES3_jPlS8_PNS0_10empty_typeENS0_5tupleIJS8_S9_EEENSB_IJS8_SA_EEENS0_18inequality_wrapperIZN2at6native12_GLOBAL__N_124unique_dim_cuda_templateIlEESt5tupleIJNSF_6TensorESK_SK_EERKSK_lbbbEUlllE0_EEPmJS9_EEE10hipError_tPvRmT3_T4_T5_T6_T7_T9_mT8_P12ihipStream_tbDpT10_ENKUlT_T0_E_clISt17integral_constantIbLb0EES19_IbLb1EEEEDaS15_S16_EUlS15_E_NS1_11comp_targetILNS1_3genE9ELNS1_11target_archE1100ELNS1_3gpuE3ELNS1_3repE0EEENS1_30default_config_static_selectorELNS0_4arch9wavefront6targetE0EEEvT1_,comdat
.Lfunc_end625:
	.size	_ZN7rocprim17ROCPRIM_400000_NS6detail17trampoline_kernelINS0_14default_configENS1_25partition_config_selectorILNS1_17partition_subalgoE9EllbEEZZNS1_14partition_implILS5_9ELb0ES3_jPlS8_PNS0_10empty_typeENS0_5tupleIJS8_S9_EEENSB_IJS8_SA_EEENS0_18inequality_wrapperIZN2at6native12_GLOBAL__N_124unique_dim_cuda_templateIlEESt5tupleIJNSF_6TensorESK_SK_EERKSK_lbbbEUlllE0_EEPmJS9_EEE10hipError_tPvRmT3_T4_T5_T6_T7_T9_mT8_P12ihipStream_tbDpT10_ENKUlT_T0_E_clISt17integral_constantIbLb0EES19_IbLb1EEEEDaS15_S16_EUlS15_E_NS1_11comp_targetILNS1_3genE9ELNS1_11target_archE1100ELNS1_3gpuE3ELNS1_3repE0EEENS1_30default_config_static_selectorELNS0_4arch9wavefront6targetE0EEEvT1_, .Lfunc_end625-_ZN7rocprim17ROCPRIM_400000_NS6detail17trampoline_kernelINS0_14default_configENS1_25partition_config_selectorILNS1_17partition_subalgoE9EllbEEZZNS1_14partition_implILS5_9ELb0ES3_jPlS8_PNS0_10empty_typeENS0_5tupleIJS8_S9_EEENSB_IJS8_SA_EEENS0_18inequality_wrapperIZN2at6native12_GLOBAL__N_124unique_dim_cuda_templateIlEESt5tupleIJNSF_6TensorESK_SK_EERKSK_lbbbEUlllE0_EEPmJS9_EEE10hipError_tPvRmT3_T4_T5_T6_T7_T9_mT8_P12ihipStream_tbDpT10_ENKUlT_T0_E_clISt17integral_constantIbLb0EES19_IbLb1EEEEDaS15_S16_EUlS15_E_NS1_11comp_targetILNS1_3genE9ELNS1_11target_archE1100ELNS1_3gpuE3ELNS1_3repE0EEENS1_30default_config_static_selectorELNS0_4arch9wavefront6targetE0EEEvT1_
                                        ; -- End function
	.section	.AMDGPU.csdata,"",@progbits
; Kernel info:
; codeLenInByte = 20632
; NumSgprs: 42
; NumVgprs: 68
; ScratchSize: 0
; MemoryBound: 1
; FloatMode: 240
; IeeeMode: 1
; LDSByteSize: 33804 bytes/workgroup (compile time only)
; SGPRBlocks: 5
; VGPRBlocks: 8
; NumSGPRsForWavesPerEU: 42
; NumVGPRsForWavesPerEU: 68
; Occupancy: 12
; WaveLimiterHint : 1
; COMPUTE_PGM_RSRC2:SCRATCH_EN: 0
; COMPUTE_PGM_RSRC2:USER_SGPR: 15
; COMPUTE_PGM_RSRC2:TRAP_HANDLER: 0
; COMPUTE_PGM_RSRC2:TGID_X_EN: 1
; COMPUTE_PGM_RSRC2:TGID_Y_EN: 0
; COMPUTE_PGM_RSRC2:TGID_Z_EN: 0
; COMPUTE_PGM_RSRC2:TIDIG_COMP_CNT: 0
	.section	.text._ZN7rocprim17ROCPRIM_400000_NS6detail17trampoline_kernelINS0_14default_configENS1_25partition_config_selectorILNS1_17partition_subalgoE9EllbEEZZNS1_14partition_implILS5_9ELb0ES3_jPlS8_PNS0_10empty_typeENS0_5tupleIJS8_S9_EEENSB_IJS8_SA_EEENS0_18inequality_wrapperIZN2at6native12_GLOBAL__N_124unique_dim_cuda_templateIlEESt5tupleIJNSF_6TensorESK_SK_EERKSK_lbbbEUlllE0_EEPmJS9_EEE10hipError_tPvRmT3_T4_T5_T6_T7_T9_mT8_P12ihipStream_tbDpT10_ENKUlT_T0_E_clISt17integral_constantIbLb0EES19_IbLb1EEEEDaS15_S16_EUlS15_E_NS1_11comp_targetILNS1_3genE8ELNS1_11target_archE1030ELNS1_3gpuE2ELNS1_3repE0EEENS1_30default_config_static_selectorELNS0_4arch9wavefront6targetE0EEEvT1_,"axG",@progbits,_ZN7rocprim17ROCPRIM_400000_NS6detail17trampoline_kernelINS0_14default_configENS1_25partition_config_selectorILNS1_17partition_subalgoE9EllbEEZZNS1_14partition_implILS5_9ELb0ES3_jPlS8_PNS0_10empty_typeENS0_5tupleIJS8_S9_EEENSB_IJS8_SA_EEENS0_18inequality_wrapperIZN2at6native12_GLOBAL__N_124unique_dim_cuda_templateIlEESt5tupleIJNSF_6TensorESK_SK_EERKSK_lbbbEUlllE0_EEPmJS9_EEE10hipError_tPvRmT3_T4_T5_T6_T7_T9_mT8_P12ihipStream_tbDpT10_ENKUlT_T0_E_clISt17integral_constantIbLb0EES19_IbLb1EEEEDaS15_S16_EUlS15_E_NS1_11comp_targetILNS1_3genE8ELNS1_11target_archE1030ELNS1_3gpuE2ELNS1_3repE0EEENS1_30default_config_static_selectorELNS0_4arch9wavefront6targetE0EEEvT1_,comdat
	.globl	_ZN7rocprim17ROCPRIM_400000_NS6detail17trampoline_kernelINS0_14default_configENS1_25partition_config_selectorILNS1_17partition_subalgoE9EllbEEZZNS1_14partition_implILS5_9ELb0ES3_jPlS8_PNS0_10empty_typeENS0_5tupleIJS8_S9_EEENSB_IJS8_SA_EEENS0_18inequality_wrapperIZN2at6native12_GLOBAL__N_124unique_dim_cuda_templateIlEESt5tupleIJNSF_6TensorESK_SK_EERKSK_lbbbEUlllE0_EEPmJS9_EEE10hipError_tPvRmT3_T4_T5_T6_T7_T9_mT8_P12ihipStream_tbDpT10_ENKUlT_T0_E_clISt17integral_constantIbLb0EES19_IbLb1EEEEDaS15_S16_EUlS15_E_NS1_11comp_targetILNS1_3genE8ELNS1_11target_archE1030ELNS1_3gpuE2ELNS1_3repE0EEENS1_30default_config_static_selectorELNS0_4arch9wavefront6targetE0EEEvT1_ ; -- Begin function _ZN7rocprim17ROCPRIM_400000_NS6detail17trampoline_kernelINS0_14default_configENS1_25partition_config_selectorILNS1_17partition_subalgoE9EllbEEZZNS1_14partition_implILS5_9ELb0ES3_jPlS8_PNS0_10empty_typeENS0_5tupleIJS8_S9_EEENSB_IJS8_SA_EEENS0_18inequality_wrapperIZN2at6native12_GLOBAL__N_124unique_dim_cuda_templateIlEESt5tupleIJNSF_6TensorESK_SK_EERKSK_lbbbEUlllE0_EEPmJS9_EEE10hipError_tPvRmT3_T4_T5_T6_T7_T9_mT8_P12ihipStream_tbDpT10_ENKUlT_T0_E_clISt17integral_constantIbLb0EES19_IbLb1EEEEDaS15_S16_EUlS15_E_NS1_11comp_targetILNS1_3genE8ELNS1_11target_archE1030ELNS1_3gpuE2ELNS1_3repE0EEENS1_30default_config_static_selectorELNS0_4arch9wavefront6targetE0EEEvT1_
	.p2align	8
	.type	_ZN7rocprim17ROCPRIM_400000_NS6detail17trampoline_kernelINS0_14default_configENS1_25partition_config_selectorILNS1_17partition_subalgoE9EllbEEZZNS1_14partition_implILS5_9ELb0ES3_jPlS8_PNS0_10empty_typeENS0_5tupleIJS8_S9_EEENSB_IJS8_SA_EEENS0_18inequality_wrapperIZN2at6native12_GLOBAL__N_124unique_dim_cuda_templateIlEESt5tupleIJNSF_6TensorESK_SK_EERKSK_lbbbEUlllE0_EEPmJS9_EEE10hipError_tPvRmT3_T4_T5_T6_T7_T9_mT8_P12ihipStream_tbDpT10_ENKUlT_T0_E_clISt17integral_constantIbLb0EES19_IbLb1EEEEDaS15_S16_EUlS15_E_NS1_11comp_targetILNS1_3genE8ELNS1_11target_archE1030ELNS1_3gpuE2ELNS1_3repE0EEENS1_30default_config_static_selectorELNS0_4arch9wavefront6targetE0EEEvT1_,@function
_ZN7rocprim17ROCPRIM_400000_NS6detail17trampoline_kernelINS0_14default_configENS1_25partition_config_selectorILNS1_17partition_subalgoE9EllbEEZZNS1_14partition_implILS5_9ELb0ES3_jPlS8_PNS0_10empty_typeENS0_5tupleIJS8_S9_EEENSB_IJS8_SA_EEENS0_18inequality_wrapperIZN2at6native12_GLOBAL__N_124unique_dim_cuda_templateIlEESt5tupleIJNSF_6TensorESK_SK_EERKSK_lbbbEUlllE0_EEPmJS9_EEE10hipError_tPvRmT3_T4_T5_T6_T7_T9_mT8_P12ihipStream_tbDpT10_ENKUlT_T0_E_clISt17integral_constantIbLb0EES19_IbLb1EEEEDaS15_S16_EUlS15_E_NS1_11comp_targetILNS1_3genE8ELNS1_11target_archE1030ELNS1_3gpuE2ELNS1_3repE0EEENS1_30default_config_static_selectorELNS0_4arch9wavefront6targetE0EEEvT1_: ; @_ZN7rocprim17ROCPRIM_400000_NS6detail17trampoline_kernelINS0_14default_configENS1_25partition_config_selectorILNS1_17partition_subalgoE9EllbEEZZNS1_14partition_implILS5_9ELb0ES3_jPlS8_PNS0_10empty_typeENS0_5tupleIJS8_S9_EEENSB_IJS8_SA_EEENS0_18inequality_wrapperIZN2at6native12_GLOBAL__N_124unique_dim_cuda_templateIlEESt5tupleIJNSF_6TensorESK_SK_EERKSK_lbbbEUlllE0_EEPmJS9_EEE10hipError_tPvRmT3_T4_T5_T6_T7_T9_mT8_P12ihipStream_tbDpT10_ENKUlT_T0_E_clISt17integral_constantIbLb0EES19_IbLb1EEEEDaS15_S16_EUlS15_E_NS1_11comp_targetILNS1_3genE8ELNS1_11target_archE1030ELNS1_3gpuE2ELNS1_3repE0EEENS1_30default_config_static_selectorELNS0_4arch9wavefront6targetE0EEEvT1_
; %bb.0:
	.section	.rodata,"a",@progbits
	.p2align	6, 0x0
	.amdhsa_kernel _ZN7rocprim17ROCPRIM_400000_NS6detail17trampoline_kernelINS0_14default_configENS1_25partition_config_selectorILNS1_17partition_subalgoE9EllbEEZZNS1_14partition_implILS5_9ELb0ES3_jPlS8_PNS0_10empty_typeENS0_5tupleIJS8_S9_EEENSB_IJS8_SA_EEENS0_18inequality_wrapperIZN2at6native12_GLOBAL__N_124unique_dim_cuda_templateIlEESt5tupleIJNSF_6TensorESK_SK_EERKSK_lbbbEUlllE0_EEPmJS9_EEE10hipError_tPvRmT3_T4_T5_T6_T7_T9_mT8_P12ihipStream_tbDpT10_ENKUlT_T0_E_clISt17integral_constantIbLb0EES19_IbLb1EEEEDaS15_S16_EUlS15_E_NS1_11comp_targetILNS1_3genE8ELNS1_11target_archE1030ELNS1_3gpuE2ELNS1_3repE0EEENS1_30default_config_static_selectorELNS0_4arch9wavefront6targetE0EEEvT1_
		.amdhsa_group_segment_fixed_size 0
		.amdhsa_private_segment_fixed_size 0
		.amdhsa_kernarg_size 136
		.amdhsa_user_sgpr_count 15
		.amdhsa_user_sgpr_dispatch_ptr 0
		.amdhsa_user_sgpr_queue_ptr 0
		.amdhsa_user_sgpr_kernarg_segment_ptr 1
		.amdhsa_user_sgpr_dispatch_id 0
		.amdhsa_user_sgpr_private_segment_size 0
		.amdhsa_wavefront_size32 1
		.amdhsa_uses_dynamic_stack 0
		.amdhsa_enable_private_segment 0
		.amdhsa_system_sgpr_workgroup_id_x 1
		.amdhsa_system_sgpr_workgroup_id_y 0
		.amdhsa_system_sgpr_workgroup_id_z 0
		.amdhsa_system_sgpr_workgroup_info 0
		.amdhsa_system_vgpr_workitem_id 0
		.amdhsa_next_free_vgpr 1
		.amdhsa_next_free_sgpr 1
		.amdhsa_reserve_vcc 0
		.amdhsa_float_round_mode_32 0
		.amdhsa_float_round_mode_16_64 0
		.amdhsa_float_denorm_mode_32 3
		.amdhsa_float_denorm_mode_16_64 3
		.amdhsa_dx10_clamp 1
		.amdhsa_ieee_mode 1
		.amdhsa_fp16_overflow 0
		.amdhsa_workgroup_processor_mode 1
		.amdhsa_memory_ordered 1
		.amdhsa_forward_progress 0
		.amdhsa_shared_vgpr_count 0
		.amdhsa_exception_fp_ieee_invalid_op 0
		.amdhsa_exception_fp_denorm_src 0
		.amdhsa_exception_fp_ieee_div_zero 0
		.amdhsa_exception_fp_ieee_overflow 0
		.amdhsa_exception_fp_ieee_underflow 0
		.amdhsa_exception_fp_ieee_inexact 0
		.amdhsa_exception_int_div_zero 0
	.end_amdhsa_kernel
	.section	.text._ZN7rocprim17ROCPRIM_400000_NS6detail17trampoline_kernelINS0_14default_configENS1_25partition_config_selectorILNS1_17partition_subalgoE9EllbEEZZNS1_14partition_implILS5_9ELb0ES3_jPlS8_PNS0_10empty_typeENS0_5tupleIJS8_S9_EEENSB_IJS8_SA_EEENS0_18inequality_wrapperIZN2at6native12_GLOBAL__N_124unique_dim_cuda_templateIlEESt5tupleIJNSF_6TensorESK_SK_EERKSK_lbbbEUlllE0_EEPmJS9_EEE10hipError_tPvRmT3_T4_T5_T6_T7_T9_mT8_P12ihipStream_tbDpT10_ENKUlT_T0_E_clISt17integral_constantIbLb0EES19_IbLb1EEEEDaS15_S16_EUlS15_E_NS1_11comp_targetILNS1_3genE8ELNS1_11target_archE1030ELNS1_3gpuE2ELNS1_3repE0EEENS1_30default_config_static_selectorELNS0_4arch9wavefront6targetE0EEEvT1_,"axG",@progbits,_ZN7rocprim17ROCPRIM_400000_NS6detail17trampoline_kernelINS0_14default_configENS1_25partition_config_selectorILNS1_17partition_subalgoE9EllbEEZZNS1_14partition_implILS5_9ELb0ES3_jPlS8_PNS0_10empty_typeENS0_5tupleIJS8_S9_EEENSB_IJS8_SA_EEENS0_18inequality_wrapperIZN2at6native12_GLOBAL__N_124unique_dim_cuda_templateIlEESt5tupleIJNSF_6TensorESK_SK_EERKSK_lbbbEUlllE0_EEPmJS9_EEE10hipError_tPvRmT3_T4_T5_T6_T7_T9_mT8_P12ihipStream_tbDpT10_ENKUlT_T0_E_clISt17integral_constantIbLb0EES19_IbLb1EEEEDaS15_S16_EUlS15_E_NS1_11comp_targetILNS1_3genE8ELNS1_11target_archE1030ELNS1_3gpuE2ELNS1_3repE0EEENS1_30default_config_static_selectorELNS0_4arch9wavefront6targetE0EEEvT1_,comdat
.Lfunc_end626:
	.size	_ZN7rocprim17ROCPRIM_400000_NS6detail17trampoline_kernelINS0_14default_configENS1_25partition_config_selectorILNS1_17partition_subalgoE9EllbEEZZNS1_14partition_implILS5_9ELb0ES3_jPlS8_PNS0_10empty_typeENS0_5tupleIJS8_S9_EEENSB_IJS8_SA_EEENS0_18inequality_wrapperIZN2at6native12_GLOBAL__N_124unique_dim_cuda_templateIlEESt5tupleIJNSF_6TensorESK_SK_EERKSK_lbbbEUlllE0_EEPmJS9_EEE10hipError_tPvRmT3_T4_T5_T6_T7_T9_mT8_P12ihipStream_tbDpT10_ENKUlT_T0_E_clISt17integral_constantIbLb0EES19_IbLb1EEEEDaS15_S16_EUlS15_E_NS1_11comp_targetILNS1_3genE8ELNS1_11target_archE1030ELNS1_3gpuE2ELNS1_3repE0EEENS1_30default_config_static_selectorELNS0_4arch9wavefront6targetE0EEEvT1_, .Lfunc_end626-_ZN7rocprim17ROCPRIM_400000_NS6detail17trampoline_kernelINS0_14default_configENS1_25partition_config_selectorILNS1_17partition_subalgoE9EllbEEZZNS1_14partition_implILS5_9ELb0ES3_jPlS8_PNS0_10empty_typeENS0_5tupleIJS8_S9_EEENSB_IJS8_SA_EEENS0_18inequality_wrapperIZN2at6native12_GLOBAL__N_124unique_dim_cuda_templateIlEESt5tupleIJNSF_6TensorESK_SK_EERKSK_lbbbEUlllE0_EEPmJS9_EEE10hipError_tPvRmT3_T4_T5_T6_T7_T9_mT8_P12ihipStream_tbDpT10_ENKUlT_T0_E_clISt17integral_constantIbLb0EES19_IbLb1EEEEDaS15_S16_EUlS15_E_NS1_11comp_targetILNS1_3genE8ELNS1_11target_archE1030ELNS1_3gpuE2ELNS1_3repE0EEENS1_30default_config_static_selectorELNS0_4arch9wavefront6targetE0EEEvT1_
                                        ; -- End function
	.section	.AMDGPU.csdata,"",@progbits
; Kernel info:
; codeLenInByte = 0
; NumSgprs: 0
; NumVgprs: 0
; ScratchSize: 0
; MemoryBound: 0
; FloatMode: 240
; IeeeMode: 1
; LDSByteSize: 0 bytes/workgroup (compile time only)
; SGPRBlocks: 0
; VGPRBlocks: 0
; NumSGPRsForWavesPerEU: 1
; NumVGPRsForWavesPerEU: 1
; Occupancy: 16
; WaveLimiterHint : 0
; COMPUTE_PGM_RSRC2:SCRATCH_EN: 0
; COMPUTE_PGM_RSRC2:USER_SGPR: 15
; COMPUTE_PGM_RSRC2:TRAP_HANDLER: 0
; COMPUTE_PGM_RSRC2:TGID_X_EN: 1
; COMPUTE_PGM_RSRC2:TGID_Y_EN: 0
; COMPUTE_PGM_RSRC2:TGID_Z_EN: 0
; COMPUTE_PGM_RSRC2:TIDIG_COMP_CNT: 0
	.section	.text._ZN7rocprim17ROCPRIM_400000_NS6detail17trampoline_kernelINS0_14default_configENS1_37merge_sort_block_sort_config_selectorIlNS0_10empty_typeEEEZNS1_21merge_sort_block_sortIS3_PlS8_PS5_S9_ZN2at6native12_GLOBAL__N_124unique_dim_cuda_templateIsEESt5tupleIJNSA_6TensorESF_SF_EERKSF_lbbbEUlllE_EE10hipError_tT0_T1_T2_T3_mRjT4_P12ihipStream_tbNS1_7vsmem_tEEUlT_E_NS1_11comp_targetILNS1_3genE0ELNS1_11target_archE4294967295ELNS1_3gpuE0ELNS1_3repE0EEENS1_30default_config_static_selectorELNS0_4arch9wavefront6targetE0EEEvSM_,"axG",@progbits,_ZN7rocprim17ROCPRIM_400000_NS6detail17trampoline_kernelINS0_14default_configENS1_37merge_sort_block_sort_config_selectorIlNS0_10empty_typeEEEZNS1_21merge_sort_block_sortIS3_PlS8_PS5_S9_ZN2at6native12_GLOBAL__N_124unique_dim_cuda_templateIsEESt5tupleIJNSA_6TensorESF_SF_EERKSF_lbbbEUlllE_EE10hipError_tT0_T1_T2_T3_mRjT4_P12ihipStream_tbNS1_7vsmem_tEEUlT_E_NS1_11comp_targetILNS1_3genE0ELNS1_11target_archE4294967295ELNS1_3gpuE0ELNS1_3repE0EEENS1_30default_config_static_selectorELNS0_4arch9wavefront6targetE0EEEvSM_,comdat
	.globl	_ZN7rocprim17ROCPRIM_400000_NS6detail17trampoline_kernelINS0_14default_configENS1_37merge_sort_block_sort_config_selectorIlNS0_10empty_typeEEEZNS1_21merge_sort_block_sortIS3_PlS8_PS5_S9_ZN2at6native12_GLOBAL__N_124unique_dim_cuda_templateIsEESt5tupleIJNSA_6TensorESF_SF_EERKSF_lbbbEUlllE_EE10hipError_tT0_T1_T2_T3_mRjT4_P12ihipStream_tbNS1_7vsmem_tEEUlT_E_NS1_11comp_targetILNS1_3genE0ELNS1_11target_archE4294967295ELNS1_3gpuE0ELNS1_3repE0EEENS1_30default_config_static_selectorELNS0_4arch9wavefront6targetE0EEEvSM_ ; -- Begin function _ZN7rocprim17ROCPRIM_400000_NS6detail17trampoline_kernelINS0_14default_configENS1_37merge_sort_block_sort_config_selectorIlNS0_10empty_typeEEEZNS1_21merge_sort_block_sortIS3_PlS8_PS5_S9_ZN2at6native12_GLOBAL__N_124unique_dim_cuda_templateIsEESt5tupleIJNSA_6TensorESF_SF_EERKSF_lbbbEUlllE_EE10hipError_tT0_T1_T2_T3_mRjT4_P12ihipStream_tbNS1_7vsmem_tEEUlT_E_NS1_11comp_targetILNS1_3genE0ELNS1_11target_archE4294967295ELNS1_3gpuE0ELNS1_3repE0EEENS1_30default_config_static_selectorELNS0_4arch9wavefront6targetE0EEEvSM_
	.p2align	8
	.type	_ZN7rocprim17ROCPRIM_400000_NS6detail17trampoline_kernelINS0_14default_configENS1_37merge_sort_block_sort_config_selectorIlNS0_10empty_typeEEEZNS1_21merge_sort_block_sortIS3_PlS8_PS5_S9_ZN2at6native12_GLOBAL__N_124unique_dim_cuda_templateIsEESt5tupleIJNSA_6TensorESF_SF_EERKSF_lbbbEUlllE_EE10hipError_tT0_T1_T2_T3_mRjT4_P12ihipStream_tbNS1_7vsmem_tEEUlT_E_NS1_11comp_targetILNS1_3genE0ELNS1_11target_archE4294967295ELNS1_3gpuE0ELNS1_3repE0EEENS1_30default_config_static_selectorELNS0_4arch9wavefront6targetE0EEEvSM_,@function
_ZN7rocprim17ROCPRIM_400000_NS6detail17trampoline_kernelINS0_14default_configENS1_37merge_sort_block_sort_config_selectorIlNS0_10empty_typeEEEZNS1_21merge_sort_block_sortIS3_PlS8_PS5_S9_ZN2at6native12_GLOBAL__N_124unique_dim_cuda_templateIsEESt5tupleIJNSA_6TensorESF_SF_EERKSF_lbbbEUlllE_EE10hipError_tT0_T1_T2_T3_mRjT4_P12ihipStream_tbNS1_7vsmem_tEEUlT_E_NS1_11comp_targetILNS1_3genE0ELNS1_11target_archE4294967295ELNS1_3gpuE0ELNS1_3repE0EEENS1_30default_config_static_selectorELNS0_4arch9wavefront6targetE0EEEvSM_: ; @_ZN7rocprim17ROCPRIM_400000_NS6detail17trampoline_kernelINS0_14default_configENS1_37merge_sort_block_sort_config_selectorIlNS0_10empty_typeEEEZNS1_21merge_sort_block_sortIS3_PlS8_PS5_S9_ZN2at6native12_GLOBAL__N_124unique_dim_cuda_templateIsEESt5tupleIJNSA_6TensorESF_SF_EERKSF_lbbbEUlllE_EE10hipError_tT0_T1_T2_T3_mRjT4_P12ihipStream_tbNS1_7vsmem_tEEUlT_E_NS1_11comp_targetILNS1_3genE0ELNS1_11target_archE4294967295ELNS1_3gpuE0ELNS1_3repE0EEENS1_30default_config_static_selectorELNS0_4arch9wavefront6targetE0EEEvSM_
; %bb.0:
	.section	.rodata,"a",@progbits
	.p2align	6, 0x0
	.amdhsa_kernel _ZN7rocprim17ROCPRIM_400000_NS6detail17trampoline_kernelINS0_14default_configENS1_37merge_sort_block_sort_config_selectorIlNS0_10empty_typeEEEZNS1_21merge_sort_block_sortIS3_PlS8_PS5_S9_ZN2at6native12_GLOBAL__N_124unique_dim_cuda_templateIsEESt5tupleIJNSA_6TensorESF_SF_EERKSF_lbbbEUlllE_EE10hipError_tT0_T1_T2_T3_mRjT4_P12ihipStream_tbNS1_7vsmem_tEEUlT_E_NS1_11comp_targetILNS1_3genE0ELNS1_11target_archE4294967295ELNS1_3gpuE0ELNS1_3repE0EEENS1_30default_config_static_selectorELNS0_4arch9wavefront6targetE0EEEvSM_
		.amdhsa_group_segment_fixed_size 0
		.amdhsa_private_segment_fixed_size 0
		.amdhsa_kernarg_size 72
		.amdhsa_user_sgpr_count 15
		.amdhsa_user_sgpr_dispatch_ptr 0
		.amdhsa_user_sgpr_queue_ptr 0
		.amdhsa_user_sgpr_kernarg_segment_ptr 1
		.amdhsa_user_sgpr_dispatch_id 0
		.amdhsa_user_sgpr_private_segment_size 0
		.amdhsa_wavefront_size32 1
		.amdhsa_uses_dynamic_stack 0
		.amdhsa_enable_private_segment 0
		.amdhsa_system_sgpr_workgroup_id_x 1
		.amdhsa_system_sgpr_workgroup_id_y 0
		.amdhsa_system_sgpr_workgroup_id_z 0
		.amdhsa_system_sgpr_workgroup_info 0
		.amdhsa_system_vgpr_workitem_id 0
		.amdhsa_next_free_vgpr 1
		.amdhsa_next_free_sgpr 1
		.amdhsa_reserve_vcc 0
		.amdhsa_float_round_mode_32 0
		.amdhsa_float_round_mode_16_64 0
		.amdhsa_float_denorm_mode_32 3
		.amdhsa_float_denorm_mode_16_64 3
		.amdhsa_dx10_clamp 1
		.amdhsa_ieee_mode 1
		.amdhsa_fp16_overflow 0
		.amdhsa_workgroup_processor_mode 1
		.amdhsa_memory_ordered 1
		.amdhsa_forward_progress 0
		.amdhsa_shared_vgpr_count 0
		.amdhsa_exception_fp_ieee_invalid_op 0
		.amdhsa_exception_fp_denorm_src 0
		.amdhsa_exception_fp_ieee_div_zero 0
		.amdhsa_exception_fp_ieee_overflow 0
		.amdhsa_exception_fp_ieee_underflow 0
		.amdhsa_exception_fp_ieee_inexact 0
		.amdhsa_exception_int_div_zero 0
	.end_amdhsa_kernel
	.section	.text._ZN7rocprim17ROCPRIM_400000_NS6detail17trampoline_kernelINS0_14default_configENS1_37merge_sort_block_sort_config_selectorIlNS0_10empty_typeEEEZNS1_21merge_sort_block_sortIS3_PlS8_PS5_S9_ZN2at6native12_GLOBAL__N_124unique_dim_cuda_templateIsEESt5tupleIJNSA_6TensorESF_SF_EERKSF_lbbbEUlllE_EE10hipError_tT0_T1_T2_T3_mRjT4_P12ihipStream_tbNS1_7vsmem_tEEUlT_E_NS1_11comp_targetILNS1_3genE0ELNS1_11target_archE4294967295ELNS1_3gpuE0ELNS1_3repE0EEENS1_30default_config_static_selectorELNS0_4arch9wavefront6targetE0EEEvSM_,"axG",@progbits,_ZN7rocprim17ROCPRIM_400000_NS6detail17trampoline_kernelINS0_14default_configENS1_37merge_sort_block_sort_config_selectorIlNS0_10empty_typeEEEZNS1_21merge_sort_block_sortIS3_PlS8_PS5_S9_ZN2at6native12_GLOBAL__N_124unique_dim_cuda_templateIsEESt5tupleIJNSA_6TensorESF_SF_EERKSF_lbbbEUlllE_EE10hipError_tT0_T1_T2_T3_mRjT4_P12ihipStream_tbNS1_7vsmem_tEEUlT_E_NS1_11comp_targetILNS1_3genE0ELNS1_11target_archE4294967295ELNS1_3gpuE0ELNS1_3repE0EEENS1_30default_config_static_selectorELNS0_4arch9wavefront6targetE0EEEvSM_,comdat
.Lfunc_end627:
	.size	_ZN7rocprim17ROCPRIM_400000_NS6detail17trampoline_kernelINS0_14default_configENS1_37merge_sort_block_sort_config_selectorIlNS0_10empty_typeEEEZNS1_21merge_sort_block_sortIS3_PlS8_PS5_S9_ZN2at6native12_GLOBAL__N_124unique_dim_cuda_templateIsEESt5tupleIJNSA_6TensorESF_SF_EERKSF_lbbbEUlllE_EE10hipError_tT0_T1_T2_T3_mRjT4_P12ihipStream_tbNS1_7vsmem_tEEUlT_E_NS1_11comp_targetILNS1_3genE0ELNS1_11target_archE4294967295ELNS1_3gpuE0ELNS1_3repE0EEENS1_30default_config_static_selectorELNS0_4arch9wavefront6targetE0EEEvSM_, .Lfunc_end627-_ZN7rocprim17ROCPRIM_400000_NS6detail17trampoline_kernelINS0_14default_configENS1_37merge_sort_block_sort_config_selectorIlNS0_10empty_typeEEEZNS1_21merge_sort_block_sortIS3_PlS8_PS5_S9_ZN2at6native12_GLOBAL__N_124unique_dim_cuda_templateIsEESt5tupleIJNSA_6TensorESF_SF_EERKSF_lbbbEUlllE_EE10hipError_tT0_T1_T2_T3_mRjT4_P12ihipStream_tbNS1_7vsmem_tEEUlT_E_NS1_11comp_targetILNS1_3genE0ELNS1_11target_archE4294967295ELNS1_3gpuE0ELNS1_3repE0EEENS1_30default_config_static_selectorELNS0_4arch9wavefront6targetE0EEEvSM_
                                        ; -- End function
	.section	.AMDGPU.csdata,"",@progbits
; Kernel info:
; codeLenInByte = 0
; NumSgprs: 0
; NumVgprs: 0
; ScratchSize: 0
; MemoryBound: 0
; FloatMode: 240
; IeeeMode: 1
; LDSByteSize: 0 bytes/workgroup (compile time only)
; SGPRBlocks: 0
; VGPRBlocks: 0
; NumSGPRsForWavesPerEU: 1
; NumVGPRsForWavesPerEU: 1
; Occupancy: 16
; WaveLimiterHint : 0
; COMPUTE_PGM_RSRC2:SCRATCH_EN: 0
; COMPUTE_PGM_RSRC2:USER_SGPR: 15
; COMPUTE_PGM_RSRC2:TRAP_HANDLER: 0
; COMPUTE_PGM_RSRC2:TGID_X_EN: 1
; COMPUTE_PGM_RSRC2:TGID_Y_EN: 0
; COMPUTE_PGM_RSRC2:TGID_Z_EN: 0
; COMPUTE_PGM_RSRC2:TIDIG_COMP_CNT: 0
	.section	.text._ZN7rocprim17ROCPRIM_400000_NS6detail17trampoline_kernelINS0_14default_configENS1_37merge_sort_block_sort_config_selectorIlNS0_10empty_typeEEEZNS1_21merge_sort_block_sortIS3_PlS8_PS5_S9_ZN2at6native12_GLOBAL__N_124unique_dim_cuda_templateIsEESt5tupleIJNSA_6TensorESF_SF_EERKSF_lbbbEUlllE_EE10hipError_tT0_T1_T2_T3_mRjT4_P12ihipStream_tbNS1_7vsmem_tEEUlT_E_NS1_11comp_targetILNS1_3genE5ELNS1_11target_archE942ELNS1_3gpuE9ELNS1_3repE0EEENS1_30default_config_static_selectorELNS0_4arch9wavefront6targetE0EEEvSM_,"axG",@progbits,_ZN7rocprim17ROCPRIM_400000_NS6detail17trampoline_kernelINS0_14default_configENS1_37merge_sort_block_sort_config_selectorIlNS0_10empty_typeEEEZNS1_21merge_sort_block_sortIS3_PlS8_PS5_S9_ZN2at6native12_GLOBAL__N_124unique_dim_cuda_templateIsEESt5tupleIJNSA_6TensorESF_SF_EERKSF_lbbbEUlllE_EE10hipError_tT0_T1_T2_T3_mRjT4_P12ihipStream_tbNS1_7vsmem_tEEUlT_E_NS1_11comp_targetILNS1_3genE5ELNS1_11target_archE942ELNS1_3gpuE9ELNS1_3repE0EEENS1_30default_config_static_selectorELNS0_4arch9wavefront6targetE0EEEvSM_,comdat
	.globl	_ZN7rocprim17ROCPRIM_400000_NS6detail17trampoline_kernelINS0_14default_configENS1_37merge_sort_block_sort_config_selectorIlNS0_10empty_typeEEEZNS1_21merge_sort_block_sortIS3_PlS8_PS5_S9_ZN2at6native12_GLOBAL__N_124unique_dim_cuda_templateIsEESt5tupleIJNSA_6TensorESF_SF_EERKSF_lbbbEUlllE_EE10hipError_tT0_T1_T2_T3_mRjT4_P12ihipStream_tbNS1_7vsmem_tEEUlT_E_NS1_11comp_targetILNS1_3genE5ELNS1_11target_archE942ELNS1_3gpuE9ELNS1_3repE0EEENS1_30default_config_static_selectorELNS0_4arch9wavefront6targetE0EEEvSM_ ; -- Begin function _ZN7rocprim17ROCPRIM_400000_NS6detail17trampoline_kernelINS0_14default_configENS1_37merge_sort_block_sort_config_selectorIlNS0_10empty_typeEEEZNS1_21merge_sort_block_sortIS3_PlS8_PS5_S9_ZN2at6native12_GLOBAL__N_124unique_dim_cuda_templateIsEESt5tupleIJNSA_6TensorESF_SF_EERKSF_lbbbEUlllE_EE10hipError_tT0_T1_T2_T3_mRjT4_P12ihipStream_tbNS1_7vsmem_tEEUlT_E_NS1_11comp_targetILNS1_3genE5ELNS1_11target_archE942ELNS1_3gpuE9ELNS1_3repE0EEENS1_30default_config_static_selectorELNS0_4arch9wavefront6targetE0EEEvSM_
	.p2align	8
	.type	_ZN7rocprim17ROCPRIM_400000_NS6detail17trampoline_kernelINS0_14default_configENS1_37merge_sort_block_sort_config_selectorIlNS0_10empty_typeEEEZNS1_21merge_sort_block_sortIS3_PlS8_PS5_S9_ZN2at6native12_GLOBAL__N_124unique_dim_cuda_templateIsEESt5tupleIJNSA_6TensorESF_SF_EERKSF_lbbbEUlllE_EE10hipError_tT0_T1_T2_T3_mRjT4_P12ihipStream_tbNS1_7vsmem_tEEUlT_E_NS1_11comp_targetILNS1_3genE5ELNS1_11target_archE942ELNS1_3gpuE9ELNS1_3repE0EEENS1_30default_config_static_selectorELNS0_4arch9wavefront6targetE0EEEvSM_,@function
_ZN7rocprim17ROCPRIM_400000_NS6detail17trampoline_kernelINS0_14default_configENS1_37merge_sort_block_sort_config_selectorIlNS0_10empty_typeEEEZNS1_21merge_sort_block_sortIS3_PlS8_PS5_S9_ZN2at6native12_GLOBAL__N_124unique_dim_cuda_templateIsEESt5tupleIJNSA_6TensorESF_SF_EERKSF_lbbbEUlllE_EE10hipError_tT0_T1_T2_T3_mRjT4_P12ihipStream_tbNS1_7vsmem_tEEUlT_E_NS1_11comp_targetILNS1_3genE5ELNS1_11target_archE942ELNS1_3gpuE9ELNS1_3repE0EEENS1_30default_config_static_selectorELNS0_4arch9wavefront6targetE0EEEvSM_: ; @_ZN7rocprim17ROCPRIM_400000_NS6detail17trampoline_kernelINS0_14default_configENS1_37merge_sort_block_sort_config_selectorIlNS0_10empty_typeEEEZNS1_21merge_sort_block_sortIS3_PlS8_PS5_S9_ZN2at6native12_GLOBAL__N_124unique_dim_cuda_templateIsEESt5tupleIJNSA_6TensorESF_SF_EERKSF_lbbbEUlllE_EE10hipError_tT0_T1_T2_T3_mRjT4_P12ihipStream_tbNS1_7vsmem_tEEUlT_E_NS1_11comp_targetILNS1_3genE5ELNS1_11target_archE942ELNS1_3gpuE9ELNS1_3repE0EEENS1_30default_config_static_selectorELNS0_4arch9wavefront6targetE0EEEvSM_
; %bb.0:
	.section	.rodata,"a",@progbits
	.p2align	6, 0x0
	.amdhsa_kernel _ZN7rocprim17ROCPRIM_400000_NS6detail17trampoline_kernelINS0_14default_configENS1_37merge_sort_block_sort_config_selectorIlNS0_10empty_typeEEEZNS1_21merge_sort_block_sortIS3_PlS8_PS5_S9_ZN2at6native12_GLOBAL__N_124unique_dim_cuda_templateIsEESt5tupleIJNSA_6TensorESF_SF_EERKSF_lbbbEUlllE_EE10hipError_tT0_T1_T2_T3_mRjT4_P12ihipStream_tbNS1_7vsmem_tEEUlT_E_NS1_11comp_targetILNS1_3genE5ELNS1_11target_archE942ELNS1_3gpuE9ELNS1_3repE0EEENS1_30default_config_static_selectorELNS0_4arch9wavefront6targetE0EEEvSM_
		.amdhsa_group_segment_fixed_size 0
		.amdhsa_private_segment_fixed_size 0
		.amdhsa_kernarg_size 72
		.amdhsa_user_sgpr_count 15
		.amdhsa_user_sgpr_dispatch_ptr 0
		.amdhsa_user_sgpr_queue_ptr 0
		.amdhsa_user_sgpr_kernarg_segment_ptr 1
		.amdhsa_user_sgpr_dispatch_id 0
		.amdhsa_user_sgpr_private_segment_size 0
		.amdhsa_wavefront_size32 1
		.amdhsa_uses_dynamic_stack 0
		.amdhsa_enable_private_segment 0
		.amdhsa_system_sgpr_workgroup_id_x 1
		.amdhsa_system_sgpr_workgroup_id_y 0
		.amdhsa_system_sgpr_workgroup_id_z 0
		.amdhsa_system_sgpr_workgroup_info 0
		.amdhsa_system_vgpr_workitem_id 0
		.amdhsa_next_free_vgpr 1
		.amdhsa_next_free_sgpr 1
		.amdhsa_reserve_vcc 0
		.amdhsa_float_round_mode_32 0
		.amdhsa_float_round_mode_16_64 0
		.amdhsa_float_denorm_mode_32 3
		.amdhsa_float_denorm_mode_16_64 3
		.amdhsa_dx10_clamp 1
		.amdhsa_ieee_mode 1
		.amdhsa_fp16_overflow 0
		.amdhsa_workgroup_processor_mode 1
		.amdhsa_memory_ordered 1
		.amdhsa_forward_progress 0
		.amdhsa_shared_vgpr_count 0
		.amdhsa_exception_fp_ieee_invalid_op 0
		.amdhsa_exception_fp_denorm_src 0
		.amdhsa_exception_fp_ieee_div_zero 0
		.amdhsa_exception_fp_ieee_overflow 0
		.amdhsa_exception_fp_ieee_underflow 0
		.amdhsa_exception_fp_ieee_inexact 0
		.amdhsa_exception_int_div_zero 0
	.end_amdhsa_kernel
	.section	.text._ZN7rocprim17ROCPRIM_400000_NS6detail17trampoline_kernelINS0_14default_configENS1_37merge_sort_block_sort_config_selectorIlNS0_10empty_typeEEEZNS1_21merge_sort_block_sortIS3_PlS8_PS5_S9_ZN2at6native12_GLOBAL__N_124unique_dim_cuda_templateIsEESt5tupleIJNSA_6TensorESF_SF_EERKSF_lbbbEUlllE_EE10hipError_tT0_T1_T2_T3_mRjT4_P12ihipStream_tbNS1_7vsmem_tEEUlT_E_NS1_11comp_targetILNS1_3genE5ELNS1_11target_archE942ELNS1_3gpuE9ELNS1_3repE0EEENS1_30default_config_static_selectorELNS0_4arch9wavefront6targetE0EEEvSM_,"axG",@progbits,_ZN7rocprim17ROCPRIM_400000_NS6detail17trampoline_kernelINS0_14default_configENS1_37merge_sort_block_sort_config_selectorIlNS0_10empty_typeEEEZNS1_21merge_sort_block_sortIS3_PlS8_PS5_S9_ZN2at6native12_GLOBAL__N_124unique_dim_cuda_templateIsEESt5tupleIJNSA_6TensorESF_SF_EERKSF_lbbbEUlllE_EE10hipError_tT0_T1_T2_T3_mRjT4_P12ihipStream_tbNS1_7vsmem_tEEUlT_E_NS1_11comp_targetILNS1_3genE5ELNS1_11target_archE942ELNS1_3gpuE9ELNS1_3repE0EEENS1_30default_config_static_selectorELNS0_4arch9wavefront6targetE0EEEvSM_,comdat
.Lfunc_end628:
	.size	_ZN7rocprim17ROCPRIM_400000_NS6detail17trampoline_kernelINS0_14default_configENS1_37merge_sort_block_sort_config_selectorIlNS0_10empty_typeEEEZNS1_21merge_sort_block_sortIS3_PlS8_PS5_S9_ZN2at6native12_GLOBAL__N_124unique_dim_cuda_templateIsEESt5tupleIJNSA_6TensorESF_SF_EERKSF_lbbbEUlllE_EE10hipError_tT0_T1_T2_T3_mRjT4_P12ihipStream_tbNS1_7vsmem_tEEUlT_E_NS1_11comp_targetILNS1_3genE5ELNS1_11target_archE942ELNS1_3gpuE9ELNS1_3repE0EEENS1_30default_config_static_selectorELNS0_4arch9wavefront6targetE0EEEvSM_, .Lfunc_end628-_ZN7rocprim17ROCPRIM_400000_NS6detail17trampoline_kernelINS0_14default_configENS1_37merge_sort_block_sort_config_selectorIlNS0_10empty_typeEEEZNS1_21merge_sort_block_sortIS3_PlS8_PS5_S9_ZN2at6native12_GLOBAL__N_124unique_dim_cuda_templateIsEESt5tupleIJNSA_6TensorESF_SF_EERKSF_lbbbEUlllE_EE10hipError_tT0_T1_T2_T3_mRjT4_P12ihipStream_tbNS1_7vsmem_tEEUlT_E_NS1_11comp_targetILNS1_3genE5ELNS1_11target_archE942ELNS1_3gpuE9ELNS1_3repE0EEENS1_30default_config_static_selectorELNS0_4arch9wavefront6targetE0EEEvSM_
                                        ; -- End function
	.section	.AMDGPU.csdata,"",@progbits
; Kernel info:
; codeLenInByte = 0
; NumSgprs: 0
; NumVgprs: 0
; ScratchSize: 0
; MemoryBound: 0
; FloatMode: 240
; IeeeMode: 1
; LDSByteSize: 0 bytes/workgroup (compile time only)
; SGPRBlocks: 0
; VGPRBlocks: 0
; NumSGPRsForWavesPerEU: 1
; NumVGPRsForWavesPerEU: 1
; Occupancy: 16
; WaveLimiterHint : 0
; COMPUTE_PGM_RSRC2:SCRATCH_EN: 0
; COMPUTE_PGM_RSRC2:USER_SGPR: 15
; COMPUTE_PGM_RSRC2:TRAP_HANDLER: 0
; COMPUTE_PGM_RSRC2:TGID_X_EN: 1
; COMPUTE_PGM_RSRC2:TGID_Y_EN: 0
; COMPUTE_PGM_RSRC2:TGID_Z_EN: 0
; COMPUTE_PGM_RSRC2:TIDIG_COMP_CNT: 0
	.section	.text._ZN7rocprim17ROCPRIM_400000_NS6detail17trampoline_kernelINS0_14default_configENS1_37merge_sort_block_sort_config_selectorIlNS0_10empty_typeEEEZNS1_21merge_sort_block_sortIS3_PlS8_PS5_S9_ZN2at6native12_GLOBAL__N_124unique_dim_cuda_templateIsEESt5tupleIJNSA_6TensorESF_SF_EERKSF_lbbbEUlllE_EE10hipError_tT0_T1_T2_T3_mRjT4_P12ihipStream_tbNS1_7vsmem_tEEUlT_E_NS1_11comp_targetILNS1_3genE4ELNS1_11target_archE910ELNS1_3gpuE8ELNS1_3repE0EEENS1_30default_config_static_selectorELNS0_4arch9wavefront6targetE0EEEvSM_,"axG",@progbits,_ZN7rocprim17ROCPRIM_400000_NS6detail17trampoline_kernelINS0_14default_configENS1_37merge_sort_block_sort_config_selectorIlNS0_10empty_typeEEEZNS1_21merge_sort_block_sortIS3_PlS8_PS5_S9_ZN2at6native12_GLOBAL__N_124unique_dim_cuda_templateIsEESt5tupleIJNSA_6TensorESF_SF_EERKSF_lbbbEUlllE_EE10hipError_tT0_T1_T2_T3_mRjT4_P12ihipStream_tbNS1_7vsmem_tEEUlT_E_NS1_11comp_targetILNS1_3genE4ELNS1_11target_archE910ELNS1_3gpuE8ELNS1_3repE0EEENS1_30default_config_static_selectorELNS0_4arch9wavefront6targetE0EEEvSM_,comdat
	.globl	_ZN7rocprim17ROCPRIM_400000_NS6detail17trampoline_kernelINS0_14default_configENS1_37merge_sort_block_sort_config_selectorIlNS0_10empty_typeEEEZNS1_21merge_sort_block_sortIS3_PlS8_PS5_S9_ZN2at6native12_GLOBAL__N_124unique_dim_cuda_templateIsEESt5tupleIJNSA_6TensorESF_SF_EERKSF_lbbbEUlllE_EE10hipError_tT0_T1_T2_T3_mRjT4_P12ihipStream_tbNS1_7vsmem_tEEUlT_E_NS1_11comp_targetILNS1_3genE4ELNS1_11target_archE910ELNS1_3gpuE8ELNS1_3repE0EEENS1_30default_config_static_selectorELNS0_4arch9wavefront6targetE0EEEvSM_ ; -- Begin function _ZN7rocprim17ROCPRIM_400000_NS6detail17trampoline_kernelINS0_14default_configENS1_37merge_sort_block_sort_config_selectorIlNS0_10empty_typeEEEZNS1_21merge_sort_block_sortIS3_PlS8_PS5_S9_ZN2at6native12_GLOBAL__N_124unique_dim_cuda_templateIsEESt5tupleIJNSA_6TensorESF_SF_EERKSF_lbbbEUlllE_EE10hipError_tT0_T1_T2_T3_mRjT4_P12ihipStream_tbNS1_7vsmem_tEEUlT_E_NS1_11comp_targetILNS1_3genE4ELNS1_11target_archE910ELNS1_3gpuE8ELNS1_3repE0EEENS1_30default_config_static_selectorELNS0_4arch9wavefront6targetE0EEEvSM_
	.p2align	8
	.type	_ZN7rocprim17ROCPRIM_400000_NS6detail17trampoline_kernelINS0_14default_configENS1_37merge_sort_block_sort_config_selectorIlNS0_10empty_typeEEEZNS1_21merge_sort_block_sortIS3_PlS8_PS5_S9_ZN2at6native12_GLOBAL__N_124unique_dim_cuda_templateIsEESt5tupleIJNSA_6TensorESF_SF_EERKSF_lbbbEUlllE_EE10hipError_tT0_T1_T2_T3_mRjT4_P12ihipStream_tbNS1_7vsmem_tEEUlT_E_NS1_11comp_targetILNS1_3genE4ELNS1_11target_archE910ELNS1_3gpuE8ELNS1_3repE0EEENS1_30default_config_static_selectorELNS0_4arch9wavefront6targetE0EEEvSM_,@function
_ZN7rocprim17ROCPRIM_400000_NS6detail17trampoline_kernelINS0_14default_configENS1_37merge_sort_block_sort_config_selectorIlNS0_10empty_typeEEEZNS1_21merge_sort_block_sortIS3_PlS8_PS5_S9_ZN2at6native12_GLOBAL__N_124unique_dim_cuda_templateIsEESt5tupleIJNSA_6TensorESF_SF_EERKSF_lbbbEUlllE_EE10hipError_tT0_T1_T2_T3_mRjT4_P12ihipStream_tbNS1_7vsmem_tEEUlT_E_NS1_11comp_targetILNS1_3genE4ELNS1_11target_archE910ELNS1_3gpuE8ELNS1_3repE0EEENS1_30default_config_static_selectorELNS0_4arch9wavefront6targetE0EEEvSM_: ; @_ZN7rocprim17ROCPRIM_400000_NS6detail17trampoline_kernelINS0_14default_configENS1_37merge_sort_block_sort_config_selectorIlNS0_10empty_typeEEEZNS1_21merge_sort_block_sortIS3_PlS8_PS5_S9_ZN2at6native12_GLOBAL__N_124unique_dim_cuda_templateIsEESt5tupleIJNSA_6TensorESF_SF_EERKSF_lbbbEUlllE_EE10hipError_tT0_T1_T2_T3_mRjT4_P12ihipStream_tbNS1_7vsmem_tEEUlT_E_NS1_11comp_targetILNS1_3genE4ELNS1_11target_archE910ELNS1_3gpuE8ELNS1_3repE0EEENS1_30default_config_static_selectorELNS0_4arch9wavefront6targetE0EEEvSM_
; %bb.0:
	.section	.rodata,"a",@progbits
	.p2align	6, 0x0
	.amdhsa_kernel _ZN7rocprim17ROCPRIM_400000_NS6detail17trampoline_kernelINS0_14default_configENS1_37merge_sort_block_sort_config_selectorIlNS0_10empty_typeEEEZNS1_21merge_sort_block_sortIS3_PlS8_PS5_S9_ZN2at6native12_GLOBAL__N_124unique_dim_cuda_templateIsEESt5tupleIJNSA_6TensorESF_SF_EERKSF_lbbbEUlllE_EE10hipError_tT0_T1_T2_T3_mRjT4_P12ihipStream_tbNS1_7vsmem_tEEUlT_E_NS1_11comp_targetILNS1_3genE4ELNS1_11target_archE910ELNS1_3gpuE8ELNS1_3repE0EEENS1_30default_config_static_selectorELNS0_4arch9wavefront6targetE0EEEvSM_
		.amdhsa_group_segment_fixed_size 0
		.amdhsa_private_segment_fixed_size 0
		.amdhsa_kernarg_size 72
		.amdhsa_user_sgpr_count 15
		.amdhsa_user_sgpr_dispatch_ptr 0
		.amdhsa_user_sgpr_queue_ptr 0
		.amdhsa_user_sgpr_kernarg_segment_ptr 1
		.amdhsa_user_sgpr_dispatch_id 0
		.amdhsa_user_sgpr_private_segment_size 0
		.amdhsa_wavefront_size32 1
		.amdhsa_uses_dynamic_stack 0
		.amdhsa_enable_private_segment 0
		.amdhsa_system_sgpr_workgroup_id_x 1
		.amdhsa_system_sgpr_workgroup_id_y 0
		.amdhsa_system_sgpr_workgroup_id_z 0
		.amdhsa_system_sgpr_workgroup_info 0
		.amdhsa_system_vgpr_workitem_id 0
		.amdhsa_next_free_vgpr 1
		.amdhsa_next_free_sgpr 1
		.amdhsa_reserve_vcc 0
		.amdhsa_float_round_mode_32 0
		.amdhsa_float_round_mode_16_64 0
		.amdhsa_float_denorm_mode_32 3
		.amdhsa_float_denorm_mode_16_64 3
		.amdhsa_dx10_clamp 1
		.amdhsa_ieee_mode 1
		.amdhsa_fp16_overflow 0
		.amdhsa_workgroup_processor_mode 1
		.amdhsa_memory_ordered 1
		.amdhsa_forward_progress 0
		.amdhsa_shared_vgpr_count 0
		.amdhsa_exception_fp_ieee_invalid_op 0
		.amdhsa_exception_fp_denorm_src 0
		.amdhsa_exception_fp_ieee_div_zero 0
		.amdhsa_exception_fp_ieee_overflow 0
		.amdhsa_exception_fp_ieee_underflow 0
		.amdhsa_exception_fp_ieee_inexact 0
		.amdhsa_exception_int_div_zero 0
	.end_amdhsa_kernel
	.section	.text._ZN7rocprim17ROCPRIM_400000_NS6detail17trampoline_kernelINS0_14default_configENS1_37merge_sort_block_sort_config_selectorIlNS0_10empty_typeEEEZNS1_21merge_sort_block_sortIS3_PlS8_PS5_S9_ZN2at6native12_GLOBAL__N_124unique_dim_cuda_templateIsEESt5tupleIJNSA_6TensorESF_SF_EERKSF_lbbbEUlllE_EE10hipError_tT0_T1_T2_T3_mRjT4_P12ihipStream_tbNS1_7vsmem_tEEUlT_E_NS1_11comp_targetILNS1_3genE4ELNS1_11target_archE910ELNS1_3gpuE8ELNS1_3repE0EEENS1_30default_config_static_selectorELNS0_4arch9wavefront6targetE0EEEvSM_,"axG",@progbits,_ZN7rocprim17ROCPRIM_400000_NS6detail17trampoline_kernelINS0_14default_configENS1_37merge_sort_block_sort_config_selectorIlNS0_10empty_typeEEEZNS1_21merge_sort_block_sortIS3_PlS8_PS5_S9_ZN2at6native12_GLOBAL__N_124unique_dim_cuda_templateIsEESt5tupleIJNSA_6TensorESF_SF_EERKSF_lbbbEUlllE_EE10hipError_tT0_T1_T2_T3_mRjT4_P12ihipStream_tbNS1_7vsmem_tEEUlT_E_NS1_11comp_targetILNS1_3genE4ELNS1_11target_archE910ELNS1_3gpuE8ELNS1_3repE0EEENS1_30default_config_static_selectorELNS0_4arch9wavefront6targetE0EEEvSM_,comdat
.Lfunc_end629:
	.size	_ZN7rocprim17ROCPRIM_400000_NS6detail17trampoline_kernelINS0_14default_configENS1_37merge_sort_block_sort_config_selectorIlNS0_10empty_typeEEEZNS1_21merge_sort_block_sortIS3_PlS8_PS5_S9_ZN2at6native12_GLOBAL__N_124unique_dim_cuda_templateIsEESt5tupleIJNSA_6TensorESF_SF_EERKSF_lbbbEUlllE_EE10hipError_tT0_T1_T2_T3_mRjT4_P12ihipStream_tbNS1_7vsmem_tEEUlT_E_NS1_11comp_targetILNS1_3genE4ELNS1_11target_archE910ELNS1_3gpuE8ELNS1_3repE0EEENS1_30default_config_static_selectorELNS0_4arch9wavefront6targetE0EEEvSM_, .Lfunc_end629-_ZN7rocprim17ROCPRIM_400000_NS6detail17trampoline_kernelINS0_14default_configENS1_37merge_sort_block_sort_config_selectorIlNS0_10empty_typeEEEZNS1_21merge_sort_block_sortIS3_PlS8_PS5_S9_ZN2at6native12_GLOBAL__N_124unique_dim_cuda_templateIsEESt5tupleIJNSA_6TensorESF_SF_EERKSF_lbbbEUlllE_EE10hipError_tT0_T1_T2_T3_mRjT4_P12ihipStream_tbNS1_7vsmem_tEEUlT_E_NS1_11comp_targetILNS1_3genE4ELNS1_11target_archE910ELNS1_3gpuE8ELNS1_3repE0EEENS1_30default_config_static_selectorELNS0_4arch9wavefront6targetE0EEEvSM_
                                        ; -- End function
	.section	.AMDGPU.csdata,"",@progbits
; Kernel info:
; codeLenInByte = 0
; NumSgprs: 0
; NumVgprs: 0
; ScratchSize: 0
; MemoryBound: 0
; FloatMode: 240
; IeeeMode: 1
; LDSByteSize: 0 bytes/workgroup (compile time only)
; SGPRBlocks: 0
; VGPRBlocks: 0
; NumSGPRsForWavesPerEU: 1
; NumVGPRsForWavesPerEU: 1
; Occupancy: 16
; WaveLimiterHint : 0
; COMPUTE_PGM_RSRC2:SCRATCH_EN: 0
; COMPUTE_PGM_RSRC2:USER_SGPR: 15
; COMPUTE_PGM_RSRC2:TRAP_HANDLER: 0
; COMPUTE_PGM_RSRC2:TGID_X_EN: 1
; COMPUTE_PGM_RSRC2:TGID_Y_EN: 0
; COMPUTE_PGM_RSRC2:TGID_Z_EN: 0
; COMPUTE_PGM_RSRC2:TIDIG_COMP_CNT: 0
	.section	.text._ZN7rocprim17ROCPRIM_400000_NS6detail17trampoline_kernelINS0_14default_configENS1_37merge_sort_block_sort_config_selectorIlNS0_10empty_typeEEEZNS1_21merge_sort_block_sortIS3_PlS8_PS5_S9_ZN2at6native12_GLOBAL__N_124unique_dim_cuda_templateIsEESt5tupleIJNSA_6TensorESF_SF_EERKSF_lbbbEUlllE_EE10hipError_tT0_T1_T2_T3_mRjT4_P12ihipStream_tbNS1_7vsmem_tEEUlT_E_NS1_11comp_targetILNS1_3genE3ELNS1_11target_archE908ELNS1_3gpuE7ELNS1_3repE0EEENS1_30default_config_static_selectorELNS0_4arch9wavefront6targetE0EEEvSM_,"axG",@progbits,_ZN7rocprim17ROCPRIM_400000_NS6detail17trampoline_kernelINS0_14default_configENS1_37merge_sort_block_sort_config_selectorIlNS0_10empty_typeEEEZNS1_21merge_sort_block_sortIS3_PlS8_PS5_S9_ZN2at6native12_GLOBAL__N_124unique_dim_cuda_templateIsEESt5tupleIJNSA_6TensorESF_SF_EERKSF_lbbbEUlllE_EE10hipError_tT0_T1_T2_T3_mRjT4_P12ihipStream_tbNS1_7vsmem_tEEUlT_E_NS1_11comp_targetILNS1_3genE3ELNS1_11target_archE908ELNS1_3gpuE7ELNS1_3repE0EEENS1_30default_config_static_selectorELNS0_4arch9wavefront6targetE0EEEvSM_,comdat
	.globl	_ZN7rocprim17ROCPRIM_400000_NS6detail17trampoline_kernelINS0_14default_configENS1_37merge_sort_block_sort_config_selectorIlNS0_10empty_typeEEEZNS1_21merge_sort_block_sortIS3_PlS8_PS5_S9_ZN2at6native12_GLOBAL__N_124unique_dim_cuda_templateIsEESt5tupleIJNSA_6TensorESF_SF_EERKSF_lbbbEUlllE_EE10hipError_tT0_T1_T2_T3_mRjT4_P12ihipStream_tbNS1_7vsmem_tEEUlT_E_NS1_11comp_targetILNS1_3genE3ELNS1_11target_archE908ELNS1_3gpuE7ELNS1_3repE0EEENS1_30default_config_static_selectorELNS0_4arch9wavefront6targetE0EEEvSM_ ; -- Begin function _ZN7rocprim17ROCPRIM_400000_NS6detail17trampoline_kernelINS0_14default_configENS1_37merge_sort_block_sort_config_selectorIlNS0_10empty_typeEEEZNS1_21merge_sort_block_sortIS3_PlS8_PS5_S9_ZN2at6native12_GLOBAL__N_124unique_dim_cuda_templateIsEESt5tupleIJNSA_6TensorESF_SF_EERKSF_lbbbEUlllE_EE10hipError_tT0_T1_T2_T3_mRjT4_P12ihipStream_tbNS1_7vsmem_tEEUlT_E_NS1_11comp_targetILNS1_3genE3ELNS1_11target_archE908ELNS1_3gpuE7ELNS1_3repE0EEENS1_30default_config_static_selectorELNS0_4arch9wavefront6targetE0EEEvSM_
	.p2align	8
	.type	_ZN7rocprim17ROCPRIM_400000_NS6detail17trampoline_kernelINS0_14default_configENS1_37merge_sort_block_sort_config_selectorIlNS0_10empty_typeEEEZNS1_21merge_sort_block_sortIS3_PlS8_PS5_S9_ZN2at6native12_GLOBAL__N_124unique_dim_cuda_templateIsEESt5tupleIJNSA_6TensorESF_SF_EERKSF_lbbbEUlllE_EE10hipError_tT0_T1_T2_T3_mRjT4_P12ihipStream_tbNS1_7vsmem_tEEUlT_E_NS1_11comp_targetILNS1_3genE3ELNS1_11target_archE908ELNS1_3gpuE7ELNS1_3repE0EEENS1_30default_config_static_selectorELNS0_4arch9wavefront6targetE0EEEvSM_,@function
_ZN7rocprim17ROCPRIM_400000_NS6detail17trampoline_kernelINS0_14default_configENS1_37merge_sort_block_sort_config_selectorIlNS0_10empty_typeEEEZNS1_21merge_sort_block_sortIS3_PlS8_PS5_S9_ZN2at6native12_GLOBAL__N_124unique_dim_cuda_templateIsEESt5tupleIJNSA_6TensorESF_SF_EERKSF_lbbbEUlllE_EE10hipError_tT0_T1_T2_T3_mRjT4_P12ihipStream_tbNS1_7vsmem_tEEUlT_E_NS1_11comp_targetILNS1_3genE3ELNS1_11target_archE908ELNS1_3gpuE7ELNS1_3repE0EEENS1_30default_config_static_selectorELNS0_4arch9wavefront6targetE0EEEvSM_: ; @_ZN7rocprim17ROCPRIM_400000_NS6detail17trampoline_kernelINS0_14default_configENS1_37merge_sort_block_sort_config_selectorIlNS0_10empty_typeEEEZNS1_21merge_sort_block_sortIS3_PlS8_PS5_S9_ZN2at6native12_GLOBAL__N_124unique_dim_cuda_templateIsEESt5tupleIJNSA_6TensorESF_SF_EERKSF_lbbbEUlllE_EE10hipError_tT0_T1_T2_T3_mRjT4_P12ihipStream_tbNS1_7vsmem_tEEUlT_E_NS1_11comp_targetILNS1_3genE3ELNS1_11target_archE908ELNS1_3gpuE7ELNS1_3repE0EEENS1_30default_config_static_selectorELNS0_4arch9wavefront6targetE0EEEvSM_
; %bb.0:
	.section	.rodata,"a",@progbits
	.p2align	6, 0x0
	.amdhsa_kernel _ZN7rocprim17ROCPRIM_400000_NS6detail17trampoline_kernelINS0_14default_configENS1_37merge_sort_block_sort_config_selectorIlNS0_10empty_typeEEEZNS1_21merge_sort_block_sortIS3_PlS8_PS5_S9_ZN2at6native12_GLOBAL__N_124unique_dim_cuda_templateIsEESt5tupleIJNSA_6TensorESF_SF_EERKSF_lbbbEUlllE_EE10hipError_tT0_T1_T2_T3_mRjT4_P12ihipStream_tbNS1_7vsmem_tEEUlT_E_NS1_11comp_targetILNS1_3genE3ELNS1_11target_archE908ELNS1_3gpuE7ELNS1_3repE0EEENS1_30default_config_static_selectorELNS0_4arch9wavefront6targetE0EEEvSM_
		.amdhsa_group_segment_fixed_size 0
		.amdhsa_private_segment_fixed_size 0
		.amdhsa_kernarg_size 72
		.amdhsa_user_sgpr_count 15
		.amdhsa_user_sgpr_dispatch_ptr 0
		.amdhsa_user_sgpr_queue_ptr 0
		.amdhsa_user_sgpr_kernarg_segment_ptr 1
		.amdhsa_user_sgpr_dispatch_id 0
		.amdhsa_user_sgpr_private_segment_size 0
		.amdhsa_wavefront_size32 1
		.amdhsa_uses_dynamic_stack 0
		.amdhsa_enable_private_segment 0
		.amdhsa_system_sgpr_workgroup_id_x 1
		.amdhsa_system_sgpr_workgroup_id_y 0
		.amdhsa_system_sgpr_workgroup_id_z 0
		.amdhsa_system_sgpr_workgroup_info 0
		.amdhsa_system_vgpr_workitem_id 0
		.amdhsa_next_free_vgpr 1
		.amdhsa_next_free_sgpr 1
		.amdhsa_reserve_vcc 0
		.amdhsa_float_round_mode_32 0
		.amdhsa_float_round_mode_16_64 0
		.amdhsa_float_denorm_mode_32 3
		.amdhsa_float_denorm_mode_16_64 3
		.amdhsa_dx10_clamp 1
		.amdhsa_ieee_mode 1
		.amdhsa_fp16_overflow 0
		.amdhsa_workgroup_processor_mode 1
		.amdhsa_memory_ordered 1
		.amdhsa_forward_progress 0
		.amdhsa_shared_vgpr_count 0
		.amdhsa_exception_fp_ieee_invalid_op 0
		.amdhsa_exception_fp_denorm_src 0
		.amdhsa_exception_fp_ieee_div_zero 0
		.amdhsa_exception_fp_ieee_overflow 0
		.amdhsa_exception_fp_ieee_underflow 0
		.amdhsa_exception_fp_ieee_inexact 0
		.amdhsa_exception_int_div_zero 0
	.end_amdhsa_kernel
	.section	.text._ZN7rocprim17ROCPRIM_400000_NS6detail17trampoline_kernelINS0_14default_configENS1_37merge_sort_block_sort_config_selectorIlNS0_10empty_typeEEEZNS1_21merge_sort_block_sortIS3_PlS8_PS5_S9_ZN2at6native12_GLOBAL__N_124unique_dim_cuda_templateIsEESt5tupleIJNSA_6TensorESF_SF_EERKSF_lbbbEUlllE_EE10hipError_tT0_T1_T2_T3_mRjT4_P12ihipStream_tbNS1_7vsmem_tEEUlT_E_NS1_11comp_targetILNS1_3genE3ELNS1_11target_archE908ELNS1_3gpuE7ELNS1_3repE0EEENS1_30default_config_static_selectorELNS0_4arch9wavefront6targetE0EEEvSM_,"axG",@progbits,_ZN7rocprim17ROCPRIM_400000_NS6detail17trampoline_kernelINS0_14default_configENS1_37merge_sort_block_sort_config_selectorIlNS0_10empty_typeEEEZNS1_21merge_sort_block_sortIS3_PlS8_PS5_S9_ZN2at6native12_GLOBAL__N_124unique_dim_cuda_templateIsEESt5tupleIJNSA_6TensorESF_SF_EERKSF_lbbbEUlllE_EE10hipError_tT0_T1_T2_T3_mRjT4_P12ihipStream_tbNS1_7vsmem_tEEUlT_E_NS1_11comp_targetILNS1_3genE3ELNS1_11target_archE908ELNS1_3gpuE7ELNS1_3repE0EEENS1_30default_config_static_selectorELNS0_4arch9wavefront6targetE0EEEvSM_,comdat
.Lfunc_end630:
	.size	_ZN7rocprim17ROCPRIM_400000_NS6detail17trampoline_kernelINS0_14default_configENS1_37merge_sort_block_sort_config_selectorIlNS0_10empty_typeEEEZNS1_21merge_sort_block_sortIS3_PlS8_PS5_S9_ZN2at6native12_GLOBAL__N_124unique_dim_cuda_templateIsEESt5tupleIJNSA_6TensorESF_SF_EERKSF_lbbbEUlllE_EE10hipError_tT0_T1_T2_T3_mRjT4_P12ihipStream_tbNS1_7vsmem_tEEUlT_E_NS1_11comp_targetILNS1_3genE3ELNS1_11target_archE908ELNS1_3gpuE7ELNS1_3repE0EEENS1_30default_config_static_selectorELNS0_4arch9wavefront6targetE0EEEvSM_, .Lfunc_end630-_ZN7rocprim17ROCPRIM_400000_NS6detail17trampoline_kernelINS0_14default_configENS1_37merge_sort_block_sort_config_selectorIlNS0_10empty_typeEEEZNS1_21merge_sort_block_sortIS3_PlS8_PS5_S9_ZN2at6native12_GLOBAL__N_124unique_dim_cuda_templateIsEESt5tupleIJNSA_6TensorESF_SF_EERKSF_lbbbEUlllE_EE10hipError_tT0_T1_T2_T3_mRjT4_P12ihipStream_tbNS1_7vsmem_tEEUlT_E_NS1_11comp_targetILNS1_3genE3ELNS1_11target_archE908ELNS1_3gpuE7ELNS1_3repE0EEENS1_30default_config_static_selectorELNS0_4arch9wavefront6targetE0EEEvSM_
                                        ; -- End function
	.section	.AMDGPU.csdata,"",@progbits
; Kernel info:
; codeLenInByte = 0
; NumSgprs: 0
; NumVgprs: 0
; ScratchSize: 0
; MemoryBound: 0
; FloatMode: 240
; IeeeMode: 1
; LDSByteSize: 0 bytes/workgroup (compile time only)
; SGPRBlocks: 0
; VGPRBlocks: 0
; NumSGPRsForWavesPerEU: 1
; NumVGPRsForWavesPerEU: 1
; Occupancy: 16
; WaveLimiterHint : 0
; COMPUTE_PGM_RSRC2:SCRATCH_EN: 0
; COMPUTE_PGM_RSRC2:USER_SGPR: 15
; COMPUTE_PGM_RSRC2:TRAP_HANDLER: 0
; COMPUTE_PGM_RSRC2:TGID_X_EN: 1
; COMPUTE_PGM_RSRC2:TGID_Y_EN: 0
; COMPUTE_PGM_RSRC2:TGID_Z_EN: 0
; COMPUTE_PGM_RSRC2:TIDIG_COMP_CNT: 0
	.section	.text._ZN7rocprim17ROCPRIM_400000_NS6detail17trampoline_kernelINS0_14default_configENS1_37merge_sort_block_sort_config_selectorIlNS0_10empty_typeEEEZNS1_21merge_sort_block_sortIS3_PlS8_PS5_S9_ZN2at6native12_GLOBAL__N_124unique_dim_cuda_templateIsEESt5tupleIJNSA_6TensorESF_SF_EERKSF_lbbbEUlllE_EE10hipError_tT0_T1_T2_T3_mRjT4_P12ihipStream_tbNS1_7vsmem_tEEUlT_E_NS1_11comp_targetILNS1_3genE2ELNS1_11target_archE906ELNS1_3gpuE6ELNS1_3repE0EEENS1_30default_config_static_selectorELNS0_4arch9wavefront6targetE0EEEvSM_,"axG",@progbits,_ZN7rocprim17ROCPRIM_400000_NS6detail17trampoline_kernelINS0_14default_configENS1_37merge_sort_block_sort_config_selectorIlNS0_10empty_typeEEEZNS1_21merge_sort_block_sortIS3_PlS8_PS5_S9_ZN2at6native12_GLOBAL__N_124unique_dim_cuda_templateIsEESt5tupleIJNSA_6TensorESF_SF_EERKSF_lbbbEUlllE_EE10hipError_tT0_T1_T2_T3_mRjT4_P12ihipStream_tbNS1_7vsmem_tEEUlT_E_NS1_11comp_targetILNS1_3genE2ELNS1_11target_archE906ELNS1_3gpuE6ELNS1_3repE0EEENS1_30default_config_static_selectorELNS0_4arch9wavefront6targetE0EEEvSM_,comdat
	.globl	_ZN7rocprim17ROCPRIM_400000_NS6detail17trampoline_kernelINS0_14default_configENS1_37merge_sort_block_sort_config_selectorIlNS0_10empty_typeEEEZNS1_21merge_sort_block_sortIS3_PlS8_PS5_S9_ZN2at6native12_GLOBAL__N_124unique_dim_cuda_templateIsEESt5tupleIJNSA_6TensorESF_SF_EERKSF_lbbbEUlllE_EE10hipError_tT0_T1_T2_T3_mRjT4_P12ihipStream_tbNS1_7vsmem_tEEUlT_E_NS1_11comp_targetILNS1_3genE2ELNS1_11target_archE906ELNS1_3gpuE6ELNS1_3repE0EEENS1_30default_config_static_selectorELNS0_4arch9wavefront6targetE0EEEvSM_ ; -- Begin function _ZN7rocprim17ROCPRIM_400000_NS6detail17trampoline_kernelINS0_14default_configENS1_37merge_sort_block_sort_config_selectorIlNS0_10empty_typeEEEZNS1_21merge_sort_block_sortIS3_PlS8_PS5_S9_ZN2at6native12_GLOBAL__N_124unique_dim_cuda_templateIsEESt5tupleIJNSA_6TensorESF_SF_EERKSF_lbbbEUlllE_EE10hipError_tT0_T1_T2_T3_mRjT4_P12ihipStream_tbNS1_7vsmem_tEEUlT_E_NS1_11comp_targetILNS1_3genE2ELNS1_11target_archE906ELNS1_3gpuE6ELNS1_3repE0EEENS1_30default_config_static_selectorELNS0_4arch9wavefront6targetE0EEEvSM_
	.p2align	8
	.type	_ZN7rocprim17ROCPRIM_400000_NS6detail17trampoline_kernelINS0_14default_configENS1_37merge_sort_block_sort_config_selectorIlNS0_10empty_typeEEEZNS1_21merge_sort_block_sortIS3_PlS8_PS5_S9_ZN2at6native12_GLOBAL__N_124unique_dim_cuda_templateIsEESt5tupleIJNSA_6TensorESF_SF_EERKSF_lbbbEUlllE_EE10hipError_tT0_T1_T2_T3_mRjT4_P12ihipStream_tbNS1_7vsmem_tEEUlT_E_NS1_11comp_targetILNS1_3genE2ELNS1_11target_archE906ELNS1_3gpuE6ELNS1_3repE0EEENS1_30default_config_static_selectorELNS0_4arch9wavefront6targetE0EEEvSM_,@function
_ZN7rocprim17ROCPRIM_400000_NS6detail17trampoline_kernelINS0_14default_configENS1_37merge_sort_block_sort_config_selectorIlNS0_10empty_typeEEEZNS1_21merge_sort_block_sortIS3_PlS8_PS5_S9_ZN2at6native12_GLOBAL__N_124unique_dim_cuda_templateIsEESt5tupleIJNSA_6TensorESF_SF_EERKSF_lbbbEUlllE_EE10hipError_tT0_T1_T2_T3_mRjT4_P12ihipStream_tbNS1_7vsmem_tEEUlT_E_NS1_11comp_targetILNS1_3genE2ELNS1_11target_archE906ELNS1_3gpuE6ELNS1_3repE0EEENS1_30default_config_static_selectorELNS0_4arch9wavefront6targetE0EEEvSM_: ; @_ZN7rocprim17ROCPRIM_400000_NS6detail17trampoline_kernelINS0_14default_configENS1_37merge_sort_block_sort_config_selectorIlNS0_10empty_typeEEEZNS1_21merge_sort_block_sortIS3_PlS8_PS5_S9_ZN2at6native12_GLOBAL__N_124unique_dim_cuda_templateIsEESt5tupleIJNSA_6TensorESF_SF_EERKSF_lbbbEUlllE_EE10hipError_tT0_T1_T2_T3_mRjT4_P12ihipStream_tbNS1_7vsmem_tEEUlT_E_NS1_11comp_targetILNS1_3genE2ELNS1_11target_archE906ELNS1_3gpuE6ELNS1_3repE0EEENS1_30default_config_static_selectorELNS0_4arch9wavefront6targetE0EEEvSM_
; %bb.0:
	.section	.rodata,"a",@progbits
	.p2align	6, 0x0
	.amdhsa_kernel _ZN7rocprim17ROCPRIM_400000_NS6detail17trampoline_kernelINS0_14default_configENS1_37merge_sort_block_sort_config_selectorIlNS0_10empty_typeEEEZNS1_21merge_sort_block_sortIS3_PlS8_PS5_S9_ZN2at6native12_GLOBAL__N_124unique_dim_cuda_templateIsEESt5tupleIJNSA_6TensorESF_SF_EERKSF_lbbbEUlllE_EE10hipError_tT0_T1_T2_T3_mRjT4_P12ihipStream_tbNS1_7vsmem_tEEUlT_E_NS1_11comp_targetILNS1_3genE2ELNS1_11target_archE906ELNS1_3gpuE6ELNS1_3repE0EEENS1_30default_config_static_selectorELNS0_4arch9wavefront6targetE0EEEvSM_
		.amdhsa_group_segment_fixed_size 0
		.amdhsa_private_segment_fixed_size 0
		.amdhsa_kernarg_size 72
		.amdhsa_user_sgpr_count 15
		.amdhsa_user_sgpr_dispatch_ptr 0
		.amdhsa_user_sgpr_queue_ptr 0
		.amdhsa_user_sgpr_kernarg_segment_ptr 1
		.amdhsa_user_sgpr_dispatch_id 0
		.amdhsa_user_sgpr_private_segment_size 0
		.amdhsa_wavefront_size32 1
		.amdhsa_uses_dynamic_stack 0
		.amdhsa_enable_private_segment 0
		.amdhsa_system_sgpr_workgroup_id_x 1
		.amdhsa_system_sgpr_workgroup_id_y 0
		.amdhsa_system_sgpr_workgroup_id_z 0
		.amdhsa_system_sgpr_workgroup_info 0
		.amdhsa_system_vgpr_workitem_id 0
		.amdhsa_next_free_vgpr 1
		.amdhsa_next_free_sgpr 1
		.amdhsa_reserve_vcc 0
		.amdhsa_float_round_mode_32 0
		.amdhsa_float_round_mode_16_64 0
		.amdhsa_float_denorm_mode_32 3
		.amdhsa_float_denorm_mode_16_64 3
		.amdhsa_dx10_clamp 1
		.amdhsa_ieee_mode 1
		.amdhsa_fp16_overflow 0
		.amdhsa_workgroup_processor_mode 1
		.amdhsa_memory_ordered 1
		.amdhsa_forward_progress 0
		.amdhsa_shared_vgpr_count 0
		.amdhsa_exception_fp_ieee_invalid_op 0
		.amdhsa_exception_fp_denorm_src 0
		.amdhsa_exception_fp_ieee_div_zero 0
		.amdhsa_exception_fp_ieee_overflow 0
		.amdhsa_exception_fp_ieee_underflow 0
		.amdhsa_exception_fp_ieee_inexact 0
		.amdhsa_exception_int_div_zero 0
	.end_amdhsa_kernel
	.section	.text._ZN7rocprim17ROCPRIM_400000_NS6detail17trampoline_kernelINS0_14default_configENS1_37merge_sort_block_sort_config_selectorIlNS0_10empty_typeEEEZNS1_21merge_sort_block_sortIS3_PlS8_PS5_S9_ZN2at6native12_GLOBAL__N_124unique_dim_cuda_templateIsEESt5tupleIJNSA_6TensorESF_SF_EERKSF_lbbbEUlllE_EE10hipError_tT0_T1_T2_T3_mRjT4_P12ihipStream_tbNS1_7vsmem_tEEUlT_E_NS1_11comp_targetILNS1_3genE2ELNS1_11target_archE906ELNS1_3gpuE6ELNS1_3repE0EEENS1_30default_config_static_selectorELNS0_4arch9wavefront6targetE0EEEvSM_,"axG",@progbits,_ZN7rocprim17ROCPRIM_400000_NS6detail17trampoline_kernelINS0_14default_configENS1_37merge_sort_block_sort_config_selectorIlNS0_10empty_typeEEEZNS1_21merge_sort_block_sortIS3_PlS8_PS5_S9_ZN2at6native12_GLOBAL__N_124unique_dim_cuda_templateIsEESt5tupleIJNSA_6TensorESF_SF_EERKSF_lbbbEUlllE_EE10hipError_tT0_T1_T2_T3_mRjT4_P12ihipStream_tbNS1_7vsmem_tEEUlT_E_NS1_11comp_targetILNS1_3genE2ELNS1_11target_archE906ELNS1_3gpuE6ELNS1_3repE0EEENS1_30default_config_static_selectorELNS0_4arch9wavefront6targetE0EEEvSM_,comdat
.Lfunc_end631:
	.size	_ZN7rocprim17ROCPRIM_400000_NS6detail17trampoline_kernelINS0_14default_configENS1_37merge_sort_block_sort_config_selectorIlNS0_10empty_typeEEEZNS1_21merge_sort_block_sortIS3_PlS8_PS5_S9_ZN2at6native12_GLOBAL__N_124unique_dim_cuda_templateIsEESt5tupleIJNSA_6TensorESF_SF_EERKSF_lbbbEUlllE_EE10hipError_tT0_T1_T2_T3_mRjT4_P12ihipStream_tbNS1_7vsmem_tEEUlT_E_NS1_11comp_targetILNS1_3genE2ELNS1_11target_archE906ELNS1_3gpuE6ELNS1_3repE0EEENS1_30default_config_static_selectorELNS0_4arch9wavefront6targetE0EEEvSM_, .Lfunc_end631-_ZN7rocprim17ROCPRIM_400000_NS6detail17trampoline_kernelINS0_14default_configENS1_37merge_sort_block_sort_config_selectorIlNS0_10empty_typeEEEZNS1_21merge_sort_block_sortIS3_PlS8_PS5_S9_ZN2at6native12_GLOBAL__N_124unique_dim_cuda_templateIsEESt5tupleIJNSA_6TensorESF_SF_EERKSF_lbbbEUlllE_EE10hipError_tT0_T1_T2_T3_mRjT4_P12ihipStream_tbNS1_7vsmem_tEEUlT_E_NS1_11comp_targetILNS1_3genE2ELNS1_11target_archE906ELNS1_3gpuE6ELNS1_3repE0EEENS1_30default_config_static_selectorELNS0_4arch9wavefront6targetE0EEEvSM_
                                        ; -- End function
	.section	.AMDGPU.csdata,"",@progbits
; Kernel info:
; codeLenInByte = 0
; NumSgprs: 0
; NumVgprs: 0
; ScratchSize: 0
; MemoryBound: 0
; FloatMode: 240
; IeeeMode: 1
; LDSByteSize: 0 bytes/workgroup (compile time only)
; SGPRBlocks: 0
; VGPRBlocks: 0
; NumSGPRsForWavesPerEU: 1
; NumVGPRsForWavesPerEU: 1
; Occupancy: 16
; WaveLimiterHint : 0
; COMPUTE_PGM_RSRC2:SCRATCH_EN: 0
; COMPUTE_PGM_RSRC2:USER_SGPR: 15
; COMPUTE_PGM_RSRC2:TRAP_HANDLER: 0
; COMPUTE_PGM_RSRC2:TGID_X_EN: 1
; COMPUTE_PGM_RSRC2:TGID_Y_EN: 0
; COMPUTE_PGM_RSRC2:TGID_Z_EN: 0
; COMPUTE_PGM_RSRC2:TIDIG_COMP_CNT: 0
	.section	.text._ZN7rocprim17ROCPRIM_400000_NS6detail17trampoline_kernelINS0_14default_configENS1_37merge_sort_block_sort_config_selectorIlNS0_10empty_typeEEEZNS1_21merge_sort_block_sortIS3_PlS8_PS5_S9_ZN2at6native12_GLOBAL__N_124unique_dim_cuda_templateIsEESt5tupleIJNSA_6TensorESF_SF_EERKSF_lbbbEUlllE_EE10hipError_tT0_T1_T2_T3_mRjT4_P12ihipStream_tbNS1_7vsmem_tEEUlT_E_NS1_11comp_targetILNS1_3genE10ELNS1_11target_archE1201ELNS1_3gpuE5ELNS1_3repE0EEENS1_30default_config_static_selectorELNS0_4arch9wavefront6targetE0EEEvSM_,"axG",@progbits,_ZN7rocprim17ROCPRIM_400000_NS6detail17trampoline_kernelINS0_14default_configENS1_37merge_sort_block_sort_config_selectorIlNS0_10empty_typeEEEZNS1_21merge_sort_block_sortIS3_PlS8_PS5_S9_ZN2at6native12_GLOBAL__N_124unique_dim_cuda_templateIsEESt5tupleIJNSA_6TensorESF_SF_EERKSF_lbbbEUlllE_EE10hipError_tT0_T1_T2_T3_mRjT4_P12ihipStream_tbNS1_7vsmem_tEEUlT_E_NS1_11comp_targetILNS1_3genE10ELNS1_11target_archE1201ELNS1_3gpuE5ELNS1_3repE0EEENS1_30default_config_static_selectorELNS0_4arch9wavefront6targetE0EEEvSM_,comdat
	.globl	_ZN7rocprim17ROCPRIM_400000_NS6detail17trampoline_kernelINS0_14default_configENS1_37merge_sort_block_sort_config_selectorIlNS0_10empty_typeEEEZNS1_21merge_sort_block_sortIS3_PlS8_PS5_S9_ZN2at6native12_GLOBAL__N_124unique_dim_cuda_templateIsEESt5tupleIJNSA_6TensorESF_SF_EERKSF_lbbbEUlllE_EE10hipError_tT0_T1_T2_T3_mRjT4_P12ihipStream_tbNS1_7vsmem_tEEUlT_E_NS1_11comp_targetILNS1_3genE10ELNS1_11target_archE1201ELNS1_3gpuE5ELNS1_3repE0EEENS1_30default_config_static_selectorELNS0_4arch9wavefront6targetE0EEEvSM_ ; -- Begin function _ZN7rocprim17ROCPRIM_400000_NS6detail17trampoline_kernelINS0_14default_configENS1_37merge_sort_block_sort_config_selectorIlNS0_10empty_typeEEEZNS1_21merge_sort_block_sortIS3_PlS8_PS5_S9_ZN2at6native12_GLOBAL__N_124unique_dim_cuda_templateIsEESt5tupleIJNSA_6TensorESF_SF_EERKSF_lbbbEUlllE_EE10hipError_tT0_T1_T2_T3_mRjT4_P12ihipStream_tbNS1_7vsmem_tEEUlT_E_NS1_11comp_targetILNS1_3genE10ELNS1_11target_archE1201ELNS1_3gpuE5ELNS1_3repE0EEENS1_30default_config_static_selectorELNS0_4arch9wavefront6targetE0EEEvSM_
	.p2align	8
	.type	_ZN7rocprim17ROCPRIM_400000_NS6detail17trampoline_kernelINS0_14default_configENS1_37merge_sort_block_sort_config_selectorIlNS0_10empty_typeEEEZNS1_21merge_sort_block_sortIS3_PlS8_PS5_S9_ZN2at6native12_GLOBAL__N_124unique_dim_cuda_templateIsEESt5tupleIJNSA_6TensorESF_SF_EERKSF_lbbbEUlllE_EE10hipError_tT0_T1_T2_T3_mRjT4_P12ihipStream_tbNS1_7vsmem_tEEUlT_E_NS1_11comp_targetILNS1_3genE10ELNS1_11target_archE1201ELNS1_3gpuE5ELNS1_3repE0EEENS1_30default_config_static_selectorELNS0_4arch9wavefront6targetE0EEEvSM_,@function
_ZN7rocprim17ROCPRIM_400000_NS6detail17trampoline_kernelINS0_14default_configENS1_37merge_sort_block_sort_config_selectorIlNS0_10empty_typeEEEZNS1_21merge_sort_block_sortIS3_PlS8_PS5_S9_ZN2at6native12_GLOBAL__N_124unique_dim_cuda_templateIsEESt5tupleIJNSA_6TensorESF_SF_EERKSF_lbbbEUlllE_EE10hipError_tT0_T1_T2_T3_mRjT4_P12ihipStream_tbNS1_7vsmem_tEEUlT_E_NS1_11comp_targetILNS1_3genE10ELNS1_11target_archE1201ELNS1_3gpuE5ELNS1_3repE0EEENS1_30default_config_static_selectorELNS0_4arch9wavefront6targetE0EEEvSM_: ; @_ZN7rocprim17ROCPRIM_400000_NS6detail17trampoline_kernelINS0_14default_configENS1_37merge_sort_block_sort_config_selectorIlNS0_10empty_typeEEEZNS1_21merge_sort_block_sortIS3_PlS8_PS5_S9_ZN2at6native12_GLOBAL__N_124unique_dim_cuda_templateIsEESt5tupleIJNSA_6TensorESF_SF_EERKSF_lbbbEUlllE_EE10hipError_tT0_T1_T2_T3_mRjT4_P12ihipStream_tbNS1_7vsmem_tEEUlT_E_NS1_11comp_targetILNS1_3genE10ELNS1_11target_archE1201ELNS1_3gpuE5ELNS1_3repE0EEENS1_30default_config_static_selectorELNS0_4arch9wavefront6targetE0EEEvSM_
; %bb.0:
	.section	.rodata,"a",@progbits
	.p2align	6, 0x0
	.amdhsa_kernel _ZN7rocprim17ROCPRIM_400000_NS6detail17trampoline_kernelINS0_14default_configENS1_37merge_sort_block_sort_config_selectorIlNS0_10empty_typeEEEZNS1_21merge_sort_block_sortIS3_PlS8_PS5_S9_ZN2at6native12_GLOBAL__N_124unique_dim_cuda_templateIsEESt5tupleIJNSA_6TensorESF_SF_EERKSF_lbbbEUlllE_EE10hipError_tT0_T1_T2_T3_mRjT4_P12ihipStream_tbNS1_7vsmem_tEEUlT_E_NS1_11comp_targetILNS1_3genE10ELNS1_11target_archE1201ELNS1_3gpuE5ELNS1_3repE0EEENS1_30default_config_static_selectorELNS0_4arch9wavefront6targetE0EEEvSM_
		.amdhsa_group_segment_fixed_size 0
		.amdhsa_private_segment_fixed_size 0
		.amdhsa_kernarg_size 72
		.amdhsa_user_sgpr_count 15
		.amdhsa_user_sgpr_dispatch_ptr 0
		.amdhsa_user_sgpr_queue_ptr 0
		.amdhsa_user_sgpr_kernarg_segment_ptr 1
		.amdhsa_user_sgpr_dispatch_id 0
		.amdhsa_user_sgpr_private_segment_size 0
		.amdhsa_wavefront_size32 1
		.amdhsa_uses_dynamic_stack 0
		.amdhsa_enable_private_segment 0
		.amdhsa_system_sgpr_workgroup_id_x 1
		.amdhsa_system_sgpr_workgroup_id_y 0
		.amdhsa_system_sgpr_workgroup_id_z 0
		.amdhsa_system_sgpr_workgroup_info 0
		.amdhsa_system_vgpr_workitem_id 0
		.amdhsa_next_free_vgpr 1
		.amdhsa_next_free_sgpr 1
		.amdhsa_reserve_vcc 0
		.amdhsa_float_round_mode_32 0
		.amdhsa_float_round_mode_16_64 0
		.amdhsa_float_denorm_mode_32 3
		.amdhsa_float_denorm_mode_16_64 3
		.amdhsa_dx10_clamp 1
		.amdhsa_ieee_mode 1
		.amdhsa_fp16_overflow 0
		.amdhsa_workgroup_processor_mode 1
		.amdhsa_memory_ordered 1
		.amdhsa_forward_progress 0
		.amdhsa_shared_vgpr_count 0
		.amdhsa_exception_fp_ieee_invalid_op 0
		.amdhsa_exception_fp_denorm_src 0
		.amdhsa_exception_fp_ieee_div_zero 0
		.amdhsa_exception_fp_ieee_overflow 0
		.amdhsa_exception_fp_ieee_underflow 0
		.amdhsa_exception_fp_ieee_inexact 0
		.amdhsa_exception_int_div_zero 0
	.end_amdhsa_kernel
	.section	.text._ZN7rocprim17ROCPRIM_400000_NS6detail17trampoline_kernelINS0_14default_configENS1_37merge_sort_block_sort_config_selectorIlNS0_10empty_typeEEEZNS1_21merge_sort_block_sortIS3_PlS8_PS5_S9_ZN2at6native12_GLOBAL__N_124unique_dim_cuda_templateIsEESt5tupleIJNSA_6TensorESF_SF_EERKSF_lbbbEUlllE_EE10hipError_tT0_T1_T2_T3_mRjT4_P12ihipStream_tbNS1_7vsmem_tEEUlT_E_NS1_11comp_targetILNS1_3genE10ELNS1_11target_archE1201ELNS1_3gpuE5ELNS1_3repE0EEENS1_30default_config_static_selectorELNS0_4arch9wavefront6targetE0EEEvSM_,"axG",@progbits,_ZN7rocprim17ROCPRIM_400000_NS6detail17trampoline_kernelINS0_14default_configENS1_37merge_sort_block_sort_config_selectorIlNS0_10empty_typeEEEZNS1_21merge_sort_block_sortIS3_PlS8_PS5_S9_ZN2at6native12_GLOBAL__N_124unique_dim_cuda_templateIsEESt5tupleIJNSA_6TensorESF_SF_EERKSF_lbbbEUlllE_EE10hipError_tT0_T1_T2_T3_mRjT4_P12ihipStream_tbNS1_7vsmem_tEEUlT_E_NS1_11comp_targetILNS1_3genE10ELNS1_11target_archE1201ELNS1_3gpuE5ELNS1_3repE0EEENS1_30default_config_static_selectorELNS0_4arch9wavefront6targetE0EEEvSM_,comdat
.Lfunc_end632:
	.size	_ZN7rocprim17ROCPRIM_400000_NS6detail17trampoline_kernelINS0_14default_configENS1_37merge_sort_block_sort_config_selectorIlNS0_10empty_typeEEEZNS1_21merge_sort_block_sortIS3_PlS8_PS5_S9_ZN2at6native12_GLOBAL__N_124unique_dim_cuda_templateIsEESt5tupleIJNSA_6TensorESF_SF_EERKSF_lbbbEUlllE_EE10hipError_tT0_T1_T2_T3_mRjT4_P12ihipStream_tbNS1_7vsmem_tEEUlT_E_NS1_11comp_targetILNS1_3genE10ELNS1_11target_archE1201ELNS1_3gpuE5ELNS1_3repE0EEENS1_30default_config_static_selectorELNS0_4arch9wavefront6targetE0EEEvSM_, .Lfunc_end632-_ZN7rocprim17ROCPRIM_400000_NS6detail17trampoline_kernelINS0_14default_configENS1_37merge_sort_block_sort_config_selectorIlNS0_10empty_typeEEEZNS1_21merge_sort_block_sortIS3_PlS8_PS5_S9_ZN2at6native12_GLOBAL__N_124unique_dim_cuda_templateIsEESt5tupleIJNSA_6TensorESF_SF_EERKSF_lbbbEUlllE_EE10hipError_tT0_T1_T2_T3_mRjT4_P12ihipStream_tbNS1_7vsmem_tEEUlT_E_NS1_11comp_targetILNS1_3genE10ELNS1_11target_archE1201ELNS1_3gpuE5ELNS1_3repE0EEENS1_30default_config_static_selectorELNS0_4arch9wavefront6targetE0EEEvSM_
                                        ; -- End function
	.section	.AMDGPU.csdata,"",@progbits
; Kernel info:
; codeLenInByte = 0
; NumSgprs: 0
; NumVgprs: 0
; ScratchSize: 0
; MemoryBound: 0
; FloatMode: 240
; IeeeMode: 1
; LDSByteSize: 0 bytes/workgroup (compile time only)
; SGPRBlocks: 0
; VGPRBlocks: 0
; NumSGPRsForWavesPerEU: 1
; NumVGPRsForWavesPerEU: 1
; Occupancy: 16
; WaveLimiterHint : 0
; COMPUTE_PGM_RSRC2:SCRATCH_EN: 0
; COMPUTE_PGM_RSRC2:USER_SGPR: 15
; COMPUTE_PGM_RSRC2:TRAP_HANDLER: 0
; COMPUTE_PGM_RSRC2:TGID_X_EN: 1
; COMPUTE_PGM_RSRC2:TGID_Y_EN: 0
; COMPUTE_PGM_RSRC2:TGID_Z_EN: 0
; COMPUTE_PGM_RSRC2:TIDIG_COMP_CNT: 0
	.section	.text._ZN7rocprim17ROCPRIM_400000_NS6detail17trampoline_kernelINS0_14default_configENS1_37merge_sort_block_sort_config_selectorIlNS0_10empty_typeEEEZNS1_21merge_sort_block_sortIS3_PlS8_PS5_S9_ZN2at6native12_GLOBAL__N_124unique_dim_cuda_templateIsEESt5tupleIJNSA_6TensorESF_SF_EERKSF_lbbbEUlllE_EE10hipError_tT0_T1_T2_T3_mRjT4_P12ihipStream_tbNS1_7vsmem_tEEUlT_E_NS1_11comp_targetILNS1_3genE10ELNS1_11target_archE1200ELNS1_3gpuE4ELNS1_3repE0EEENS1_30default_config_static_selectorELNS0_4arch9wavefront6targetE0EEEvSM_,"axG",@progbits,_ZN7rocprim17ROCPRIM_400000_NS6detail17trampoline_kernelINS0_14default_configENS1_37merge_sort_block_sort_config_selectorIlNS0_10empty_typeEEEZNS1_21merge_sort_block_sortIS3_PlS8_PS5_S9_ZN2at6native12_GLOBAL__N_124unique_dim_cuda_templateIsEESt5tupleIJNSA_6TensorESF_SF_EERKSF_lbbbEUlllE_EE10hipError_tT0_T1_T2_T3_mRjT4_P12ihipStream_tbNS1_7vsmem_tEEUlT_E_NS1_11comp_targetILNS1_3genE10ELNS1_11target_archE1200ELNS1_3gpuE4ELNS1_3repE0EEENS1_30default_config_static_selectorELNS0_4arch9wavefront6targetE0EEEvSM_,comdat
	.globl	_ZN7rocprim17ROCPRIM_400000_NS6detail17trampoline_kernelINS0_14default_configENS1_37merge_sort_block_sort_config_selectorIlNS0_10empty_typeEEEZNS1_21merge_sort_block_sortIS3_PlS8_PS5_S9_ZN2at6native12_GLOBAL__N_124unique_dim_cuda_templateIsEESt5tupleIJNSA_6TensorESF_SF_EERKSF_lbbbEUlllE_EE10hipError_tT0_T1_T2_T3_mRjT4_P12ihipStream_tbNS1_7vsmem_tEEUlT_E_NS1_11comp_targetILNS1_3genE10ELNS1_11target_archE1200ELNS1_3gpuE4ELNS1_3repE0EEENS1_30default_config_static_selectorELNS0_4arch9wavefront6targetE0EEEvSM_ ; -- Begin function _ZN7rocprim17ROCPRIM_400000_NS6detail17trampoline_kernelINS0_14default_configENS1_37merge_sort_block_sort_config_selectorIlNS0_10empty_typeEEEZNS1_21merge_sort_block_sortIS3_PlS8_PS5_S9_ZN2at6native12_GLOBAL__N_124unique_dim_cuda_templateIsEESt5tupleIJNSA_6TensorESF_SF_EERKSF_lbbbEUlllE_EE10hipError_tT0_T1_T2_T3_mRjT4_P12ihipStream_tbNS1_7vsmem_tEEUlT_E_NS1_11comp_targetILNS1_3genE10ELNS1_11target_archE1200ELNS1_3gpuE4ELNS1_3repE0EEENS1_30default_config_static_selectorELNS0_4arch9wavefront6targetE0EEEvSM_
	.p2align	8
	.type	_ZN7rocprim17ROCPRIM_400000_NS6detail17trampoline_kernelINS0_14default_configENS1_37merge_sort_block_sort_config_selectorIlNS0_10empty_typeEEEZNS1_21merge_sort_block_sortIS3_PlS8_PS5_S9_ZN2at6native12_GLOBAL__N_124unique_dim_cuda_templateIsEESt5tupleIJNSA_6TensorESF_SF_EERKSF_lbbbEUlllE_EE10hipError_tT0_T1_T2_T3_mRjT4_P12ihipStream_tbNS1_7vsmem_tEEUlT_E_NS1_11comp_targetILNS1_3genE10ELNS1_11target_archE1200ELNS1_3gpuE4ELNS1_3repE0EEENS1_30default_config_static_selectorELNS0_4arch9wavefront6targetE0EEEvSM_,@function
_ZN7rocprim17ROCPRIM_400000_NS6detail17trampoline_kernelINS0_14default_configENS1_37merge_sort_block_sort_config_selectorIlNS0_10empty_typeEEEZNS1_21merge_sort_block_sortIS3_PlS8_PS5_S9_ZN2at6native12_GLOBAL__N_124unique_dim_cuda_templateIsEESt5tupleIJNSA_6TensorESF_SF_EERKSF_lbbbEUlllE_EE10hipError_tT0_T1_T2_T3_mRjT4_P12ihipStream_tbNS1_7vsmem_tEEUlT_E_NS1_11comp_targetILNS1_3genE10ELNS1_11target_archE1200ELNS1_3gpuE4ELNS1_3repE0EEENS1_30default_config_static_selectorELNS0_4arch9wavefront6targetE0EEEvSM_: ; @_ZN7rocprim17ROCPRIM_400000_NS6detail17trampoline_kernelINS0_14default_configENS1_37merge_sort_block_sort_config_selectorIlNS0_10empty_typeEEEZNS1_21merge_sort_block_sortIS3_PlS8_PS5_S9_ZN2at6native12_GLOBAL__N_124unique_dim_cuda_templateIsEESt5tupleIJNSA_6TensorESF_SF_EERKSF_lbbbEUlllE_EE10hipError_tT0_T1_T2_T3_mRjT4_P12ihipStream_tbNS1_7vsmem_tEEUlT_E_NS1_11comp_targetILNS1_3genE10ELNS1_11target_archE1200ELNS1_3gpuE4ELNS1_3repE0EEENS1_30default_config_static_selectorELNS0_4arch9wavefront6targetE0EEEvSM_
; %bb.0:
	.section	.rodata,"a",@progbits
	.p2align	6, 0x0
	.amdhsa_kernel _ZN7rocprim17ROCPRIM_400000_NS6detail17trampoline_kernelINS0_14default_configENS1_37merge_sort_block_sort_config_selectorIlNS0_10empty_typeEEEZNS1_21merge_sort_block_sortIS3_PlS8_PS5_S9_ZN2at6native12_GLOBAL__N_124unique_dim_cuda_templateIsEESt5tupleIJNSA_6TensorESF_SF_EERKSF_lbbbEUlllE_EE10hipError_tT0_T1_T2_T3_mRjT4_P12ihipStream_tbNS1_7vsmem_tEEUlT_E_NS1_11comp_targetILNS1_3genE10ELNS1_11target_archE1200ELNS1_3gpuE4ELNS1_3repE0EEENS1_30default_config_static_selectorELNS0_4arch9wavefront6targetE0EEEvSM_
		.amdhsa_group_segment_fixed_size 0
		.amdhsa_private_segment_fixed_size 0
		.amdhsa_kernarg_size 72
		.amdhsa_user_sgpr_count 15
		.amdhsa_user_sgpr_dispatch_ptr 0
		.amdhsa_user_sgpr_queue_ptr 0
		.amdhsa_user_sgpr_kernarg_segment_ptr 1
		.amdhsa_user_sgpr_dispatch_id 0
		.amdhsa_user_sgpr_private_segment_size 0
		.amdhsa_wavefront_size32 1
		.amdhsa_uses_dynamic_stack 0
		.amdhsa_enable_private_segment 0
		.amdhsa_system_sgpr_workgroup_id_x 1
		.amdhsa_system_sgpr_workgroup_id_y 0
		.amdhsa_system_sgpr_workgroup_id_z 0
		.amdhsa_system_sgpr_workgroup_info 0
		.amdhsa_system_vgpr_workitem_id 0
		.amdhsa_next_free_vgpr 1
		.amdhsa_next_free_sgpr 1
		.amdhsa_reserve_vcc 0
		.amdhsa_float_round_mode_32 0
		.amdhsa_float_round_mode_16_64 0
		.amdhsa_float_denorm_mode_32 3
		.amdhsa_float_denorm_mode_16_64 3
		.amdhsa_dx10_clamp 1
		.amdhsa_ieee_mode 1
		.amdhsa_fp16_overflow 0
		.amdhsa_workgroup_processor_mode 1
		.amdhsa_memory_ordered 1
		.amdhsa_forward_progress 0
		.amdhsa_shared_vgpr_count 0
		.amdhsa_exception_fp_ieee_invalid_op 0
		.amdhsa_exception_fp_denorm_src 0
		.amdhsa_exception_fp_ieee_div_zero 0
		.amdhsa_exception_fp_ieee_overflow 0
		.amdhsa_exception_fp_ieee_underflow 0
		.amdhsa_exception_fp_ieee_inexact 0
		.amdhsa_exception_int_div_zero 0
	.end_amdhsa_kernel
	.section	.text._ZN7rocprim17ROCPRIM_400000_NS6detail17trampoline_kernelINS0_14default_configENS1_37merge_sort_block_sort_config_selectorIlNS0_10empty_typeEEEZNS1_21merge_sort_block_sortIS3_PlS8_PS5_S9_ZN2at6native12_GLOBAL__N_124unique_dim_cuda_templateIsEESt5tupleIJNSA_6TensorESF_SF_EERKSF_lbbbEUlllE_EE10hipError_tT0_T1_T2_T3_mRjT4_P12ihipStream_tbNS1_7vsmem_tEEUlT_E_NS1_11comp_targetILNS1_3genE10ELNS1_11target_archE1200ELNS1_3gpuE4ELNS1_3repE0EEENS1_30default_config_static_selectorELNS0_4arch9wavefront6targetE0EEEvSM_,"axG",@progbits,_ZN7rocprim17ROCPRIM_400000_NS6detail17trampoline_kernelINS0_14default_configENS1_37merge_sort_block_sort_config_selectorIlNS0_10empty_typeEEEZNS1_21merge_sort_block_sortIS3_PlS8_PS5_S9_ZN2at6native12_GLOBAL__N_124unique_dim_cuda_templateIsEESt5tupleIJNSA_6TensorESF_SF_EERKSF_lbbbEUlllE_EE10hipError_tT0_T1_T2_T3_mRjT4_P12ihipStream_tbNS1_7vsmem_tEEUlT_E_NS1_11comp_targetILNS1_3genE10ELNS1_11target_archE1200ELNS1_3gpuE4ELNS1_3repE0EEENS1_30default_config_static_selectorELNS0_4arch9wavefront6targetE0EEEvSM_,comdat
.Lfunc_end633:
	.size	_ZN7rocprim17ROCPRIM_400000_NS6detail17trampoline_kernelINS0_14default_configENS1_37merge_sort_block_sort_config_selectorIlNS0_10empty_typeEEEZNS1_21merge_sort_block_sortIS3_PlS8_PS5_S9_ZN2at6native12_GLOBAL__N_124unique_dim_cuda_templateIsEESt5tupleIJNSA_6TensorESF_SF_EERKSF_lbbbEUlllE_EE10hipError_tT0_T1_T2_T3_mRjT4_P12ihipStream_tbNS1_7vsmem_tEEUlT_E_NS1_11comp_targetILNS1_3genE10ELNS1_11target_archE1200ELNS1_3gpuE4ELNS1_3repE0EEENS1_30default_config_static_selectorELNS0_4arch9wavefront6targetE0EEEvSM_, .Lfunc_end633-_ZN7rocprim17ROCPRIM_400000_NS6detail17trampoline_kernelINS0_14default_configENS1_37merge_sort_block_sort_config_selectorIlNS0_10empty_typeEEEZNS1_21merge_sort_block_sortIS3_PlS8_PS5_S9_ZN2at6native12_GLOBAL__N_124unique_dim_cuda_templateIsEESt5tupleIJNSA_6TensorESF_SF_EERKSF_lbbbEUlllE_EE10hipError_tT0_T1_T2_T3_mRjT4_P12ihipStream_tbNS1_7vsmem_tEEUlT_E_NS1_11comp_targetILNS1_3genE10ELNS1_11target_archE1200ELNS1_3gpuE4ELNS1_3repE0EEENS1_30default_config_static_selectorELNS0_4arch9wavefront6targetE0EEEvSM_
                                        ; -- End function
	.section	.AMDGPU.csdata,"",@progbits
; Kernel info:
; codeLenInByte = 0
; NumSgprs: 0
; NumVgprs: 0
; ScratchSize: 0
; MemoryBound: 0
; FloatMode: 240
; IeeeMode: 1
; LDSByteSize: 0 bytes/workgroup (compile time only)
; SGPRBlocks: 0
; VGPRBlocks: 0
; NumSGPRsForWavesPerEU: 1
; NumVGPRsForWavesPerEU: 1
; Occupancy: 16
; WaveLimiterHint : 0
; COMPUTE_PGM_RSRC2:SCRATCH_EN: 0
; COMPUTE_PGM_RSRC2:USER_SGPR: 15
; COMPUTE_PGM_RSRC2:TRAP_HANDLER: 0
; COMPUTE_PGM_RSRC2:TGID_X_EN: 1
; COMPUTE_PGM_RSRC2:TGID_Y_EN: 0
; COMPUTE_PGM_RSRC2:TGID_Z_EN: 0
; COMPUTE_PGM_RSRC2:TIDIG_COMP_CNT: 0
	.section	.text._ZN7rocprim17ROCPRIM_400000_NS6detail17trampoline_kernelINS0_14default_configENS1_37merge_sort_block_sort_config_selectorIlNS0_10empty_typeEEEZNS1_21merge_sort_block_sortIS3_PlS8_PS5_S9_ZN2at6native12_GLOBAL__N_124unique_dim_cuda_templateIsEESt5tupleIJNSA_6TensorESF_SF_EERKSF_lbbbEUlllE_EE10hipError_tT0_T1_T2_T3_mRjT4_P12ihipStream_tbNS1_7vsmem_tEEUlT_E_NS1_11comp_targetILNS1_3genE9ELNS1_11target_archE1100ELNS1_3gpuE3ELNS1_3repE0EEENS1_30default_config_static_selectorELNS0_4arch9wavefront6targetE0EEEvSM_,"axG",@progbits,_ZN7rocprim17ROCPRIM_400000_NS6detail17trampoline_kernelINS0_14default_configENS1_37merge_sort_block_sort_config_selectorIlNS0_10empty_typeEEEZNS1_21merge_sort_block_sortIS3_PlS8_PS5_S9_ZN2at6native12_GLOBAL__N_124unique_dim_cuda_templateIsEESt5tupleIJNSA_6TensorESF_SF_EERKSF_lbbbEUlllE_EE10hipError_tT0_T1_T2_T3_mRjT4_P12ihipStream_tbNS1_7vsmem_tEEUlT_E_NS1_11comp_targetILNS1_3genE9ELNS1_11target_archE1100ELNS1_3gpuE3ELNS1_3repE0EEENS1_30default_config_static_selectorELNS0_4arch9wavefront6targetE0EEEvSM_,comdat
	.globl	_ZN7rocprim17ROCPRIM_400000_NS6detail17trampoline_kernelINS0_14default_configENS1_37merge_sort_block_sort_config_selectorIlNS0_10empty_typeEEEZNS1_21merge_sort_block_sortIS3_PlS8_PS5_S9_ZN2at6native12_GLOBAL__N_124unique_dim_cuda_templateIsEESt5tupleIJNSA_6TensorESF_SF_EERKSF_lbbbEUlllE_EE10hipError_tT0_T1_T2_T3_mRjT4_P12ihipStream_tbNS1_7vsmem_tEEUlT_E_NS1_11comp_targetILNS1_3genE9ELNS1_11target_archE1100ELNS1_3gpuE3ELNS1_3repE0EEENS1_30default_config_static_selectorELNS0_4arch9wavefront6targetE0EEEvSM_ ; -- Begin function _ZN7rocprim17ROCPRIM_400000_NS6detail17trampoline_kernelINS0_14default_configENS1_37merge_sort_block_sort_config_selectorIlNS0_10empty_typeEEEZNS1_21merge_sort_block_sortIS3_PlS8_PS5_S9_ZN2at6native12_GLOBAL__N_124unique_dim_cuda_templateIsEESt5tupleIJNSA_6TensorESF_SF_EERKSF_lbbbEUlllE_EE10hipError_tT0_T1_T2_T3_mRjT4_P12ihipStream_tbNS1_7vsmem_tEEUlT_E_NS1_11comp_targetILNS1_3genE9ELNS1_11target_archE1100ELNS1_3gpuE3ELNS1_3repE0EEENS1_30default_config_static_selectorELNS0_4arch9wavefront6targetE0EEEvSM_
	.p2align	8
	.type	_ZN7rocprim17ROCPRIM_400000_NS6detail17trampoline_kernelINS0_14default_configENS1_37merge_sort_block_sort_config_selectorIlNS0_10empty_typeEEEZNS1_21merge_sort_block_sortIS3_PlS8_PS5_S9_ZN2at6native12_GLOBAL__N_124unique_dim_cuda_templateIsEESt5tupleIJNSA_6TensorESF_SF_EERKSF_lbbbEUlllE_EE10hipError_tT0_T1_T2_T3_mRjT4_P12ihipStream_tbNS1_7vsmem_tEEUlT_E_NS1_11comp_targetILNS1_3genE9ELNS1_11target_archE1100ELNS1_3gpuE3ELNS1_3repE0EEENS1_30default_config_static_selectorELNS0_4arch9wavefront6targetE0EEEvSM_,@function
_ZN7rocprim17ROCPRIM_400000_NS6detail17trampoline_kernelINS0_14default_configENS1_37merge_sort_block_sort_config_selectorIlNS0_10empty_typeEEEZNS1_21merge_sort_block_sortIS3_PlS8_PS5_S9_ZN2at6native12_GLOBAL__N_124unique_dim_cuda_templateIsEESt5tupleIJNSA_6TensorESF_SF_EERKSF_lbbbEUlllE_EE10hipError_tT0_T1_T2_T3_mRjT4_P12ihipStream_tbNS1_7vsmem_tEEUlT_E_NS1_11comp_targetILNS1_3genE9ELNS1_11target_archE1100ELNS1_3gpuE3ELNS1_3repE0EEENS1_30default_config_static_selectorELNS0_4arch9wavefront6targetE0EEEvSM_: ; @_ZN7rocprim17ROCPRIM_400000_NS6detail17trampoline_kernelINS0_14default_configENS1_37merge_sort_block_sort_config_selectorIlNS0_10empty_typeEEEZNS1_21merge_sort_block_sortIS3_PlS8_PS5_S9_ZN2at6native12_GLOBAL__N_124unique_dim_cuda_templateIsEESt5tupleIJNSA_6TensorESF_SF_EERKSF_lbbbEUlllE_EE10hipError_tT0_T1_T2_T3_mRjT4_P12ihipStream_tbNS1_7vsmem_tEEUlT_E_NS1_11comp_targetILNS1_3genE9ELNS1_11target_archE1100ELNS1_3gpuE3ELNS1_3repE0EEENS1_30default_config_static_selectorELNS0_4arch9wavefront6targetE0EEEvSM_
; %bb.0:
	s_clause 0x1
	s_load_b64 s[6:7], s[0:1], 0x48
	s_load_b32 s3, s[0:1], 0x0
	s_add_u32 s4, s0, 0x48
	s_addc_u32 s5, s1, 0
	s_waitcnt lgkmcnt(0)
	s_mul_i32 s2, s7, s15
	s_delay_alu instid0(SALU_CYCLE_1) | instskip(NEXT) | instid1(SALU_CYCLE_1)
	s_add_i32 s2, s2, s14
	s_mul_i32 s2, s2, s6
	s_delay_alu instid0(SALU_CYCLE_1) | instskip(NEXT) | instid1(SALU_CYCLE_1)
	s_add_i32 s2, s2, s13
	s_cmp_ge_u32 s2, s3
	s_cbranch_scc1 .LBB634_878
; %bb.1:
	s_clause 0x2
	s_load_b64 s[18:19], s[0:1], 0x8
	s_load_b128 s[8:11], s[0:1], 0x38
	s_load_b128 s[20:23], s[0:1], 0x18
	v_and_b32_e32 v12, 0x3ff, v0
	s_mov_b32 s3, 0
	v_bfe_u32 v28, v0, 10, 10
	s_lshl_b64 s[0:1], s[2:3], 13
	v_bfe_u32 v29, v0, 20, 10
	v_lshlrev_b32_e32 v26, 3, v12
	v_lshrrev_b32_e32 v31, 2, v12
	v_add_nc_u32_e32 v34, 0x100, v12
	v_add_nc_u32_e32 v33, 0x200, v12
	;; [unrolled: 1-line block ×3, first 2 shown]
	v_lshlrev_b32_e32 v27, 2, v12
	v_lshrrev_b32_e32 v30, 3, v12
	s_waitcnt lgkmcnt(0)
	s_lshr_b64 s[24:25], s[18:19], 10
	v_cmp_gt_i64_e64 s7, s[8:9], 0
	s_add_u32 s16, s20, s0
	s_addc_u32 s17, s21, s1
	s_add_u32 s14, s22, s0
	s_addc_u32 s15, s23, s1
	s_cmp_lg_u64 s[24:25], s[2:3]
	s_cbranch_scc0 .LBB634_8
; %bb.2:
	v_add_co_u32 v0, s0, s16, v26
	s_delay_alu instid0(VALU_DEP_1) | instskip(SKIP_1) | instid1(VALU_DEP_3)
	v_add_co_ci_u32_e64 v1, null, s17, 0, s0
	v_lshrrev_b32_e32 v8, 2, v34
	v_add_co_u32 v0, vcc_lo, 0x1000, v0
	s_delay_alu instid0(VALU_DEP_3)
	v_add_co_ci_u32_e32 v1, vcc_lo, 0, v1, vcc_lo
	v_lshrrev_b32_e32 v9, 2, v33
	s_clause 0x3
	global_load_b64 v[2:3], v26, s[16:17]
	global_load_b64 v[4:5], v26, s[16:17] offset:2048
	global_load_b64 v[6:7], v[0:1], off
	global_load_b64 v[0:1], v[0:1], off offset:2048
	v_lshrrev_b32_e32 v10, 2, v32
	v_and_b32_e32 v11, 0xf8, v31
	v_dual_mov_b32 v13, 0 :: v_dual_and_b32 v8, 0x1f8, v8
	v_and_b32_e32 v9, 0x1f8, v9
	s_delay_alu instid0(VALU_DEP_4) | instskip(NEXT) | instid1(VALU_DEP_4)
	v_and_b32_e32 v10, 0x1f8, v10
	v_add_nc_u32_e32 v35, v11, v26
	v_add_lshl_u32 v39, v30, v27, 3
	v_add_nc_u32_e32 v38, v8, v26
	v_add_nc_u32_e32 v36, v9, v26
	;; [unrolled: 1-line block ×3, first 2 shown]
	s_waitcnt vmcnt(3)
	ds_store_b64 v35, v[2:3]
	s_waitcnt vmcnt(2)
	ds_store_b64 v38, v[4:5] offset:2048
	s_waitcnt vmcnt(1)
	ds_store_b64 v36, v[6:7] offset:4096
	;; [unrolled: 2-line block ×3, first 2 shown]
	s_waitcnt lgkmcnt(0)
	s_barrier
	buffer_gl0_inv
	ds_load_2addr_b64 v[8:11], v39 offset1:1
	ds_load_2addr_b64 v[4:7], v39 offset0:2 offset1:3
	s_waitcnt lgkmcnt(0)
	s_barrier
	buffer_gl0_inv
	s_load_b32 s0, s[4:5], 0xc
	v_dual_mov_b32 v3, v11 :: v_dual_mov_b32 v2, v10
	s_waitcnt lgkmcnt(0)
	s_lshr_b32 s12, s0, 16
	s_cmp_lt_u32 s13, s6
	v_mad_u32_u24 v1, v29, s12, v28
	s_cselect_b32 s0, 12, 18
	s_mov_b32 s12, exec_lo
	s_add_u32 s0, s4, s0
	s_addc_u32 s1, s5, 0
	global_load_u16 v0, v13, s[0:1]
	s_waitcnt vmcnt(0)
	v_mul_lo_u32 v0, v1, v0
	v_mov_b32_e32 v1, v9
	s_delay_alu instid0(VALU_DEP_2) | instskip(SKIP_1) | instid1(VALU_DEP_2)
	v_add_lshl_u32 v40, v0, v12, 2
	v_mov_b32_e32 v0, v8
	v_cmpx_gt_u32_e32 0x400, v40
	s_cbranch_execz .LBB634_62
; %bb.3:
	s_and_not1_b32 vcc_lo, exec_lo, s7
	s_cbranch_vccnz .LBB634_14
; %bb.4:
	v_mul_lo_u32 v18, v11, s8
	v_mul_lo_u32 v19, v10, s9
	v_mad_u64_u32 v[14:15], null, v10, s8, 0
	v_mul_lo_u32 v20, v9, s8
	v_mul_lo_u32 v21, v8, s9
	v_mad_u64_u32 v[16:17], null, v8, s8, 0
	s_mov_b32 s22, 0
	s_mov_b64 s[20:21], s[8:9]
	s_delay_alu instid0(VALU_DEP_4) | instskip(NEXT) | instid1(VALU_DEP_2)
	v_add3_u32 v15, v15, v19, v18
                                        ; implicit-def: $sgpr19
                                        ; implicit-def: $sgpr23
                                        ; implicit-def: $sgpr25
                                        ; implicit-def: $sgpr24
                                        ; implicit-def: $sgpr26
                                        ; implicit-def: $sgpr27
	v_add3_u32 v17, v17, v21, v20
	s_delay_alu instid0(VALU_DEP_2) | instskip(NEXT) | instid1(VALU_DEP_2)
	v_lshlrev_b64 v[14:15], 1, v[14:15]
	v_lshlrev_b64 v[16:17], 1, v[16:17]
	s_delay_alu instid0(VALU_DEP_2) | instskip(NEXT) | instid1(VALU_DEP_3)
	v_add_co_u32 v14, vcc_lo, s10, v14
	v_add_co_ci_u32_e32 v15, vcc_lo, s11, v15, vcc_lo
	s_delay_alu instid0(VALU_DEP_3) | instskip(NEXT) | instid1(VALU_DEP_4)
	v_add_co_u32 v16, vcc_lo, s10, v16
	v_add_co_ci_u32_e32 v17, vcc_lo, s11, v17, vcc_lo
	s_set_inst_prefetch_distance 0x1
	s_branch .LBB634_6
	.p2align	6
.LBB634_5:                              ;   in Loop: Header=BB634_6 Depth=1
	s_or_b32 exec_lo, exec_lo, s28
	s_delay_alu instid0(SALU_CYCLE_1) | instskip(NEXT) | instid1(SALU_CYCLE_1)
	s_and_b32 s1, exec_lo, s25
	s_or_b32 s22, s1, s22
	s_and_not1_b32 s1, s27, exec_lo
	s_and_b32 s27, s26, exec_lo
	s_and_not1_b32 s23, s23, exec_lo
	s_or_b32 s27, s1, s27
	s_and_b32 s1, s24, exec_lo
	s_and_not1_b32 s19, s19, exec_lo
	s_and_b32 s0, s0, exec_lo
	s_or_b32 s23, s23, s1
	s_or_b32 s19, s19, s0
	s_and_not1_b32 exec_lo, exec_lo, s22
	s_cbranch_execz .LBB634_9
.LBB634_6:                              ; =>This Inner Loop Header: Depth=1
	global_load_u16 v18, v[14:15], off
	global_load_u16 v19, v[16:17], off
	s_and_not1_b32 s26, s26, exec_lo
	s_or_b32 s24, s24, exec_lo
	s_or_b32 s25, s25, exec_lo
	s_waitcnt vmcnt(0)
	v_cmp_le_i16_e32 vcc_lo, v18, v19
	v_cmp_lt_i16_e64 s0, v18, v19
	s_and_b32 s28, vcc_lo, s27
	s_delay_alu instid0(VALU_DEP_1) | instid1(SALU_CYCLE_1)
	s_or_b32 s0, s0, s28
	s_mov_b32 s28, exec_lo
	v_cmpx_eq_u16_e64 v18, v19
	s_cbranch_execz .LBB634_5
; %bb.7:                                ;   in Loop: Header=BB634_6 Depth=1
	s_add_u32 s20, s20, -1
	s_addc_u32 s21, s21, -1
	v_add_co_u32 v14, vcc_lo, v14, 2
	s_cmp_eq_u64 s[20:21], 0
	v_add_co_ci_u32_e32 v15, vcc_lo, 0, v15, vcc_lo
	v_add_co_u32 v16, vcc_lo, v16, 2
	s_cselect_b32 s1, -1, 0
	v_add_co_ci_u32_e32 v17, vcc_lo, 0, v17, vcc_lo
	s_and_not1_b32 s26, s26, exec_lo
	s_and_b32 s27, s0, exec_lo
	s_and_not1_b32 s25, s25, exec_lo
	s_and_b32 s1, s1, exec_lo
	s_or_b32 s26, s26, s27
	s_and_not1_b32 s24, s24, exec_lo
	s_or_b32 s25, s25, s1
                                        ; implicit-def: $sgpr27
	s_branch .LBB634_5
.LBB634_8:
	s_mov_b32 s19, s3
                                        ; implicit-def: $vgpr0_vgpr1
	s_cbranch_execnz .LBB634_520
	s_branch .LBB634_876
.LBB634_9:
	s_set_inst_prefetch_distance 0x2
	s_or_b32 exec_lo, exec_lo, s22
	s_and_saveexec_b32 s0, s23
	s_delay_alu instid0(SALU_CYCLE_1)
	s_xor_b32 s0, exec_lo, s0
	s_cbranch_execz .LBB634_13
; %bb.10:
	v_dual_mov_b32 v15, v11 :: v_dual_mov_b32 v14, v10
	s_and_saveexec_b32 s1, s19
; %bb.11:
	v_dual_mov_b32 v0, v10 :: v_dual_mov_b32 v1, v11
	v_dual_mov_b32 v2, v8 :: v_dual_mov_b32 v3, v9
	;; [unrolled: 1-line block ×4, first 2 shown]
; %bb.12:
	s_or_b32 exec_lo, exec_lo, s1
	s_delay_alu instid0(VALU_DEP_2)
	v_dual_mov_b32 v10, v14 :: v_dual_mov_b32 v11, v15
.LBB634_13:
	s_or_b32 exec_lo, exec_lo, s0
.LBB634_14:
	v_mul_lo_u32 v20, v5, s8
	v_mul_lo_u32 v21, v4, s9
	v_mad_u64_u32 v[18:19], null, v4, s8, 0
	v_dual_mov_b32 v16, v6 :: v_dual_mov_b32 v17, v7
	v_dual_mov_b32 v14, v4 :: v_dual_mov_b32 v15, v5
	s_and_not1_b32 vcc_lo, exec_lo, s7
	s_delay_alu instid0(VALU_DEP_3)
	v_add3_u32 v19, v19, v21, v20
	s_cbranch_vccnz .LBB634_24
; %bb.15:
	v_mul_lo_u32 v22, v7, s8
	v_mul_lo_u32 v23, v6, s9
	v_mad_u64_u32 v[20:21], null, v6, s8, 0
	v_lshlrev_b64 v[24:25], 1, v[18:19]
	s_mov_b32 s22, 0
	s_mov_b64 s[20:21], s[8:9]
                                        ; implicit-def: $sgpr19
                                        ; implicit-def: $sgpr23
                                        ; implicit-def: $sgpr25
                                        ; implicit-def: $sgpr24
                                        ; implicit-def: $sgpr26
                                        ; implicit-def: $sgpr27
	s_delay_alu instid0(VALU_DEP_2) | instskip(NEXT) | instid1(VALU_DEP_1)
	v_add3_u32 v21, v21, v23, v22
	v_lshlrev_b64 v[22:23], 1, v[20:21]
	s_delay_alu instid0(VALU_DEP_1) | instskip(NEXT) | instid1(VALU_DEP_2)
	v_add_co_u32 v22, vcc_lo, s10, v22
	v_add_co_ci_u32_e32 v23, vcc_lo, s11, v23, vcc_lo
	v_add_co_u32 v24, vcc_lo, s10, v24
	v_add_co_ci_u32_e32 v25, vcc_lo, s11, v25, vcc_lo
	s_set_inst_prefetch_distance 0x1
	s_branch .LBB634_17
	.p2align	6
.LBB634_16:                             ;   in Loop: Header=BB634_17 Depth=1
	s_or_b32 exec_lo, exec_lo, s28
	s_delay_alu instid0(SALU_CYCLE_1) | instskip(NEXT) | instid1(SALU_CYCLE_1)
	s_and_b32 s1, exec_lo, s25
	s_or_b32 s22, s1, s22
	s_and_not1_b32 s1, s27, exec_lo
	s_and_b32 s27, s26, exec_lo
	s_and_not1_b32 s23, s23, exec_lo
	s_or_b32 s27, s1, s27
	s_and_b32 s1, s24, exec_lo
	s_and_not1_b32 s19, s19, exec_lo
	s_and_b32 s0, s0, exec_lo
	s_or_b32 s23, s23, s1
	s_or_b32 s19, s19, s0
	s_and_not1_b32 exec_lo, exec_lo, s22
	s_cbranch_execz .LBB634_19
.LBB634_17:                             ; =>This Inner Loop Header: Depth=1
	global_load_u16 v41, v[22:23], off
	global_load_u16 v42, v[24:25], off
	s_and_not1_b32 s26, s26, exec_lo
	s_or_b32 s24, s24, exec_lo
	s_or_b32 s25, s25, exec_lo
	s_waitcnt vmcnt(0)
	v_cmp_le_i16_e32 vcc_lo, v41, v42
	v_cmp_lt_i16_e64 s0, v41, v42
	s_and_b32 s28, vcc_lo, s27
	s_delay_alu instid0(VALU_DEP_1) | instid1(SALU_CYCLE_1)
	s_or_b32 s0, s0, s28
	s_mov_b32 s28, exec_lo
	v_cmpx_eq_u16_e64 v41, v42
	s_cbranch_execz .LBB634_16
; %bb.18:                               ;   in Loop: Header=BB634_17 Depth=1
	s_add_u32 s20, s20, -1
	s_addc_u32 s21, s21, -1
	v_add_co_u32 v22, vcc_lo, v22, 2
	s_cmp_eq_u64 s[20:21], 0
	v_add_co_ci_u32_e32 v23, vcc_lo, 0, v23, vcc_lo
	v_add_co_u32 v24, vcc_lo, v24, 2
	s_cselect_b32 s1, -1, 0
	v_add_co_ci_u32_e32 v25, vcc_lo, 0, v25, vcc_lo
	s_and_not1_b32 s26, s26, exec_lo
	s_and_b32 s27, s0, exec_lo
	s_and_not1_b32 s25, s25, exec_lo
	s_and_b32 s1, s1, exec_lo
	s_or_b32 s26, s26, s27
	s_and_not1_b32 s24, s24, exec_lo
	s_or_b32 s25, s25, s1
                                        ; implicit-def: $sgpr27
	s_branch .LBB634_16
.LBB634_19:
	s_set_inst_prefetch_distance 0x2
	s_or_b32 exec_lo, exec_lo, s22
	s_and_saveexec_b32 s0, s23
	s_delay_alu instid0(SALU_CYCLE_1)
	s_xor_b32 s0, exec_lo, s0
	s_cbranch_execz .LBB634_23
; %bb.20:
	s_and_saveexec_b32 s1, s19
	s_cbranch_execz .LBB634_22
; %bb.21:
	v_dual_mov_b32 v41, v0 :: v_dual_mov_b32 v42, v1
	v_dual_mov_b32 v43, v2 :: v_dual_mov_b32 v44, v3
	;; [unrolled: 1-line block ×12, first 2 shown]
.LBB634_22:
	s_or_b32 exec_lo, exec_lo, s1
.LBB634_23:
	s_delay_alu instid0(SALU_CYCLE_1)
	s_or_b32 exec_lo, exec_lo, s0
.LBB634_24:
	v_mul_lo_u32 v22, v11, s8
	v_mul_lo_u32 v23, v10, s9
	v_mad_u64_u32 v[20:21], null, v10, s8, 0
	s_and_not1_b32 vcc_lo, exec_lo, s7
	s_delay_alu instid0(VALU_DEP_1)
	v_add3_u32 v21, v21, v23, v22
	s_cbranch_vccnz .LBB634_34
; %bb.25:
	v_lshlrev_b64 v[22:23], 1, v[18:19]
	s_delay_alu instid0(VALU_DEP_2) | instskip(SKIP_2) | instid1(VALU_DEP_2)
	v_lshlrev_b64 v[24:25], 1, v[20:21]
	s_mov_b32 s22, 0
	s_mov_b64 s[20:21], s[8:9]
                                        ; implicit-def: $sgpr19
                                        ; implicit-def: $sgpr23
                                        ; implicit-def: $sgpr25
                                        ; implicit-def: $sgpr24
                                        ; implicit-def: $sgpr26
                                        ; implicit-def: $sgpr27
	v_add_co_u32 v22, vcc_lo, s10, v22
	s_delay_alu instid0(VALU_DEP_3) | instskip(NEXT) | instid1(VALU_DEP_3)
	v_add_co_ci_u32_e32 v23, vcc_lo, s11, v23, vcc_lo
	v_add_co_u32 v24, vcc_lo, s10, v24
	v_add_co_ci_u32_e32 v25, vcc_lo, s11, v25, vcc_lo
	s_set_inst_prefetch_distance 0x1
	s_branch .LBB634_27
	.p2align	6
.LBB634_26:                             ;   in Loop: Header=BB634_27 Depth=1
	s_or_b32 exec_lo, exec_lo, s28
	s_delay_alu instid0(SALU_CYCLE_1) | instskip(NEXT) | instid1(SALU_CYCLE_1)
	s_and_b32 s1, exec_lo, s25
	s_or_b32 s22, s1, s22
	s_and_not1_b32 s1, s27, exec_lo
	s_and_b32 s27, s26, exec_lo
	s_and_not1_b32 s23, s23, exec_lo
	s_or_b32 s27, s1, s27
	s_and_b32 s1, s24, exec_lo
	s_and_not1_b32 s19, s19, exec_lo
	s_and_b32 s0, s0, exec_lo
	s_or_b32 s23, s23, s1
	s_or_b32 s19, s19, s0
	s_and_not1_b32 exec_lo, exec_lo, s22
	s_cbranch_execz .LBB634_29
.LBB634_27:                             ; =>This Inner Loop Header: Depth=1
	global_load_u16 v41, v[22:23], off
	global_load_u16 v42, v[24:25], off
	s_and_not1_b32 s26, s26, exec_lo
	s_or_b32 s24, s24, exec_lo
	s_or_b32 s25, s25, exec_lo
	s_waitcnt vmcnt(0)
	v_cmp_le_i16_e32 vcc_lo, v41, v42
	v_cmp_lt_i16_e64 s0, v41, v42
	s_and_b32 s28, vcc_lo, s27
	s_delay_alu instid0(VALU_DEP_1) | instid1(SALU_CYCLE_1)
	s_or_b32 s0, s0, s28
	s_mov_b32 s28, exec_lo
	v_cmpx_eq_u16_e64 v41, v42
	s_cbranch_execz .LBB634_26
; %bb.28:                               ;   in Loop: Header=BB634_27 Depth=1
	s_add_u32 s20, s20, -1
	s_addc_u32 s21, s21, -1
	v_add_co_u32 v22, vcc_lo, v22, 2
	s_cmp_eq_u64 s[20:21], 0
	v_add_co_ci_u32_e32 v23, vcc_lo, 0, v23, vcc_lo
	v_add_co_u32 v24, vcc_lo, v24, 2
	s_cselect_b32 s1, -1, 0
	v_add_co_ci_u32_e32 v25, vcc_lo, 0, v25, vcc_lo
	s_and_not1_b32 s26, s26, exec_lo
	s_and_b32 s27, s0, exec_lo
	s_and_not1_b32 s25, s25, exec_lo
	s_and_b32 s1, s1, exec_lo
	s_or_b32 s26, s26, s27
	s_and_not1_b32 s24, s24, exec_lo
	s_or_b32 s25, s25, s1
                                        ; implicit-def: $sgpr27
	s_branch .LBB634_26
.LBB634_29:
	s_set_inst_prefetch_distance 0x2
	s_or_b32 exec_lo, exec_lo, s22
	s_and_saveexec_b32 s0, s23
	s_delay_alu instid0(SALU_CYCLE_1)
	s_xor_b32 s0, exec_lo, s0
	s_cbranch_execz .LBB634_33
; %bb.30:
	v_dual_mov_b32 v23, v11 :: v_dual_mov_b32 v22, v10
	s_and_saveexec_b32 s1, s19
; %bb.31:
	v_dual_mov_b32 v2, v14 :: v_dual_mov_b32 v3, v15
	v_dual_mov_b32 v4, v10 :: v_dual_mov_b32 v5, v11
	;; [unrolled: 1-line block ×5, first 2 shown]
; %bb.32:
	s_or_b32 exec_lo, exec_lo, s1
	s_delay_alu instid0(VALU_DEP_3)
	v_dual_mov_b32 v10, v22 :: v_dual_mov_b32 v11, v23
.LBB634_33:
	s_or_b32 exec_lo, exec_lo, s0
.LBB634_34:
	s_delay_alu instid0(SALU_CYCLE_1)
	s_and_not1_b32 vcc_lo, exec_lo, s7
	s_cbranch_vccnz .LBB634_44
; %bb.35:
	v_mul_lo_u32 v22, v9, s8
	v_mul_lo_u32 v23, v8, s9
	v_mad_u64_u32 v[18:19], null, v8, s8, 0
	v_lshlrev_b64 v[20:21], 1, v[20:21]
	s_mov_b32 s22, 0
	s_mov_b64 s[20:21], s[8:9]
                                        ; implicit-def: $sgpr19
                                        ; implicit-def: $sgpr23
                                        ; implicit-def: $sgpr25
                                        ; implicit-def: $sgpr24
                                        ; implicit-def: $sgpr26
                                        ; implicit-def: $sgpr27
	s_delay_alu instid0(VALU_DEP_2) | instskip(NEXT) | instid1(VALU_DEP_1)
	v_add3_u32 v19, v19, v23, v22
	v_lshlrev_b64 v[22:23], 1, v[18:19]
	s_delay_alu instid0(VALU_DEP_3) | instskip(SKIP_1) | instid1(VALU_DEP_3)
	v_add_co_u32 v18, vcc_lo, s10, v20
	v_add_co_ci_u32_e32 v19, vcc_lo, s11, v21, vcc_lo
	v_add_co_u32 v20, vcc_lo, s10, v22
	s_delay_alu instid0(VALU_DEP_4)
	v_add_co_ci_u32_e32 v21, vcc_lo, s11, v23, vcc_lo
	s_set_inst_prefetch_distance 0x1
	s_branch .LBB634_37
	.p2align	6
.LBB634_36:                             ;   in Loop: Header=BB634_37 Depth=1
	s_or_b32 exec_lo, exec_lo, s28
	s_delay_alu instid0(SALU_CYCLE_1) | instskip(NEXT) | instid1(SALU_CYCLE_1)
	s_and_b32 s1, exec_lo, s25
	s_or_b32 s22, s1, s22
	s_and_not1_b32 s1, s27, exec_lo
	s_and_b32 s27, s26, exec_lo
	s_and_not1_b32 s23, s23, exec_lo
	s_or_b32 s27, s1, s27
	s_and_b32 s1, s24, exec_lo
	s_and_not1_b32 s19, s19, exec_lo
	s_and_b32 s0, s0, exec_lo
	s_or_b32 s23, s23, s1
	s_or_b32 s19, s19, s0
	s_and_not1_b32 exec_lo, exec_lo, s22
	s_cbranch_execz .LBB634_39
.LBB634_37:                             ; =>This Inner Loop Header: Depth=1
	global_load_u16 v22, v[18:19], off
	global_load_u16 v23, v[20:21], off
	s_and_not1_b32 s26, s26, exec_lo
	s_or_b32 s24, s24, exec_lo
	s_or_b32 s25, s25, exec_lo
	s_waitcnt vmcnt(0)
	v_cmp_le_i16_e32 vcc_lo, v22, v23
	v_cmp_lt_i16_e64 s0, v22, v23
	s_and_b32 s28, vcc_lo, s27
	s_delay_alu instid0(VALU_DEP_1) | instid1(SALU_CYCLE_1)
	s_or_b32 s0, s0, s28
	s_mov_b32 s28, exec_lo
	v_cmpx_eq_u16_e64 v22, v23
	s_cbranch_execz .LBB634_36
; %bb.38:                               ;   in Loop: Header=BB634_37 Depth=1
	s_add_u32 s20, s20, -1
	s_addc_u32 s21, s21, -1
	v_add_co_u32 v18, vcc_lo, v18, 2
	s_cmp_eq_u64 s[20:21], 0
	v_add_co_ci_u32_e32 v19, vcc_lo, 0, v19, vcc_lo
	v_add_co_u32 v20, vcc_lo, v20, 2
	s_cselect_b32 s1, -1, 0
	v_add_co_ci_u32_e32 v21, vcc_lo, 0, v21, vcc_lo
	s_and_not1_b32 s26, s26, exec_lo
	s_and_b32 s27, s0, exec_lo
	s_and_not1_b32 s25, s25, exec_lo
	s_and_b32 s1, s1, exec_lo
	s_or_b32 s26, s26, s27
	s_and_not1_b32 s24, s24, exec_lo
	s_or_b32 s25, s25, s1
                                        ; implicit-def: $sgpr27
	s_branch .LBB634_36
.LBB634_39:
	s_set_inst_prefetch_distance 0x2
	s_or_b32 exec_lo, exec_lo, s22
	s_and_saveexec_b32 s0, s23
	s_delay_alu instid0(SALU_CYCLE_1)
	s_xor_b32 s0, exec_lo, s0
	s_cbranch_execz .LBB634_43
; %bb.40:
	v_dual_mov_b32 v19, v11 :: v_dual_mov_b32 v18, v10
	s_and_saveexec_b32 s1, s19
; %bb.41:
	v_dual_mov_b32 v0, v10 :: v_dual_mov_b32 v1, v11
	v_dual_mov_b32 v2, v8 :: v_dual_mov_b32 v3, v9
	v_dual_mov_b32 v19, v9 :: v_dual_mov_b32 v18, v8
	v_dual_mov_b32 v8, v10 :: v_dual_mov_b32 v9, v11
; %bb.42:
	s_or_b32 exec_lo, exec_lo, s1
	s_delay_alu instid0(VALU_DEP_2)
	v_dual_mov_b32 v10, v18 :: v_dual_mov_b32 v11, v19
.LBB634_43:
	s_or_b32 exec_lo, exec_lo, s0
.LBB634_44:
	v_mul_lo_u32 v20, v15, s8
	v_mul_lo_u32 v21, v14, s9
	v_mad_u64_u32 v[18:19], null, v14, s8, 0
	s_and_not1_b32 vcc_lo, exec_lo, s7
	s_delay_alu instid0(VALU_DEP_1)
	v_add3_u32 v19, v19, v21, v20
	s_cbranch_vccnz .LBB634_54
; %bb.45:
	v_mul_lo_u32 v22, v17, s8
	v_mul_lo_u32 v23, v16, s9
	v_mad_u64_u32 v[20:21], null, v16, s8, 0
	v_lshlrev_b64 v[24:25], 1, v[18:19]
	s_mov_b32 s22, 0
	s_mov_b64 s[20:21], s[8:9]
                                        ; implicit-def: $sgpr19
                                        ; implicit-def: $sgpr23
                                        ; implicit-def: $sgpr25
                                        ; implicit-def: $sgpr24
                                        ; implicit-def: $sgpr26
                                        ; implicit-def: $sgpr27
	s_delay_alu instid0(VALU_DEP_2) | instskip(NEXT) | instid1(VALU_DEP_1)
	v_add3_u32 v21, v21, v23, v22
	v_lshlrev_b64 v[22:23], 1, v[20:21]
	s_delay_alu instid0(VALU_DEP_1) | instskip(NEXT) | instid1(VALU_DEP_2)
	v_add_co_u32 v22, vcc_lo, s10, v22
	v_add_co_ci_u32_e32 v23, vcc_lo, s11, v23, vcc_lo
	v_add_co_u32 v24, vcc_lo, s10, v24
	v_add_co_ci_u32_e32 v25, vcc_lo, s11, v25, vcc_lo
	s_set_inst_prefetch_distance 0x1
	s_branch .LBB634_47
	.p2align	6
.LBB634_46:                             ;   in Loop: Header=BB634_47 Depth=1
	s_or_b32 exec_lo, exec_lo, s28
	s_delay_alu instid0(SALU_CYCLE_1) | instskip(NEXT) | instid1(SALU_CYCLE_1)
	s_and_b32 s1, exec_lo, s25
	s_or_b32 s22, s1, s22
	s_and_not1_b32 s1, s27, exec_lo
	s_and_b32 s27, s26, exec_lo
	s_and_not1_b32 s23, s23, exec_lo
	s_or_b32 s27, s1, s27
	s_and_b32 s1, s24, exec_lo
	s_and_not1_b32 s19, s19, exec_lo
	s_and_b32 s0, s0, exec_lo
	s_or_b32 s23, s23, s1
	s_or_b32 s19, s19, s0
	s_and_not1_b32 exec_lo, exec_lo, s22
	s_cbranch_execz .LBB634_49
.LBB634_47:                             ; =>This Inner Loop Header: Depth=1
	global_load_u16 v41, v[22:23], off
	global_load_u16 v42, v[24:25], off
	s_and_not1_b32 s26, s26, exec_lo
	s_or_b32 s24, s24, exec_lo
	s_or_b32 s25, s25, exec_lo
	s_waitcnt vmcnt(0)
	v_cmp_le_i16_e32 vcc_lo, v41, v42
	v_cmp_lt_i16_e64 s0, v41, v42
	s_and_b32 s28, vcc_lo, s27
	s_delay_alu instid0(VALU_DEP_1) | instid1(SALU_CYCLE_1)
	s_or_b32 s0, s0, s28
	s_mov_b32 s28, exec_lo
	v_cmpx_eq_u16_e64 v41, v42
	s_cbranch_execz .LBB634_46
; %bb.48:                               ;   in Loop: Header=BB634_47 Depth=1
	s_add_u32 s20, s20, -1
	s_addc_u32 s21, s21, -1
	v_add_co_u32 v22, vcc_lo, v22, 2
	s_cmp_eq_u64 s[20:21], 0
	v_add_co_ci_u32_e32 v23, vcc_lo, 0, v23, vcc_lo
	v_add_co_u32 v24, vcc_lo, v24, 2
	s_cselect_b32 s1, -1, 0
	v_add_co_ci_u32_e32 v25, vcc_lo, 0, v25, vcc_lo
	s_and_not1_b32 s26, s26, exec_lo
	s_and_b32 s27, s0, exec_lo
	s_and_not1_b32 s25, s25, exec_lo
	s_and_b32 s1, s1, exec_lo
	s_or_b32 s26, s26, s27
	s_and_not1_b32 s24, s24, exec_lo
	s_or_b32 s25, s25, s1
                                        ; implicit-def: $sgpr27
	s_branch .LBB634_46
.LBB634_49:
	s_set_inst_prefetch_distance 0x2
	s_or_b32 exec_lo, exec_lo, s22
	s_and_saveexec_b32 s0, s23
	s_delay_alu instid0(SALU_CYCLE_1)
	s_xor_b32 s0, exec_lo, s0
	s_cbranch_execz .LBB634_53
; %bb.50:
	s_and_saveexec_b32 s1, s19
; %bb.51:
	v_dual_mov_b32 v4, v16 :: v_dual_mov_b32 v5, v17
	v_dual_mov_b32 v6, v14 :: v_dual_mov_b32 v7, v15
	;; [unrolled: 1-line block ×4, first 2 shown]
; %bb.52:
	s_or_b32 exec_lo, exec_lo, s1
.LBB634_53:
	s_delay_alu instid0(SALU_CYCLE_1)
	s_or_b32 exec_lo, exec_lo, s0
.LBB634_54:
	s_delay_alu instid0(SALU_CYCLE_1)
	s_and_not1_b32 vcc_lo, exec_lo, s7
	s_cbranch_vccnz .LBB634_62
; %bb.55:
	v_mul_lo_u32 v20, v11, s8
	v_mul_lo_u32 v21, v10, s9
	v_mad_u64_u32 v[16:17], null, v10, s8, 0
	v_lshlrev_b64 v[18:19], 1, v[18:19]
	s_mov_b32 s22, 0
	s_mov_b64 s[20:21], s[8:9]
                                        ; implicit-def: $sgpr19
                                        ; implicit-def: $sgpr23
                                        ; implicit-def: $sgpr25
                                        ; implicit-def: $sgpr24
                                        ; implicit-def: $sgpr26
                                        ; implicit-def: $sgpr27
	s_delay_alu instid0(VALU_DEP_2) | instskip(NEXT) | instid1(VALU_DEP_1)
	v_add3_u32 v17, v17, v21, v20
	v_lshlrev_b64 v[20:21], 1, v[16:17]
	s_delay_alu instid0(VALU_DEP_3) | instskip(SKIP_1) | instid1(VALU_DEP_3)
	v_add_co_u32 v16, vcc_lo, s10, v18
	v_add_co_ci_u32_e32 v17, vcc_lo, s11, v19, vcc_lo
	v_add_co_u32 v18, vcc_lo, s10, v20
	s_delay_alu instid0(VALU_DEP_4)
	v_add_co_ci_u32_e32 v19, vcc_lo, s11, v21, vcc_lo
	s_set_inst_prefetch_distance 0x1
	s_branch .LBB634_57
	.p2align	6
.LBB634_56:                             ;   in Loop: Header=BB634_57 Depth=1
	s_or_b32 exec_lo, exec_lo, s28
	s_delay_alu instid0(SALU_CYCLE_1) | instskip(NEXT) | instid1(SALU_CYCLE_1)
	s_and_b32 s1, exec_lo, s25
	s_or_b32 s22, s1, s22
	s_and_not1_b32 s1, s27, exec_lo
	s_and_b32 s27, s26, exec_lo
	s_and_not1_b32 s23, s23, exec_lo
	s_or_b32 s27, s1, s27
	s_and_b32 s1, s24, exec_lo
	s_and_not1_b32 s19, s19, exec_lo
	s_and_b32 s0, s0, exec_lo
	s_or_b32 s23, s23, s1
	s_or_b32 s19, s19, s0
	s_and_not1_b32 exec_lo, exec_lo, s22
	s_cbranch_execz .LBB634_59
.LBB634_57:                             ; =>This Inner Loop Header: Depth=1
	global_load_u16 v20, v[16:17], off
	global_load_u16 v21, v[18:19], off
	s_and_not1_b32 s26, s26, exec_lo
	s_or_b32 s24, s24, exec_lo
	s_or_b32 s25, s25, exec_lo
	s_waitcnt vmcnt(0)
	v_cmp_le_i16_e32 vcc_lo, v20, v21
	v_cmp_lt_i16_e64 s0, v20, v21
	s_and_b32 s28, vcc_lo, s27
	s_delay_alu instid0(VALU_DEP_1) | instid1(SALU_CYCLE_1)
	s_or_b32 s0, s0, s28
	s_mov_b32 s28, exec_lo
	v_cmpx_eq_u16_e64 v20, v21
	s_cbranch_execz .LBB634_56
; %bb.58:                               ;   in Loop: Header=BB634_57 Depth=1
	s_add_u32 s20, s20, -1
	s_addc_u32 s21, s21, -1
	v_add_co_u32 v16, vcc_lo, v16, 2
	s_cmp_eq_u64 s[20:21], 0
	v_add_co_ci_u32_e32 v17, vcc_lo, 0, v17, vcc_lo
	v_add_co_u32 v18, vcc_lo, v18, 2
	s_cselect_b32 s1, -1, 0
	v_add_co_ci_u32_e32 v19, vcc_lo, 0, v19, vcc_lo
	s_and_not1_b32 s26, s26, exec_lo
	s_and_b32 s27, s0, exec_lo
	s_and_not1_b32 s25, s25, exec_lo
	s_and_b32 s1, s1, exec_lo
	s_or_b32 s26, s26, s27
	s_and_not1_b32 s24, s24, exec_lo
	s_or_b32 s25, s25, s1
                                        ; implicit-def: $sgpr27
	s_branch .LBB634_56
.LBB634_59:
	s_set_inst_prefetch_distance 0x2
	s_or_b32 exec_lo, exec_lo, s22
	s_and_saveexec_b32 s0, s23
	s_delay_alu instid0(SALU_CYCLE_1)
	s_xor_b32 s0, exec_lo, s0
; %bb.60:
	v_cndmask_b32_e64 v5, v5, v11, s19
	v_cndmask_b32_e64 v4, v4, v10, s19
	;; [unrolled: 1-line block ×4, first 2 shown]
; %bb.61:
	s_or_b32 exec_lo, exec_lo, s0
.LBB634_62:
	s_delay_alu instid0(SALU_CYCLE_1) | instskip(SKIP_4) | instid1(VALU_DEP_2)
	s_or_b32 exec_lo, exec_lo, s12
	v_mbcnt_lo_u32_b32 v11, -1, 0
	v_and_b32_e32 v10, 0xffffff80, v40
	s_mov_b32 s1, 0
	s_mov_b32 s12, exec_lo
	v_lshlrev_b32_e32 v18, 2, v11
	s_delay_alu instid0(VALU_DEP_2) | instskip(SKIP_2) | instid1(VALU_DEP_4)
	v_sub_nc_u32_e64 v17, 0x400, v10 clamp
	v_lshlrev_b32_e32 v16, 3, v10
	v_mov_b32_e32 v10, v2
	v_or_b32_e32 v14, 4, v18
	v_and_b32_e32 v19, 4, v18
	v_and_b32_e32 v22, 0x78, v18
	s_delay_alu instid0(VALU_DEP_3) | instskip(NEXT) | instid1(VALU_DEP_3)
	v_min_u32_e32 v14, v17, v14
	v_min_u32_e32 v23, v17, v19
	v_lshl_or_b32 v19, v11, 5, v16
	v_mov_b32_e32 v11, v3
	ds_store_b128 v19, v[8:11]
	ds_store_b128 v19, v[4:7] offset:16
	v_add_nc_u32_e32 v15, 4, v14
	v_sub_nc_u32_e32 v21, v14, v22
	; wave barrier
	s_delay_alu instid0(VALU_DEP_2) | instskip(NEXT) | instid1(VALU_DEP_2)
	v_min_u32_e32 v15, v17, v15
	v_min_u32_e32 v24, v23, v21
	v_lshl_or_b32 v21, v22, 3, v16
	s_delay_alu instid0(VALU_DEP_3) | instskip(NEXT) | instid1(VALU_DEP_1)
	v_sub_nc_u32_e32 v20, v15, v14
	v_sub_nc_u32_e64 v20, v23, v20 clamp
	s_delay_alu instid0(VALU_DEP_1)
	v_cmpx_lt_u32_e64 v20, v24
	s_cbranch_execz .LBB634_73
; %bb.63:
	v_lshlrev_b32_e32 v8, 3, v14
	v_lshlrev_b32_e32 v9, 3, v23
	s_lshl_b64 s[20:21], s[8:9], 1
	s_delay_alu instid0(VALU_DEP_1)
	v_add3_u32 v25, v16, v8, v9
	s_branch .LBB634_66
.LBB634_64:                             ;   in Loop: Header=BB634_66 Depth=1
	s_set_inst_prefetch_distance 0x2
	s_or_b32 exec_lo, exec_lo, s19
.LBB634_65:                             ;   in Loop: Header=BB634_66 Depth=1
	s_delay_alu instid0(VALU_DEP_1) | instskip(SKIP_1) | instid1(VALU_DEP_2)
	v_add_nc_u32_e32 v8, 1, v40
	v_cndmask_b32_e64 v24, v24, v40, s24
	v_cndmask_b32_e64 v20, v8, v20, s24
	s_delay_alu instid0(VALU_DEP_1) | instskip(SKIP_1) | instid1(SALU_CYCLE_1)
	v_cmp_ge_u32_e32 vcc_lo, v20, v24
	s_or_b32 s1, vcc_lo, s1
	s_and_not1_b32 exec_lo, exec_lo, s1
	s_cbranch_execz .LBB634_72
.LBB634_66:                             ; =>This Loop Header: Depth=1
                                        ;     Child Loop BB634_69 Depth 2
	v_add_nc_u32_e32 v8, v24, v20
	s_and_not1_b32 vcc_lo, exec_lo, s7
	s_delay_alu instid0(VALU_DEP_1)
	v_lshrrev_b32_e32 v40, 1, v8
	s_cbranch_vccnz .LBB634_71
; %bb.67:                               ;   in Loop: Header=BB634_66 Depth=1
	s_delay_alu instid0(VALU_DEP_1) | instskip(SKIP_3) | instid1(VALU_DEP_2)
	v_not_b32_e32 v8, v40
	v_lshl_add_u32 v9, v40, 3, v21
	s_mov_b32 s19, 0
	s_mov_b64 s[22:23], s[8:9]
                                        ; implicit-def: $sgpr24
                                        ; implicit-def: $sgpr25
                                        ; implicit-def: $sgpr26
                                        ; implicit-def: $sgpr27
                                        ; implicit-def: $sgpr28
	v_lshl_add_u32 v8, v8, 3, v25
	ds_load_b64 v[10:11], v8
	ds_load_b64 v[41:42], v9
	s_waitcnt lgkmcnt(1)
	v_mul_lo_u32 v43, s20, v11
	v_mul_lo_u32 v44, s21, v10
	v_mad_u64_u32 v[8:9], null, s20, v10, s[10:11]
	s_waitcnt lgkmcnt(0)
	v_mul_lo_u32 v42, s20, v42
	v_mul_lo_u32 v45, s21, v41
	v_mad_u64_u32 v[10:11], null, s20, v41, s[10:11]
	s_delay_alu instid0(VALU_DEP_4) | instskip(NEXT) | instid1(VALU_DEP_2)
	v_add3_u32 v9, v44, v9, v43
	v_add3_u32 v11, v45, v11, v42
	s_set_inst_prefetch_distance 0x1
	s_branch .LBB634_69
	.p2align	6
.LBB634_68:                             ;   in Loop: Header=BB634_69 Depth=2
	s_or_b32 exec_lo, exec_lo, s0
	s_delay_alu instid0(SALU_CYCLE_1) | instskip(NEXT) | instid1(SALU_CYCLE_1)
	s_and_b32 s0, exec_lo, s25
	s_or_b32 s19, s0, s19
	s_and_not1_b32 s0, s28, exec_lo
	s_and_b32 s28, s26, exec_lo
	s_and_not1_b32 s24, s24, exec_lo
	s_and_b32 s29, s27, exec_lo
	s_or_b32 s28, s0, s28
	s_or_b32 s24, s24, s29
	s_and_not1_b32 exec_lo, exec_lo, s19
	s_cbranch_execz .LBB634_64
.LBB634_69:                             ;   Parent Loop BB634_66 Depth=1
                                        ; =>  This Inner Loop Header: Depth=2
	global_load_u16 v41, v[8:9], off
	global_load_u16 v42, v[10:11], off
	s_and_not1_b32 s27, s27, exec_lo
	s_and_not1_b32 s26, s26, exec_lo
	s_or_b32 s25, s25, exec_lo
	s_waitcnt vmcnt(0)
	v_cmp_le_i16_e32 vcc_lo, v41, v42
	v_cmp_lt_i16_e64 s0, v41, v42
	s_and_b32 s29, vcc_lo, s28
	s_delay_alu instid0(VALU_DEP_1) | instid1(SALU_CYCLE_1)
	s_or_b32 s29, s0, s29
	s_delay_alu instid0(SALU_CYCLE_1) | instskip(NEXT) | instid1(SALU_CYCLE_1)
	s_and_b32 s0, s29, exec_lo
	s_or_b32 s27, s27, s0
	s_mov_b32 s0, exec_lo
	v_cmpx_eq_u16_e64 v41, v42
	s_cbranch_execz .LBB634_68
; %bb.70:                               ;   in Loop: Header=BB634_69 Depth=2
	s_add_u32 s22, s22, -1
	s_addc_u32 s23, s23, -1
	v_add_co_u32 v8, vcc_lo, v8, 2
	s_cmp_eq_u64 s[22:23], 0
	v_add_co_ci_u32_e32 v9, vcc_lo, 0, v9, vcc_lo
	s_cselect_b32 s28, -1, 0
	v_add_co_u32 v10, vcc_lo, v10, 2
	s_and_not1_b32 s26, s26, exec_lo
	s_and_b32 s29, s29, exec_lo
	s_and_not1_b32 s25, s25, exec_lo
	s_and_b32 s28, s28, exec_lo
	v_add_co_ci_u32_e32 v11, vcc_lo, 0, v11, vcc_lo
	s_and_not1_b32 s27, s27, exec_lo
	s_or_b32 s26, s26, s29
	s_or_b32 s25, s25, s28
                                        ; implicit-def: $sgpr28
	s_branch .LBB634_68
.LBB634_71:                             ;   in Loop: Header=BB634_66 Depth=1
	s_mov_b32 s24, 0
	s_branch .LBB634_65
.LBB634_72:
	s_or_b32 exec_lo, exec_lo, s1
.LBB634_73:
	s_delay_alu instid0(SALU_CYCLE_1) | instskip(SKIP_2) | instid1(VALU_DEP_2)
	s_or_b32 exec_lo, exec_lo, s12
	v_add_nc_u32_e32 v9, v14, v23
	v_add_nc_u32_e32 v8, v20, v22
	v_sub_nc_u32_e32 v9, v9, v20
	s_delay_alu instid0(VALU_DEP_2) | instskip(NEXT) | instid1(VALU_DEP_2)
	v_cmp_le_u32_e32 vcc_lo, v8, v14
	v_cmp_le_u32_e64 s0, v9, v15
	s_delay_alu instid0(VALU_DEP_1) | instskip(NEXT) | instid1(SALU_CYCLE_1)
	s_or_b32 s0, vcc_lo, s0
	s_and_saveexec_b32 s1, s0
	s_cbranch_execz .LBB634_120
; %bb.74:
	v_cmp_ge_u32_e32 vcc_lo, v8, v14
	s_mov_b32 s12, exec_lo
                                        ; implicit-def: $vgpr0_vgpr1
	v_cmpx_lt_u32_e64 v8, v14
	s_cbranch_execz .LBB634_76
; %bb.75:
	v_lshl_add_u32 v0, v20, 3, v21
	ds_load_b64 v[0:1], v0
.LBB634_76:
	s_or_b32 exec_lo, exec_lo, s12
	v_cmp_ge_u32_e64 s12, v9, v15
	s_mov_b32 s19, exec_lo
                                        ; implicit-def: $vgpr2_vgpr3
	v_cmpx_lt_u32_e64 v9, v15
	s_cbranch_execz .LBB634_78
; %bb.77:
	v_lshl_add_u32 v2, v9, 3, v16
	ds_load_b64 v[2:3], v2
.LBB634_78:
	s_or_b32 exec_lo, exec_lo, s19
	s_or_b32 s0, vcc_lo, s12
	s_mov_b32 s19, -1
	s_xor_b32 s0, s0, -1
	s_delay_alu instid0(SALU_CYCLE_1)
	s_and_saveexec_b32 s22, s0
	s_cbranch_execz .LBB634_87
; %bb.79:
	s_and_not1_b32 vcc_lo, exec_lo, s7
	s_cbranch_vccnz .LBB634_85
; %bb.80:
	s_waitcnt lgkmcnt(0)
	v_mul_lo_u32 v10, v3, s8
	v_mul_lo_u32 v11, v2, s9
	v_mad_u64_u32 v[4:5], null, v2, s8, 0
	v_mul_lo_u32 v20, v1, s8
	v_mul_lo_u32 v21, v0, s9
	v_mad_u64_u32 v[6:7], null, v0, s8, 0
	s_mov_b32 s23, 0
	s_mov_b64 s[20:21], s[8:9]
	s_delay_alu instid0(VALU_DEP_4) | instskip(NEXT) | instid1(VALU_DEP_2)
	v_add3_u32 v5, v5, v11, v10
                                        ; implicit-def: $sgpr24
                                        ; implicit-def: $sgpr25
                                        ; implicit-def: $sgpr26
                                        ; implicit-def: $sgpr27
                                        ; implicit-def: $sgpr28
	v_add3_u32 v7, v7, v21, v20
	s_delay_alu instid0(VALU_DEP_2) | instskip(NEXT) | instid1(VALU_DEP_2)
	v_lshlrev_b64 v[4:5], 1, v[4:5]
	v_lshlrev_b64 v[6:7], 1, v[6:7]
	s_delay_alu instid0(VALU_DEP_2) | instskip(NEXT) | instid1(VALU_DEP_3)
	v_add_co_u32 v4, vcc_lo, s10, v4
	v_add_co_ci_u32_e32 v5, vcc_lo, s11, v5, vcc_lo
	s_delay_alu instid0(VALU_DEP_3) | instskip(NEXT) | instid1(VALU_DEP_4)
	v_add_co_u32 v6, vcc_lo, s10, v6
	v_add_co_ci_u32_e32 v7, vcc_lo, s11, v7, vcc_lo
	s_set_inst_prefetch_distance 0x1
	s_branch .LBB634_82
	.p2align	6
.LBB634_81:                             ;   in Loop: Header=BB634_82 Depth=1
	s_or_b32 exec_lo, exec_lo, s0
	s_delay_alu instid0(SALU_CYCLE_1) | instskip(NEXT) | instid1(SALU_CYCLE_1)
	s_and_b32 s0, exec_lo, s25
	s_or_b32 s23, s0, s23
	s_and_not1_b32 s0, s28, exec_lo
	s_and_b32 s28, s27, exec_lo
	s_and_not1_b32 s24, s24, exec_lo
	s_and_b32 s29, s26, exec_lo
	s_or_b32 s28, s0, s28
	s_or_b32 s24, s24, s29
	s_and_not1_b32 exec_lo, exec_lo, s23
	s_cbranch_execz .LBB634_84
.LBB634_82:                             ; =>This Inner Loop Header: Depth=1
	global_load_u16 v10, v[4:5], off
	global_load_u16 v11, v[6:7], off
	s_and_not1_b32 s26, s26, exec_lo
	s_and_not1_b32 s27, s27, exec_lo
	s_or_b32 s25, s25, exec_lo
	s_waitcnt vmcnt(0)
	v_cmp_le_i16_e32 vcc_lo, v10, v11
	v_cmp_lt_i16_e64 s0, v10, v11
	s_and_b32 s29, vcc_lo, s28
	s_delay_alu instid0(VALU_DEP_1) | instid1(SALU_CYCLE_1)
	s_or_b32 s29, s0, s29
	s_delay_alu instid0(SALU_CYCLE_1) | instskip(NEXT) | instid1(SALU_CYCLE_1)
	s_and_b32 s0, s29, exec_lo
	s_or_b32 s26, s26, s0
	s_mov_b32 s0, exec_lo
	v_cmpx_eq_u16_e64 v10, v11
	s_cbranch_execz .LBB634_81
; %bb.83:                               ;   in Loop: Header=BB634_82 Depth=1
	s_add_u32 s20, s20, -1
	s_addc_u32 s21, s21, -1
	v_add_co_u32 v4, vcc_lo, v4, 2
	s_cmp_eq_u64 s[20:21], 0
	v_add_co_ci_u32_e32 v5, vcc_lo, 0, v5, vcc_lo
	s_cselect_b32 s28, -1, 0
	s_and_not1_b32 s27, s27, exec_lo
	s_and_b32 s29, s29, exec_lo
	v_add_co_u32 v6, vcc_lo, v6, 2
	s_and_not1_b32 s25, s25, exec_lo
	s_and_b32 s28, s28, exec_lo
	v_add_co_ci_u32_e32 v7, vcc_lo, 0, v7, vcc_lo
	s_or_b32 s27, s27, s29
	s_and_not1_b32 s26, s26, exec_lo
	s_or_b32 s25, s25, s28
                                        ; implicit-def: $sgpr28
	s_branch .LBB634_81
.LBB634_84:
	s_set_inst_prefetch_distance 0x2
	s_or_b32 exec_lo, exec_lo, s23
	s_xor_b32 s0, s24, -1
	s_branch .LBB634_86
.LBB634_85:
	s_mov_b32 s0, -1
.LBB634_86:
	s_and_not1_b32 s12, s12, exec_lo
	s_and_b32 s0, s0, exec_lo
	s_delay_alu instid0(SALU_CYCLE_1)
	s_or_b32 s12, s12, s0
.LBB634_87:
	s_or_b32 exec_lo, exec_lo, s22
	v_cndmask_b32_e64 v4, v9, v8, s12
	v_cndmask_b32_e64 v5, v15, v14, s12
	s_mov_b32 s22, exec_lo
	s_delay_alu instid0(VALU_DEP_2) | instskip(NEXT) | instid1(VALU_DEP_2)
	v_add_nc_u32_e32 v6, 1, v4
	v_add_nc_u32_e32 v4, -1, v5
	s_delay_alu instid0(VALU_DEP_2) | instskip(NEXT) | instid1(VALU_DEP_2)
	v_cndmask_b32_e64 v9, v6, v9, s12
	v_min_u32_e32 v4, v6, v4
	v_cndmask_b32_e64 v8, v8, v6, s12
	s_delay_alu instid0(VALU_DEP_2)
	v_lshl_add_u32 v4, v4, 3, v16
	ds_load_b64 v[4:5], v4
	s_waitcnt lgkmcnt(0)
	v_cndmask_b32_e64 v20, v5, v3, s12
	v_cndmask_b32_e64 v21, v4, v2, s12
	;; [unrolled: 1-line block ×4, first 2 shown]
	v_cmpx_lt_u32_e64 v9, v15
	s_cbranch_execz .LBB634_98
; %bb.88:
	s_mov_b32 s0, 0
	s_mov_b32 s19, exec_lo
	v_cmpx_lt_u32_e64 v8, v14
	s_cbranch_execz .LBB634_97
; %bb.89:
	s_and_not1_b32 vcc_lo, exec_lo, s7
	s_cbranch_vccnz .LBB634_95
; %bb.90:
	v_mul_lo_u32 v10, v20, s8
	v_mul_lo_u32 v11, v21, s9
	v_mad_u64_u32 v[4:5], null, v21, s8, 0
	v_mul_lo_u32 v24, v22, s8
	v_mul_lo_u32 v25, v23, s9
	v_mad_u64_u32 v[6:7], null, v23, s8, 0
	s_mov_b32 s23, 0
	s_mov_b64 s[20:21], s[8:9]
	s_delay_alu instid0(VALU_DEP_4) | instskip(NEXT) | instid1(VALU_DEP_2)
	v_add3_u32 v5, v5, v11, v10
                                        ; implicit-def: $sgpr24
                                        ; implicit-def: $sgpr25
                                        ; implicit-def: $sgpr26
                                        ; implicit-def: $sgpr27
                                        ; implicit-def: $sgpr28
	v_add3_u32 v7, v7, v25, v24
	s_delay_alu instid0(VALU_DEP_2) | instskip(NEXT) | instid1(VALU_DEP_2)
	v_lshlrev_b64 v[4:5], 1, v[4:5]
	v_lshlrev_b64 v[6:7], 1, v[6:7]
	s_delay_alu instid0(VALU_DEP_2) | instskip(NEXT) | instid1(VALU_DEP_3)
	v_add_co_u32 v4, vcc_lo, s10, v4
	v_add_co_ci_u32_e32 v5, vcc_lo, s11, v5, vcc_lo
	s_delay_alu instid0(VALU_DEP_3) | instskip(NEXT) | instid1(VALU_DEP_4)
	v_add_co_u32 v6, vcc_lo, s10, v6
	v_add_co_ci_u32_e32 v7, vcc_lo, s11, v7, vcc_lo
	s_set_inst_prefetch_distance 0x1
	s_branch .LBB634_92
	.p2align	6
.LBB634_91:                             ;   in Loop: Header=BB634_92 Depth=1
	s_or_b32 exec_lo, exec_lo, s0
	s_delay_alu instid0(SALU_CYCLE_1) | instskip(NEXT) | instid1(SALU_CYCLE_1)
	s_and_b32 s0, exec_lo, s25
	s_or_b32 s23, s0, s23
	s_and_not1_b32 s0, s28, exec_lo
	s_and_b32 s28, s27, exec_lo
	s_and_not1_b32 s24, s24, exec_lo
	s_and_b32 s29, s26, exec_lo
	s_or_b32 s28, s0, s28
	s_or_b32 s24, s24, s29
	s_and_not1_b32 exec_lo, exec_lo, s23
	s_cbranch_execz .LBB634_94
.LBB634_92:                             ; =>This Inner Loop Header: Depth=1
	global_load_u16 v10, v[4:5], off
	global_load_u16 v11, v[6:7], off
	s_and_not1_b32 s26, s26, exec_lo
	s_and_not1_b32 s27, s27, exec_lo
	s_or_b32 s25, s25, exec_lo
	s_waitcnt vmcnt(0)
	v_cmp_le_i16_e32 vcc_lo, v10, v11
	v_cmp_lt_i16_e64 s0, v10, v11
	s_and_b32 s29, vcc_lo, s28
	s_delay_alu instid0(VALU_DEP_1) | instid1(SALU_CYCLE_1)
	s_or_b32 s29, s0, s29
	s_delay_alu instid0(SALU_CYCLE_1) | instskip(NEXT) | instid1(SALU_CYCLE_1)
	s_and_b32 s0, s29, exec_lo
	s_or_b32 s26, s26, s0
	s_mov_b32 s0, exec_lo
	v_cmpx_eq_u16_e64 v10, v11
	s_cbranch_execz .LBB634_91
; %bb.93:                               ;   in Loop: Header=BB634_92 Depth=1
	s_add_u32 s20, s20, -1
	s_addc_u32 s21, s21, -1
	v_add_co_u32 v4, vcc_lo, v4, 2
	s_cmp_eq_u64 s[20:21], 0
	v_add_co_ci_u32_e32 v5, vcc_lo, 0, v5, vcc_lo
	v_add_co_u32 v6, vcc_lo, v6, 2
	s_cselect_b32 s28, -1, 0
	v_add_co_ci_u32_e32 v7, vcc_lo, 0, v7, vcc_lo
	s_and_not1_b32 s27, s27, exec_lo
	s_and_b32 s29, s29, exec_lo
	s_and_not1_b32 s25, s25, exec_lo
	s_and_b32 s28, s28, exec_lo
	s_or_b32 s27, s27, s29
	s_and_not1_b32 s26, s26, exec_lo
	s_or_b32 s25, s25, s28
                                        ; implicit-def: $sgpr28
	s_branch .LBB634_91
.LBB634_94:
	s_set_inst_prefetch_distance 0x2
	s_or_b32 exec_lo, exec_lo, s23
	s_xor_b32 s0, s24, -1
	s_branch .LBB634_96
.LBB634_95:
	s_mov_b32 s0, -1
.LBB634_96:
	s_delay_alu instid0(SALU_CYCLE_1)
	s_and_b32 s0, s0, exec_lo
.LBB634_97:
	s_or_b32 exec_lo, exec_lo, s19
	s_delay_alu instid0(SALU_CYCLE_1)
	s_or_not1_b32 s19, s0, exec_lo
.LBB634_98:
	s_or_b32 exec_lo, exec_lo, s22
	v_cndmask_b32_e64 v4, v9, v8, s19
	v_cndmask_b32_e64 v5, v15, v14, s19
	s_mov_b32 s22, -1
	s_mov_b32 s23, exec_lo
	s_delay_alu instid0(VALU_DEP_2) | instskip(NEXT) | instid1(VALU_DEP_2)
	v_add_nc_u32_e32 v6, 1, v4
	v_add_nc_u32_e32 v4, -1, v5
	s_delay_alu instid0(VALU_DEP_2) | instskip(NEXT) | instid1(VALU_DEP_2)
	v_cndmask_b32_e64 v9, v6, v9, s19
	v_min_u32_e32 v4, v6, v4
	v_cndmask_b32_e64 v8, v8, v6, s19
	s_delay_alu instid0(VALU_DEP_2)
	v_lshl_add_u32 v4, v4, 3, v16
	ds_load_b64 v[4:5], v4
	s_waitcnt lgkmcnt(0)
	v_cndmask_b32_e64 v24, v5, v20, s19
	v_cndmask_b32_e64 v25, v4, v21, s19
	;; [unrolled: 1-line block ×4, first 2 shown]
	v_cmpx_lt_u32_e64 v9, v15
	s_cbranch_execz .LBB634_109
; %bb.99:
	s_mov_b32 s0, 0
	s_mov_b32 s22, exec_lo
	v_cmpx_lt_u32_e64 v8, v14
	s_cbranch_execz .LBB634_108
; %bb.100:
	s_and_not1_b32 vcc_lo, exec_lo, s7
	s_cbranch_vccnz .LBB634_106
; %bb.101:
	v_mul_lo_u32 v10, v24, s8
	v_mul_lo_u32 v11, v25, s9
	v_mad_u64_u32 v[4:5], null, v25, s8, 0
	v_mul_lo_u32 v42, v40, s8
	v_mul_lo_u32 v43, v41, s9
	v_mad_u64_u32 v[6:7], null, v41, s8, 0
	s_mov_b32 s24, 0
	s_mov_b64 s[20:21], s[8:9]
	s_delay_alu instid0(VALU_DEP_4) | instskip(NEXT) | instid1(VALU_DEP_2)
	v_add3_u32 v5, v5, v11, v10
                                        ; implicit-def: $sgpr25
                                        ; implicit-def: $sgpr26
                                        ; implicit-def: $sgpr27
                                        ; implicit-def: $sgpr28
                                        ; implicit-def: $sgpr29
	v_add3_u32 v7, v7, v43, v42
	s_delay_alu instid0(VALU_DEP_2) | instskip(NEXT) | instid1(VALU_DEP_2)
	v_lshlrev_b64 v[4:5], 1, v[4:5]
	v_lshlrev_b64 v[6:7], 1, v[6:7]
	s_delay_alu instid0(VALU_DEP_2) | instskip(NEXT) | instid1(VALU_DEP_3)
	v_add_co_u32 v4, vcc_lo, s10, v4
	v_add_co_ci_u32_e32 v5, vcc_lo, s11, v5, vcc_lo
	s_delay_alu instid0(VALU_DEP_3) | instskip(NEXT) | instid1(VALU_DEP_4)
	v_add_co_u32 v6, vcc_lo, s10, v6
	v_add_co_ci_u32_e32 v7, vcc_lo, s11, v7, vcc_lo
	s_set_inst_prefetch_distance 0x1
	s_branch .LBB634_103
	.p2align	6
.LBB634_102:                            ;   in Loop: Header=BB634_103 Depth=1
	s_or_b32 exec_lo, exec_lo, s0
	s_delay_alu instid0(SALU_CYCLE_1) | instskip(NEXT) | instid1(SALU_CYCLE_1)
	s_and_b32 s0, exec_lo, s26
	s_or_b32 s24, s0, s24
	s_and_not1_b32 s0, s29, exec_lo
	s_and_b32 s29, s28, exec_lo
	s_and_not1_b32 s25, s25, exec_lo
	s_and_b32 s30, s27, exec_lo
	s_or_b32 s29, s0, s29
	s_or_b32 s25, s25, s30
	s_and_not1_b32 exec_lo, exec_lo, s24
	s_cbranch_execz .LBB634_105
.LBB634_103:                            ; =>This Inner Loop Header: Depth=1
	global_load_u16 v10, v[4:5], off
	global_load_u16 v11, v[6:7], off
	s_and_not1_b32 s27, s27, exec_lo
	s_and_not1_b32 s28, s28, exec_lo
	s_or_b32 s26, s26, exec_lo
	s_waitcnt vmcnt(0)
	v_cmp_le_i16_e32 vcc_lo, v10, v11
	v_cmp_lt_i16_e64 s0, v10, v11
	s_and_b32 s30, vcc_lo, s29
	s_delay_alu instid0(VALU_DEP_1) | instid1(SALU_CYCLE_1)
	s_or_b32 s30, s0, s30
	s_delay_alu instid0(SALU_CYCLE_1) | instskip(NEXT) | instid1(SALU_CYCLE_1)
	s_and_b32 s0, s30, exec_lo
	s_or_b32 s27, s27, s0
	s_mov_b32 s0, exec_lo
	v_cmpx_eq_u16_e64 v10, v11
	s_cbranch_execz .LBB634_102
; %bb.104:                              ;   in Loop: Header=BB634_103 Depth=1
	s_add_u32 s20, s20, -1
	s_addc_u32 s21, s21, -1
	v_add_co_u32 v4, vcc_lo, v4, 2
	s_cmp_eq_u64 s[20:21], 0
	v_add_co_ci_u32_e32 v5, vcc_lo, 0, v5, vcc_lo
	v_add_co_u32 v6, vcc_lo, v6, 2
	s_cselect_b32 s29, -1, 0
	v_add_co_ci_u32_e32 v7, vcc_lo, 0, v7, vcc_lo
	s_and_not1_b32 s28, s28, exec_lo
	s_and_b32 s30, s30, exec_lo
	s_and_not1_b32 s26, s26, exec_lo
	s_and_b32 s29, s29, exec_lo
	s_or_b32 s28, s28, s30
	s_and_not1_b32 s27, s27, exec_lo
	s_or_b32 s26, s26, s29
                                        ; implicit-def: $sgpr29
	s_branch .LBB634_102
.LBB634_105:
	s_set_inst_prefetch_distance 0x2
	s_or_b32 exec_lo, exec_lo, s24
	s_xor_b32 s0, s25, -1
	s_branch .LBB634_107
.LBB634_106:
	s_mov_b32 s0, -1
.LBB634_107:
	s_delay_alu instid0(SALU_CYCLE_1)
	s_and_b32 s0, s0, exec_lo
.LBB634_108:
	s_or_b32 exec_lo, exec_lo, s22
	s_delay_alu instid0(SALU_CYCLE_1)
	s_or_not1_b32 s22, s0, exec_lo
.LBB634_109:
	s_or_b32 exec_lo, exec_lo, s23
	v_cndmask_b32_e64 v4, v9, v8, s22
	v_cndmask_b32_e64 v5, v15, v14, s22
	s_mov_b32 s23, exec_lo
	s_delay_alu instid0(VALU_DEP_2) | instskip(NEXT) | instid1(VALU_DEP_2)
	v_add_nc_u32_e32 v10, 1, v4
	v_add_nc_u32_e32 v4, -1, v5
	s_delay_alu instid0(VALU_DEP_2) | instskip(NEXT) | instid1(VALU_DEP_2)
	v_cndmask_b32_e64 v9, v10, v9, s22
	v_min_u32_e32 v4, v10, v4
	s_delay_alu instid0(VALU_DEP_1)
	v_lshl_add_u32 v4, v4, 3, v16
	ds_load_b64 v[4:5], v4
	s_waitcnt lgkmcnt(0)
	v_cndmask_b32_e64 v7, v40, v5, s22
	v_cndmask_b32_e64 v6, v41, v4, s22
	v_cmpx_lt_u32_e64 v9, v15
	s_cbranch_execz .LBB634_119
; %bb.110:
	v_cndmask_b32_e64 v8, v8, v10, s22
	v_cndmask_b32_e64 v5, v5, v24, s22
	;; [unrolled: 1-line block ×3, first 2 shown]
	s_mov_b32 s24, exec_lo
	s_delay_alu instid0(VALU_DEP_3)
	v_cmpx_lt_u32_e64 v8, v14
	s_cbranch_execz .LBB634_118
; %bb.111:
	s_and_not1_b32 vcc_lo, exec_lo, s7
	s_cbranch_vccnz .LBB634_117
; %bb.112:
	v_mul_lo_u32 v14, v5, s8
	v_mul_lo_u32 v15, v4, s9
	v_mad_u64_u32 v[8:9], null, v4, s8, 0
	v_mul_lo_u32 v42, v7, s8
	v_mul_lo_u32 v43, v6, s9
	v_mad_u64_u32 v[10:11], null, v6, s8, 0
	s_mov_b32 s25, 0
	s_mov_b64 s[20:21], s[8:9]
	s_delay_alu instid0(VALU_DEP_4) | instskip(NEXT) | instid1(VALU_DEP_2)
	v_add3_u32 v9, v9, v15, v14
                                        ; implicit-def: $sgpr26
                                        ; implicit-def: $sgpr27
                                        ; implicit-def: $sgpr28
                                        ; implicit-def: $sgpr29
                                        ; implicit-def: $sgpr30
	v_add3_u32 v11, v11, v43, v42
	s_delay_alu instid0(VALU_DEP_2) | instskip(NEXT) | instid1(VALU_DEP_2)
	v_lshlrev_b64 v[8:9], 1, v[8:9]
	v_lshlrev_b64 v[10:11], 1, v[10:11]
	s_delay_alu instid0(VALU_DEP_2) | instskip(NEXT) | instid1(VALU_DEP_3)
	v_add_co_u32 v8, vcc_lo, s10, v8
	v_add_co_ci_u32_e32 v9, vcc_lo, s11, v9, vcc_lo
	s_delay_alu instid0(VALU_DEP_3) | instskip(NEXT) | instid1(VALU_DEP_4)
	v_add_co_u32 v10, vcc_lo, s10, v10
	v_add_co_ci_u32_e32 v11, vcc_lo, s11, v11, vcc_lo
	s_set_inst_prefetch_distance 0x1
	s_branch .LBB634_114
	.p2align	6
.LBB634_113:                            ;   in Loop: Header=BB634_114 Depth=1
	s_or_b32 exec_lo, exec_lo, s0
	s_delay_alu instid0(SALU_CYCLE_1) | instskip(NEXT) | instid1(SALU_CYCLE_1)
	s_and_b32 s0, exec_lo, s27
	s_or_b32 s25, s0, s25
	s_and_not1_b32 s0, s30, exec_lo
	s_and_b32 s30, s29, exec_lo
	s_and_not1_b32 s26, s26, exec_lo
	s_and_b32 s31, s28, exec_lo
	s_or_b32 s30, s0, s30
	s_or_b32 s26, s26, s31
	s_and_not1_b32 exec_lo, exec_lo, s25
	s_cbranch_execz .LBB634_116
.LBB634_114:                            ; =>This Inner Loop Header: Depth=1
	global_load_u16 v14, v[8:9], off
	global_load_u16 v15, v[10:11], off
	s_and_not1_b32 s28, s28, exec_lo
	s_and_not1_b32 s29, s29, exec_lo
	s_or_b32 s27, s27, exec_lo
	s_waitcnt vmcnt(0)
	v_cmp_le_i16_e32 vcc_lo, v14, v15
	v_cmp_lt_i16_e64 s0, v14, v15
	s_and_b32 s31, vcc_lo, s30
	s_delay_alu instid0(VALU_DEP_1) | instid1(SALU_CYCLE_1)
	s_or_b32 s31, s0, s31
	s_delay_alu instid0(SALU_CYCLE_1) | instskip(NEXT) | instid1(SALU_CYCLE_1)
	s_and_b32 s0, s31, exec_lo
	s_or_b32 s28, s28, s0
	s_mov_b32 s0, exec_lo
	v_cmpx_eq_u16_e64 v14, v15
	s_cbranch_execz .LBB634_113
; %bb.115:                              ;   in Loop: Header=BB634_114 Depth=1
	s_add_u32 s20, s20, -1
	s_addc_u32 s21, s21, -1
	v_add_co_u32 v8, vcc_lo, v8, 2
	s_cmp_eq_u64 s[20:21], 0
	v_add_co_ci_u32_e32 v9, vcc_lo, 0, v9, vcc_lo
	v_add_co_u32 v10, vcc_lo, v10, 2
	s_cselect_b32 s30, -1, 0
	v_add_co_ci_u32_e32 v11, vcc_lo, 0, v11, vcc_lo
	s_and_not1_b32 s29, s29, exec_lo
	s_and_b32 s31, s31, exec_lo
	s_and_not1_b32 s27, s27, exec_lo
	s_and_b32 s30, s30, exec_lo
	s_or_b32 s29, s29, s31
	s_and_not1_b32 s28, s28, exec_lo
	s_or_b32 s27, s27, s30
                                        ; implicit-def: $sgpr30
	s_branch .LBB634_113
.LBB634_116:
	s_set_inst_prefetch_distance 0x2
	s_or_b32 exec_lo, exec_lo, s25
	v_cndmask_b32_e64 v7, v7, v5, s26
	v_cndmask_b32_e64 v6, v6, v4, s26
.LBB634_117:
	s_delay_alu instid0(VALU_DEP_1)
	v_dual_mov_b32 v4, v6 :: v_dual_mov_b32 v5, v7
.LBB634_118:
	s_or_b32 exec_lo, exec_lo, s24
	s_delay_alu instid0(VALU_DEP_1)
	v_dual_mov_b32 v7, v5 :: v_dual_mov_b32 v6, v4
.LBB634_119:
	s_or_b32 exec_lo, exec_lo, s23
	v_cndmask_b32_e64 v1, v3, v1, s12
	v_cndmask_b32_e64 v0, v2, v0, s12
	v_cndmask_b32_e64 v3, v20, v22, s19
	v_cndmask_b32_e64 v2, v21, v23, s19
	v_cndmask_b32_e64 v5, v24, v40, s22
	v_cndmask_b32_e64 v4, v25, v41, s22
.LBB634_120:
	s_or_b32 exec_lo, exec_lo, s1
	v_and_b32_e32 v22, 0x70, v18
	v_and_b32_e32 v9, 12, v18
	s_mov_b32 s1, exec_lo
	; wave barrier
	s_delay_alu instid0(VALU_DEP_2) | instskip(NEXT) | instid1(VALU_DEP_2)
	v_or_b32_e32 v8, 8, v22
	v_min_u32_e32 v23, v17, v9
	v_lshl_add_u32 v21, v22, 3, v16
	ds_store_b128 v19, v[0:3]
	ds_store_b128 v19, v[4:7] offset:16
	v_min_u32_e32 v14, v17, v8
	; wave barrier
	s_delay_alu instid0(VALU_DEP_1) | instskip(SKIP_1) | instid1(VALU_DEP_2)
	v_add_nc_u32_e32 v8, 8, v14
	v_sub_nc_u32_e32 v9, v14, v22
	v_min_u32_e32 v15, v17, v8
	s_delay_alu instid0(VALU_DEP_2) | instskip(NEXT) | instid1(VALU_DEP_2)
	v_min_u32_e32 v24, v23, v9
	v_sub_nc_u32_e32 v8, v15, v14
	s_delay_alu instid0(VALU_DEP_1) | instskip(NEXT) | instid1(VALU_DEP_1)
	v_sub_nc_u32_e64 v20, v23, v8 clamp
	v_cmpx_lt_u32_e64 v20, v24
	s_cbranch_execz .LBB634_130
; %bb.121:
	v_lshlrev_b32_e32 v8, 3, v14
	v_lshlrev_b32_e32 v9, 3, v23
	s_lshl_b64 s[20:21], s[8:9], 1
	s_mov_b32 s12, 0
	s_delay_alu instid0(VALU_DEP_1)
	v_add3_u32 v25, v16, v8, v9
	s_branch .LBB634_124
.LBB634_122:                            ;   in Loop: Header=BB634_124 Depth=1
	s_set_inst_prefetch_distance 0x2
	s_or_b32 exec_lo, exec_lo, s19
.LBB634_123:                            ;   in Loop: Header=BB634_124 Depth=1
	s_delay_alu instid0(VALU_DEP_1) | instskip(SKIP_1) | instid1(VALU_DEP_2)
	v_add_nc_u32_e32 v8, 1, v40
	v_cndmask_b32_e64 v24, v24, v40, s24
	v_cndmask_b32_e64 v20, v8, v20, s24
	s_delay_alu instid0(VALU_DEP_1) | instskip(SKIP_1) | instid1(SALU_CYCLE_1)
	v_cmp_ge_u32_e32 vcc_lo, v20, v24
	s_or_b32 s12, vcc_lo, s12
	s_and_not1_b32 exec_lo, exec_lo, s12
	s_cbranch_execz .LBB634_129
.LBB634_124:                            ; =>This Loop Header: Depth=1
                                        ;     Child Loop BB634_127 Depth 2
	v_add_nc_u32_e32 v8, v24, v20
	s_and_not1_b32 vcc_lo, exec_lo, s7
	s_mov_b32 s24, 0
	s_delay_alu instid0(VALU_DEP_1)
	v_lshrrev_b32_e32 v40, 1, v8
	s_cbranch_vccnz .LBB634_123
; %bb.125:                              ;   in Loop: Header=BB634_124 Depth=1
	s_delay_alu instid0(VALU_DEP_1) | instskip(SKIP_3) | instid1(VALU_DEP_2)
	v_not_b32_e32 v8, v40
	v_lshl_add_u32 v9, v40, 3, v21
	s_mov_b32 s19, 0
	s_mov_b64 s[22:23], s[8:9]
                                        ; implicit-def: $sgpr24
                                        ; implicit-def: $sgpr25
                                        ; implicit-def: $sgpr26
                                        ; implicit-def: $sgpr27
                                        ; implicit-def: $sgpr28
	v_lshl_add_u32 v8, v8, 3, v25
	ds_load_b64 v[10:11], v8
	ds_load_b64 v[41:42], v9
	s_waitcnt lgkmcnt(1)
	v_mul_lo_u32 v43, s20, v11
	v_mul_lo_u32 v44, s21, v10
	v_mad_u64_u32 v[8:9], null, s20, v10, s[10:11]
	s_waitcnt lgkmcnt(0)
	v_mul_lo_u32 v42, s20, v42
	v_mul_lo_u32 v45, s21, v41
	v_mad_u64_u32 v[10:11], null, s20, v41, s[10:11]
	s_delay_alu instid0(VALU_DEP_4) | instskip(NEXT) | instid1(VALU_DEP_2)
	v_add3_u32 v9, v44, v9, v43
	v_add3_u32 v11, v45, v11, v42
	s_set_inst_prefetch_distance 0x1
	s_branch .LBB634_127
	.p2align	6
.LBB634_126:                            ;   in Loop: Header=BB634_127 Depth=2
	s_or_b32 exec_lo, exec_lo, s29
	s_delay_alu instid0(SALU_CYCLE_1) | instskip(NEXT) | instid1(SALU_CYCLE_1)
	s_and_b32 s0, exec_lo, s25
	s_or_b32 s19, s0, s19
	s_and_not1_b32 s0, s28, exec_lo
	s_and_b32 s28, s26, exec_lo
	s_and_not1_b32 s24, s24, exec_lo
	s_and_b32 s29, s27, exec_lo
	s_or_b32 s28, s0, s28
	s_or_b32 s24, s24, s29
	s_and_not1_b32 exec_lo, exec_lo, s19
	s_cbranch_execz .LBB634_122
.LBB634_127:                            ;   Parent Loop BB634_124 Depth=1
                                        ; =>  This Inner Loop Header: Depth=2
	global_load_u16 v41, v[8:9], off
	global_load_u16 v42, v[10:11], off
	s_and_not1_b32 s27, s27, exec_lo
	s_and_not1_b32 s26, s26, exec_lo
	s_or_b32 s25, s25, exec_lo
	s_waitcnt vmcnt(0)
	v_cmp_le_i16_e32 vcc_lo, v41, v42
	v_cmp_lt_i16_e64 s0, v41, v42
	s_and_b32 s29, vcc_lo, s28
	s_delay_alu instid0(VALU_DEP_1) | instid1(SALU_CYCLE_1)
	s_or_b32 s0, s0, s29
	s_delay_alu instid0(SALU_CYCLE_1) | instskip(NEXT) | instid1(SALU_CYCLE_1)
	s_and_b32 s29, s0, exec_lo
	s_or_b32 s27, s27, s29
	s_mov_b32 s29, exec_lo
	v_cmpx_eq_u16_e64 v41, v42
	s_cbranch_execz .LBB634_126
; %bb.128:                              ;   in Loop: Header=BB634_127 Depth=2
	s_add_u32 s22, s22, -1
	s_addc_u32 s23, s23, -1
	v_add_co_u32 v8, vcc_lo, v8, 2
	v_add_co_ci_u32_e32 v9, vcc_lo, 0, v9, vcc_lo
	s_cmp_eq_u64 s[22:23], 0
	v_add_co_u32 v10, vcc_lo, v10, 2
	s_cselect_b32 s28, -1, 0
	v_add_co_ci_u32_e32 v11, vcc_lo, 0, v11, vcc_lo
	s_and_not1_b32 s26, s26, exec_lo
	s_and_b32 s0, s0, exec_lo
	s_and_not1_b32 s25, s25, exec_lo
	s_and_b32 s28, s28, exec_lo
	s_and_not1_b32 s27, s27, exec_lo
	s_or_b32 s26, s26, s0
	s_or_b32 s25, s25, s28
                                        ; implicit-def: $sgpr28
	s_branch .LBB634_126
.LBB634_129:
	s_or_b32 exec_lo, exec_lo, s12
.LBB634_130:
	s_delay_alu instid0(SALU_CYCLE_1) | instskip(SKIP_2) | instid1(VALU_DEP_2)
	s_or_b32 exec_lo, exec_lo, s1
	v_add_nc_u32_e32 v9, v14, v23
	v_add_nc_u32_e32 v8, v20, v22
	v_sub_nc_u32_e32 v9, v9, v20
	s_delay_alu instid0(VALU_DEP_2) | instskip(NEXT) | instid1(VALU_DEP_2)
	v_cmp_le_u32_e32 vcc_lo, v8, v14
	v_cmp_le_u32_e64 s0, v9, v15
	s_delay_alu instid0(VALU_DEP_1) | instskip(NEXT) | instid1(SALU_CYCLE_1)
	s_or_b32 s0, vcc_lo, s0
	s_and_saveexec_b32 s1, s0
	s_cbranch_execz .LBB634_177
; %bb.131:
	v_cmp_ge_u32_e32 vcc_lo, v8, v14
	s_mov_b32 s12, exec_lo
                                        ; implicit-def: $vgpr0_vgpr1
	v_cmpx_lt_u32_e64 v8, v14
	s_cbranch_execz .LBB634_133
; %bb.132:
	v_lshl_add_u32 v0, v20, 3, v21
	ds_load_b64 v[0:1], v0
.LBB634_133:
	s_or_b32 exec_lo, exec_lo, s12
	v_cmp_ge_u32_e64 s12, v9, v15
	s_mov_b32 s19, exec_lo
                                        ; implicit-def: $vgpr4_vgpr5
	v_cmpx_lt_u32_e64 v9, v15
	s_cbranch_execz .LBB634_135
; %bb.134:
	v_lshl_add_u32 v2, v9, 3, v16
	ds_load_b64 v[4:5], v2
.LBB634_135:
	s_or_b32 exec_lo, exec_lo, s19
	s_or_b32 s0, vcc_lo, s12
	s_mov_b32 s19, -1
	s_xor_b32 s0, s0, -1
	s_delay_alu instid0(SALU_CYCLE_1)
	s_and_saveexec_b32 s22, s0
	s_cbranch_execz .LBB634_144
; %bb.136:
	s_and_not1_b32 vcc_lo, exec_lo, s7
	s_cbranch_vccnz .LBB634_142
; %bb.137:
	s_waitcnt lgkmcnt(0)
	v_mul_lo_u32 v10, v5, s8
	v_mul_lo_u32 v11, v4, s9
	v_mad_u64_u32 v[2:3], null, v4, s8, 0
	v_mul_lo_u32 v20, v1, s8
	v_mul_lo_u32 v21, v0, s9
	v_mad_u64_u32 v[6:7], null, v0, s8, 0
	s_mov_b32 s23, 0
	s_mov_b64 s[20:21], s[8:9]
	s_delay_alu instid0(VALU_DEP_4) | instskip(NEXT) | instid1(VALU_DEP_2)
	v_add3_u32 v3, v3, v11, v10
                                        ; implicit-def: $sgpr24
                                        ; implicit-def: $sgpr25
                                        ; implicit-def: $sgpr26
                                        ; implicit-def: $sgpr27
                                        ; implicit-def: $sgpr28
	v_add3_u32 v7, v7, v21, v20
	s_delay_alu instid0(VALU_DEP_2) | instskip(NEXT) | instid1(VALU_DEP_2)
	v_lshlrev_b64 v[2:3], 1, v[2:3]
	v_lshlrev_b64 v[6:7], 1, v[6:7]
	s_delay_alu instid0(VALU_DEP_2) | instskip(NEXT) | instid1(VALU_DEP_3)
	v_add_co_u32 v2, vcc_lo, s10, v2
	v_add_co_ci_u32_e32 v3, vcc_lo, s11, v3, vcc_lo
	s_delay_alu instid0(VALU_DEP_3) | instskip(NEXT) | instid1(VALU_DEP_4)
	v_add_co_u32 v6, vcc_lo, s10, v6
	v_add_co_ci_u32_e32 v7, vcc_lo, s11, v7, vcc_lo
	s_set_inst_prefetch_distance 0x1
	s_branch .LBB634_139
	.p2align	6
.LBB634_138:                            ;   in Loop: Header=BB634_139 Depth=1
	s_or_b32 exec_lo, exec_lo, s0
	s_delay_alu instid0(SALU_CYCLE_1) | instskip(NEXT) | instid1(SALU_CYCLE_1)
	s_and_b32 s0, exec_lo, s25
	s_or_b32 s23, s0, s23
	s_and_not1_b32 s0, s28, exec_lo
	s_and_b32 s28, s27, exec_lo
	s_and_not1_b32 s24, s24, exec_lo
	s_and_b32 s29, s26, exec_lo
	s_or_b32 s28, s0, s28
	s_or_b32 s24, s24, s29
	s_and_not1_b32 exec_lo, exec_lo, s23
	s_cbranch_execz .LBB634_141
.LBB634_139:                            ; =>This Inner Loop Header: Depth=1
	global_load_u16 v10, v[2:3], off
	global_load_u16 v11, v[6:7], off
	s_and_not1_b32 s26, s26, exec_lo
	s_and_not1_b32 s27, s27, exec_lo
	s_or_b32 s25, s25, exec_lo
	s_waitcnt vmcnt(0)
	v_cmp_le_i16_e32 vcc_lo, v10, v11
	v_cmp_lt_i16_e64 s0, v10, v11
	s_and_b32 s29, vcc_lo, s28
	s_delay_alu instid0(VALU_DEP_1) | instid1(SALU_CYCLE_1)
	s_or_b32 s29, s0, s29
	s_delay_alu instid0(SALU_CYCLE_1) | instskip(NEXT) | instid1(SALU_CYCLE_1)
	s_and_b32 s0, s29, exec_lo
	s_or_b32 s26, s26, s0
	s_mov_b32 s0, exec_lo
	v_cmpx_eq_u16_e64 v10, v11
	s_cbranch_execz .LBB634_138
; %bb.140:                              ;   in Loop: Header=BB634_139 Depth=1
	s_add_u32 s20, s20, -1
	s_addc_u32 s21, s21, -1
	v_add_co_u32 v2, vcc_lo, v2, 2
	s_cmp_eq_u64 s[20:21], 0
	v_add_co_ci_u32_e32 v3, vcc_lo, 0, v3, vcc_lo
	v_add_co_u32 v6, vcc_lo, v6, 2
	s_cselect_b32 s28, -1, 0
	v_add_co_ci_u32_e32 v7, vcc_lo, 0, v7, vcc_lo
	s_and_not1_b32 s27, s27, exec_lo
	s_and_b32 s29, s29, exec_lo
	s_and_not1_b32 s25, s25, exec_lo
	s_and_b32 s28, s28, exec_lo
	s_or_b32 s27, s27, s29
	s_and_not1_b32 s26, s26, exec_lo
	s_or_b32 s25, s25, s28
                                        ; implicit-def: $sgpr28
	s_branch .LBB634_138
.LBB634_141:
	s_set_inst_prefetch_distance 0x2
	s_or_b32 exec_lo, exec_lo, s23
	s_xor_b32 s0, s24, -1
	s_branch .LBB634_143
.LBB634_142:
	s_mov_b32 s0, -1
.LBB634_143:
	s_and_not1_b32 s12, s12, exec_lo
	s_and_b32 s0, s0, exec_lo
	s_delay_alu instid0(SALU_CYCLE_1)
	s_or_b32 s12, s12, s0
.LBB634_144:
	s_or_b32 exec_lo, exec_lo, s22
	v_cndmask_b32_e64 v2, v9, v8, s12
	v_cndmask_b32_e64 v3, v15, v14, s12
	s_mov_b32 s22, exec_lo
	s_delay_alu instid0(VALU_DEP_2) | instskip(NEXT) | instid1(VALU_DEP_2)
	v_add_nc_u32_e32 v6, 1, v2
	v_add_nc_u32_e32 v2, -1, v3
	s_delay_alu instid0(VALU_DEP_2) | instskip(NEXT) | instid1(VALU_DEP_2)
	v_cndmask_b32_e64 v9, v6, v9, s12
	v_min_u32_e32 v2, v6, v2
	v_cndmask_b32_e64 v8, v8, v6, s12
	s_delay_alu instid0(VALU_DEP_2)
	v_lshl_add_u32 v2, v2, 3, v16
	ds_load_b64 v[2:3], v2
	s_waitcnt lgkmcnt(0)
	v_cndmask_b32_e64 v10, v3, v5, s12
	v_cndmask_b32_e64 v11, v2, v4, s12
	;; [unrolled: 1-line block ×4, first 2 shown]
	v_cmpx_lt_u32_e64 v9, v15
	s_cbranch_execz .LBB634_155
; %bb.145:
	s_mov_b32 s0, 0
	s_mov_b32 s19, exec_lo
	v_cmpx_lt_u32_e64 v8, v14
	s_cbranch_execz .LBB634_154
; %bb.146:
	s_and_not1_b32 vcc_lo, exec_lo, s7
	s_cbranch_vccnz .LBB634_152
; %bb.147:
	v_mul_lo_u32 v22, v10, s8
	v_mul_lo_u32 v23, v11, s9
	v_mad_u64_u32 v[2:3], null, v11, s8, 0
	v_mul_lo_u32 v24, v20, s8
	v_mul_lo_u32 v25, v21, s9
	v_mad_u64_u32 v[6:7], null, v21, s8, 0
	s_mov_b32 s23, 0
	s_mov_b64 s[20:21], s[8:9]
	s_delay_alu instid0(VALU_DEP_4) | instskip(NEXT) | instid1(VALU_DEP_2)
	v_add3_u32 v3, v3, v23, v22
                                        ; implicit-def: $sgpr24
                                        ; implicit-def: $sgpr25
                                        ; implicit-def: $sgpr26
                                        ; implicit-def: $sgpr27
                                        ; implicit-def: $sgpr28
	v_add3_u32 v7, v7, v25, v24
	s_delay_alu instid0(VALU_DEP_2) | instskip(NEXT) | instid1(VALU_DEP_2)
	v_lshlrev_b64 v[2:3], 1, v[2:3]
	v_lshlrev_b64 v[6:7], 1, v[6:7]
	s_delay_alu instid0(VALU_DEP_2) | instskip(NEXT) | instid1(VALU_DEP_3)
	v_add_co_u32 v2, vcc_lo, s10, v2
	v_add_co_ci_u32_e32 v3, vcc_lo, s11, v3, vcc_lo
	s_delay_alu instid0(VALU_DEP_3) | instskip(NEXT) | instid1(VALU_DEP_4)
	v_add_co_u32 v6, vcc_lo, s10, v6
	v_add_co_ci_u32_e32 v7, vcc_lo, s11, v7, vcc_lo
	s_set_inst_prefetch_distance 0x1
	s_branch .LBB634_149
	.p2align	6
.LBB634_148:                            ;   in Loop: Header=BB634_149 Depth=1
	s_or_b32 exec_lo, exec_lo, s0
	s_delay_alu instid0(SALU_CYCLE_1) | instskip(NEXT) | instid1(SALU_CYCLE_1)
	s_and_b32 s0, exec_lo, s25
	s_or_b32 s23, s0, s23
	s_and_not1_b32 s0, s28, exec_lo
	s_and_b32 s28, s27, exec_lo
	s_and_not1_b32 s24, s24, exec_lo
	s_and_b32 s29, s26, exec_lo
	s_or_b32 s28, s0, s28
	s_or_b32 s24, s24, s29
	s_and_not1_b32 exec_lo, exec_lo, s23
	s_cbranch_execz .LBB634_151
.LBB634_149:                            ; =>This Inner Loop Header: Depth=1
	global_load_u16 v22, v[2:3], off
	global_load_u16 v23, v[6:7], off
	s_and_not1_b32 s26, s26, exec_lo
	s_and_not1_b32 s27, s27, exec_lo
	s_or_b32 s25, s25, exec_lo
	s_waitcnt vmcnt(0)
	v_cmp_le_i16_e32 vcc_lo, v22, v23
	v_cmp_lt_i16_e64 s0, v22, v23
	s_and_b32 s29, vcc_lo, s28
	s_delay_alu instid0(VALU_DEP_1) | instid1(SALU_CYCLE_1)
	s_or_b32 s29, s0, s29
	s_delay_alu instid0(SALU_CYCLE_1) | instskip(NEXT) | instid1(SALU_CYCLE_1)
	s_and_b32 s0, s29, exec_lo
	s_or_b32 s26, s26, s0
	s_mov_b32 s0, exec_lo
	v_cmpx_eq_u16_e64 v22, v23
	s_cbranch_execz .LBB634_148
; %bb.150:                              ;   in Loop: Header=BB634_149 Depth=1
	s_add_u32 s20, s20, -1
	s_addc_u32 s21, s21, -1
	v_add_co_u32 v2, vcc_lo, v2, 2
	s_cmp_eq_u64 s[20:21], 0
	v_add_co_ci_u32_e32 v3, vcc_lo, 0, v3, vcc_lo
	v_add_co_u32 v6, vcc_lo, v6, 2
	s_cselect_b32 s28, -1, 0
	v_add_co_ci_u32_e32 v7, vcc_lo, 0, v7, vcc_lo
	s_and_not1_b32 s27, s27, exec_lo
	s_and_b32 s29, s29, exec_lo
	s_and_not1_b32 s25, s25, exec_lo
	s_and_b32 s28, s28, exec_lo
	s_or_b32 s27, s27, s29
	s_and_not1_b32 s26, s26, exec_lo
	s_or_b32 s25, s25, s28
                                        ; implicit-def: $sgpr28
	s_branch .LBB634_148
.LBB634_151:
	s_set_inst_prefetch_distance 0x2
	s_or_b32 exec_lo, exec_lo, s23
	s_xor_b32 s0, s24, -1
	s_branch .LBB634_153
.LBB634_152:
	s_mov_b32 s0, -1
.LBB634_153:
	s_delay_alu instid0(SALU_CYCLE_1)
	s_and_b32 s0, s0, exec_lo
.LBB634_154:
	s_or_b32 exec_lo, exec_lo, s19
	s_delay_alu instid0(SALU_CYCLE_1)
	s_or_not1_b32 s19, s0, exec_lo
.LBB634_155:
	s_or_b32 exec_lo, exec_lo, s22
	v_cndmask_b32_e64 v2, v9, v8, s19
	v_cndmask_b32_e64 v3, v15, v14, s19
	s_mov_b32 s0, -1
	s_mov_b32 s22, exec_lo
	s_delay_alu instid0(VALU_DEP_2) | instskip(NEXT) | instid1(VALU_DEP_2)
	v_add_nc_u32_e32 v6, 1, v2
	v_add_nc_u32_e32 v2, -1, v3
	s_delay_alu instid0(VALU_DEP_2) | instskip(NEXT) | instid1(VALU_DEP_2)
	v_cndmask_b32_e64 v25, v6, v9, s19
	v_min_u32_e32 v2, v6, v2
	v_cndmask_b32_e64 v22, v8, v6, s19
	s_delay_alu instid0(VALU_DEP_2)
	v_lshl_add_u32 v2, v2, 3, v16
	ds_load_b64 v[2:3], v2
	s_waitcnt lgkmcnt(0)
	v_cndmask_b32_e64 v23, v3, v10, s19
	v_cndmask_b32_e64 v24, v2, v11, s19
	v_cndmask_b32_e64 v40, v20, v3, s19
	v_cndmask_b32_e64 v41, v21, v2, s19
	v_cmpx_lt_u32_e64 v25, v15
	s_cbranch_execz .LBB634_166
; %bb.156:
	s_mov_b32 s0, 0
	s_mov_b32 s23, exec_lo
	v_cmpx_lt_u32_e64 v22, v14
	s_cbranch_execz .LBB634_165
; %bb.157:
	s_and_not1_b32 vcc_lo, exec_lo, s7
	s_cbranch_vccnz .LBB634_163
; %bb.158:
	v_mul_lo_u32 v8, v23, s8
	v_mul_lo_u32 v9, v24, s9
	v_mad_u64_u32 v[2:3], null, v24, s8, 0
	v_mul_lo_u32 v42, v40, s8
	v_mul_lo_u32 v43, v41, s9
	v_mad_u64_u32 v[6:7], null, v41, s8, 0
	s_mov_b32 s24, 0
	s_mov_b64 s[20:21], s[8:9]
	s_delay_alu instid0(VALU_DEP_4) | instskip(NEXT) | instid1(VALU_DEP_2)
	v_add3_u32 v3, v3, v9, v8
                                        ; implicit-def: $sgpr25
                                        ; implicit-def: $sgpr26
                                        ; implicit-def: $sgpr27
                                        ; implicit-def: $sgpr28
                                        ; implicit-def: $sgpr29
	v_add3_u32 v7, v7, v43, v42
	s_delay_alu instid0(VALU_DEP_2) | instskip(NEXT) | instid1(VALU_DEP_2)
	v_lshlrev_b64 v[2:3], 1, v[2:3]
	v_lshlrev_b64 v[6:7], 1, v[6:7]
	s_delay_alu instid0(VALU_DEP_2) | instskip(NEXT) | instid1(VALU_DEP_3)
	v_add_co_u32 v2, vcc_lo, s10, v2
	v_add_co_ci_u32_e32 v3, vcc_lo, s11, v3, vcc_lo
	s_delay_alu instid0(VALU_DEP_3) | instskip(NEXT) | instid1(VALU_DEP_4)
	v_add_co_u32 v6, vcc_lo, s10, v6
	v_add_co_ci_u32_e32 v7, vcc_lo, s11, v7, vcc_lo
	s_set_inst_prefetch_distance 0x1
	s_branch .LBB634_160
	.p2align	6
.LBB634_159:                            ;   in Loop: Header=BB634_160 Depth=1
	s_or_b32 exec_lo, exec_lo, s0
	s_delay_alu instid0(SALU_CYCLE_1) | instskip(NEXT) | instid1(SALU_CYCLE_1)
	s_and_b32 s0, exec_lo, s26
	s_or_b32 s24, s0, s24
	s_and_not1_b32 s0, s29, exec_lo
	s_and_b32 s29, s28, exec_lo
	s_and_not1_b32 s25, s25, exec_lo
	s_and_b32 s30, s27, exec_lo
	s_or_b32 s29, s0, s29
	s_or_b32 s25, s25, s30
	s_and_not1_b32 exec_lo, exec_lo, s24
	s_cbranch_execz .LBB634_162
.LBB634_160:                            ; =>This Inner Loop Header: Depth=1
	global_load_u16 v8, v[2:3], off
	global_load_u16 v9, v[6:7], off
	s_and_not1_b32 s27, s27, exec_lo
	s_and_not1_b32 s28, s28, exec_lo
	s_or_b32 s26, s26, exec_lo
	s_waitcnt vmcnt(0)
	v_cmp_le_i16_e32 vcc_lo, v8, v9
	v_cmp_lt_i16_e64 s0, v8, v9
	s_and_b32 s30, vcc_lo, s29
	s_delay_alu instid0(VALU_DEP_1) | instid1(SALU_CYCLE_1)
	s_or_b32 s30, s0, s30
	s_delay_alu instid0(SALU_CYCLE_1) | instskip(NEXT) | instid1(SALU_CYCLE_1)
	s_and_b32 s0, s30, exec_lo
	s_or_b32 s27, s27, s0
	s_mov_b32 s0, exec_lo
	v_cmpx_eq_u16_e64 v8, v9
	s_cbranch_execz .LBB634_159
; %bb.161:                              ;   in Loop: Header=BB634_160 Depth=1
	s_add_u32 s20, s20, -1
	s_addc_u32 s21, s21, -1
	v_add_co_u32 v2, vcc_lo, v2, 2
	s_cmp_eq_u64 s[20:21], 0
	v_add_co_ci_u32_e32 v3, vcc_lo, 0, v3, vcc_lo
	v_add_co_u32 v6, vcc_lo, v6, 2
	s_cselect_b32 s29, -1, 0
	v_add_co_ci_u32_e32 v7, vcc_lo, 0, v7, vcc_lo
	s_and_not1_b32 s28, s28, exec_lo
	s_and_b32 s30, s30, exec_lo
	s_and_not1_b32 s26, s26, exec_lo
	s_and_b32 s29, s29, exec_lo
	s_or_b32 s28, s28, s30
	s_and_not1_b32 s27, s27, exec_lo
	s_or_b32 s26, s26, s29
                                        ; implicit-def: $sgpr29
	s_branch .LBB634_159
.LBB634_162:
	s_set_inst_prefetch_distance 0x2
	s_or_b32 exec_lo, exec_lo, s24
	s_xor_b32 s0, s25, -1
	s_branch .LBB634_164
.LBB634_163:
	s_mov_b32 s0, -1
.LBB634_164:
	s_delay_alu instid0(SALU_CYCLE_1)
	s_and_b32 s0, s0, exec_lo
.LBB634_165:
	s_or_b32 exec_lo, exec_lo, s23
	s_delay_alu instid0(SALU_CYCLE_1)
	s_or_not1_b32 s0, s0, exec_lo
.LBB634_166:
	s_or_b32 exec_lo, exec_lo, s22
	v_cndmask_b32_e64 v2, v25, v22, s0
	v_cndmask_b32_e64 v3, v15, v14, s0
	;; [unrolled: 1-line block ×5, first 2 shown]
	v_add_nc_u32_e32 v42, 1, v2
	v_add_nc_u32_e32 v2, -1, v3
	v_cndmask_b32_e64 v3, v10, v20, s19
	v_cndmask_b32_e64 v4, v24, v41, s0
	s_mov_b32 s12, exec_lo
	v_cndmask_b32_e64 v10, v42, v25, s0
	v_min_u32_e32 v2, v42, v2
	s_delay_alu instid0(VALU_DEP_1)
	v_lshl_add_u32 v2, v2, 3, v16
	ds_load_b64 v[8:9], v2
	v_cndmask_b32_e64 v2, v11, v21, s19
	s_waitcnt lgkmcnt(0)
	v_cndmask_b32_e64 v7, v40, v9, s0
	v_cndmask_b32_e64 v6, v41, v8, s0
	v_cmpx_lt_u32_e64 v10, v15
	s_cbranch_execz .LBB634_176
; %bb.167:
	v_cndmask_b32_e64 v10, v22, v42, s0
	v_cndmask_b32_e64 v9, v9, v23, s0
	;; [unrolled: 1-line block ×3, first 2 shown]
	s_mov_b32 s19, exec_lo
	s_delay_alu instid0(VALU_DEP_3)
	v_cmpx_lt_u32_e64 v10, v14
	s_cbranch_execz .LBB634_175
; %bb.168:
	s_and_not1_b32 vcc_lo, exec_lo, s7
	s_cbranch_vccnz .LBB634_174
; %bb.169:
	v_mul_lo_u32 v20, v9, s8
	v_mul_lo_u32 v21, v8, s9
	v_mad_u64_u32 v[10:11], null, v8, s8, 0
	v_mul_lo_u32 v22, v7, s8
	v_mul_lo_u32 v23, v6, s9
	v_mad_u64_u32 v[14:15], null, v6, s8, 0
	s_mov_b32 s22, 0
	s_mov_b64 s[20:21], s[8:9]
	s_delay_alu instid0(VALU_DEP_4) | instskip(NEXT) | instid1(VALU_DEP_2)
	v_add3_u32 v11, v11, v21, v20
                                        ; implicit-def: $sgpr23
                                        ; implicit-def: $sgpr24
                                        ; implicit-def: $sgpr25
                                        ; implicit-def: $sgpr26
                                        ; implicit-def: $sgpr27
	v_add3_u32 v15, v15, v23, v22
	s_delay_alu instid0(VALU_DEP_2) | instskip(NEXT) | instid1(VALU_DEP_2)
	v_lshlrev_b64 v[10:11], 1, v[10:11]
	v_lshlrev_b64 v[14:15], 1, v[14:15]
	s_delay_alu instid0(VALU_DEP_2) | instskip(NEXT) | instid1(VALU_DEP_3)
	v_add_co_u32 v10, vcc_lo, s10, v10
	v_add_co_ci_u32_e32 v11, vcc_lo, s11, v11, vcc_lo
	s_delay_alu instid0(VALU_DEP_3) | instskip(NEXT) | instid1(VALU_DEP_4)
	v_add_co_u32 v14, vcc_lo, s10, v14
	v_add_co_ci_u32_e32 v15, vcc_lo, s11, v15, vcc_lo
	s_set_inst_prefetch_distance 0x1
	s_branch .LBB634_171
	.p2align	6
.LBB634_170:                            ;   in Loop: Header=BB634_171 Depth=1
	s_or_b32 exec_lo, exec_lo, s0
	s_delay_alu instid0(SALU_CYCLE_1) | instskip(NEXT) | instid1(SALU_CYCLE_1)
	s_and_b32 s0, exec_lo, s24
	s_or_b32 s22, s0, s22
	s_and_not1_b32 s0, s27, exec_lo
	s_and_b32 s27, s26, exec_lo
	s_and_not1_b32 s23, s23, exec_lo
	s_and_b32 s28, s25, exec_lo
	s_or_b32 s27, s0, s27
	s_or_b32 s23, s23, s28
	s_and_not1_b32 exec_lo, exec_lo, s22
	s_cbranch_execz .LBB634_173
.LBB634_171:                            ; =>This Inner Loop Header: Depth=1
	global_load_u16 v20, v[10:11], off
	global_load_u16 v21, v[14:15], off
	s_and_not1_b32 s25, s25, exec_lo
	s_and_not1_b32 s26, s26, exec_lo
	s_or_b32 s24, s24, exec_lo
	s_waitcnt vmcnt(0)
	v_cmp_le_i16_e32 vcc_lo, v20, v21
	v_cmp_lt_i16_e64 s0, v20, v21
	s_and_b32 s28, vcc_lo, s27
	s_delay_alu instid0(VALU_DEP_1) | instid1(SALU_CYCLE_1)
	s_or_b32 s28, s0, s28
	s_delay_alu instid0(SALU_CYCLE_1) | instskip(NEXT) | instid1(SALU_CYCLE_1)
	s_and_b32 s0, s28, exec_lo
	s_or_b32 s25, s25, s0
	s_mov_b32 s0, exec_lo
	v_cmpx_eq_u16_e64 v20, v21
	s_cbranch_execz .LBB634_170
; %bb.172:                              ;   in Loop: Header=BB634_171 Depth=1
	s_add_u32 s20, s20, -1
	s_addc_u32 s21, s21, -1
	v_add_co_u32 v10, vcc_lo, v10, 2
	s_cmp_eq_u64 s[20:21], 0
	v_add_co_ci_u32_e32 v11, vcc_lo, 0, v11, vcc_lo
	v_add_co_u32 v14, vcc_lo, v14, 2
	s_cselect_b32 s27, -1, 0
	v_add_co_ci_u32_e32 v15, vcc_lo, 0, v15, vcc_lo
	s_and_not1_b32 s26, s26, exec_lo
	s_and_b32 s28, s28, exec_lo
	s_and_not1_b32 s24, s24, exec_lo
	s_and_b32 s27, s27, exec_lo
	s_or_b32 s26, s26, s28
	s_and_not1_b32 s25, s25, exec_lo
	s_or_b32 s24, s24, s27
                                        ; implicit-def: $sgpr27
	s_branch .LBB634_170
.LBB634_173:
	s_set_inst_prefetch_distance 0x2
	s_or_b32 exec_lo, exec_lo, s22
	v_cndmask_b32_e64 v7, v7, v9, s23
	v_cndmask_b32_e64 v6, v6, v8, s23
.LBB634_174:
	s_delay_alu instid0(VALU_DEP_1)
	v_dual_mov_b32 v9, v7 :: v_dual_mov_b32 v8, v6
.LBB634_175:
	s_or_b32 exec_lo, exec_lo, s19
	s_delay_alu instid0(VALU_DEP_1)
	v_dual_mov_b32 v6, v8 :: v_dual_mov_b32 v7, v9
.LBB634_176:
	s_or_b32 exec_lo, exec_lo, s12
.LBB634_177:
	s_delay_alu instid0(SALU_CYCLE_1) | instskip(SKIP_3) | instid1(VALU_DEP_2)
	s_or_b32 exec_lo, exec_lo, s1
	v_and_b32_e32 v22, 0x60, v18
	v_and_b32_e32 v9, 28, v18
	s_mov_b32 s1, exec_lo
	; wave barrier
	v_or_b32_e32 v8, 16, v22
	s_delay_alu instid0(VALU_DEP_2) | instskip(SKIP_4) | instid1(VALU_DEP_1)
	v_min_u32_e32 v23, v17, v9
	v_lshl_add_u32 v21, v22, 3, v16
	ds_store_b128 v19, v[0:3]
	ds_store_b128 v19, v[4:7] offset:16
	v_min_u32_e32 v14, v17, v8
	; wave barrier
	v_add_nc_u32_e32 v8, 16, v14
	v_sub_nc_u32_e32 v9, v14, v22
	s_delay_alu instid0(VALU_DEP_2) | instskip(NEXT) | instid1(VALU_DEP_2)
	v_min_u32_e32 v15, v17, v8
	v_min_u32_e32 v24, v23, v9
	s_delay_alu instid0(VALU_DEP_2) | instskip(NEXT) | instid1(VALU_DEP_1)
	v_sub_nc_u32_e32 v8, v15, v14
	v_sub_nc_u32_e64 v20, v23, v8 clamp
	s_delay_alu instid0(VALU_DEP_1)
	v_cmpx_lt_u32_e64 v20, v24
	s_cbranch_execz .LBB634_187
; %bb.178:
	v_lshlrev_b32_e32 v8, 3, v14
	v_lshlrev_b32_e32 v9, 3, v23
	s_lshl_b64 s[20:21], s[8:9], 1
	s_mov_b32 s12, 0
	s_delay_alu instid0(VALU_DEP_1)
	v_add3_u32 v25, v16, v8, v9
	s_branch .LBB634_181
.LBB634_179:                            ;   in Loop: Header=BB634_181 Depth=1
	s_set_inst_prefetch_distance 0x2
	s_or_b32 exec_lo, exec_lo, s19
.LBB634_180:                            ;   in Loop: Header=BB634_181 Depth=1
	s_delay_alu instid0(VALU_DEP_1) | instskip(SKIP_1) | instid1(VALU_DEP_2)
	v_add_nc_u32_e32 v8, 1, v40
	v_cndmask_b32_e64 v24, v24, v40, s24
	v_cndmask_b32_e64 v20, v8, v20, s24
	s_delay_alu instid0(VALU_DEP_1) | instskip(SKIP_1) | instid1(SALU_CYCLE_1)
	v_cmp_ge_u32_e32 vcc_lo, v20, v24
	s_or_b32 s12, vcc_lo, s12
	s_and_not1_b32 exec_lo, exec_lo, s12
	s_cbranch_execz .LBB634_186
.LBB634_181:                            ; =>This Loop Header: Depth=1
                                        ;     Child Loop BB634_184 Depth 2
	v_add_nc_u32_e32 v8, v24, v20
	s_and_not1_b32 vcc_lo, exec_lo, s7
	s_mov_b32 s24, 0
	s_delay_alu instid0(VALU_DEP_1)
	v_lshrrev_b32_e32 v40, 1, v8
	s_cbranch_vccnz .LBB634_180
; %bb.182:                              ;   in Loop: Header=BB634_181 Depth=1
	s_delay_alu instid0(VALU_DEP_1) | instskip(SKIP_3) | instid1(VALU_DEP_2)
	v_not_b32_e32 v8, v40
	v_lshl_add_u32 v9, v40, 3, v21
	s_mov_b32 s19, 0
	s_mov_b64 s[22:23], s[8:9]
                                        ; implicit-def: $sgpr24
                                        ; implicit-def: $sgpr25
                                        ; implicit-def: $sgpr26
                                        ; implicit-def: $sgpr27
                                        ; implicit-def: $sgpr28
	v_lshl_add_u32 v8, v8, 3, v25
	ds_load_b64 v[10:11], v8
	ds_load_b64 v[41:42], v9
	s_waitcnt lgkmcnt(1)
	v_mul_lo_u32 v43, s20, v11
	v_mul_lo_u32 v44, s21, v10
	v_mad_u64_u32 v[8:9], null, s20, v10, s[10:11]
	s_waitcnt lgkmcnt(0)
	v_mul_lo_u32 v42, s20, v42
	v_mul_lo_u32 v45, s21, v41
	v_mad_u64_u32 v[10:11], null, s20, v41, s[10:11]
	s_delay_alu instid0(VALU_DEP_4) | instskip(NEXT) | instid1(VALU_DEP_2)
	v_add3_u32 v9, v44, v9, v43
	v_add3_u32 v11, v45, v11, v42
	s_set_inst_prefetch_distance 0x1
	s_branch .LBB634_184
	.p2align	6
.LBB634_183:                            ;   in Loop: Header=BB634_184 Depth=2
	s_or_b32 exec_lo, exec_lo, s29
	s_delay_alu instid0(SALU_CYCLE_1) | instskip(NEXT) | instid1(SALU_CYCLE_1)
	s_and_b32 s0, exec_lo, s25
	s_or_b32 s19, s0, s19
	s_and_not1_b32 s0, s28, exec_lo
	s_and_b32 s28, s26, exec_lo
	s_and_not1_b32 s24, s24, exec_lo
	s_and_b32 s29, s27, exec_lo
	s_or_b32 s28, s0, s28
	s_or_b32 s24, s24, s29
	s_and_not1_b32 exec_lo, exec_lo, s19
	s_cbranch_execz .LBB634_179
.LBB634_184:                            ;   Parent Loop BB634_181 Depth=1
                                        ; =>  This Inner Loop Header: Depth=2
	global_load_u16 v41, v[8:9], off
	global_load_u16 v42, v[10:11], off
	s_and_not1_b32 s27, s27, exec_lo
	s_and_not1_b32 s26, s26, exec_lo
	s_or_b32 s25, s25, exec_lo
	s_waitcnt vmcnt(0)
	v_cmp_le_i16_e32 vcc_lo, v41, v42
	v_cmp_lt_i16_e64 s0, v41, v42
	s_and_b32 s29, vcc_lo, s28
	s_delay_alu instid0(VALU_DEP_1) | instid1(SALU_CYCLE_1)
	s_or_b32 s0, s0, s29
	s_delay_alu instid0(SALU_CYCLE_1) | instskip(NEXT) | instid1(SALU_CYCLE_1)
	s_and_b32 s29, s0, exec_lo
	s_or_b32 s27, s27, s29
	s_mov_b32 s29, exec_lo
	v_cmpx_eq_u16_e64 v41, v42
	s_cbranch_execz .LBB634_183
; %bb.185:                              ;   in Loop: Header=BB634_184 Depth=2
	s_add_u32 s22, s22, -1
	s_addc_u32 s23, s23, -1
	v_add_co_u32 v8, vcc_lo, v8, 2
	v_add_co_ci_u32_e32 v9, vcc_lo, 0, v9, vcc_lo
	s_cmp_eq_u64 s[22:23], 0
	v_add_co_u32 v10, vcc_lo, v10, 2
	s_cselect_b32 s28, -1, 0
	v_add_co_ci_u32_e32 v11, vcc_lo, 0, v11, vcc_lo
	s_and_not1_b32 s26, s26, exec_lo
	s_and_b32 s0, s0, exec_lo
	s_and_not1_b32 s25, s25, exec_lo
	s_and_b32 s28, s28, exec_lo
	s_and_not1_b32 s27, s27, exec_lo
	s_or_b32 s26, s26, s0
	s_or_b32 s25, s25, s28
                                        ; implicit-def: $sgpr28
	s_branch .LBB634_183
.LBB634_186:
	s_or_b32 exec_lo, exec_lo, s12
.LBB634_187:
	s_delay_alu instid0(SALU_CYCLE_1) | instskip(SKIP_2) | instid1(VALU_DEP_2)
	s_or_b32 exec_lo, exec_lo, s1
	v_add_nc_u32_e32 v9, v14, v23
	v_add_nc_u32_e32 v8, v20, v22
	v_sub_nc_u32_e32 v9, v9, v20
	s_delay_alu instid0(VALU_DEP_2) | instskip(NEXT) | instid1(VALU_DEP_2)
	v_cmp_le_u32_e32 vcc_lo, v8, v14
	v_cmp_le_u32_e64 s0, v9, v15
	s_delay_alu instid0(VALU_DEP_1) | instskip(NEXT) | instid1(SALU_CYCLE_1)
	s_or_b32 s0, vcc_lo, s0
	s_and_saveexec_b32 s1, s0
	s_cbranch_execz .LBB634_234
; %bb.188:
	v_cmp_ge_u32_e32 vcc_lo, v8, v14
	s_mov_b32 s12, exec_lo
                                        ; implicit-def: $vgpr0_vgpr1
	v_cmpx_lt_u32_e64 v8, v14
	s_cbranch_execz .LBB634_190
; %bb.189:
	v_lshl_add_u32 v0, v20, 3, v21
	ds_load_b64 v[0:1], v0
.LBB634_190:
	s_or_b32 exec_lo, exec_lo, s12
	v_cmp_ge_u32_e64 s12, v9, v15
	s_mov_b32 s19, exec_lo
                                        ; implicit-def: $vgpr4_vgpr5
	v_cmpx_lt_u32_e64 v9, v15
	s_cbranch_execz .LBB634_192
; %bb.191:
	v_lshl_add_u32 v2, v9, 3, v16
	ds_load_b64 v[4:5], v2
.LBB634_192:
	s_or_b32 exec_lo, exec_lo, s19
	s_or_b32 s0, vcc_lo, s12
	s_mov_b32 s19, -1
	s_xor_b32 s0, s0, -1
	s_delay_alu instid0(SALU_CYCLE_1)
	s_and_saveexec_b32 s22, s0
	s_cbranch_execz .LBB634_201
; %bb.193:
	s_and_not1_b32 vcc_lo, exec_lo, s7
	s_cbranch_vccnz .LBB634_199
; %bb.194:
	s_waitcnt lgkmcnt(0)
	v_mul_lo_u32 v10, v5, s8
	v_mul_lo_u32 v11, v4, s9
	v_mad_u64_u32 v[2:3], null, v4, s8, 0
	v_mul_lo_u32 v20, v1, s8
	v_mul_lo_u32 v21, v0, s9
	v_mad_u64_u32 v[6:7], null, v0, s8, 0
	s_mov_b32 s23, 0
	s_mov_b64 s[20:21], s[8:9]
	s_delay_alu instid0(VALU_DEP_4) | instskip(NEXT) | instid1(VALU_DEP_2)
	v_add3_u32 v3, v3, v11, v10
                                        ; implicit-def: $sgpr24
                                        ; implicit-def: $sgpr25
                                        ; implicit-def: $sgpr26
                                        ; implicit-def: $sgpr27
                                        ; implicit-def: $sgpr28
	v_add3_u32 v7, v7, v21, v20
	s_delay_alu instid0(VALU_DEP_2) | instskip(NEXT) | instid1(VALU_DEP_2)
	v_lshlrev_b64 v[2:3], 1, v[2:3]
	v_lshlrev_b64 v[6:7], 1, v[6:7]
	s_delay_alu instid0(VALU_DEP_2) | instskip(NEXT) | instid1(VALU_DEP_3)
	v_add_co_u32 v2, vcc_lo, s10, v2
	v_add_co_ci_u32_e32 v3, vcc_lo, s11, v3, vcc_lo
	s_delay_alu instid0(VALU_DEP_3) | instskip(NEXT) | instid1(VALU_DEP_4)
	v_add_co_u32 v6, vcc_lo, s10, v6
	v_add_co_ci_u32_e32 v7, vcc_lo, s11, v7, vcc_lo
	s_set_inst_prefetch_distance 0x1
	s_branch .LBB634_196
	.p2align	6
.LBB634_195:                            ;   in Loop: Header=BB634_196 Depth=1
	s_or_b32 exec_lo, exec_lo, s0
	s_delay_alu instid0(SALU_CYCLE_1) | instskip(NEXT) | instid1(SALU_CYCLE_1)
	s_and_b32 s0, exec_lo, s25
	s_or_b32 s23, s0, s23
	s_and_not1_b32 s0, s28, exec_lo
	s_and_b32 s28, s27, exec_lo
	s_and_not1_b32 s24, s24, exec_lo
	s_and_b32 s29, s26, exec_lo
	s_or_b32 s28, s0, s28
	s_or_b32 s24, s24, s29
	s_and_not1_b32 exec_lo, exec_lo, s23
	s_cbranch_execz .LBB634_198
.LBB634_196:                            ; =>This Inner Loop Header: Depth=1
	global_load_u16 v10, v[2:3], off
	global_load_u16 v11, v[6:7], off
	s_and_not1_b32 s26, s26, exec_lo
	s_and_not1_b32 s27, s27, exec_lo
	s_or_b32 s25, s25, exec_lo
	s_waitcnt vmcnt(0)
	v_cmp_le_i16_e32 vcc_lo, v10, v11
	v_cmp_lt_i16_e64 s0, v10, v11
	s_and_b32 s29, vcc_lo, s28
	s_delay_alu instid0(VALU_DEP_1) | instid1(SALU_CYCLE_1)
	s_or_b32 s29, s0, s29
	s_delay_alu instid0(SALU_CYCLE_1) | instskip(NEXT) | instid1(SALU_CYCLE_1)
	s_and_b32 s0, s29, exec_lo
	s_or_b32 s26, s26, s0
	s_mov_b32 s0, exec_lo
	v_cmpx_eq_u16_e64 v10, v11
	s_cbranch_execz .LBB634_195
; %bb.197:                              ;   in Loop: Header=BB634_196 Depth=1
	s_add_u32 s20, s20, -1
	s_addc_u32 s21, s21, -1
	v_add_co_u32 v2, vcc_lo, v2, 2
	s_cmp_eq_u64 s[20:21], 0
	v_add_co_ci_u32_e32 v3, vcc_lo, 0, v3, vcc_lo
	v_add_co_u32 v6, vcc_lo, v6, 2
	s_cselect_b32 s28, -1, 0
	v_add_co_ci_u32_e32 v7, vcc_lo, 0, v7, vcc_lo
	s_and_not1_b32 s27, s27, exec_lo
	s_and_b32 s29, s29, exec_lo
	s_and_not1_b32 s25, s25, exec_lo
	s_and_b32 s28, s28, exec_lo
	s_or_b32 s27, s27, s29
	s_and_not1_b32 s26, s26, exec_lo
	s_or_b32 s25, s25, s28
                                        ; implicit-def: $sgpr28
	s_branch .LBB634_195
.LBB634_198:
	s_set_inst_prefetch_distance 0x2
	s_or_b32 exec_lo, exec_lo, s23
	s_xor_b32 s0, s24, -1
	s_branch .LBB634_200
.LBB634_199:
	s_mov_b32 s0, -1
.LBB634_200:
	s_and_not1_b32 s12, s12, exec_lo
	s_and_b32 s0, s0, exec_lo
	s_delay_alu instid0(SALU_CYCLE_1)
	s_or_b32 s12, s12, s0
.LBB634_201:
	s_or_b32 exec_lo, exec_lo, s22
	v_cndmask_b32_e64 v2, v9, v8, s12
	v_cndmask_b32_e64 v3, v15, v14, s12
	s_mov_b32 s22, exec_lo
	s_delay_alu instid0(VALU_DEP_2) | instskip(NEXT) | instid1(VALU_DEP_2)
	v_add_nc_u32_e32 v6, 1, v2
	v_add_nc_u32_e32 v2, -1, v3
	s_delay_alu instid0(VALU_DEP_2) | instskip(NEXT) | instid1(VALU_DEP_2)
	v_cndmask_b32_e64 v9, v6, v9, s12
	v_min_u32_e32 v2, v6, v2
	v_cndmask_b32_e64 v8, v8, v6, s12
	s_delay_alu instid0(VALU_DEP_2)
	v_lshl_add_u32 v2, v2, 3, v16
	ds_load_b64 v[2:3], v2
	s_waitcnt lgkmcnt(0)
	v_cndmask_b32_e64 v10, v3, v5, s12
	v_cndmask_b32_e64 v11, v2, v4, s12
	;; [unrolled: 1-line block ×4, first 2 shown]
	v_cmpx_lt_u32_e64 v9, v15
	s_cbranch_execz .LBB634_212
; %bb.202:
	s_mov_b32 s0, 0
	s_mov_b32 s19, exec_lo
	v_cmpx_lt_u32_e64 v8, v14
	s_cbranch_execz .LBB634_211
; %bb.203:
	s_and_not1_b32 vcc_lo, exec_lo, s7
	s_cbranch_vccnz .LBB634_209
; %bb.204:
	v_mul_lo_u32 v22, v10, s8
	v_mul_lo_u32 v23, v11, s9
	v_mad_u64_u32 v[2:3], null, v11, s8, 0
	v_mul_lo_u32 v24, v20, s8
	v_mul_lo_u32 v25, v21, s9
	v_mad_u64_u32 v[6:7], null, v21, s8, 0
	s_mov_b32 s23, 0
	s_mov_b64 s[20:21], s[8:9]
	s_delay_alu instid0(VALU_DEP_4) | instskip(NEXT) | instid1(VALU_DEP_2)
	v_add3_u32 v3, v3, v23, v22
                                        ; implicit-def: $sgpr24
                                        ; implicit-def: $sgpr25
                                        ; implicit-def: $sgpr26
                                        ; implicit-def: $sgpr27
                                        ; implicit-def: $sgpr28
	v_add3_u32 v7, v7, v25, v24
	s_delay_alu instid0(VALU_DEP_2) | instskip(NEXT) | instid1(VALU_DEP_2)
	v_lshlrev_b64 v[2:3], 1, v[2:3]
	v_lshlrev_b64 v[6:7], 1, v[6:7]
	s_delay_alu instid0(VALU_DEP_2) | instskip(NEXT) | instid1(VALU_DEP_3)
	v_add_co_u32 v2, vcc_lo, s10, v2
	v_add_co_ci_u32_e32 v3, vcc_lo, s11, v3, vcc_lo
	s_delay_alu instid0(VALU_DEP_3) | instskip(NEXT) | instid1(VALU_DEP_4)
	v_add_co_u32 v6, vcc_lo, s10, v6
	v_add_co_ci_u32_e32 v7, vcc_lo, s11, v7, vcc_lo
	s_set_inst_prefetch_distance 0x1
	s_branch .LBB634_206
	.p2align	6
.LBB634_205:                            ;   in Loop: Header=BB634_206 Depth=1
	s_or_b32 exec_lo, exec_lo, s0
	s_delay_alu instid0(SALU_CYCLE_1) | instskip(NEXT) | instid1(SALU_CYCLE_1)
	s_and_b32 s0, exec_lo, s25
	s_or_b32 s23, s0, s23
	s_and_not1_b32 s0, s28, exec_lo
	s_and_b32 s28, s27, exec_lo
	s_and_not1_b32 s24, s24, exec_lo
	s_and_b32 s29, s26, exec_lo
	s_or_b32 s28, s0, s28
	s_or_b32 s24, s24, s29
	s_and_not1_b32 exec_lo, exec_lo, s23
	s_cbranch_execz .LBB634_208
.LBB634_206:                            ; =>This Inner Loop Header: Depth=1
	global_load_u16 v22, v[2:3], off
	global_load_u16 v23, v[6:7], off
	s_and_not1_b32 s26, s26, exec_lo
	s_and_not1_b32 s27, s27, exec_lo
	s_or_b32 s25, s25, exec_lo
	s_waitcnt vmcnt(0)
	v_cmp_le_i16_e32 vcc_lo, v22, v23
	v_cmp_lt_i16_e64 s0, v22, v23
	s_and_b32 s29, vcc_lo, s28
	s_delay_alu instid0(VALU_DEP_1) | instid1(SALU_CYCLE_1)
	s_or_b32 s29, s0, s29
	s_delay_alu instid0(SALU_CYCLE_1) | instskip(NEXT) | instid1(SALU_CYCLE_1)
	s_and_b32 s0, s29, exec_lo
	s_or_b32 s26, s26, s0
	s_mov_b32 s0, exec_lo
	v_cmpx_eq_u16_e64 v22, v23
	s_cbranch_execz .LBB634_205
; %bb.207:                              ;   in Loop: Header=BB634_206 Depth=1
	s_add_u32 s20, s20, -1
	s_addc_u32 s21, s21, -1
	v_add_co_u32 v2, vcc_lo, v2, 2
	s_cmp_eq_u64 s[20:21], 0
	v_add_co_ci_u32_e32 v3, vcc_lo, 0, v3, vcc_lo
	v_add_co_u32 v6, vcc_lo, v6, 2
	s_cselect_b32 s28, -1, 0
	v_add_co_ci_u32_e32 v7, vcc_lo, 0, v7, vcc_lo
	s_and_not1_b32 s27, s27, exec_lo
	s_and_b32 s29, s29, exec_lo
	s_and_not1_b32 s25, s25, exec_lo
	s_and_b32 s28, s28, exec_lo
	s_or_b32 s27, s27, s29
	s_and_not1_b32 s26, s26, exec_lo
	s_or_b32 s25, s25, s28
                                        ; implicit-def: $sgpr28
	s_branch .LBB634_205
.LBB634_208:
	s_set_inst_prefetch_distance 0x2
	s_or_b32 exec_lo, exec_lo, s23
	s_xor_b32 s0, s24, -1
	s_branch .LBB634_210
.LBB634_209:
	s_mov_b32 s0, -1
.LBB634_210:
	s_delay_alu instid0(SALU_CYCLE_1)
	s_and_b32 s0, s0, exec_lo
.LBB634_211:
	s_or_b32 exec_lo, exec_lo, s19
	s_delay_alu instid0(SALU_CYCLE_1)
	s_or_not1_b32 s19, s0, exec_lo
.LBB634_212:
	s_or_b32 exec_lo, exec_lo, s22
	v_cndmask_b32_e64 v2, v9, v8, s19
	v_cndmask_b32_e64 v3, v15, v14, s19
	s_mov_b32 s0, -1
	s_mov_b32 s22, exec_lo
	s_delay_alu instid0(VALU_DEP_2) | instskip(NEXT) | instid1(VALU_DEP_2)
	v_add_nc_u32_e32 v6, 1, v2
	v_add_nc_u32_e32 v2, -1, v3
	s_delay_alu instid0(VALU_DEP_2) | instskip(NEXT) | instid1(VALU_DEP_2)
	v_cndmask_b32_e64 v25, v6, v9, s19
	v_min_u32_e32 v2, v6, v2
	v_cndmask_b32_e64 v22, v8, v6, s19
	s_delay_alu instid0(VALU_DEP_2)
	v_lshl_add_u32 v2, v2, 3, v16
	ds_load_b64 v[2:3], v2
	s_waitcnt lgkmcnt(0)
	v_cndmask_b32_e64 v23, v3, v10, s19
	v_cndmask_b32_e64 v24, v2, v11, s19
	;; [unrolled: 1-line block ×4, first 2 shown]
	v_cmpx_lt_u32_e64 v25, v15
	s_cbranch_execz .LBB634_223
; %bb.213:
	s_mov_b32 s0, 0
	s_mov_b32 s23, exec_lo
	v_cmpx_lt_u32_e64 v22, v14
	s_cbranch_execz .LBB634_222
; %bb.214:
	s_and_not1_b32 vcc_lo, exec_lo, s7
	s_cbranch_vccnz .LBB634_220
; %bb.215:
	v_mul_lo_u32 v8, v23, s8
	v_mul_lo_u32 v9, v24, s9
	v_mad_u64_u32 v[2:3], null, v24, s8, 0
	v_mul_lo_u32 v42, v40, s8
	v_mul_lo_u32 v43, v41, s9
	v_mad_u64_u32 v[6:7], null, v41, s8, 0
	s_mov_b32 s24, 0
	s_mov_b64 s[20:21], s[8:9]
	s_delay_alu instid0(VALU_DEP_4) | instskip(NEXT) | instid1(VALU_DEP_2)
	v_add3_u32 v3, v3, v9, v8
                                        ; implicit-def: $sgpr25
                                        ; implicit-def: $sgpr26
                                        ; implicit-def: $sgpr27
                                        ; implicit-def: $sgpr28
                                        ; implicit-def: $sgpr29
	v_add3_u32 v7, v7, v43, v42
	s_delay_alu instid0(VALU_DEP_2) | instskip(NEXT) | instid1(VALU_DEP_2)
	v_lshlrev_b64 v[2:3], 1, v[2:3]
	v_lshlrev_b64 v[6:7], 1, v[6:7]
	s_delay_alu instid0(VALU_DEP_2) | instskip(NEXT) | instid1(VALU_DEP_3)
	v_add_co_u32 v2, vcc_lo, s10, v2
	v_add_co_ci_u32_e32 v3, vcc_lo, s11, v3, vcc_lo
	s_delay_alu instid0(VALU_DEP_3) | instskip(NEXT) | instid1(VALU_DEP_4)
	v_add_co_u32 v6, vcc_lo, s10, v6
	v_add_co_ci_u32_e32 v7, vcc_lo, s11, v7, vcc_lo
	s_set_inst_prefetch_distance 0x1
	s_branch .LBB634_217
	.p2align	6
.LBB634_216:                            ;   in Loop: Header=BB634_217 Depth=1
	s_or_b32 exec_lo, exec_lo, s0
	s_delay_alu instid0(SALU_CYCLE_1) | instskip(NEXT) | instid1(SALU_CYCLE_1)
	s_and_b32 s0, exec_lo, s26
	s_or_b32 s24, s0, s24
	s_and_not1_b32 s0, s29, exec_lo
	s_and_b32 s29, s28, exec_lo
	s_and_not1_b32 s25, s25, exec_lo
	s_and_b32 s30, s27, exec_lo
	s_or_b32 s29, s0, s29
	s_or_b32 s25, s25, s30
	s_and_not1_b32 exec_lo, exec_lo, s24
	s_cbranch_execz .LBB634_219
.LBB634_217:                            ; =>This Inner Loop Header: Depth=1
	global_load_u16 v8, v[2:3], off
	global_load_u16 v9, v[6:7], off
	s_and_not1_b32 s27, s27, exec_lo
	s_and_not1_b32 s28, s28, exec_lo
	s_or_b32 s26, s26, exec_lo
	s_waitcnt vmcnt(0)
	v_cmp_le_i16_e32 vcc_lo, v8, v9
	v_cmp_lt_i16_e64 s0, v8, v9
	s_and_b32 s30, vcc_lo, s29
	s_delay_alu instid0(VALU_DEP_1) | instid1(SALU_CYCLE_1)
	s_or_b32 s30, s0, s30
	s_delay_alu instid0(SALU_CYCLE_1) | instskip(NEXT) | instid1(SALU_CYCLE_1)
	s_and_b32 s0, s30, exec_lo
	s_or_b32 s27, s27, s0
	s_mov_b32 s0, exec_lo
	v_cmpx_eq_u16_e64 v8, v9
	s_cbranch_execz .LBB634_216
; %bb.218:                              ;   in Loop: Header=BB634_217 Depth=1
	s_add_u32 s20, s20, -1
	s_addc_u32 s21, s21, -1
	v_add_co_u32 v2, vcc_lo, v2, 2
	s_cmp_eq_u64 s[20:21], 0
	v_add_co_ci_u32_e32 v3, vcc_lo, 0, v3, vcc_lo
	v_add_co_u32 v6, vcc_lo, v6, 2
	s_cselect_b32 s29, -1, 0
	v_add_co_ci_u32_e32 v7, vcc_lo, 0, v7, vcc_lo
	s_and_not1_b32 s28, s28, exec_lo
	s_and_b32 s30, s30, exec_lo
	s_and_not1_b32 s26, s26, exec_lo
	s_and_b32 s29, s29, exec_lo
	s_or_b32 s28, s28, s30
	s_and_not1_b32 s27, s27, exec_lo
	s_or_b32 s26, s26, s29
                                        ; implicit-def: $sgpr29
	s_branch .LBB634_216
.LBB634_219:
	s_set_inst_prefetch_distance 0x2
	s_or_b32 exec_lo, exec_lo, s24
	s_xor_b32 s0, s25, -1
	s_branch .LBB634_221
.LBB634_220:
	s_mov_b32 s0, -1
.LBB634_221:
	s_delay_alu instid0(SALU_CYCLE_1)
	s_and_b32 s0, s0, exec_lo
.LBB634_222:
	s_or_b32 exec_lo, exec_lo, s23
	s_delay_alu instid0(SALU_CYCLE_1)
	s_or_not1_b32 s0, s0, exec_lo
.LBB634_223:
	s_or_b32 exec_lo, exec_lo, s22
	v_cndmask_b32_e64 v2, v25, v22, s0
	v_cndmask_b32_e64 v3, v15, v14, s0
	;; [unrolled: 1-line block ×5, first 2 shown]
	v_add_nc_u32_e32 v42, 1, v2
	v_add_nc_u32_e32 v2, -1, v3
	v_cndmask_b32_e64 v3, v10, v20, s19
	v_cndmask_b32_e64 v4, v24, v41, s0
	s_mov_b32 s12, exec_lo
	v_cndmask_b32_e64 v10, v42, v25, s0
	v_min_u32_e32 v2, v42, v2
	s_delay_alu instid0(VALU_DEP_1)
	v_lshl_add_u32 v2, v2, 3, v16
	ds_load_b64 v[8:9], v2
	v_cndmask_b32_e64 v2, v11, v21, s19
	s_waitcnt lgkmcnt(0)
	v_cndmask_b32_e64 v7, v40, v9, s0
	v_cndmask_b32_e64 v6, v41, v8, s0
	v_cmpx_lt_u32_e64 v10, v15
	s_cbranch_execz .LBB634_233
; %bb.224:
	v_cndmask_b32_e64 v10, v22, v42, s0
	v_cndmask_b32_e64 v9, v9, v23, s0
	;; [unrolled: 1-line block ×3, first 2 shown]
	s_mov_b32 s19, exec_lo
	s_delay_alu instid0(VALU_DEP_3)
	v_cmpx_lt_u32_e64 v10, v14
	s_cbranch_execz .LBB634_232
; %bb.225:
	s_and_not1_b32 vcc_lo, exec_lo, s7
	s_cbranch_vccnz .LBB634_231
; %bb.226:
	v_mul_lo_u32 v20, v9, s8
	v_mul_lo_u32 v21, v8, s9
	v_mad_u64_u32 v[10:11], null, v8, s8, 0
	v_mul_lo_u32 v22, v7, s8
	v_mul_lo_u32 v23, v6, s9
	v_mad_u64_u32 v[14:15], null, v6, s8, 0
	s_mov_b32 s22, 0
	s_mov_b64 s[20:21], s[8:9]
	s_delay_alu instid0(VALU_DEP_4) | instskip(NEXT) | instid1(VALU_DEP_2)
	v_add3_u32 v11, v11, v21, v20
                                        ; implicit-def: $sgpr23
                                        ; implicit-def: $sgpr24
                                        ; implicit-def: $sgpr25
                                        ; implicit-def: $sgpr26
                                        ; implicit-def: $sgpr27
	v_add3_u32 v15, v15, v23, v22
	s_delay_alu instid0(VALU_DEP_2) | instskip(NEXT) | instid1(VALU_DEP_2)
	v_lshlrev_b64 v[10:11], 1, v[10:11]
	v_lshlrev_b64 v[14:15], 1, v[14:15]
	s_delay_alu instid0(VALU_DEP_2) | instskip(NEXT) | instid1(VALU_DEP_3)
	v_add_co_u32 v10, vcc_lo, s10, v10
	v_add_co_ci_u32_e32 v11, vcc_lo, s11, v11, vcc_lo
	s_delay_alu instid0(VALU_DEP_3) | instskip(NEXT) | instid1(VALU_DEP_4)
	v_add_co_u32 v14, vcc_lo, s10, v14
	v_add_co_ci_u32_e32 v15, vcc_lo, s11, v15, vcc_lo
	s_set_inst_prefetch_distance 0x1
	s_branch .LBB634_228
	.p2align	6
.LBB634_227:                            ;   in Loop: Header=BB634_228 Depth=1
	s_or_b32 exec_lo, exec_lo, s0
	s_delay_alu instid0(SALU_CYCLE_1) | instskip(NEXT) | instid1(SALU_CYCLE_1)
	s_and_b32 s0, exec_lo, s24
	s_or_b32 s22, s0, s22
	s_and_not1_b32 s0, s27, exec_lo
	s_and_b32 s27, s26, exec_lo
	s_and_not1_b32 s23, s23, exec_lo
	s_and_b32 s28, s25, exec_lo
	s_or_b32 s27, s0, s27
	s_or_b32 s23, s23, s28
	s_and_not1_b32 exec_lo, exec_lo, s22
	s_cbranch_execz .LBB634_230
.LBB634_228:                            ; =>This Inner Loop Header: Depth=1
	global_load_u16 v20, v[10:11], off
	global_load_u16 v21, v[14:15], off
	s_and_not1_b32 s25, s25, exec_lo
	s_and_not1_b32 s26, s26, exec_lo
	s_or_b32 s24, s24, exec_lo
	s_waitcnt vmcnt(0)
	v_cmp_le_i16_e32 vcc_lo, v20, v21
	v_cmp_lt_i16_e64 s0, v20, v21
	s_and_b32 s28, vcc_lo, s27
	s_delay_alu instid0(VALU_DEP_1) | instid1(SALU_CYCLE_1)
	s_or_b32 s28, s0, s28
	s_delay_alu instid0(SALU_CYCLE_1) | instskip(NEXT) | instid1(SALU_CYCLE_1)
	s_and_b32 s0, s28, exec_lo
	s_or_b32 s25, s25, s0
	s_mov_b32 s0, exec_lo
	v_cmpx_eq_u16_e64 v20, v21
	s_cbranch_execz .LBB634_227
; %bb.229:                              ;   in Loop: Header=BB634_228 Depth=1
	s_add_u32 s20, s20, -1
	s_addc_u32 s21, s21, -1
	v_add_co_u32 v10, vcc_lo, v10, 2
	s_cmp_eq_u64 s[20:21], 0
	v_add_co_ci_u32_e32 v11, vcc_lo, 0, v11, vcc_lo
	v_add_co_u32 v14, vcc_lo, v14, 2
	s_cselect_b32 s27, -1, 0
	v_add_co_ci_u32_e32 v15, vcc_lo, 0, v15, vcc_lo
	s_and_not1_b32 s26, s26, exec_lo
	s_and_b32 s28, s28, exec_lo
	s_and_not1_b32 s24, s24, exec_lo
	s_and_b32 s27, s27, exec_lo
	s_or_b32 s26, s26, s28
	s_and_not1_b32 s25, s25, exec_lo
	s_or_b32 s24, s24, s27
                                        ; implicit-def: $sgpr27
	s_branch .LBB634_227
.LBB634_230:
	s_set_inst_prefetch_distance 0x2
	s_or_b32 exec_lo, exec_lo, s22
	v_cndmask_b32_e64 v7, v7, v9, s23
	v_cndmask_b32_e64 v6, v6, v8, s23
.LBB634_231:
	s_delay_alu instid0(VALU_DEP_1)
	v_dual_mov_b32 v9, v7 :: v_dual_mov_b32 v8, v6
.LBB634_232:
	s_or_b32 exec_lo, exec_lo, s19
	s_delay_alu instid0(VALU_DEP_1)
	v_dual_mov_b32 v6, v8 :: v_dual_mov_b32 v7, v9
.LBB634_233:
	s_or_b32 exec_lo, exec_lo, s12
.LBB634_234:
	s_delay_alu instid0(SALU_CYCLE_1) | instskip(SKIP_3) | instid1(VALU_DEP_2)
	s_or_b32 exec_lo, exec_lo, s1
	v_and_b32_e32 v20, 64, v18
	v_and_b32_e32 v9, 60, v18
	s_mov_b32 s1, exec_lo
	; wave barrier
	v_or_b32_e32 v8, 32, v20
	s_delay_alu instid0(VALU_DEP_2) | instskip(SKIP_4) | instid1(VALU_DEP_1)
	v_min_u32_e32 v21, v17, v9
	v_lshl_add_u32 v18, v20, 3, v16
	ds_store_b128 v19, v[0:3]
	ds_store_b128 v19, v[4:7] offset:16
	v_min_u32_e32 v14, v17, v8
	; wave barrier
	v_add_nc_u32_e32 v8, 32, v14
	v_sub_nc_u32_e32 v9, v14, v20
	s_delay_alu instid0(VALU_DEP_2) | instskip(NEXT) | instid1(VALU_DEP_2)
	v_min_u32_e32 v15, v17, v8
	v_min_u32_e32 v22, v21, v9
	s_delay_alu instid0(VALU_DEP_2) | instskip(NEXT) | instid1(VALU_DEP_1)
	v_sub_nc_u32_e32 v8, v15, v14
	v_sub_nc_u32_e64 v17, v21, v8 clamp
	s_delay_alu instid0(VALU_DEP_1)
	v_cmpx_lt_u32_e64 v17, v22
	s_cbranch_execz .LBB634_244
; %bb.235:
	v_lshlrev_b32_e32 v8, 3, v14
	v_lshlrev_b32_e32 v9, 3, v21
	s_lshl_b64 s[20:21], s[8:9], 1
	s_mov_b32 s12, 0
	s_delay_alu instid0(VALU_DEP_1)
	v_add3_u32 v19, v16, v8, v9
	s_branch .LBB634_238
.LBB634_236:                            ;   in Loop: Header=BB634_238 Depth=1
	s_set_inst_prefetch_distance 0x2
	s_or_b32 exec_lo, exec_lo, s19
.LBB634_237:                            ;   in Loop: Header=BB634_238 Depth=1
	s_delay_alu instid0(VALU_DEP_1) | instskip(SKIP_1) | instid1(VALU_DEP_2)
	v_add_nc_u32_e32 v8, 1, v23
	v_cndmask_b32_e64 v22, v22, v23, s24
	v_cndmask_b32_e64 v17, v8, v17, s24
	s_delay_alu instid0(VALU_DEP_1) | instskip(SKIP_1) | instid1(SALU_CYCLE_1)
	v_cmp_ge_u32_e32 vcc_lo, v17, v22
	s_or_b32 s12, vcc_lo, s12
	s_and_not1_b32 exec_lo, exec_lo, s12
	s_cbranch_execz .LBB634_243
.LBB634_238:                            ; =>This Loop Header: Depth=1
                                        ;     Child Loop BB634_241 Depth 2
	v_add_nc_u32_e32 v8, v22, v17
	s_and_not1_b32 vcc_lo, exec_lo, s7
	s_mov_b32 s24, 0
	s_delay_alu instid0(VALU_DEP_1)
	v_lshrrev_b32_e32 v23, 1, v8
	s_cbranch_vccnz .LBB634_237
; %bb.239:                              ;   in Loop: Header=BB634_238 Depth=1
	s_delay_alu instid0(VALU_DEP_1) | instskip(SKIP_3) | instid1(VALU_DEP_2)
	v_not_b32_e32 v8, v23
	v_lshl_add_u32 v9, v23, 3, v18
	s_mov_b32 s19, 0
	s_mov_b64 s[22:23], s[8:9]
                                        ; implicit-def: $sgpr24
                                        ; implicit-def: $sgpr25
                                        ; implicit-def: $sgpr26
                                        ; implicit-def: $sgpr27
                                        ; implicit-def: $sgpr28
	v_lshl_add_u32 v8, v8, 3, v19
	ds_load_b64 v[10:11], v8
	ds_load_b64 v[24:25], v9
	s_waitcnt lgkmcnt(1)
	v_mul_lo_u32 v40, s20, v11
	v_mul_lo_u32 v41, s21, v10
	v_mad_u64_u32 v[8:9], null, s20, v10, s[10:11]
	s_waitcnt lgkmcnt(0)
	v_mul_lo_u32 v25, s20, v25
	v_mul_lo_u32 v42, s21, v24
	v_mad_u64_u32 v[10:11], null, s20, v24, s[10:11]
	s_delay_alu instid0(VALU_DEP_4) | instskip(NEXT) | instid1(VALU_DEP_2)
	v_add3_u32 v9, v41, v9, v40
	v_add3_u32 v11, v42, v11, v25
	s_set_inst_prefetch_distance 0x1
	s_branch .LBB634_241
	.p2align	6
.LBB634_240:                            ;   in Loop: Header=BB634_241 Depth=2
	s_or_b32 exec_lo, exec_lo, s29
	s_delay_alu instid0(SALU_CYCLE_1) | instskip(NEXT) | instid1(SALU_CYCLE_1)
	s_and_b32 s0, exec_lo, s25
	s_or_b32 s19, s0, s19
	s_and_not1_b32 s0, s28, exec_lo
	s_and_b32 s28, s26, exec_lo
	s_and_not1_b32 s24, s24, exec_lo
	s_and_b32 s29, s27, exec_lo
	s_or_b32 s28, s0, s28
	s_or_b32 s24, s24, s29
	s_and_not1_b32 exec_lo, exec_lo, s19
	s_cbranch_execz .LBB634_236
.LBB634_241:                            ;   Parent Loop BB634_238 Depth=1
                                        ; =>  This Inner Loop Header: Depth=2
	global_load_u16 v24, v[8:9], off
	global_load_u16 v25, v[10:11], off
	s_and_not1_b32 s27, s27, exec_lo
	s_and_not1_b32 s26, s26, exec_lo
	s_or_b32 s25, s25, exec_lo
	s_waitcnt vmcnt(0)
	v_cmp_le_i16_e32 vcc_lo, v24, v25
	v_cmp_lt_i16_e64 s0, v24, v25
	s_and_b32 s29, vcc_lo, s28
	s_delay_alu instid0(VALU_DEP_1) | instid1(SALU_CYCLE_1)
	s_or_b32 s0, s0, s29
	s_delay_alu instid0(SALU_CYCLE_1) | instskip(NEXT) | instid1(SALU_CYCLE_1)
	s_and_b32 s29, s0, exec_lo
	s_or_b32 s27, s27, s29
	s_mov_b32 s29, exec_lo
	v_cmpx_eq_u16_e64 v24, v25
	s_cbranch_execz .LBB634_240
; %bb.242:                              ;   in Loop: Header=BB634_241 Depth=2
	s_add_u32 s22, s22, -1
	s_addc_u32 s23, s23, -1
	v_add_co_u32 v8, vcc_lo, v8, 2
	v_add_co_ci_u32_e32 v9, vcc_lo, 0, v9, vcc_lo
	s_cmp_eq_u64 s[22:23], 0
	v_add_co_u32 v10, vcc_lo, v10, 2
	s_cselect_b32 s28, -1, 0
	v_add_co_ci_u32_e32 v11, vcc_lo, 0, v11, vcc_lo
	s_and_not1_b32 s26, s26, exec_lo
	s_and_b32 s0, s0, exec_lo
	s_and_not1_b32 s25, s25, exec_lo
	s_and_b32 s28, s28, exec_lo
	s_and_not1_b32 s27, s27, exec_lo
	s_or_b32 s26, s26, s0
	s_or_b32 s25, s25, s28
                                        ; implicit-def: $sgpr28
	s_branch .LBB634_240
.LBB634_243:
	s_or_b32 exec_lo, exec_lo, s12
.LBB634_244:
	s_delay_alu instid0(SALU_CYCLE_1) | instskip(SKIP_2) | instid1(VALU_DEP_2)
	s_or_b32 exec_lo, exec_lo, s1
	v_add_nc_u32_e32 v9, v14, v21
	v_add_nc_u32_e32 v8, v17, v20
	v_sub_nc_u32_e32 v9, v9, v17
	s_delay_alu instid0(VALU_DEP_2) | instskip(NEXT) | instid1(VALU_DEP_2)
	v_cmp_le_u32_e32 vcc_lo, v8, v14
	v_cmp_le_u32_e64 s0, v9, v15
	s_delay_alu instid0(VALU_DEP_1) | instskip(NEXT) | instid1(SALU_CYCLE_1)
	s_or_b32 s0, vcc_lo, s0
	s_and_saveexec_b32 s1, s0
	s_cbranch_execz .LBB634_291
; %bb.245:
	v_cmp_ge_u32_e32 vcc_lo, v8, v14
	s_mov_b32 s12, exec_lo
                                        ; implicit-def: $vgpr0_vgpr1
	v_cmpx_lt_u32_e64 v8, v14
	s_cbranch_execz .LBB634_247
; %bb.246:
	v_lshl_add_u32 v0, v17, 3, v18
	ds_load_b64 v[0:1], v0
.LBB634_247:
	s_or_b32 exec_lo, exec_lo, s12
	v_cmp_ge_u32_e64 s12, v9, v15
	s_mov_b32 s19, exec_lo
                                        ; implicit-def: $vgpr4_vgpr5
	v_cmpx_lt_u32_e64 v9, v15
	s_cbranch_execz .LBB634_249
; %bb.248:
	v_lshl_add_u32 v2, v9, 3, v16
	ds_load_b64 v[4:5], v2
.LBB634_249:
	s_or_b32 exec_lo, exec_lo, s19
	s_or_b32 s0, vcc_lo, s12
	s_mov_b32 s19, -1
	s_xor_b32 s0, s0, -1
	s_delay_alu instid0(SALU_CYCLE_1)
	s_and_saveexec_b32 s22, s0
	s_cbranch_execz .LBB634_258
; %bb.250:
	s_and_not1_b32 vcc_lo, exec_lo, s7
	s_cbranch_vccnz .LBB634_256
; %bb.251:
	s_waitcnt lgkmcnt(0)
	v_mul_lo_u32 v10, v5, s8
	v_mul_lo_u32 v11, v4, s9
	v_mad_u64_u32 v[2:3], null, v4, s8, 0
	v_mul_lo_u32 v17, v1, s8
	v_mul_lo_u32 v18, v0, s9
	v_mad_u64_u32 v[6:7], null, v0, s8, 0
	s_mov_b32 s23, 0
	s_mov_b64 s[20:21], s[8:9]
	s_delay_alu instid0(VALU_DEP_4) | instskip(NEXT) | instid1(VALU_DEP_2)
	v_add3_u32 v3, v3, v11, v10
                                        ; implicit-def: $sgpr24
                                        ; implicit-def: $sgpr25
                                        ; implicit-def: $sgpr26
                                        ; implicit-def: $sgpr27
                                        ; implicit-def: $sgpr28
	v_add3_u32 v7, v7, v18, v17
	s_delay_alu instid0(VALU_DEP_2) | instskip(NEXT) | instid1(VALU_DEP_2)
	v_lshlrev_b64 v[2:3], 1, v[2:3]
	v_lshlrev_b64 v[6:7], 1, v[6:7]
	s_delay_alu instid0(VALU_DEP_2) | instskip(NEXT) | instid1(VALU_DEP_3)
	v_add_co_u32 v2, vcc_lo, s10, v2
	v_add_co_ci_u32_e32 v3, vcc_lo, s11, v3, vcc_lo
	s_delay_alu instid0(VALU_DEP_3) | instskip(NEXT) | instid1(VALU_DEP_4)
	v_add_co_u32 v6, vcc_lo, s10, v6
	v_add_co_ci_u32_e32 v7, vcc_lo, s11, v7, vcc_lo
	s_set_inst_prefetch_distance 0x1
	s_branch .LBB634_253
	.p2align	6
.LBB634_252:                            ;   in Loop: Header=BB634_253 Depth=1
	s_or_b32 exec_lo, exec_lo, s0
	s_delay_alu instid0(SALU_CYCLE_1) | instskip(NEXT) | instid1(SALU_CYCLE_1)
	s_and_b32 s0, exec_lo, s25
	s_or_b32 s23, s0, s23
	s_and_not1_b32 s0, s28, exec_lo
	s_and_b32 s28, s27, exec_lo
	s_and_not1_b32 s24, s24, exec_lo
	s_and_b32 s29, s26, exec_lo
	s_or_b32 s28, s0, s28
	s_or_b32 s24, s24, s29
	s_and_not1_b32 exec_lo, exec_lo, s23
	s_cbranch_execz .LBB634_255
.LBB634_253:                            ; =>This Inner Loop Header: Depth=1
	global_load_u16 v10, v[2:3], off
	global_load_u16 v11, v[6:7], off
	s_and_not1_b32 s26, s26, exec_lo
	s_and_not1_b32 s27, s27, exec_lo
	s_or_b32 s25, s25, exec_lo
	s_waitcnt vmcnt(0)
	v_cmp_le_i16_e32 vcc_lo, v10, v11
	v_cmp_lt_i16_e64 s0, v10, v11
	s_and_b32 s29, vcc_lo, s28
	s_delay_alu instid0(VALU_DEP_1) | instid1(SALU_CYCLE_1)
	s_or_b32 s29, s0, s29
	s_delay_alu instid0(SALU_CYCLE_1) | instskip(NEXT) | instid1(SALU_CYCLE_1)
	s_and_b32 s0, s29, exec_lo
	s_or_b32 s26, s26, s0
	s_mov_b32 s0, exec_lo
	v_cmpx_eq_u16_e64 v10, v11
	s_cbranch_execz .LBB634_252
; %bb.254:                              ;   in Loop: Header=BB634_253 Depth=1
	s_add_u32 s20, s20, -1
	s_addc_u32 s21, s21, -1
	v_add_co_u32 v2, vcc_lo, v2, 2
	s_cmp_eq_u64 s[20:21], 0
	v_add_co_ci_u32_e32 v3, vcc_lo, 0, v3, vcc_lo
	v_add_co_u32 v6, vcc_lo, v6, 2
	s_cselect_b32 s28, -1, 0
	v_add_co_ci_u32_e32 v7, vcc_lo, 0, v7, vcc_lo
	s_and_not1_b32 s27, s27, exec_lo
	s_and_b32 s29, s29, exec_lo
	s_and_not1_b32 s25, s25, exec_lo
	s_and_b32 s28, s28, exec_lo
	s_or_b32 s27, s27, s29
	s_and_not1_b32 s26, s26, exec_lo
	s_or_b32 s25, s25, s28
                                        ; implicit-def: $sgpr28
	s_branch .LBB634_252
.LBB634_255:
	s_set_inst_prefetch_distance 0x2
	s_or_b32 exec_lo, exec_lo, s23
	s_xor_b32 s0, s24, -1
	s_branch .LBB634_257
.LBB634_256:
	s_mov_b32 s0, -1
.LBB634_257:
	s_and_not1_b32 s12, s12, exec_lo
	s_and_b32 s0, s0, exec_lo
	s_delay_alu instid0(SALU_CYCLE_1)
	s_or_b32 s12, s12, s0
.LBB634_258:
	s_or_b32 exec_lo, exec_lo, s22
	v_cndmask_b32_e64 v2, v9, v8, s12
	v_cndmask_b32_e64 v3, v15, v14, s12
	s_mov_b32 s22, exec_lo
	s_delay_alu instid0(VALU_DEP_2) | instskip(NEXT) | instid1(VALU_DEP_2)
	v_add_nc_u32_e32 v6, 1, v2
	v_add_nc_u32_e32 v2, -1, v3
	s_delay_alu instid0(VALU_DEP_2) | instskip(NEXT) | instid1(VALU_DEP_2)
	v_cndmask_b32_e64 v9, v6, v9, s12
	v_min_u32_e32 v2, v6, v2
	v_cndmask_b32_e64 v8, v8, v6, s12
	s_delay_alu instid0(VALU_DEP_2)
	v_lshl_add_u32 v2, v2, 3, v16
	ds_load_b64 v[2:3], v2
	s_waitcnt lgkmcnt(0)
	v_cndmask_b32_e64 v10, v3, v5, s12
	v_cndmask_b32_e64 v11, v2, v4, s12
	;; [unrolled: 1-line block ×4, first 2 shown]
	v_cmpx_lt_u32_e64 v9, v15
	s_cbranch_execz .LBB634_269
; %bb.259:
	s_mov_b32 s0, 0
	s_mov_b32 s19, exec_lo
	v_cmpx_lt_u32_e64 v8, v14
	s_cbranch_execz .LBB634_268
; %bb.260:
	s_and_not1_b32 vcc_lo, exec_lo, s7
	s_cbranch_vccnz .LBB634_266
; %bb.261:
	v_mul_lo_u32 v19, v10, s8
	v_mul_lo_u32 v20, v11, s9
	v_mad_u64_u32 v[2:3], null, v11, s8, 0
	v_mul_lo_u32 v21, v17, s8
	v_mul_lo_u32 v22, v18, s9
	v_mad_u64_u32 v[6:7], null, v18, s8, 0
	s_mov_b32 s23, 0
	s_mov_b64 s[20:21], s[8:9]
	s_delay_alu instid0(VALU_DEP_4) | instskip(NEXT) | instid1(VALU_DEP_2)
	v_add3_u32 v3, v3, v20, v19
                                        ; implicit-def: $sgpr24
                                        ; implicit-def: $sgpr25
                                        ; implicit-def: $sgpr26
                                        ; implicit-def: $sgpr27
                                        ; implicit-def: $sgpr28
	v_add3_u32 v7, v7, v22, v21
	s_delay_alu instid0(VALU_DEP_2) | instskip(NEXT) | instid1(VALU_DEP_2)
	v_lshlrev_b64 v[2:3], 1, v[2:3]
	v_lshlrev_b64 v[6:7], 1, v[6:7]
	s_delay_alu instid0(VALU_DEP_2) | instskip(NEXT) | instid1(VALU_DEP_3)
	v_add_co_u32 v2, vcc_lo, s10, v2
	v_add_co_ci_u32_e32 v3, vcc_lo, s11, v3, vcc_lo
	s_delay_alu instid0(VALU_DEP_3) | instskip(NEXT) | instid1(VALU_DEP_4)
	v_add_co_u32 v6, vcc_lo, s10, v6
	v_add_co_ci_u32_e32 v7, vcc_lo, s11, v7, vcc_lo
	s_set_inst_prefetch_distance 0x1
	s_branch .LBB634_263
	.p2align	6
.LBB634_262:                            ;   in Loop: Header=BB634_263 Depth=1
	s_or_b32 exec_lo, exec_lo, s0
	s_delay_alu instid0(SALU_CYCLE_1) | instskip(NEXT) | instid1(SALU_CYCLE_1)
	s_and_b32 s0, exec_lo, s25
	s_or_b32 s23, s0, s23
	s_and_not1_b32 s0, s28, exec_lo
	s_and_b32 s28, s27, exec_lo
	s_and_not1_b32 s24, s24, exec_lo
	s_and_b32 s29, s26, exec_lo
	s_or_b32 s28, s0, s28
	s_or_b32 s24, s24, s29
	s_and_not1_b32 exec_lo, exec_lo, s23
	s_cbranch_execz .LBB634_265
.LBB634_263:                            ; =>This Inner Loop Header: Depth=1
	global_load_u16 v19, v[2:3], off
	global_load_u16 v20, v[6:7], off
	s_and_not1_b32 s26, s26, exec_lo
	s_and_not1_b32 s27, s27, exec_lo
	s_or_b32 s25, s25, exec_lo
	s_waitcnt vmcnt(0)
	v_cmp_le_i16_e32 vcc_lo, v19, v20
	v_cmp_lt_i16_e64 s0, v19, v20
	s_and_b32 s29, vcc_lo, s28
	s_delay_alu instid0(VALU_DEP_1) | instid1(SALU_CYCLE_1)
	s_or_b32 s29, s0, s29
	s_delay_alu instid0(SALU_CYCLE_1) | instskip(NEXT) | instid1(SALU_CYCLE_1)
	s_and_b32 s0, s29, exec_lo
	s_or_b32 s26, s26, s0
	s_mov_b32 s0, exec_lo
	v_cmpx_eq_u16_e64 v19, v20
	s_cbranch_execz .LBB634_262
; %bb.264:                              ;   in Loop: Header=BB634_263 Depth=1
	s_add_u32 s20, s20, -1
	s_addc_u32 s21, s21, -1
	v_add_co_u32 v2, vcc_lo, v2, 2
	s_cmp_eq_u64 s[20:21], 0
	v_add_co_ci_u32_e32 v3, vcc_lo, 0, v3, vcc_lo
	v_add_co_u32 v6, vcc_lo, v6, 2
	s_cselect_b32 s28, -1, 0
	v_add_co_ci_u32_e32 v7, vcc_lo, 0, v7, vcc_lo
	s_and_not1_b32 s27, s27, exec_lo
	s_and_b32 s29, s29, exec_lo
	s_and_not1_b32 s25, s25, exec_lo
	s_and_b32 s28, s28, exec_lo
	s_or_b32 s27, s27, s29
	s_and_not1_b32 s26, s26, exec_lo
	s_or_b32 s25, s25, s28
                                        ; implicit-def: $sgpr28
	s_branch .LBB634_262
.LBB634_265:
	s_set_inst_prefetch_distance 0x2
	s_or_b32 exec_lo, exec_lo, s23
	s_xor_b32 s0, s24, -1
	s_branch .LBB634_267
.LBB634_266:
	s_mov_b32 s0, -1
.LBB634_267:
	s_delay_alu instid0(SALU_CYCLE_1)
	s_and_b32 s0, s0, exec_lo
.LBB634_268:
	s_or_b32 exec_lo, exec_lo, s19
	s_delay_alu instid0(SALU_CYCLE_1)
	s_or_not1_b32 s19, s0, exec_lo
.LBB634_269:
	s_or_b32 exec_lo, exec_lo, s22
	v_cndmask_b32_e64 v2, v9, v8, s19
	v_cndmask_b32_e64 v3, v15, v14, s19
	s_mov_b32 s0, -1
	s_mov_b32 s22, exec_lo
	s_delay_alu instid0(VALU_DEP_2) | instskip(NEXT) | instid1(VALU_DEP_2)
	v_add_nc_u32_e32 v6, 1, v2
	v_add_nc_u32_e32 v2, -1, v3
	s_delay_alu instid0(VALU_DEP_2) | instskip(NEXT) | instid1(VALU_DEP_2)
	v_cndmask_b32_e64 v22, v6, v9, s19
	v_min_u32_e32 v2, v6, v2
	v_cndmask_b32_e64 v19, v8, v6, s19
	s_delay_alu instid0(VALU_DEP_2)
	v_lshl_add_u32 v2, v2, 3, v16
	ds_load_b64 v[2:3], v2
	s_waitcnt lgkmcnt(0)
	v_cndmask_b32_e64 v20, v3, v10, s19
	v_cndmask_b32_e64 v21, v2, v11, s19
	;; [unrolled: 1-line block ×4, first 2 shown]
	v_cmpx_lt_u32_e64 v22, v15
	s_cbranch_execz .LBB634_280
; %bb.270:
	s_mov_b32 s0, 0
	s_mov_b32 s23, exec_lo
	v_cmpx_lt_u32_e64 v19, v14
	s_cbranch_execz .LBB634_279
; %bb.271:
	s_and_not1_b32 vcc_lo, exec_lo, s7
	s_cbranch_vccnz .LBB634_277
; %bb.272:
	v_mul_lo_u32 v8, v20, s8
	v_mul_lo_u32 v9, v21, s9
	v_mad_u64_u32 v[2:3], null, v21, s8, 0
	v_mul_lo_u32 v25, v23, s8
	v_mul_lo_u32 v40, v24, s9
	v_mad_u64_u32 v[6:7], null, v24, s8, 0
	s_mov_b32 s24, 0
	s_mov_b64 s[20:21], s[8:9]
	s_delay_alu instid0(VALU_DEP_4) | instskip(NEXT) | instid1(VALU_DEP_2)
	v_add3_u32 v3, v3, v9, v8
                                        ; implicit-def: $sgpr25
                                        ; implicit-def: $sgpr26
                                        ; implicit-def: $sgpr27
                                        ; implicit-def: $sgpr28
                                        ; implicit-def: $sgpr29
	v_add3_u32 v7, v7, v40, v25
	s_delay_alu instid0(VALU_DEP_2) | instskip(NEXT) | instid1(VALU_DEP_2)
	v_lshlrev_b64 v[2:3], 1, v[2:3]
	v_lshlrev_b64 v[6:7], 1, v[6:7]
	s_delay_alu instid0(VALU_DEP_2) | instskip(NEXT) | instid1(VALU_DEP_3)
	v_add_co_u32 v2, vcc_lo, s10, v2
	v_add_co_ci_u32_e32 v3, vcc_lo, s11, v3, vcc_lo
	s_delay_alu instid0(VALU_DEP_3) | instskip(NEXT) | instid1(VALU_DEP_4)
	v_add_co_u32 v6, vcc_lo, s10, v6
	v_add_co_ci_u32_e32 v7, vcc_lo, s11, v7, vcc_lo
	s_set_inst_prefetch_distance 0x1
	s_branch .LBB634_274
	.p2align	6
.LBB634_273:                            ;   in Loop: Header=BB634_274 Depth=1
	s_or_b32 exec_lo, exec_lo, s0
	s_delay_alu instid0(SALU_CYCLE_1) | instskip(NEXT) | instid1(SALU_CYCLE_1)
	s_and_b32 s0, exec_lo, s26
	s_or_b32 s24, s0, s24
	s_and_not1_b32 s0, s29, exec_lo
	s_and_b32 s29, s28, exec_lo
	s_and_not1_b32 s25, s25, exec_lo
	s_and_b32 s30, s27, exec_lo
	s_or_b32 s29, s0, s29
	s_or_b32 s25, s25, s30
	s_and_not1_b32 exec_lo, exec_lo, s24
	s_cbranch_execz .LBB634_276
.LBB634_274:                            ; =>This Inner Loop Header: Depth=1
	global_load_u16 v8, v[2:3], off
	global_load_u16 v9, v[6:7], off
	s_and_not1_b32 s27, s27, exec_lo
	s_and_not1_b32 s28, s28, exec_lo
	s_or_b32 s26, s26, exec_lo
	s_waitcnt vmcnt(0)
	v_cmp_le_i16_e32 vcc_lo, v8, v9
	v_cmp_lt_i16_e64 s0, v8, v9
	s_and_b32 s30, vcc_lo, s29
	s_delay_alu instid0(VALU_DEP_1) | instid1(SALU_CYCLE_1)
	s_or_b32 s30, s0, s30
	s_delay_alu instid0(SALU_CYCLE_1) | instskip(NEXT) | instid1(SALU_CYCLE_1)
	s_and_b32 s0, s30, exec_lo
	s_or_b32 s27, s27, s0
	s_mov_b32 s0, exec_lo
	v_cmpx_eq_u16_e64 v8, v9
	s_cbranch_execz .LBB634_273
; %bb.275:                              ;   in Loop: Header=BB634_274 Depth=1
	s_add_u32 s20, s20, -1
	s_addc_u32 s21, s21, -1
	v_add_co_u32 v2, vcc_lo, v2, 2
	s_cmp_eq_u64 s[20:21], 0
	v_add_co_ci_u32_e32 v3, vcc_lo, 0, v3, vcc_lo
	v_add_co_u32 v6, vcc_lo, v6, 2
	s_cselect_b32 s29, -1, 0
	v_add_co_ci_u32_e32 v7, vcc_lo, 0, v7, vcc_lo
	s_and_not1_b32 s28, s28, exec_lo
	s_and_b32 s30, s30, exec_lo
	s_and_not1_b32 s26, s26, exec_lo
	s_and_b32 s29, s29, exec_lo
	s_or_b32 s28, s28, s30
	s_and_not1_b32 s27, s27, exec_lo
	s_or_b32 s26, s26, s29
                                        ; implicit-def: $sgpr29
	s_branch .LBB634_273
.LBB634_276:
	s_set_inst_prefetch_distance 0x2
	s_or_b32 exec_lo, exec_lo, s24
	s_xor_b32 s0, s25, -1
	s_branch .LBB634_278
.LBB634_277:
	s_mov_b32 s0, -1
.LBB634_278:
	s_delay_alu instid0(SALU_CYCLE_1)
	s_and_b32 s0, s0, exec_lo
.LBB634_279:
	s_or_b32 exec_lo, exec_lo, s23
	s_delay_alu instid0(SALU_CYCLE_1)
	s_or_not1_b32 s0, s0, exec_lo
.LBB634_280:
	s_or_b32 exec_lo, exec_lo, s22
	v_cndmask_b32_e64 v2, v22, v19, s0
	v_cndmask_b32_e64 v3, v15, v14, s0
	;; [unrolled: 1-line block ×5, first 2 shown]
	v_add_nc_u32_e32 v25, 1, v2
	v_add_nc_u32_e32 v2, -1, v3
	v_cndmask_b32_e64 v3, v10, v17, s19
	v_cndmask_b32_e64 v4, v21, v24, s0
	s_mov_b32 s12, exec_lo
	v_cndmask_b32_e64 v10, v25, v22, s0
	v_min_u32_e32 v2, v25, v2
	s_delay_alu instid0(VALU_DEP_1)
	v_lshl_add_u32 v2, v2, 3, v16
	ds_load_b64 v[8:9], v2
	v_cndmask_b32_e64 v2, v11, v18, s19
	s_waitcnt lgkmcnt(0)
	v_cndmask_b32_e64 v7, v23, v9, s0
	v_cndmask_b32_e64 v6, v24, v8, s0
	v_cmpx_lt_u32_e64 v10, v15
	s_cbranch_execz .LBB634_290
; %bb.281:
	v_cndmask_b32_e64 v10, v19, v25, s0
	v_cndmask_b32_e64 v9, v9, v20, s0
	;; [unrolled: 1-line block ×3, first 2 shown]
	s_mov_b32 s19, exec_lo
	s_delay_alu instid0(VALU_DEP_3)
	v_cmpx_lt_u32_e64 v10, v14
	s_cbranch_execz .LBB634_289
; %bb.282:
	s_and_not1_b32 vcc_lo, exec_lo, s7
	s_cbranch_vccnz .LBB634_288
; %bb.283:
	v_mul_lo_u32 v16, v9, s8
	v_mul_lo_u32 v17, v8, s9
	v_mad_u64_u32 v[10:11], null, v8, s8, 0
	v_mul_lo_u32 v18, v7, s8
	v_mul_lo_u32 v19, v6, s9
	v_mad_u64_u32 v[14:15], null, v6, s8, 0
	s_mov_b32 s22, 0
	s_mov_b64 s[20:21], s[8:9]
	s_delay_alu instid0(VALU_DEP_4) | instskip(NEXT) | instid1(VALU_DEP_2)
	v_add3_u32 v11, v11, v17, v16
                                        ; implicit-def: $sgpr23
                                        ; implicit-def: $sgpr24
                                        ; implicit-def: $sgpr25
                                        ; implicit-def: $sgpr26
                                        ; implicit-def: $sgpr27
	v_add3_u32 v15, v15, v19, v18
	s_delay_alu instid0(VALU_DEP_2) | instskip(NEXT) | instid1(VALU_DEP_2)
	v_lshlrev_b64 v[10:11], 1, v[10:11]
	v_lshlrev_b64 v[14:15], 1, v[14:15]
	s_delay_alu instid0(VALU_DEP_2) | instskip(NEXT) | instid1(VALU_DEP_3)
	v_add_co_u32 v10, vcc_lo, s10, v10
	v_add_co_ci_u32_e32 v11, vcc_lo, s11, v11, vcc_lo
	s_delay_alu instid0(VALU_DEP_3) | instskip(NEXT) | instid1(VALU_DEP_4)
	v_add_co_u32 v14, vcc_lo, s10, v14
	v_add_co_ci_u32_e32 v15, vcc_lo, s11, v15, vcc_lo
	s_set_inst_prefetch_distance 0x1
	s_branch .LBB634_285
	.p2align	6
.LBB634_284:                            ;   in Loop: Header=BB634_285 Depth=1
	s_or_b32 exec_lo, exec_lo, s0
	s_delay_alu instid0(SALU_CYCLE_1) | instskip(NEXT) | instid1(SALU_CYCLE_1)
	s_and_b32 s0, exec_lo, s24
	s_or_b32 s22, s0, s22
	s_and_not1_b32 s0, s27, exec_lo
	s_and_b32 s27, s26, exec_lo
	s_and_not1_b32 s23, s23, exec_lo
	s_and_b32 s28, s25, exec_lo
	s_or_b32 s27, s0, s27
	s_or_b32 s23, s23, s28
	s_and_not1_b32 exec_lo, exec_lo, s22
	s_cbranch_execz .LBB634_287
.LBB634_285:                            ; =>This Inner Loop Header: Depth=1
	global_load_u16 v16, v[10:11], off
	global_load_u16 v17, v[14:15], off
	s_and_not1_b32 s25, s25, exec_lo
	s_and_not1_b32 s26, s26, exec_lo
	s_or_b32 s24, s24, exec_lo
	s_waitcnt vmcnt(0)
	v_cmp_le_i16_e32 vcc_lo, v16, v17
	v_cmp_lt_i16_e64 s0, v16, v17
	s_and_b32 s28, vcc_lo, s27
	s_delay_alu instid0(VALU_DEP_1) | instid1(SALU_CYCLE_1)
	s_or_b32 s28, s0, s28
	s_delay_alu instid0(SALU_CYCLE_1) | instskip(NEXT) | instid1(SALU_CYCLE_1)
	s_and_b32 s0, s28, exec_lo
	s_or_b32 s25, s25, s0
	s_mov_b32 s0, exec_lo
	v_cmpx_eq_u16_e64 v16, v17
	s_cbranch_execz .LBB634_284
; %bb.286:                              ;   in Loop: Header=BB634_285 Depth=1
	s_add_u32 s20, s20, -1
	s_addc_u32 s21, s21, -1
	v_add_co_u32 v10, vcc_lo, v10, 2
	s_cmp_eq_u64 s[20:21], 0
	v_add_co_ci_u32_e32 v11, vcc_lo, 0, v11, vcc_lo
	v_add_co_u32 v14, vcc_lo, v14, 2
	s_cselect_b32 s27, -1, 0
	v_add_co_ci_u32_e32 v15, vcc_lo, 0, v15, vcc_lo
	s_and_not1_b32 s26, s26, exec_lo
	s_and_b32 s28, s28, exec_lo
	s_and_not1_b32 s24, s24, exec_lo
	s_and_b32 s27, s27, exec_lo
	s_or_b32 s26, s26, s28
	s_and_not1_b32 s25, s25, exec_lo
	s_or_b32 s24, s24, s27
                                        ; implicit-def: $sgpr27
	s_branch .LBB634_284
.LBB634_287:
	s_set_inst_prefetch_distance 0x2
	s_or_b32 exec_lo, exec_lo, s22
	v_cndmask_b32_e64 v7, v7, v9, s23
	v_cndmask_b32_e64 v6, v6, v8, s23
.LBB634_288:
	s_delay_alu instid0(VALU_DEP_1)
	v_dual_mov_b32 v9, v7 :: v_dual_mov_b32 v8, v6
.LBB634_289:
	s_or_b32 exec_lo, exec_lo, s19
	s_delay_alu instid0(VALU_DEP_1)
	v_dual_mov_b32 v6, v8 :: v_dual_mov_b32 v7, v9
.LBB634_290:
	s_or_b32 exec_lo, exec_lo, s12
.LBB634_291:
	s_delay_alu instid0(SALU_CYCLE_1) | instskip(SKIP_4) | instid1(VALU_DEP_3)
	s_or_b32 exec_lo, exec_lo, s1
	v_and_b32_e32 v19, 0xf80, v27
	v_and_b32_e32 v20, 0x7c, v27
	v_lshlrev_b32_e32 v16, 3, v27
	s_mov_b32 s1, exec_lo
	v_or_b32_e32 v8, 64, v19
	v_lshlrev_b32_e32 v18, 3, v19
	; wave barrier
	s_waitcnt lgkmcnt(0)
	s_barrier
	s_delay_alu instid0(VALU_DEP_2)
	v_min_u32_e32 v9, 0x3c0, v8
	v_min_u32_e32 v14, 0x400, v8
	buffer_gl0_inv
	ds_store_b128 v16, v[0:3]
	ds_store_b128 v16, v[4:7] offset:16
	s_waitcnt lgkmcnt(0)
	v_add_nc_u32_e32 v15, 64, v9
	v_sub_nc_u32_e32 v8, v14, v19
	s_barrier
	buffer_gl0_inv
	v_sub_nc_u32_e32 v9, v15, v14
	v_min_u32_e32 v21, v20, v8
	s_delay_alu instid0(VALU_DEP_2) | instskip(NEXT) | instid1(VALU_DEP_1)
	v_sub_nc_u32_e64 v17, v20, v9 clamp
	v_cmpx_lt_u32_e64 v17, v21
	s_cbranch_execz .LBB634_301
; %bb.292:
	v_lshlrev_b32_e32 v8, 3, v20
	s_lshl_b64 s[20:21], s[8:9], 1
	s_mov_b32 s12, 0
	s_delay_alu instid0(VALU_DEP_1)
	v_lshl_add_u32 v22, v14, 3, v8
	s_branch .LBB634_295
.LBB634_293:                            ;   in Loop: Header=BB634_295 Depth=1
	s_set_inst_prefetch_distance 0x2
	s_or_b32 exec_lo, exec_lo, s19
.LBB634_294:                            ;   in Loop: Header=BB634_295 Depth=1
	s_delay_alu instid0(VALU_DEP_1) | instskip(SKIP_1) | instid1(VALU_DEP_2)
	v_add_nc_u32_e32 v8, 1, v23
	v_cndmask_b32_e64 v21, v21, v23, s24
	v_cndmask_b32_e64 v17, v8, v17, s24
	s_delay_alu instid0(VALU_DEP_1) | instskip(SKIP_1) | instid1(SALU_CYCLE_1)
	v_cmp_ge_u32_e32 vcc_lo, v17, v21
	s_or_b32 s12, vcc_lo, s12
	s_and_not1_b32 exec_lo, exec_lo, s12
	s_cbranch_execz .LBB634_300
.LBB634_295:                            ; =>This Loop Header: Depth=1
                                        ;     Child Loop BB634_298 Depth 2
	v_add_nc_u32_e32 v8, v21, v17
	s_and_not1_b32 vcc_lo, exec_lo, s7
	s_mov_b32 s24, 0
	s_delay_alu instid0(VALU_DEP_1)
	v_lshrrev_b32_e32 v23, 1, v8
	s_cbranch_vccnz .LBB634_294
; %bb.296:                              ;   in Loop: Header=BB634_295 Depth=1
	s_delay_alu instid0(VALU_DEP_1) | instskip(SKIP_3) | instid1(VALU_DEP_2)
	v_not_b32_e32 v8, v23
	v_lshl_add_u32 v9, v23, 3, v18
	s_mov_b32 s19, 0
	s_mov_b64 s[22:23], s[8:9]
                                        ; implicit-def: $sgpr24
                                        ; implicit-def: $sgpr25
                                        ; implicit-def: $sgpr26
                                        ; implicit-def: $sgpr27
                                        ; implicit-def: $sgpr28
	v_lshl_add_u32 v8, v8, 3, v22
	ds_load_b64 v[10:11], v8
	ds_load_b64 v[24:25], v9
	s_waitcnt lgkmcnt(1)
	v_mul_lo_u32 v40, s20, v11
	v_mul_lo_u32 v41, s21, v10
	v_mad_u64_u32 v[8:9], null, s20, v10, s[10:11]
	s_waitcnt lgkmcnt(0)
	v_mul_lo_u32 v25, s20, v25
	v_mul_lo_u32 v42, s21, v24
	v_mad_u64_u32 v[10:11], null, s20, v24, s[10:11]
	s_delay_alu instid0(VALU_DEP_4) | instskip(NEXT) | instid1(VALU_DEP_2)
	v_add3_u32 v9, v41, v9, v40
	v_add3_u32 v11, v42, v11, v25
	s_set_inst_prefetch_distance 0x1
	s_branch .LBB634_298
	.p2align	6
.LBB634_297:                            ;   in Loop: Header=BB634_298 Depth=2
	s_or_b32 exec_lo, exec_lo, s0
	s_delay_alu instid0(SALU_CYCLE_1) | instskip(NEXT) | instid1(SALU_CYCLE_1)
	s_and_b32 s0, exec_lo, s25
	s_or_b32 s19, s0, s19
	s_and_not1_b32 s0, s28, exec_lo
	s_and_b32 s28, s26, exec_lo
	s_and_not1_b32 s24, s24, exec_lo
	s_and_b32 s29, s27, exec_lo
	s_or_b32 s28, s0, s28
	s_or_b32 s24, s24, s29
	s_and_not1_b32 exec_lo, exec_lo, s19
	s_cbranch_execz .LBB634_293
.LBB634_298:                            ;   Parent Loop BB634_295 Depth=1
                                        ; =>  This Inner Loop Header: Depth=2
	global_load_u16 v24, v[8:9], off
	global_load_u16 v25, v[10:11], off
	s_and_not1_b32 s27, s27, exec_lo
	s_and_not1_b32 s26, s26, exec_lo
	s_or_b32 s25, s25, exec_lo
	s_waitcnt vmcnt(0)
	v_cmp_le_i16_e32 vcc_lo, v24, v25
	v_cmp_lt_i16_e64 s0, v24, v25
	s_and_b32 s29, vcc_lo, s28
	s_delay_alu instid0(VALU_DEP_1) | instid1(SALU_CYCLE_1)
	s_or_b32 s29, s0, s29
	s_delay_alu instid0(SALU_CYCLE_1) | instskip(NEXT) | instid1(SALU_CYCLE_1)
	s_and_b32 s0, s29, exec_lo
	s_or_b32 s27, s27, s0
	s_mov_b32 s0, exec_lo
	v_cmpx_eq_u16_e64 v24, v25
	s_cbranch_execz .LBB634_297
; %bb.299:                              ;   in Loop: Header=BB634_298 Depth=2
	s_add_u32 s22, s22, -1
	s_addc_u32 s23, s23, -1
	v_add_co_u32 v8, vcc_lo, v8, 2
	v_add_co_ci_u32_e32 v9, vcc_lo, 0, v9, vcc_lo
	s_cmp_eq_u64 s[22:23], 0
	v_add_co_u32 v10, vcc_lo, v10, 2
	s_cselect_b32 s28, -1, 0
	v_add_co_ci_u32_e32 v11, vcc_lo, 0, v11, vcc_lo
	s_and_not1_b32 s26, s26, exec_lo
	s_and_b32 s29, s29, exec_lo
	s_and_not1_b32 s25, s25, exec_lo
	s_and_b32 s28, s28, exec_lo
	s_and_not1_b32 s27, s27, exec_lo
	s_or_b32 s26, s26, s29
	s_or_b32 s25, s25, s28
                                        ; implicit-def: $sgpr28
	s_branch .LBB634_297
.LBB634_300:
	s_or_b32 exec_lo, exec_lo, s12
.LBB634_301:
	s_delay_alu instid0(SALU_CYCLE_1) | instskip(SKIP_2) | instid1(VALU_DEP_2)
	s_or_b32 exec_lo, exec_lo, s1
	v_sub_nc_u32_e32 v9, v20, v17
	v_add_nc_u32_e32 v8, v17, v19
	v_add_nc_u32_e32 v9, v9, v14
	s_delay_alu instid0(VALU_DEP_2) | instskip(NEXT) | instid1(VALU_DEP_2)
	v_cmp_le_u32_e32 vcc_lo, v8, v14
	v_cmp_le_u32_e64 s0, v9, v15
	s_delay_alu instid0(VALU_DEP_1) | instskip(NEXT) | instid1(SALU_CYCLE_1)
	s_or_b32 s0, vcc_lo, s0
	s_and_saveexec_b32 s1, s0
	s_cbranch_execz .LBB634_348
; %bb.302:
	v_cmp_ge_u32_e32 vcc_lo, v8, v14
	s_mov_b32 s12, exec_lo
                                        ; implicit-def: $vgpr0_vgpr1
	v_cmpx_lt_u32_e64 v8, v14
	s_cbranch_execz .LBB634_304
; %bb.303:
	v_lshl_add_u32 v0, v17, 3, v18
	ds_load_b64 v[0:1], v0
.LBB634_304:
	s_or_b32 exec_lo, exec_lo, s12
	v_cmp_ge_u32_e64 s12, v9, v15
	s_mov_b32 s19, exec_lo
                                        ; implicit-def: $vgpr4_vgpr5
	v_cmpx_lt_u32_e64 v9, v15
	s_cbranch_execz .LBB634_306
; %bb.305:
	v_lshlrev_b32_e32 v2, 3, v9
	ds_load_b64 v[4:5], v2
.LBB634_306:
	s_or_b32 exec_lo, exec_lo, s19
	s_or_b32 s0, vcc_lo, s12
	s_mov_b32 s19, -1
	s_xor_b32 s0, s0, -1
	s_delay_alu instid0(SALU_CYCLE_1)
	s_and_saveexec_b32 s22, s0
	s_cbranch_execz .LBB634_315
; %bb.307:
	s_and_not1_b32 vcc_lo, exec_lo, s7
	s_cbranch_vccnz .LBB634_313
; %bb.308:
	s_waitcnt lgkmcnt(0)
	v_mul_lo_u32 v10, v5, s8
	v_mul_lo_u32 v11, v4, s9
	v_mad_u64_u32 v[2:3], null, v4, s8, 0
	v_mul_lo_u32 v17, v1, s8
	v_mul_lo_u32 v18, v0, s9
	v_mad_u64_u32 v[6:7], null, v0, s8, 0
	s_mov_b32 s23, 0
	s_mov_b64 s[20:21], s[8:9]
	s_delay_alu instid0(VALU_DEP_4) | instskip(NEXT) | instid1(VALU_DEP_2)
	v_add3_u32 v3, v3, v11, v10
                                        ; implicit-def: $sgpr24
                                        ; implicit-def: $sgpr25
                                        ; implicit-def: $sgpr26
                                        ; implicit-def: $sgpr27
                                        ; implicit-def: $sgpr28
	v_add3_u32 v7, v7, v18, v17
	s_delay_alu instid0(VALU_DEP_2) | instskip(NEXT) | instid1(VALU_DEP_2)
	v_lshlrev_b64 v[2:3], 1, v[2:3]
	v_lshlrev_b64 v[6:7], 1, v[6:7]
	s_delay_alu instid0(VALU_DEP_2) | instskip(NEXT) | instid1(VALU_DEP_3)
	v_add_co_u32 v2, vcc_lo, s10, v2
	v_add_co_ci_u32_e32 v3, vcc_lo, s11, v3, vcc_lo
	s_delay_alu instid0(VALU_DEP_3) | instskip(NEXT) | instid1(VALU_DEP_4)
	v_add_co_u32 v6, vcc_lo, s10, v6
	v_add_co_ci_u32_e32 v7, vcc_lo, s11, v7, vcc_lo
	s_set_inst_prefetch_distance 0x1
	s_branch .LBB634_310
	.p2align	6
.LBB634_309:                            ;   in Loop: Header=BB634_310 Depth=1
	s_or_b32 exec_lo, exec_lo, s0
	s_delay_alu instid0(SALU_CYCLE_1) | instskip(NEXT) | instid1(SALU_CYCLE_1)
	s_and_b32 s0, exec_lo, s25
	s_or_b32 s23, s0, s23
	s_and_not1_b32 s0, s28, exec_lo
	s_and_b32 s28, s27, exec_lo
	s_and_not1_b32 s24, s24, exec_lo
	s_and_b32 s29, s26, exec_lo
	s_or_b32 s28, s0, s28
	s_or_b32 s24, s24, s29
	s_and_not1_b32 exec_lo, exec_lo, s23
	s_cbranch_execz .LBB634_312
.LBB634_310:                            ; =>This Inner Loop Header: Depth=1
	global_load_u16 v10, v[2:3], off
	global_load_u16 v11, v[6:7], off
	s_and_not1_b32 s26, s26, exec_lo
	s_and_not1_b32 s27, s27, exec_lo
	s_or_b32 s25, s25, exec_lo
	s_waitcnt vmcnt(0)
	v_cmp_le_i16_e32 vcc_lo, v10, v11
	v_cmp_lt_i16_e64 s0, v10, v11
	s_and_b32 s29, vcc_lo, s28
	s_delay_alu instid0(VALU_DEP_1) | instid1(SALU_CYCLE_1)
	s_or_b32 s29, s0, s29
	s_delay_alu instid0(SALU_CYCLE_1) | instskip(NEXT) | instid1(SALU_CYCLE_1)
	s_and_b32 s0, s29, exec_lo
	s_or_b32 s26, s26, s0
	s_mov_b32 s0, exec_lo
	v_cmpx_eq_u16_e64 v10, v11
	s_cbranch_execz .LBB634_309
; %bb.311:                              ;   in Loop: Header=BB634_310 Depth=1
	s_add_u32 s20, s20, -1
	s_addc_u32 s21, s21, -1
	v_add_co_u32 v2, vcc_lo, v2, 2
	s_cmp_eq_u64 s[20:21], 0
	v_add_co_ci_u32_e32 v3, vcc_lo, 0, v3, vcc_lo
	s_cselect_b32 s28, -1, 0
	s_and_not1_b32 s27, s27, exec_lo
	s_and_b32 s29, s29, exec_lo
	v_add_co_u32 v6, vcc_lo, v6, 2
	s_and_not1_b32 s25, s25, exec_lo
	s_and_b32 s28, s28, exec_lo
	v_add_co_ci_u32_e32 v7, vcc_lo, 0, v7, vcc_lo
	s_or_b32 s27, s27, s29
	s_and_not1_b32 s26, s26, exec_lo
	s_or_b32 s25, s25, s28
                                        ; implicit-def: $sgpr28
	s_branch .LBB634_309
.LBB634_312:
	s_set_inst_prefetch_distance 0x2
	s_or_b32 exec_lo, exec_lo, s23
	s_xor_b32 s0, s24, -1
	s_branch .LBB634_314
.LBB634_313:
	s_mov_b32 s0, -1
.LBB634_314:
	s_and_not1_b32 s12, s12, exec_lo
	s_and_b32 s0, s0, exec_lo
	s_delay_alu instid0(SALU_CYCLE_1)
	s_or_b32 s12, s12, s0
.LBB634_315:
	s_or_b32 exec_lo, exec_lo, s22
	v_cndmask_b32_e64 v2, v9, v8, s12
	v_cndmask_b32_e64 v3, v15, v14, s12
	s_mov_b32 s22, exec_lo
	s_delay_alu instid0(VALU_DEP_2) | instskip(NEXT) | instid1(VALU_DEP_2)
	v_add_nc_u32_e32 v6, 1, v2
	v_add_nc_u32_e32 v2, -1, v3
	s_delay_alu instid0(VALU_DEP_2) | instskip(NEXT) | instid1(VALU_DEP_2)
	v_cndmask_b32_e64 v9, v6, v9, s12
	v_min_u32_e32 v2, v6, v2
	v_cndmask_b32_e64 v8, v8, v6, s12
	s_delay_alu instid0(VALU_DEP_2)
	v_lshlrev_b32_e32 v2, 3, v2
	ds_load_b64 v[2:3], v2
	s_waitcnt lgkmcnt(0)
	v_cndmask_b32_e64 v10, v3, v5, s12
	v_cndmask_b32_e64 v11, v2, v4, s12
	;; [unrolled: 1-line block ×4, first 2 shown]
	v_cmpx_lt_u32_e64 v9, v15
	s_cbranch_execz .LBB634_326
; %bb.316:
	s_mov_b32 s0, 0
	s_mov_b32 s19, exec_lo
	v_cmpx_lt_u32_e64 v8, v14
	s_cbranch_execz .LBB634_325
; %bb.317:
	s_and_not1_b32 vcc_lo, exec_lo, s7
	s_cbranch_vccnz .LBB634_323
; %bb.318:
	v_mul_lo_u32 v19, v10, s8
	v_mul_lo_u32 v20, v11, s9
	v_mad_u64_u32 v[2:3], null, v11, s8, 0
	v_mul_lo_u32 v21, v17, s8
	v_mul_lo_u32 v22, v18, s9
	v_mad_u64_u32 v[6:7], null, v18, s8, 0
	s_mov_b32 s23, 0
	s_mov_b64 s[20:21], s[8:9]
	s_delay_alu instid0(VALU_DEP_4) | instskip(NEXT) | instid1(VALU_DEP_2)
	v_add3_u32 v3, v3, v20, v19
                                        ; implicit-def: $sgpr24
                                        ; implicit-def: $sgpr25
                                        ; implicit-def: $sgpr26
                                        ; implicit-def: $sgpr27
                                        ; implicit-def: $sgpr28
	v_add3_u32 v7, v7, v22, v21
	s_delay_alu instid0(VALU_DEP_2) | instskip(NEXT) | instid1(VALU_DEP_2)
	v_lshlrev_b64 v[2:3], 1, v[2:3]
	v_lshlrev_b64 v[6:7], 1, v[6:7]
	s_delay_alu instid0(VALU_DEP_2) | instskip(NEXT) | instid1(VALU_DEP_3)
	v_add_co_u32 v2, vcc_lo, s10, v2
	v_add_co_ci_u32_e32 v3, vcc_lo, s11, v3, vcc_lo
	s_delay_alu instid0(VALU_DEP_3) | instskip(NEXT) | instid1(VALU_DEP_4)
	v_add_co_u32 v6, vcc_lo, s10, v6
	v_add_co_ci_u32_e32 v7, vcc_lo, s11, v7, vcc_lo
	s_set_inst_prefetch_distance 0x1
	s_branch .LBB634_320
	.p2align	6
.LBB634_319:                            ;   in Loop: Header=BB634_320 Depth=1
	s_or_b32 exec_lo, exec_lo, s0
	s_delay_alu instid0(SALU_CYCLE_1) | instskip(NEXT) | instid1(SALU_CYCLE_1)
	s_and_b32 s0, exec_lo, s25
	s_or_b32 s23, s0, s23
	s_and_not1_b32 s0, s28, exec_lo
	s_and_b32 s28, s27, exec_lo
	s_and_not1_b32 s24, s24, exec_lo
	s_and_b32 s29, s26, exec_lo
	s_or_b32 s28, s0, s28
	s_or_b32 s24, s24, s29
	s_and_not1_b32 exec_lo, exec_lo, s23
	s_cbranch_execz .LBB634_322
.LBB634_320:                            ; =>This Inner Loop Header: Depth=1
	global_load_u16 v19, v[2:3], off
	global_load_u16 v20, v[6:7], off
	s_and_not1_b32 s26, s26, exec_lo
	s_and_not1_b32 s27, s27, exec_lo
	s_or_b32 s25, s25, exec_lo
	s_waitcnt vmcnt(0)
	v_cmp_le_i16_e32 vcc_lo, v19, v20
	v_cmp_lt_i16_e64 s0, v19, v20
	s_and_b32 s29, vcc_lo, s28
	s_delay_alu instid0(VALU_DEP_1) | instid1(SALU_CYCLE_1)
	s_or_b32 s29, s0, s29
	s_delay_alu instid0(SALU_CYCLE_1) | instskip(NEXT) | instid1(SALU_CYCLE_1)
	s_and_b32 s0, s29, exec_lo
	s_or_b32 s26, s26, s0
	s_mov_b32 s0, exec_lo
	v_cmpx_eq_u16_e64 v19, v20
	s_cbranch_execz .LBB634_319
; %bb.321:                              ;   in Loop: Header=BB634_320 Depth=1
	s_add_u32 s20, s20, -1
	s_addc_u32 s21, s21, -1
	v_add_co_u32 v2, vcc_lo, v2, 2
	s_cmp_eq_u64 s[20:21], 0
	v_add_co_ci_u32_e32 v3, vcc_lo, 0, v3, vcc_lo
	v_add_co_u32 v6, vcc_lo, v6, 2
	s_cselect_b32 s28, -1, 0
	v_add_co_ci_u32_e32 v7, vcc_lo, 0, v7, vcc_lo
	s_and_not1_b32 s27, s27, exec_lo
	s_and_b32 s29, s29, exec_lo
	s_and_not1_b32 s25, s25, exec_lo
	s_and_b32 s28, s28, exec_lo
	s_or_b32 s27, s27, s29
	s_and_not1_b32 s26, s26, exec_lo
	s_or_b32 s25, s25, s28
                                        ; implicit-def: $sgpr28
	s_branch .LBB634_319
.LBB634_322:
	s_set_inst_prefetch_distance 0x2
	s_or_b32 exec_lo, exec_lo, s23
	s_xor_b32 s0, s24, -1
	s_branch .LBB634_324
.LBB634_323:
	s_mov_b32 s0, -1
.LBB634_324:
	s_delay_alu instid0(SALU_CYCLE_1)
	s_and_b32 s0, s0, exec_lo
.LBB634_325:
	s_or_b32 exec_lo, exec_lo, s19
	s_delay_alu instid0(SALU_CYCLE_1)
	s_or_not1_b32 s19, s0, exec_lo
.LBB634_326:
	s_or_b32 exec_lo, exec_lo, s22
	v_cndmask_b32_e64 v2, v9, v8, s19
	v_cndmask_b32_e64 v3, v15, v14, s19
	s_mov_b32 s0, -1
	s_mov_b32 s22, exec_lo
	s_delay_alu instid0(VALU_DEP_2) | instskip(NEXT) | instid1(VALU_DEP_2)
	v_add_nc_u32_e32 v6, 1, v2
	v_add_nc_u32_e32 v2, -1, v3
	s_delay_alu instid0(VALU_DEP_2) | instskip(NEXT) | instid1(VALU_DEP_2)
	v_cndmask_b32_e64 v22, v6, v9, s19
	v_min_u32_e32 v2, v6, v2
	v_cndmask_b32_e64 v19, v8, v6, s19
	s_delay_alu instid0(VALU_DEP_2)
	v_lshlrev_b32_e32 v2, 3, v2
	ds_load_b64 v[2:3], v2
	s_waitcnt lgkmcnt(0)
	v_cndmask_b32_e64 v20, v3, v10, s19
	v_cndmask_b32_e64 v21, v2, v11, s19
	;; [unrolled: 1-line block ×4, first 2 shown]
	v_cmpx_lt_u32_e64 v22, v15
	s_cbranch_execz .LBB634_337
; %bb.327:
	s_mov_b32 s0, 0
	s_mov_b32 s23, exec_lo
	v_cmpx_lt_u32_e64 v19, v14
	s_cbranch_execz .LBB634_336
; %bb.328:
	s_and_not1_b32 vcc_lo, exec_lo, s7
	s_cbranch_vccnz .LBB634_334
; %bb.329:
	v_mul_lo_u32 v8, v20, s8
	v_mul_lo_u32 v9, v21, s9
	v_mad_u64_u32 v[2:3], null, v21, s8, 0
	v_mul_lo_u32 v25, v23, s8
	v_mul_lo_u32 v40, v24, s9
	v_mad_u64_u32 v[6:7], null, v24, s8, 0
	s_mov_b32 s24, 0
	s_mov_b64 s[20:21], s[8:9]
	s_delay_alu instid0(VALU_DEP_4) | instskip(NEXT) | instid1(VALU_DEP_2)
	v_add3_u32 v3, v3, v9, v8
                                        ; implicit-def: $sgpr25
                                        ; implicit-def: $sgpr26
                                        ; implicit-def: $sgpr27
                                        ; implicit-def: $sgpr28
                                        ; implicit-def: $sgpr29
	v_add3_u32 v7, v7, v40, v25
	s_delay_alu instid0(VALU_DEP_2) | instskip(NEXT) | instid1(VALU_DEP_2)
	v_lshlrev_b64 v[2:3], 1, v[2:3]
	v_lshlrev_b64 v[6:7], 1, v[6:7]
	s_delay_alu instid0(VALU_DEP_2) | instskip(NEXT) | instid1(VALU_DEP_3)
	v_add_co_u32 v2, vcc_lo, s10, v2
	v_add_co_ci_u32_e32 v3, vcc_lo, s11, v3, vcc_lo
	s_delay_alu instid0(VALU_DEP_3) | instskip(NEXT) | instid1(VALU_DEP_4)
	v_add_co_u32 v6, vcc_lo, s10, v6
	v_add_co_ci_u32_e32 v7, vcc_lo, s11, v7, vcc_lo
	s_set_inst_prefetch_distance 0x1
	s_branch .LBB634_331
	.p2align	6
.LBB634_330:                            ;   in Loop: Header=BB634_331 Depth=1
	s_or_b32 exec_lo, exec_lo, s0
	s_delay_alu instid0(SALU_CYCLE_1) | instskip(NEXT) | instid1(SALU_CYCLE_1)
	s_and_b32 s0, exec_lo, s26
	s_or_b32 s24, s0, s24
	s_and_not1_b32 s0, s29, exec_lo
	s_and_b32 s29, s28, exec_lo
	s_and_not1_b32 s25, s25, exec_lo
	s_and_b32 s30, s27, exec_lo
	s_or_b32 s29, s0, s29
	s_or_b32 s25, s25, s30
	s_and_not1_b32 exec_lo, exec_lo, s24
	s_cbranch_execz .LBB634_333
.LBB634_331:                            ; =>This Inner Loop Header: Depth=1
	global_load_u16 v8, v[2:3], off
	global_load_u16 v9, v[6:7], off
	s_and_not1_b32 s27, s27, exec_lo
	s_and_not1_b32 s28, s28, exec_lo
	s_or_b32 s26, s26, exec_lo
	s_waitcnt vmcnt(0)
	v_cmp_le_i16_e32 vcc_lo, v8, v9
	v_cmp_lt_i16_e64 s0, v8, v9
	s_and_b32 s30, vcc_lo, s29
	s_delay_alu instid0(VALU_DEP_1) | instid1(SALU_CYCLE_1)
	s_or_b32 s30, s0, s30
	s_delay_alu instid0(SALU_CYCLE_1) | instskip(NEXT) | instid1(SALU_CYCLE_1)
	s_and_b32 s0, s30, exec_lo
	s_or_b32 s27, s27, s0
	s_mov_b32 s0, exec_lo
	v_cmpx_eq_u16_e64 v8, v9
	s_cbranch_execz .LBB634_330
; %bb.332:                              ;   in Loop: Header=BB634_331 Depth=1
	s_add_u32 s20, s20, -1
	s_addc_u32 s21, s21, -1
	v_add_co_u32 v2, vcc_lo, v2, 2
	s_cmp_eq_u64 s[20:21], 0
	v_add_co_ci_u32_e32 v3, vcc_lo, 0, v3, vcc_lo
	v_add_co_u32 v6, vcc_lo, v6, 2
	s_cselect_b32 s29, -1, 0
	v_add_co_ci_u32_e32 v7, vcc_lo, 0, v7, vcc_lo
	s_and_not1_b32 s28, s28, exec_lo
	s_and_b32 s30, s30, exec_lo
	s_and_not1_b32 s26, s26, exec_lo
	s_and_b32 s29, s29, exec_lo
	s_or_b32 s28, s28, s30
	s_and_not1_b32 s27, s27, exec_lo
	s_or_b32 s26, s26, s29
                                        ; implicit-def: $sgpr29
	s_branch .LBB634_330
.LBB634_333:
	s_set_inst_prefetch_distance 0x2
	s_or_b32 exec_lo, exec_lo, s24
	s_xor_b32 s0, s25, -1
	s_branch .LBB634_335
.LBB634_334:
	s_mov_b32 s0, -1
.LBB634_335:
	s_delay_alu instid0(SALU_CYCLE_1)
	s_and_b32 s0, s0, exec_lo
.LBB634_336:
	s_or_b32 exec_lo, exec_lo, s23
	s_delay_alu instid0(SALU_CYCLE_1)
	s_or_not1_b32 s0, s0, exec_lo
.LBB634_337:
	s_or_b32 exec_lo, exec_lo, s22
	v_cndmask_b32_e64 v2, v22, v19, s0
	v_cndmask_b32_e64 v3, v15, v14, s0
	;; [unrolled: 1-line block ×5, first 2 shown]
	v_add_nc_u32_e32 v25, 1, v2
	v_add_nc_u32_e32 v2, -1, v3
	v_cndmask_b32_e64 v3, v10, v17, s19
	v_cndmask_b32_e64 v4, v21, v24, s0
	s_mov_b32 s12, exec_lo
	v_cndmask_b32_e64 v10, v25, v22, s0
	v_min_u32_e32 v2, v25, v2
	s_delay_alu instid0(VALU_DEP_1)
	v_lshlrev_b32_e32 v2, 3, v2
	ds_load_b64 v[8:9], v2
	v_cndmask_b32_e64 v2, v11, v18, s19
	s_waitcnt lgkmcnt(0)
	v_cndmask_b32_e64 v7, v23, v9, s0
	v_cndmask_b32_e64 v6, v24, v8, s0
	v_cmpx_lt_u32_e64 v10, v15
	s_cbranch_execz .LBB634_347
; %bb.338:
	v_cndmask_b32_e64 v10, v19, v25, s0
	v_cndmask_b32_e64 v9, v9, v20, s0
	;; [unrolled: 1-line block ×3, first 2 shown]
	s_mov_b32 s19, exec_lo
	s_delay_alu instid0(VALU_DEP_3)
	v_cmpx_lt_u32_e64 v10, v14
	s_cbranch_execz .LBB634_346
; %bb.339:
	s_and_not1_b32 vcc_lo, exec_lo, s7
	s_cbranch_vccnz .LBB634_345
; %bb.340:
	v_mul_lo_u32 v17, v9, s8
	v_mul_lo_u32 v18, v8, s9
	v_mad_u64_u32 v[10:11], null, v8, s8, 0
	v_mul_lo_u32 v19, v7, s8
	v_mul_lo_u32 v20, v6, s9
	v_mad_u64_u32 v[14:15], null, v6, s8, 0
	s_mov_b32 s22, 0
	s_mov_b64 s[20:21], s[8:9]
	s_delay_alu instid0(VALU_DEP_4) | instskip(NEXT) | instid1(VALU_DEP_2)
	v_add3_u32 v11, v11, v18, v17
                                        ; implicit-def: $sgpr23
                                        ; implicit-def: $sgpr24
                                        ; implicit-def: $sgpr25
                                        ; implicit-def: $sgpr26
                                        ; implicit-def: $sgpr27
	v_add3_u32 v15, v15, v20, v19
	s_delay_alu instid0(VALU_DEP_2) | instskip(NEXT) | instid1(VALU_DEP_2)
	v_lshlrev_b64 v[10:11], 1, v[10:11]
	v_lshlrev_b64 v[14:15], 1, v[14:15]
	s_delay_alu instid0(VALU_DEP_2) | instskip(NEXT) | instid1(VALU_DEP_3)
	v_add_co_u32 v10, vcc_lo, s10, v10
	v_add_co_ci_u32_e32 v11, vcc_lo, s11, v11, vcc_lo
	s_delay_alu instid0(VALU_DEP_3) | instskip(NEXT) | instid1(VALU_DEP_4)
	v_add_co_u32 v14, vcc_lo, s10, v14
	v_add_co_ci_u32_e32 v15, vcc_lo, s11, v15, vcc_lo
	s_set_inst_prefetch_distance 0x1
	s_branch .LBB634_342
	.p2align	6
.LBB634_341:                            ;   in Loop: Header=BB634_342 Depth=1
	s_or_b32 exec_lo, exec_lo, s0
	s_delay_alu instid0(SALU_CYCLE_1) | instskip(NEXT) | instid1(SALU_CYCLE_1)
	s_and_b32 s0, exec_lo, s24
	s_or_b32 s22, s0, s22
	s_and_not1_b32 s0, s27, exec_lo
	s_and_b32 s27, s26, exec_lo
	s_and_not1_b32 s23, s23, exec_lo
	s_and_b32 s28, s25, exec_lo
	s_or_b32 s27, s0, s27
	s_or_b32 s23, s23, s28
	s_and_not1_b32 exec_lo, exec_lo, s22
	s_cbranch_execz .LBB634_344
.LBB634_342:                            ; =>This Inner Loop Header: Depth=1
	global_load_u16 v17, v[10:11], off
	global_load_u16 v18, v[14:15], off
	s_and_not1_b32 s25, s25, exec_lo
	s_and_not1_b32 s26, s26, exec_lo
	s_or_b32 s24, s24, exec_lo
	s_waitcnt vmcnt(0)
	v_cmp_le_i16_e32 vcc_lo, v17, v18
	v_cmp_lt_i16_e64 s0, v17, v18
	s_and_b32 s28, vcc_lo, s27
	s_delay_alu instid0(VALU_DEP_1) | instid1(SALU_CYCLE_1)
	s_or_b32 s28, s0, s28
	s_delay_alu instid0(SALU_CYCLE_1) | instskip(NEXT) | instid1(SALU_CYCLE_1)
	s_and_b32 s0, s28, exec_lo
	s_or_b32 s25, s25, s0
	s_mov_b32 s0, exec_lo
	v_cmpx_eq_u16_e64 v17, v18
	s_cbranch_execz .LBB634_341
; %bb.343:                              ;   in Loop: Header=BB634_342 Depth=1
	s_add_u32 s20, s20, -1
	s_addc_u32 s21, s21, -1
	v_add_co_u32 v10, vcc_lo, v10, 2
	s_cmp_eq_u64 s[20:21], 0
	v_add_co_ci_u32_e32 v11, vcc_lo, 0, v11, vcc_lo
	v_add_co_u32 v14, vcc_lo, v14, 2
	s_cselect_b32 s27, -1, 0
	v_add_co_ci_u32_e32 v15, vcc_lo, 0, v15, vcc_lo
	s_and_not1_b32 s26, s26, exec_lo
	s_and_b32 s28, s28, exec_lo
	s_and_not1_b32 s24, s24, exec_lo
	s_and_b32 s27, s27, exec_lo
	s_or_b32 s26, s26, s28
	s_and_not1_b32 s25, s25, exec_lo
	s_or_b32 s24, s24, s27
                                        ; implicit-def: $sgpr27
	s_branch .LBB634_341
.LBB634_344:
	s_set_inst_prefetch_distance 0x2
	s_or_b32 exec_lo, exec_lo, s22
	v_cndmask_b32_e64 v7, v7, v9, s23
	v_cndmask_b32_e64 v6, v6, v8, s23
.LBB634_345:
	s_delay_alu instid0(VALU_DEP_1)
	v_dual_mov_b32 v9, v7 :: v_dual_mov_b32 v8, v6
.LBB634_346:
	s_or_b32 exec_lo, exec_lo, s19
	s_delay_alu instid0(VALU_DEP_1)
	v_dual_mov_b32 v6, v8 :: v_dual_mov_b32 v7, v9
.LBB634_347:
	s_or_b32 exec_lo, exec_lo, s12
.LBB634_348:
	s_delay_alu instid0(SALU_CYCLE_1) | instskip(SKIP_4) | instid1(VALU_DEP_2)
	s_or_b32 exec_lo, exec_lo, s1
	v_and_b32_e32 v19, 0xf00, v27
	v_and_b32_e32 v20, 0xfc, v27
	s_mov_b32 s1, exec_lo
	s_barrier
	v_or_b32_e32 v8, 0x80, v19
	v_lshlrev_b32_e32 v18, 3, v19
	buffer_gl0_inv
	ds_store_b128 v16, v[0:3]
	ds_store_b128 v16, v[4:7] offset:16
	s_waitcnt lgkmcnt(0)
	v_min_u32_e32 v9, 0x380, v8
	v_min_u32_e32 v14, 0x400, v8
	s_barrier
	buffer_gl0_inv
	v_add_nc_u32_e32 v15, 0x80, v9
	v_sub_nc_u32_e32 v8, v14, v19
	s_delay_alu instid0(VALU_DEP_2) | instskip(NEXT) | instid1(VALU_DEP_2)
	v_sub_nc_u32_e32 v9, v15, v14
	v_min_u32_e32 v21, v20, v8
	s_delay_alu instid0(VALU_DEP_2) | instskip(NEXT) | instid1(VALU_DEP_1)
	v_sub_nc_u32_e64 v17, v20, v9 clamp
	v_cmpx_lt_u32_e64 v17, v21
	s_cbranch_execz .LBB634_358
; %bb.349:
	v_lshlrev_b32_e32 v8, 3, v20
	s_lshl_b64 s[20:21], s[8:9], 1
	s_mov_b32 s12, 0
	s_delay_alu instid0(VALU_DEP_1)
	v_lshl_add_u32 v22, v14, 3, v8
	s_branch .LBB634_352
.LBB634_350:                            ;   in Loop: Header=BB634_352 Depth=1
	s_set_inst_prefetch_distance 0x2
	s_or_b32 exec_lo, exec_lo, s19
.LBB634_351:                            ;   in Loop: Header=BB634_352 Depth=1
	s_delay_alu instid0(VALU_DEP_1) | instskip(SKIP_1) | instid1(VALU_DEP_2)
	v_add_nc_u32_e32 v8, 1, v23
	v_cndmask_b32_e64 v21, v21, v23, s24
	v_cndmask_b32_e64 v17, v8, v17, s24
	s_delay_alu instid0(VALU_DEP_1) | instskip(SKIP_1) | instid1(SALU_CYCLE_1)
	v_cmp_ge_u32_e32 vcc_lo, v17, v21
	s_or_b32 s12, vcc_lo, s12
	s_and_not1_b32 exec_lo, exec_lo, s12
	s_cbranch_execz .LBB634_357
.LBB634_352:                            ; =>This Loop Header: Depth=1
                                        ;     Child Loop BB634_355 Depth 2
	v_add_nc_u32_e32 v8, v21, v17
	s_and_not1_b32 vcc_lo, exec_lo, s7
	s_mov_b32 s24, 0
	s_delay_alu instid0(VALU_DEP_1)
	v_lshrrev_b32_e32 v23, 1, v8
	s_cbranch_vccnz .LBB634_351
; %bb.353:                              ;   in Loop: Header=BB634_352 Depth=1
	s_delay_alu instid0(VALU_DEP_1) | instskip(SKIP_3) | instid1(VALU_DEP_2)
	v_not_b32_e32 v8, v23
	v_lshl_add_u32 v9, v23, 3, v18
	s_mov_b32 s19, 0
	s_mov_b64 s[22:23], s[8:9]
                                        ; implicit-def: $sgpr24
                                        ; implicit-def: $sgpr25
                                        ; implicit-def: $sgpr26
                                        ; implicit-def: $sgpr27
                                        ; implicit-def: $sgpr28
	v_lshl_add_u32 v8, v8, 3, v22
	ds_load_b64 v[10:11], v8
	ds_load_b64 v[24:25], v9
	s_waitcnt lgkmcnt(1)
	v_mul_lo_u32 v40, s20, v11
	v_mul_lo_u32 v41, s21, v10
	v_mad_u64_u32 v[8:9], null, s20, v10, s[10:11]
	s_waitcnt lgkmcnt(0)
	v_mul_lo_u32 v25, s20, v25
	v_mul_lo_u32 v42, s21, v24
	v_mad_u64_u32 v[10:11], null, s20, v24, s[10:11]
	s_delay_alu instid0(VALU_DEP_4) | instskip(NEXT) | instid1(VALU_DEP_2)
	v_add3_u32 v9, v41, v9, v40
	v_add3_u32 v11, v42, v11, v25
	s_set_inst_prefetch_distance 0x1
	s_branch .LBB634_355
	.p2align	6
.LBB634_354:                            ;   in Loop: Header=BB634_355 Depth=2
	s_or_b32 exec_lo, exec_lo, s29
	s_delay_alu instid0(SALU_CYCLE_1) | instskip(NEXT) | instid1(SALU_CYCLE_1)
	s_and_b32 s0, exec_lo, s25
	s_or_b32 s19, s0, s19
	s_and_not1_b32 s0, s28, exec_lo
	s_and_b32 s28, s26, exec_lo
	s_and_not1_b32 s24, s24, exec_lo
	s_and_b32 s29, s27, exec_lo
	s_or_b32 s28, s0, s28
	s_or_b32 s24, s24, s29
	s_and_not1_b32 exec_lo, exec_lo, s19
	s_cbranch_execz .LBB634_350
.LBB634_355:                            ;   Parent Loop BB634_352 Depth=1
                                        ; =>  This Inner Loop Header: Depth=2
	global_load_u16 v24, v[8:9], off
	global_load_u16 v25, v[10:11], off
	s_and_not1_b32 s27, s27, exec_lo
	s_and_not1_b32 s26, s26, exec_lo
	s_or_b32 s25, s25, exec_lo
	s_waitcnt vmcnt(0)
	v_cmp_le_i16_e32 vcc_lo, v24, v25
	v_cmp_lt_i16_e64 s0, v24, v25
	s_and_b32 s29, vcc_lo, s28
	s_delay_alu instid0(VALU_DEP_1) | instid1(SALU_CYCLE_1)
	s_or_b32 s0, s0, s29
	s_delay_alu instid0(SALU_CYCLE_1) | instskip(NEXT) | instid1(SALU_CYCLE_1)
	s_and_b32 s29, s0, exec_lo
	s_or_b32 s27, s27, s29
	s_mov_b32 s29, exec_lo
	v_cmpx_eq_u16_e64 v24, v25
	s_cbranch_execz .LBB634_354
; %bb.356:                              ;   in Loop: Header=BB634_355 Depth=2
	s_add_u32 s22, s22, -1
	s_addc_u32 s23, s23, -1
	v_add_co_u32 v8, vcc_lo, v8, 2
	v_add_co_ci_u32_e32 v9, vcc_lo, 0, v9, vcc_lo
	s_cmp_eq_u64 s[22:23], 0
	v_add_co_u32 v10, vcc_lo, v10, 2
	s_cselect_b32 s28, -1, 0
	v_add_co_ci_u32_e32 v11, vcc_lo, 0, v11, vcc_lo
	s_and_not1_b32 s26, s26, exec_lo
	s_and_b32 s0, s0, exec_lo
	s_and_not1_b32 s25, s25, exec_lo
	s_and_b32 s28, s28, exec_lo
	s_and_not1_b32 s27, s27, exec_lo
	s_or_b32 s26, s26, s0
	s_or_b32 s25, s25, s28
                                        ; implicit-def: $sgpr28
	s_branch .LBB634_354
.LBB634_357:
	s_or_b32 exec_lo, exec_lo, s12
.LBB634_358:
	s_delay_alu instid0(SALU_CYCLE_1) | instskip(SKIP_2) | instid1(VALU_DEP_2)
	s_or_b32 exec_lo, exec_lo, s1
	v_sub_nc_u32_e32 v9, v20, v17
	v_add_nc_u32_e32 v8, v17, v19
	v_add_nc_u32_e32 v9, v9, v14
	s_delay_alu instid0(VALU_DEP_2) | instskip(NEXT) | instid1(VALU_DEP_2)
	v_cmp_le_u32_e32 vcc_lo, v8, v14
	v_cmp_le_u32_e64 s0, v9, v15
	s_delay_alu instid0(VALU_DEP_1) | instskip(NEXT) | instid1(SALU_CYCLE_1)
	s_or_b32 s0, vcc_lo, s0
	s_and_saveexec_b32 s1, s0
	s_cbranch_execz .LBB634_405
; %bb.359:
	v_cmp_ge_u32_e32 vcc_lo, v8, v14
	s_mov_b32 s12, exec_lo
                                        ; implicit-def: $vgpr0_vgpr1
	v_cmpx_lt_u32_e64 v8, v14
	s_cbranch_execz .LBB634_361
; %bb.360:
	v_lshl_add_u32 v0, v17, 3, v18
	ds_load_b64 v[0:1], v0
.LBB634_361:
	s_or_b32 exec_lo, exec_lo, s12
	v_cmp_ge_u32_e64 s12, v9, v15
	s_mov_b32 s19, exec_lo
                                        ; implicit-def: $vgpr4_vgpr5
	v_cmpx_lt_u32_e64 v9, v15
	s_cbranch_execz .LBB634_363
; %bb.362:
	v_lshlrev_b32_e32 v2, 3, v9
	ds_load_b64 v[4:5], v2
.LBB634_363:
	s_or_b32 exec_lo, exec_lo, s19
	s_or_b32 s0, vcc_lo, s12
	s_mov_b32 s19, -1
	s_xor_b32 s0, s0, -1
	s_delay_alu instid0(SALU_CYCLE_1)
	s_and_saveexec_b32 s22, s0
	s_cbranch_execz .LBB634_372
; %bb.364:
	s_and_not1_b32 vcc_lo, exec_lo, s7
	s_cbranch_vccnz .LBB634_370
; %bb.365:
	s_waitcnt lgkmcnt(0)
	v_mul_lo_u32 v10, v5, s8
	v_mul_lo_u32 v11, v4, s9
	v_mad_u64_u32 v[2:3], null, v4, s8, 0
	v_mul_lo_u32 v17, v1, s8
	v_mul_lo_u32 v18, v0, s9
	v_mad_u64_u32 v[6:7], null, v0, s8, 0
	s_mov_b32 s23, 0
	s_mov_b64 s[20:21], s[8:9]
	s_delay_alu instid0(VALU_DEP_4) | instskip(NEXT) | instid1(VALU_DEP_2)
	v_add3_u32 v3, v3, v11, v10
                                        ; implicit-def: $sgpr24
                                        ; implicit-def: $sgpr25
                                        ; implicit-def: $sgpr26
                                        ; implicit-def: $sgpr27
                                        ; implicit-def: $sgpr28
	v_add3_u32 v7, v7, v18, v17
	s_delay_alu instid0(VALU_DEP_2) | instskip(NEXT) | instid1(VALU_DEP_2)
	v_lshlrev_b64 v[2:3], 1, v[2:3]
	v_lshlrev_b64 v[6:7], 1, v[6:7]
	s_delay_alu instid0(VALU_DEP_2) | instskip(NEXT) | instid1(VALU_DEP_3)
	v_add_co_u32 v2, vcc_lo, s10, v2
	v_add_co_ci_u32_e32 v3, vcc_lo, s11, v3, vcc_lo
	s_delay_alu instid0(VALU_DEP_3) | instskip(NEXT) | instid1(VALU_DEP_4)
	v_add_co_u32 v6, vcc_lo, s10, v6
	v_add_co_ci_u32_e32 v7, vcc_lo, s11, v7, vcc_lo
	s_set_inst_prefetch_distance 0x1
	s_branch .LBB634_367
	.p2align	6
.LBB634_366:                            ;   in Loop: Header=BB634_367 Depth=1
	s_or_b32 exec_lo, exec_lo, s0
	s_delay_alu instid0(SALU_CYCLE_1) | instskip(NEXT) | instid1(SALU_CYCLE_1)
	s_and_b32 s0, exec_lo, s25
	s_or_b32 s23, s0, s23
	s_and_not1_b32 s0, s28, exec_lo
	s_and_b32 s28, s27, exec_lo
	s_and_not1_b32 s24, s24, exec_lo
	s_and_b32 s29, s26, exec_lo
	s_or_b32 s28, s0, s28
	s_or_b32 s24, s24, s29
	s_and_not1_b32 exec_lo, exec_lo, s23
	s_cbranch_execz .LBB634_369
.LBB634_367:                            ; =>This Inner Loop Header: Depth=1
	global_load_u16 v10, v[2:3], off
	global_load_u16 v11, v[6:7], off
	s_and_not1_b32 s26, s26, exec_lo
	s_and_not1_b32 s27, s27, exec_lo
	s_or_b32 s25, s25, exec_lo
	s_waitcnt vmcnt(0)
	v_cmp_le_i16_e32 vcc_lo, v10, v11
	v_cmp_lt_i16_e64 s0, v10, v11
	s_and_b32 s29, vcc_lo, s28
	s_delay_alu instid0(VALU_DEP_1) | instid1(SALU_CYCLE_1)
	s_or_b32 s29, s0, s29
	s_delay_alu instid0(SALU_CYCLE_1) | instskip(NEXT) | instid1(SALU_CYCLE_1)
	s_and_b32 s0, s29, exec_lo
	s_or_b32 s26, s26, s0
	s_mov_b32 s0, exec_lo
	v_cmpx_eq_u16_e64 v10, v11
	s_cbranch_execz .LBB634_366
; %bb.368:                              ;   in Loop: Header=BB634_367 Depth=1
	s_add_u32 s20, s20, -1
	s_addc_u32 s21, s21, -1
	v_add_co_u32 v2, vcc_lo, v2, 2
	s_cmp_eq_u64 s[20:21], 0
	v_add_co_ci_u32_e32 v3, vcc_lo, 0, v3, vcc_lo
	v_add_co_u32 v6, vcc_lo, v6, 2
	s_cselect_b32 s28, -1, 0
	v_add_co_ci_u32_e32 v7, vcc_lo, 0, v7, vcc_lo
	s_and_not1_b32 s27, s27, exec_lo
	s_and_b32 s29, s29, exec_lo
	s_and_not1_b32 s25, s25, exec_lo
	s_and_b32 s28, s28, exec_lo
	s_or_b32 s27, s27, s29
	s_and_not1_b32 s26, s26, exec_lo
	s_or_b32 s25, s25, s28
                                        ; implicit-def: $sgpr28
	s_branch .LBB634_366
.LBB634_369:
	s_set_inst_prefetch_distance 0x2
	s_or_b32 exec_lo, exec_lo, s23
	s_xor_b32 s0, s24, -1
	s_branch .LBB634_371
.LBB634_370:
	s_mov_b32 s0, -1
.LBB634_371:
	s_and_not1_b32 s12, s12, exec_lo
	s_and_b32 s0, s0, exec_lo
	s_delay_alu instid0(SALU_CYCLE_1)
	s_or_b32 s12, s12, s0
.LBB634_372:
	s_or_b32 exec_lo, exec_lo, s22
	v_cndmask_b32_e64 v2, v9, v8, s12
	v_cndmask_b32_e64 v3, v15, v14, s12
	s_mov_b32 s22, exec_lo
	s_delay_alu instid0(VALU_DEP_2) | instskip(NEXT) | instid1(VALU_DEP_2)
	v_add_nc_u32_e32 v6, 1, v2
	v_add_nc_u32_e32 v2, -1, v3
	s_delay_alu instid0(VALU_DEP_2) | instskip(NEXT) | instid1(VALU_DEP_2)
	v_cndmask_b32_e64 v9, v6, v9, s12
	v_min_u32_e32 v2, v6, v2
	v_cndmask_b32_e64 v8, v8, v6, s12
	s_delay_alu instid0(VALU_DEP_2)
	v_lshlrev_b32_e32 v2, 3, v2
	ds_load_b64 v[2:3], v2
	s_waitcnt lgkmcnt(0)
	v_cndmask_b32_e64 v10, v3, v5, s12
	v_cndmask_b32_e64 v11, v2, v4, s12
	v_cndmask_b32_e64 v17, v1, v3, s12
	v_cndmask_b32_e64 v18, v0, v2, s12
	v_cmpx_lt_u32_e64 v9, v15
	s_cbranch_execz .LBB634_383
; %bb.373:
	s_mov_b32 s0, 0
	s_mov_b32 s19, exec_lo
	v_cmpx_lt_u32_e64 v8, v14
	s_cbranch_execz .LBB634_382
; %bb.374:
	s_and_not1_b32 vcc_lo, exec_lo, s7
	s_cbranch_vccnz .LBB634_380
; %bb.375:
	v_mul_lo_u32 v19, v10, s8
	v_mul_lo_u32 v20, v11, s9
	v_mad_u64_u32 v[2:3], null, v11, s8, 0
	v_mul_lo_u32 v21, v17, s8
	v_mul_lo_u32 v22, v18, s9
	v_mad_u64_u32 v[6:7], null, v18, s8, 0
	s_mov_b32 s23, 0
	s_mov_b64 s[20:21], s[8:9]
	s_delay_alu instid0(VALU_DEP_4) | instskip(NEXT) | instid1(VALU_DEP_2)
	v_add3_u32 v3, v3, v20, v19
                                        ; implicit-def: $sgpr24
                                        ; implicit-def: $sgpr25
                                        ; implicit-def: $sgpr26
                                        ; implicit-def: $sgpr27
                                        ; implicit-def: $sgpr28
	v_add3_u32 v7, v7, v22, v21
	s_delay_alu instid0(VALU_DEP_2) | instskip(NEXT) | instid1(VALU_DEP_2)
	v_lshlrev_b64 v[2:3], 1, v[2:3]
	v_lshlrev_b64 v[6:7], 1, v[6:7]
	s_delay_alu instid0(VALU_DEP_2) | instskip(NEXT) | instid1(VALU_DEP_3)
	v_add_co_u32 v2, vcc_lo, s10, v2
	v_add_co_ci_u32_e32 v3, vcc_lo, s11, v3, vcc_lo
	s_delay_alu instid0(VALU_DEP_3) | instskip(NEXT) | instid1(VALU_DEP_4)
	v_add_co_u32 v6, vcc_lo, s10, v6
	v_add_co_ci_u32_e32 v7, vcc_lo, s11, v7, vcc_lo
	s_set_inst_prefetch_distance 0x1
	s_branch .LBB634_377
	.p2align	6
.LBB634_376:                            ;   in Loop: Header=BB634_377 Depth=1
	s_or_b32 exec_lo, exec_lo, s0
	s_delay_alu instid0(SALU_CYCLE_1) | instskip(NEXT) | instid1(SALU_CYCLE_1)
	s_and_b32 s0, exec_lo, s25
	s_or_b32 s23, s0, s23
	s_and_not1_b32 s0, s28, exec_lo
	s_and_b32 s28, s27, exec_lo
	s_and_not1_b32 s24, s24, exec_lo
	s_and_b32 s29, s26, exec_lo
	s_or_b32 s28, s0, s28
	s_or_b32 s24, s24, s29
	s_and_not1_b32 exec_lo, exec_lo, s23
	s_cbranch_execz .LBB634_379
.LBB634_377:                            ; =>This Inner Loop Header: Depth=1
	global_load_u16 v19, v[2:3], off
	global_load_u16 v20, v[6:7], off
	s_and_not1_b32 s26, s26, exec_lo
	s_and_not1_b32 s27, s27, exec_lo
	s_or_b32 s25, s25, exec_lo
	s_waitcnt vmcnt(0)
	v_cmp_le_i16_e32 vcc_lo, v19, v20
	v_cmp_lt_i16_e64 s0, v19, v20
	s_and_b32 s29, vcc_lo, s28
	s_delay_alu instid0(VALU_DEP_1) | instid1(SALU_CYCLE_1)
	s_or_b32 s29, s0, s29
	s_delay_alu instid0(SALU_CYCLE_1) | instskip(NEXT) | instid1(SALU_CYCLE_1)
	s_and_b32 s0, s29, exec_lo
	s_or_b32 s26, s26, s0
	s_mov_b32 s0, exec_lo
	v_cmpx_eq_u16_e64 v19, v20
	s_cbranch_execz .LBB634_376
; %bb.378:                              ;   in Loop: Header=BB634_377 Depth=1
	s_add_u32 s20, s20, -1
	s_addc_u32 s21, s21, -1
	v_add_co_u32 v2, vcc_lo, v2, 2
	s_cmp_eq_u64 s[20:21], 0
	v_add_co_ci_u32_e32 v3, vcc_lo, 0, v3, vcc_lo
	v_add_co_u32 v6, vcc_lo, v6, 2
	s_cselect_b32 s28, -1, 0
	v_add_co_ci_u32_e32 v7, vcc_lo, 0, v7, vcc_lo
	s_and_not1_b32 s27, s27, exec_lo
	s_and_b32 s29, s29, exec_lo
	s_and_not1_b32 s25, s25, exec_lo
	s_and_b32 s28, s28, exec_lo
	s_or_b32 s27, s27, s29
	s_and_not1_b32 s26, s26, exec_lo
	s_or_b32 s25, s25, s28
                                        ; implicit-def: $sgpr28
	s_branch .LBB634_376
.LBB634_379:
	s_set_inst_prefetch_distance 0x2
	s_or_b32 exec_lo, exec_lo, s23
	s_xor_b32 s0, s24, -1
	s_branch .LBB634_381
.LBB634_380:
	s_mov_b32 s0, -1
.LBB634_381:
	s_delay_alu instid0(SALU_CYCLE_1)
	s_and_b32 s0, s0, exec_lo
.LBB634_382:
	s_or_b32 exec_lo, exec_lo, s19
	s_delay_alu instid0(SALU_CYCLE_1)
	s_or_not1_b32 s19, s0, exec_lo
.LBB634_383:
	s_or_b32 exec_lo, exec_lo, s22
	v_cndmask_b32_e64 v2, v9, v8, s19
	v_cndmask_b32_e64 v3, v15, v14, s19
	s_mov_b32 s0, -1
	s_mov_b32 s22, exec_lo
	s_delay_alu instid0(VALU_DEP_2) | instskip(NEXT) | instid1(VALU_DEP_2)
	v_add_nc_u32_e32 v6, 1, v2
	v_add_nc_u32_e32 v2, -1, v3
	s_delay_alu instid0(VALU_DEP_2) | instskip(NEXT) | instid1(VALU_DEP_2)
	v_cndmask_b32_e64 v22, v6, v9, s19
	v_min_u32_e32 v2, v6, v2
	v_cndmask_b32_e64 v19, v8, v6, s19
	s_delay_alu instid0(VALU_DEP_2)
	v_lshlrev_b32_e32 v2, 3, v2
	ds_load_b64 v[2:3], v2
	s_waitcnt lgkmcnt(0)
	v_cndmask_b32_e64 v20, v3, v10, s19
	v_cndmask_b32_e64 v21, v2, v11, s19
	;; [unrolled: 1-line block ×4, first 2 shown]
	v_cmpx_lt_u32_e64 v22, v15
	s_cbranch_execz .LBB634_394
; %bb.384:
	s_mov_b32 s0, 0
	s_mov_b32 s23, exec_lo
	v_cmpx_lt_u32_e64 v19, v14
	s_cbranch_execz .LBB634_393
; %bb.385:
	s_and_not1_b32 vcc_lo, exec_lo, s7
	s_cbranch_vccnz .LBB634_391
; %bb.386:
	v_mul_lo_u32 v8, v20, s8
	v_mul_lo_u32 v9, v21, s9
	v_mad_u64_u32 v[2:3], null, v21, s8, 0
	v_mul_lo_u32 v25, v23, s8
	v_mul_lo_u32 v40, v24, s9
	v_mad_u64_u32 v[6:7], null, v24, s8, 0
	s_mov_b32 s24, 0
	s_mov_b64 s[20:21], s[8:9]
	s_delay_alu instid0(VALU_DEP_4) | instskip(NEXT) | instid1(VALU_DEP_2)
	v_add3_u32 v3, v3, v9, v8
                                        ; implicit-def: $sgpr25
                                        ; implicit-def: $sgpr26
                                        ; implicit-def: $sgpr27
                                        ; implicit-def: $sgpr28
                                        ; implicit-def: $sgpr29
	v_add3_u32 v7, v7, v40, v25
	s_delay_alu instid0(VALU_DEP_2) | instskip(NEXT) | instid1(VALU_DEP_2)
	v_lshlrev_b64 v[2:3], 1, v[2:3]
	v_lshlrev_b64 v[6:7], 1, v[6:7]
	s_delay_alu instid0(VALU_DEP_2) | instskip(NEXT) | instid1(VALU_DEP_3)
	v_add_co_u32 v2, vcc_lo, s10, v2
	v_add_co_ci_u32_e32 v3, vcc_lo, s11, v3, vcc_lo
	s_delay_alu instid0(VALU_DEP_3) | instskip(NEXT) | instid1(VALU_DEP_4)
	v_add_co_u32 v6, vcc_lo, s10, v6
	v_add_co_ci_u32_e32 v7, vcc_lo, s11, v7, vcc_lo
	s_set_inst_prefetch_distance 0x1
	s_branch .LBB634_388
	.p2align	6
.LBB634_387:                            ;   in Loop: Header=BB634_388 Depth=1
	s_or_b32 exec_lo, exec_lo, s0
	s_delay_alu instid0(SALU_CYCLE_1) | instskip(NEXT) | instid1(SALU_CYCLE_1)
	s_and_b32 s0, exec_lo, s26
	s_or_b32 s24, s0, s24
	s_and_not1_b32 s0, s29, exec_lo
	s_and_b32 s29, s28, exec_lo
	s_and_not1_b32 s25, s25, exec_lo
	s_and_b32 s30, s27, exec_lo
	s_or_b32 s29, s0, s29
	s_or_b32 s25, s25, s30
	s_and_not1_b32 exec_lo, exec_lo, s24
	s_cbranch_execz .LBB634_390
.LBB634_388:                            ; =>This Inner Loop Header: Depth=1
	global_load_u16 v8, v[2:3], off
	global_load_u16 v9, v[6:7], off
	s_and_not1_b32 s27, s27, exec_lo
	s_and_not1_b32 s28, s28, exec_lo
	s_or_b32 s26, s26, exec_lo
	s_waitcnt vmcnt(0)
	v_cmp_le_i16_e32 vcc_lo, v8, v9
	v_cmp_lt_i16_e64 s0, v8, v9
	s_and_b32 s30, vcc_lo, s29
	s_delay_alu instid0(VALU_DEP_1) | instid1(SALU_CYCLE_1)
	s_or_b32 s30, s0, s30
	s_delay_alu instid0(SALU_CYCLE_1) | instskip(NEXT) | instid1(SALU_CYCLE_1)
	s_and_b32 s0, s30, exec_lo
	s_or_b32 s27, s27, s0
	s_mov_b32 s0, exec_lo
	v_cmpx_eq_u16_e64 v8, v9
	s_cbranch_execz .LBB634_387
; %bb.389:                              ;   in Loop: Header=BB634_388 Depth=1
	s_add_u32 s20, s20, -1
	s_addc_u32 s21, s21, -1
	v_add_co_u32 v2, vcc_lo, v2, 2
	s_cmp_eq_u64 s[20:21], 0
	v_add_co_ci_u32_e32 v3, vcc_lo, 0, v3, vcc_lo
	v_add_co_u32 v6, vcc_lo, v6, 2
	s_cselect_b32 s29, -1, 0
	v_add_co_ci_u32_e32 v7, vcc_lo, 0, v7, vcc_lo
	s_and_not1_b32 s28, s28, exec_lo
	s_and_b32 s30, s30, exec_lo
	s_and_not1_b32 s26, s26, exec_lo
	s_and_b32 s29, s29, exec_lo
	s_or_b32 s28, s28, s30
	s_and_not1_b32 s27, s27, exec_lo
	s_or_b32 s26, s26, s29
                                        ; implicit-def: $sgpr29
	s_branch .LBB634_387
.LBB634_390:
	s_set_inst_prefetch_distance 0x2
	s_or_b32 exec_lo, exec_lo, s24
	s_xor_b32 s0, s25, -1
	s_branch .LBB634_392
.LBB634_391:
	s_mov_b32 s0, -1
.LBB634_392:
	s_delay_alu instid0(SALU_CYCLE_1)
	s_and_b32 s0, s0, exec_lo
.LBB634_393:
	s_or_b32 exec_lo, exec_lo, s23
	s_delay_alu instid0(SALU_CYCLE_1)
	s_or_not1_b32 s0, s0, exec_lo
.LBB634_394:
	s_or_b32 exec_lo, exec_lo, s22
	v_cndmask_b32_e64 v2, v22, v19, s0
	v_cndmask_b32_e64 v3, v15, v14, s0
	;; [unrolled: 1-line block ×5, first 2 shown]
	v_add_nc_u32_e32 v25, 1, v2
	v_add_nc_u32_e32 v2, -1, v3
	v_cndmask_b32_e64 v3, v10, v17, s19
	v_cndmask_b32_e64 v4, v21, v24, s0
	s_mov_b32 s12, exec_lo
	v_cndmask_b32_e64 v10, v25, v22, s0
	v_min_u32_e32 v2, v25, v2
	s_delay_alu instid0(VALU_DEP_1)
	v_lshlrev_b32_e32 v2, 3, v2
	ds_load_b64 v[8:9], v2
	v_cndmask_b32_e64 v2, v11, v18, s19
	s_waitcnt lgkmcnt(0)
	v_cndmask_b32_e64 v7, v23, v9, s0
	v_cndmask_b32_e64 v6, v24, v8, s0
	v_cmpx_lt_u32_e64 v10, v15
	s_cbranch_execz .LBB634_404
; %bb.395:
	v_cndmask_b32_e64 v10, v19, v25, s0
	v_cndmask_b32_e64 v9, v9, v20, s0
	;; [unrolled: 1-line block ×3, first 2 shown]
	s_mov_b32 s19, exec_lo
	s_delay_alu instid0(VALU_DEP_3)
	v_cmpx_lt_u32_e64 v10, v14
	s_cbranch_execz .LBB634_403
; %bb.396:
	s_and_not1_b32 vcc_lo, exec_lo, s7
	s_cbranch_vccnz .LBB634_402
; %bb.397:
	v_mul_lo_u32 v17, v9, s8
	v_mul_lo_u32 v18, v8, s9
	v_mad_u64_u32 v[10:11], null, v8, s8, 0
	v_mul_lo_u32 v19, v7, s8
	v_mul_lo_u32 v20, v6, s9
	v_mad_u64_u32 v[14:15], null, v6, s8, 0
	s_mov_b32 s22, 0
	s_mov_b64 s[20:21], s[8:9]
	s_delay_alu instid0(VALU_DEP_4) | instskip(NEXT) | instid1(VALU_DEP_2)
	v_add3_u32 v11, v11, v18, v17
                                        ; implicit-def: $sgpr23
                                        ; implicit-def: $sgpr24
                                        ; implicit-def: $sgpr25
                                        ; implicit-def: $sgpr26
                                        ; implicit-def: $sgpr27
	v_add3_u32 v15, v15, v20, v19
	s_delay_alu instid0(VALU_DEP_2) | instskip(NEXT) | instid1(VALU_DEP_2)
	v_lshlrev_b64 v[10:11], 1, v[10:11]
	v_lshlrev_b64 v[14:15], 1, v[14:15]
	s_delay_alu instid0(VALU_DEP_2) | instskip(NEXT) | instid1(VALU_DEP_3)
	v_add_co_u32 v10, vcc_lo, s10, v10
	v_add_co_ci_u32_e32 v11, vcc_lo, s11, v11, vcc_lo
	s_delay_alu instid0(VALU_DEP_3) | instskip(NEXT) | instid1(VALU_DEP_4)
	v_add_co_u32 v14, vcc_lo, s10, v14
	v_add_co_ci_u32_e32 v15, vcc_lo, s11, v15, vcc_lo
	s_set_inst_prefetch_distance 0x1
	s_branch .LBB634_399
	.p2align	6
.LBB634_398:                            ;   in Loop: Header=BB634_399 Depth=1
	s_or_b32 exec_lo, exec_lo, s0
	s_delay_alu instid0(SALU_CYCLE_1) | instskip(NEXT) | instid1(SALU_CYCLE_1)
	s_and_b32 s0, exec_lo, s24
	s_or_b32 s22, s0, s22
	s_and_not1_b32 s0, s27, exec_lo
	s_and_b32 s27, s26, exec_lo
	s_and_not1_b32 s23, s23, exec_lo
	s_and_b32 s28, s25, exec_lo
	s_or_b32 s27, s0, s27
	s_or_b32 s23, s23, s28
	s_and_not1_b32 exec_lo, exec_lo, s22
	s_cbranch_execz .LBB634_401
.LBB634_399:                            ; =>This Inner Loop Header: Depth=1
	global_load_u16 v17, v[10:11], off
	global_load_u16 v18, v[14:15], off
	s_and_not1_b32 s25, s25, exec_lo
	s_and_not1_b32 s26, s26, exec_lo
	s_or_b32 s24, s24, exec_lo
	s_waitcnt vmcnt(0)
	v_cmp_le_i16_e32 vcc_lo, v17, v18
	v_cmp_lt_i16_e64 s0, v17, v18
	s_and_b32 s28, vcc_lo, s27
	s_delay_alu instid0(VALU_DEP_1) | instid1(SALU_CYCLE_1)
	s_or_b32 s28, s0, s28
	s_delay_alu instid0(SALU_CYCLE_1) | instskip(NEXT) | instid1(SALU_CYCLE_1)
	s_and_b32 s0, s28, exec_lo
	s_or_b32 s25, s25, s0
	s_mov_b32 s0, exec_lo
	v_cmpx_eq_u16_e64 v17, v18
	s_cbranch_execz .LBB634_398
; %bb.400:                              ;   in Loop: Header=BB634_399 Depth=1
	s_add_u32 s20, s20, -1
	s_addc_u32 s21, s21, -1
	v_add_co_u32 v10, vcc_lo, v10, 2
	s_cmp_eq_u64 s[20:21], 0
	v_add_co_ci_u32_e32 v11, vcc_lo, 0, v11, vcc_lo
	v_add_co_u32 v14, vcc_lo, v14, 2
	s_cselect_b32 s27, -1, 0
	v_add_co_ci_u32_e32 v15, vcc_lo, 0, v15, vcc_lo
	s_and_not1_b32 s26, s26, exec_lo
	s_and_b32 s28, s28, exec_lo
	s_and_not1_b32 s24, s24, exec_lo
	s_and_b32 s27, s27, exec_lo
	s_or_b32 s26, s26, s28
	s_and_not1_b32 s25, s25, exec_lo
	s_or_b32 s24, s24, s27
                                        ; implicit-def: $sgpr27
	s_branch .LBB634_398
.LBB634_401:
	s_set_inst_prefetch_distance 0x2
	s_or_b32 exec_lo, exec_lo, s22
	v_cndmask_b32_e64 v7, v7, v9, s23
	v_cndmask_b32_e64 v6, v6, v8, s23
.LBB634_402:
	s_delay_alu instid0(VALU_DEP_1)
	v_dual_mov_b32 v9, v7 :: v_dual_mov_b32 v8, v6
.LBB634_403:
	s_or_b32 exec_lo, exec_lo, s19
	s_delay_alu instid0(VALU_DEP_1)
	v_dual_mov_b32 v6, v8 :: v_dual_mov_b32 v7, v9
.LBB634_404:
	s_or_b32 exec_lo, exec_lo, s12
.LBB634_405:
	s_delay_alu instid0(SALU_CYCLE_1) | instskip(SKIP_4) | instid1(VALU_DEP_2)
	s_or_b32 exec_lo, exec_lo, s1
	v_and_b32_e32 v19, 0xe00, v27
	v_and_b32_e32 v20, 0x1fc, v27
	s_mov_b32 s1, exec_lo
	s_barrier
	v_or_b32_e32 v8, 0x100, v19
	v_lshlrev_b32_e32 v18, 3, v19
	buffer_gl0_inv
	ds_store_b128 v16, v[0:3]
	ds_store_b128 v16, v[4:7] offset:16
	s_waitcnt lgkmcnt(0)
	v_min_u32_e32 v9, 0x300, v8
	v_min_u32_e32 v14, 0x400, v8
	s_barrier
	buffer_gl0_inv
	v_add_nc_u32_e32 v15, 0x100, v9
	v_sub_nc_u32_e32 v8, v14, v19
	s_delay_alu instid0(VALU_DEP_2) | instskip(NEXT) | instid1(VALU_DEP_2)
	v_sub_nc_u32_e32 v9, v15, v14
	v_min_u32_e32 v21, v20, v8
	s_delay_alu instid0(VALU_DEP_2) | instskip(NEXT) | instid1(VALU_DEP_1)
	v_sub_nc_u32_e64 v17, v20, v9 clamp
	v_cmpx_lt_u32_e64 v17, v21
	s_cbranch_execz .LBB634_415
; %bb.406:
	v_lshlrev_b32_e32 v8, 3, v20
	s_lshl_b64 s[20:21], s[8:9], 1
	s_mov_b32 s12, 0
	s_delay_alu instid0(VALU_DEP_1)
	v_lshl_add_u32 v22, v14, 3, v8
	s_branch .LBB634_409
.LBB634_407:                            ;   in Loop: Header=BB634_409 Depth=1
	s_set_inst_prefetch_distance 0x2
	s_or_b32 exec_lo, exec_lo, s19
.LBB634_408:                            ;   in Loop: Header=BB634_409 Depth=1
	s_delay_alu instid0(VALU_DEP_1) | instskip(SKIP_1) | instid1(VALU_DEP_2)
	v_add_nc_u32_e32 v8, 1, v23
	v_cndmask_b32_e64 v21, v21, v23, s24
	v_cndmask_b32_e64 v17, v8, v17, s24
	s_delay_alu instid0(VALU_DEP_1) | instskip(SKIP_1) | instid1(SALU_CYCLE_1)
	v_cmp_ge_u32_e32 vcc_lo, v17, v21
	s_or_b32 s12, vcc_lo, s12
	s_and_not1_b32 exec_lo, exec_lo, s12
	s_cbranch_execz .LBB634_414
.LBB634_409:                            ; =>This Loop Header: Depth=1
                                        ;     Child Loop BB634_412 Depth 2
	v_add_nc_u32_e32 v8, v21, v17
	s_and_not1_b32 vcc_lo, exec_lo, s7
	s_mov_b32 s24, 0
	s_delay_alu instid0(VALU_DEP_1)
	v_lshrrev_b32_e32 v23, 1, v8
	s_cbranch_vccnz .LBB634_408
; %bb.410:                              ;   in Loop: Header=BB634_409 Depth=1
	s_delay_alu instid0(VALU_DEP_1) | instskip(SKIP_3) | instid1(VALU_DEP_2)
	v_not_b32_e32 v8, v23
	v_lshl_add_u32 v9, v23, 3, v18
	s_mov_b32 s19, 0
	s_mov_b64 s[22:23], s[8:9]
                                        ; implicit-def: $sgpr24
                                        ; implicit-def: $sgpr25
                                        ; implicit-def: $sgpr26
                                        ; implicit-def: $sgpr27
                                        ; implicit-def: $sgpr28
	v_lshl_add_u32 v8, v8, 3, v22
	ds_load_b64 v[10:11], v8
	ds_load_b64 v[24:25], v9
	s_waitcnt lgkmcnt(1)
	v_mul_lo_u32 v40, s20, v11
	v_mul_lo_u32 v41, s21, v10
	v_mad_u64_u32 v[8:9], null, s20, v10, s[10:11]
	s_waitcnt lgkmcnt(0)
	v_mul_lo_u32 v25, s20, v25
	v_mul_lo_u32 v42, s21, v24
	v_mad_u64_u32 v[10:11], null, s20, v24, s[10:11]
	s_delay_alu instid0(VALU_DEP_4) | instskip(NEXT) | instid1(VALU_DEP_2)
	v_add3_u32 v9, v41, v9, v40
	v_add3_u32 v11, v42, v11, v25
	s_set_inst_prefetch_distance 0x1
	s_branch .LBB634_412
	.p2align	6
.LBB634_411:                            ;   in Loop: Header=BB634_412 Depth=2
	s_or_b32 exec_lo, exec_lo, s29
	s_delay_alu instid0(SALU_CYCLE_1) | instskip(NEXT) | instid1(SALU_CYCLE_1)
	s_and_b32 s0, exec_lo, s25
	s_or_b32 s19, s0, s19
	s_and_not1_b32 s0, s28, exec_lo
	s_and_b32 s28, s26, exec_lo
	s_and_not1_b32 s24, s24, exec_lo
	s_and_b32 s29, s27, exec_lo
	s_or_b32 s28, s0, s28
	s_or_b32 s24, s24, s29
	s_and_not1_b32 exec_lo, exec_lo, s19
	s_cbranch_execz .LBB634_407
.LBB634_412:                            ;   Parent Loop BB634_409 Depth=1
                                        ; =>  This Inner Loop Header: Depth=2
	global_load_u16 v24, v[8:9], off
	global_load_u16 v25, v[10:11], off
	s_and_not1_b32 s27, s27, exec_lo
	s_and_not1_b32 s26, s26, exec_lo
	s_or_b32 s25, s25, exec_lo
	s_waitcnt vmcnt(0)
	v_cmp_le_i16_e32 vcc_lo, v24, v25
	v_cmp_lt_i16_e64 s0, v24, v25
	s_and_b32 s29, vcc_lo, s28
	s_delay_alu instid0(VALU_DEP_1) | instid1(SALU_CYCLE_1)
	s_or_b32 s0, s0, s29
	s_delay_alu instid0(SALU_CYCLE_1) | instskip(NEXT) | instid1(SALU_CYCLE_1)
	s_and_b32 s29, s0, exec_lo
	s_or_b32 s27, s27, s29
	s_mov_b32 s29, exec_lo
	v_cmpx_eq_u16_e64 v24, v25
	s_cbranch_execz .LBB634_411
; %bb.413:                              ;   in Loop: Header=BB634_412 Depth=2
	s_add_u32 s22, s22, -1
	s_addc_u32 s23, s23, -1
	v_add_co_u32 v8, vcc_lo, v8, 2
	v_add_co_ci_u32_e32 v9, vcc_lo, 0, v9, vcc_lo
	s_cmp_eq_u64 s[22:23], 0
	v_add_co_u32 v10, vcc_lo, v10, 2
	s_cselect_b32 s28, -1, 0
	v_add_co_ci_u32_e32 v11, vcc_lo, 0, v11, vcc_lo
	s_and_not1_b32 s26, s26, exec_lo
	s_and_b32 s0, s0, exec_lo
	s_and_not1_b32 s25, s25, exec_lo
	s_and_b32 s28, s28, exec_lo
	s_and_not1_b32 s27, s27, exec_lo
	s_or_b32 s26, s26, s0
	s_or_b32 s25, s25, s28
                                        ; implicit-def: $sgpr28
	s_branch .LBB634_411
.LBB634_414:
	s_or_b32 exec_lo, exec_lo, s12
.LBB634_415:
	s_delay_alu instid0(SALU_CYCLE_1) | instskip(SKIP_2) | instid1(VALU_DEP_2)
	s_or_b32 exec_lo, exec_lo, s1
	v_sub_nc_u32_e32 v9, v20, v17
	v_add_nc_u32_e32 v8, v17, v19
	v_add_nc_u32_e32 v9, v9, v14
	s_delay_alu instid0(VALU_DEP_2) | instskip(NEXT) | instid1(VALU_DEP_2)
	v_cmp_le_u32_e32 vcc_lo, v8, v14
	v_cmp_le_u32_e64 s0, v9, v15
	s_delay_alu instid0(VALU_DEP_1) | instskip(NEXT) | instid1(SALU_CYCLE_1)
	s_or_b32 s0, vcc_lo, s0
	s_and_saveexec_b32 s1, s0
	s_cbranch_execz .LBB634_462
; %bb.416:
	v_cmp_ge_u32_e32 vcc_lo, v8, v14
	s_mov_b32 s12, exec_lo
                                        ; implicit-def: $vgpr0_vgpr1
	v_cmpx_lt_u32_e64 v8, v14
	s_cbranch_execz .LBB634_418
; %bb.417:
	v_lshl_add_u32 v0, v17, 3, v18
	ds_load_b64 v[0:1], v0
.LBB634_418:
	s_or_b32 exec_lo, exec_lo, s12
	v_cmp_ge_u32_e64 s12, v9, v15
	s_mov_b32 s19, exec_lo
                                        ; implicit-def: $vgpr4_vgpr5
	v_cmpx_lt_u32_e64 v9, v15
	s_cbranch_execz .LBB634_420
; %bb.419:
	v_lshlrev_b32_e32 v2, 3, v9
	ds_load_b64 v[4:5], v2
.LBB634_420:
	s_or_b32 exec_lo, exec_lo, s19
	s_or_b32 s0, vcc_lo, s12
	s_mov_b32 s19, -1
	s_xor_b32 s0, s0, -1
	s_delay_alu instid0(SALU_CYCLE_1)
	s_and_saveexec_b32 s22, s0
	s_cbranch_execz .LBB634_429
; %bb.421:
	s_and_not1_b32 vcc_lo, exec_lo, s7
	s_cbranch_vccnz .LBB634_427
; %bb.422:
	s_waitcnt lgkmcnt(0)
	v_mul_lo_u32 v10, v5, s8
	v_mul_lo_u32 v11, v4, s9
	v_mad_u64_u32 v[2:3], null, v4, s8, 0
	v_mul_lo_u32 v17, v1, s8
	v_mul_lo_u32 v18, v0, s9
	v_mad_u64_u32 v[6:7], null, v0, s8, 0
	s_mov_b32 s23, 0
	s_mov_b64 s[20:21], s[8:9]
	s_delay_alu instid0(VALU_DEP_4) | instskip(NEXT) | instid1(VALU_DEP_2)
	v_add3_u32 v3, v3, v11, v10
                                        ; implicit-def: $sgpr24
                                        ; implicit-def: $sgpr25
                                        ; implicit-def: $sgpr26
                                        ; implicit-def: $sgpr27
                                        ; implicit-def: $sgpr28
	v_add3_u32 v7, v7, v18, v17
	s_delay_alu instid0(VALU_DEP_2) | instskip(NEXT) | instid1(VALU_DEP_2)
	v_lshlrev_b64 v[2:3], 1, v[2:3]
	v_lshlrev_b64 v[6:7], 1, v[6:7]
	s_delay_alu instid0(VALU_DEP_2) | instskip(NEXT) | instid1(VALU_DEP_3)
	v_add_co_u32 v2, vcc_lo, s10, v2
	v_add_co_ci_u32_e32 v3, vcc_lo, s11, v3, vcc_lo
	s_delay_alu instid0(VALU_DEP_3) | instskip(NEXT) | instid1(VALU_DEP_4)
	v_add_co_u32 v6, vcc_lo, s10, v6
	v_add_co_ci_u32_e32 v7, vcc_lo, s11, v7, vcc_lo
	s_set_inst_prefetch_distance 0x1
	s_branch .LBB634_424
	.p2align	6
.LBB634_423:                            ;   in Loop: Header=BB634_424 Depth=1
	s_or_b32 exec_lo, exec_lo, s0
	s_delay_alu instid0(SALU_CYCLE_1) | instskip(NEXT) | instid1(SALU_CYCLE_1)
	s_and_b32 s0, exec_lo, s25
	s_or_b32 s23, s0, s23
	s_and_not1_b32 s0, s28, exec_lo
	s_and_b32 s28, s27, exec_lo
	s_and_not1_b32 s24, s24, exec_lo
	s_and_b32 s29, s26, exec_lo
	s_or_b32 s28, s0, s28
	s_or_b32 s24, s24, s29
	s_and_not1_b32 exec_lo, exec_lo, s23
	s_cbranch_execz .LBB634_426
.LBB634_424:                            ; =>This Inner Loop Header: Depth=1
	global_load_u16 v10, v[2:3], off
	global_load_u16 v11, v[6:7], off
	s_and_not1_b32 s26, s26, exec_lo
	s_and_not1_b32 s27, s27, exec_lo
	s_or_b32 s25, s25, exec_lo
	s_waitcnt vmcnt(0)
	v_cmp_le_i16_e32 vcc_lo, v10, v11
	v_cmp_lt_i16_e64 s0, v10, v11
	s_and_b32 s29, vcc_lo, s28
	s_delay_alu instid0(VALU_DEP_1) | instid1(SALU_CYCLE_1)
	s_or_b32 s29, s0, s29
	s_delay_alu instid0(SALU_CYCLE_1) | instskip(NEXT) | instid1(SALU_CYCLE_1)
	s_and_b32 s0, s29, exec_lo
	s_or_b32 s26, s26, s0
	s_mov_b32 s0, exec_lo
	v_cmpx_eq_u16_e64 v10, v11
	s_cbranch_execz .LBB634_423
; %bb.425:                              ;   in Loop: Header=BB634_424 Depth=1
	s_add_u32 s20, s20, -1
	s_addc_u32 s21, s21, -1
	v_add_co_u32 v2, vcc_lo, v2, 2
	s_cmp_eq_u64 s[20:21], 0
	v_add_co_ci_u32_e32 v3, vcc_lo, 0, v3, vcc_lo
	v_add_co_u32 v6, vcc_lo, v6, 2
	s_cselect_b32 s28, -1, 0
	v_add_co_ci_u32_e32 v7, vcc_lo, 0, v7, vcc_lo
	s_and_not1_b32 s27, s27, exec_lo
	s_and_b32 s29, s29, exec_lo
	s_and_not1_b32 s25, s25, exec_lo
	s_and_b32 s28, s28, exec_lo
	s_or_b32 s27, s27, s29
	s_and_not1_b32 s26, s26, exec_lo
	s_or_b32 s25, s25, s28
                                        ; implicit-def: $sgpr28
	s_branch .LBB634_423
.LBB634_426:
	s_set_inst_prefetch_distance 0x2
	s_or_b32 exec_lo, exec_lo, s23
	s_xor_b32 s0, s24, -1
	s_branch .LBB634_428
.LBB634_427:
	s_mov_b32 s0, -1
.LBB634_428:
	s_and_not1_b32 s12, s12, exec_lo
	s_and_b32 s0, s0, exec_lo
	s_delay_alu instid0(SALU_CYCLE_1)
	s_or_b32 s12, s12, s0
.LBB634_429:
	s_or_b32 exec_lo, exec_lo, s22
	v_cndmask_b32_e64 v2, v9, v8, s12
	v_cndmask_b32_e64 v3, v15, v14, s12
	s_mov_b32 s22, exec_lo
	s_delay_alu instid0(VALU_DEP_2) | instskip(NEXT) | instid1(VALU_DEP_2)
	v_add_nc_u32_e32 v6, 1, v2
	v_add_nc_u32_e32 v2, -1, v3
	s_delay_alu instid0(VALU_DEP_2) | instskip(NEXT) | instid1(VALU_DEP_2)
	v_cndmask_b32_e64 v9, v6, v9, s12
	v_min_u32_e32 v2, v6, v2
	v_cndmask_b32_e64 v8, v8, v6, s12
	s_delay_alu instid0(VALU_DEP_2)
	v_lshlrev_b32_e32 v2, 3, v2
	ds_load_b64 v[2:3], v2
	s_waitcnt lgkmcnt(0)
	v_cndmask_b32_e64 v10, v3, v5, s12
	v_cndmask_b32_e64 v11, v2, v4, s12
	;; [unrolled: 1-line block ×4, first 2 shown]
	v_cmpx_lt_u32_e64 v9, v15
	s_cbranch_execz .LBB634_440
; %bb.430:
	s_mov_b32 s0, 0
	s_mov_b32 s19, exec_lo
	v_cmpx_lt_u32_e64 v8, v14
	s_cbranch_execz .LBB634_439
; %bb.431:
	s_and_not1_b32 vcc_lo, exec_lo, s7
	s_cbranch_vccnz .LBB634_437
; %bb.432:
	v_mul_lo_u32 v19, v10, s8
	v_mul_lo_u32 v20, v11, s9
	v_mad_u64_u32 v[2:3], null, v11, s8, 0
	v_mul_lo_u32 v21, v17, s8
	v_mul_lo_u32 v22, v18, s9
	v_mad_u64_u32 v[6:7], null, v18, s8, 0
	s_mov_b32 s23, 0
	s_mov_b64 s[20:21], s[8:9]
	s_delay_alu instid0(VALU_DEP_4) | instskip(NEXT) | instid1(VALU_DEP_2)
	v_add3_u32 v3, v3, v20, v19
                                        ; implicit-def: $sgpr24
                                        ; implicit-def: $sgpr25
                                        ; implicit-def: $sgpr26
                                        ; implicit-def: $sgpr27
                                        ; implicit-def: $sgpr28
	v_add3_u32 v7, v7, v22, v21
	s_delay_alu instid0(VALU_DEP_2) | instskip(NEXT) | instid1(VALU_DEP_2)
	v_lshlrev_b64 v[2:3], 1, v[2:3]
	v_lshlrev_b64 v[6:7], 1, v[6:7]
	s_delay_alu instid0(VALU_DEP_2) | instskip(NEXT) | instid1(VALU_DEP_3)
	v_add_co_u32 v2, vcc_lo, s10, v2
	v_add_co_ci_u32_e32 v3, vcc_lo, s11, v3, vcc_lo
	s_delay_alu instid0(VALU_DEP_3) | instskip(NEXT) | instid1(VALU_DEP_4)
	v_add_co_u32 v6, vcc_lo, s10, v6
	v_add_co_ci_u32_e32 v7, vcc_lo, s11, v7, vcc_lo
	s_set_inst_prefetch_distance 0x1
	s_branch .LBB634_434
	.p2align	6
.LBB634_433:                            ;   in Loop: Header=BB634_434 Depth=1
	s_or_b32 exec_lo, exec_lo, s0
	s_delay_alu instid0(SALU_CYCLE_1) | instskip(NEXT) | instid1(SALU_CYCLE_1)
	s_and_b32 s0, exec_lo, s25
	s_or_b32 s23, s0, s23
	s_and_not1_b32 s0, s28, exec_lo
	s_and_b32 s28, s27, exec_lo
	s_and_not1_b32 s24, s24, exec_lo
	s_and_b32 s29, s26, exec_lo
	s_or_b32 s28, s0, s28
	s_or_b32 s24, s24, s29
	s_and_not1_b32 exec_lo, exec_lo, s23
	s_cbranch_execz .LBB634_436
.LBB634_434:                            ; =>This Inner Loop Header: Depth=1
	global_load_u16 v19, v[2:3], off
	global_load_u16 v20, v[6:7], off
	s_and_not1_b32 s26, s26, exec_lo
	s_and_not1_b32 s27, s27, exec_lo
	s_or_b32 s25, s25, exec_lo
	s_waitcnt vmcnt(0)
	v_cmp_le_i16_e32 vcc_lo, v19, v20
	v_cmp_lt_i16_e64 s0, v19, v20
	s_and_b32 s29, vcc_lo, s28
	s_delay_alu instid0(VALU_DEP_1) | instid1(SALU_CYCLE_1)
	s_or_b32 s29, s0, s29
	s_delay_alu instid0(SALU_CYCLE_1) | instskip(NEXT) | instid1(SALU_CYCLE_1)
	s_and_b32 s0, s29, exec_lo
	s_or_b32 s26, s26, s0
	s_mov_b32 s0, exec_lo
	v_cmpx_eq_u16_e64 v19, v20
	s_cbranch_execz .LBB634_433
; %bb.435:                              ;   in Loop: Header=BB634_434 Depth=1
	s_add_u32 s20, s20, -1
	s_addc_u32 s21, s21, -1
	v_add_co_u32 v2, vcc_lo, v2, 2
	s_cmp_eq_u64 s[20:21], 0
	v_add_co_ci_u32_e32 v3, vcc_lo, 0, v3, vcc_lo
	v_add_co_u32 v6, vcc_lo, v6, 2
	s_cselect_b32 s28, -1, 0
	v_add_co_ci_u32_e32 v7, vcc_lo, 0, v7, vcc_lo
	s_and_not1_b32 s27, s27, exec_lo
	s_and_b32 s29, s29, exec_lo
	s_and_not1_b32 s25, s25, exec_lo
	s_and_b32 s28, s28, exec_lo
	s_or_b32 s27, s27, s29
	s_and_not1_b32 s26, s26, exec_lo
	s_or_b32 s25, s25, s28
                                        ; implicit-def: $sgpr28
	s_branch .LBB634_433
.LBB634_436:
	s_set_inst_prefetch_distance 0x2
	s_or_b32 exec_lo, exec_lo, s23
	s_xor_b32 s0, s24, -1
	s_branch .LBB634_438
.LBB634_437:
	s_mov_b32 s0, -1
.LBB634_438:
	s_delay_alu instid0(SALU_CYCLE_1)
	s_and_b32 s0, s0, exec_lo
.LBB634_439:
	s_or_b32 exec_lo, exec_lo, s19
	s_delay_alu instid0(SALU_CYCLE_1)
	s_or_not1_b32 s19, s0, exec_lo
.LBB634_440:
	s_or_b32 exec_lo, exec_lo, s22
	v_cndmask_b32_e64 v2, v9, v8, s19
	v_cndmask_b32_e64 v3, v15, v14, s19
	s_mov_b32 s0, -1
	s_mov_b32 s22, exec_lo
	s_delay_alu instid0(VALU_DEP_2) | instskip(NEXT) | instid1(VALU_DEP_2)
	v_add_nc_u32_e32 v6, 1, v2
	v_add_nc_u32_e32 v2, -1, v3
	s_delay_alu instid0(VALU_DEP_2) | instskip(NEXT) | instid1(VALU_DEP_2)
	v_cndmask_b32_e64 v22, v6, v9, s19
	v_min_u32_e32 v2, v6, v2
	v_cndmask_b32_e64 v19, v8, v6, s19
	s_delay_alu instid0(VALU_DEP_2)
	v_lshlrev_b32_e32 v2, 3, v2
	ds_load_b64 v[2:3], v2
	s_waitcnt lgkmcnt(0)
	v_cndmask_b32_e64 v20, v3, v10, s19
	v_cndmask_b32_e64 v21, v2, v11, s19
	;; [unrolled: 1-line block ×4, first 2 shown]
	v_cmpx_lt_u32_e64 v22, v15
	s_cbranch_execz .LBB634_451
; %bb.441:
	s_mov_b32 s0, 0
	s_mov_b32 s23, exec_lo
	v_cmpx_lt_u32_e64 v19, v14
	s_cbranch_execz .LBB634_450
; %bb.442:
	s_and_not1_b32 vcc_lo, exec_lo, s7
	s_cbranch_vccnz .LBB634_448
; %bb.443:
	v_mul_lo_u32 v8, v20, s8
	v_mul_lo_u32 v9, v21, s9
	v_mad_u64_u32 v[2:3], null, v21, s8, 0
	v_mul_lo_u32 v25, v23, s8
	v_mul_lo_u32 v40, v24, s9
	v_mad_u64_u32 v[6:7], null, v24, s8, 0
	s_mov_b32 s24, 0
	s_mov_b64 s[20:21], s[8:9]
	s_delay_alu instid0(VALU_DEP_4) | instskip(NEXT) | instid1(VALU_DEP_2)
	v_add3_u32 v3, v3, v9, v8
                                        ; implicit-def: $sgpr25
                                        ; implicit-def: $sgpr26
                                        ; implicit-def: $sgpr27
                                        ; implicit-def: $sgpr28
                                        ; implicit-def: $sgpr29
	v_add3_u32 v7, v7, v40, v25
	s_delay_alu instid0(VALU_DEP_2) | instskip(NEXT) | instid1(VALU_DEP_2)
	v_lshlrev_b64 v[2:3], 1, v[2:3]
	v_lshlrev_b64 v[6:7], 1, v[6:7]
	s_delay_alu instid0(VALU_DEP_2) | instskip(NEXT) | instid1(VALU_DEP_3)
	v_add_co_u32 v2, vcc_lo, s10, v2
	v_add_co_ci_u32_e32 v3, vcc_lo, s11, v3, vcc_lo
	s_delay_alu instid0(VALU_DEP_3) | instskip(NEXT) | instid1(VALU_DEP_4)
	v_add_co_u32 v6, vcc_lo, s10, v6
	v_add_co_ci_u32_e32 v7, vcc_lo, s11, v7, vcc_lo
	s_set_inst_prefetch_distance 0x1
	s_branch .LBB634_445
	.p2align	6
.LBB634_444:                            ;   in Loop: Header=BB634_445 Depth=1
	s_or_b32 exec_lo, exec_lo, s0
	s_delay_alu instid0(SALU_CYCLE_1) | instskip(NEXT) | instid1(SALU_CYCLE_1)
	s_and_b32 s0, exec_lo, s26
	s_or_b32 s24, s0, s24
	s_and_not1_b32 s0, s29, exec_lo
	s_and_b32 s29, s28, exec_lo
	s_and_not1_b32 s25, s25, exec_lo
	s_and_b32 s30, s27, exec_lo
	s_or_b32 s29, s0, s29
	s_or_b32 s25, s25, s30
	s_and_not1_b32 exec_lo, exec_lo, s24
	s_cbranch_execz .LBB634_447
.LBB634_445:                            ; =>This Inner Loop Header: Depth=1
	global_load_u16 v8, v[2:3], off
	global_load_u16 v9, v[6:7], off
	s_and_not1_b32 s27, s27, exec_lo
	s_and_not1_b32 s28, s28, exec_lo
	s_or_b32 s26, s26, exec_lo
	s_waitcnt vmcnt(0)
	v_cmp_le_i16_e32 vcc_lo, v8, v9
	v_cmp_lt_i16_e64 s0, v8, v9
	s_and_b32 s30, vcc_lo, s29
	s_delay_alu instid0(VALU_DEP_1) | instid1(SALU_CYCLE_1)
	s_or_b32 s30, s0, s30
	s_delay_alu instid0(SALU_CYCLE_1) | instskip(NEXT) | instid1(SALU_CYCLE_1)
	s_and_b32 s0, s30, exec_lo
	s_or_b32 s27, s27, s0
	s_mov_b32 s0, exec_lo
	v_cmpx_eq_u16_e64 v8, v9
	s_cbranch_execz .LBB634_444
; %bb.446:                              ;   in Loop: Header=BB634_445 Depth=1
	s_add_u32 s20, s20, -1
	s_addc_u32 s21, s21, -1
	v_add_co_u32 v2, vcc_lo, v2, 2
	s_cmp_eq_u64 s[20:21], 0
	v_add_co_ci_u32_e32 v3, vcc_lo, 0, v3, vcc_lo
	v_add_co_u32 v6, vcc_lo, v6, 2
	s_cselect_b32 s29, -1, 0
	v_add_co_ci_u32_e32 v7, vcc_lo, 0, v7, vcc_lo
	s_and_not1_b32 s28, s28, exec_lo
	s_and_b32 s30, s30, exec_lo
	s_and_not1_b32 s26, s26, exec_lo
	s_and_b32 s29, s29, exec_lo
	s_or_b32 s28, s28, s30
	s_and_not1_b32 s27, s27, exec_lo
	s_or_b32 s26, s26, s29
                                        ; implicit-def: $sgpr29
	s_branch .LBB634_444
.LBB634_447:
	s_set_inst_prefetch_distance 0x2
	s_or_b32 exec_lo, exec_lo, s24
	s_xor_b32 s0, s25, -1
	s_branch .LBB634_449
.LBB634_448:
	s_mov_b32 s0, -1
.LBB634_449:
	s_delay_alu instid0(SALU_CYCLE_1)
	s_and_b32 s0, s0, exec_lo
.LBB634_450:
	s_or_b32 exec_lo, exec_lo, s23
	s_delay_alu instid0(SALU_CYCLE_1)
	s_or_not1_b32 s0, s0, exec_lo
.LBB634_451:
	s_or_b32 exec_lo, exec_lo, s22
	v_cndmask_b32_e64 v2, v22, v19, s0
	v_cndmask_b32_e64 v3, v15, v14, s0
	;; [unrolled: 1-line block ×5, first 2 shown]
	v_add_nc_u32_e32 v25, 1, v2
	v_add_nc_u32_e32 v2, -1, v3
	v_cndmask_b32_e64 v3, v10, v17, s19
	v_cndmask_b32_e64 v4, v21, v24, s0
	s_mov_b32 s12, exec_lo
	v_cndmask_b32_e64 v10, v25, v22, s0
	v_min_u32_e32 v2, v25, v2
	s_delay_alu instid0(VALU_DEP_1)
	v_lshlrev_b32_e32 v2, 3, v2
	ds_load_b64 v[8:9], v2
	v_cndmask_b32_e64 v2, v11, v18, s19
	s_waitcnt lgkmcnt(0)
	v_cndmask_b32_e64 v7, v23, v9, s0
	v_cndmask_b32_e64 v6, v24, v8, s0
	v_cmpx_lt_u32_e64 v10, v15
	s_cbranch_execz .LBB634_461
; %bb.452:
	v_cndmask_b32_e64 v10, v19, v25, s0
	v_cndmask_b32_e64 v9, v9, v20, s0
	;; [unrolled: 1-line block ×3, first 2 shown]
	s_mov_b32 s19, exec_lo
	s_delay_alu instid0(VALU_DEP_3)
	v_cmpx_lt_u32_e64 v10, v14
	s_cbranch_execz .LBB634_460
; %bb.453:
	s_and_not1_b32 vcc_lo, exec_lo, s7
	s_cbranch_vccnz .LBB634_459
; %bb.454:
	v_mul_lo_u32 v17, v9, s8
	v_mul_lo_u32 v18, v8, s9
	v_mad_u64_u32 v[10:11], null, v8, s8, 0
	v_mul_lo_u32 v19, v7, s8
	v_mul_lo_u32 v20, v6, s9
	v_mad_u64_u32 v[14:15], null, v6, s8, 0
	s_mov_b32 s22, 0
	s_mov_b64 s[20:21], s[8:9]
	s_delay_alu instid0(VALU_DEP_4) | instskip(NEXT) | instid1(VALU_DEP_2)
	v_add3_u32 v11, v11, v18, v17
                                        ; implicit-def: $sgpr23
                                        ; implicit-def: $sgpr24
                                        ; implicit-def: $sgpr25
                                        ; implicit-def: $sgpr26
                                        ; implicit-def: $sgpr27
	v_add3_u32 v15, v15, v20, v19
	s_delay_alu instid0(VALU_DEP_2) | instskip(NEXT) | instid1(VALU_DEP_2)
	v_lshlrev_b64 v[10:11], 1, v[10:11]
	v_lshlrev_b64 v[14:15], 1, v[14:15]
	s_delay_alu instid0(VALU_DEP_2) | instskip(NEXT) | instid1(VALU_DEP_3)
	v_add_co_u32 v10, vcc_lo, s10, v10
	v_add_co_ci_u32_e32 v11, vcc_lo, s11, v11, vcc_lo
	s_delay_alu instid0(VALU_DEP_3) | instskip(NEXT) | instid1(VALU_DEP_4)
	v_add_co_u32 v14, vcc_lo, s10, v14
	v_add_co_ci_u32_e32 v15, vcc_lo, s11, v15, vcc_lo
	s_set_inst_prefetch_distance 0x1
	s_branch .LBB634_456
	.p2align	6
.LBB634_455:                            ;   in Loop: Header=BB634_456 Depth=1
	s_or_b32 exec_lo, exec_lo, s0
	s_delay_alu instid0(SALU_CYCLE_1) | instskip(NEXT) | instid1(SALU_CYCLE_1)
	s_and_b32 s0, exec_lo, s24
	s_or_b32 s22, s0, s22
	s_and_not1_b32 s0, s27, exec_lo
	s_and_b32 s27, s26, exec_lo
	s_and_not1_b32 s23, s23, exec_lo
	s_and_b32 s28, s25, exec_lo
	s_or_b32 s27, s0, s27
	s_or_b32 s23, s23, s28
	s_and_not1_b32 exec_lo, exec_lo, s22
	s_cbranch_execz .LBB634_458
.LBB634_456:                            ; =>This Inner Loop Header: Depth=1
	global_load_u16 v17, v[10:11], off
	global_load_u16 v18, v[14:15], off
	s_and_not1_b32 s25, s25, exec_lo
	s_and_not1_b32 s26, s26, exec_lo
	s_or_b32 s24, s24, exec_lo
	s_waitcnt vmcnt(0)
	v_cmp_le_i16_e32 vcc_lo, v17, v18
	v_cmp_lt_i16_e64 s0, v17, v18
	s_and_b32 s28, vcc_lo, s27
	s_delay_alu instid0(VALU_DEP_1) | instid1(SALU_CYCLE_1)
	s_or_b32 s28, s0, s28
	s_delay_alu instid0(SALU_CYCLE_1) | instskip(NEXT) | instid1(SALU_CYCLE_1)
	s_and_b32 s0, s28, exec_lo
	s_or_b32 s25, s25, s0
	s_mov_b32 s0, exec_lo
	v_cmpx_eq_u16_e64 v17, v18
	s_cbranch_execz .LBB634_455
; %bb.457:                              ;   in Loop: Header=BB634_456 Depth=1
	s_add_u32 s20, s20, -1
	s_addc_u32 s21, s21, -1
	v_add_co_u32 v10, vcc_lo, v10, 2
	s_cmp_eq_u64 s[20:21], 0
	v_add_co_ci_u32_e32 v11, vcc_lo, 0, v11, vcc_lo
	v_add_co_u32 v14, vcc_lo, v14, 2
	s_cselect_b32 s27, -1, 0
	v_add_co_ci_u32_e32 v15, vcc_lo, 0, v15, vcc_lo
	s_and_not1_b32 s26, s26, exec_lo
	s_and_b32 s28, s28, exec_lo
	s_and_not1_b32 s24, s24, exec_lo
	s_and_b32 s27, s27, exec_lo
	s_or_b32 s26, s26, s28
	s_and_not1_b32 s25, s25, exec_lo
	s_or_b32 s24, s24, s27
                                        ; implicit-def: $sgpr27
	s_branch .LBB634_455
.LBB634_458:
	s_set_inst_prefetch_distance 0x2
	s_or_b32 exec_lo, exec_lo, s22
	v_cndmask_b32_e64 v7, v7, v9, s23
	v_cndmask_b32_e64 v6, v6, v8, s23
.LBB634_459:
	s_delay_alu instid0(VALU_DEP_1)
	v_dual_mov_b32 v9, v7 :: v_dual_mov_b32 v8, v6
.LBB634_460:
	s_or_b32 exec_lo, exec_lo, s19
	s_delay_alu instid0(VALU_DEP_1)
	v_dual_mov_b32 v6, v8 :: v_dual_mov_b32 v7, v9
.LBB634_461:
	s_or_b32 exec_lo, exec_lo, s12
.LBB634_462:
	s_delay_alu instid0(SALU_CYCLE_1) | instskip(SKIP_4) | instid1(VALU_DEP_2)
	s_or_b32 exec_lo, exec_lo, s1
	v_and_b32_e32 v18, 0xc00, v27
	v_and_b32_e32 v19, 0x3fc, v27
	s_mov_b32 s1, exec_lo
	s_barrier
	v_or_b32_e32 v8, 0x200, v18
	v_lshlrev_b32_e32 v17, 3, v18
	buffer_gl0_inv
	ds_store_b128 v16, v[0:3]
	ds_store_b128 v16, v[4:7] offset:16
	s_waitcnt lgkmcnt(0)
	v_min_u32_e32 v14, 0x400, v8
	s_barrier
	buffer_gl0_inv
	v_sub_nc_u32_e32 v8, 0x400, v14
	v_sub_nc_u32_e32 v9, v14, v18
	s_delay_alu instid0(VALU_DEP_2) | instskip(NEXT) | instid1(VALU_DEP_2)
	v_sub_nc_u32_e64 v15, v19, v8 clamp
	v_min_u32_e32 v20, v19, v9
	s_delay_alu instid0(VALU_DEP_1)
	v_cmpx_lt_u32_e64 v15, v20
	s_cbranch_execz .LBB634_472
; %bb.463:
	v_lshlrev_b32_e32 v8, 3, v19
	s_lshl_b64 s[20:21], s[8:9], 1
	s_mov_b32 s12, 0
	s_delay_alu instid0(VALU_DEP_1)
	v_lshl_add_u32 v16, v14, 3, v8
	s_branch .LBB634_466
.LBB634_464:                            ;   in Loop: Header=BB634_466 Depth=1
	s_set_inst_prefetch_distance 0x2
	s_or_b32 exec_lo, exec_lo, s19
.LBB634_465:                            ;   in Loop: Header=BB634_466 Depth=1
	s_delay_alu instid0(VALU_DEP_1) | instskip(SKIP_1) | instid1(VALU_DEP_2)
	v_add_nc_u32_e32 v8, 1, v21
	v_cndmask_b32_e64 v20, v20, v21, s24
	v_cndmask_b32_e64 v15, v8, v15, s24
	s_delay_alu instid0(VALU_DEP_1) | instskip(SKIP_1) | instid1(SALU_CYCLE_1)
	v_cmp_ge_u32_e32 vcc_lo, v15, v20
	s_or_b32 s12, vcc_lo, s12
	s_and_not1_b32 exec_lo, exec_lo, s12
	s_cbranch_execz .LBB634_471
.LBB634_466:                            ; =>This Loop Header: Depth=1
                                        ;     Child Loop BB634_469 Depth 2
	v_add_nc_u32_e32 v8, v20, v15
	s_and_not1_b32 vcc_lo, exec_lo, s7
	s_mov_b32 s24, 0
	s_delay_alu instid0(VALU_DEP_1)
	v_lshrrev_b32_e32 v21, 1, v8
	s_cbranch_vccnz .LBB634_465
; %bb.467:                              ;   in Loop: Header=BB634_466 Depth=1
	s_delay_alu instid0(VALU_DEP_1) | instskip(SKIP_3) | instid1(VALU_DEP_2)
	v_not_b32_e32 v8, v21
	v_lshl_add_u32 v9, v21, 3, v17
	s_mov_b32 s19, 0
	s_mov_b64 s[22:23], s[8:9]
                                        ; implicit-def: $sgpr24
                                        ; implicit-def: $sgpr25
                                        ; implicit-def: $sgpr26
                                        ; implicit-def: $sgpr27
                                        ; implicit-def: $sgpr28
	v_lshl_add_u32 v8, v8, 3, v16
	ds_load_b64 v[10:11], v8
	ds_load_b64 v[22:23], v9
	s_waitcnt lgkmcnt(1)
	v_mul_lo_u32 v24, s20, v11
	v_mul_lo_u32 v25, s21, v10
	v_mad_u64_u32 v[8:9], null, s20, v10, s[10:11]
	s_waitcnt lgkmcnt(0)
	v_mul_lo_u32 v23, s20, v23
	v_mul_lo_u32 v40, s21, v22
	v_mad_u64_u32 v[10:11], null, s20, v22, s[10:11]
	s_delay_alu instid0(VALU_DEP_4) | instskip(NEXT) | instid1(VALU_DEP_2)
	v_add3_u32 v9, v25, v9, v24
	v_add3_u32 v11, v40, v11, v23
	s_set_inst_prefetch_distance 0x1
	s_branch .LBB634_469
	.p2align	6
.LBB634_468:                            ;   in Loop: Header=BB634_469 Depth=2
	s_or_b32 exec_lo, exec_lo, s29
	s_delay_alu instid0(SALU_CYCLE_1) | instskip(NEXT) | instid1(SALU_CYCLE_1)
	s_and_b32 s0, exec_lo, s25
	s_or_b32 s19, s0, s19
	s_and_not1_b32 s0, s28, exec_lo
	s_and_b32 s28, s26, exec_lo
	s_and_not1_b32 s24, s24, exec_lo
	s_and_b32 s29, s27, exec_lo
	s_or_b32 s28, s0, s28
	s_or_b32 s24, s24, s29
	s_and_not1_b32 exec_lo, exec_lo, s19
	s_cbranch_execz .LBB634_464
.LBB634_469:                            ;   Parent Loop BB634_466 Depth=1
                                        ; =>  This Inner Loop Header: Depth=2
	global_load_u16 v22, v[8:9], off
	global_load_u16 v23, v[10:11], off
	s_and_not1_b32 s27, s27, exec_lo
	s_and_not1_b32 s26, s26, exec_lo
	s_or_b32 s25, s25, exec_lo
	s_waitcnt vmcnt(0)
	v_cmp_le_i16_e32 vcc_lo, v22, v23
	v_cmp_lt_i16_e64 s0, v22, v23
	s_and_b32 s29, vcc_lo, s28
	s_delay_alu instid0(VALU_DEP_1) | instid1(SALU_CYCLE_1)
	s_or_b32 s0, s0, s29
	s_delay_alu instid0(SALU_CYCLE_1) | instskip(NEXT) | instid1(SALU_CYCLE_1)
	s_and_b32 s29, s0, exec_lo
	s_or_b32 s27, s27, s29
	s_mov_b32 s29, exec_lo
	v_cmpx_eq_u16_e64 v22, v23
	s_cbranch_execz .LBB634_468
; %bb.470:                              ;   in Loop: Header=BB634_469 Depth=2
	s_add_u32 s22, s22, -1
	s_addc_u32 s23, s23, -1
	v_add_co_u32 v8, vcc_lo, v8, 2
	v_add_co_ci_u32_e32 v9, vcc_lo, 0, v9, vcc_lo
	s_cmp_eq_u64 s[22:23], 0
	v_add_co_u32 v10, vcc_lo, v10, 2
	s_cselect_b32 s28, -1, 0
	v_add_co_ci_u32_e32 v11, vcc_lo, 0, v11, vcc_lo
	s_and_not1_b32 s26, s26, exec_lo
	s_and_b32 s0, s0, exec_lo
	s_and_not1_b32 s25, s25, exec_lo
	s_and_b32 s28, s28, exec_lo
	s_and_not1_b32 s27, s27, exec_lo
	s_or_b32 s26, s26, s0
	s_or_b32 s25, s25, s28
                                        ; implicit-def: $sgpr28
	s_branch .LBB634_468
.LBB634_471:
	s_or_b32 exec_lo, exec_lo, s12
.LBB634_472:
	s_delay_alu instid0(SALU_CYCLE_1) | instskip(SKIP_2) | instid1(VALU_DEP_2)
	s_or_b32 exec_lo, exec_lo, s1
	v_sub_nc_u32_e32 v8, v19, v15
	v_add_nc_u32_e32 v9, v15, v18
	v_add_nc_u32_e32 v10, v8, v14
	s_delay_alu instid0(VALU_DEP_2) | instskip(NEXT) | instid1(VALU_DEP_2)
	v_cmp_le_u32_e32 vcc_lo, v9, v14
	v_cmp_gt_u32_e64 s0, 0x401, v10
	s_delay_alu instid0(VALU_DEP_1) | instskip(NEXT) | instid1(SALU_CYCLE_1)
	s_or_b32 s0, vcc_lo, s0
	s_and_saveexec_b32 s1, s0
	s_cbranch_execz .LBB634_519
; %bb.473:
	v_cmp_ge_u32_e32 vcc_lo, v9, v14
	s_mov_b32 s12, exec_lo
                                        ; implicit-def: $vgpr0_vgpr1
	v_cmpx_lt_u32_e64 v9, v14
	s_cbranch_execz .LBB634_475
; %bb.474:
	v_lshl_add_u32 v0, v15, 3, v17
	ds_load_b64 v[0:1], v0
.LBB634_475:
	s_or_b32 exec_lo, exec_lo, s12
	v_cmp_lt_u32_e64 s12, 0x3ff, v10
	s_mov_b32 s19, exec_lo
                                        ; implicit-def: $vgpr4_vgpr5
	v_cmpx_gt_u32_e32 0x400, v10
	s_cbranch_execz .LBB634_477
; %bb.476:
	v_lshlrev_b32_e32 v2, 3, v10
	ds_load_b64 v[4:5], v2
.LBB634_477:
	s_or_b32 exec_lo, exec_lo, s19
	s_or_b32 s0, vcc_lo, s12
	s_mov_b32 s19, -1
	s_xor_b32 s0, s0, -1
	s_delay_alu instid0(SALU_CYCLE_1)
	s_and_saveexec_b32 s22, s0
	s_cbranch_execz .LBB634_486
; %bb.478:
	s_and_not1_b32 vcc_lo, exec_lo, s7
	s_cbranch_vccnz .LBB634_484
; %bb.479:
	s_waitcnt lgkmcnt(0)
	v_mul_lo_u32 v8, v5, s8
	v_mul_lo_u32 v11, v4, s9
	v_mad_u64_u32 v[2:3], null, v4, s8, 0
	v_mul_lo_u32 v15, v1, s8
	v_mul_lo_u32 v16, v0, s9
	v_mad_u64_u32 v[6:7], null, v0, s8, 0
	s_mov_b32 s23, 0
	s_mov_b64 s[20:21], s[8:9]
	s_delay_alu instid0(VALU_DEP_4) | instskip(NEXT) | instid1(VALU_DEP_2)
	v_add3_u32 v3, v3, v11, v8
                                        ; implicit-def: $sgpr24
                                        ; implicit-def: $sgpr25
                                        ; implicit-def: $sgpr26
                                        ; implicit-def: $sgpr27
                                        ; implicit-def: $sgpr28
	v_add3_u32 v7, v7, v16, v15
	s_delay_alu instid0(VALU_DEP_2) | instskip(NEXT) | instid1(VALU_DEP_2)
	v_lshlrev_b64 v[2:3], 1, v[2:3]
	v_lshlrev_b64 v[6:7], 1, v[6:7]
	s_delay_alu instid0(VALU_DEP_2) | instskip(NEXT) | instid1(VALU_DEP_3)
	v_add_co_u32 v2, vcc_lo, s10, v2
	v_add_co_ci_u32_e32 v3, vcc_lo, s11, v3, vcc_lo
	s_delay_alu instid0(VALU_DEP_3) | instskip(NEXT) | instid1(VALU_DEP_4)
	v_add_co_u32 v6, vcc_lo, s10, v6
	v_add_co_ci_u32_e32 v7, vcc_lo, s11, v7, vcc_lo
	s_set_inst_prefetch_distance 0x1
	s_branch .LBB634_481
	.p2align	6
.LBB634_480:                            ;   in Loop: Header=BB634_481 Depth=1
	s_or_b32 exec_lo, exec_lo, s0
	s_delay_alu instid0(SALU_CYCLE_1) | instskip(NEXT) | instid1(SALU_CYCLE_1)
	s_and_b32 s0, exec_lo, s25
	s_or_b32 s23, s0, s23
	s_and_not1_b32 s0, s28, exec_lo
	s_and_b32 s28, s27, exec_lo
	s_and_not1_b32 s24, s24, exec_lo
	s_and_b32 s29, s26, exec_lo
	s_or_b32 s28, s0, s28
	s_or_b32 s24, s24, s29
	s_and_not1_b32 exec_lo, exec_lo, s23
	s_cbranch_execz .LBB634_483
.LBB634_481:                            ; =>This Inner Loop Header: Depth=1
	global_load_u16 v8, v[2:3], off
	global_load_u16 v11, v[6:7], off
	s_and_not1_b32 s26, s26, exec_lo
	s_and_not1_b32 s27, s27, exec_lo
	s_or_b32 s25, s25, exec_lo
	s_waitcnt vmcnt(0)
	v_cmp_le_i16_e32 vcc_lo, v8, v11
	v_cmp_lt_i16_e64 s0, v8, v11
	s_and_b32 s29, vcc_lo, s28
	s_delay_alu instid0(VALU_DEP_1) | instid1(SALU_CYCLE_1)
	s_or_b32 s29, s0, s29
	s_delay_alu instid0(SALU_CYCLE_1) | instskip(NEXT) | instid1(SALU_CYCLE_1)
	s_and_b32 s0, s29, exec_lo
	s_or_b32 s26, s26, s0
	s_mov_b32 s0, exec_lo
	v_cmpx_eq_u16_e64 v8, v11
	s_cbranch_execz .LBB634_480
; %bb.482:                              ;   in Loop: Header=BB634_481 Depth=1
	s_add_u32 s20, s20, -1
	s_addc_u32 s21, s21, -1
	v_add_co_u32 v2, vcc_lo, v2, 2
	s_cmp_eq_u64 s[20:21], 0
	v_add_co_ci_u32_e32 v3, vcc_lo, 0, v3, vcc_lo
	v_add_co_u32 v6, vcc_lo, v6, 2
	s_cselect_b32 s28, -1, 0
	v_add_co_ci_u32_e32 v7, vcc_lo, 0, v7, vcc_lo
	s_and_not1_b32 s27, s27, exec_lo
	s_and_b32 s29, s29, exec_lo
	s_and_not1_b32 s25, s25, exec_lo
	s_and_b32 s28, s28, exec_lo
	s_or_b32 s27, s27, s29
	s_and_not1_b32 s26, s26, exec_lo
	s_or_b32 s25, s25, s28
                                        ; implicit-def: $sgpr28
	s_branch .LBB634_480
.LBB634_483:
	s_set_inst_prefetch_distance 0x2
	s_or_b32 exec_lo, exec_lo, s23
	s_xor_b32 s0, s24, -1
	s_branch .LBB634_485
.LBB634_484:
	s_mov_b32 s0, -1
.LBB634_485:
	s_and_not1_b32 s12, s12, exec_lo
	s_and_b32 s0, s0, exec_lo
	s_delay_alu instid0(SALU_CYCLE_1)
	s_or_b32 s12, s12, s0
.LBB634_486:
	s_or_b32 exec_lo, exec_lo, s22
	v_cndmask_b32_e64 v2, v10, v9, s12
	v_add_nc_u32_e32 v8, -1, v14
	s_mov_b32 s22, exec_lo
	s_delay_alu instid0(VALU_DEP_2) | instskip(NEXT) | instid1(VALU_DEP_2)
	v_add_nc_u32_e32 v6, 1, v2
	v_cndmask_b32_e64 v2, 0x3ff, v8, s12
	s_delay_alu instid0(VALU_DEP_2) | instskip(NEXT) | instid1(VALU_DEP_2)
	v_cndmask_b32_e64 v17, v6, v10, s12
	v_min_u32_e32 v2, v6, v2
	v_cndmask_b32_e64 v9, v9, v6, s12
	s_delay_alu instid0(VALU_DEP_2)
	v_lshlrev_b32_e32 v2, 3, v2
	ds_load_b64 v[2:3], v2
	s_waitcnt lgkmcnt(0)
	v_cndmask_b32_e64 v10, v3, v5, s12
	v_cndmask_b32_e64 v11, v2, v4, s12
	;; [unrolled: 1-line block ×4, first 2 shown]
	v_cmpx_gt_u32_e32 0x400, v17
	s_cbranch_execz .LBB634_497
; %bb.487:
	s_mov_b32 s0, 0
	s_mov_b32 s19, exec_lo
	v_cmpx_lt_u32_e64 v9, v14
	s_cbranch_execz .LBB634_496
; %bb.488:
	s_and_not1_b32 vcc_lo, exec_lo, s7
	s_cbranch_vccnz .LBB634_494
; %bb.489:
	v_mul_lo_u32 v18, v10, s8
	v_mul_lo_u32 v19, v11, s9
	v_mad_u64_u32 v[2:3], null, v11, s8, 0
	v_mul_lo_u32 v20, v15, s8
	v_mul_lo_u32 v21, v16, s9
	v_mad_u64_u32 v[6:7], null, v16, s8, 0
	s_mov_b32 s23, 0
	s_mov_b64 s[20:21], s[8:9]
	s_delay_alu instid0(VALU_DEP_4) | instskip(NEXT) | instid1(VALU_DEP_2)
	v_add3_u32 v3, v3, v19, v18
                                        ; implicit-def: $sgpr24
                                        ; implicit-def: $sgpr25
                                        ; implicit-def: $sgpr26
                                        ; implicit-def: $sgpr27
                                        ; implicit-def: $sgpr28
	v_add3_u32 v7, v7, v21, v20
	s_delay_alu instid0(VALU_DEP_2) | instskip(NEXT) | instid1(VALU_DEP_2)
	v_lshlrev_b64 v[2:3], 1, v[2:3]
	v_lshlrev_b64 v[6:7], 1, v[6:7]
	s_delay_alu instid0(VALU_DEP_2) | instskip(NEXT) | instid1(VALU_DEP_3)
	v_add_co_u32 v2, vcc_lo, s10, v2
	v_add_co_ci_u32_e32 v3, vcc_lo, s11, v3, vcc_lo
	s_delay_alu instid0(VALU_DEP_3) | instskip(NEXT) | instid1(VALU_DEP_4)
	v_add_co_u32 v6, vcc_lo, s10, v6
	v_add_co_ci_u32_e32 v7, vcc_lo, s11, v7, vcc_lo
	s_set_inst_prefetch_distance 0x1
	s_branch .LBB634_491
	.p2align	6
.LBB634_490:                            ;   in Loop: Header=BB634_491 Depth=1
	s_or_b32 exec_lo, exec_lo, s0
	s_delay_alu instid0(SALU_CYCLE_1) | instskip(NEXT) | instid1(SALU_CYCLE_1)
	s_and_b32 s0, exec_lo, s25
	s_or_b32 s23, s0, s23
	s_and_not1_b32 s0, s28, exec_lo
	s_and_b32 s28, s27, exec_lo
	s_and_not1_b32 s24, s24, exec_lo
	s_and_b32 s29, s26, exec_lo
	s_or_b32 s28, s0, s28
	s_or_b32 s24, s24, s29
	s_and_not1_b32 exec_lo, exec_lo, s23
	s_cbranch_execz .LBB634_493
.LBB634_491:                            ; =>This Inner Loop Header: Depth=1
	global_load_u16 v18, v[2:3], off
	global_load_u16 v19, v[6:7], off
	s_and_not1_b32 s26, s26, exec_lo
	s_and_not1_b32 s27, s27, exec_lo
	s_or_b32 s25, s25, exec_lo
	s_waitcnt vmcnt(0)
	v_cmp_le_i16_e32 vcc_lo, v18, v19
	v_cmp_lt_i16_e64 s0, v18, v19
	s_and_b32 s29, vcc_lo, s28
	s_delay_alu instid0(VALU_DEP_1) | instid1(SALU_CYCLE_1)
	s_or_b32 s29, s0, s29
	s_delay_alu instid0(SALU_CYCLE_1) | instskip(NEXT) | instid1(SALU_CYCLE_1)
	s_and_b32 s0, s29, exec_lo
	s_or_b32 s26, s26, s0
	s_mov_b32 s0, exec_lo
	v_cmpx_eq_u16_e64 v18, v19
	s_cbranch_execz .LBB634_490
; %bb.492:                              ;   in Loop: Header=BB634_491 Depth=1
	s_add_u32 s20, s20, -1
	s_addc_u32 s21, s21, -1
	v_add_co_u32 v2, vcc_lo, v2, 2
	s_cmp_eq_u64 s[20:21], 0
	v_add_co_ci_u32_e32 v3, vcc_lo, 0, v3, vcc_lo
	v_add_co_u32 v6, vcc_lo, v6, 2
	s_cselect_b32 s28, -1, 0
	v_add_co_ci_u32_e32 v7, vcc_lo, 0, v7, vcc_lo
	s_and_not1_b32 s27, s27, exec_lo
	s_and_b32 s29, s29, exec_lo
	s_and_not1_b32 s25, s25, exec_lo
	s_and_b32 s28, s28, exec_lo
	s_or_b32 s27, s27, s29
	s_and_not1_b32 s26, s26, exec_lo
	s_or_b32 s25, s25, s28
                                        ; implicit-def: $sgpr28
	s_branch .LBB634_490
.LBB634_493:
	s_set_inst_prefetch_distance 0x2
	s_or_b32 exec_lo, exec_lo, s23
	s_xor_b32 s0, s24, -1
	s_branch .LBB634_495
.LBB634_494:
	s_mov_b32 s0, -1
.LBB634_495:
	s_delay_alu instid0(SALU_CYCLE_1)
	s_and_b32 s0, s0, exec_lo
.LBB634_496:
	s_or_b32 exec_lo, exec_lo, s19
	s_delay_alu instid0(SALU_CYCLE_1)
	s_or_not1_b32 s19, s0, exec_lo
.LBB634_497:
	s_or_b32 exec_lo, exec_lo, s22
	v_cndmask_b32_e64 v2, v17, v9, s19
	v_cndmask_b32_e64 v3, 0x3ff, v8, s19
	s_mov_b32 s0, -1
	s_mov_b32 s22, exec_lo
	s_delay_alu instid0(VALU_DEP_2) | instskip(NEXT) | instid1(VALU_DEP_1)
	v_add_nc_u32_e32 v6, 1, v2
	v_min_u32_e32 v2, v6, v3
	v_cndmask_b32_e64 v20, v6, v17, s19
	v_cndmask_b32_e64 v17, v9, v6, s19
	s_delay_alu instid0(VALU_DEP_3)
	v_lshlrev_b32_e32 v2, 3, v2
	ds_load_b64 v[2:3], v2
	s_waitcnt lgkmcnt(0)
	v_cndmask_b32_e64 v18, v3, v10, s19
	v_cndmask_b32_e64 v19, v2, v11, s19
	;; [unrolled: 1-line block ×4, first 2 shown]
	v_cmpx_gt_u32_e32 0x400, v20
	s_cbranch_execz .LBB634_508
; %bb.498:
	s_mov_b32 s0, 0
	s_mov_b32 s23, exec_lo
	v_cmpx_lt_u32_e64 v17, v14
	s_cbranch_execz .LBB634_507
; %bb.499:
	s_and_not1_b32 vcc_lo, exec_lo, s7
	s_cbranch_vccnz .LBB634_505
; %bb.500:
	v_mul_lo_u32 v9, v18, s8
	v_mul_lo_u32 v23, v19, s9
	v_mad_u64_u32 v[2:3], null, v19, s8, 0
	v_mul_lo_u32 v24, v21, s8
	v_mul_lo_u32 v25, v22, s9
	v_mad_u64_u32 v[6:7], null, v22, s8, 0
	s_mov_b32 s24, 0
	s_mov_b64 s[20:21], s[8:9]
	s_delay_alu instid0(VALU_DEP_4) | instskip(NEXT) | instid1(VALU_DEP_2)
	v_add3_u32 v3, v3, v23, v9
                                        ; implicit-def: $sgpr25
                                        ; implicit-def: $sgpr26
                                        ; implicit-def: $sgpr27
                                        ; implicit-def: $sgpr28
                                        ; implicit-def: $sgpr29
	v_add3_u32 v7, v7, v25, v24
	s_delay_alu instid0(VALU_DEP_2) | instskip(NEXT) | instid1(VALU_DEP_2)
	v_lshlrev_b64 v[2:3], 1, v[2:3]
	v_lshlrev_b64 v[6:7], 1, v[6:7]
	s_delay_alu instid0(VALU_DEP_2) | instskip(NEXT) | instid1(VALU_DEP_3)
	v_add_co_u32 v2, vcc_lo, s10, v2
	v_add_co_ci_u32_e32 v3, vcc_lo, s11, v3, vcc_lo
	s_delay_alu instid0(VALU_DEP_3) | instskip(NEXT) | instid1(VALU_DEP_4)
	v_add_co_u32 v6, vcc_lo, s10, v6
	v_add_co_ci_u32_e32 v7, vcc_lo, s11, v7, vcc_lo
	s_set_inst_prefetch_distance 0x1
	s_branch .LBB634_502
	.p2align	6
.LBB634_501:                            ;   in Loop: Header=BB634_502 Depth=1
	s_or_b32 exec_lo, exec_lo, s0
	s_delay_alu instid0(SALU_CYCLE_1) | instskip(NEXT) | instid1(SALU_CYCLE_1)
	s_and_b32 s0, exec_lo, s26
	s_or_b32 s24, s0, s24
	s_and_not1_b32 s0, s29, exec_lo
	s_and_b32 s29, s28, exec_lo
	s_and_not1_b32 s25, s25, exec_lo
	s_and_b32 s30, s27, exec_lo
	s_or_b32 s29, s0, s29
	s_or_b32 s25, s25, s30
	s_and_not1_b32 exec_lo, exec_lo, s24
	s_cbranch_execz .LBB634_504
.LBB634_502:                            ; =>This Inner Loop Header: Depth=1
	global_load_u16 v9, v[2:3], off
	global_load_u16 v23, v[6:7], off
	s_and_not1_b32 s27, s27, exec_lo
	s_and_not1_b32 s28, s28, exec_lo
	s_or_b32 s26, s26, exec_lo
	s_waitcnt vmcnt(0)
	v_cmp_le_i16_e32 vcc_lo, v9, v23
	v_cmp_lt_i16_e64 s0, v9, v23
	s_and_b32 s30, vcc_lo, s29
	s_delay_alu instid0(VALU_DEP_1) | instid1(SALU_CYCLE_1)
	s_or_b32 s30, s0, s30
	s_delay_alu instid0(SALU_CYCLE_1) | instskip(NEXT) | instid1(SALU_CYCLE_1)
	s_and_b32 s0, s30, exec_lo
	s_or_b32 s27, s27, s0
	s_mov_b32 s0, exec_lo
	v_cmpx_eq_u16_e64 v9, v23
	s_cbranch_execz .LBB634_501
; %bb.503:                              ;   in Loop: Header=BB634_502 Depth=1
	s_add_u32 s20, s20, -1
	s_addc_u32 s21, s21, -1
	v_add_co_u32 v2, vcc_lo, v2, 2
	s_cmp_eq_u64 s[20:21], 0
	v_add_co_ci_u32_e32 v3, vcc_lo, 0, v3, vcc_lo
	v_add_co_u32 v6, vcc_lo, v6, 2
	s_cselect_b32 s29, -1, 0
	v_add_co_ci_u32_e32 v7, vcc_lo, 0, v7, vcc_lo
	s_and_not1_b32 s28, s28, exec_lo
	s_and_b32 s30, s30, exec_lo
	s_and_not1_b32 s26, s26, exec_lo
	s_and_b32 s29, s29, exec_lo
	s_or_b32 s28, s28, s30
	s_and_not1_b32 s27, s27, exec_lo
	s_or_b32 s26, s26, s29
                                        ; implicit-def: $sgpr29
	s_branch .LBB634_501
.LBB634_504:
	s_set_inst_prefetch_distance 0x2
	s_or_b32 exec_lo, exec_lo, s24
	s_xor_b32 s0, s25, -1
	s_branch .LBB634_506
.LBB634_505:
	s_mov_b32 s0, -1
.LBB634_506:
	s_delay_alu instid0(SALU_CYCLE_1)
	s_and_b32 s0, s0, exec_lo
.LBB634_507:
	s_or_b32 exec_lo, exec_lo, s23
	s_delay_alu instid0(SALU_CYCLE_1)
	s_or_not1_b32 s0, s0, exec_lo
.LBB634_508:
	s_or_b32 exec_lo, exec_lo, s22
	v_cndmask_b32_e64 v2, v20, v17, s0
	v_cndmask_b32_e64 v3, 0x3ff, v8, s0
	;; [unrolled: 1-line block ×5, first 2 shown]
	v_add_nc_u32_e32 v23, 1, v2
	v_cndmask_b32_e64 v4, v19, v22, s0
	s_mov_b32 s12, exec_lo
	s_delay_alu instid0(VALU_DEP_2) | instskip(SKIP_2) | instid1(VALU_DEP_3)
	v_min_u32_e32 v2, v23, v3
	v_cndmask_b32_e64 v3, v10, v15, s19
	v_cndmask_b32_e64 v10, v23, v20, s0
	v_lshlrev_b32_e32 v2, 3, v2
	ds_load_b64 v[8:9], v2
	v_cndmask_b32_e64 v2, v11, v16, s19
	s_waitcnt lgkmcnt(0)
	v_cndmask_b32_e64 v7, v21, v9, s0
	v_cndmask_b32_e64 v6, v22, v8, s0
	v_cmpx_gt_u32_e32 0x400, v10
	s_cbranch_execz .LBB634_518
; %bb.509:
	v_cndmask_b32_e64 v10, v17, v23, s0
	v_cndmask_b32_e64 v9, v9, v18, s0
	;; [unrolled: 1-line block ×3, first 2 shown]
	s_mov_b32 s19, exec_lo
	s_delay_alu instid0(VALU_DEP_3)
	v_cmpx_lt_u32_e64 v10, v14
	s_cbranch_execz .LBB634_517
; %bb.510:
	s_and_not1_b32 vcc_lo, exec_lo, s7
	s_cbranch_vccnz .LBB634_516
; %bb.511:
	v_mul_lo_u32 v16, v9, s8
	v_mul_lo_u32 v17, v8, s9
	v_mad_u64_u32 v[10:11], null, v8, s8, 0
	v_mul_lo_u32 v18, v7, s8
	v_mul_lo_u32 v19, v6, s9
	v_mad_u64_u32 v[14:15], null, v6, s8, 0
	s_mov_b32 s7, 0
	s_mov_b64 s[20:21], s[8:9]
	s_delay_alu instid0(VALU_DEP_4) | instskip(NEXT) | instid1(VALU_DEP_2)
	v_add3_u32 v11, v11, v17, v16
                                        ; implicit-def: $sgpr22
                                        ; implicit-def: $sgpr23
                                        ; implicit-def: $sgpr24
                                        ; implicit-def: $sgpr25
                                        ; implicit-def: $sgpr26
	v_add3_u32 v15, v15, v19, v18
	s_delay_alu instid0(VALU_DEP_2) | instskip(NEXT) | instid1(VALU_DEP_2)
	v_lshlrev_b64 v[10:11], 1, v[10:11]
	v_lshlrev_b64 v[14:15], 1, v[14:15]
	s_delay_alu instid0(VALU_DEP_2) | instskip(NEXT) | instid1(VALU_DEP_3)
	v_add_co_u32 v10, vcc_lo, s10, v10
	v_add_co_ci_u32_e32 v11, vcc_lo, s11, v11, vcc_lo
	s_delay_alu instid0(VALU_DEP_3) | instskip(NEXT) | instid1(VALU_DEP_4)
	v_add_co_u32 v14, vcc_lo, s10, v14
	v_add_co_ci_u32_e32 v15, vcc_lo, s11, v15, vcc_lo
	s_set_inst_prefetch_distance 0x1
	s_branch .LBB634_513
	.p2align	6
.LBB634_512:                            ;   in Loop: Header=BB634_513 Depth=1
	s_or_b32 exec_lo, exec_lo, s0
	s_delay_alu instid0(SALU_CYCLE_1) | instskip(NEXT) | instid1(SALU_CYCLE_1)
	s_and_b32 s0, exec_lo, s23
	s_or_b32 s7, s0, s7
	s_and_not1_b32 s0, s26, exec_lo
	s_and_b32 s26, s25, exec_lo
	s_and_not1_b32 s22, s22, exec_lo
	s_and_b32 s27, s24, exec_lo
	s_or_b32 s26, s0, s26
	s_or_b32 s22, s22, s27
	s_and_not1_b32 exec_lo, exec_lo, s7
	s_cbranch_execz .LBB634_515
.LBB634_513:                            ; =>This Inner Loop Header: Depth=1
	global_load_u16 v16, v[10:11], off
	global_load_u16 v17, v[14:15], off
	s_and_not1_b32 s24, s24, exec_lo
	s_and_not1_b32 s25, s25, exec_lo
	s_or_b32 s23, s23, exec_lo
	s_waitcnt vmcnt(0)
	v_cmp_le_i16_e32 vcc_lo, v16, v17
	v_cmp_lt_i16_e64 s0, v16, v17
	s_and_b32 s27, vcc_lo, s26
	s_delay_alu instid0(VALU_DEP_1) | instid1(SALU_CYCLE_1)
	s_or_b32 s27, s0, s27
	s_delay_alu instid0(SALU_CYCLE_1) | instskip(NEXT) | instid1(SALU_CYCLE_1)
	s_and_b32 s0, s27, exec_lo
	s_or_b32 s24, s24, s0
	s_mov_b32 s0, exec_lo
	v_cmpx_eq_u16_e64 v16, v17
	s_cbranch_execz .LBB634_512
; %bb.514:                              ;   in Loop: Header=BB634_513 Depth=1
	s_add_u32 s20, s20, -1
	s_addc_u32 s21, s21, -1
	v_add_co_u32 v10, vcc_lo, v10, 2
	s_cmp_eq_u64 s[20:21], 0
	v_add_co_ci_u32_e32 v11, vcc_lo, 0, v11, vcc_lo
	v_add_co_u32 v14, vcc_lo, v14, 2
	s_cselect_b32 s26, -1, 0
	v_add_co_ci_u32_e32 v15, vcc_lo, 0, v15, vcc_lo
	s_and_not1_b32 s25, s25, exec_lo
	s_and_b32 s27, s27, exec_lo
	s_and_not1_b32 s23, s23, exec_lo
	s_and_b32 s26, s26, exec_lo
	s_or_b32 s25, s25, s27
	s_and_not1_b32 s24, s24, exec_lo
	s_or_b32 s23, s23, s26
                                        ; implicit-def: $sgpr26
	s_branch .LBB634_512
.LBB634_515:
	s_set_inst_prefetch_distance 0x2
	s_or_b32 exec_lo, exec_lo, s7
	v_cndmask_b32_e64 v7, v7, v9, s22
	v_cndmask_b32_e64 v6, v6, v8, s22
.LBB634_516:
	s_delay_alu instid0(VALU_DEP_1)
	v_dual_mov_b32 v9, v7 :: v_dual_mov_b32 v8, v6
.LBB634_517:
	s_or_b32 exec_lo, exec_lo, s19
	s_delay_alu instid0(VALU_DEP_1)
	v_dual_mov_b32 v6, v8 :: v_dual_mov_b32 v7, v9
.LBB634_518:
	s_or_b32 exec_lo, exec_lo, s12
.LBB634_519:
	s_delay_alu instid0(SALU_CYCLE_1)
	s_or_b32 exec_lo, exec_lo, s1
	s_barrier
	buffer_gl0_inv
	s_barrier
	buffer_gl0_inv
	ds_store_2addr_b64 v39, v[0:1], v[2:3] offset1:1
	ds_store_2addr_b64 v39, v[4:5], v[6:7] offset0:2 offset1:3
	s_waitcnt lgkmcnt(0)
	s_barrier
	buffer_gl0_inv
	ds_load_b64 v[2:3], v38 offset:2048
	ds_load_b64 v[4:5], v35
	ds_load_b64 v[6:7], v36 offset:4096
	ds_load_b64 v[0:1], v37 offset:6144
	v_add_co_u32 v8, s0, s14, v26
	s_delay_alu instid0(VALU_DEP_1) | instskip(NEXT) | instid1(VALU_DEP_2)
	v_add_co_ci_u32_e64 v9, null, s15, 0, s0
	v_add_co_u32 v8, vcc_lo, 0x1000, v8
	s_delay_alu instid0(VALU_DEP_2)
	v_add_co_ci_u32_e32 v9, vcc_lo, 0, v9, vcc_lo
	s_mov_b32 s19, -1
	s_waitcnt lgkmcnt(3)
	global_store_b64 v26, v[2:3], s[14:15] offset:2048
	s_waitcnt lgkmcnt(2)
	global_store_b64 v26, v[4:5], s[14:15]
	s_waitcnt lgkmcnt(1)
	global_store_b64 v[8:9], v[6:7], off
	s_branch .LBB634_876
.LBB634_520:
	s_lshl_b64 s[0:1], s[2:3], 10
                                        ; implicit-def: $vgpr0_vgpr1_vgpr2_vgpr3_vgpr4_vgpr5_vgpr6_vgpr7
	s_delay_alu instid0(SALU_CYCLE_1) | instskip(NEXT) | instid1(SALU_CYCLE_1)
	s_sub_i32 s18, s18, s0
	v_cmp_gt_u32_e64 s0, s18, v12
	s_delay_alu instid0(VALU_DEP_1)
	s_and_saveexec_b32 s1, s0
	s_cbranch_execnz .LBB634_531
; %bb.521:
	s_or_b32 exec_lo, exec_lo, s1
	v_cmp_gt_u32_e64 s1, s18, v34
	s_delay_alu instid0(VALU_DEP_1)
	s_and_saveexec_b32 s2, s1
	s_cbranch_execnz .LBB634_532
.LBB634_522:
	s_or_b32 exec_lo, exec_lo, s2
	v_cmp_gt_u32_e64 s2, s18, v33
	s_delay_alu instid0(VALU_DEP_1)
	s_and_saveexec_b32 s3, s2
	s_cbranch_execnz .LBB634_533
.LBB634_523:
	s_or_b32 exec_lo, exec_lo, s3
	v_cmp_gt_u32_e64 s19, s18, v32
	s_delay_alu instid0(VALU_DEP_1)
	s_and_saveexec_b32 s3, s19
	s_cbranch_execz .LBB634_525
.LBB634_524:
	v_lshlrev_b32_e32 v6, 3, v32
	global_load_b64 v[6:7], v6, s[16:17]
.LBB634_525:
	s_or_b32 exec_lo, exec_lo, s3
	v_lshrrev_b32_e32 v8, 2, v34
	v_lshrrev_b32_e32 v9, 2, v33
	;; [unrolled: 1-line block ×3, first 2 shown]
	v_and_b32_e32 v11, 0xf8, v31
	v_add_lshl_u32 v17, v30, v27, 3
	v_and_b32_e32 v8, 0x1f8, v8
	v_and_b32_e32 v9, 0x1f8, v9
	;; [unrolled: 1-line block ×3, first 2 shown]
	v_cmp_gt_i64_e64 s16, s[8:9], 0
	s_delay_alu instid0(VALU_DEP_4)
	v_dual_mov_b32 v8, 0 :: v_dual_add_nc_u32 v13, v8, v26
	v_add_nc_u32_e32 v14, v11, v26
	v_add_nc_u32_e32 v15, v9, v26
	;; [unrolled: 1-line block ×3, first 2 shown]
	s_waitcnt vmcnt(0) lgkmcnt(0)
	ds_store_b64 v14, v[0:1]
	ds_store_b64 v13, v[2:3] offset:2048
	ds_store_b64 v15, v[4:5] offset:4096
	;; [unrolled: 1-line block ×3, first 2 shown]
	s_waitcnt lgkmcnt(0)
	s_waitcnt_vscnt null, 0x0
	s_barrier
	buffer_gl0_inv
	ds_load_2addr_b64 v[0:3], v17 offset1:1
	ds_load_2addr_b64 v[4:7], v17 offset0:2 offset1:3
	s_waitcnt lgkmcnt(0)
	s_barrier
	buffer_gl0_inv
	s_load_b32 s3, s[4:5], 0xc
	s_waitcnt lgkmcnt(0)
	s_lshr_b32 s3, s3, 16
	s_cmp_lt_u32 s13, s6
	v_mad_u32_u24 v9, v29, s3, v28
	s_cselect_b32 s6, 12, 18
	s_delay_alu instid0(SALU_CYCLE_1) | instskip(SKIP_4) | instid1(VALU_DEP_1)
	s_add_u32 s4, s4, s6
	s_addc_u32 s5, s5, 0
	global_load_u16 v8, v8, s[4:5]
	s_waitcnt vmcnt(0)
	v_mul_lo_u32 v8, v9, v8
	v_add_lshl_u32 v18, v8, v12, 2
	s_delay_alu instid0(VALU_DEP_1) | instskip(NEXT) | instid1(VALU_DEP_1)
	v_sub_nc_u32_e64 v19, s18, v18 clamp
	v_cmp_lt_u32_e64 s3, 1, v19
	s_delay_alu instid0(VALU_DEP_1)
	s_and_saveexec_b32 s12, s3
	s_cbranch_execz .LBB634_537
; %bb.526:
	s_and_not1_b32 vcc_lo, exec_lo, s16
	s_cbranch_vccnz .LBB634_537
; %bb.527:
	v_mul_lo_u32 v20, v3, s8
	v_mul_lo_u32 v21, v2, s9
	v_mad_u64_u32 v[8:9], null, v2, s8, 0
	v_mul_lo_u32 v22, v1, s8
	v_mul_lo_u32 v23, v0, s9
	v_mad_u64_u32 v[10:11], null, v0, s8, 0
	s_mov_b32 s13, 0
	s_mov_b64 s[6:7], s[8:9]
	s_delay_alu instid0(VALU_DEP_4) | instskip(NEXT) | instid1(VALU_DEP_2)
	v_add3_u32 v9, v9, v21, v20
                                        ; implicit-def: $sgpr17
                                        ; implicit-def: $sgpr20
                                        ; implicit-def: $sgpr22
                                        ; implicit-def: $sgpr21
                                        ; implicit-def: $sgpr23
                                        ; implicit-def: $sgpr24
	v_add3_u32 v11, v11, v23, v22
	s_delay_alu instid0(VALU_DEP_2) | instskip(NEXT) | instid1(VALU_DEP_2)
	v_lshlrev_b64 v[8:9], 1, v[8:9]
	v_lshlrev_b64 v[10:11], 1, v[10:11]
	s_delay_alu instid0(VALU_DEP_2) | instskip(NEXT) | instid1(VALU_DEP_3)
	v_add_co_u32 v8, vcc_lo, s10, v8
	v_add_co_ci_u32_e32 v9, vcc_lo, s11, v9, vcc_lo
	s_delay_alu instid0(VALU_DEP_3) | instskip(NEXT) | instid1(VALU_DEP_4)
	v_add_co_u32 v10, vcc_lo, s10, v10
	v_add_co_ci_u32_e32 v11, vcc_lo, s11, v11, vcc_lo
	s_set_inst_prefetch_distance 0x1
	s_branch .LBB634_529
	.p2align	6
.LBB634_528:                            ;   in Loop: Header=BB634_529 Depth=1
	s_or_b32 exec_lo, exec_lo, s25
	s_delay_alu instid0(SALU_CYCLE_1) | instskip(NEXT) | instid1(SALU_CYCLE_1)
	s_and_b32 s5, exec_lo, s22
	s_or_b32 s13, s5, s13
	s_and_not1_b32 s5, s24, exec_lo
	s_and_b32 s24, s23, exec_lo
	s_and_not1_b32 s20, s20, exec_lo
	s_or_b32 s24, s5, s24
	s_and_b32 s5, s21, exec_lo
	s_and_not1_b32 s17, s17, exec_lo
	s_and_b32 s4, s4, exec_lo
	s_or_b32 s20, s20, s5
	s_or_b32 s17, s17, s4
	s_and_not1_b32 exec_lo, exec_lo, s13
	s_cbranch_execz .LBB634_534
.LBB634_529:                            ; =>This Inner Loop Header: Depth=1
	global_load_u16 v20, v[8:9], off
	global_load_u16 v21, v[10:11], off
	s_and_not1_b32 s23, s23, exec_lo
	s_or_b32 s21, s21, exec_lo
	s_or_b32 s22, s22, exec_lo
	s_waitcnt vmcnt(0)
	v_cmp_le_i16_e32 vcc_lo, v20, v21
	v_cmp_lt_i16_e64 s4, v20, v21
	s_and_b32 s25, vcc_lo, s24
	s_delay_alu instid0(VALU_DEP_1) | instid1(SALU_CYCLE_1)
	s_or_b32 s4, s4, s25
	s_mov_b32 s25, exec_lo
	v_cmpx_eq_u16_e64 v20, v21
	s_cbranch_execz .LBB634_528
; %bb.530:                              ;   in Loop: Header=BB634_529 Depth=1
	s_add_u32 s6, s6, -1
	s_addc_u32 s7, s7, -1
	v_add_co_u32 v8, vcc_lo, v8, 2
	s_cmp_eq_u64 s[6:7], 0
	v_add_co_ci_u32_e32 v9, vcc_lo, 0, v9, vcc_lo
	v_add_co_u32 v10, vcc_lo, v10, 2
	s_cselect_b32 s5, -1, 0
	v_add_co_ci_u32_e32 v11, vcc_lo, 0, v11, vcc_lo
	s_and_not1_b32 s23, s23, exec_lo
	s_and_b32 s24, s4, exec_lo
	s_and_not1_b32 s22, s22, exec_lo
	s_and_b32 s5, s5, exec_lo
	s_or_b32 s23, s23, s24
	s_and_not1_b32 s21, s21, exec_lo
	s_or_b32 s22, s22, s5
                                        ; implicit-def: $sgpr24
	s_branch .LBB634_528
.LBB634_531:
	s_waitcnt lgkmcnt(0)
	global_load_b64 v[0:1], v26, s[16:17]
	s_or_b32 exec_lo, exec_lo, s1
	v_cmp_gt_u32_e64 s1, s18, v34
	s_delay_alu instid0(VALU_DEP_1)
	s_and_saveexec_b32 s2, s1
	s_cbranch_execz .LBB634_522
.LBB634_532:
	global_load_b64 v[2:3], v26, s[16:17] offset:2048
	s_or_b32 exec_lo, exec_lo, s2
	v_cmp_gt_u32_e64 s2, s18, v33
	s_delay_alu instid0(VALU_DEP_1)
	s_and_saveexec_b32 s3, s2
	s_cbranch_execz .LBB634_523
.LBB634_533:
	v_lshlrev_b32_e32 v4, 3, v33
	global_load_b64 v[4:5], v4, s[16:17]
	s_or_b32 exec_lo, exec_lo, s3
	v_cmp_gt_u32_e64 s19, s18, v32
	s_delay_alu instid0(VALU_DEP_1)
	s_and_saveexec_b32 s3, s19
	s_cbranch_execnz .LBB634_524
	s_branch .LBB634_525
.LBB634_534:
	s_set_inst_prefetch_distance 0x2
	s_or_b32 exec_lo, exec_lo, s13
	s_and_saveexec_b32 s4, s20
	s_delay_alu instid0(SALU_CYCLE_1)
	s_xor_b32 s4, exec_lo, s4
; %bb.535:
	v_cndmask_b32_e64 v28, v0, v2, s17
	v_cndmask_b32_e64 v31, v3, v1, s17
	;; [unrolled: 1-line block ×4, first 2 shown]
	v_dual_mov_b32 v32, v4 :: v_dual_mov_b32 v33, v5
	v_dual_mov_b32 v34, v6 :: v_dual_mov_b32 v35, v7
	s_delay_alu instid0(VALU_DEP_3) | instskip(SKIP_1) | instid1(VALU_DEP_4)
	v_dual_mov_b32 v0, v28 :: v_dual_mov_b32 v1, v29
	v_dual_mov_b32 v2, v30 :: v_dual_mov_b32 v3, v31
	;; [unrolled: 1-line block ×3, first 2 shown]
	s_delay_alu instid0(VALU_DEP_4)
	v_dual_mov_b32 v6, v34 :: v_dual_mov_b32 v7, v35
; %bb.536:
	s_or_b32 exec_lo, exec_lo, s4
.LBB634_537:
	s_delay_alu instid0(SALU_CYCLE_1) | instskip(SKIP_1) | instid1(VALU_DEP_1)
	s_or_b32 exec_lo, exec_lo, s12
	v_cmp_lt_u32_e64 s4, 3, v19
	s_and_saveexec_b32 s7, s4
	s_cbranch_execz .LBB634_546
; %bb.538:
	s_and_not1_b32 vcc_lo, exec_lo, s16
	s_cbranch_vccnz .LBB634_546
; %bb.539:
	v_mul_lo_u32 v20, v7, s8
	v_mul_lo_u32 v21, v6, s9
	v_mad_u64_u32 v[8:9], null, v6, s8, 0
	v_mul_lo_u32 v22, v5, s8
	v_mul_lo_u32 v23, v4, s9
	v_mad_u64_u32 v[10:11], null, v4, s8, 0
	s_mov_b32 s20, 0
	s_mov_b64 s[12:13], s[8:9]
	s_delay_alu instid0(VALU_DEP_4) | instskip(NEXT) | instid1(VALU_DEP_2)
	v_add3_u32 v9, v9, v21, v20
                                        ; implicit-def: $sgpr17
                                        ; implicit-def: $sgpr21
                                        ; implicit-def: $sgpr23
                                        ; implicit-def: $sgpr22
                                        ; implicit-def: $sgpr24
                                        ; implicit-def: $sgpr25
	v_add3_u32 v11, v11, v23, v22
	s_delay_alu instid0(VALU_DEP_2) | instskip(NEXT) | instid1(VALU_DEP_2)
	v_lshlrev_b64 v[8:9], 1, v[8:9]
	v_lshlrev_b64 v[10:11], 1, v[10:11]
	s_delay_alu instid0(VALU_DEP_2) | instskip(NEXT) | instid1(VALU_DEP_3)
	v_add_co_u32 v8, vcc_lo, s10, v8
	v_add_co_ci_u32_e32 v9, vcc_lo, s11, v9, vcc_lo
	s_delay_alu instid0(VALU_DEP_3) | instskip(NEXT) | instid1(VALU_DEP_4)
	v_add_co_u32 v10, vcc_lo, s10, v10
	v_add_co_ci_u32_e32 v11, vcc_lo, s11, v11, vcc_lo
	s_set_inst_prefetch_distance 0x1
	s_branch .LBB634_541
	.p2align	6
.LBB634_540:                            ;   in Loop: Header=BB634_541 Depth=1
	s_or_b32 exec_lo, exec_lo, s26
	s_delay_alu instid0(SALU_CYCLE_1) | instskip(NEXT) | instid1(SALU_CYCLE_1)
	s_and_b32 s6, exec_lo, s23
	s_or_b32 s20, s6, s20
	s_and_not1_b32 s6, s25, exec_lo
	s_and_b32 s25, s24, exec_lo
	s_and_not1_b32 s21, s21, exec_lo
	s_or_b32 s25, s6, s25
	s_and_b32 s6, s22, exec_lo
	s_and_not1_b32 s17, s17, exec_lo
	s_and_b32 s5, s5, exec_lo
	s_or_b32 s21, s21, s6
	s_or_b32 s17, s17, s5
	s_and_not1_b32 exec_lo, exec_lo, s20
	s_cbranch_execz .LBB634_543
.LBB634_541:                            ; =>This Inner Loop Header: Depth=1
	global_load_u16 v20, v[8:9], off
	global_load_u16 v21, v[10:11], off
	s_and_not1_b32 s24, s24, exec_lo
	s_or_b32 s22, s22, exec_lo
	s_or_b32 s23, s23, exec_lo
	s_waitcnt vmcnt(0)
	v_cmp_le_i16_e32 vcc_lo, v20, v21
	v_cmp_lt_i16_e64 s5, v20, v21
	s_and_b32 s26, vcc_lo, s25
	s_delay_alu instid0(VALU_DEP_1) | instid1(SALU_CYCLE_1)
	s_or_b32 s5, s5, s26
	s_mov_b32 s26, exec_lo
	v_cmpx_eq_u16_e64 v20, v21
	s_cbranch_execz .LBB634_540
; %bb.542:                              ;   in Loop: Header=BB634_541 Depth=1
	s_add_u32 s12, s12, -1
	s_addc_u32 s13, s13, -1
	v_add_co_u32 v8, vcc_lo, v8, 2
	s_cmp_eq_u64 s[12:13], 0
	v_add_co_ci_u32_e32 v9, vcc_lo, 0, v9, vcc_lo
	v_add_co_u32 v10, vcc_lo, v10, 2
	s_cselect_b32 s6, -1, 0
	v_add_co_ci_u32_e32 v11, vcc_lo, 0, v11, vcc_lo
	s_and_not1_b32 s24, s24, exec_lo
	s_and_b32 s25, s5, exec_lo
	s_and_not1_b32 s23, s23, exec_lo
	s_and_b32 s6, s6, exec_lo
	s_or_b32 s24, s24, s25
	s_and_not1_b32 s22, s22, exec_lo
	s_or_b32 s23, s23, s6
                                        ; implicit-def: $sgpr25
	s_branch .LBB634_540
.LBB634_543:
	s_set_inst_prefetch_distance 0x2
	s_or_b32 exec_lo, exec_lo, s20
	s_and_saveexec_b32 s5, s21
	s_delay_alu instid0(SALU_CYCLE_1)
	s_xor_b32 s5, exec_lo, s5
; %bb.544:
	v_cndmask_b32_e64 v8, v6, v4, s17
	v_cndmask_b32_e64 v9, v7, v5, s17
	v_cndmask_b32_e64 v5, v5, v7, s17
	v_cndmask_b32_e64 v4, v4, v6, s17
	s_delay_alu instid0(VALU_DEP_3)
	v_dual_mov_b32 v6, v8 :: v_dual_mov_b32 v7, v9
; %bb.545:
	s_or_b32 exec_lo, exec_lo, s5
.LBB634_546:
	s_delay_alu instid0(SALU_CYCLE_1) | instskip(SKIP_1) | instid1(VALU_DEP_1)
	s_or_b32 exec_lo, exec_lo, s7
	v_cmp_lt_u32_e64 s5, 2, v19
	s_and_saveexec_b32 s6, s5
	s_delay_alu instid0(SALU_CYCLE_1)
	s_xor_b32 s17, exec_lo, s6
	s_cbranch_execz .LBB634_555
; %bb.547:
	s_and_not1_b32 vcc_lo, exec_lo, s16
	s_cbranch_vccnz .LBB634_555
; %bb.548:
	v_mul_lo_u32 v19, v5, s8
	v_mul_lo_u32 v20, v4, s9
	v_mad_u64_u32 v[8:9], null, v4, s8, 0
	v_mul_lo_u32 v21, v3, s8
	v_mul_lo_u32 v22, v2, s9
	v_mad_u64_u32 v[10:11], null, v2, s8, 0
	s_mov_b32 s21, 0
	s_mov_b64 s[12:13], s[8:9]
	s_delay_alu instid0(VALU_DEP_4) | instskip(NEXT) | instid1(VALU_DEP_2)
	v_add3_u32 v9, v9, v20, v19
                                        ; implicit-def: $sgpr20
                                        ; implicit-def: $sgpr22
                                        ; implicit-def: $sgpr24
                                        ; implicit-def: $sgpr23
                                        ; implicit-def: $sgpr25
                                        ; implicit-def: $sgpr26
	v_add3_u32 v11, v11, v22, v21
	s_delay_alu instid0(VALU_DEP_2) | instskip(NEXT) | instid1(VALU_DEP_2)
	v_lshlrev_b64 v[8:9], 1, v[8:9]
	v_lshlrev_b64 v[10:11], 1, v[10:11]
	s_delay_alu instid0(VALU_DEP_2) | instskip(NEXT) | instid1(VALU_DEP_3)
	v_add_co_u32 v8, vcc_lo, s10, v8
	v_add_co_ci_u32_e32 v9, vcc_lo, s11, v9, vcc_lo
	s_delay_alu instid0(VALU_DEP_3) | instskip(NEXT) | instid1(VALU_DEP_4)
	v_add_co_u32 v10, vcc_lo, s10, v10
	v_add_co_ci_u32_e32 v11, vcc_lo, s11, v11, vcc_lo
	s_set_inst_prefetch_distance 0x1
	s_branch .LBB634_550
	.p2align	6
.LBB634_549:                            ;   in Loop: Header=BB634_550 Depth=1
	s_or_b32 exec_lo, exec_lo, s27
	s_delay_alu instid0(SALU_CYCLE_1) | instskip(NEXT) | instid1(SALU_CYCLE_1)
	s_and_b32 s7, exec_lo, s24
	s_or_b32 s21, s7, s21
	s_and_not1_b32 s7, s26, exec_lo
	s_and_b32 s26, s25, exec_lo
	s_and_not1_b32 s22, s22, exec_lo
	s_or_b32 s26, s7, s26
	s_and_b32 s7, s23, exec_lo
	s_and_not1_b32 s20, s20, exec_lo
	s_and_b32 s6, s6, exec_lo
	s_or_b32 s22, s22, s7
	s_or_b32 s20, s20, s6
	s_and_not1_b32 exec_lo, exec_lo, s21
	s_cbranch_execz .LBB634_552
.LBB634_550:                            ; =>This Inner Loop Header: Depth=1
	global_load_u16 v19, v[8:9], off
	global_load_u16 v20, v[10:11], off
	s_and_not1_b32 s25, s25, exec_lo
	s_or_b32 s23, s23, exec_lo
	s_or_b32 s24, s24, exec_lo
	s_waitcnt vmcnt(0)
	v_cmp_le_i16_e32 vcc_lo, v19, v20
	v_cmp_lt_i16_e64 s6, v19, v20
	s_and_b32 s27, vcc_lo, s26
	s_delay_alu instid0(VALU_DEP_1) | instid1(SALU_CYCLE_1)
	s_or_b32 s6, s6, s27
	s_mov_b32 s27, exec_lo
	v_cmpx_eq_u16_e64 v19, v20
	s_cbranch_execz .LBB634_549
; %bb.551:                              ;   in Loop: Header=BB634_550 Depth=1
	s_add_u32 s12, s12, -1
	s_addc_u32 s13, s13, -1
	v_add_co_u32 v8, vcc_lo, v8, 2
	s_cmp_eq_u64 s[12:13], 0
	v_add_co_ci_u32_e32 v9, vcc_lo, 0, v9, vcc_lo
	v_add_co_u32 v10, vcc_lo, v10, 2
	s_cselect_b32 s7, -1, 0
	v_add_co_ci_u32_e32 v11, vcc_lo, 0, v11, vcc_lo
	s_and_not1_b32 s25, s25, exec_lo
	s_and_b32 s26, s6, exec_lo
	s_and_not1_b32 s24, s24, exec_lo
	s_and_b32 s7, s7, exec_lo
	s_or_b32 s25, s25, s26
	s_and_not1_b32 s23, s23, exec_lo
	s_or_b32 s24, s24, s7
                                        ; implicit-def: $sgpr26
	s_branch .LBB634_549
.LBB634_552:
	s_set_inst_prefetch_distance 0x2
	s_or_b32 exec_lo, exec_lo, s21
	s_and_saveexec_b32 s6, s22
	s_delay_alu instid0(SALU_CYCLE_1)
	s_xor_b32 s6, exec_lo, s6
; %bb.553:
	v_cndmask_b32_e64 v8, v4, v2, s20
	v_cndmask_b32_e64 v9, v5, v3, s20
	;; [unrolled: 1-line block ×4, first 2 shown]
	s_delay_alu instid0(VALU_DEP_3)
	v_dual_mov_b32 v4, v8 :: v_dual_mov_b32 v5, v9
; %bb.554:
	s_or_b32 exec_lo, exec_lo, s6
.LBB634_555:
	s_delay_alu instid0(SALU_CYCLE_1)
	s_or_b32 exec_lo, exec_lo, s17
	s_and_saveexec_b32 s7, s3
	s_cbranch_execz .LBB634_564
; %bb.556:
	s_and_not1_b32 vcc_lo, exec_lo, s16
	s_cbranch_vccnz .LBB634_564
; %bb.557:
	v_mul_lo_u32 v19, v3, s8
	v_mul_lo_u32 v20, v2, s9
	v_mad_u64_u32 v[8:9], null, v2, s8, 0
	v_mul_lo_u32 v21, v1, s8
	v_mul_lo_u32 v22, v0, s9
	v_mad_u64_u32 v[10:11], null, v0, s8, 0
	s_mov_b32 s17, 0
	s_mov_b64 s[12:13], s[8:9]
	s_delay_alu instid0(VALU_DEP_4) | instskip(NEXT) | instid1(VALU_DEP_2)
	v_add3_u32 v9, v9, v20, v19
                                        ; implicit-def: $sgpr20
                                        ; implicit-def: $sgpr21
                                        ; implicit-def: $sgpr23
                                        ; implicit-def: $sgpr22
                                        ; implicit-def: $sgpr24
                                        ; implicit-def: $sgpr25
	v_add3_u32 v11, v11, v22, v21
	s_delay_alu instid0(VALU_DEP_2) | instskip(NEXT) | instid1(VALU_DEP_2)
	v_lshlrev_b64 v[8:9], 1, v[8:9]
	v_lshlrev_b64 v[10:11], 1, v[10:11]
	s_delay_alu instid0(VALU_DEP_2) | instskip(NEXT) | instid1(VALU_DEP_3)
	v_add_co_u32 v8, vcc_lo, s10, v8
	v_add_co_ci_u32_e32 v9, vcc_lo, s11, v9, vcc_lo
	s_delay_alu instid0(VALU_DEP_3) | instskip(NEXT) | instid1(VALU_DEP_4)
	v_add_co_u32 v10, vcc_lo, s10, v10
	v_add_co_ci_u32_e32 v11, vcc_lo, s11, v11, vcc_lo
	s_set_inst_prefetch_distance 0x1
	s_branch .LBB634_559
	.p2align	6
.LBB634_558:                            ;   in Loop: Header=BB634_559 Depth=1
	s_or_b32 exec_lo, exec_lo, s26
	s_delay_alu instid0(SALU_CYCLE_1) | instskip(NEXT) | instid1(SALU_CYCLE_1)
	s_and_b32 s6, exec_lo, s23
	s_or_b32 s17, s6, s17
	s_and_not1_b32 s6, s25, exec_lo
	s_and_b32 s25, s24, exec_lo
	s_and_not1_b32 s21, s21, exec_lo
	s_or_b32 s25, s6, s25
	s_and_b32 s6, s22, exec_lo
	s_and_not1_b32 s20, s20, exec_lo
	s_and_b32 s3, s3, exec_lo
	s_or_b32 s21, s21, s6
	s_or_b32 s20, s20, s3
	s_and_not1_b32 exec_lo, exec_lo, s17
	s_cbranch_execz .LBB634_561
.LBB634_559:                            ; =>This Inner Loop Header: Depth=1
	global_load_u16 v19, v[8:9], off
	global_load_u16 v20, v[10:11], off
	s_and_not1_b32 s24, s24, exec_lo
	s_or_b32 s22, s22, exec_lo
	s_or_b32 s23, s23, exec_lo
	s_waitcnt vmcnt(0)
	v_cmp_le_i16_e32 vcc_lo, v19, v20
	v_cmp_lt_i16_e64 s3, v19, v20
	s_and_b32 s26, vcc_lo, s25
	s_delay_alu instid0(VALU_DEP_1) | instid1(SALU_CYCLE_1)
	s_or_b32 s3, s3, s26
	s_mov_b32 s26, exec_lo
	v_cmpx_eq_u16_e64 v19, v20
	s_cbranch_execz .LBB634_558
; %bb.560:                              ;   in Loop: Header=BB634_559 Depth=1
	s_add_u32 s12, s12, -1
	s_addc_u32 s13, s13, -1
	v_add_co_u32 v8, vcc_lo, v8, 2
	s_cmp_eq_u64 s[12:13], 0
	v_add_co_ci_u32_e32 v9, vcc_lo, 0, v9, vcc_lo
	v_add_co_u32 v10, vcc_lo, v10, 2
	s_cselect_b32 s6, -1, 0
	v_add_co_ci_u32_e32 v11, vcc_lo, 0, v11, vcc_lo
	s_and_not1_b32 s24, s24, exec_lo
	s_and_b32 s25, s3, exec_lo
	s_and_not1_b32 s23, s23, exec_lo
	s_and_b32 s6, s6, exec_lo
	s_or_b32 s24, s24, s25
	s_and_not1_b32 s22, s22, exec_lo
	s_or_b32 s23, s23, s6
                                        ; implicit-def: $sgpr25
	s_branch .LBB634_558
.LBB634_561:
	s_set_inst_prefetch_distance 0x2
	s_or_b32 exec_lo, exec_lo, s17
	s_and_saveexec_b32 s3, s21
	s_delay_alu instid0(SALU_CYCLE_1)
	s_xor_b32 s3, exec_lo, s3
; %bb.562:
	v_cndmask_b32_e64 v28, v0, v2, s20
	v_cndmask_b32_e64 v31, v3, v1, s20
	;; [unrolled: 1-line block ×4, first 2 shown]
	v_dual_mov_b32 v32, v4 :: v_dual_mov_b32 v33, v5
	v_dual_mov_b32 v34, v6 :: v_dual_mov_b32 v35, v7
	s_delay_alu instid0(VALU_DEP_3) | instskip(SKIP_1) | instid1(VALU_DEP_4)
	v_dual_mov_b32 v0, v28 :: v_dual_mov_b32 v1, v29
	v_dual_mov_b32 v2, v30 :: v_dual_mov_b32 v3, v31
	;; [unrolled: 1-line block ×3, first 2 shown]
	s_delay_alu instid0(VALU_DEP_4)
	v_dual_mov_b32 v6, v34 :: v_dual_mov_b32 v7, v35
; %bb.563:
	s_or_b32 exec_lo, exec_lo, s3
.LBB634_564:
	s_delay_alu instid0(SALU_CYCLE_1)
	s_or_b32 exec_lo, exec_lo, s7
	s_and_saveexec_b32 s12, s4
	s_cbranch_execz .LBB634_573
; %bb.565:
	s_and_not1_b32 vcc_lo, exec_lo, s16
	s_cbranch_vccnz .LBB634_573
; %bb.566:
	v_mul_lo_u32 v19, v7, s8
	v_mul_lo_u32 v20, v6, s9
	v_mad_u64_u32 v[8:9], null, v6, s8, 0
	v_mul_lo_u32 v21, v5, s8
	v_mul_lo_u32 v22, v4, s9
	v_mad_u64_u32 v[10:11], null, v4, s8, 0
	s_mov_b32 s17, 0
	s_mov_b64 s[6:7], s[8:9]
	s_delay_alu instid0(VALU_DEP_4) | instskip(NEXT) | instid1(VALU_DEP_2)
	v_add3_u32 v9, v9, v20, v19
                                        ; implicit-def: $sgpr13
                                        ; implicit-def: $sgpr20
                                        ; implicit-def: $sgpr22
                                        ; implicit-def: $sgpr21
                                        ; implicit-def: $sgpr23
                                        ; implicit-def: $sgpr24
	v_add3_u32 v11, v11, v22, v21
	s_delay_alu instid0(VALU_DEP_2) | instskip(NEXT) | instid1(VALU_DEP_2)
	v_lshlrev_b64 v[8:9], 1, v[8:9]
	v_lshlrev_b64 v[10:11], 1, v[10:11]
	s_delay_alu instid0(VALU_DEP_2) | instskip(NEXT) | instid1(VALU_DEP_3)
	v_add_co_u32 v8, vcc_lo, s10, v8
	v_add_co_ci_u32_e32 v9, vcc_lo, s11, v9, vcc_lo
	s_delay_alu instid0(VALU_DEP_3) | instskip(NEXT) | instid1(VALU_DEP_4)
	v_add_co_u32 v10, vcc_lo, s10, v10
	v_add_co_ci_u32_e32 v11, vcc_lo, s11, v11, vcc_lo
	s_set_inst_prefetch_distance 0x1
	s_branch .LBB634_568
	.p2align	6
.LBB634_567:                            ;   in Loop: Header=BB634_568 Depth=1
	s_or_b32 exec_lo, exec_lo, s25
	s_delay_alu instid0(SALU_CYCLE_1) | instskip(NEXT) | instid1(SALU_CYCLE_1)
	s_and_b32 s4, exec_lo, s22
	s_or_b32 s17, s4, s17
	s_and_not1_b32 s4, s24, exec_lo
	s_and_b32 s24, s23, exec_lo
	s_and_not1_b32 s20, s20, exec_lo
	s_or_b32 s24, s4, s24
	s_and_b32 s4, s21, exec_lo
	s_and_not1_b32 s13, s13, exec_lo
	s_and_b32 s3, s3, exec_lo
	s_or_b32 s20, s20, s4
	s_or_b32 s13, s13, s3
	s_and_not1_b32 exec_lo, exec_lo, s17
	s_cbranch_execz .LBB634_570
.LBB634_568:                            ; =>This Inner Loop Header: Depth=1
	global_load_u16 v19, v[8:9], off
	global_load_u16 v20, v[10:11], off
	s_and_not1_b32 s23, s23, exec_lo
	s_or_b32 s21, s21, exec_lo
	s_or_b32 s22, s22, exec_lo
	s_waitcnt vmcnt(0)
	v_cmp_le_i16_e32 vcc_lo, v19, v20
	v_cmp_lt_i16_e64 s3, v19, v20
	s_and_b32 s25, vcc_lo, s24
	s_delay_alu instid0(VALU_DEP_1) | instid1(SALU_CYCLE_1)
	s_or_b32 s3, s3, s25
	s_mov_b32 s25, exec_lo
	v_cmpx_eq_u16_e64 v19, v20
	s_cbranch_execz .LBB634_567
; %bb.569:                              ;   in Loop: Header=BB634_568 Depth=1
	s_add_u32 s6, s6, -1
	s_addc_u32 s7, s7, -1
	v_add_co_u32 v8, vcc_lo, v8, 2
	s_cmp_eq_u64 s[6:7], 0
	v_add_co_ci_u32_e32 v9, vcc_lo, 0, v9, vcc_lo
	v_add_co_u32 v10, vcc_lo, v10, 2
	s_cselect_b32 s4, -1, 0
	v_add_co_ci_u32_e32 v11, vcc_lo, 0, v11, vcc_lo
	s_and_not1_b32 s23, s23, exec_lo
	s_and_b32 s24, s3, exec_lo
	s_and_not1_b32 s22, s22, exec_lo
	s_and_b32 s4, s4, exec_lo
	s_or_b32 s23, s23, s24
	s_and_not1_b32 s21, s21, exec_lo
	s_or_b32 s22, s22, s4
                                        ; implicit-def: $sgpr24
	s_branch .LBB634_567
.LBB634_570:
	s_set_inst_prefetch_distance 0x2
	s_or_b32 exec_lo, exec_lo, s17
	s_and_saveexec_b32 s3, s20
	s_delay_alu instid0(SALU_CYCLE_1)
	s_xor_b32 s3, exec_lo, s3
; %bb.571:
	v_cndmask_b32_e64 v8, v6, v4, s13
	v_cndmask_b32_e64 v9, v7, v5, s13
	;; [unrolled: 1-line block ×4, first 2 shown]
	s_delay_alu instid0(VALU_DEP_3)
	v_dual_mov_b32 v6, v8 :: v_dual_mov_b32 v7, v9
; %bb.572:
	s_or_b32 exec_lo, exec_lo, s3
.LBB634_573:
	s_delay_alu instid0(SALU_CYCLE_1)
	s_or_b32 exec_lo, exec_lo, s12
	s_and_saveexec_b32 s12, s5
	s_cbranch_execz .LBB634_582
; %bb.574:
	s_and_not1_b32 vcc_lo, exec_lo, s16
	s_cbranch_vccnz .LBB634_582
; %bb.575:
	v_mul_lo_u32 v19, v5, s8
	v_mul_lo_u32 v20, v4, s9
	v_mad_u64_u32 v[8:9], null, v4, s8, 0
	v_mul_lo_u32 v21, v3, s8
	v_mul_lo_u32 v22, v2, s9
	v_mad_u64_u32 v[10:11], null, v2, s8, 0
	s_mov_b32 s13, 0
	s_mov_b64 s[6:7], s[8:9]
	s_delay_alu instid0(VALU_DEP_4) | instskip(NEXT) | instid1(VALU_DEP_2)
	v_add3_u32 v9, v9, v20, v19
                                        ; implicit-def: $sgpr5
                                        ; implicit-def: $sgpr17
                                        ; implicit-def: $sgpr21
                                        ; implicit-def: $sgpr20
                                        ; implicit-def: $sgpr22
                                        ; implicit-def: $sgpr23
	v_add3_u32 v11, v11, v22, v21
	s_delay_alu instid0(VALU_DEP_2) | instskip(NEXT) | instid1(VALU_DEP_2)
	v_lshlrev_b64 v[8:9], 1, v[8:9]
	v_lshlrev_b64 v[10:11], 1, v[10:11]
	s_delay_alu instid0(VALU_DEP_2) | instskip(NEXT) | instid1(VALU_DEP_3)
	v_add_co_u32 v8, vcc_lo, s10, v8
	v_add_co_ci_u32_e32 v9, vcc_lo, s11, v9, vcc_lo
	s_delay_alu instid0(VALU_DEP_3) | instskip(NEXT) | instid1(VALU_DEP_4)
	v_add_co_u32 v10, vcc_lo, s10, v10
	v_add_co_ci_u32_e32 v11, vcc_lo, s11, v11, vcc_lo
	s_set_inst_prefetch_distance 0x1
	s_branch .LBB634_577
	.p2align	6
.LBB634_576:                            ;   in Loop: Header=BB634_577 Depth=1
	s_or_b32 exec_lo, exec_lo, s24
	s_delay_alu instid0(SALU_CYCLE_1) | instskip(NEXT) | instid1(SALU_CYCLE_1)
	s_and_b32 s4, exec_lo, s21
	s_or_b32 s13, s4, s13
	s_and_not1_b32 s4, s23, exec_lo
	s_and_b32 s23, s22, exec_lo
	s_and_not1_b32 s17, s17, exec_lo
	s_or_b32 s23, s4, s23
	s_and_b32 s4, s20, exec_lo
	s_and_not1_b32 s5, s5, exec_lo
	s_and_b32 s3, s3, exec_lo
	s_or_b32 s17, s17, s4
	s_or_b32 s5, s5, s3
	s_and_not1_b32 exec_lo, exec_lo, s13
	s_cbranch_execz .LBB634_579
.LBB634_577:                            ; =>This Inner Loop Header: Depth=1
	global_load_u16 v19, v[8:9], off
	global_load_u16 v20, v[10:11], off
	s_and_not1_b32 s22, s22, exec_lo
	s_or_b32 s20, s20, exec_lo
	s_or_b32 s21, s21, exec_lo
	s_waitcnt vmcnt(0)
	v_cmp_le_i16_e32 vcc_lo, v19, v20
	v_cmp_lt_i16_e64 s3, v19, v20
	s_and_b32 s24, vcc_lo, s23
	s_delay_alu instid0(VALU_DEP_1) | instid1(SALU_CYCLE_1)
	s_or_b32 s3, s3, s24
	s_mov_b32 s24, exec_lo
	v_cmpx_eq_u16_e64 v19, v20
	s_cbranch_execz .LBB634_576
; %bb.578:                              ;   in Loop: Header=BB634_577 Depth=1
	s_add_u32 s6, s6, -1
	s_addc_u32 s7, s7, -1
	v_add_co_u32 v8, vcc_lo, v8, 2
	s_cmp_eq_u64 s[6:7], 0
	v_add_co_ci_u32_e32 v9, vcc_lo, 0, v9, vcc_lo
	v_add_co_u32 v10, vcc_lo, v10, 2
	s_cselect_b32 s4, -1, 0
	v_add_co_ci_u32_e32 v11, vcc_lo, 0, v11, vcc_lo
	s_and_not1_b32 s22, s22, exec_lo
	s_and_b32 s23, s3, exec_lo
	s_and_not1_b32 s21, s21, exec_lo
	s_and_b32 s4, s4, exec_lo
	s_or_b32 s22, s22, s23
	s_and_not1_b32 s20, s20, exec_lo
	s_or_b32 s21, s21, s4
                                        ; implicit-def: $sgpr23
	s_branch .LBB634_576
.LBB634_579:
	s_set_inst_prefetch_distance 0x2
	s_or_b32 exec_lo, exec_lo, s13
	s_and_saveexec_b32 s3, s17
	s_delay_alu instid0(SALU_CYCLE_1)
	s_xor_b32 s3, exec_lo, s3
; %bb.580:
	v_cndmask_b32_e64 v8, v4, v2, s5
	v_cndmask_b32_e64 v9, v5, v3, s5
	;; [unrolled: 1-line block ×4, first 2 shown]
	s_delay_alu instid0(VALU_DEP_3)
	v_dual_mov_b32 v4, v8 :: v_dual_mov_b32 v5, v9
; %bb.581:
	s_or_b32 exec_lo, exec_lo, s3
.LBB634_582:
	s_delay_alu instid0(SALU_CYCLE_1) | instskip(SKIP_4) | instid1(VALU_DEP_2)
	s_or_b32 exec_lo, exec_lo, s12
	v_mbcnt_lo_u32_b32 v8, -1, 0
	v_and_b32_e32 v9, 0xffffff80, v18
	s_mov_b32 s12, 0
	s_mov_b32 s13, exec_lo
	v_lshlrev_b32_e32 v20, 2, v8
	s_delay_alu instid0(VALU_DEP_2) | instskip(SKIP_1) | instid1(VALU_DEP_3)
	v_sub_nc_u32_e64 v19, s18, v9 clamp
	v_lshlrev_b32_e32 v18, 3, v9
	v_or_b32_e32 v10, 4, v20
	v_and_b32_e32 v11, 4, v20
	v_and_b32_e32 v28, 0x78, v20
	s_delay_alu instid0(VALU_DEP_4)
	v_lshl_or_b32 v21, v8, 5, v18
	ds_store_b128 v21, v[0:3]
	ds_store_b128 v21, v[4:7] offset:16
	v_min_u32_e32 v22, v19, v10
	v_min_u32_e32 v29, v19, v11
	v_lshl_or_b32 v25, v28, 3, v18
	; wave barrier
	s_delay_alu instid0(VALU_DEP_3) | instskip(SKIP_1) | instid1(VALU_DEP_2)
	v_add_nc_u32_e32 v10, 4, v22
	v_sub_nc_u32_e32 v11, v22, v28
	v_min_u32_e32 v23, v19, v10
	s_delay_alu instid0(VALU_DEP_2) | instskip(NEXT) | instid1(VALU_DEP_2)
	v_min_u32_e32 v30, v29, v11
	v_sub_nc_u32_e32 v10, v23, v22
	s_delay_alu instid0(VALU_DEP_1) | instskip(NEXT) | instid1(VALU_DEP_1)
	v_sub_nc_u32_e64 v24, v29, v10 clamp
	v_cmpx_lt_u32_e64 v24, v30
	s_cbranch_execz .LBB634_593
; %bb.583:
	v_lshlrev_b32_e32 v8, 3, v22
	v_lshlrev_b32_e32 v9, 3, v29
	s_lshl_b64 s[4:5], s[8:9], 1
	s_delay_alu instid0(VALU_DEP_1)
	v_add3_u32 v31, v18, v8, v9
	s_branch .LBB634_586
.LBB634_584:                            ;   in Loop: Header=BB634_586 Depth=1
	s_set_inst_prefetch_distance 0x2
	s_or_b32 exec_lo, exec_lo, s17
.LBB634_585:                            ;   in Loop: Header=BB634_586 Depth=1
	s_delay_alu instid0(VALU_DEP_1) | instskip(SKIP_1) | instid1(VALU_DEP_2)
	v_add_nc_u32_e32 v8, 1, v32
	v_cndmask_b32_e64 v30, v30, v32, s20
	v_cndmask_b32_e64 v24, v8, v24, s20
	s_delay_alu instid0(VALU_DEP_1) | instskip(SKIP_1) | instid1(SALU_CYCLE_1)
	v_cmp_ge_u32_e32 vcc_lo, v24, v30
	s_or_b32 s12, vcc_lo, s12
	s_and_not1_b32 exec_lo, exec_lo, s12
	s_cbranch_execz .LBB634_592
.LBB634_586:                            ; =>This Loop Header: Depth=1
                                        ;     Child Loop BB634_589 Depth 2
	v_add_nc_u32_e32 v8, v30, v24
	s_and_not1_b32 vcc_lo, exec_lo, s16
	s_delay_alu instid0(VALU_DEP_1)
	v_lshrrev_b32_e32 v32, 1, v8
	s_cbranch_vccnz .LBB634_591
; %bb.587:                              ;   in Loop: Header=BB634_586 Depth=1
	s_delay_alu instid0(VALU_DEP_1) | instskip(SKIP_3) | instid1(VALU_DEP_2)
	v_not_b32_e32 v8, v32
	v_lshl_add_u32 v9, v32, 3, v25
	s_mov_b32 s17, 0
	s_mov_b64 s[6:7], s[8:9]
                                        ; implicit-def: $sgpr20
                                        ; implicit-def: $sgpr21
                                        ; implicit-def: $sgpr22
                                        ; implicit-def: $sgpr23
                                        ; implicit-def: $sgpr24
	v_lshl_add_u32 v8, v8, 3, v31
	ds_load_b64 v[10:11], v8
	ds_load_b64 v[33:34], v9
	s_waitcnt lgkmcnt(1)
	v_mul_lo_u32 v35, s4, v11
	v_mul_lo_u32 v36, s5, v10
	v_mad_u64_u32 v[8:9], null, s4, v10, s[10:11]
	s_waitcnt lgkmcnt(0)
	v_mul_lo_u32 v34, s4, v34
	v_mul_lo_u32 v37, s5, v33
	v_mad_u64_u32 v[10:11], null, s4, v33, s[10:11]
	s_delay_alu instid0(VALU_DEP_4) | instskip(NEXT) | instid1(VALU_DEP_2)
	v_add3_u32 v9, v36, v9, v35
	v_add3_u32 v11, v37, v11, v34
	s_set_inst_prefetch_distance 0x1
	s_branch .LBB634_589
	.p2align	6
.LBB634_588:                            ;   in Loop: Header=BB634_589 Depth=2
	s_or_b32 exec_lo, exec_lo, s3
	s_delay_alu instid0(SALU_CYCLE_1) | instskip(NEXT) | instid1(SALU_CYCLE_1)
	s_and_b32 s3, exec_lo, s21
	s_or_b32 s17, s3, s17
	s_and_not1_b32 s3, s24, exec_lo
	s_and_b32 s24, s22, exec_lo
	s_and_not1_b32 s20, s20, exec_lo
	s_and_b32 s25, s23, exec_lo
	s_or_b32 s24, s3, s24
	s_or_b32 s20, s20, s25
	s_and_not1_b32 exec_lo, exec_lo, s17
	s_cbranch_execz .LBB634_584
.LBB634_589:                            ;   Parent Loop BB634_586 Depth=1
                                        ; =>  This Inner Loop Header: Depth=2
	global_load_u16 v33, v[8:9], off
	global_load_u16 v34, v[10:11], off
	s_and_not1_b32 s23, s23, exec_lo
	s_and_not1_b32 s22, s22, exec_lo
	s_or_b32 s21, s21, exec_lo
	s_waitcnt vmcnt(0)
	v_cmp_le_i16_e32 vcc_lo, v33, v34
	v_cmp_lt_i16_e64 s3, v33, v34
	s_and_b32 s25, vcc_lo, s24
	s_delay_alu instid0(VALU_DEP_1) | instid1(SALU_CYCLE_1)
	s_or_b32 s25, s3, s25
	s_delay_alu instid0(SALU_CYCLE_1) | instskip(NEXT) | instid1(SALU_CYCLE_1)
	s_and_b32 s3, s25, exec_lo
	s_or_b32 s23, s23, s3
	s_mov_b32 s3, exec_lo
	v_cmpx_eq_u16_e64 v33, v34
	s_cbranch_execz .LBB634_588
; %bb.590:                              ;   in Loop: Header=BB634_589 Depth=2
	s_add_u32 s6, s6, -1
	s_addc_u32 s7, s7, -1
	v_add_co_u32 v8, vcc_lo, v8, 2
	s_cmp_eq_u64 s[6:7], 0
	v_add_co_ci_u32_e32 v9, vcc_lo, 0, v9, vcc_lo
	s_cselect_b32 s24, -1, 0
	v_add_co_u32 v10, vcc_lo, v10, 2
	s_and_not1_b32 s22, s22, exec_lo
	s_and_b32 s25, s25, exec_lo
	s_and_not1_b32 s21, s21, exec_lo
	s_and_b32 s24, s24, exec_lo
	v_add_co_ci_u32_e32 v11, vcc_lo, 0, v11, vcc_lo
	s_and_not1_b32 s23, s23, exec_lo
	s_or_b32 s22, s22, s25
	s_or_b32 s21, s21, s24
                                        ; implicit-def: $sgpr24
	s_branch .LBB634_588
.LBB634_591:                            ;   in Loop: Header=BB634_586 Depth=1
	s_mov_b32 s20, 0
	s_branch .LBB634_585
.LBB634_592:
	s_or_b32 exec_lo, exec_lo, s12
.LBB634_593:
	s_delay_alu instid0(SALU_CYCLE_1) | instskip(SKIP_2) | instid1(VALU_DEP_2)
	s_or_b32 exec_lo, exec_lo, s13
	v_add_nc_u32_e32 v9, v22, v29
	v_add_nc_u32_e32 v8, v24, v28
	v_sub_nc_u32_e32 v9, v9, v24
	s_delay_alu instid0(VALU_DEP_2) | instskip(NEXT) | instid1(VALU_DEP_2)
	v_cmp_le_u32_e32 vcc_lo, v8, v22
	v_cmp_le_u32_e64 s3, v9, v23
	s_delay_alu instid0(VALU_DEP_1) | instskip(NEXT) | instid1(SALU_CYCLE_1)
	s_or_b32 s3, vcc_lo, s3
	s_and_saveexec_b32 s6, s3
	s_cbranch_execz .LBB634_640
; %bb.594:
	v_cmp_ge_u32_e32 vcc_lo, v8, v22
	s_mov_b32 s4, exec_lo
                                        ; implicit-def: $vgpr0_vgpr1
	v_cmpx_lt_u32_e64 v8, v22
	s_cbranch_execz .LBB634_596
; %bb.595:
	v_lshl_add_u32 v0, v24, 3, v25
	ds_load_b64 v[0:1], v0
.LBB634_596:
	s_or_b32 exec_lo, exec_lo, s4
	v_cmp_ge_u32_e64 s7, v9, v23
	s_mov_b32 s4, exec_lo
                                        ; implicit-def: $vgpr2_vgpr3
	v_cmpx_lt_u32_e64 v9, v23
	s_cbranch_execz .LBB634_598
; %bb.597:
	v_lshl_add_u32 v2, v9, 3, v18
	ds_load_b64 v[2:3], v2
.LBB634_598:
	s_or_b32 exec_lo, exec_lo, s4
	s_or_b32 s3, vcc_lo, s7
	s_mov_b32 s12, -1
	s_xor_b32 s3, s3, -1
	s_delay_alu instid0(SALU_CYCLE_1)
	s_and_saveexec_b32 s13, s3
	s_cbranch_execz .LBB634_607
; %bb.599:
	s_and_not1_b32 vcc_lo, exec_lo, s16
	s_cbranch_vccnz .LBB634_605
; %bb.600:
	s_waitcnt lgkmcnt(0)
	v_mul_lo_u32 v10, v3, s8
	v_mul_lo_u32 v11, v2, s9
	v_mad_u64_u32 v[4:5], null, v2, s8, 0
	v_mul_lo_u32 v24, v1, s8
	v_mul_lo_u32 v25, v0, s9
	v_mad_u64_u32 v[6:7], null, v0, s8, 0
	s_mov_b32 s17, 0
	s_mov_b64 s[4:5], s[8:9]
	s_delay_alu instid0(VALU_DEP_4) | instskip(NEXT) | instid1(VALU_DEP_2)
	v_add3_u32 v5, v5, v11, v10
                                        ; implicit-def: $sgpr20
                                        ; implicit-def: $sgpr21
                                        ; implicit-def: $sgpr22
                                        ; implicit-def: $sgpr23
                                        ; implicit-def: $sgpr24
	v_add3_u32 v7, v7, v25, v24
	s_delay_alu instid0(VALU_DEP_2) | instskip(NEXT) | instid1(VALU_DEP_2)
	v_lshlrev_b64 v[4:5], 1, v[4:5]
	v_lshlrev_b64 v[6:7], 1, v[6:7]
	s_delay_alu instid0(VALU_DEP_2) | instskip(NEXT) | instid1(VALU_DEP_3)
	v_add_co_u32 v4, vcc_lo, s10, v4
	v_add_co_ci_u32_e32 v5, vcc_lo, s11, v5, vcc_lo
	s_delay_alu instid0(VALU_DEP_3) | instskip(NEXT) | instid1(VALU_DEP_4)
	v_add_co_u32 v6, vcc_lo, s10, v6
	v_add_co_ci_u32_e32 v7, vcc_lo, s11, v7, vcc_lo
	s_set_inst_prefetch_distance 0x1
	s_branch .LBB634_602
	.p2align	6
.LBB634_601:                            ;   in Loop: Header=BB634_602 Depth=1
	s_or_b32 exec_lo, exec_lo, s3
	s_delay_alu instid0(SALU_CYCLE_1) | instskip(NEXT) | instid1(SALU_CYCLE_1)
	s_and_b32 s3, exec_lo, s21
	s_or_b32 s17, s3, s17
	s_and_not1_b32 s3, s24, exec_lo
	s_and_b32 s24, s23, exec_lo
	s_and_not1_b32 s20, s20, exec_lo
	s_and_b32 s25, s22, exec_lo
	s_or_b32 s24, s3, s24
	s_or_b32 s20, s20, s25
	s_and_not1_b32 exec_lo, exec_lo, s17
	s_cbranch_execz .LBB634_604
.LBB634_602:                            ; =>This Inner Loop Header: Depth=1
	global_load_u16 v10, v[4:5], off
	global_load_u16 v11, v[6:7], off
	s_and_not1_b32 s22, s22, exec_lo
	s_and_not1_b32 s23, s23, exec_lo
	s_or_b32 s21, s21, exec_lo
	s_waitcnt vmcnt(0)
	v_cmp_le_i16_e32 vcc_lo, v10, v11
	v_cmp_lt_i16_e64 s3, v10, v11
	s_and_b32 s25, vcc_lo, s24
	s_delay_alu instid0(VALU_DEP_1) | instid1(SALU_CYCLE_1)
	s_or_b32 s25, s3, s25
	s_delay_alu instid0(SALU_CYCLE_1) | instskip(NEXT) | instid1(SALU_CYCLE_1)
	s_and_b32 s3, s25, exec_lo
	s_or_b32 s22, s22, s3
	s_mov_b32 s3, exec_lo
	v_cmpx_eq_u16_e64 v10, v11
	s_cbranch_execz .LBB634_601
; %bb.603:                              ;   in Loop: Header=BB634_602 Depth=1
	s_add_u32 s4, s4, -1
	s_addc_u32 s5, s5, -1
	v_add_co_u32 v4, vcc_lo, v4, 2
	s_cmp_eq_u64 s[4:5], 0
	v_add_co_ci_u32_e32 v5, vcc_lo, 0, v5, vcc_lo
	s_cselect_b32 s24, -1, 0
	s_and_not1_b32 s23, s23, exec_lo
	s_and_b32 s25, s25, exec_lo
	v_add_co_u32 v6, vcc_lo, v6, 2
	s_and_not1_b32 s21, s21, exec_lo
	s_and_b32 s24, s24, exec_lo
	v_add_co_ci_u32_e32 v7, vcc_lo, 0, v7, vcc_lo
	s_or_b32 s23, s23, s25
	s_and_not1_b32 s22, s22, exec_lo
	s_or_b32 s21, s21, s24
                                        ; implicit-def: $sgpr24
	s_branch .LBB634_601
.LBB634_604:
	s_set_inst_prefetch_distance 0x2
	s_or_b32 exec_lo, exec_lo, s17
	s_xor_b32 s3, s20, -1
	s_branch .LBB634_606
.LBB634_605:
	s_mov_b32 s3, -1
.LBB634_606:
	s_and_not1_b32 s4, s7, exec_lo
	s_and_b32 s3, s3, exec_lo
	s_delay_alu instid0(SALU_CYCLE_1)
	s_or_b32 s7, s4, s3
.LBB634_607:
	s_or_b32 exec_lo, exec_lo, s13
	v_cndmask_b32_e64 v4, v9, v8, s7
	v_cndmask_b32_e64 v5, v23, v22, s7
	s_mov_b32 s13, exec_lo
	s_delay_alu instid0(VALU_DEP_2) | instskip(NEXT) | instid1(VALU_DEP_2)
	v_add_nc_u32_e32 v6, 1, v4
	v_add_nc_u32_e32 v4, -1, v5
	s_delay_alu instid0(VALU_DEP_2) | instskip(NEXT) | instid1(VALU_DEP_2)
	v_cndmask_b32_e64 v9, v6, v9, s7
	v_min_u32_e32 v4, v6, v4
	v_cndmask_b32_e64 v8, v8, v6, s7
	s_delay_alu instid0(VALU_DEP_2)
	v_lshl_add_u32 v4, v4, 3, v18
	ds_load_b64 v[4:5], v4
	s_waitcnt lgkmcnt(0)
	v_cndmask_b32_e64 v24, v5, v3, s7
	v_cndmask_b32_e64 v25, v4, v2, s7
	;; [unrolled: 1-line block ×4, first 2 shown]
	v_cmpx_lt_u32_e64 v9, v23
	s_cbranch_execz .LBB634_618
; %bb.608:
	s_mov_b32 s3, 0
	s_mov_b32 s12, exec_lo
	v_cmpx_lt_u32_e64 v8, v22
	s_cbranch_execz .LBB634_617
; %bb.609:
	s_and_not1_b32 vcc_lo, exec_lo, s16
	s_cbranch_vccnz .LBB634_615
; %bb.610:
	v_mul_lo_u32 v10, v24, s8
	v_mul_lo_u32 v11, v25, s9
	v_mad_u64_u32 v[4:5], null, v25, s8, 0
	v_mul_lo_u32 v30, v28, s8
	v_mul_lo_u32 v31, v29, s9
	v_mad_u64_u32 v[6:7], null, v29, s8, 0
	s_mov_b32 s17, 0
	s_mov_b64 s[4:5], s[8:9]
	s_delay_alu instid0(VALU_DEP_4) | instskip(NEXT) | instid1(VALU_DEP_2)
	v_add3_u32 v5, v5, v11, v10
                                        ; implicit-def: $sgpr20
                                        ; implicit-def: $sgpr21
                                        ; implicit-def: $sgpr22
                                        ; implicit-def: $sgpr23
                                        ; implicit-def: $sgpr24
	v_add3_u32 v7, v7, v31, v30
	s_delay_alu instid0(VALU_DEP_2) | instskip(NEXT) | instid1(VALU_DEP_2)
	v_lshlrev_b64 v[4:5], 1, v[4:5]
	v_lshlrev_b64 v[6:7], 1, v[6:7]
	s_delay_alu instid0(VALU_DEP_2) | instskip(NEXT) | instid1(VALU_DEP_3)
	v_add_co_u32 v4, vcc_lo, s10, v4
	v_add_co_ci_u32_e32 v5, vcc_lo, s11, v5, vcc_lo
	s_delay_alu instid0(VALU_DEP_3) | instskip(NEXT) | instid1(VALU_DEP_4)
	v_add_co_u32 v6, vcc_lo, s10, v6
	v_add_co_ci_u32_e32 v7, vcc_lo, s11, v7, vcc_lo
	s_set_inst_prefetch_distance 0x1
	s_branch .LBB634_612
	.p2align	6
.LBB634_611:                            ;   in Loop: Header=BB634_612 Depth=1
	s_or_b32 exec_lo, exec_lo, s3
	s_delay_alu instid0(SALU_CYCLE_1) | instskip(NEXT) | instid1(SALU_CYCLE_1)
	s_and_b32 s3, exec_lo, s21
	s_or_b32 s17, s3, s17
	s_and_not1_b32 s3, s24, exec_lo
	s_and_b32 s24, s23, exec_lo
	s_and_not1_b32 s20, s20, exec_lo
	s_and_b32 s25, s22, exec_lo
	s_or_b32 s24, s3, s24
	s_or_b32 s20, s20, s25
	s_and_not1_b32 exec_lo, exec_lo, s17
	s_cbranch_execz .LBB634_614
.LBB634_612:                            ; =>This Inner Loop Header: Depth=1
	global_load_u16 v10, v[4:5], off
	global_load_u16 v11, v[6:7], off
	s_and_not1_b32 s22, s22, exec_lo
	s_and_not1_b32 s23, s23, exec_lo
	s_or_b32 s21, s21, exec_lo
	s_waitcnt vmcnt(0)
	v_cmp_le_i16_e32 vcc_lo, v10, v11
	v_cmp_lt_i16_e64 s3, v10, v11
	s_and_b32 s25, vcc_lo, s24
	s_delay_alu instid0(VALU_DEP_1) | instid1(SALU_CYCLE_1)
	s_or_b32 s25, s3, s25
	s_delay_alu instid0(SALU_CYCLE_1) | instskip(NEXT) | instid1(SALU_CYCLE_1)
	s_and_b32 s3, s25, exec_lo
	s_or_b32 s22, s22, s3
	s_mov_b32 s3, exec_lo
	v_cmpx_eq_u16_e64 v10, v11
	s_cbranch_execz .LBB634_611
; %bb.613:                              ;   in Loop: Header=BB634_612 Depth=1
	s_add_u32 s4, s4, -1
	s_addc_u32 s5, s5, -1
	v_add_co_u32 v4, vcc_lo, v4, 2
	s_cmp_eq_u64 s[4:5], 0
	v_add_co_ci_u32_e32 v5, vcc_lo, 0, v5, vcc_lo
	v_add_co_u32 v6, vcc_lo, v6, 2
	s_cselect_b32 s24, -1, 0
	v_add_co_ci_u32_e32 v7, vcc_lo, 0, v7, vcc_lo
	s_and_not1_b32 s23, s23, exec_lo
	s_and_b32 s25, s25, exec_lo
	s_and_not1_b32 s21, s21, exec_lo
	s_and_b32 s24, s24, exec_lo
	s_or_b32 s23, s23, s25
	s_and_not1_b32 s22, s22, exec_lo
	s_or_b32 s21, s21, s24
                                        ; implicit-def: $sgpr24
	s_branch .LBB634_611
.LBB634_614:
	s_set_inst_prefetch_distance 0x2
	s_or_b32 exec_lo, exec_lo, s17
	s_xor_b32 s3, s20, -1
	s_branch .LBB634_616
.LBB634_615:
	s_mov_b32 s3, -1
.LBB634_616:
	s_delay_alu instid0(SALU_CYCLE_1)
	s_and_b32 s3, s3, exec_lo
.LBB634_617:
	s_or_b32 exec_lo, exec_lo, s12
	s_delay_alu instid0(SALU_CYCLE_1)
	s_or_not1_b32 s12, s3, exec_lo
.LBB634_618:
	s_or_b32 exec_lo, exec_lo, s13
	v_cndmask_b32_e64 v4, v9, v8, s12
	v_cndmask_b32_e64 v5, v23, v22, s12
	s_mov_b32 s13, -1
	s_mov_b32 s17, exec_lo
	s_delay_alu instid0(VALU_DEP_2) | instskip(NEXT) | instid1(VALU_DEP_2)
	v_add_nc_u32_e32 v6, 1, v4
	v_add_nc_u32_e32 v4, -1, v5
	s_delay_alu instid0(VALU_DEP_2) | instskip(NEXT) | instid1(VALU_DEP_2)
	v_cndmask_b32_e64 v9, v6, v9, s12
	v_min_u32_e32 v4, v6, v4
	v_cndmask_b32_e64 v8, v8, v6, s12
	s_delay_alu instid0(VALU_DEP_2)
	v_lshl_add_u32 v4, v4, 3, v18
	ds_load_b64 v[4:5], v4
	s_waitcnt lgkmcnt(0)
	v_cndmask_b32_e64 v30, v5, v24, s12
	v_cndmask_b32_e64 v31, v4, v25, s12
	;; [unrolled: 1-line block ×4, first 2 shown]
	v_cmpx_lt_u32_e64 v9, v23
	s_cbranch_execz .LBB634_629
; %bb.619:
	s_mov_b32 s3, 0
	s_mov_b32 s13, exec_lo
	v_cmpx_lt_u32_e64 v8, v22
	s_cbranch_execz .LBB634_628
; %bb.620:
	s_and_not1_b32 vcc_lo, exec_lo, s16
	s_cbranch_vccnz .LBB634_626
; %bb.621:
	v_mul_lo_u32 v10, v30, s8
	v_mul_lo_u32 v11, v31, s9
	v_mad_u64_u32 v[4:5], null, v31, s8, 0
	v_mul_lo_u32 v34, v32, s8
	v_mul_lo_u32 v35, v33, s9
	v_mad_u64_u32 v[6:7], null, v33, s8, 0
	s_mov_b32 s20, 0
	s_mov_b64 s[4:5], s[8:9]
	s_delay_alu instid0(VALU_DEP_4) | instskip(NEXT) | instid1(VALU_DEP_2)
	v_add3_u32 v5, v5, v11, v10
                                        ; implicit-def: $sgpr21
                                        ; implicit-def: $sgpr22
                                        ; implicit-def: $sgpr23
                                        ; implicit-def: $sgpr24
                                        ; implicit-def: $sgpr25
	v_add3_u32 v7, v7, v35, v34
	s_delay_alu instid0(VALU_DEP_2) | instskip(NEXT) | instid1(VALU_DEP_2)
	v_lshlrev_b64 v[4:5], 1, v[4:5]
	v_lshlrev_b64 v[6:7], 1, v[6:7]
	s_delay_alu instid0(VALU_DEP_2) | instskip(NEXT) | instid1(VALU_DEP_3)
	v_add_co_u32 v4, vcc_lo, s10, v4
	v_add_co_ci_u32_e32 v5, vcc_lo, s11, v5, vcc_lo
	s_delay_alu instid0(VALU_DEP_3) | instskip(NEXT) | instid1(VALU_DEP_4)
	v_add_co_u32 v6, vcc_lo, s10, v6
	v_add_co_ci_u32_e32 v7, vcc_lo, s11, v7, vcc_lo
	s_set_inst_prefetch_distance 0x1
	s_branch .LBB634_623
	.p2align	6
.LBB634_622:                            ;   in Loop: Header=BB634_623 Depth=1
	s_or_b32 exec_lo, exec_lo, s3
	s_delay_alu instid0(SALU_CYCLE_1) | instskip(NEXT) | instid1(SALU_CYCLE_1)
	s_and_b32 s3, exec_lo, s22
	s_or_b32 s20, s3, s20
	s_and_not1_b32 s3, s25, exec_lo
	s_and_b32 s25, s24, exec_lo
	s_and_not1_b32 s21, s21, exec_lo
	s_and_b32 s26, s23, exec_lo
	s_or_b32 s25, s3, s25
	s_or_b32 s21, s21, s26
	s_and_not1_b32 exec_lo, exec_lo, s20
	s_cbranch_execz .LBB634_625
.LBB634_623:                            ; =>This Inner Loop Header: Depth=1
	global_load_u16 v10, v[4:5], off
	global_load_u16 v11, v[6:7], off
	s_and_not1_b32 s23, s23, exec_lo
	s_and_not1_b32 s24, s24, exec_lo
	s_or_b32 s22, s22, exec_lo
	s_waitcnt vmcnt(0)
	v_cmp_le_i16_e32 vcc_lo, v10, v11
	v_cmp_lt_i16_e64 s3, v10, v11
	s_and_b32 s26, vcc_lo, s25
	s_delay_alu instid0(VALU_DEP_1) | instid1(SALU_CYCLE_1)
	s_or_b32 s26, s3, s26
	s_delay_alu instid0(SALU_CYCLE_1) | instskip(NEXT) | instid1(SALU_CYCLE_1)
	s_and_b32 s3, s26, exec_lo
	s_or_b32 s23, s23, s3
	s_mov_b32 s3, exec_lo
	v_cmpx_eq_u16_e64 v10, v11
	s_cbranch_execz .LBB634_622
; %bb.624:                              ;   in Loop: Header=BB634_623 Depth=1
	s_add_u32 s4, s4, -1
	s_addc_u32 s5, s5, -1
	v_add_co_u32 v4, vcc_lo, v4, 2
	s_cmp_eq_u64 s[4:5], 0
	v_add_co_ci_u32_e32 v5, vcc_lo, 0, v5, vcc_lo
	v_add_co_u32 v6, vcc_lo, v6, 2
	s_cselect_b32 s25, -1, 0
	v_add_co_ci_u32_e32 v7, vcc_lo, 0, v7, vcc_lo
	s_and_not1_b32 s24, s24, exec_lo
	s_and_b32 s26, s26, exec_lo
	s_and_not1_b32 s22, s22, exec_lo
	s_and_b32 s25, s25, exec_lo
	s_or_b32 s24, s24, s26
	s_and_not1_b32 s23, s23, exec_lo
	s_or_b32 s22, s22, s25
                                        ; implicit-def: $sgpr25
	s_branch .LBB634_622
.LBB634_625:
	s_set_inst_prefetch_distance 0x2
	s_or_b32 exec_lo, exec_lo, s20
	s_xor_b32 s3, s21, -1
	s_branch .LBB634_627
.LBB634_626:
	s_mov_b32 s3, -1
.LBB634_627:
	s_delay_alu instid0(SALU_CYCLE_1)
	s_and_b32 s3, s3, exec_lo
.LBB634_628:
	s_or_b32 exec_lo, exec_lo, s13
	s_delay_alu instid0(SALU_CYCLE_1)
	s_or_not1_b32 s13, s3, exec_lo
.LBB634_629:
	s_or_b32 exec_lo, exec_lo, s17
	v_cndmask_b32_e64 v4, v9, v8, s13
	v_cndmask_b32_e64 v5, v23, v22, s13
	s_mov_b32 s17, exec_lo
	s_delay_alu instid0(VALU_DEP_2) | instskip(NEXT) | instid1(VALU_DEP_2)
	v_add_nc_u32_e32 v10, 1, v4
	v_add_nc_u32_e32 v4, -1, v5
	s_delay_alu instid0(VALU_DEP_2) | instskip(NEXT) | instid1(VALU_DEP_2)
	v_cndmask_b32_e64 v9, v10, v9, s13
	v_min_u32_e32 v4, v10, v4
	s_delay_alu instid0(VALU_DEP_1)
	v_lshl_add_u32 v4, v4, 3, v18
	ds_load_b64 v[4:5], v4
	s_waitcnt lgkmcnt(0)
	v_cndmask_b32_e64 v7, v32, v5, s13
	v_cndmask_b32_e64 v6, v33, v4, s13
	v_cmpx_lt_u32_e64 v9, v23
	s_cbranch_execz .LBB634_639
; %bb.630:
	v_cndmask_b32_e64 v8, v8, v10, s13
	v_cndmask_b32_e64 v5, v5, v30, s13
	;; [unrolled: 1-line block ×3, first 2 shown]
	s_mov_b32 s20, exec_lo
	s_delay_alu instid0(VALU_DEP_3)
	v_cmpx_lt_u32_e64 v8, v22
	s_cbranch_execz .LBB634_638
; %bb.631:
	s_and_not1_b32 vcc_lo, exec_lo, s16
	s_cbranch_vccnz .LBB634_637
; %bb.632:
	v_mul_lo_u32 v22, v5, s8
	v_mul_lo_u32 v23, v4, s9
	v_mad_u64_u32 v[8:9], null, v4, s8, 0
	v_mul_lo_u32 v34, v7, s8
	v_mul_lo_u32 v35, v6, s9
	v_mad_u64_u32 v[10:11], null, v6, s8, 0
	s_mov_b32 s21, 0
	s_mov_b64 s[4:5], s[8:9]
	s_delay_alu instid0(VALU_DEP_4) | instskip(NEXT) | instid1(VALU_DEP_2)
	v_add3_u32 v9, v9, v23, v22
                                        ; implicit-def: $sgpr22
                                        ; implicit-def: $sgpr23
                                        ; implicit-def: $sgpr24
                                        ; implicit-def: $sgpr25
                                        ; implicit-def: $sgpr26
	v_add3_u32 v11, v11, v35, v34
	s_delay_alu instid0(VALU_DEP_2) | instskip(NEXT) | instid1(VALU_DEP_2)
	v_lshlrev_b64 v[8:9], 1, v[8:9]
	v_lshlrev_b64 v[10:11], 1, v[10:11]
	s_delay_alu instid0(VALU_DEP_2) | instskip(NEXT) | instid1(VALU_DEP_3)
	v_add_co_u32 v8, vcc_lo, s10, v8
	v_add_co_ci_u32_e32 v9, vcc_lo, s11, v9, vcc_lo
	s_delay_alu instid0(VALU_DEP_3) | instskip(NEXT) | instid1(VALU_DEP_4)
	v_add_co_u32 v10, vcc_lo, s10, v10
	v_add_co_ci_u32_e32 v11, vcc_lo, s11, v11, vcc_lo
	s_set_inst_prefetch_distance 0x1
	s_branch .LBB634_634
	.p2align	6
.LBB634_633:                            ;   in Loop: Header=BB634_634 Depth=1
	s_or_b32 exec_lo, exec_lo, s3
	s_delay_alu instid0(SALU_CYCLE_1) | instskip(NEXT) | instid1(SALU_CYCLE_1)
	s_and_b32 s3, exec_lo, s23
	s_or_b32 s21, s3, s21
	s_and_not1_b32 s3, s26, exec_lo
	s_and_b32 s26, s25, exec_lo
	s_and_not1_b32 s22, s22, exec_lo
	s_and_b32 s27, s24, exec_lo
	s_or_b32 s26, s3, s26
	s_or_b32 s22, s22, s27
	s_and_not1_b32 exec_lo, exec_lo, s21
	s_cbranch_execz .LBB634_636
.LBB634_634:                            ; =>This Inner Loop Header: Depth=1
	global_load_u16 v22, v[8:9], off
	global_load_u16 v23, v[10:11], off
	s_and_not1_b32 s24, s24, exec_lo
	s_and_not1_b32 s25, s25, exec_lo
	s_or_b32 s23, s23, exec_lo
	s_waitcnt vmcnt(0)
	v_cmp_le_i16_e32 vcc_lo, v22, v23
	v_cmp_lt_i16_e64 s3, v22, v23
	s_and_b32 s27, vcc_lo, s26
	s_delay_alu instid0(VALU_DEP_1) | instid1(SALU_CYCLE_1)
	s_or_b32 s27, s3, s27
	s_delay_alu instid0(SALU_CYCLE_1) | instskip(NEXT) | instid1(SALU_CYCLE_1)
	s_and_b32 s3, s27, exec_lo
	s_or_b32 s24, s24, s3
	s_mov_b32 s3, exec_lo
	v_cmpx_eq_u16_e64 v22, v23
	s_cbranch_execz .LBB634_633
; %bb.635:                              ;   in Loop: Header=BB634_634 Depth=1
	s_add_u32 s4, s4, -1
	s_addc_u32 s5, s5, -1
	v_add_co_u32 v8, vcc_lo, v8, 2
	s_cmp_eq_u64 s[4:5], 0
	v_add_co_ci_u32_e32 v9, vcc_lo, 0, v9, vcc_lo
	v_add_co_u32 v10, vcc_lo, v10, 2
	s_cselect_b32 s26, -1, 0
	v_add_co_ci_u32_e32 v11, vcc_lo, 0, v11, vcc_lo
	s_and_not1_b32 s25, s25, exec_lo
	s_and_b32 s27, s27, exec_lo
	s_and_not1_b32 s23, s23, exec_lo
	s_and_b32 s26, s26, exec_lo
	s_or_b32 s25, s25, s27
	s_and_not1_b32 s24, s24, exec_lo
	s_or_b32 s23, s23, s26
                                        ; implicit-def: $sgpr26
	s_branch .LBB634_633
.LBB634_636:
	s_set_inst_prefetch_distance 0x2
	s_or_b32 exec_lo, exec_lo, s21
	v_cndmask_b32_e64 v7, v7, v5, s22
	v_cndmask_b32_e64 v6, v6, v4, s22
.LBB634_637:
	s_delay_alu instid0(VALU_DEP_1)
	v_dual_mov_b32 v4, v6 :: v_dual_mov_b32 v5, v7
.LBB634_638:
	s_or_b32 exec_lo, exec_lo, s20
	s_delay_alu instid0(VALU_DEP_1)
	v_dual_mov_b32 v7, v5 :: v_dual_mov_b32 v6, v4
.LBB634_639:
	s_or_b32 exec_lo, exec_lo, s17
	v_cndmask_b32_e64 v1, v3, v1, s7
	v_cndmask_b32_e64 v0, v2, v0, s7
	;; [unrolled: 1-line block ×6, first 2 shown]
.LBB634_640:
	s_or_b32 exec_lo, exec_lo, s6
	v_and_b32_e32 v28, 0x70, v20
	v_and_b32_e32 v9, 12, v20
	s_mov_b32 s12, exec_lo
	; wave barrier
	s_delay_alu instid0(VALU_DEP_2) | instskip(NEXT) | instid1(VALU_DEP_2)
	v_or_b32_e32 v8, 8, v28
	v_min_u32_e32 v29, v19, v9
	v_lshl_add_u32 v25, v28, 3, v18
	ds_store_b128 v21, v[0:3]
	ds_store_b128 v21, v[4:7] offset:16
	v_min_u32_e32 v22, v19, v8
	; wave barrier
	s_delay_alu instid0(VALU_DEP_1) | instskip(SKIP_1) | instid1(VALU_DEP_2)
	v_add_nc_u32_e32 v8, 8, v22
	v_sub_nc_u32_e32 v9, v22, v28
	v_min_u32_e32 v23, v19, v8
	s_delay_alu instid0(VALU_DEP_2) | instskip(NEXT) | instid1(VALU_DEP_2)
	v_min_u32_e32 v30, v29, v9
	v_sub_nc_u32_e32 v8, v23, v22
	s_delay_alu instid0(VALU_DEP_1) | instskip(NEXT) | instid1(VALU_DEP_1)
	v_sub_nc_u32_e64 v24, v29, v8 clamp
	v_cmpx_lt_u32_e64 v24, v30
	s_cbranch_execz .LBB634_650
; %bb.641:
	v_lshlrev_b32_e32 v8, 3, v22
	v_lshlrev_b32_e32 v9, 3, v29
	s_lshl_b64 s[4:5], s[8:9], 1
	s_mov_b32 s13, 0
	s_delay_alu instid0(VALU_DEP_1)
	v_add3_u32 v31, v18, v8, v9
	s_branch .LBB634_644
.LBB634_642:                            ;   in Loop: Header=BB634_644 Depth=1
	s_set_inst_prefetch_distance 0x2
	s_or_b32 exec_lo, exec_lo, s17
.LBB634_643:                            ;   in Loop: Header=BB634_644 Depth=1
	s_delay_alu instid0(VALU_DEP_1) | instskip(SKIP_1) | instid1(VALU_DEP_2)
	v_add_nc_u32_e32 v8, 1, v32
	v_cndmask_b32_e64 v30, v30, v32, s20
	v_cndmask_b32_e64 v24, v8, v24, s20
	s_delay_alu instid0(VALU_DEP_1) | instskip(SKIP_1) | instid1(SALU_CYCLE_1)
	v_cmp_ge_u32_e32 vcc_lo, v24, v30
	s_or_b32 s13, vcc_lo, s13
	s_and_not1_b32 exec_lo, exec_lo, s13
	s_cbranch_execz .LBB634_649
.LBB634_644:                            ; =>This Loop Header: Depth=1
                                        ;     Child Loop BB634_647 Depth 2
	v_add_nc_u32_e32 v8, v30, v24
	s_and_not1_b32 vcc_lo, exec_lo, s16
	s_mov_b32 s20, 0
	s_delay_alu instid0(VALU_DEP_1)
	v_lshrrev_b32_e32 v32, 1, v8
	s_cbranch_vccnz .LBB634_643
; %bb.645:                              ;   in Loop: Header=BB634_644 Depth=1
	s_delay_alu instid0(VALU_DEP_1) | instskip(SKIP_3) | instid1(VALU_DEP_2)
	v_not_b32_e32 v8, v32
	v_lshl_add_u32 v9, v32, 3, v25
	s_mov_b32 s17, 0
	s_mov_b64 s[6:7], s[8:9]
                                        ; implicit-def: $sgpr20
                                        ; implicit-def: $sgpr21
                                        ; implicit-def: $sgpr22
                                        ; implicit-def: $sgpr23
                                        ; implicit-def: $sgpr24
	v_lshl_add_u32 v8, v8, 3, v31
	ds_load_b64 v[10:11], v8
	ds_load_b64 v[33:34], v9
	s_waitcnt lgkmcnt(1)
	v_mul_lo_u32 v35, s4, v11
	v_mul_lo_u32 v36, s5, v10
	v_mad_u64_u32 v[8:9], null, s4, v10, s[10:11]
	s_waitcnt lgkmcnt(0)
	v_mul_lo_u32 v34, s4, v34
	v_mul_lo_u32 v37, s5, v33
	v_mad_u64_u32 v[10:11], null, s4, v33, s[10:11]
	s_delay_alu instid0(VALU_DEP_4) | instskip(NEXT) | instid1(VALU_DEP_2)
	v_add3_u32 v9, v36, v9, v35
	v_add3_u32 v11, v37, v11, v34
	s_set_inst_prefetch_distance 0x1
	s_branch .LBB634_647
	.p2align	6
.LBB634_646:                            ;   in Loop: Header=BB634_647 Depth=2
	s_or_b32 exec_lo, exec_lo, s25
	s_delay_alu instid0(SALU_CYCLE_1) | instskip(NEXT) | instid1(SALU_CYCLE_1)
	s_and_b32 s3, exec_lo, s21
	s_or_b32 s17, s3, s17
	s_and_not1_b32 s3, s24, exec_lo
	s_and_b32 s24, s22, exec_lo
	s_and_not1_b32 s20, s20, exec_lo
	s_and_b32 s25, s23, exec_lo
	s_or_b32 s24, s3, s24
	s_or_b32 s20, s20, s25
	s_and_not1_b32 exec_lo, exec_lo, s17
	s_cbranch_execz .LBB634_642
.LBB634_647:                            ;   Parent Loop BB634_644 Depth=1
                                        ; =>  This Inner Loop Header: Depth=2
	global_load_u16 v33, v[8:9], off
	global_load_u16 v34, v[10:11], off
	s_and_not1_b32 s23, s23, exec_lo
	s_and_not1_b32 s22, s22, exec_lo
	s_or_b32 s21, s21, exec_lo
	s_waitcnt vmcnt(0)
	v_cmp_le_i16_e32 vcc_lo, v33, v34
	v_cmp_lt_i16_e64 s3, v33, v34
	s_and_b32 s25, vcc_lo, s24
	s_delay_alu instid0(VALU_DEP_1) | instid1(SALU_CYCLE_1)
	s_or_b32 s3, s3, s25
	s_delay_alu instid0(SALU_CYCLE_1) | instskip(NEXT) | instid1(SALU_CYCLE_1)
	s_and_b32 s25, s3, exec_lo
	s_or_b32 s23, s23, s25
	s_mov_b32 s25, exec_lo
	v_cmpx_eq_u16_e64 v33, v34
	s_cbranch_execz .LBB634_646
; %bb.648:                              ;   in Loop: Header=BB634_647 Depth=2
	s_add_u32 s6, s6, -1
	s_addc_u32 s7, s7, -1
	v_add_co_u32 v8, vcc_lo, v8, 2
	v_add_co_ci_u32_e32 v9, vcc_lo, 0, v9, vcc_lo
	s_cmp_eq_u64 s[6:7], 0
	v_add_co_u32 v10, vcc_lo, v10, 2
	s_cselect_b32 s24, -1, 0
	v_add_co_ci_u32_e32 v11, vcc_lo, 0, v11, vcc_lo
	s_and_not1_b32 s22, s22, exec_lo
	s_and_b32 s3, s3, exec_lo
	s_and_not1_b32 s21, s21, exec_lo
	s_and_b32 s24, s24, exec_lo
	s_and_not1_b32 s23, s23, exec_lo
	s_or_b32 s22, s22, s3
	s_or_b32 s21, s21, s24
                                        ; implicit-def: $sgpr24
	s_branch .LBB634_646
.LBB634_649:
	s_or_b32 exec_lo, exec_lo, s13
.LBB634_650:
	s_delay_alu instid0(SALU_CYCLE_1) | instskip(SKIP_2) | instid1(VALU_DEP_2)
	s_or_b32 exec_lo, exec_lo, s12
	v_add_nc_u32_e32 v9, v22, v29
	v_add_nc_u32_e32 v8, v24, v28
	v_sub_nc_u32_e32 v9, v9, v24
	s_delay_alu instid0(VALU_DEP_2) | instskip(NEXT) | instid1(VALU_DEP_2)
	v_cmp_le_u32_e32 vcc_lo, v8, v22
	v_cmp_le_u32_e64 s3, v9, v23
	s_delay_alu instid0(VALU_DEP_1) | instskip(NEXT) | instid1(SALU_CYCLE_1)
	s_or_b32 s3, vcc_lo, s3
	s_and_saveexec_b32 s6, s3
	s_cbranch_execz .LBB634_697
; %bb.651:
	v_cmp_ge_u32_e32 vcc_lo, v8, v22
	s_mov_b32 s4, exec_lo
                                        ; implicit-def: $vgpr0_vgpr1
	v_cmpx_lt_u32_e64 v8, v22
	s_cbranch_execz .LBB634_653
; %bb.652:
	v_lshl_add_u32 v0, v24, 3, v25
	ds_load_b64 v[0:1], v0
.LBB634_653:
	s_or_b32 exec_lo, exec_lo, s4
	v_cmp_ge_u32_e64 s7, v9, v23
	s_mov_b32 s4, exec_lo
                                        ; implicit-def: $vgpr2_vgpr3
	v_cmpx_lt_u32_e64 v9, v23
	s_cbranch_execz .LBB634_655
; %bb.654:
	v_lshl_add_u32 v2, v9, 3, v18
	ds_load_b64 v[2:3], v2
.LBB634_655:
	s_or_b32 exec_lo, exec_lo, s4
	s_or_b32 s3, vcc_lo, s7
	s_mov_b32 s12, -1
	s_xor_b32 s3, s3, -1
	s_delay_alu instid0(SALU_CYCLE_1)
	s_and_saveexec_b32 s13, s3
	s_cbranch_execz .LBB634_664
; %bb.656:
	s_and_not1_b32 vcc_lo, exec_lo, s16
	s_cbranch_vccnz .LBB634_662
; %bb.657:
	s_waitcnt lgkmcnt(0)
	v_mul_lo_u32 v10, v3, s8
	v_mul_lo_u32 v11, v2, s9
	v_mad_u64_u32 v[4:5], null, v2, s8, 0
	v_mul_lo_u32 v24, v1, s8
	v_mul_lo_u32 v25, v0, s9
	v_mad_u64_u32 v[6:7], null, v0, s8, 0
	s_mov_b32 s17, 0
	s_mov_b64 s[4:5], s[8:9]
	s_delay_alu instid0(VALU_DEP_4) | instskip(NEXT) | instid1(VALU_DEP_2)
	v_add3_u32 v5, v5, v11, v10
                                        ; implicit-def: $sgpr20
                                        ; implicit-def: $sgpr21
                                        ; implicit-def: $sgpr22
                                        ; implicit-def: $sgpr23
                                        ; implicit-def: $sgpr24
	v_add3_u32 v7, v7, v25, v24
	s_delay_alu instid0(VALU_DEP_2) | instskip(NEXT) | instid1(VALU_DEP_2)
	v_lshlrev_b64 v[4:5], 1, v[4:5]
	v_lshlrev_b64 v[6:7], 1, v[6:7]
	s_delay_alu instid0(VALU_DEP_2) | instskip(NEXT) | instid1(VALU_DEP_3)
	v_add_co_u32 v4, vcc_lo, s10, v4
	v_add_co_ci_u32_e32 v5, vcc_lo, s11, v5, vcc_lo
	s_delay_alu instid0(VALU_DEP_3) | instskip(NEXT) | instid1(VALU_DEP_4)
	v_add_co_u32 v6, vcc_lo, s10, v6
	v_add_co_ci_u32_e32 v7, vcc_lo, s11, v7, vcc_lo
	s_set_inst_prefetch_distance 0x1
	s_branch .LBB634_659
	.p2align	6
.LBB634_658:                            ;   in Loop: Header=BB634_659 Depth=1
	s_or_b32 exec_lo, exec_lo, s3
	s_delay_alu instid0(SALU_CYCLE_1) | instskip(NEXT) | instid1(SALU_CYCLE_1)
	s_and_b32 s3, exec_lo, s21
	s_or_b32 s17, s3, s17
	s_and_not1_b32 s3, s24, exec_lo
	s_and_b32 s24, s23, exec_lo
	s_and_not1_b32 s20, s20, exec_lo
	s_and_b32 s25, s22, exec_lo
	s_or_b32 s24, s3, s24
	s_or_b32 s20, s20, s25
	s_and_not1_b32 exec_lo, exec_lo, s17
	s_cbranch_execz .LBB634_661
.LBB634_659:                            ; =>This Inner Loop Header: Depth=1
	global_load_u16 v10, v[4:5], off
	global_load_u16 v11, v[6:7], off
	s_and_not1_b32 s22, s22, exec_lo
	s_and_not1_b32 s23, s23, exec_lo
	s_or_b32 s21, s21, exec_lo
	s_waitcnt vmcnt(0)
	v_cmp_le_i16_e32 vcc_lo, v10, v11
	v_cmp_lt_i16_e64 s3, v10, v11
	s_and_b32 s25, vcc_lo, s24
	s_delay_alu instid0(VALU_DEP_1) | instid1(SALU_CYCLE_1)
	s_or_b32 s25, s3, s25
	s_delay_alu instid0(SALU_CYCLE_1) | instskip(NEXT) | instid1(SALU_CYCLE_1)
	s_and_b32 s3, s25, exec_lo
	s_or_b32 s22, s22, s3
	s_mov_b32 s3, exec_lo
	v_cmpx_eq_u16_e64 v10, v11
	s_cbranch_execz .LBB634_658
; %bb.660:                              ;   in Loop: Header=BB634_659 Depth=1
	s_add_u32 s4, s4, -1
	s_addc_u32 s5, s5, -1
	v_add_co_u32 v4, vcc_lo, v4, 2
	s_cmp_eq_u64 s[4:5], 0
	v_add_co_ci_u32_e32 v5, vcc_lo, 0, v5, vcc_lo
	v_add_co_u32 v6, vcc_lo, v6, 2
	s_cselect_b32 s24, -1, 0
	v_add_co_ci_u32_e32 v7, vcc_lo, 0, v7, vcc_lo
	s_and_not1_b32 s23, s23, exec_lo
	s_and_b32 s25, s25, exec_lo
	s_and_not1_b32 s21, s21, exec_lo
	s_and_b32 s24, s24, exec_lo
	s_or_b32 s23, s23, s25
	s_and_not1_b32 s22, s22, exec_lo
	s_or_b32 s21, s21, s24
                                        ; implicit-def: $sgpr24
	s_branch .LBB634_658
.LBB634_661:
	s_set_inst_prefetch_distance 0x2
	s_or_b32 exec_lo, exec_lo, s17
	s_xor_b32 s3, s20, -1
	s_branch .LBB634_663
.LBB634_662:
	s_mov_b32 s3, -1
.LBB634_663:
	s_and_not1_b32 s4, s7, exec_lo
	s_and_b32 s3, s3, exec_lo
	s_delay_alu instid0(SALU_CYCLE_1)
	s_or_b32 s7, s4, s3
.LBB634_664:
	s_or_b32 exec_lo, exec_lo, s13
	v_cndmask_b32_e64 v4, v9, v8, s7
	v_cndmask_b32_e64 v5, v23, v22, s7
	s_mov_b32 s13, exec_lo
	s_delay_alu instid0(VALU_DEP_2) | instskip(NEXT) | instid1(VALU_DEP_2)
	v_add_nc_u32_e32 v6, 1, v4
	v_add_nc_u32_e32 v4, -1, v5
	s_delay_alu instid0(VALU_DEP_2) | instskip(NEXT) | instid1(VALU_DEP_2)
	v_cndmask_b32_e64 v9, v6, v9, s7
	v_min_u32_e32 v4, v6, v4
	v_cndmask_b32_e64 v8, v8, v6, s7
	s_delay_alu instid0(VALU_DEP_2)
	v_lshl_add_u32 v4, v4, 3, v18
	ds_load_b64 v[4:5], v4
	s_waitcnt lgkmcnt(0)
	v_cndmask_b32_e64 v24, v5, v3, s7
	v_cndmask_b32_e64 v25, v4, v2, s7
	;; [unrolled: 1-line block ×4, first 2 shown]
	v_cmpx_lt_u32_e64 v9, v23
	s_cbranch_execz .LBB634_675
; %bb.665:
	s_mov_b32 s3, 0
	s_mov_b32 s12, exec_lo
	v_cmpx_lt_u32_e64 v8, v22
	s_cbranch_execz .LBB634_674
; %bb.666:
	s_and_not1_b32 vcc_lo, exec_lo, s16
	s_cbranch_vccnz .LBB634_672
; %bb.667:
	v_mul_lo_u32 v10, v24, s8
	v_mul_lo_u32 v11, v25, s9
	v_mad_u64_u32 v[4:5], null, v25, s8, 0
	v_mul_lo_u32 v30, v28, s8
	v_mul_lo_u32 v31, v29, s9
	v_mad_u64_u32 v[6:7], null, v29, s8, 0
	s_mov_b32 s17, 0
	s_mov_b64 s[4:5], s[8:9]
	s_delay_alu instid0(VALU_DEP_4) | instskip(NEXT) | instid1(VALU_DEP_2)
	v_add3_u32 v5, v5, v11, v10
                                        ; implicit-def: $sgpr20
                                        ; implicit-def: $sgpr21
                                        ; implicit-def: $sgpr22
                                        ; implicit-def: $sgpr23
                                        ; implicit-def: $sgpr24
	v_add3_u32 v7, v7, v31, v30
	s_delay_alu instid0(VALU_DEP_2) | instskip(NEXT) | instid1(VALU_DEP_2)
	v_lshlrev_b64 v[4:5], 1, v[4:5]
	v_lshlrev_b64 v[6:7], 1, v[6:7]
	s_delay_alu instid0(VALU_DEP_2) | instskip(NEXT) | instid1(VALU_DEP_3)
	v_add_co_u32 v4, vcc_lo, s10, v4
	v_add_co_ci_u32_e32 v5, vcc_lo, s11, v5, vcc_lo
	s_delay_alu instid0(VALU_DEP_3) | instskip(NEXT) | instid1(VALU_DEP_4)
	v_add_co_u32 v6, vcc_lo, s10, v6
	v_add_co_ci_u32_e32 v7, vcc_lo, s11, v7, vcc_lo
	s_set_inst_prefetch_distance 0x1
	s_branch .LBB634_669
	.p2align	6
.LBB634_668:                            ;   in Loop: Header=BB634_669 Depth=1
	s_or_b32 exec_lo, exec_lo, s3
	s_delay_alu instid0(SALU_CYCLE_1) | instskip(NEXT) | instid1(SALU_CYCLE_1)
	s_and_b32 s3, exec_lo, s21
	s_or_b32 s17, s3, s17
	s_and_not1_b32 s3, s24, exec_lo
	s_and_b32 s24, s23, exec_lo
	s_and_not1_b32 s20, s20, exec_lo
	s_and_b32 s25, s22, exec_lo
	s_or_b32 s24, s3, s24
	s_or_b32 s20, s20, s25
	s_and_not1_b32 exec_lo, exec_lo, s17
	s_cbranch_execz .LBB634_671
.LBB634_669:                            ; =>This Inner Loop Header: Depth=1
	global_load_u16 v10, v[4:5], off
	global_load_u16 v11, v[6:7], off
	s_and_not1_b32 s22, s22, exec_lo
	s_and_not1_b32 s23, s23, exec_lo
	s_or_b32 s21, s21, exec_lo
	s_waitcnt vmcnt(0)
	v_cmp_le_i16_e32 vcc_lo, v10, v11
	v_cmp_lt_i16_e64 s3, v10, v11
	s_and_b32 s25, vcc_lo, s24
	s_delay_alu instid0(VALU_DEP_1) | instid1(SALU_CYCLE_1)
	s_or_b32 s25, s3, s25
	s_delay_alu instid0(SALU_CYCLE_1) | instskip(NEXT) | instid1(SALU_CYCLE_1)
	s_and_b32 s3, s25, exec_lo
	s_or_b32 s22, s22, s3
	s_mov_b32 s3, exec_lo
	v_cmpx_eq_u16_e64 v10, v11
	s_cbranch_execz .LBB634_668
; %bb.670:                              ;   in Loop: Header=BB634_669 Depth=1
	s_add_u32 s4, s4, -1
	s_addc_u32 s5, s5, -1
	v_add_co_u32 v4, vcc_lo, v4, 2
	s_cmp_eq_u64 s[4:5], 0
	v_add_co_ci_u32_e32 v5, vcc_lo, 0, v5, vcc_lo
	v_add_co_u32 v6, vcc_lo, v6, 2
	s_cselect_b32 s24, -1, 0
	v_add_co_ci_u32_e32 v7, vcc_lo, 0, v7, vcc_lo
	s_and_not1_b32 s23, s23, exec_lo
	s_and_b32 s25, s25, exec_lo
	s_and_not1_b32 s21, s21, exec_lo
	s_and_b32 s24, s24, exec_lo
	s_or_b32 s23, s23, s25
	s_and_not1_b32 s22, s22, exec_lo
	s_or_b32 s21, s21, s24
                                        ; implicit-def: $sgpr24
	s_branch .LBB634_668
.LBB634_671:
	s_set_inst_prefetch_distance 0x2
	s_or_b32 exec_lo, exec_lo, s17
	s_xor_b32 s3, s20, -1
	s_branch .LBB634_673
.LBB634_672:
	s_mov_b32 s3, -1
.LBB634_673:
	s_delay_alu instid0(SALU_CYCLE_1)
	s_and_b32 s3, s3, exec_lo
.LBB634_674:
	s_or_b32 exec_lo, exec_lo, s12
	s_delay_alu instid0(SALU_CYCLE_1)
	s_or_not1_b32 s12, s3, exec_lo
.LBB634_675:
	s_or_b32 exec_lo, exec_lo, s13
	v_cndmask_b32_e64 v4, v9, v8, s12
	v_cndmask_b32_e64 v5, v23, v22, s12
	s_mov_b32 s13, -1
	s_mov_b32 s17, exec_lo
	s_delay_alu instid0(VALU_DEP_2) | instskip(NEXT) | instid1(VALU_DEP_2)
	v_add_nc_u32_e32 v6, 1, v4
	v_add_nc_u32_e32 v4, -1, v5
	s_delay_alu instid0(VALU_DEP_2) | instskip(NEXT) | instid1(VALU_DEP_2)
	v_cndmask_b32_e64 v9, v6, v9, s12
	v_min_u32_e32 v4, v6, v4
	v_cndmask_b32_e64 v8, v8, v6, s12
	s_delay_alu instid0(VALU_DEP_2)
	v_lshl_add_u32 v4, v4, 3, v18
	ds_load_b64 v[4:5], v4
	s_waitcnt lgkmcnt(0)
	v_cndmask_b32_e64 v30, v5, v24, s12
	v_cndmask_b32_e64 v31, v4, v25, s12
	;; [unrolled: 1-line block ×4, first 2 shown]
	v_cmpx_lt_u32_e64 v9, v23
	s_cbranch_execz .LBB634_686
; %bb.676:
	s_mov_b32 s3, 0
	s_mov_b32 s13, exec_lo
	v_cmpx_lt_u32_e64 v8, v22
	s_cbranch_execz .LBB634_685
; %bb.677:
	s_and_not1_b32 vcc_lo, exec_lo, s16
	s_cbranch_vccnz .LBB634_683
; %bb.678:
	v_mul_lo_u32 v10, v30, s8
	v_mul_lo_u32 v11, v31, s9
	v_mad_u64_u32 v[4:5], null, v31, s8, 0
	v_mul_lo_u32 v34, v32, s8
	v_mul_lo_u32 v35, v33, s9
	v_mad_u64_u32 v[6:7], null, v33, s8, 0
	s_mov_b32 s20, 0
	s_mov_b64 s[4:5], s[8:9]
	s_delay_alu instid0(VALU_DEP_4) | instskip(NEXT) | instid1(VALU_DEP_2)
	v_add3_u32 v5, v5, v11, v10
                                        ; implicit-def: $sgpr21
                                        ; implicit-def: $sgpr22
                                        ; implicit-def: $sgpr23
                                        ; implicit-def: $sgpr24
                                        ; implicit-def: $sgpr25
	v_add3_u32 v7, v7, v35, v34
	s_delay_alu instid0(VALU_DEP_2) | instskip(NEXT) | instid1(VALU_DEP_2)
	v_lshlrev_b64 v[4:5], 1, v[4:5]
	v_lshlrev_b64 v[6:7], 1, v[6:7]
	s_delay_alu instid0(VALU_DEP_2) | instskip(NEXT) | instid1(VALU_DEP_3)
	v_add_co_u32 v4, vcc_lo, s10, v4
	v_add_co_ci_u32_e32 v5, vcc_lo, s11, v5, vcc_lo
	s_delay_alu instid0(VALU_DEP_3) | instskip(NEXT) | instid1(VALU_DEP_4)
	v_add_co_u32 v6, vcc_lo, s10, v6
	v_add_co_ci_u32_e32 v7, vcc_lo, s11, v7, vcc_lo
	s_set_inst_prefetch_distance 0x1
	s_branch .LBB634_680
	.p2align	6
.LBB634_679:                            ;   in Loop: Header=BB634_680 Depth=1
	s_or_b32 exec_lo, exec_lo, s3
	s_delay_alu instid0(SALU_CYCLE_1) | instskip(NEXT) | instid1(SALU_CYCLE_1)
	s_and_b32 s3, exec_lo, s22
	s_or_b32 s20, s3, s20
	s_and_not1_b32 s3, s25, exec_lo
	s_and_b32 s25, s24, exec_lo
	s_and_not1_b32 s21, s21, exec_lo
	s_and_b32 s26, s23, exec_lo
	s_or_b32 s25, s3, s25
	s_or_b32 s21, s21, s26
	s_and_not1_b32 exec_lo, exec_lo, s20
	s_cbranch_execz .LBB634_682
.LBB634_680:                            ; =>This Inner Loop Header: Depth=1
	global_load_u16 v10, v[4:5], off
	global_load_u16 v11, v[6:7], off
	s_and_not1_b32 s23, s23, exec_lo
	s_and_not1_b32 s24, s24, exec_lo
	s_or_b32 s22, s22, exec_lo
	s_waitcnt vmcnt(0)
	v_cmp_le_i16_e32 vcc_lo, v10, v11
	v_cmp_lt_i16_e64 s3, v10, v11
	s_and_b32 s26, vcc_lo, s25
	s_delay_alu instid0(VALU_DEP_1) | instid1(SALU_CYCLE_1)
	s_or_b32 s26, s3, s26
	s_delay_alu instid0(SALU_CYCLE_1) | instskip(NEXT) | instid1(SALU_CYCLE_1)
	s_and_b32 s3, s26, exec_lo
	s_or_b32 s23, s23, s3
	s_mov_b32 s3, exec_lo
	v_cmpx_eq_u16_e64 v10, v11
	s_cbranch_execz .LBB634_679
; %bb.681:                              ;   in Loop: Header=BB634_680 Depth=1
	s_add_u32 s4, s4, -1
	s_addc_u32 s5, s5, -1
	v_add_co_u32 v4, vcc_lo, v4, 2
	s_cmp_eq_u64 s[4:5], 0
	v_add_co_ci_u32_e32 v5, vcc_lo, 0, v5, vcc_lo
	v_add_co_u32 v6, vcc_lo, v6, 2
	s_cselect_b32 s25, -1, 0
	v_add_co_ci_u32_e32 v7, vcc_lo, 0, v7, vcc_lo
	s_and_not1_b32 s24, s24, exec_lo
	s_and_b32 s26, s26, exec_lo
	s_and_not1_b32 s22, s22, exec_lo
	s_and_b32 s25, s25, exec_lo
	s_or_b32 s24, s24, s26
	s_and_not1_b32 s23, s23, exec_lo
	s_or_b32 s22, s22, s25
                                        ; implicit-def: $sgpr25
	s_branch .LBB634_679
.LBB634_682:
	s_set_inst_prefetch_distance 0x2
	s_or_b32 exec_lo, exec_lo, s20
	s_xor_b32 s3, s21, -1
	s_branch .LBB634_684
.LBB634_683:
	s_mov_b32 s3, -1
.LBB634_684:
	s_delay_alu instid0(SALU_CYCLE_1)
	s_and_b32 s3, s3, exec_lo
.LBB634_685:
	s_or_b32 exec_lo, exec_lo, s13
	s_delay_alu instid0(SALU_CYCLE_1)
	s_or_not1_b32 s13, s3, exec_lo
.LBB634_686:
	s_or_b32 exec_lo, exec_lo, s17
	v_cndmask_b32_e64 v4, v9, v8, s13
	v_cndmask_b32_e64 v5, v23, v22, s13
	s_mov_b32 s17, exec_lo
	s_delay_alu instid0(VALU_DEP_2) | instskip(NEXT) | instid1(VALU_DEP_2)
	v_add_nc_u32_e32 v10, 1, v4
	v_add_nc_u32_e32 v4, -1, v5
	s_delay_alu instid0(VALU_DEP_2) | instskip(NEXT) | instid1(VALU_DEP_2)
	v_cndmask_b32_e64 v9, v10, v9, s13
	v_min_u32_e32 v4, v10, v4
	s_delay_alu instid0(VALU_DEP_1)
	v_lshl_add_u32 v4, v4, 3, v18
	ds_load_b64 v[4:5], v4
	s_waitcnt lgkmcnt(0)
	v_cndmask_b32_e64 v7, v32, v5, s13
	v_cndmask_b32_e64 v6, v33, v4, s13
	v_cmpx_lt_u32_e64 v9, v23
	s_cbranch_execz .LBB634_696
; %bb.687:
	v_cndmask_b32_e64 v8, v8, v10, s13
	v_cndmask_b32_e64 v5, v5, v30, s13
	;; [unrolled: 1-line block ×3, first 2 shown]
	s_mov_b32 s20, exec_lo
	s_delay_alu instid0(VALU_DEP_3)
	v_cmpx_lt_u32_e64 v8, v22
	s_cbranch_execz .LBB634_695
; %bb.688:
	s_and_not1_b32 vcc_lo, exec_lo, s16
	s_cbranch_vccnz .LBB634_694
; %bb.689:
	v_mul_lo_u32 v22, v5, s8
	v_mul_lo_u32 v23, v4, s9
	v_mad_u64_u32 v[8:9], null, v4, s8, 0
	v_mul_lo_u32 v34, v7, s8
	v_mul_lo_u32 v35, v6, s9
	v_mad_u64_u32 v[10:11], null, v6, s8, 0
	s_mov_b32 s21, 0
	s_mov_b64 s[4:5], s[8:9]
	s_delay_alu instid0(VALU_DEP_4) | instskip(NEXT) | instid1(VALU_DEP_2)
	v_add3_u32 v9, v9, v23, v22
                                        ; implicit-def: $sgpr22
                                        ; implicit-def: $sgpr23
                                        ; implicit-def: $sgpr24
                                        ; implicit-def: $sgpr25
                                        ; implicit-def: $sgpr26
	v_add3_u32 v11, v11, v35, v34
	s_delay_alu instid0(VALU_DEP_2) | instskip(NEXT) | instid1(VALU_DEP_2)
	v_lshlrev_b64 v[8:9], 1, v[8:9]
	v_lshlrev_b64 v[10:11], 1, v[10:11]
	s_delay_alu instid0(VALU_DEP_2) | instskip(NEXT) | instid1(VALU_DEP_3)
	v_add_co_u32 v8, vcc_lo, s10, v8
	v_add_co_ci_u32_e32 v9, vcc_lo, s11, v9, vcc_lo
	s_delay_alu instid0(VALU_DEP_3) | instskip(NEXT) | instid1(VALU_DEP_4)
	v_add_co_u32 v10, vcc_lo, s10, v10
	v_add_co_ci_u32_e32 v11, vcc_lo, s11, v11, vcc_lo
	s_set_inst_prefetch_distance 0x1
	s_branch .LBB634_691
	.p2align	6
.LBB634_690:                            ;   in Loop: Header=BB634_691 Depth=1
	s_or_b32 exec_lo, exec_lo, s3
	s_delay_alu instid0(SALU_CYCLE_1) | instskip(NEXT) | instid1(SALU_CYCLE_1)
	s_and_b32 s3, exec_lo, s23
	s_or_b32 s21, s3, s21
	s_and_not1_b32 s3, s26, exec_lo
	s_and_b32 s26, s25, exec_lo
	s_and_not1_b32 s22, s22, exec_lo
	s_and_b32 s27, s24, exec_lo
	s_or_b32 s26, s3, s26
	s_or_b32 s22, s22, s27
	s_and_not1_b32 exec_lo, exec_lo, s21
	s_cbranch_execz .LBB634_693
.LBB634_691:                            ; =>This Inner Loop Header: Depth=1
	global_load_u16 v22, v[8:9], off
	global_load_u16 v23, v[10:11], off
	s_and_not1_b32 s24, s24, exec_lo
	s_and_not1_b32 s25, s25, exec_lo
	s_or_b32 s23, s23, exec_lo
	s_waitcnt vmcnt(0)
	v_cmp_le_i16_e32 vcc_lo, v22, v23
	v_cmp_lt_i16_e64 s3, v22, v23
	s_and_b32 s27, vcc_lo, s26
	s_delay_alu instid0(VALU_DEP_1) | instid1(SALU_CYCLE_1)
	s_or_b32 s27, s3, s27
	s_delay_alu instid0(SALU_CYCLE_1) | instskip(NEXT) | instid1(SALU_CYCLE_1)
	s_and_b32 s3, s27, exec_lo
	s_or_b32 s24, s24, s3
	s_mov_b32 s3, exec_lo
	v_cmpx_eq_u16_e64 v22, v23
	s_cbranch_execz .LBB634_690
; %bb.692:                              ;   in Loop: Header=BB634_691 Depth=1
	s_add_u32 s4, s4, -1
	s_addc_u32 s5, s5, -1
	v_add_co_u32 v8, vcc_lo, v8, 2
	s_cmp_eq_u64 s[4:5], 0
	v_add_co_ci_u32_e32 v9, vcc_lo, 0, v9, vcc_lo
	v_add_co_u32 v10, vcc_lo, v10, 2
	s_cselect_b32 s26, -1, 0
	v_add_co_ci_u32_e32 v11, vcc_lo, 0, v11, vcc_lo
	s_and_not1_b32 s25, s25, exec_lo
	s_and_b32 s27, s27, exec_lo
	s_and_not1_b32 s23, s23, exec_lo
	s_and_b32 s26, s26, exec_lo
	s_or_b32 s25, s25, s27
	s_and_not1_b32 s24, s24, exec_lo
	s_or_b32 s23, s23, s26
                                        ; implicit-def: $sgpr26
	s_branch .LBB634_690
.LBB634_693:
	s_set_inst_prefetch_distance 0x2
	s_or_b32 exec_lo, exec_lo, s21
	v_cndmask_b32_e64 v7, v7, v5, s22
	v_cndmask_b32_e64 v6, v6, v4, s22
.LBB634_694:
	s_delay_alu instid0(VALU_DEP_1)
	v_dual_mov_b32 v4, v6 :: v_dual_mov_b32 v5, v7
.LBB634_695:
	s_or_b32 exec_lo, exec_lo, s20
	s_delay_alu instid0(VALU_DEP_1)
	v_dual_mov_b32 v7, v5 :: v_dual_mov_b32 v6, v4
.LBB634_696:
	s_or_b32 exec_lo, exec_lo, s17
	v_cndmask_b32_e64 v1, v3, v1, s7
	v_cndmask_b32_e64 v0, v2, v0, s7
	;; [unrolled: 1-line block ×6, first 2 shown]
.LBB634_697:
	s_or_b32 exec_lo, exec_lo, s6
	v_and_b32_e32 v28, 0x60, v20
	v_and_b32_e32 v9, 28, v20
	s_mov_b32 s12, exec_lo
	; wave barrier
	s_delay_alu instid0(VALU_DEP_2) | instskip(NEXT) | instid1(VALU_DEP_2)
	v_or_b32_e32 v8, 16, v28
	v_min_u32_e32 v29, v19, v9
	v_lshl_add_u32 v25, v28, 3, v18
	ds_store_b128 v21, v[0:3]
	ds_store_b128 v21, v[4:7] offset:16
	v_min_u32_e32 v22, v19, v8
	; wave barrier
	s_delay_alu instid0(VALU_DEP_1) | instskip(SKIP_1) | instid1(VALU_DEP_2)
	v_add_nc_u32_e32 v8, 16, v22
	v_sub_nc_u32_e32 v9, v22, v28
	v_min_u32_e32 v23, v19, v8
	s_delay_alu instid0(VALU_DEP_2) | instskip(NEXT) | instid1(VALU_DEP_2)
	v_min_u32_e32 v30, v29, v9
	v_sub_nc_u32_e32 v8, v23, v22
	s_delay_alu instid0(VALU_DEP_1) | instskip(NEXT) | instid1(VALU_DEP_1)
	v_sub_nc_u32_e64 v24, v29, v8 clamp
	v_cmpx_lt_u32_e64 v24, v30
	s_cbranch_execz .LBB634_707
; %bb.698:
	v_lshlrev_b32_e32 v8, 3, v22
	v_lshlrev_b32_e32 v9, 3, v29
	s_lshl_b64 s[4:5], s[8:9], 1
	s_mov_b32 s13, 0
	s_delay_alu instid0(VALU_DEP_1)
	v_add3_u32 v31, v18, v8, v9
	s_branch .LBB634_701
.LBB634_699:                            ;   in Loop: Header=BB634_701 Depth=1
	s_set_inst_prefetch_distance 0x2
	s_or_b32 exec_lo, exec_lo, s17
.LBB634_700:                            ;   in Loop: Header=BB634_701 Depth=1
	s_delay_alu instid0(VALU_DEP_1) | instskip(SKIP_1) | instid1(VALU_DEP_2)
	v_add_nc_u32_e32 v8, 1, v32
	v_cndmask_b32_e64 v30, v30, v32, s20
	v_cndmask_b32_e64 v24, v8, v24, s20
	s_delay_alu instid0(VALU_DEP_1) | instskip(SKIP_1) | instid1(SALU_CYCLE_1)
	v_cmp_ge_u32_e32 vcc_lo, v24, v30
	s_or_b32 s13, vcc_lo, s13
	s_and_not1_b32 exec_lo, exec_lo, s13
	s_cbranch_execz .LBB634_706
.LBB634_701:                            ; =>This Loop Header: Depth=1
                                        ;     Child Loop BB634_704 Depth 2
	v_add_nc_u32_e32 v8, v30, v24
	s_and_not1_b32 vcc_lo, exec_lo, s16
	s_mov_b32 s20, 0
	s_delay_alu instid0(VALU_DEP_1)
	v_lshrrev_b32_e32 v32, 1, v8
	s_cbranch_vccnz .LBB634_700
; %bb.702:                              ;   in Loop: Header=BB634_701 Depth=1
	s_delay_alu instid0(VALU_DEP_1) | instskip(SKIP_3) | instid1(VALU_DEP_2)
	v_not_b32_e32 v8, v32
	v_lshl_add_u32 v9, v32, 3, v25
	s_mov_b32 s17, 0
	s_mov_b64 s[6:7], s[8:9]
                                        ; implicit-def: $sgpr20
                                        ; implicit-def: $sgpr21
                                        ; implicit-def: $sgpr22
                                        ; implicit-def: $sgpr23
                                        ; implicit-def: $sgpr24
	v_lshl_add_u32 v8, v8, 3, v31
	ds_load_b64 v[10:11], v8
	ds_load_b64 v[33:34], v9
	s_waitcnt lgkmcnt(1)
	v_mul_lo_u32 v35, s4, v11
	v_mul_lo_u32 v36, s5, v10
	v_mad_u64_u32 v[8:9], null, s4, v10, s[10:11]
	s_waitcnt lgkmcnt(0)
	v_mul_lo_u32 v34, s4, v34
	v_mul_lo_u32 v37, s5, v33
	v_mad_u64_u32 v[10:11], null, s4, v33, s[10:11]
	s_delay_alu instid0(VALU_DEP_4) | instskip(NEXT) | instid1(VALU_DEP_2)
	v_add3_u32 v9, v36, v9, v35
	v_add3_u32 v11, v37, v11, v34
	s_set_inst_prefetch_distance 0x1
	s_branch .LBB634_704
	.p2align	6
.LBB634_703:                            ;   in Loop: Header=BB634_704 Depth=2
	s_or_b32 exec_lo, exec_lo, s25
	s_delay_alu instid0(SALU_CYCLE_1) | instskip(NEXT) | instid1(SALU_CYCLE_1)
	s_and_b32 s3, exec_lo, s21
	s_or_b32 s17, s3, s17
	s_and_not1_b32 s3, s24, exec_lo
	s_and_b32 s24, s22, exec_lo
	s_and_not1_b32 s20, s20, exec_lo
	s_and_b32 s25, s23, exec_lo
	s_or_b32 s24, s3, s24
	s_or_b32 s20, s20, s25
	s_and_not1_b32 exec_lo, exec_lo, s17
	s_cbranch_execz .LBB634_699
.LBB634_704:                            ;   Parent Loop BB634_701 Depth=1
                                        ; =>  This Inner Loop Header: Depth=2
	global_load_u16 v33, v[8:9], off
	global_load_u16 v34, v[10:11], off
	s_and_not1_b32 s23, s23, exec_lo
	s_and_not1_b32 s22, s22, exec_lo
	s_or_b32 s21, s21, exec_lo
	s_waitcnt vmcnt(0)
	v_cmp_le_i16_e32 vcc_lo, v33, v34
	v_cmp_lt_i16_e64 s3, v33, v34
	s_and_b32 s25, vcc_lo, s24
	s_delay_alu instid0(VALU_DEP_1) | instid1(SALU_CYCLE_1)
	s_or_b32 s3, s3, s25
	s_delay_alu instid0(SALU_CYCLE_1) | instskip(NEXT) | instid1(SALU_CYCLE_1)
	s_and_b32 s25, s3, exec_lo
	s_or_b32 s23, s23, s25
	s_mov_b32 s25, exec_lo
	v_cmpx_eq_u16_e64 v33, v34
	s_cbranch_execz .LBB634_703
; %bb.705:                              ;   in Loop: Header=BB634_704 Depth=2
	s_add_u32 s6, s6, -1
	s_addc_u32 s7, s7, -1
	v_add_co_u32 v8, vcc_lo, v8, 2
	v_add_co_ci_u32_e32 v9, vcc_lo, 0, v9, vcc_lo
	s_cmp_eq_u64 s[6:7], 0
	v_add_co_u32 v10, vcc_lo, v10, 2
	s_cselect_b32 s24, -1, 0
	v_add_co_ci_u32_e32 v11, vcc_lo, 0, v11, vcc_lo
	s_and_not1_b32 s22, s22, exec_lo
	s_and_b32 s3, s3, exec_lo
	s_and_not1_b32 s21, s21, exec_lo
	s_and_b32 s24, s24, exec_lo
	s_and_not1_b32 s23, s23, exec_lo
	s_or_b32 s22, s22, s3
	s_or_b32 s21, s21, s24
                                        ; implicit-def: $sgpr24
	s_branch .LBB634_703
.LBB634_706:
	s_or_b32 exec_lo, exec_lo, s13
.LBB634_707:
	s_delay_alu instid0(SALU_CYCLE_1) | instskip(SKIP_2) | instid1(VALU_DEP_2)
	s_or_b32 exec_lo, exec_lo, s12
	v_add_nc_u32_e32 v9, v22, v29
	v_add_nc_u32_e32 v8, v24, v28
	v_sub_nc_u32_e32 v9, v9, v24
	s_delay_alu instid0(VALU_DEP_2) | instskip(NEXT) | instid1(VALU_DEP_2)
	v_cmp_le_u32_e32 vcc_lo, v8, v22
	v_cmp_le_u32_e64 s3, v9, v23
	s_delay_alu instid0(VALU_DEP_1) | instskip(NEXT) | instid1(SALU_CYCLE_1)
	s_or_b32 s3, vcc_lo, s3
	s_and_saveexec_b32 s6, s3
	s_cbranch_execz .LBB634_754
; %bb.708:
	v_cmp_ge_u32_e32 vcc_lo, v8, v22
	s_mov_b32 s4, exec_lo
                                        ; implicit-def: $vgpr0_vgpr1
	v_cmpx_lt_u32_e64 v8, v22
	s_cbranch_execz .LBB634_710
; %bb.709:
	v_lshl_add_u32 v0, v24, 3, v25
	ds_load_b64 v[0:1], v0
.LBB634_710:
	s_or_b32 exec_lo, exec_lo, s4
	v_cmp_ge_u32_e64 s7, v9, v23
	s_mov_b32 s4, exec_lo
                                        ; implicit-def: $vgpr2_vgpr3
	v_cmpx_lt_u32_e64 v9, v23
	s_cbranch_execz .LBB634_712
; %bb.711:
	v_lshl_add_u32 v2, v9, 3, v18
	ds_load_b64 v[2:3], v2
.LBB634_712:
	s_or_b32 exec_lo, exec_lo, s4
	s_or_b32 s3, vcc_lo, s7
	s_mov_b32 s12, -1
	s_xor_b32 s3, s3, -1
	s_delay_alu instid0(SALU_CYCLE_1)
	s_and_saveexec_b32 s13, s3
	s_cbranch_execz .LBB634_721
; %bb.713:
	s_and_not1_b32 vcc_lo, exec_lo, s16
	s_cbranch_vccnz .LBB634_719
; %bb.714:
	s_waitcnt lgkmcnt(0)
	v_mul_lo_u32 v10, v3, s8
	v_mul_lo_u32 v11, v2, s9
	v_mad_u64_u32 v[4:5], null, v2, s8, 0
	v_mul_lo_u32 v24, v1, s8
	v_mul_lo_u32 v25, v0, s9
	v_mad_u64_u32 v[6:7], null, v0, s8, 0
	s_mov_b32 s17, 0
	s_mov_b64 s[4:5], s[8:9]
	s_delay_alu instid0(VALU_DEP_4) | instskip(NEXT) | instid1(VALU_DEP_2)
	v_add3_u32 v5, v5, v11, v10
                                        ; implicit-def: $sgpr20
                                        ; implicit-def: $sgpr21
                                        ; implicit-def: $sgpr22
                                        ; implicit-def: $sgpr23
                                        ; implicit-def: $sgpr24
	v_add3_u32 v7, v7, v25, v24
	s_delay_alu instid0(VALU_DEP_2) | instskip(NEXT) | instid1(VALU_DEP_2)
	v_lshlrev_b64 v[4:5], 1, v[4:5]
	v_lshlrev_b64 v[6:7], 1, v[6:7]
	s_delay_alu instid0(VALU_DEP_2) | instskip(NEXT) | instid1(VALU_DEP_3)
	v_add_co_u32 v4, vcc_lo, s10, v4
	v_add_co_ci_u32_e32 v5, vcc_lo, s11, v5, vcc_lo
	s_delay_alu instid0(VALU_DEP_3) | instskip(NEXT) | instid1(VALU_DEP_4)
	v_add_co_u32 v6, vcc_lo, s10, v6
	v_add_co_ci_u32_e32 v7, vcc_lo, s11, v7, vcc_lo
	s_set_inst_prefetch_distance 0x1
	s_branch .LBB634_716
	.p2align	6
.LBB634_715:                            ;   in Loop: Header=BB634_716 Depth=1
	s_or_b32 exec_lo, exec_lo, s3
	s_delay_alu instid0(SALU_CYCLE_1) | instskip(NEXT) | instid1(SALU_CYCLE_1)
	s_and_b32 s3, exec_lo, s21
	s_or_b32 s17, s3, s17
	s_and_not1_b32 s3, s24, exec_lo
	s_and_b32 s24, s23, exec_lo
	s_and_not1_b32 s20, s20, exec_lo
	s_and_b32 s25, s22, exec_lo
	s_or_b32 s24, s3, s24
	s_or_b32 s20, s20, s25
	s_and_not1_b32 exec_lo, exec_lo, s17
	s_cbranch_execz .LBB634_718
.LBB634_716:                            ; =>This Inner Loop Header: Depth=1
	global_load_u16 v10, v[4:5], off
	global_load_u16 v11, v[6:7], off
	s_and_not1_b32 s22, s22, exec_lo
	s_and_not1_b32 s23, s23, exec_lo
	s_or_b32 s21, s21, exec_lo
	s_waitcnt vmcnt(0)
	v_cmp_le_i16_e32 vcc_lo, v10, v11
	v_cmp_lt_i16_e64 s3, v10, v11
	s_and_b32 s25, vcc_lo, s24
	s_delay_alu instid0(VALU_DEP_1) | instid1(SALU_CYCLE_1)
	s_or_b32 s25, s3, s25
	s_delay_alu instid0(SALU_CYCLE_1) | instskip(NEXT) | instid1(SALU_CYCLE_1)
	s_and_b32 s3, s25, exec_lo
	s_or_b32 s22, s22, s3
	s_mov_b32 s3, exec_lo
	v_cmpx_eq_u16_e64 v10, v11
	s_cbranch_execz .LBB634_715
; %bb.717:                              ;   in Loop: Header=BB634_716 Depth=1
	s_add_u32 s4, s4, -1
	s_addc_u32 s5, s5, -1
	v_add_co_u32 v4, vcc_lo, v4, 2
	s_cmp_eq_u64 s[4:5], 0
	v_add_co_ci_u32_e32 v5, vcc_lo, 0, v5, vcc_lo
	v_add_co_u32 v6, vcc_lo, v6, 2
	s_cselect_b32 s24, -1, 0
	v_add_co_ci_u32_e32 v7, vcc_lo, 0, v7, vcc_lo
	s_and_not1_b32 s23, s23, exec_lo
	s_and_b32 s25, s25, exec_lo
	s_and_not1_b32 s21, s21, exec_lo
	s_and_b32 s24, s24, exec_lo
	s_or_b32 s23, s23, s25
	s_and_not1_b32 s22, s22, exec_lo
	s_or_b32 s21, s21, s24
                                        ; implicit-def: $sgpr24
	s_branch .LBB634_715
.LBB634_718:
	s_set_inst_prefetch_distance 0x2
	s_or_b32 exec_lo, exec_lo, s17
	s_xor_b32 s3, s20, -1
	s_branch .LBB634_720
.LBB634_719:
	s_mov_b32 s3, -1
.LBB634_720:
	s_and_not1_b32 s4, s7, exec_lo
	s_and_b32 s3, s3, exec_lo
	s_delay_alu instid0(SALU_CYCLE_1)
	s_or_b32 s7, s4, s3
.LBB634_721:
	s_or_b32 exec_lo, exec_lo, s13
	v_cndmask_b32_e64 v4, v9, v8, s7
	v_cndmask_b32_e64 v5, v23, v22, s7
	s_mov_b32 s13, exec_lo
	s_delay_alu instid0(VALU_DEP_2) | instskip(NEXT) | instid1(VALU_DEP_2)
	v_add_nc_u32_e32 v6, 1, v4
	v_add_nc_u32_e32 v4, -1, v5
	s_delay_alu instid0(VALU_DEP_2) | instskip(NEXT) | instid1(VALU_DEP_2)
	v_cndmask_b32_e64 v9, v6, v9, s7
	v_min_u32_e32 v4, v6, v4
	v_cndmask_b32_e64 v8, v8, v6, s7
	s_delay_alu instid0(VALU_DEP_2)
	v_lshl_add_u32 v4, v4, 3, v18
	ds_load_b64 v[4:5], v4
	s_waitcnt lgkmcnt(0)
	v_cndmask_b32_e64 v24, v5, v3, s7
	v_cndmask_b32_e64 v25, v4, v2, s7
	;; [unrolled: 1-line block ×4, first 2 shown]
	v_cmpx_lt_u32_e64 v9, v23
	s_cbranch_execz .LBB634_732
; %bb.722:
	s_mov_b32 s3, 0
	s_mov_b32 s12, exec_lo
	v_cmpx_lt_u32_e64 v8, v22
	s_cbranch_execz .LBB634_731
; %bb.723:
	s_and_not1_b32 vcc_lo, exec_lo, s16
	s_cbranch_vccnz .LBB634_729
; %bb.724:
	v_mul_lo_u32 v10, v24, s8
	v_mul_lo_u32 v11, v25, s9
	v_mad_u64_u32 v[4:5], null, v25, s8, 0
	v_mul_lo_u32 v30, v28, s8
	v_mul_lo_u32 v31, v29, s9
	v_mad_u64_u32 v[6:7], null, v29, s8, 0
	s_mov_b32 s17, 0
	s_mov_b64 s[4:5], s[8:9]
	s_delay_alu instid0(VALU_DEP_4) | instskip(NEXT) | instid1(VALU_DEP_2)
	v_add3_u32 v5, v5, v11, v10
                                        ; implicit-def: $sgpr20
                                        ; implicit-def: $sgpr21
                                        ; implicit-def: $sgpr22
                                        ; implicit-def: $sgpr23
                                        ; implicit-def: $sgpr24
	v_add3_u32 v7, v7, v31, v30
	s_delay_alu instid0(VALU_DEP_2) | instskip(NEXT) | instid1(VALU_DEP_2)
	v_lshlrev_b64 v[4:5], 1, v[4:5]
	v_lshlrev_b64 v[6:7], 1, v[6:7]
	s_delay_alu instid0(VALU_DEP_2) | instskip(NEXT) | instid1(VALU_DEP_3)
	v_add_co_u32 v4, vcc_lo, s10, v4
	v_add_co_ci_u32_e32 v5, vcc_lo, s11, v5, vcc_lo
	s_delay_alu instid0(VALU_DEP_3) | instskip(NEXT) | instid1(VALU_DEP_4)
	v_add_co_u32 v6, vcc_lo, s10, v6
	v_add_co_ci_u32_e32 v7, vcc_lo, s11, v7, vcc_lo
	s_set_inst_prefetch_distance 0x1
	s_branch .LBB634_726
	.p2align	6
.LBB634_725:                            ;   in Loop: Header=BB634_726 Depth=1
	s_or_b32 exec_lo, exec_lo, s3
	s_delay_alu instid0(SALU_CYCLE_1) | instskip(NEXT) | instid1(SALU_CYCLE_1)
	s_and_b32 s3, exec_lo, s21
	s_or_b32 s17, s3, s17
	s_and_not1_b32 s3, s24, exec_lo
	s_and_b32 s24, s23, exec_lo
	s_and_not1_b32 s20, s20, exec_lo
	s_and_b32 s25, s22, exec_lo
	s_or_b32 s24, s3, s24
	s_or_b32 s20, s20, s25
	s_and_not1_b32 exec_lo, exec_lo, s17
	s_cbranch_execz .LBB634_728
.LBB634_726:                            ; =>This Inner Loop Header: Depth=1
	global_load_u16 v10, v[4:5], off
	global_load_u16 v11, v[6:7], off
	s_and_not1_b32 s22, s22, exec_lo
	s_and_not1_b32 s23, s23, exec_lo
	s_or_b32 s21, s21, exec_lo
	s_waitcnt vmcnt(0)
	v_cmp_le_i16_e32 vcc_lo, v10, v11
	v_cmp_lt_i16_e64 s3, v10, v11
	s_and_b32 s25, vcc_lo, s24
	s_delay_alu instid0(VALU_DEP_1) | instid1(SALU_CYCLE_1)
	s_or_b32 s25, s3, s25
	s_delay_alu instid0(SALU_CYCLE_1) | instskip(NEXT) | instid1(SALU_CYCLE_1)
	s_and_b32 s3, s25, exec_lo
	s_or_b32 s22, s22, s3
	s_mov_b32 s3, exec_lo
	v_cmpx_eq_u16_e64 v10, v11
	s_cbranch_execz .LBB634_725
; %bb.727:                              ;   in Loop: Header=BB634_726 Depth=1
	s_add_u32 s4, s4, -1
	s_addc_u32 s5, s5, -1
	v_add_co_u32 v4, vcc_lo, v4, 2
	s_cmp_eq_u64 s[4:5], 0
	v_add_co_ci_u32_e32 v5, vcc_lo, 0, v5, vcc_lo
	v_add_co_u32 v6, vcc_lo, v6, 2
	s_cselect_b32 s24, -1, 0
	v_add_co_ci_u32_e32 v7, vcc_lo, 0, v7, vcc_lo
	s_and_not1_b32 s23, s23, exec_lo
	s_and_b32 s25, s25, exec_lo
	s_and_not1_b32 s21, s21, exec_lo
	s_and_b32 s24, s24, exec_lo
	s_or_b32 s23, s23, s25
	s_and_not1_b32 s22, s22, exec_lo
	s_or_b32 s21, s21, s24
                                        ; implicit-def: $sgpr24
	s_branch .LBB634_725
.LBB634_728:
	s_set_inst_prefetch_distance 0x2
	s_or_b32 exec_lo, exec_lo, s17
	s_xor_b32 s3, s20, -1
	s_branch .LBB634_730
.LBB634_729:
	s_mov_b32 s3, -1
.LBB634_730:
	s_delay_alu instid0(SALU_CYCLE_1)
	s_and_b32 s3, s3, exec_lo
.LBB634_731:
	s_or_b32 exec_lo, exec_lo, s12
	s_delay_alu instid0(SALU_CYCLE_1)
	s_or_not1_b32 s12, s3, exec_lo
.LBB634_732:
	s_or_b32 exec_lo, exec_lo, s13
	v_cndmask_b32_e64 v4, v9, v8, s12
	v_cndmask_b32_e64 v5, v23, v22, s12
	s_mov_b32 s13, -1
	s_mov_b32 s17, exec_lo
	s_delay_alu instid0(VALU_DEP_2) | instskip(NEXT) | instid1(VALU_DEP_2)
	v_add_nc_u32_e32 v6, 1, v4
	v_add_nc_u32_e32 v4, -1, v5
	s_delay_alu instid0(VALU_DEP_2) | instskip(NEXT) | instid1(VALU_DEP_2)
	v_cndmask_b32_e64 v9, v6, v9, s12
	v_min_u32_e32 v4, v6, v4
	v_cndmask_b32_e64 v8, v8, v6, s12
	s_delay_alu instid0(VALU_DEP_2)
	v_lshl_add_u32 v4, v4, 3, v18
	ds_load_b64 v[4:5], v4
	s_waitcnt lgkmcnt(0)
	v_cndmask_b32_e64 v30, v5, v24, s12
	v_cndmask_b32_e64 v31, v4, v25, s12
	;; [unrolled: 1-line block ×4, first 2 shown]
	v_cmpx_lt_u32_e64 v9, v23
	s_cbranch_execz .LBB634_743
; %bb.733:
	s_mov_b32 s3, 0
	s_mov_b32 s13, exec_lo
	v_cmpx_lt_u32_e64 v8, v22
	s_cbranch_execz .LBB634_742
; %bb.734:
	s_and_not1_b32 vcc_lo, exec_lo, s16
	s_cbranch_vccnz .LBB634_740
; %bb.735:
	v_mul_lo_u32 v10, v30, s8
	v_mul_lo_u32 v11, v31, s9
	v_mad_u64_u32 v[4:5], null, v31, s8, 0
	v_mul_lo_u32 v34, v32, s8
	v_mul_lo_u32 v35, v33, s9
	v_mad_u64_u32 v[6:7], null, v33, s8, 0
	s_mov_b32 s20, 0
	s_mov_b64 s[4:5], s[8:9]
	s_delay_alu instid0(VALU_DEP_4) | instskip(NEXT) | instid1(VALU_DEP_2)
	v_add3_u32 v5, v5, v11, v10
                                        ; implicit-def: $sgpr21
                                        ; implicit-def: $sgpr22
                                        ; implicit-def: $sgpr23
                                        ; implicit-def: $sgpr24
                                        ; implicit-def: $sgpr25
	v_add3_u32 v7, v7, v35, v34
	s_delay_alu instid0(VALU_DEP_2) | instskip(NEXT) | instid1(VALU_DEP_2)
	v_lshlrev_b64 v[4:5], 1, v[4:5]
	v_lshlrev_b64 v[6:7], 1, v[6:7]
	s_delay_alu instid0(VALU_DEP_2) | instskip(NEXT) | instid1(VALU_DEP_3)
	v_add_co_u32 v4, vcc_lo, s10, v4
	v_add_co_ci_u32_e32 v5, vcc_lo, s11, v5, vcc_lo
	s_delay_alu instid0(VALU_DEP_3) | instskip(NEXT) | instid1(VALU_DEP_4)
	v_add_co_u32 v6, vcc_lo, s10, v6
	v_add_co_ci_u32_e32 v7, vcc_lo, s11, v7, vcc_lo
	s_set_inst_prefetch_distance 0x1
	s_branch .LBB634_737
	.p2align	6
.LBB634_736:                            ;   in Loop: Header=BB634_737 Depth=1
	s_or_b32 exec_lo, exec_lo, s3
	s_delay_alu instid0(SALU_CYCLE_1) | instskip(NEXT) | instid1(SALU_CYCLE_1)
	s_and_b32 s3, exec_lo, s22
	s_or_b32 s20, s3, s20
	s_and_not1_b32 s3, s25, exec_lo
	s_and_b32 s25, s24, exec_lo
	s_and_not1_b32 s21, s21, exec_lo
	s_and_b32 s26, s23, exec_lo
	s_or_b32 s25, s3, s25
	s_or_b32 s21, s21, s26
	s_and_not1_b32 exec_lo, exec_lo, s20
	s_cbranch_execz .LBB634_739
.LBB634_737:                            ; =>This Inner Loop Header: Depth=1
	global_load_u16 v10, v[4:5], off
	global_load_u16 v11, v[6:7], off
	s_and_not1_b32 s23, s23, exec_lo
	s_and_not1_b32 s24, s24, exec_lo
	s_or_b32 s22, s22, exec_lo
	s_waitcnt vmcnt(0)
	v_cmp_le_i16_e32 vcc_lo, v10, v11
	v_cmp_lt_i16_e64 s3, v10, v11
	s_and_b32 s26, vcc_lo, s25
	s_delay_alu instid0(VALU_DEP_1) | instid1(SALU_CYCLE_1)
	s_or_b32 s26, s3, s26
	s_delay_alu instid0(SALU_CYCLE_1) | instskip(NEXT) | instid1(SALU_CYCLE_1)
	s_and_b32 s3, s26, exec_lo
	s_or_b32 s23, s23, s3
	s_mov_b32 s3, exec_lo
	v_cmpx_eq_u16_e64 v10, v11
	s_cbranch_execz .LBB634_736
; %bb.738:                              ;   in Loop: Header=BB634_737 Depth=1
	s_add_u32 s4, s4, -1
	s_addc_u32 s5, s5, -1
	v_add_co_u32 v4, vcc_lo, v4, 2
	s_cmp_eq_u64 s[4:5], 0
	v_add_co_ci_u32_e32 v5, vcc_lo, 0, v5, vcc_lo
	v_add_co_u32 v6, vcc_lo, v6, 2
	s_cselect_b32 s25, -1, 0
	v_add_co_ci_u32_e32 v7, vcc_lo, 0, v7, vcc_lo
	s_and_not1_b32 s24, s24, exec_lo
	s_and_b32 s26, s26, exec_lo
	s_and_not1_b32 s22, s22, exec_lo
	s_and_b32 s25, s25, exec_lo
	s_or_b32 s24, s24, s26
	s_and_not1_b32 s23, s23, exec_lo
	s_or_b32 s22, s22, s25
                                        ; implicit-def: $sgpr25
	s_branch .LBB634_736
.LBB634_739:
	s_set_inst_prefetch_distance 0x2
	s_or_b32 exec_lo, exec_lo, s20
	s_xor_b32 s3, s21, -1
	s_branch .LBB634_741
.LBB634_740:
	s_mov_b32 s3, -1
.LBB634_741:
	s_delay_alu instid0(SALU_CYCLE_1)
	s_and_b32 s3, s3, exec_lo
.LBB634_742:
	s_or_b32 exec_lo, exec_lo, s13
	s_delay_alu instid0(SALU_CYCLE_1)
	s_or_not1_b32 s13, s3, exec_lo
.LBB634_743:
	s_or_b32 exec_lo, exec_lo, s17
	v_cndmask_b32_e64 v4, v9, v8, s13
	v_cndmask_b32_e64 v5, v23, v22, s13
	s_mov_b32 s17, exec_lo
	s_delay_alu instid0(VALU_DEP_2) | instskip(NEXT) | instid1(VALU_DEP_2)
	v_add_nc_u32_e32 v10, 1, v4
	v_add_nc_u32_e32 v4, -1, v5
	s_delay_alu instid0(VALU_DEP_2) | instskip(NEXT) | instid1(VALU_DEP_2)
	v_cndmask_b32_e64 v9, v10, v9, s13
	v_min_u32_e32 v4, v10, v4
	s_delay_alu instid0(VALU_DEP_1)
	v_lshl_add_u32 v4, v4, 3, v18
	ds_load_b64 v[4:5], v4
	s_waitcnt lgkmcnt(0)
	v_cndmask_b32_e64 v7, v32, v5, s13
	v_cndmask_b32_e64 v6, v33, v4, s13
	v_cmpx_lt_u32_e64 v9, v23
	s_cbranch_execz .LBB634_753
; %bb.744:
	v_cndmask_b32_e64 v8, v8, v10, s13
	v_cndmask_b32_e64 v5, v5, v30, s13
	;; [unrolled: 1-line block ×3, first 2 shown]
	s_mov_b32 s20, exec_lo
	s_delay_alu instid0(VALU_DEP_3)
	v_cmpx_lt_u32_e64 v8, v22
	s_cbranch_execz .LBB634_752
; %bb.745:
	s_and_not1_b32 vcc_lo, exec_lo, s16
	s_cbranch_vccnz .LBB634_751
; %bb.746:
	v_mul_lo_u32 v22, v5, s8
	v_mul_lo_u32 v23, v4, s9
	v_mad_u64_u32 v[8:9], null, v4, s8, 0
	v_mul_lo_u32 v34, v7, s8
	v_mul_lo_u32 v35, v6, s9
	v_mad_u64_u32 v[10:11], null, v6, s8, 0
	s_mov_b32 s21, 0
	s_mov_b64 s[4:5], s[8:9]
	s_delay_alu instid0(VALU_DEP_4) | instskip(NEXT) | instid1(VALU_DEP_2)
	v_add3_u32 v9, v9, v23, v22
                                        ; implicit-def: $sgpr22
                                        ; implicit-def: $sgpr23
                                        ; implicit-def: $sgpr24
                                        ; implicit-def: $sgpr25
                                        ; implicit-def: $sgpr26
	v_add3_u32 v11, v11, v35, v34
	s_delay_alu instid0(VALU_DEP_2) | instskip(NEXT) | instid1(VALU_DEP_2)
	v_lshlrev_b64 v[8:9], 1, v[8:9]
	v_lshlrev_b64 v[10:11], 1, v[10:11]
	s_delay_alu instid0(VALU_DEP_2) | instskip(NEXT) | instid1(VALU_DEP_3)
	v_add_co_u32 v8, vcc_lo, s10, v8
	v_add_co_ci_u32_e32 v9, vcc_lo, s11, v9, vcc_lo
	s_delay_alu instid0(VALU_DEP_3) | instskip(NEXT) | instid1(VALU_DEP_4)
	v_add_co_u32 v10, vcc_lo, s10, v10
	v_add_co_ci_u32_e32 v11, vcc_lo, s11, v11, vcc_lo
	s_set_inst_prefetch_distance 0x1
	s_branch .LBB634_748
	.p2align	6
.LBB634_747:                            ;   in Loop: Header=BB634_748 Depth=1
	s_or_b32 exec_lo, exec_lo, s3
	s_delay_alu instid0(SALU_CYCLE_1) | instskip(NEXT) | instid1(SALU_CYCLE_1)
	s_and_b32 s3, exec_lo, s23
	s_or_b32 s21, s3, s21
	s_and_not1_b32 s3, s26, exec_lo
	s_and_b32 s26, s25, exec_lo
	s_and_not1_b32 s22, s22, exec_lo
	s_and_b32 s27, s24, exec_lo
	s_or_b32 s26, s3, s26
	s_or_b32 s22, s22, s27
	s_and_not1_b32 exec_lo, exec_lo, s21
	s_cbranch_execz .LBB634_750
.LBB634_748:                            ; =>This Inner Loop Header: Depth=1
	global_load_u16 v22, v[8:9], off
	global_load_u16 v23, v[10:11], off
	s_and_not1_b32 s24, s24, exec_lo
	s_and_not1_b32 s25, s25, exec_lo
	s_or_b32 s23, s23, exec_lo
	s_waitcnt vmcnt(0)
	v_cmp_le_i16_e32 vcc_lo, v22, v23
	v_cmp_lt_i16_e64 s3, v22, v23
	s_and_b32 s27, vcc_lo, s26
	s_delay_alu instid0(VALU_DEP_1) | instid1(SALU_CYCLE_1)
	s_or_b32 s27, s3, s27
	s_delay_alu instid0(SALU_CYCLE_1) | instskip(NEXT) | instid1(SALU_CYCLE_1)
	s_and_b32 s3, s27, exec_lo
	s_or_b32 s24, s24, s3
	s_mov_b32 s3, exec_lo
	v_cmpx_eq_u16_e64 v22, v23
	s_cbranch_execz .LBB634_747
; %bb.749:                              ;   in Loop: Header=BB634_748 Depth=1
	s_add_u32 s4, s4, -1
	s_addc_u32 s5, s5, -1
	v_add_co_u32 v8, vcc_lo, v8, 2
	s_cmp_eq_u64 s[4:5], 0
	v_add_co_ci_u32_e32 v9, vcc_lo, 0, v9, vcc_lo
	v_add_co_u32 v10, vcc_lo, v10, 2
	s_cselect_b32 s26, -1, 0
	v_add_co_ci_u32_e32 v11, vcc_lo, 0, v11, vcc_lo
	s_and_not1_b32 s25, s25, exec_lo
	s_and_b32 s27, s27, exec_lo
	s_and_not1_b32 s23, s23, exec_lo
	s_and_b32 s26, s26, exec_lo
	s_or_b32 s25, s25, s27
	s_and_not1_b32 s24, s24, exec_lo
	s_or_b32 s23, s23, s26
                                        ; implicit-def: $sgpr26
	s_branch .LBB634_747
.LBB634_750:
	s_set_inst_prefetch_distance 0x2
	s_or_b32 exec_lo, exec_lo, s21
	v_cndmask_b32_e64 v7, v7, v5, s22
	v_cndmask_b32_e64 v6, v6, v4, s22
.LBB634_751:
	s_delay_alu instid0(VALU_DEP_1)
	v_dual_mov_b32 v4, v6 :: v_dual_mov_b32 v5, v7
.LBB634_752:
	s_or_b32 exec_lo, exec_lo, s20
	s_delay_alu instid0(VALU_DEP_1)
	v_dual_mov_b32 v7, v5 :: v_dual_mov_b32 v6, v4
.LBB634_753:
	s_or_b32 exec_lo, exec_lo, s17
	v_cndmask_b32_e64 v1, v3, v1, s7
	v_cndmask_b32_e64 v0, v2, v0, s7
	;; [unrolled: 1-line block ×6, first 2 shown]
.LBB634_754:
	s_or_b32 exec_lo, exec_lo, s6
	v_and_b32_e32 v24, 64, v20
	v_and_b32_e32 v9, 60, v20
	s_mov_b32 s12, exec_lo
	; wave barrier
	s_delay_alu instid0(VALU_DEP_2) | instskip(NEXT) | instid1(VALU_DEP_2)
	v_or_b32_e32 v8, 32, v24
	v_min_u32_e32 v25, v19, v9
	v_lshl_add_u32 v23, v24, 3, v18
	ds_store_b128 v21, v[0:3]
	ds_store_b128 v21, v[4:7] offset:16
	v_min_u32_e32 v22, v19, v8
	; wave barrier
	s_delay_alu instid0(VALU_DEP_1) | instskip(SKIP_1) | instid1(VALU_DEP_2)
	v_add_nc_u32_e32 v8, 32, v22
	v_sub_nc_u32_e32 v9, v22, v24
	v_min_u32_e32 v20, v19, v8
	s_delay_alu instid0(VALU_DEP_2) | instskip(NEXT) | instid1(VALU_DEP_2)
	v_min_u32_e32 v28, v25, v9
	v_sub_nc_u32_e32 v8, v20, v22
	s_delay_alu instid0(VALU_DEP_1) | instskip(NEXT) | instid1(VALU_DEP_1)
	v_sub_nc_u32_e64 v19, v25, v8 clamp
	v_cmpx_lt_u32_e64 v19, v28
	s_cbranch_execz .LBB634_764
; %bb.755:
	v_lshlrev_b32_e32 v8, 3, v22
	v_lshlrev_b32_e32 v9, 3, v25
	s_lshl_b64 s[4:5], s[8:9], 1
	s_mov_b32 s13, 0
	s_delay_alu instid0(VALU_DEP_1)
	v_add3_u32 v21, v18, v8, v9
	s_branch .LBB634_758
.LBB634_756:                            ;   in Loop: Header=BB634_758 Depth=1
	s_set_inst_prefetch_distance 0x2
	s_or_b32 exec_lo, exec_lo, s17
.LBB634_757:                            ;   in Loop: Header=BB634_758 Depth=1
	s_delay_alu instid0(VALU_DEP_1) | instskip(SKIP_1) | instid1(VALU_DEP_2)
	v_add_nc_u32_e32 v8, 1, v29
	v_cndmask_b32_e64 v28, v28, v29, s20
	v_cndmask_b32_e64 v19, v8, v19, s20
	s_delay_alu instid0(VALU_DEP_1) | instskip(SKIP_1) | instid1(SALU_CYCLE_1)
	v_cmp_ge_u32_e32 vcc_lo, v19, v28
	s_or_b32 s13, vcc_lo, s13
	s_and_not1_b32 exec_lo, exec_lo, s13
	s_cbranch_execz .LBB634_763
.LBB634_758:                            ; =>This Loop Header: Depth=1
                                        ;     Child Loop BB634_761 Depth 2
	v_add_nc_u32_e32 v8, v28, v19
	s_and_not1_b32 vcc_lo, exec_lo, s16
	s_mov_b32 s20, 0
	s_delay_alu instid0(VALU_DEP_1)
	v_lshrrev_b32_e32 v29, 1, v8
	s_cbranch_vccnz .LBB634_757
; %bb.759:                              ;   in Loop: Header=BB634_758 Depth=1
	s_delay_alu instid0(VALU_DEP_1) | instskip(SKIP_3) | instid1(VALU_DEP_2)
	v_not_b32_e32 v8, v29
	v_lshl_add_u32 v9, v29, 3, v23
	s_mov_b32 s17, 0
	s_mov_b64 s[6:7], s[8:9]
                                        ; implicit-def: $sgpr20
                                        ; implicit-def: $sgpr21
                                        ; implicit-def: $sgpr22
                                        ; implicit-def: $sgpr23
                                        ; implicit-def: $sgpr24
	v_lshl_add_u32 v8, v8, 3, v21
	ds_load_b64 v[10:11], v8
	ds_load_b64 v[30:31], v9
	s_waitcnt lgkmcnt(1)
	v_mul_lo_u32 v32, s4, v11
	v_mul_lo_u32 v33, s5, v10
	v_mad_u64_u32 v[8:9], null, s4, v10, s[10:11]
	s_waitcnt lgkmcnt(0)
	v_mul_lo_u32 v31, s4, v31
	v_mul_lo_u32 v34, s5, v30
	v_mad_u64_u32 v[10:11], null, s4, v30, s[10:11]
	s_delay_alu instid0(VALU_DEP_4) | instskip(NEXT) | instid1(VALU_DEP_2)
	v_add3_u32 v9, v33, v9, v32
	v_add3_u32 v11, v34, v11, v31
	s_set_inst_prefetch_distance 0x1
	s_branch .LBB634_761
	.p2align	6
.LBB634_760:                            ;   in Loop: Header=BB634_761 Depth=2
	s_or_b32 exec_lo, exec_lo, s25
	s_delay_alu instid0(SALU_CYCLE_1) | instskip(NEXT) | instid1(SALU_CYCLE_1)
	s_and_b32 s3, exec_lo, s21
	s_or_b32 s17, s3, s17
	s_and_not1_b32 s3, s24, exec_lo
	s_and_b32 s24, s22, exec_lo
	s_and_not1_b32 s20, s20, exec_lo
	s_and_b32 s25, s23, exec_lo
	s_or_b32 s24, s3, s24
	s_or_b32 s20, s20, s25
	s_and_not1_b32 exec_lo, exec_lo, s17
	s_cbranch_execz .LBB634_756
.LBB634_761:                            ;   Parent Loop BB634_758 Depth=1
                                        ; =>  This Inner Loop Header: Depth=2
	global_load_u16 v30, v[8:9], off
	global_load_u16 v31, v[10:11], off
	s_and_not1_b32 s23, s23, exec_lo
	s_and_not1_b32 s22, s22, exec_lo
	s_or_b32 s21, s21, exec_lo
	s_waitcnt vmcnt(0)
	v_cmp_le_i16_e32 vcc_lo, v30, v31
	v_cmp_lt_i16_e64 s3, v30, v31
	s_and_b32 s25, vcc_lo, s24
	s_delay_alu instid0(VALU_DEP_1) | instid1(SALU_CYCLE_1)
	s_or_b32 s3, s3, s25
	s_delay_alu instid0(SALU_CYCLE_1) | instskip(NEXT) | instid1(SALU_CYCLE_1)
	s_and_b32 s25, s3, exec_lo
	s_or_b32 s23, s23, s25
	s_mov_b32 s25, exec_lo
	v_cmpx_eq_u16_e64 v30, v31
	s_cbranch_execz .LBB634_760
; %bb.762:                              ;   in Loop: Header=BB634_761 Depth=2
	s_add_u32 s6, s6, -1
	s_addc_u32 s7, s7, -1
	v_add_co_u32 v8, vcc_lo, v8, 2
	v_add_co_ci_u32_e32 v9, vcc_lo, 0, v9, vcc_lo
	s_cmp_eq_u64 s[6:7], 0
	v_add_co_u32 v10, vcc_lo, v10, 2
	s_cselect_b32 s24, -1, 0
	v_add_co_ci_u32_e32 v11, vcc_lo, 0, v11, vcc_lo
	s_and_not1_b32 s22, s22, exec_lo
	s_and_b32 s3, s3, exec_lo
	s_and_not1_b32 s21, s21, exec_lo
	s_and_b32 s24, s24, exec_lo
	s_and_not1_b32 s23, s23, exec_lo
	s_or_b32 s22, s22, s3
	s_or_b32 s21, s21, s24
                                        ; implicit-def: $sgpr24
	s_branch .LBB634_760
.LBB634_763:
	s_or_b32 exec_lo, exec_lo, s13
.LBB634_764:
	s_delay_alu instid0(SALU_CYCLE_1) | instskip(SKIP_2) | instid1(VALU_DEP_2)
	s_or_b32 exec_lo, exec_lo, s12
	v_add_nc_u32_e32 v9, v22, v25
	v_add_nc_u32_e32 v8, v19, v24
	v_sub_nc_u32_e32 v9, v9, v19
	s_delay_alu instid0(VALU_DEP_2) | instskip(NEXT) | instid1(VALU_DEP_2)
	v_cmp_le_u32_e32 vcc_lo, v8, v22
	v_cmp_le_u32_e64 s3, v9, v20
	s_delay_alu instid0(VALU_DEP_1) | instskip(NEXT) | instid1(SALU_CYCLE_1)
	s_or_b32 s3, vcc_lo, s3
	s_and_saveexec_b32 s6, s3
	s_cbranch_execz .LBB634_811
; %bb.765:
	v_cmp_ge_u32_e32 vcc_lo, v8, v22
	s_mov_b32 s4, exec_lo
                                        ; implicit-def: $vgpr0_vgpr1
	v_cmpx_lt_u32_e64 v8, v22
	s_cbranch_execz .LBB634_767
; %bb.766:
	v_lshl_add_u32 v0, v19, 3, v23
	ds_load_b64 v[0:1], v0
.LBB634_767:
	s_or_b32 exec_lo, exec_lo, s4
	v_cmp_ge_u32_e64 s7, v9, v20
	s_mov_b32 s4, exec_lo
                                        ; implicit-def: $vgpr2_vgpr3
	v_cmpx_lt_u32_e64 v9, v20
	s_cbranch_execz .LBB634_769
; %bb.768:
	v_lshl_add_u32 v2, v9, 3, v18
	ds_load_b64 v[2:3], v2
.LBB634_769:
	s_or_b32 exec_lo, exec_lo, s4
	s_or_b32 s3, vcc_lo, s7
	s_mov_b32 s12, -1
	s_xor_b32 s3, s3, -1
	s_delay_alu instid0(SALU_CYCLE_1)
	s_and_saveexec_b32 s13, s3
	s_cbranch_execz .LBB634_778
; %bb.770:
	s_and_not1_b32 vcc_lo, exec_lo, s16
	s_cbranch_vccnz .LBB634_776
; %bb.771:
	s_waitcnt lgkmcnt(0)
	v_mul_lo_u32 v10, v3, s8
	v_mul_lo_u32 v11, v2, s9
	v_mad_u64_u32 v[4:5], null, v2, s8, 0
	v_mul_lo_u32 v19, v1, s8
	v_mul_lo_u32 v21, v0, s9
	v_mad_u64_u32 v[6:7], null, v0, s8, 0
	s_mov_b32 s17, 0
	s_mov_b64 s[4:5], s[8:9]
	s_delay_alu instid0(VALU_DEP_4) | instskip(NEXT) | instid1(VALU_DEP_2)
	v_add3_u32 v5, v5, v11, v10
                                        ; implicit-def: $sgpr20
                                        ; implicit-def: $sgpr21
                                        ; implicit-def: $sgpr22
                                        ; implicit-def: $sgpr23
                                        ; implicit-def: $sgpr24
	v_add3_u32 v7, v7, v21, v19
	s_delay_alu instid0(VALU_DEP_2) | instskip(NEXT) | instid1(VALU_DEP_2)
	v_lshlrev_b64 v[4:5], 1, v[4:5]
	v_lshlrev_b64 v[6:7], 1, v[6:7]
	s_delay_alu instid0(VALU_DEP_2) | instskip(NEXT) | instid1(VALU_DEP_3)
	v_add_co_u32 v4, vcc_lo, s10, v4
	v_add_co_ci_u32_e32 v5, vcc_lo, s11, v5, vcc_lo
	s_delay_alu instid0(VALU_DEP_3) | instskip(NEXT) | instid1(VALU_DEP_4)
	v_add_co_u32 v6, vcc_lo, s10, v6
	v_add_co_ci_u32_e32 v7, vcc_lo, s11, v7, vcc_lo
	s_set_inst_prefetch_distance 0x1
	s_branch .LBB634_773
	.p2align	6
.LBB634_772:                            ;   in Loop: Header=BB634_773 Depth=1
	s_or_b32 exec_lo, exec_lo, s3
	s_delay_alu instid0(SALU_CYCLE_1) | instskip(NEXT) | instid1(SALU_CYCLE_1)
	s_and_b32 s3, exec_lo, s21
	s_or_b32 s17, s3, s17
	s_and_not1_b32 s3, s24, exec_lo
	s_and_b32 s24, s23, exec_lo
	s_and_not1_b32 s20, s20, exec_lo
	s_and_b32 s25, s22, exec_lo
	s_or_b32 s24, s3, s24
	s_or_b32 s20, s20, s25
	s_and_not1_b32 exec_lo, exec_lo, s17
	s_cbranch_execz .LBB634_775
.LBB634_773:                            ; =>This Inner Loop Header: Depth=1
	global_load_u16 v10, v[4:5], off
	global_load_u16 v11, v[6:7], off
	s_and_not1_b32 s22, s22, exec_lo
	s_and_not1_b32 s23, s23, exec_lo
	s_or_b32 s21, s21, exec_lo
	s_waitcnt vmcnt(0)
	v_cmp_le_i16_e32 vcc_lo, v10, v11
	v_cmp_lt_i16_e64 s3, v10, v11
	s_and_b32 s25, vcc_lo, s24
	s_delay_alu instid0(VALU_DEP_1) | instid1(SALU_CYCLE_1)
	s_or_b32 s25, s3, s25
	s_delay_alu instid0(SALU_CYCLE_1) | instskip(NEXT) | instid1(SALU_CYCLE_1)
	s_and_b32 s3, s25, exec_lo
	s_or_b32 s22, s22, s3
	s_mov_b32 s3, exec_lo
	v_cmpx_eq_u16_e64 v10, v11
	s_cbranch_execz .LBB634_772
; %bb.774:                              ;   in Loop: Header=BB634_773 Depth=1
	s_add_u32 s4, s4, -1
	s_addc_u32 s5, s5, -1
	v_add_co_u32 v4, vcc_lo, v4, 2
	s_cmp_eq_u64 s[4:5], 0
	v_add_co_ci_u32_e32 v5, vcc_lo, 0, v5, vcc_lo
	v_add_co_u32 v6, vcc_lo, v6, 2
	s_cselect_b32 s24, -1, 0
	v_add_co_ci_u32_e32 v7, vcc_lo, 0, v7, vcc_lo
	s_and_not1_b32 s23, s23, exec_lo
	s_and_b32 s25, s25, exec_lo
	s_and_not1_b32 s21, s21, exec_lo
	s_and_b32 s24, s24, exec_lo
	s_or_b32 s23, s23, s25
	s_and_not1_b32 s22, s22, exec_lo
	s_or_b32 s21, s21, s24
                                        ; implicit-def: $sgpr24
	s_branch .LBB634_772
.LBB634_775:
	s_set_inst_prefetch_distance 0x2
	s_or_b32 exec_lo, exec_lo, s17
	s_xor_b32 s3, s20, -1
	s_branch .LBB634_777
.LBB634_776:
	s_mov_b32 s3, -1
.LBB634_777:
	s_and_not1_b32 s4, s7, exec_lo
	s_and_b32 s3, s3, exec_lo
	s_delay_alu instid0(SALU_CYCLE_1)
	s_or_b32 s7, s4, s3
.LBB634_778:
	s_or_b32 exec_lo, exec_lo, s13
	v_cndmask_b32_e64 v4, v9, v8, s7
	v_cndmask_b32_e64 v5, v20, v22, s7
	s_mov_b32 s13, exec_lo
	s_delay_alu instid0(VALU_DEP_2) | instskip(NEXT) | instid1(VALU_DEP_2)
	v_add_nc_u32_e32 v6, 1, v4
	v_add_nc_u32_e32 v4, -1, v5
	s_delay_alu instid0(VALU_DEP_2) | instskip(NEXT) | instid1(VALU_DEP_2)
	v_cndmask_b32_e64 v9, v6, v9, s7
	v_min_u32_e32 v4, v6, v4
	v_cndmask_b32_e64 v8, v8, v6, s7
	s_delay_alu instid0(VALU_DEP_2)
	v_lshl_add_u32 v4, v4, 3, v18
	ds_load_b64 v[4:5], v4
	s_waitcnt lgkmcnt(0)
	v_cndmask_b32_e64 v19, v5, v3, s7
	v_cndmask_b32_e64 v21, v4, v2, s7
	;; [unrolled: 1-line block ×4, first 2 shown]
	v_cmpx_lt_u32_e64 v9, v20
	s_cbranch_execz .LBB634_789
; %bb.779:
	s_mov_b32 s3, 0
	s_mov_b32 s12, exec_lo
	v_cmpx_lt_u32_e64 v8, v22
	s_cbranch_execz .LBB634_788
; %bb.780:
	s_and_not1_b32 vcc_lo, exec_lo, s16
	s_cbranch_vccnz .LBB634_786
; %bb.781:
	v_mul_lo_u32 v10, v19, s8
	v_mul_lo_u32 v11, v21, s9
	v_mad_u64_u32 v[4:5], null, v21, s8, 0
	v_mul_lo_u32 v25, v23, s8
	v_mul_lo_u32 v28, v24, s9
	v_mad_u64_u32 v[6:7], null, v24, s8, 0
	s_mov_b32 s17, 0
	s_mov_b64 s[4:5], s[8:9]
	s_delay_alu instid0(VALU_DEP_4) | instskip(NEXT) | instid1(VALU_DEP_2)
	v_add3_u32 v5, v5, v11, v10
                                        ; implicit-def: $sgpr20
                                        ; implicit-def: $sgpr21
                                        ; implicit-def: $sgpr22
                                        ; implicit-def: $sgpr23
                                        ; implicit-def: $sgpr24
	v_add3_u32 v7, v7, v28, v25
	s_delay_alu instid0(VALU_DEP_2) | instskip(NEXT) | instid1(VALU_DEP_2)
	v_lshlrev_b64 v[4:5], 1, v[4:5]
	v_lshlrev_b64 v[6:7], 1, v[6:7]
	s_delay_alu instid0(VALU_DEP_2) | instskip(NEXT) | instid1(VALU_DEP_3)
	v_add_co_u32 v4, vcc_lo, s10, v4
	v_add_co_ci_u32_e32 v5, vcc_lo, s11, v5, vcc_lo
	s_delay_alu instid0(VALU_DEP_3) | instskip(NEXT) | instid1(VALU_DEP_4)
	v_add_co_u32 v6, vcc_lo, s10, v6
	v_add_co_ci_u32_e32 v7, vcc_lo, s11, v7, vcc_lo
	s_set_inst_prefetch_distance 0x1
	s_branch .LBB634_783
	.p2align	6
.LBB634_782:                            ;   in Loop: Header=BB634_783 Depth=1
	s_or_b32 exec_lo, exec_lo, s3
	s_delay_alu instid0(SALU_CYCLE_1) | instskip(NEXT) | instid1(SALU_CYCLE_1)
	s_and_b32 s3, exec_lo, s21
	s_or_b32 s17, s3, s17
	s_and_not1_b32 s3, s24, exec_lo
	s_and_b32 s24, s23, exec_lo
	s_and_not1_b32 s20, s20, exec_lo
	s_and_b32 s25, s22, exec_lo
	s_or_b32 s24, s3, s24
	s_or_b32 s20, s20, s25
	s_and_not1_b32 exec_lo, exec_lo, s17
	s_cbranch_execz .LBB634_785
.LBB634_783:                            ; =>This Inner Loop Header: Depth=1
	global_load_u16 v10, v[4:5], off
	global_load_u16 v11, v[6:7], off
	s_and_not1_b32 s22, s22, exec_lo
	s_and_not1_b32 s23, s23, exec_lo
	s_or_b32 s21, s21, exec_lo
	s_waitcnt vmcnt(0)
	v_cmp_le_i16_e32 vcc_lo, v10, v11
	v_cmp_lt_i16_e64 s3, v10, v11
	s_and_b32 s25, vcc_lo, s24
	s_delay_alu instid0(VALU_DEP_1) | instid1(SALU_CYCLE_1)
	s_or_b32 s25, s3, s25
	s_delay_alu instid0(SALU_CYCLE_1) | instskip(NEXT) | instid1(SALU_CYCLE_1)
	s_and_b32 s3, s25, exec_lo
	s_or_b32 s22, s22, s3
	s_mov_b32 s3, exec_lo
	v_cmpx_eq_u16_e64 v10, v11
	s_cbranch_execz .LBB634_782
; %bb.784:                              ;   in Loop: Header=BB634_783 Depth=1
	s_add_u32 s4, s4, -1
	s_addc_u32 s5, s5, -1
	v_add_co_u32 v4, vcc_lo, v4, 2
	s_cmp_eq_u64 s[4:5], 0
	v_add_co_ci_u32_e32 v5, vcc_lo, 0, v5, vcc_lo
	v_add_co_u32 v6, vcc_lo, v6, 2
	s_cselect_b32 s24, -1, 0
	v_add_co_ci_u32_e32 v7, vcc_lo, 0, v7, vcc_lo
	s_and_not1_b32 s23, s23, exec_lo
	s_and_b32 s25, s25, exec_lo
	s_and_not1_b32 s21, s21, exec_lo
	s_and_b32 s24, s24, exec_lo
	s_or_b32 s23, s23, s25
	s_and_not1_b32 s22, s22, exec_lo
	s_or_b32 s21, s21, s24
                                        ; implicit-def: $sgpr24
	s_branch .LBB634_782
.LBB634_785:
	s_set_inst_prefetch_distance 0x2
	s_or_b32 exec_lo, exec_lo, s17
	s_xor_b32 s3, s20, -1
	s_branch .LBB634_787
.LBB634_786:
	s_mov_b32 s3, -1
.LBB634_787:
	s_delay_alu instid0(SALU_CYCLE_1)
	s_and_b32 s3, s3, exec_lo
.LBB634_788:
	s_or_b32 exec_lo, exec_lo, s12
	s_delay_alu instid0(SALU_CYCLE_1)
	s_or_not1_b32 s12, s3, exec_lo
.LBB634_789:
	s_or_b32 exec_lo, exec_lo, s13
	v_cndmask_b32_e64 v4, v9, v8, s12
	v_cndmask_b32_e64 v5, v20, v22, s12
	s_mov_b32 s13, -1
	s_mov_b32 s17, exec_lo
	s_delay_alu instid0(VALU_DEP_2) | instskip(NEXT) | instid1(VALU_DEP_2)
	v_add_nc_u32_e32 v6, 1, v4
	v_add_nc_u32_e32 v4, -1, v5
	s_delay_alu instid0(VALU_DEP_2) | instskip(NEXT) | instid1(VALU_DEP_2)
	v_cndmask_b32_e64 v9, v6, v9, s12
	v_min_u32_e32 v4, v6, v4
	v_cndmask_b32_e64 v8, v8, v6, s12
	s_delay_alu instid0(VALU_DEP_2)
	v_lshl_add_u32 v4, v4, 3, v18
	ds_load_b64 v[4:5], v4
	s_waitcnt lgkmcnt(0)
	v_cndmask_b32_e64 v25, v5, v19, s12
	v_cndmask_b32_e64 v28, v4, v21, s12
	;; [unrolled: 1-line block ×4, first 2 shown]
	v_cmpx_lt_u32_e64 v9, v20
	s_cbranch_execz .LBB634_800
; %bb.790:
	s_mov_b32 s3, 0
	s_mov_b32 s13, exec_lo
	v_cmpx_lt_u32_e64 v8, v22
	s_cbranch_execz .LBB634_799
; %bb.791:
	s_and_not1_b32 vcc_lo, exec_lo, s16
	s_cbranch_vccnz .LBB634_797
; %bb.792:
	v_mul_lo_u32 v10, v25, s8
	v_mul_lo_u32 v11, v28, s9
	v_mad_u64_u32 v[4:5], null, v28, s8, 0
	v_mul_lo_u32 v31, v29, s8
	v_mul_lo_u32 v32, v30, s9
	v_mad_u64_u32 v[6:7], null, v30, s8, 0
	s_mov_b32 s20, 0
	s_mov_b64 s[4:5], s[8:9]
	s_delay_alu instid0(VALU_DEP_4) | instskip(NEXT) | instid1(VALU_DEP_2)
	v_add3_u32 v5, v5, v11, v10
                                        ; implicit-def: $sgpr21
                                        ; implicit-def: $sgpr22
                                        ; implicit-def: $sgpr23
                                        ; implicit-def: $sgpr24
                                        ; implicit-def: $sgpr25
	v_add3_u32 v7, v7, v32, v31
	s_delay_alu instid0(VALU_DEP_2) | instskip(NEXT) | instid1(VALU_DEP_2)
	v_lshlrev_b64 v[4:5], 1, v[4:5]
	v_lshlrev_b64 v[6:7], 1, v[6:7]
	s_delay_alu instid0(VALU_DEP_2) | instskip(NEXT) | instid1(VALU_DEP_3)
	v_add_co_u32 v4, vcc_lo, s10, v4
	v_add_co_ci_u32_e32 v5, vcc_lo, s11, v5, vcc_lo
	s_delay_alu instid0(VALU_DEP_3) | instskip(NEXT) | instid1(VALU_DEP_4)
	v_add_co_u32 v6, vcc_lo, s10, v6
	v_add_co_ci_u32_e32 v7, vcc_lo, s11, v7, vcc_lo
	s_set_inst_prefetch_distance 0x1
	s_branch .LBB634_794
	.p2align	6
.LBB634_793:                            ;   in Loop: Header=BB634_794 Depth=1
	s_or_b32 exec_lo, exec_lo, s3
	s_delay_alu instid0(SALU_CYCLE_1) | instskip(NEXT) | instid1(SALU_CYCLE_1)
	s_and_b32 s3, exec_lo, s22
	s_or_b32 s20, s3, s20
	s_and_not1_b32 s3, s25, exec_lo
	s_and_b32 s25, s24, exec_lo
	s_and_not1_b32 s21, s21, exec_lo
	s_and_b32 s26, s23, exec_lo
	s_or_b32 s25, s3, s25
	s_or_b32 s21, s21, s26
	s_and_not1_b32 exec_lo, exec_lo, s20
	s_cbranch_execz .LBB634_796
.LBB634_794:                            ; =>This Inner Loop Header: Depth=1
	global_load_u16 v10, v[4:5], off
	global_load_u16 v11, v[6:7], off
	s_and_not1_b32 s23, s23, exec_lo
	s_and_not1_b32 s24, s24, exec_lo
	s_or_b32 s22, s22, exec_lo
	s_waitcnt vmcnt(0)
	v_cmp_le_i16_e32 vcc_lo, v10, v11
	v_cmp_lt_i16_e64 s3, v10, v11
	s_and_b32 s26, vcc_lo, s25
	s_delay_alu instid0(VALU_DEP_1) | instid1(SALU_CYCLE_1)
	s_or_b32 s26, s3, s26
	s_delay_alu instid0(SALU_CYCLE_1) | instskip(NEXT) | instid1(SALU_CYCLE_1)
	s_and_b32 s3, s26, exec_lo
	s_or_b32 s23, s23, s3
	s_mov_b32 s3, exec_lo
	v_cmpx_eq_u16_e64 v10, v11
	s_cbranch_execz .LBB634_793
; %bb.795:                              ;   in Loop: Header=BB634_794 Depth=1
	s_add_u32 s4, s4, -1
	s_addc_u32 s5, s5, -1
	v_add_co_u32 v4, vcc_lo, v4, 2
	s_cmp_eq_u64 s[4:5], 0
	v_add_co_ci_u32_e32 v5, vcc_lo, 0, v5, vcc_lo
	v_add_co_u32 v6, vcc_lo, v6, 2
	s_cselect_b32 s25, -1, 0
	v_add_co_ci_u32_e32 v7, vcc_lo, 0, v7, vcc_lo
	s_and_not1_b32 s24, s24, exec_lo
	s_and_b32 s26, s26, exec_lo
	s_and_not1_b32 s22, s22, exec_lo
	s_and_b32 s25, s25, exec_lo
	s_or_b32 s24, s24, s26
	s_and_not1_b32 s23, s23, exec_lo
	s_or_b32 s22, s22, s25
                                        ; implicit-def: $sgpr25
	s_branch .LBB634_793
.LBB634_796:
	s_set_inst_prefetch_distance 0x2
	s_or_b32 exec_lo, exec_lo, s20
	s_xor_b32 s3, s21, -1
	s_branch .LBB634_798
.LBB634_797:
	s_mov_b32 s3, -1
.LBB634_798:
	s_delay_alu instid0(SALU_CYCLE_1)
	s_and_b32 s3, s3, exec_lo
.LBB634_799:
	s_or_b32 exec_lo, exec_lo, s13
	s_delay_alu instid0(SALU_CYCLE_1)
	s_or_not1_b32 s13, s3, exec_lo
.LBB634_800:
	s_or_b32 exec_lo, exec_lo, s17
	v_cndmask_b32_e64 v4, v9, v8, s13
	v_cndmask_b32_e64 v5, v20, v22, s13
	s_mov_b32 s17, exec_lo
	s_delay_alu instid0(VALU_DEP_2) | instskip(NEXT) | instid1(VALU_DEP_2)
	v_add_nc_u32_e32 v10, 1, v4
	v_add_nc_u32_e32 v4, -1, v5
	s_delay_alu instid0(VALU_DEP_2) | instskip(NEXT) | instid1(VALU_DEP_2)
	v_cndmask_b32_e64 v9, v10, v9, s13
	v_min_u32_e32 v4, v10, v4
	s_delay_alu instid0(VALU_DEP_1)
	v_lshl_add_u32 v4, v4, 3, v18
	ds_load_b64 v[4:5], v4
	s_waitcnt lgkmcnt(0)
	v_cndmask_b32_e64 v7, v29, v5, s13
	v_cndmask_b32_e64 v6, v30, v4, s13
	v_cmpx_lt_u32_e64 v9, v20
	s_cbranch_execz .LBB634_810
; %bb.801:
	v_cndmask_b32_e64 v8, v8, v10, s13
	v_cndmask_b32_e64 v5, v5, v25, s13
	;; [unrolled: 1-line block ×3, first 2 shown]
	s_mov_b32 s20, exec_lo
	s_delay_alu instid0(VALU_DEP_3)
	v_cmpx_lt_u32_e64 v8, v22
	s_cbranch_execz .LBB634_809
; %bb.802:
	s_and_not1_b32 vcc_lo, exec_lo, s16
	s_cbranch_vccnz .LBB634_808
; %bb.803:
	v_mul_lo_u32 v18, v5, s8
	v_mul_lo_u32 v20, v4, s9
	v_mad_u64_u32 v[8:9], null, v4, s8, 0
	v_mul_lo_u32 v22, v7, s8
	v_mul_lo_u32 v31, v6, s9
	v_mad_u64_u32 v[10:11], null, v6, s8, 0
	s_mov_b32 s21, 0
	s_mov_b64 s[4:5], s[8:9]
	s_delay_alu instid0(VALU_DEP_4) | instskip(NEXT) | instid1(VALU_DEP_2)
	v_add3_u32 v9, v9, v20, v18
                                        ; implicit-def: $sgpr22
                                        ; implicit-def: $sgpr23
                                        ; implicit-def: $sgpr24
                                        ; implicit-def: $sgpr25
                                        ; implicit-def: $sgpr26
	v_add3_u32 v11, v11, v31, v22
	s_delay_alu instid0(VALU_DEP_2) | instskip(NEXT) | instid1(VALU_DEP_2)
	v_lshlrev_b64 v[8:9], 1, v[8:9]
	v_lshlrev_b64 v[10:11], 1, v[10:11]
	s_delay_alu instid0(VALU_DEP_2) | instskip(NEXT) | instid1(VALU_DEP_3)
	v_add_co_u32 v8, vcc_lo, s10, v8
	v_add_co_ci_u32_e32 v9, vcc_lo, s11, v9, vcc_lo
	s_delay_alu instid0(VALU_DEP_3) | instskip(NEXT) | instid1(VALU_DEP_4)
	v_add_co_u32 v10, vcc_lo, s10, v10
	v_add_co_ci_u32_e32 v11, vcc_lo, s11, v11, vcc_lo
	s_set_inst_prefetch_distance 0x1
	s_branch .LBB634_805
	.p2align	6
.LBB634_804:                            ;   in Loop: Header=BB634_805 Depth=1
	s_or_b32 exec_lo, exec_lo, s3
	s_delay_alu instid0(SALU_CYCLE_1) | instskip(NEXT) | instid1(SALU_CYCLE_1)
	s_and_b32 s3, exec_lo, s23
	s_or_b32 s21, s3, s21
	s_and_not1_b32 s3, s26, exec_lo
	s_and_b32 s26, s25, exec_lo
	s_and_not1_b32 s22, s22, exec_lo
	s_and_b32 s27, s24, exec_lo
	s_or_b32 s26, s3, s26
	s_or_b32 s22, s22, s27
	s_and_not1_b32 exec_lo, exec_lo, s21
	s_cbranch_execz .LBB634_807
.LBB634_805:                            ; =>This Inner Loop Header: Depth=1
	global_load_u16 v18, v[8:9], off
	global_load_u16 v20, v[10:11], off
	s_and_not1_b32 s24, s24, exec_lo
	s_and_not1_b32 s25, s25, exec_lo
	s_or_b32 s23, s23, exec_lo
	s_waitcnt vmcnt(0)
	v_cmp_le_i16_e32 vcc_lo, v18, v20
	v_cmp_lt_i16_e64 s3, v18, v20
	s_and_b32 s27, vcc_lo, s26
	s_delay_alu instid0(VALU_DEP_1) | instid1(SALU_CYCLE_1)
	s_or_b32 s27, s3, s27
	s_delay_alu instid0(SALU_CYCLE_1) | instskip(NEXT) | instid1(SALU_CYCLE_1)
	s_and_b32 s3, s27, exec_lo
	s_or_b32 s24, s24, s3
	s_mov_b32 s3, exec_lo
	v_cmpx_eq_u16_e64 v18, v20
	s_cbranch_execz .LBB634_804
; %bb.806:                              ;   in Loop: Header=BB634_805 Depth=1
	s_add_u32 s4, s4, -1
	s_addc_u32 s5, s5, -1
	v_add_co_u32 v8, vcc_lo, v8, 2
	s_cmp_eq_u64 s[4:5], 0
	v_add_co_ci_u32_e32 v9, vcc_lo, 0, v9, vcc_lo
	v_add_co_u32 v10, vcc_lo, v10, 2
	s_cselect_b32 s26, -1, 0
	v_add_co_ci_u32_e32 v11, vcc_lo, 0, v11, vcc_lo
	s_and_not1_b32 s25, s25, exec_lo
	s_and_b32 s27, s27, exec_lo
	s_and_not1_b32 s23, s23, exec_lo
	s_and_b32 s26, s26, exec_lo
	s_or_b32 s25, s25, s27
	s_and_not1_b32 s24, s24, exec_lo
	s_or_b32 s23, s23, s26
                                        ; implicit-def: $sgpr26
	s_branch .LBB634_804
.LBB634_807:
	s_set_inst_prefetch_distance 0x2
	s_or_b32 exec_lo, exec_lo, s21
	v_cndmask_b32_e64 v7, v7, v5, s22
	v_cndmask_b32_e64 v6, v6, v4, s22
.LBB634_808:
	s_delay_alu instid0(VALU_DEP_1)
	v_dual_mov_b32 v4, v6 :: v_dual_mov_b32 v5, v7
.LBB634_809:
	s_or_b32 exec_lo, exec_lo, s20
	s_delay_alu instid0(VALU_DEP_1)
	v_dual_mov_b32 v7, v5 :: v_dual_mov_b32 v6, v4
.LBB634_810:
	s_or_b32 exec_lo, exec_lo, s17
	v_cndmask_b32_e64 v1, v3, v1, s7
	v_cndmask_b32_e64 v0, v2, v0, s7
	v_cndmask_b32_e64 v3, v19, v23, s12
	v_cndmask_b32_e64 v2, v21, v24, s12
	v_cndmask_b32_e64 v5, v25, v29, s13
	v_cndmask_b32_e64 v4, v28, v30, s13
.LBB634_811:
	s_or_b32 exec_lo, exec_lo, s6
	s_cmpk_lt_u32 s18, 0x41
	; wave barrier
	s_waitcnt lgkmcnt(0)
	s_barrier
	buffer_gl0_inv
	s_cbranch_scc1 .LBB634_871
; %bb.812:
	v_lshlrev_b32_e32 v18, 3, v27
	s_lshl_b64 s[4:5], s[8:9], 1
	s_mov_b32 s12, 64
	s_branch .LBB634_818
.LBB634_813:                            ;   in Loop: Header=BB634_818 Depth=1
	s_set_inst_prefetch_distance 0x2
	s_or_b32 exec_lo, exec_lo, s24
	v_cndmask_b32_e64 v7, v7, v5, s25
	v_cndmask_b32_e64 v6, v6, v4, s25
.LBB634_814:                            ;   in Loop: Header=BB634_818 Depth=1
	s_delay_alu instid0(VALU_DEP_1)
	v_dual_mov_b32 v4, v6 :: v_dual_mov_b32 v5, v7
.LBB634_815:                            ;   in Loop: Header=BB634_818 Depth=1
	s_or_b32 exec_lo, exec_lo, s23
	s_delay_alu instid0(VALU_DEP_1)
	v_dual_mov_b32 v7, v5 :: v_dual_mov_b32 v6, v4
.LBB634_816:                            ;   in Loop: Header=BB634_818 Depth=1
	s_or_b32 exec_lo, exec_lo, s22
	v_cndmask_b32_e64 v1, v3, v1, s17
	v_cndmask_b32_e64 v0, v2, v0, s17
	;; [unrolled: 1-line block ×6, first 2 shown]
.LBB634_817:                            ;   in Loop: Header=BB634_818 Depth=1
	s_or_b32 exec_lo, exec_lo, s13
	s_cmp_lt_u32 s12, s18
	s_barrier
	buffer_gl0_inv
	s_cbranch_scc0 .LBB634_871
.LBB634_818:                            ; =>This Loop Header: Depth=1
                                        ;     Child Loop BB634_822 Depth 2
                                        ;       Child Loop BB634_825 Depth 3
                                        ;     Child Loop BB634_837 Depth 2
                                        ;     Child Loop BB634_847 Depth 2
	;; [unrolled: 1-line block ×4, first 2 shown]
	s_mov_b32 s3, s12
	s_lshl_b32 s12, s12, 1
	s_mov_b32 s13, exec_lo
	s_sub_i32 s6, 0, s12
	ds_store_b128 v18, v[0:3]
	ds_store_b128 v18, v[4:7] offset:16
	v_and_b32_e32 v23, s6, v27
	s_waitcnt lgkmcnt(0)
	s_barrier
	buffer_gl0_inv
	v_add_nc_u32_e32 v8, s3, v23
	v_lshlrev_b32_e32 v22, 3, v23
	s_delay_alu instid0(VALU_DEP_2) | instskip(NEXT) | instid1(VALU_DEP_1)
	v_min_u32_e32 v19, s18, v8
	v_add_nc_u32_e32 v8, s3, v19
	s_add_i32 s3, s12, -1
	s_delay_alu instid0(SALU_CYCLE_1) | instskip(NEXT) | instid1(VALU_DEP_2)
	v_and_b32_e32 v9, s3, v27
	v_min_u32_e32 v20, s18, v8
	v_sub_nc_u32_e32 v8, v19, v23
	s_delay_alu instid0(VALU_DEP_3) | instskip(NEXT) | instid1(VALU_DEP_3)
	v_min_u32_e32 v24, s18, v9
	v_sub_nc_u32_e32 v9, v20, v19
	s_delay_alu instid0(VALU_DEP_2) | instskip(NEXT) | instid1(VALU_DEP_2)
	v_min_u32_e32 v25, v24, v8
	v_sub_nc_u32_e64 v21, v24, v9 clamp
	s_delay_alu instid0(VALU_DEP_1)
	v_cmpx_lt_u32_e64 v21, v25
	s_cbranch_execz .LBB634_828
; %bb.819:                              ;   in Loop: Header=BB634_818 Depth=1
	v_lshlrev_b32_e32 v8, 3, v24
	s_mov_b32 s17, 0
	s_delay_alu instid0(VALU_DEP_1)
	v_lshl_add_u32 v28, v19, 3, v8
	s_branch .LBB634_822
.LBB634_820:                            ;   in Loop: Header=BB634_822 Depth=2
	s_set_inst_prefetch_distance 0x2
	s_or_b32 exec_lo, exec_lo, s20
.LBB634_821:                            ;   in Loop: Header=BB634_822 Depth=2
	s_delay_alu instid0(VALU_DEP_1) | instskip(SKIP_1) | instid1(VALU_DEP_2)
	v_add_nc_u32_e32 v8, 1, v29
	v_cndmask_b32_e64 v25, v25, v29, s21
	v_cndmask_b32_e64 v21, v8, v21, s21
	s_delay_alu instid0(VALU_DEP_1) | instskip(SKIP_1) | instid1(SALU_CYCLE_1)
	v_cmp_ge_u32_e32 vcc_lo, v21, v25
	s_or_b32 s17, vcc_lo, s17
	s_and_not1_b32 exec_lo, exec_lo, s17
	s_cbranch_execz .LBB634_827
.LBB634_822:                            ;   Parent Loop BB634_818 Depth=1
                                        ; =>  This Loop Header: Depth=2
                                        ;       Child Loop BB634_825 Depth 3
	v_add_nc_u32_e32 v8, v25, v21
	s_and_not1_b32 vcc_lo, exec_lo, s16
	s_mov_b32 s21, 0
	s_delay_alu instid0(VALU_DEP_1)
	v_lshrrev_b32_e32 v29, 1, v8
	s_cbranch_vccnz .LBB634_821
; %bb.823:                              ;   in Loop: Header=BB634_822 Depth=2
	s_delay_alu instid0(VALU_DEP_1) | instskip(SKIP_3) | instid1(VALU_DEP_2)
	v_not_b32_e32 v8, v29
	v_lshl_add_u32 v9, v29, 3, v22
	s_mov_b32 s20, 0
	s_mov_b64 s[6:7], s[8:9]
                                        ; implicit-def: $sgpr21
                                        ; implicit-def: $sgpr22
                                        ; implicit-def: $sgpr23
                                        ; implicit-def: $sgpr24
                                        ; implicit-def: $sgpr25
	v_lshl_add_u32 v8, v8, 3, v28
	ds_load_b64 v[10:11], v8
	ds_load_b64 v[30:31], v9
	s_waitcnt lgkmcnt(1)
	v_mul_lo_u32 v32, s4, v11
	v_mul_lo_u32 v33, s5, v10
	v_mad_u64_u32 v[8:9], null, s4, v10, s[10:11]
	s_waitcnt lgkmcnt(0)
	v_mul_lo_u32 v31, s4, v31
	v_mul_lo_u32 v34, s5, v30
	v_mad_u64_u32 v[10:11], null, s4, v30, s[10:11]
	s_delay_alu instid0(VALU_DEP_4) | instskip(NEXT) | instid1(VALU_DEP_2)
	v_add3_u32 v9, v33, v9, v32
	v_add3_u32 v11, v34, v11, v31
	s_set_inst_prefetch_distance 0x1
	s_branch .LBB634_825
	.p2align	6
.LBB634_824:                            ;   in Loop: Header=BB634_825 Depth=3
	s_or_b32 exec_lo, exec_lo, s3
	s_delay_alu instid0(SALU_CYCLE_1) | instskip(NEXT) | instid1(SALU_CYCLE_1)
	s_and_b32 s3, exec_lo, s22
	s_or_b32 s20, s3, s20
	s_and_not1_b32 s3, s25, exec_lo
	s_and_b32 s25, s23, exec_lo
	s_and_not1_b32 s21, s21, exec_lo
	s_and_b32 s26, s24, exec_lo
	s_or_b32 s25, s3, s25
	s_or_b32 s21, s21, s26
	s_and_not1_b32 exec_lo, exec_lo, s20
	s_cbranch_execz .LBB634_820
.LBB634_825:                            ;   Parent Loop BB634_818 Depth=1
                                        ;     Parent Loop BB634_822 Depth=2
                                        ; =>    This Inner Loop Header: Depth=3
	global_load_u16 v30, v[8:9], off
	global_load_u16 v31, v[10:11], off
	s_and_not1_b32 s24, s24, exec_lo
	s_and_not1_b32 s23, s23, exec_lo
	s_or_b32 s22, s22, exec_lo
	s_waitcnt vmcnt(0)
	v_cmp_le_i16_e32 vcc_lo, v30, v31
	v_cmp_lt_i16_e64 s3, v30, v31
	s_and_b32 s26, vcc_lo, s25
	s_delay_alu instid0(VALU_DEP_1) | instid1(SALU_CYCLE_1)
	s_or_b32 s26, s3, s26
	s_delay_alu instid0(SALU_CYCLE_1) | instskip(NEXT) | instid1(SALU_CYCLE_1)
	s_and_b32 s3, s26, exec_lo
	s_or_b32 s24, s24, s3
	s_mov_b32 s3, exec_lo
	v_cmpx_eq_u16_e64 v30, v31
	s_cbranch_execz .LBB634_824
; %bb.826:                              ;   in Loop: Header=BB634_825 Depth=3
	s_add_u32 s6, s6, -1
	s_addc_u32 s7, s7, -1
	v_add_co_u32 v8, vcc_lo, v8, 2
	v_add_co_ci_u32_e32 v9, vcc_lo, 0, v9, vcc_lo
	s_cmp_eq_u64 s[6:7], 0
	v_add_co_u32 v10, vcc_lo, v10, 2
	s_cselect_b32 s25, -1, 0
	v_add_co_ci_u32_e32 v11, vcc_lo, 0, v11, vcc_lo
	s_and_not1_b32 s23, s23, exec_lo
	s_and_b32 s26, s26, exec_lo
	s_and_not1_b32 s22, s22, exec_lo
	s_and_b32 s25, s25, exec_lo
	s_and_not1_b32 s24, s24, exec_lo
	s_or_b32 s23, s23, s26
	s_or_b32 s22, s22, s25
                                        ; implicit-def: $sgpr25
	s_branch .LBB634_824
.LBB634_827:                            ;   in Loop: Header=BB634_818 Depth=1
	s_or_b32 exec_lo, exec_lo, s17
.LBB634_828:                            ;   in Loop: Header=BB634_818 Depth=1
	s_delay_alu instid0(SALU_CYCLE_1) | instskip(SKIP_2) | instid1(VALU_DEP_2)
	s_or_b32 exec_lo, exec_lo, s13
	v_sub_nc_u32_e32 v9, v24, v21
	v_add_nc_u32_e32 v8, v21, v23
	v_add_nc_u32_e32 v9, v9, v19
	s_delay_alu instid0(VALU_DEP_2) | instskip(NEXT) | instid1(VALU_DEP_2)
	v_cmp_le_u32_e32 vcc_lo, v8, v19
	v_cmp_le_u32_e64 s3, v9, v20
	s_delay_alu instid0(VALU_DEP_1) | instskip(NEXT) | instid1(SALU_CYCLE_1)
	s_or_b32 s3, vcc_lo, s3
	s_and_saveexec_b32 s13, s3
	s_cbranch_execz .LBB634_817
; %bb.829:                              ;   in Loop: Header=BB634_818 Depth=1
	v_cmp_ge_u32_e32 vcc_lo, v8, v19
	s_mov_b32 s6, exec_lo
                                        ; implicit-def: $vgpr0_vgpr1
	v_cmpx_lt_u32_e64 v8, v19
	s_cbranch_execz .LBB634_831
; %bb.830:                              ;   in Loop: Header=BB634_818 Depth=1
	v_lshl_add_u32 v0, v21, 3, v22
	ds_load_b64 v[0:1], v0
.LBB634_831:                            ;   in Loop: Header=BB634_818 Depth=1
	s_or_b32 exec_lo, exec_lo, s6
	v_cmp_ge_u32_e64 s17, v9, v20
	s_mov_b32 s6, exec_lo
                                        ; implicit-def: $vgpr2_vgpr3
	v_cmpx_lt_u32_e64 v9, v20
	s_cbranch_execz .LBB634_833
; %bb.832:                              ;   in Loop: Header=BB634_818 Depth=1
	v_lshlrev_b32_e32 v2, 3, v9
	ds_load_b64 v[2:3], v2
.LBB634_833:                            ;   in Loop: Header=BB634_818 Depth=1
	s_or_b32 exec_lo, exec_lo, s6
	s_or_b32 s3, vcc_lo, s17
	s_delay_alu instid0(SALU_CYCLE_1) | instskip(NEXT) | instid1(SALU_CYCLE_1)
	s_xor_b32 s3, s3, -1
	s_and_saveexec_b32 s20, s3
	s_cbranch_execz .LBB634_842
; %bb.834:                              ;   in Loop: Header=BB634_818 Depth=1
	s_and_not1_b32 vcc_lo, exec_lo, s16
	s_cbranch_vccnz .LBB634_840
; %bb.835:                              ;   in Loop: Header=BB634_818 Depth=1
	s_waitcnt lgkmcnt(0)
	v_mad_u64_u32 v[4:5], null, s4, v2, s[10:11]
	v_mul_lo_u32 v10, s4, v3
	v_mul_lo_u32 v11, s5, v2
	v_mad_u64_u32 v[6:7], null, s4, v0, s[10:11]
	v_mul_lo_u32 v21, s4, v1
	v_mul_lo_u32 v22, s5, v0
	s_mov_b32 s21, 0
	s_mov_b64 s[6:7], s[8:9]
                                        ; implicit-def: $sgpr22
                                        ; implicit-def: $sgpr23
                                        ; implicit-def: $sgpr24
                                        ; implicit-def: $sgpr25
                                        ; implicit-def: $sgpr26
	s_delay_alu instid0(VALU_DEP_4) | instskip(NEXT) | instid1(VALU_DEP_2)
	v_add3_u32 v5, v11, v5, v10
	v_add3_u32 v7, v22, v7, v21
	s_set_inst_prefetch_distance 0x1
	s_branch .LBB634_837
	.p2align	6
.LBB634_836:                            ;   in Loop: Header=BB634_837 Depth=2
	s_or_b32 exec_lo, exec_lo, s3
	s_delay_alu instid0(SALU_CYCLE_1) | instskip(NEXT) | instid1(SALU_CYCLE_1)
	s_and_b32 s3, exec_lo, s23
	s_or_b32 s21, s3, s21
	s_and_not1_b32 s3, s26, exec_lo
	s_and_b32 s26, s25, exec_lo
	s_and_not1_b32 s22, s22, exec_lo
	s_and_b32 s27, s24, exec_lo
	s_or_b32 s26, s3, s26
	s_or_b32 s22, s22, s27
	s_and_not1_b32 exec_lo, exec_lo, s21
	s_cbranch_execz .LBB634_839
.LBB634_837:                            ;   Parent Loop BB634_818 Depth=1
                                        ; =>  This Inner Loop Header: Depth=2
	global_load_u16 v10, v[4:5], off
	global_load_u16 v11, v[6:7], off
	s_and_not1_b32 s24, s24, exec_lo
	s_and_not1_b32 s25, s25, exec_lo
	s_or_b32 s23, s23, exec_lo
	s_waitcnt vmcnt(0)
	v_cmp_le_i16_e32 vcc_lo, v10, v11
	v_cmp_lt_i16_e64 s3, v10, v11
	s_and_b32 s27, vcc_lo, s26
	s_delay_alu instid0(VALU_DEP_1) | instid1(SALU_CYCLE_1)
	s_or_b32 s27, s3, s27
	s_delay_alu instid0(SALU_CYCLE_1) | instskip(NEXT) | instid1(SALU_CYCLE_1)
	s_and_b32 s3, s27, exec_lo
	s_or_b32 s24, s24, s3
	s_mov_b32 s3, exec_lo
	v_cmpx_eq_u16_e64 v10, v11
	s_cbranch_execz .LBB634_836
; %bb.838:                              ;   in Loop: Header=BB634_837 Depth=2
	s_add_u32 s6, s6, -1
	s_addc_u32 s7, s7, -1
	v_add_co_u32 v4, vcc_lo, v4, 2
	s_cmp_eq_u64 s[6:7], 0
	v_add_co_ci_u32_e32 v5, vcc_lo, 0, v5, vcc_lo
	s_cselect_b32 s26, -1, 0
	s_and_not1_b32 s25, s25, exec_lo
	s_and_b32 s27, s27, exec_lo
	v_add_co_u32 v6, vcc_lo, v6, 2
	s_and_not1_b32 s23, s23, exec_lo
	s_and_b32 s26, s26, exec_lo
	v_add_co_ci_u32_e32 v7, vcc_lo, 0, v7, vcc_lo
	s_or_b32 s25, s25, s27
	s_and_not1_b32 s24, s24, exec_lo
	s_or_b32 s23, s23, s26
                                        ; implicit-def: $sgpr26
	s_branch .LBB634_836
.LBB634_839:                            ;   in Loop: Header=BB634_818 Depth=1
	s_set_inst_prefetch_distance 0x2
	s_or_b32 exec_lo, exec_lo, s21
	s_xor_b32 s3, s22, -1
	s_branch .LBB634_841
.LBB634_840:                            ;   in Loop: Header=BB634_818 Depth=1
	s_mov_b32 s3, -1
.LBB634_841:                            ;   in Loop: Header=BB634_818 Depth=1
	s_and_not1_b32 s6, s17, exec_lo
	s_and_b32 s3, s3, exec_lo
	s_delay_alu instid0(SALU_CYCLE_1)
	s_or_b32 s17, s6, s3
.LBB634_842:                            ;   in Loop: Header=BB634_818 Depth=1
	s_or_b32 exec_lo, exec_lo, s20
	v_cndmask_b32_e64 v4, v9, v8, s17
	v_cndmask_b32_e64 v5, v20, v19, s17
	s_mov_b32 s20, -1
	s_mov_b32 s21, -1
	s_mov_b32 s22, exec_lo
	v_add_nc_u32_e32 v6, 1, v4
	v_add_nc_u32_e32 v4, -1, v5
	s_delay_alu instid0(VALU_DEP_2) | instskip(NEXT) | instid1(VALU_DEP_2)
	v_cndmask_b32_e64 v9, v6, v9, s17
	v_min_u32_e32 v4, v6, v4
	v_cndmask_b32_e64 v8, v8, v6, s17
	s_delay_alu instid0(VALU_DEP_2)
	v_lshlrev_b32_e32 v4, 3, v4
	ds_load_b64 v[4:5], v4
	s_waitcnt lgkmcnt(0)
	v_cndmask_b32_e64 v21, v5, v3, s17
	v_cndmask_b32_e64 v22, v4, v2, s17
	;; [unrolled: 1-line block ×4, first 2 shown]
	v_cmpx_lt_u32_e64 v9, v20
	s_cbranch_execz .LBB634_853
; %bb.843:                              ;   in Loop: Header=BB634_818 Depth=1
	s_mov_b32 s3, 0
	s_mov_b32 s21, exec_lo
	v_cmpx_lt_u32_e64 v8, v19
	s_cbranch_execz .LBB634_852
; %bb.844:                              ;   in Loop: Header=BB634_818 Depth=1
	s_and_not1_b32 vcc_lo, exec_lo, s16
	s_cbranch_vccnz .LBB634_850
; %bb.845:                              ;   in Loop: Header=BB634_818 Depth=1
	v_mad_u64_u32 v[4:5], null, s4, v22, s[10:11]
	v_mul_lo_u32 v10, s4, v21
	v_mul_lo_u32 v11, s5, v22
	v_mad_u64_u32 v[6:7], null, s4, v24, s[10:11]
	v_mul_lo_u32 v25, s4, v23
	v_mul_lo_u32 v28, s5, v24
	s_mov_b32 s23, 0
	s_mov_b64 s[6:7], s[8:9]
                                        ; implicit-def: $sgpr24
                                        ; implicit-def: $sgpr25
                                        ; implicit-def: $sgpr26
                                        ; implicit-def: $sgpr27
                                        ; implicit-def: $sgpr28
	s_delay_alu instid0(VALU_DEP_4) | instskip(NEXT) | instid1(VALU_DEP_2)
	v_add3_u32 v5, v11, v5, v10
	v_add3_u32 v7, v28, v7, v25
	s_set_inst_prefetch_distance 0x1
	s_branch .LBB634_847
	.p2align	6
.LBB634_846:                            ;   in Loop: Header=BB634_847 Depth=2
	s_or_b32 exec_lo, exec_lo, s3
	s_delay_alu instid0(SALU_CYCLE_1) | instskip(NEXT) | instid1(SALU_CYCLE_1)
	s_and_b32 s3, exec_lo, s25
	s_or_b32 s23, s3, s23
	s_and_not1_b32 s3, s28, exec_lo
	s_and_b32 s28, s27, exec_lo
	s_and_not1_b32 s24, s24, exec_lo
	s_and_b32 s29, s26, exec_lo
	s_or_b32 s28, s3, s28
	s_or_b32 s24, s24, s29
	s_and_not1_b32 exec_lo, exec_lo, s23
	s_cbranch_execz .LBB634_849
.LBB634_847:                            ;   Parent Loop BB634_818 Depth=1
                                        ; =>  This Inner Loop Header: Depth=2
	global_load_u16 v10, v[4:5], off
	global_load_u16 v11, v[6:7], off
	s_and_not1_b32 s26, s26, exec_lo
	s_and_not1_b32 s27, s27, exec_lo
	s_or_b32 s25, s25, exec_lo
	s_waitcnt vmcnt(0)
	v_cmp_le_i16_e32 vcc_lo, v10, v11
	v_cmp_lt_i16_e64 s3, v10, v11
	s_and_b32 s29, vcc_lo, s28
	s_delay_alu instid0(VALU_DEP_1) | instid1(SALU_CYCLE_1)
	s_or_b32 s29, s3, s29
	s_delay_alu instid0(SALU_CYCLE_1) | instskip(NEXT) | instid1(SALU_CYCLE_1)
	s_and_b32 s3, s29, exec_lo
	s_or_b32 s26, s26, s3
	s_mov_b32 s3, exec_lo
	v_cmpx_eq_u16_e64 v10, v11
	s_cbranch_execz .LBB634_846
; %bb.848:                              ;   in Loop: Header=BB634_847 Depth=2
	s_add_u32 s6, s6, -1
	s_addc_u32 s7, s7, -1
	v_add_co_u32 v4, vcc_lo, v4, 2
	s_cmp_eq_u64 s[6:7], 0
	v_add_co_ci_u32_e32 v5, vcc_lo, 0, v5, vcc_lo
	v_add_co_u32 v6, vcc_lo, v6, 2
	s_cselect_b32 s28, -1, 0
	v_add_co_ci_u32_e32 v7, vcc_lo, 0, v7, vcc_lo
	s_and_not1_b32 s27, s27, exec_lo
	s_and_b32 s29, s29, exec_lo
	s_and_not1_b32 s25, s25, exec_lo
	s_and_b32 s28, s28, exec_lo
	s_or_b32 s27, s27, s29
	s_and_not1_b32 s26, s26, exec_lo
	s_or_b32 s25, s25, s28
                                        ; implicit-def: $sgpr28
	s_branch .LBB634_846
.LBB634_849:                            ;   in Loop: Header=BB634_818 Depth=1
	s_set_inst_prefetch_distance 0x2
	s_or_b32 exec_lo, exec_lo, s23
	s_xor_b32 s3, s24, -1
	s_branch .LBB634_851
.LBB634_850:                            ;   in Loop: Header=BB634_818 Depth=1
	s_mov_b32 s3, -1
.LBB634_851:                            ;   in Loop: Header=BB634_818 Depth=1
	s_delay_alu instid0(SALU_CYCLE_1)
	s_and_b32 s3, s3, exec_lo
.LBB634_852:                            ;   in Loop: Header=BB634_818 Depth=1
	s_or_b32 exec_lo, exec_lo, s21
	s_delay_alu instid0(SALU_CYCLE_1)
	s_or_not1_b32 s21, s3, exec_lo
.LBB634_853:                            ;   in Loop: Header=BB634_818 Depth=1
	s_or_b32 exec_lo, exec_lo, s22
	v_cndmask_b32_e64 v4, v9, v8, s21
	v_cndmask_b32_e64 v5, v20, v19, s21
	s_mov_b32 s22, exec_lo
	s_delay_alu instid0(VALU_DEP_2) | instskip(NEXT) | instid1(VALU_DEP_2)
	v_add_nc_u32_e32 v6, 1, v4
	v_add_nc_u32_e32 v4, -1, v5
	s_delay_alu instid0(VALU_DEP_2) | instskip(NEXT) | instid1(VALU_DEP_2)
	v_cndmask_b32_e64 v9, v6, v9, s21
	v_min_u32_e32 v4, v6, v4
	v_cndmask_b32_e64 v8, v8, v6, s21
	s_delay_alu instid0(VALU_DEP_2)
	v_lshlrev_b32_e32 v4, 3, v4
	ds_load_b64 v[4:5], v4
	s_waitcnt lgkmcnt(0)
	v_cndmask_b32_e64 v25, v5, v21, s21
	v_cndmask_b32_e64 v28, v4, v22, s21
	;; [unrolled: 1-line block ×4, first 2 shown]
	v_cmpx_lt_u32_e64 v9, v20
	s_cbranch_execz .LBB634_864
; %bb.854:                              ;   in Loop: Header=BB634_818 Depth=1
	s_mov_b32 s3, 0
	s_mov_b32 s20, exec_lo
	v_cmpx_lt_u32_e64 v8, v19
	s_cbranch_execz .LBB634_863
; %bb.855:                              ;   in Loop: Header=BB634_818 Depth=1
	s_and_not1_b32 vcc_lo, exec_lo, s16
	s_cbranch_vccnz .LBB634_861
; %bb.856:                              ;   in Loop: Header=BB634_818 Depth=1
	v_mad_u64_u32 v[4:5], null, s4, v28, s[10:11]
	v_mul_lo_u32 v10, s4, v25
	v_mul_lo_u32 v11, s5, v28
	v_mad_u64_u32 v[6:7], null, s4, v30, s[10:11]
	v_mul_lo_u32 v31, s4, v29
	v_mul_lo_u32 v32, s5, v30
	s_mov_b32 s23, 0
	s_mov_b64 s[6:7], s[8:9]
                                        ; implicit-def: $sgpr24
                                        ; implicit-def: $sgpr25
                                        ; implicit-def: $sgpr26
                                        ; implicit-def: $sgpr27
                                        ; implicit-def: $sgpr28
	s_delay_alu instid0(VALU_DEP_4) | instskip(NEXT) | instid1(VALU_DEP_2)
	v_add3_u32 v5, v11, v5, v10
	v_add3_u32 v7, v32, v7, v31
	s_set_inst_prefetch_distance 0x1
	s_branch .LBB634_858
	.p2align	6
.LBB634_857:                            ;   in Loop: Header=BB634_858 Depth=2
	s_or_b32 exec_lo, exec_lo, s3
	s_delay_alu instid0(SALU_CYCLE_1) | instskip(NEXT) | instid1(SALU_CYCLE_1)
	s_and_b32 s3, exec_lo, s25
	s_or_b32 s23, s3, s23
	s_and_not1_b32 s3, s28, exec_lo
	s_and_b32 s28, s27, exec_lo
	s_and_not1_b32 s24, s24, exec_lo
	s_and_b32 s29, s26, exec_lo
	s_or_b32 s28, s3, s28
	s_or_b32 s24, s24, s29
	s_and_not1_b32 exec_lo, exec_lo, s23
	s_cbranch_execz .LBB634_860
.LBB634_858:                            ;   Parent Loop BB634_818 Depth=1
                                        ; =>  This Inner Loop Header: Depth=2
	global_load_u16 v10, v[4:5], off
	global_load_u16 v11, v[6:7], off
	s_and_not1_b32 s26, s26, exec_lo
	s_and_not1_b32 s27, s27, exec_lo
	s_or_b32 s25, s25, exec_lo
	s_waitcnt vmcnt(0)
	v_cmp_le_i16_e32 vcc_lo, v10, v11
	v_cmp_lt_i16_e64 s3, v10, v11
	s_and_b32 s29, vcc_lo, s28
	s_delay_alu instid0(VALU_DEP_1) | instid1(SALU_CYCLE_1)
	s_or_b32 s29, s3, s29
	s_delay_alu instid0(SALU_CYCLE_1) | instskip(NEXT) | instid1(SALU_CYCLE_1)
	s_and_b32 s3, s29, exec_lo
	s_or_b32 s26, s26, s3
	s_mov_b32 s3, exec_lo
	v_cmpx_eq_u16_e64 v10, v11
	s_cbranch_execz .LBB634_857
; %bb.859:                              ;   in Loop: Header=BB634_858 Depth=2
	s_add_u32 s6, s6, -1
	s_addc_u32 s7, s7, -1
	v_add_co_u32 v4, vcc_lo, v4, 2
	s_cmp_eq_u64 s[6:7], 0
	v_add_co_ci_u32_e32 v5, vcc_lo, 0, v5, vcc_lo
	v_add_co_u32 v6, vcc_lo, v6, 2
	s_cselect_b32 s28, -1, 0
	v_add_co_ci_u32_e32 v7, vcc_lo, 0, v7, vcc_lo
	s_and_not1_b32 s27, s27, exec_lo
	s_and_b32 s29, s29, exec_lo
	s_and_not1_b32 s25, s25, exec_lo
	s_and_b32 s28, s28, exec_lo
	s_or_b32 s27, s27, s29
	s_and_not1_b32 s26, s26, exec_lo
	s_or_b32 s25, s25, s28
                                        ; implicit-def: $sgpr28
	s_branch .LBB634_857
.LBB634_860:                            ;   in Loop: Header=BB634_818 Depth=1
	s_set_inst_prefetch_distance 0x2
	s_or_b32 exec_lo, exec_lo, s23
	s_xor_b32 s3, s24, -1
	s_branch .LBB634_862
.LBB634_861:                            ;   in Loop: Header=BB634_818 Depth=1
	s_mov_b32 s3, -1
.LBB634_862:                            ;   in Loop: Header=BB634_818 Depth=1
	s_delay_alu instid0(SALU_CYCLE_1)
	s_and_b32 s3, s3, exec_lo
.LBB634_863:                            ;   in Loop: Header=BB634_818 Depth=1
	s_or_b32 exec_lo, exec_lo, s20
	s_delay_alu instid0(SALU_CYCLE_1)
	s_or_not1_b32 s20, s3, exec_lo
.LBB634_864:                            ;   in Loop: Header=BB634_818 Depth=1
	s_or_b32 exec_lo, exec_lo, s22
	v_cndmask_b32_e64 v4, v9, v8, s20
	v_cndmask_b32_e64 v5, v20, v19, s20
	s_mov_b32 s22, exec_lo
	s_delay_alu instid0(VALU_DEP_2) | instskip(NEXT) | instid1(VALU_DEP_2)
	v_add_nc_u32_e32 v10, 1, v4
	v_add_nc_u32_e32 v4, -1, v5
	s_delay_alu instid0(VALU_DEP_2) | instskip(NEXT) | instid1(VALU_DEP_2)
	v_cndmask_b32_e64 v9, v10, v9, s20
	v_min_u32_e32 v4, v10, v4
	s_delay_alu instid0(VALU_DEP_1)
	v_lshlrev_b32_e32 v4, 3, v4
	ds_load_b64 v[4:5], v4
	s_waitcnt lgkmcnt(0)
	v_cndmask_b32_e64 v7, v29, v5, s20
	v_cndmask_b32_e64 v6, v30, v4, s20
	v_cmpx_lt_u32_e64 v9, v20
	s_cbranch_execz .LBB634_816
; %bb.865:                              ;   in Loop: Header=BB634_818 Depth=1
	v_cndmask_b32_e64 v8, v8, v10, s20
	v_cndmask_b32_e64 v5, v5, v25, s20
	;; [unrolled: 1-line block ×3, first 2 shown]
	s_mov_b32 s23, exec_lo
	s_delay_alu instid0(VALU_DEP_3)
	v_cmpx_lt_u32_e64 v8, v19
	s_cbranch_execz .LBB634_815
; %bb.866:                              ;   in Loop: Header=BB634_818 Depth=1
	s_and_not1_b32 vcc_lo, exec_lo, s16
	s_cbranch_vccnz .LBB634_814
; %bb.867:                              ;   in Loop: Header=BB634_818 Depth=1
	v_mad_u64_u32 v[8:9], null, s4, v4, s[10:11]
	v_mul_lo_u32 v19, s4, v5
	v_mul_lo_u32 v20, s5, v4
	v_mad_u64_u32 v[10:11], null, s4, v6, s[10:11]
	v_mul_lo_u32 v31, s4, v7
	v_mul_lo_u32 v32, s5, v6
	s_mov_b32 s24, 0
	s_mov_b64 s[6:7], s[8:9]
                                        ; implicit-def: $sgpr25
                                        ; implicit-def: $sgpr26
                                        ; implicit-def: $sgpr27
                                        ; implicit-def: $sgpr28
                                        ; implicit-def: $sgpr29
	s_delay_alu instid0(VALU_DEP_4) | instskip(NEXT) | instid1(VALU_DEP_2)
	v_add3_u32 v9, v20, v9, v19
	v_add3_u32 v11, v32, v11, v31
	s_set_inst_prefetch_distance 0x1
	s_branch .LBB634_869
	.p2align	6
.LBB634_868:                            ;   in Loop: Header=BB634_869 Depth=2
	s_or_b32 exec_lo, exec_lo, s3
	s_delay_alu instid0(SALU_CYCLE_1) | instskip(NEXT) | instid1(SALU_CYCLE_1)
	s_and_b32 s3, exec_lo, s26
	s_or_b32 s24, s3, s24
	s_and_not1_b32 s3, s29, exec_lo
	s_and_b32 s29, s28, exec_lo
	s_and_not1_b32 s25, s25, exec_lo
	s_and_b32 s30, s27, exec_lo
	s_or_b32 s29, s3, s29
	s_or_b32 s25, s25, s30
	s_and_not1_b32 exec_lo, exec_lo, s24
	s_cbranch_execz .LBB634_813
.LBB634_869:                            ;   Parent Loop BB634_818 Depth=1
                                        ; =>  This Inner Loop Header: Depth=2
	global_load_u16 v19, v[8:9], off
	global_load_u16 v20, v[10:11], off
	s_and_not1_b32 s27, s27, exec_lo
	s_and_not1_b32 s28, s28, exec_lo
	s_or_b32 s26, s26, exec_lo
	s_waitcnt vmcnt(0)
	v_cmp_le_i16_e32 vcc_lo, v19, v20
	v_cmp_lt_i16_e64 s3, v19, v20
	s_and_b32 s30, vcc_lo, s29
	s_delay_alu instid0(VALU_DEP_1) | instid1(SALU_CYCLE_1)
	s_or_b32 s30, s3, s30
	s_delay_alu instid0(SALU_CYCLE_1) | instskip(NEXT) | instid1(SALU_CYCLE_1)
	s_and_b32 s3, s30, exec_lo
	s_or_b32 s27, s27, s3
	s_mov_b32 s3, exec_lo
	v_cmpx_eq_u16_e64 v19, v20
	s_cbranch_execz .LBB634_868
; %bb.870:                              ;   in Loop: Header=BB634_869 Depth=2
	s_add_u32 s6, s6, -1
	s_addc_u32 s7, s7, -1
	v_add_co_u32 v8, vcc_lo, v8, 2
	s_cmp_eq_u64 s[6:7], 0
	v_add_co_ci_u32_e32 v9, vcc_lo, 0, v9, vcc_lo
	v_add_co_u32 v10, vcc_lo, v10, 2
	s_cselect_b32 s29, -1, 0
	v_add_co_ci_u32_e32 v11, vcc_lo, 0, v11, vcc_lo
	s_and_not1_b32 s28, s28, exec_lo
	s_and_b32 s30, s30, exec_lo
	s_and_not1_b32 s26, s26, exec_lo
	s_and_b32 s29, s29, exec_lo
	s_or_b32 s28, s28, s30
	s_and_not1_b32 s27, s27, exec_lo
	s_or_b32 s26, s26, s29
                                        ; implicit-def: $sgpr29
	s_branch .LBB634_868
.LBB634_871:
	s_barrier
	buffer_gl0_inv
	ds_store_2addr_b64 v17, v[0:1], v[2:3] offset1:1
	ds_store_2addr_b64 v17, v[4:5], v[6:7] offset0:2 offset1:3
	s_waitcnt lgkmcnt(0)
	s_barrier
	buffer_gl0_inv
	ds_load_b64 v[6:7], v13 offset:2048
	ds_load_b64 v[2:3], v15 offset:4096
	ds_load_b64 v[0:1], v16 offset:6144
	v_add_co_u32 v4, s3, s14, v26
	v_mov_b32_e32 v13, 0
	v_add_co_ci_u32_e64 v5, null, s15, 0, s3
	s_and_saveexec_b32 s3, s0
	s_cbranch_execnz .LBB634_879
; %bb.872:
	s_or_b32 exec_lo, exec_lo, s3
	s_and_saveexec_b32 s0, s1
	s_cbranch_execnz .LBB634_880
.LBB634_873:
	s_or_b32 exec_lo, exec_lo, s0
	s_and_saveexec_b32 s0, s2
	s_cbranch_execz .LBB634_875
.LBB634_874:
	v_add_co_u32 v4, vcc_lo, 0x1000, v4
	v_add_co_ci_u32_e32 v5, vcc_lo, 0, v5, vcc_lo
	s_waitcnt lgkmcnt(1)
	global_store_b64 v[4:5], v[2:3], off
.LBB634_875:
	s_or_b32 exec_lo, exec_lo, s0
.LBB634_876:
	s_and_saveexec_b32 s0, s19
	s_cbranch_execz .LBB634_878
; %bb.877:
	s_waitcnt lgkmcnt(1)
	v_lshlrev_b64 v[2:3], 3, v[12:13]
	s_delay_alu instid0(VALU_DEP_1) | instskip(NEXT) | instid1(VALU_DEP_2)
	v_add_co_u32 v2, vcc_lo, s14, v2
	v_add_co_ci_u32_e32 v3, vcc_lo, s15, v3, vcc_lo
	s_delay_alu instid0(VALU_DEP_2) | instskip(NEXT) | instid1(VALU_DEP_2)
	v_add_co_u32 v2, vcc_lo, 0x1000, v2
	v_add_co_ci_u32_e32 v3, vcc_lo, 0, v3, vcc_lo
	s_waitcnt lgkmcnt(0)
	global_store_b64 v[2:3], v[0:1], off offset:2048
.LBB634_878:
	s_nop 0
	s_sendmsg sendmsg(MSG_DEALLOC_VGPRS)
	s_endpgm
.LBB634_879:
	ds_load_b64 v[8:9], v14
	s_waitcnt lgkmcnt(0)
	global_store_b64 v[4:5], v[8:9], off
	s_or_b32 exec_lo, exec_lo, s3
	s_and_saveexec_b32 s0, s1
	s_cbranch_execz .LBB634_873
.LBB634_880:
	s_waitcnt lgkmcnt(2)
	global_store_b64 v[4:5], v[6:7], off offset:2048
	s_or_b32 exec_lo, exec_lo, s0
	s_and_saveexec_b32 s0, s2
	s_cbranch_execnz .LBB634_874
	s_branch .LBB634_875
	.section	.rodata,"a",@progbits
	.p2align	6, 0x0
	.amdhsa_kernel _ZN7rocprim17ROCPRIM_400000_NS6detail17trampoline_kernelINS0_14default_configENS1_37merge_sort_block_sort_config_selectorIlNS0_10empty_typeEEEZNS1_21merge_sort_block_sortIS3_PlS8_PS5_S9_ZN2at6native12_GLOBAL__N_124unique_dim_cuda_templateIsEESt5tupleIJNSA_6TensorESF_SF_EERKSF_lbbbEUlllE_EE10hipError_tT0_T1_T2_T3_mRjT4_P12ihipStream_tbNS1_7vsmem_tEEUlT_E_NS1_11comp_targetILNS1_3genE9ELNS1_11target_archE1100ELNS1_3gpuE3ELNS1_3repE0EEENS1_30default_config_static_selectorELNS0_4arch9wavefront6targetE0EEEvSM_
		.amdhsa_group_segment_fixed_size 8448
		.amdhsa_private_segment_fixed_size 0
		.amdhsa_kernarg_size 328
		.amdhsa_user_sgpr_count 13
		.amdhsa_user_sgpr_dispatch_ptr 0
		.amdhsa_user_sgpr_queue_ptr 0
		.amdhsa_user_sgpr_kernarg_segment_ptr 1
		.amdhsa_user_sgpr_dispatch_id 0
		.amdhsa_user_sgpr_private_segment_size 0
		.amdhsa_wavefront_size32 1
		.amdhsa_uses_dynamic_stack 0
		.amdhsa_enable_private_segment 0
		.amdhsa_system_sgpr_workgroup_id_x 1
		.amdhsa_system_sgpr_workgroup_id_y 1
		.amdhsa_system_sgpr_workgroup_id_z 1
		.amdhsa_system_sgpr_workgroup_info 0
		.amdhsa_system_vgpr_workitem_id 2
		.amdhsa_next_free_vgpr 49
		.amdhsa_next_free_sgpr 32
		.amdhsa_reserve_vcc 1
		.amdhsa_float_round_mode_32 0
		.amdhsa_float_round_mode_16_64 0
		.amdhsa_float_denorm_mode_32 3
		.amdhsa_float_denorm_mode_16_64 3
		.amdhsa_dx10_clamp 1
		.amdhsa_ieee_mode 1
		.amdhsa_fp16_overflow 0
		.amdhsa_workgroup_processor_mode 1
		.amdhsa_memory_ordered 1
		.amdhsa_forward_progress 0
		.amdhsa_shared_vgpr_count 0
		.amdhsa_exception_fp_ieee_invalid_op 0
		.amdhsa_exception_fp_denorm_src 0
		.amdhsa_exception_fp_ieee_div_zero 0
		.amdhsa_exception_fp_ieee_overflow 0
		.amdhsa_exception_fp_ieee_underflow 0
		.amdhsa_exception_fp_ieee_inexact 0
		.amdhsa_exception_int_div_zero 0
	.end_amdhsa_kernel
	.section	.text._ZN7rocprim17ROCPRIM_400000_NS6detail17trampoline_kernelINS0_14default_configENS1_37merge_sort_block_sort_config_selectorIlNS0_10empty_typeEEEZNS1_21merge_sort_block_sortIS3_PlS8_PS5_S9_ZN2at6native12_GLOBAL__N_124unique_dim_cuda_templateIsEESt5tupleIJNSA_6TensorESF_SF_EERKSF_lbbbEUlllE_EE10hipError_tT0_T1_T2_T3_mRjT4_P12ihipStream_tbNS1_7vsmem_tEEUlT_E_NS1_11comp_targetILNS1_3genE9ELNS1_11target_archE1100ELNS1_3gpuE3ELNS1_3repE0EEENS1_30default_config_static_selectorELNS0_4arch9wavefront6targetE0EEEvSM_,"axG",@progbits,_ZN7rocprim17ROCPRIM_400000_NS6detail17trampoline_kernelINS0_14default_configENS1_37merge_sort_block_sort_config_selectorIlNS0_10empty_typeEEEZNS1_21merge_sort_block_sortIS3_PlS8_PS5_S9_ZN2at6native12_GLOBAL__N_124unique_dim_cuda_templateIsEESt5tupleIJNSA_6TensorESF_SF_EERKSF_lbbbEUlllE_EE10hipError_tT0_T1_T2_T3_mRjT4_P12ihipStream_tbNS1_7vsmem_tEEUlT_E_NS1_11comp_targetILNS1_3genE9ELNS1_11target_archE1100ELNS1_3gpuE3ELNS1_3repE0EEENS1_30default_config_static_selectorELNS0_4arch9wavefront6targetE0EEEvSM_,comdat
.Lfunc_end634:
	.size	_ZN7rocprim17ROCPRIM_400000_NS6detail17trampoline_kernelINS0_14default_configENS1_37merge_sort_block_sort_config_selectorIlNS0_10empty_typeEEEZNS1_21merge_sort_block_sortIS3_PlS8_PS5_S9_ZN2at6native12_GLOBAL__N_124unique_dim_cuda_templateIsEESt5tupleIJNSA_6TensorESF_SF_EERKSF_lbbbEUlllE_EE10hipError_tT0_T1_T2_T3_mRjT4_P12ihipStream_tbNS1_7vsmem_tEEUlT_E_NS1_11comp_targetILNS1_3genE9ELNS1_11target_archE1100ELNS1_3gpuE3ELNS1_3repE0EEENS1_30default_config_static_selectorELNS0_4arch9wavefront6targetE0EEEvSM_, .Lfunc_end634-_ZN7rocprim17ROCPRIM_400000_NS6detail17trampoline_kernelINS0_14default_configENS1_37merge_sort_block_sort_config_selectorIlNS0_10empty_typeEEEZNS1_21merge_sort_block_sortIS3_PlS8_PS5_S9_ZN2at6native12_GLOBAL__N_124unique_dim_cuda_templateIsEESt5tupleIJNSA_6TensorESF_SF_EERKSF_lbbbEUlllE_EE10hipError_tT0_T1_T2_T3_mRjT4_P12ihipStream_tbNS1_7vsmem_tEEUlT_E_NS1_11comp_targetILNS1_3genE9ELNS1_11target_archE1100ELNS1_3gpuE3ELNS1_3repE0EEENS1_30default_config_static_selectorELNS0_4arch9wavefront6targetE0EEEvSM_
                                        ; -- End function
	.section	.AMDGPU.csdata,"",@progbits
; Kernel info:
; codeLenInByte = 42940
; NumSgprs: 34
; NumVgprs: 49
; ScratchSize: 0
; MemoryBound: 0
; FloatMode: 240
; IeeeMode: 1
; LDSByteSize: 8448 bytes/workgroup (compile time only)
; SGPRBlocks: 4
; VGPRBlocks: 6
; NumSGPRsForWavesPerEU: 34
; NumVGPRsForWavesPerEU: 49
; Occupancy: 16
; WaveLimiterHint : 1
; COMPUTE_PGM_RSRC2:SCRATCH_EN: 0
; COMPUTE_PGM_RSRC2:USER_SGPR: 13
; COMPUTE_PGM_RSRC2:TRAP_HANDLER: 0
; COMPUTE_PGM_RSRC2:TGID_X_EN: 1
; COMPUTE_PGM_RSRC2:TGID_Y_EN: 1
; COMPUTE_PGM_RSRC2:TGID_Z_EN: 1
; COMPUTE_PGM_RSRC2:TIDIG_COMP_CNT: 2
	.section	.text._ZN7rocprim17ROCPRIM_400000_NS6detail17trampoline_kernelINS0_14default_configENS1_37merge_sort_block_sort_config_selectorIlNS0_10empty_typeEEEZNS1_21merge_sort_block_sortIS3_PlS8_PS5_S9_ZN2at6native12_GLOBAL__N_124unique_dim_cuda_templateIsEESt5tupleIJNSA_6TensorESF_SF_EERKSF_lbbbEUlllE_EE10hipError_tT0_T1_T2_T3_mRjT4_P12ihipStream_tbNS1_7vsmem_tEEUlT_E_NS1_11comp_targetILNS1_3genE8ELNS1_11target_archE1030ELNS1_3gpuE2ELNS1_3repE0EEENS1_30default_config_static_selectorELNS0_4arch9wavefront6targetE0EEEvSM_,"axG",@progbits,_ZN7rocprim17ROCPRIM_400000_NS6detail17trampoline_kernelINS0_14default_configENS1_37merge_sort_block_sort_config_selectorIlNS0_10empty_typeEEEZNS1_21merge_sort_block_sortIS3_PlS8_PS5_S9_ZN2at6native12_GLOBAL__N_124unique_dim_cuda_templateIsEESt5tupleIJNSA_6TensorESF_SF_EERKSF_lbbbEUlllE_EE10hipError_tT0_T1_T2_T3_mRjT4_P12ihipStream_tbNS1_7vsmem_tEEUlT_E_NS1_11comp_targetILNS1_3genE8ELNS1_11target_archE1030ELNS1_3gpuE2ELNS1_3repE0EEENS1_30default_config_static_selectorELNS0_4arch9wavefront6targetE0EEEvSM_,comdat
	.globl	_ZN7rocprim17ROCPRIM_400000_NS6detail17trampoline_kernelINS0_14default_configENS1_37merge_sort_block_sort_config_selectorIlNS0_10empty_typeEEEZNS1_21merge_sort_block_sortIS3_PlS8_PS5_S9_ZN2at6native12_GLOBAL__N_124unique_dim_cuda_templateIsEESt5tupleIJNSA_6TensorESF_SF_EERKSF_lbbbEUlllE_EE10hipError_tT0_T1_T2_T3_mRjT4_P12ihipStream_tbNS1_7vsmem_tEEUlT_E_NS1_11comp_targetILNS1_3genE8ELNS1_11target_archE1030ELNS1_3gpuE2ELNS1_3repE0EEENS1_30default_config_static_selectorELNS0_4arch9wavefront6targetE0EEEvSM_ ; -- Begin function _ZN7rocprim17ROCPRIM_400000_NS6detail17trampoline_kernelINS0_14default_configENS1_37merge_sort_block_sort_config_selectorIlNS0_10empty_typeEEEZNS1_21merge_sort_block_sortIS3_PlS8_PS5_S9_ZN2at6native12_GLOBAL__N_124unique_dim_cuda_templateIsEESt5tupleIJNSA_6TensorESF_SF_EERKSF_lbbbEUlllE_EE10hipError_tT0_T1_T2_T3_mRjT4_P12ihipStream_tbNS1_7vsmem_tEEUlT_E_NS1_11comp_targetILNS1_3genE8ELNS1_11target_archE1030ELNS1_3gpuE2ELNS1_3repE0EEENS1_30default_config_static_selectorELNS0_4arch9wavefront6targetE0EEEvSM_
	.p2align	8
	.type	_ZN7rocprim17ROCPRIM_400000_NS6detail17trampoline_kernelINS0_14default_configENS1_37merge_sort_block_sort_config_selectorIlNS0_10empty_typeEEEZNS1_21merge_sort_block_sortIS3_PlS8_PS5_S9_ZN2at6native12_GLOBAL__N_124unique_dim_cuda_templateIsEESt5tupleIJNSA_6TensorESF_SF_EERKSF_lbbbEUlllE_EE10hipError_tT0_T1_T2_T3_mRjT4_P12ihipStream_tbNS1_7vsmem_tEEUlT_E_NS1_11comp_targetILNS1_3genE8ELNS1_11target_archE1030ELNS1_3gpuE2ELNS1_3repE0EEENS1_30default_config_static_selectorELNS0_4arch9wavefront6targetE0EEEvSM_,@function
_ZN7rocprim17ROCPRIM_400000_NS6detail17trampoline_kernelINS0_14default_configENS1_37merge_sort_block_sort_config_selectorIlNS0_10empty_typeEEEZNS1_21merge_sort_block_sortIS3_PlS8_PS5_S9_ZN2at6native12_GLOBAL__N_124unique_dim_cuda_templateIsEESt5tupleIJNSA_6TensorESF_SF_EERKSF_lbbbEUlllE_EE10hipError_tT0_T1_T2_T3_mRjT4_P12ihipStream_tbNS1_7vsmem_tEEUlT_E_NS1_11comp_targetILNS1_3genE8ELNS1_11target_archE1030ELNS1_3gpuE2ELNS1_3repE0EEENS1_30default_config_static_selectorELNS0_4arch9wavefront6targetE0EEEvSM_: ; @_ZN7rocprim17ROCPRIM_400000_NS6detail17trampoline_kernelINS0_14default_configENS1_37merge_sort_block_sort_config_selectorIlNS0_10empty_typeEEEZNS1_21merge_sort_block_sortIS3_PlS8_PS5_S9_ZN2at6native12_GLOBAL__N_124unique_dim_cuda_templateIsEESt5tupleIJNSA_6TensorESF_SF_EERKSF_lbbbEUlllE_EE10hipError_tT0_T1_T2_T3_mRjT4_P12ihipStream_tbNS1_7vsmem_tEEUlT_E_NS1_11comp_targetILNS1_3genE8ELNS1_11target_archE1030ELNS1_3gpuE2ELNS1_3repE0EEENS1_30default_config_static_selectorELNS0_4arch9wavefront6targetE0EEEvSM_
; %bb.0:
	.section	.rodata,"a",@progbits
	.p2align	6, 0x0
	.amdhsa_kernel _ZN7rocprim17ROCPRIM_400000_NS6detail17trampoline_kernelINS0_14default_configENS1_37merge_sort_block_sort_config_selectorIlNS0_10empty_typeEEEZNS1_21merge_sort_block_sortIS3_PlS8_PS5_S9_ZN2at6native12_GLOBAL__N_124unique_dim_cuda_templateIsEESt5tupleIJNSA_6TensorESF_SF_EERKSF_lbbbEUlllE_EE10hipError_tT0_T1_T2_T3_mRjT4_P12ihipStream_tbNS1_7vsmem_tEEUlT_E_NS1_11comp_targetILNS1_3genE8ELNS1_11target_archE1030ELNS1_3gpuE2ELNS1_3repE0EEENS1_30default_config_static_selectorELNS0_4arch9wavefront6targetE0EEEvSM_
		.amdhsa_group_segment_fixed_size 0
		.amdhsa_private_segment_fixed_size 0
		.amdhsa_kernarg_size 72
		.amdhsa_user_sgpr_count 15
		.amdhsa_user_sgpr_dispatch_ptr 0
		.amdhsa_user_sgpr_queue_ptr 0
		.amdhsa_user_sgpr_kernarg_segment_ptr 1
		.amdhsa_user_sgpr_dispatch_id 0
		.amdhsa_user_sgpr_private_segment_size 0
		.amdhsa_wavefront_size32 1
		.amdhsa_uses_dynamic_stack 0
		.amdhsa_enable_private_segment 0
		.amdhsa_system_sgpr_workgroup_id_x 1
		.amdhsa_system_sgpr_workgroup_id_y 0
		.amdhsa_system_sgpr_workgroup_id_z 0
		.amdhsa_system_sgpr_workgroup_info 0
		.amdhsa_system_vgpr_workitem_id 0
		.amdhsa_next_free_vgpr 1
		.amdhsa_next_free_sgpr 1
		.amdhsa_reserve_vcc 0
		.amdhsa_float_round_mode_32 0
		.amdhsa_float_round_mode_16_64 0
		.amdhsa_float_denorm_mode_32 3
		.amdhsa_float_denorm_mode_16_64 3
		.amdhsa_dx10_clamp 1
		.amdhsa_ieee_mode 1
		.amdhsa_fp16_overflow 0
		.amdhsa_workgroup_processor_mode 1
		.amdhsa_memory_ordered 1
		.amdhsa_forward_progress 0
		.amdhsa_shared_vgpr_count 0
		.amdhsa_exception_fp_ieee_invalid_op 0
		.amdhsa_exception_fp_denorm_src 0
		.amdhsa_exception_fp_ieee_div_zero 0
		.amdhsa_exception_fp_ieee_overflow 0
		.amdhsa_exception_fp_ieee_underflow 0
		.amdhsa_exception_fp_ieee_inexact 0
		.amdhsa_exception_int_div_zero 0
	.end_amdhsa_kernel
	.section	.text._ZN7rocprim17ROCPRIM_400000_NS6detail17trampoline_kernelINS0_14default_configENS1_37merge_sort_block_sort_config_selectorIlNS0_10empty_typeEEEZNS1_21merge_sort_block_sortIS3_PlS8_PS5_S9_ZN2at6native12_GLOBAL__N_124unique_dim_cuda_templateIsEESt5tupleIJNSA_6TensorESF_SF_EERKSF_lbbbEUlllE_EE10hipError_tT0_T1_T2_T3_mRjT4_P12ihipStream_tbNS1_7vsmem_tEEUlT_E_NS1_11comp_targetILNS1_3genE8ELNS1_11target_archE1030ELNS1_3gpuE2ELNS1_3repE0EEENS1_30default_config_static_selectorELNS0_4arch9wavefront6targetE0EEEvSM_,"axG",@progbits,_ZN7rocprim17ROCPRIM_400000_NS6detail17trampoline_kernelINS0_14default_configENS1_37merge_sort_block_sort_config_selectorIlNS0_10empty_typeEEEZNS1_21merge_sort_block_sortIS3_PlS8_PS5_S9_ZN2at6native12_GLOBAL__N_124unique_dim_cuda_templateIsEESt5tupleIJNSA_6TensorESF_SF_EERKSF_lbbbEUlllE_EE10hipError_tT0_T1_T2_T3_mRjT4_P12ihipStream_tbNS1_7vsmem_tEEUlT_E_NS1_11comp_targetILNS1_3genE8ELNS1_11target_archE1030ELNS1_3gpuE2ELNS1_3repE0EEENS1_30default_config_static_selectorELNS0_4arch9wavefront6targetE0EEEvSM_,comdat
.Lfunc_end635:
	.size	_ZN7rocprim17ROCPRIM_400000_NS6detail17trampoline_kernelINS0_14default_configENS1_37merge_sort_block_sort_config_selectorIlNS0_10empty_typeEEEZNS1_21merge_sort_block_sortIS3_PlS8_PS5_S9_ZN2at6native12_GLOBAL__N_124unique_dim_cuda_templateIsEESt5tupleIJNSA_6TensorESF_SF_EERKSF_lbbbEUlllE_EE10hipError_tT0_T1_T2_T3_mRjT4_P12ihipStream_tbNS1_7vsmem_tEEUlT_E_NS1_11comp_targetILNS1_3genE8ELNS1_11target_archE1030ELNS1_3gpuE2ELNS1_3repE0EEENS1_30default_config_static_selectorELNS0_4arch9wavefront6targetE0EEEvSM_, .Lfunc_end635-_ZN7rocprim17ROCPRIM_400000_NS6detail17trampoline_kernelINS0_14default_configENS1_37merge_sort_block_sort_config_selectorIlNS0_10empty_typeEEEZNS1_21merge_sort_block_sortIS3_PlS8_PS5_S9_ZN2at6native12_GLOBAL__N_124unique_dim_cuda_templateIsEESt5tupleIJNSA_6TensorESF_SF_EERKSF_lbbbEUlllE_EE10hipError_tT0_T1_T2_T3_mRjT4_P12ihipStream_tbNS1_7vsmem_tEEUlT_E_NS1_11comp_targetILNS1_3genE8ELNS1_11target_archE1030ELNS1_3gpuE2ELNS1_3repE0EEENS1_30default_config_static_selectorELNS0_4arch9wavefront6targetE0EEEvSM_
                                        ; -- End function
	.section	.AMDGPU.csdata,"",@progbits
; Kernel info:
; codeLenInByte = 0
; NumSgprs: 0
; NumVgprs: 0
; ScratchSize: 0
; MemoryBound: 0
; FloatMode: 240
; IeeeMode: 1
; LDSByteSize: 0 bytes/workgroup (compile time only)
; SGPRBlocks: 0
; VGPRBlocks: 0
; NumSGPRsForWavesPerEU: 1
; NumVGPRsForWavesPerEU: 1
; Occupancy: 16
; WaveLimiterHint : 0
; COMPUTE_PGM_RSRC2:SCRATCH_EN: 0
; COMPUTE_PGM_RSRC2:USER_SGPR: 15
; COMPUTE_PGM_RSRC2:TRAP_HANDLER: 0
; COMPUTE_PGM_RSRC2:TGID_X_EN: 1
; COMPUTE_PGM_RSRC2:TGID_Y_EN: 0
; COMPUTE_PGM_RSRC2:TGID_Z_EN: 0
; COMPUTE_PGM_RSRC2:TIDIG_COMP_CNT: 0
	.section	.text._ZN7rocprim17ROCPRIM_400000_NS6detail17trampoline_kernelINS0_14default_configENS1_38merge_sort_block_merge_config_selectorIlNS0_10empty_typeEEEZZNS1_27merge_sort_block_merge_implIS3_PlPS5_mZN2at6native12_GLOBAL__N_124unique_dim_cuda_templateIsEESt5tupleIJNSA_6TensorESF_SF_EERKSF_lbbbEUlllE_EE10hipError_tT0_T1_T2_jT3_P12ihipStream_tbPNSt15iterator_traitsISL_E10value_typeEPNSR_ISM_E10value_typeEPSN_NS1_7vsmem_tEENKUlT_SL_SM_SN_E_clIS8_S8_S9_S9_EESK_S10_SL_SM_SN_EUlS10_E_NS1_11comp_targetILNS1_3genE0ELNS1_11target_archE4294967295ELNS1_3gpuE0ELNS1_3repE0EEENS1_48merge_mergepath_partition_config_static_selectorELNS0_4arch9wavefront6targetE0EEEvSM_,"axG",@progbits,_ZN7rocprim17ROCPRIM_400000_NS6detail17trampoline_kernelINS0_14default_configENS1_38merge_sort_block_merge_config_selectorIlNS0_10empty_typeEEEZZNS1_27merge_sort_block_merge_implIS3_PlPS5_mZN2at6native12_GLOBAL__N_124unique_dim_cuda_templateIsEESt5tupleIJNSA_6TensorESF_SF_EERKSF_lbbbEUlllE_EE10hipError_tT0_T1_T2_jT3_P12ihipStream_tbPNSt15iterator_traitsISL_E10value_typeEPNSR_ISM_E10value_typeEPSN_NS1_7vsmem_tEENKUlT_SL_SM_SN_E_clIS8_S8_S9_S9_EESK_S10_SL_SM_SN_EUlS10_E_NS1_11comp_targetILNS1_3genE0ELNS1_11target_archE4294967295ELNS1_3gpuE0ELNS1_3repE0EEENS1_48merge_mergepath_partition_config_static_selectorELNS0_4arch9wavefront6targetE0EEEvSM_,comdat
	.globl	_ZN7rocprim17ROCPRIM_400000_NS6detail17trampoline_kernelINS0_14default_configENS1_38merge_sort_block_merge_config_selectorIlNS0_10empty_typeEEEZZNS1_27merge_sort_block_merge_implIS3_PlPS5_mZN2at6native12_GLOBAL__N_124unique_dim_cuda_templateIsEESt5tupleIJNSA_6TensorESF_SF_EERKSF_lbbbEUlllE_EE10hipError_tT0_T1_T2_jT3_P12ihipStream_tbPNSt15iterator_traitsISL_E10value_typeEPNSR_ISM_E10value_typeEPSN_NS1_7vsmem_tEENKUlT_SL_SM_SN_E_clIS8_S8_S9_S9_EESK_S10_SL_SM_SN_EUlS10_E_NS1_11comp_targetILNS1_3genE0ELNS1_11target_archE4294967295ELNS1_3gpuE0ELNS1_3repE0EEENS1_48merge_mergepath_partition_config_static_selectorELNS0_4arch9wavefront6targetE0EEEvSM_ ; -- Begin function _ZN7rocprim17ROCPRIM_400000_NS6detail17trampoline_kernelINS0_14default_configENS1_38merge_sort_block_merge_config_selectorIlNS0_10empty_typeEEEZZNS1_27merge_sort_block_merge_implIS3_PlPS5_mZN2at6native12_GLOBAL__N_124unique_dim_cuda_templateIsEESt5tupleIJNSA_6TensorESF_SF_EERKSF_lbbbEUlllE_EE10hipError_tT0_T1_T2_jT3_P12ihipStream_tbPNSt15iterator_traitsISL_E10value_typeEPNSR_ISM_E10value_typeEPSN_NS1_7vsmem_tEENKUlT_SL_SM_SN_E_clIS8_S8_S9_S9_EESK_S10_SL_SM_SN_EUlS10_E_NS1_11comp_targetILNS1_3genE0ELNS1_11target_archE4294967295ELNS1_3gpuE0ELNS1_3repE0EEENS1_48merge_mergepath_partition_config_static_selectorELNS0_4arch9wavefront6targetE0EEEvSM_
	.p2align	8
	.type	_ZN7rocprim17ROCPRIM_400000_NS6detail17trampoline_kernelINS0_14default_configENS1_38merge_sort_block_merge_config_selectorIlNS0_10empty_typeEEEZZNS1_27merge_sort_block_merge_implIS3_PlPS5_mZN2at6native12_GLOBAL__N_124unique_dim_cuda_templateIsEESt5tupleIJNSA_6TensorESF_SF_EERKSF_lbbbEUlllE_EE10hipError_tT0_T1_T2_jT3_P12ihipStream_tbPNSt15iterator_traitsISL_E10value_typeEPNSR_ISM_E10value_typeEPSN_NS1_7vsmem_tEENKUlT_SL_SM_SN_E_clIS8_S8_S9_S9_EESK_S10_SL_SM_SN_EUlS10_E_NS1_11comp_targetILNS1_3genE0ELNS1_11target_archE4294967295ELNS1_3gpuE0ELNS1_3repE0EEENS1_48merge_mergepath_partition_config_static_selectorELNS0_4arch9wavefront6targetE0EEEvSM_,@function
_ZN7rocprim17ROCPRIM_400000_NS6detail17trampoline_kernelINS0_14default_configENS1_38merge_sort_block_merge_config_selectorIlNS0_10empty_typeEEEZZNS1_27merge_sort_block_merge_implIS3_PlPS5_mZN2at6native12_GLOBAL__N_124unique_dim_cuda_templateIsEESt5tupleIJNSA_6TensorESF_SF_EERKSF_lbbbEUlllE_EE10hipError_tT0_T1_T2_jT3_P12ihipStream_tbPNSt15iterator_traitsISL_E10value_typeEPNSR_ISM_E10value_typeEPSN_NS1_7vsmem_tEENKUlT_SL_SM_SN_E_clIS8_S8_S9_S9_EESK_S10_SL_SM_SN_EUlS10_E_NS1_11comp_targetILNS1_3genE0ELNS1_11target_archE4294967295ELNS1_3gpuE0ELNS1_3repE0EEENS1_48merge_mergepath_partition_config_static_selectorELNS0_4arch9wavefront6targetE0EEEvSM_: ; @_ZN7rocprim17ROCPRIM_400000_NS6detail17trampoline_kernelINS0_14default_configENS1_38merge_sort_block_merge_config_selectorIlNS0_10empty_typeEEEZZNS1_27merge_sort_block_merge_implIS3_PlPS5_mZN2at6native12_GLOBAL__N_124unique_dim_cuda_templateIsEESt5tupleIJNSA_6TensorESF_SF_EERKSF_lbbbEUlllE_EE10hipError_tT0_T1_T2_jT3_P12ihipStream_tbPNSt15iterator_traitsISL_E10value_typeEPNSR_ISM_E10value_typeEPSN_NS1_7vsmem_tEENKUlT_SL_SM_SN_E_clIS8_S8_S9_S9_EESK_S10_SL_SM_SN_EUlS10_E_NS1_11comp_targetILNS1_3genE0ELNS1_11target_archE4294967295ELNS1_3gpuE0ELNS1_3repE0EEENS1_48merge_mergepath_partition_config_static_selectorELNS0_4arch9wavefront6targetE0EEEvSM_
; %bb.0:
	.section	.rodata,"a",@progbits
	.p2align	6, 0x0
	.amdhsa_kernel _ZN7rocprim17ROCPRIM_400000_NS6detail17trampoline_kernelINS0_14default_configENS1_38merge_sort_block_merge_config_selectorIlNS0_10empty_typeEEEZZNS1_27merge_sort_block_merge_implIS3_PlPS5_mZN2at6native12_GLOBAL__N_124unique_dim_cuda_templateIsEESt5tupleIJNSA_6TensorESF_SF_EERKSF_lbbbEUlllE_EE10hipError_tT0_T1_T2_jT3_P12ihipStream_tbPNSt15iterator_traitsISL_E10value_typeEPNSR_ISM_E10value_typeEPSN_NS1_7vsmem_tEENKUlT_SL_SM_SN_E_clIS8_S8_S9_S9_EESK_S10_SL_SM_SN_EUlS10_E_NS1_11comp_targetILNS1_3genE0ELNS1_11target_archE4294967295ELNS1_3gpuE0ELNS1_3repE0EEENS1_48merge_mergepath_partition_config_static_selectorELNS0_4arch9wavefront6targetE0EEEvSM_
		.amdhsa_group_segment_fixed_size 0
		.amdhsa_private_segment_fixed_size 0
		.amdhsa_kernarg_size 56
		.amdhsa_user_sgpr_count 15
		.amdhsa_user_sgpr_dispatch_ptr 0
		.amdhsa_user_sgpr_queue_ptr 0
		.amdhsa_user_sgpr_kernarg_segment_ptr 1
		.amdhsa_user_sgpr_dispatch_id 0
		.amdhsa_user_sgpr_private_segment_size 0
		.amdhsa_wavefront_size32 1
		.amdhsa_uses_dynamic_stack 0
		.amdhsa_enable_private_segment 0
		.amdhsa_system_sgpr_workgroup_id_x 1
		.amdhsa_system_sgpr_workgroup_id_y 0
		.amdhsa_system_sgpr_workgroup_id_z 0
		.amdhsa_system_sgpr_workgroup_info 0
		.amdhsa_system_vgpr_workitem_id 0
		.amdhsa_next_free_vgpr 1
		.amdhsa_next_free_sgpr 1
		.amdhsa_reserve_vcc 0
		.amdhsa_float_round_mode_32 0
		.amdhsa_float_round_mode_16_64 0
		.amdhsa_float_denorm_mode_32 3
		.amdhsa_float_denorm_mode_16_64 3
		.amdhsa_dx10_clamp 1
		.amdhsa_ieee_mode 1
		.amdhsa_fp16_overflow 0
		.amdhsa_workgroup_processor_mode 1
		.amdhsa_memory_ordered 1
		.amdhsa_forward_progress 0
		.amdhsa_shared_vgpr_count 0
		.amdhsa_exception_fp_ieee_invalid_op 0
		.amdhsa_exception_fp_denorm_src 0
		.amdhsa_exception_fp_ieee_div_zero 0
		.amdhsa_exception_fp_ieee_overflow 0
		.amdhsa_exception_fp_ieee_underflow 0
		.amdhsa_exception_fp_ieee_inexact 0
		.amdhsa_exception_int_div_zero 0
	.end_amdhsa_kernel
	.section	.text._ZN7rocprim17ROCPRIM_400000_NS6detail17trampoline_kernelINS0_14default_configENS1_38merge_sort_block_merge_config_selectorIlNS0_10empty_typeEEEZZNS1_27merge_sort_block_merge_implIS3_PlPS5_mZN2at6native12_GLOBAL__N_124unique_dim_cuda_templateIsEESt5tupleIJNSA_6TensorESF_SF_EERKSF_lbbbEUlllE_EE10hipError_tT0_T1_T2_jT3_P12ihipStream_tbPNSt15iterator_traitsISL_E10value_typeEPNSR_ISM_E10value_typeEPSN_NS1_7vsmem_tEENKUlT_SL_SM_SN_E_clIS8_S8_S9_S9_EESK_S10_SL_SM_SN_EUlS10_E_NS1_11comp_targetILNS1_3genE0ELNS1_11target_archE4294967295ELNS1_3gpuE0ELNS1_3repE0EEENS1_48merge_mergepath_partition_config_static_selectorELNS0_4arch9wavefront6targetE0EEEvSM_,"axG",@progbits,_ZN7rocprim17ROCPRIM_400000_NS6detail17trampoline_kernelINS0_14default_configENS1_38merge_sort_block_merge_config_selectorIlNS0_10empty_typeEEEZZNS1_27merge_sort_block_merge_implIS3_PlPS5_mZN2at6native12_GLOBAL__N_124unique_dim_cuda_templateIsEESt5tupleIJNSA_6TensorESF_SF_EERKSF_lbbbEUlllE_EE10hipError_tT0_T1_T2_jT3_P12ihipStream_tbPNSt15iterator_traitsISL_E10value_typeEPNSR_ISM_E10value_typeEPSN_NS1_7vsmem_tEENKUlT_SL_SM_SN_E_clIS8_S8_S9_S9_EESK_S10_SL_SM_SN_EUlS10_E_NS1_11comp_targetILNS1_3genE0ELNS1_11target_archE4294967295ELNS1_3gpuE0ELNS1_3repE0EEENS1_48merge_mergepath_partition_config_static_selectorELNS0_4arch9wavefront6targetE0EEEvSM_,comdat
.Lfunc_end636:
	.size	_ZN7rocprim17ROCPRIM_400000_NS6detail17trampoline_kernelINS0_14default_configENS1_38merge_sort_block_merge_config_selectorIlNS0_10empty_typeEEEZZNS1_27merge_sort_block_merge_implIS3_PlPS5_mZN2at6native12_GLOBAL__N_124unique_dim_cuda_templateIsEESt5tupleIJNSA_6TensorESF_SF_EERKSF_lbbbEUlllE_EE10hipError_tT0_T1_T2_jT3_P12ihipStream_tbPNSt15iterator_traitsISL_E10value_typeEPNSR_ISM_E10value_typeEPSN_NS1_7vsmem_tEENKUlT_SL_SM_SN_E_clIS8_S8_S9_S9_EESK_S10_SL_SM_SN_EUlS10_E_NS1_11comp_targetILNS1_3genE0ELNS1_11target_archE4294967295ELNS1_3gpuE0ELNS1_3repE0EEENS1_48merge_mergepath_partition_config_static_selectorELNS0_4arch9wavefront6targetE0EEEvSM_, .Lfunc_end636-_ZN7rocprim17ROCPRIM_400000_NS6detail17trampoline_kernelINS0_14default_configENS1_38merge_sort_block_merge_config_selectorIlNS0_10empty_typeEEEZZNS1_27merge_sort_block_merge_implIS3_PlPS5_mZN2at6native12_GLOBAL__N_124unique_dim_cuda_templateIsEESt5tupleIJNSA_6TensorESF_SF_EERKSF_lbbbEUlllE_EE10hipError_tT0_T1_T2_jT3_P12ihipStream_tbPNSt15iterator_traitsISL_E10value_typeEPNSR_ISM_E10value_typeEPSN_NS1_7vsmem_tEENKUlT_SL_SM_SN_E_clIS8_S8_S9_S9_EESK_S10_SL_SM_SN_EUlS10_E_NS1_11comp_targetILNS1_3genE0ELNS1_11target_archE4294967295ELNS1_3gpuE0ELNS1_3repE0EEENS1_48merge_mergepath_partition_config_static_selectorELNS0_4arch9wavefront6targetE0EEEvSM_
                                        ; -- End function
	.section	.AMDGPU.csdata,"",@progbits
; Kernel info:
; codeLenInByte = 0
; NumSgprs: 0
; NumVgprs: 0
; ScratchSize: 0
; MemoryBound: 0
; FloatMode: 240
; IeeeMode: 1
; LDSByteSize: 0 bytes/workgroup (compile time only)
; SGPRBlocks: 0
; VGPRBlocks: 0
; NumSGPRsForWavesPerEU: 1
; NumVGPRsForWavesPerEU: 1
; Occupancy: 16
; WaveLimiterHint : 0
; COMPUTE_PGM_RSRC2:SCRATCH_EN: 0
; COMPUTE_PGM_RSRC2:USER_SGPR: 15
; COMPUTE_PGM_RSRC2:TRAP_HANDLER: 0
; COMPUTE_PGM_RSRC2:TGID_X_EN: 1
; COMPUTE_PGM_RSRC2:TGID_Y_EN: 0
; COMPUTE_PGM_RSRC2:TGID_Z_EN: 0
; COMPUTE_PGM_RSRC2:TIDIG_COMP_CNT: 0
	.section	.text._ZN7rocprim17ROCPRIM_400000_NS6detail17trampoline_kernelINS0_14default_configENS1_38merge_sort_block_merge_config_selectorIlNS0_10empty_typeEEEZZNS1_27merge_sort_block_merge_implIS3_PlPS5_mZN2at6native12_GLOBAL__N_124unique_dim_cuda_templateIsEESt5tupleIJNSA_6TensorESF_SF_EERKSF_lbbbEUlllE_EE10hipError_tT0_T1_T2_jT3_P12ihipStream_tbPNSt15iterator_traitsISL_E10value_typeEPNSR_ISM_E10value_typeEPSN_NS1_7vsmem_tEENKUlT_SL_SM_SN_E_clIS8_S8_S9_S9_EESK_S10_SL_SM_SN_EUlS10_E_NS1_11comp_targetILNS1_3genE10ELNS1_11target_archE1201ELNS1_3gpuE5ELNS1_3repE0EEENS1_48merge_mergepath_partition_config_static_selectorELNS0_4arch9wavefront6targetE0EEEvSM_,"axG",@progbits,_ZN7rocprim17ROCPRIM_400000_NS6detail17trampoline_kernelINS0_14default_configENS1_38merge_sort_block_merge_config_selectorIlNS0_10empty_typeEEEZZNS1_27merge_sort_block_merge_implIS3_PlPS5_mZN2at6native12_GLOBAL__N_124unique_dim_cuda_templateIsEESt5tupleIJNSA_6TensorESF_SF_EERKSF_lbbbEUlllE_EE10hipError_tT0_T1_T2_jT3_P12ihipStream_tbPNSt15iterator_traitsISL_E10value_typeEPNSR_ISM_E10value_typeEPSN_NS1_7vsmem_tEENKUlT_SL_SM_SN_E_clIS8_S8_S9_S9_EESK_S10_SL_SM_SN_EUlS10_E_NS1_11comp_targetILNS1_3genE10ELNS1_11target_archE1201ELNS1_3gpuE5ELNS1_3repE0EEENS1_48merge_mergepath_partition_config_static_selectorELNS0_4arch9wavefront6targetE0EEEvSM_,comdat
	.globl	_ZN7rocprim17ROCPRIM_400000_NS6detail17trampoline_kernelINS0_14default_configENS1_38merge_sort_block_merge_config_selectorIlNS0_10empty_typeEEEZZNS1_27merge_sort_block_merge_implIS3_PlPS5_mZN2at6native12_GLOBAL__N_124unique_dim_cuda_templateIsEESt5tupleIJNSA_6TensorESF_SF_EERKSF_lbbbEUlllE_EE10hipError_tT0_T1_T2_jT3_P12ihipStream_tbPNSt15iterator_traitsISL_E10value_typeEPNSR_ISM_E10value_typeEPSN_NS1_7vsmem_tEENKUlT_SL_SM_SN_E_clIS8_S8_S9_S9_EESK_S10_SL_SM_SN_EUlS10_E_NS1_11comp_targetILNS1_3genE10ELNS1_11target_archE1201ELNS1_3gpuE5ELNS1_3repE0EEENS1_48merge_mergepath_partition_config_static_selectorELNS0_4arch9wavefront6targetE0EEEvSM_ ; -- Begin function _ZN7rocprim17ROCPRIM_400000_NS6detail17trampoline_kernelINS0_14default_configENS1_38merge_sort_block_merge_config_selectorIlNS0_10empty_typeEEEZZNS1_27merge_sort_block_merge_implIS3_PlPS5_mZN2at6native12_GLOBAL__N_124unique_dim_cuda_templateIsEESt5tupleIJNSA_6TensorESF_SF_EERKSF_lbbbEUlllE_EE10hipError_tT0_T1_T2_jT3_P12ihipStream_tbPNSt15iterator_traitsISL_E10value_typeEPNSR_ISM_E10value_typeEPSN_NS1_7vsmem_tEENKUlT_SL_SM_SN_E_clIS8_S8_S9_S9_EESK_S10_SL_SM_SN_EUlS10_E_NS1_11comp_targetILNS1_3genE10ELNS1_11target_archE1201ELNS1_3gpuE5ELNS1_3repE0EEENS1_48merge_mergepath_partition_config_static_selectorELNS0_4arch9wavefront6targetE0EEEvSM_
	.p2align	8
	.type	_ZN7rocprim17ROCPRIM_400000_NS6detail17trampoline_kernelINS0_14default_configENS1_38merge_sort_block_merge_config_selectorIlNS0_10empty_typeEEEZZNS1_27merge_sort_block_merge_implIS3_PlPS5_mZN2at6native12_GLOBAL__N_124unique_dim_cuda_templateIsEESt5tupleIJNSA_6TensorESF_SF_EERKSF_lbbbEUlllE_EE10hipError_tT0_T1_T2_jT3_P12ihipStream_tbPNSt15iterator_traitsISL_E10value_typeEPNSR_ISM_E10value_typeEPSN_NS1_7vsmem_tEENKUlT_SL_SM_SN_E_clIS8_S8_S9_S9_EESK_S10_SL_SM_SN_EUlS10_E_NS1_11comp_targetILNS1_3genE10ELNS1_11target_archE1201ELNS1_3gpuE5ELNS1_3repE0EEENS1_48merge_mergepath_partition_config_static_selectorELNS0_4arch9wavefront6targetE0EEEvSM_,@function
_ZN7rocprim17ROCPRIM_400000_NS6detail17trampoline_kernelINS0_14default_configENS1_38merge_sort_block_merge_config_selectorIlNS0_10empty_typeEEEZZNS1_27merge_sort_block_merge_implIS3_PlPS5_mZN2at6native12_GLOBAL__N_124unique_dim_cuda_templateIsEESt5tupleIJNSA_6TensorESF_SF_EERKSF_lbbbEUlllE_EE10hipError_tT0_T1_T2_jT3_P12ihipStream_tbPNSt15iterator_traitsISL_E10value_typeEPNSR_ISM_E10value_typeEPSN_NS1_7vsmem_tEENKUlT_SL_SM_SN_E_clIS8_S8_S9_S9_EESK_S10_SL_SM_SN_EUlS10_E_NS1_11comp_targetILNS1_3genE10ELNS1_11target_archE1201ELNS1_3gpuE5ELNS1_3repE0EEENS1_48merge_mergepath_partition_config_static_selectorELNS0_4arch9wavefront6targetE0EEEvSM_: ; @_ZN7rocprim17ROCPRIM_400000_NS6detail17trampoline_kernelINS0_14default_configENS1_38merge_sort_block_merge_config_selectorIlNS0_10empty_typeEEEZZNS1_27merge_sort_block_merge_implIS3_PlPS5_mZN2at6native12_GLOBAL__N_124unique_dim_cuda_templateIsEESt5tupleIJNSA_6TensorESF_SF_EERKSF_lbbbEUlllE_EE10hipError_tT0_T1_T2_jT3_P12ihipStream_tbPNSt15iterator_traitsISL_E10value_typeEPNSR_ISM_E10value_typeEPSN_NS1_7vsmem_tEENKUlT_SL_SM_SN_E_clIS8_S8_S9_S9_EESK_S10_SL_SM_SN_EUlS10_E_NS1_11comp_targetILNS1_3genE10ELNS1_11target_archE1201ELNS1_3gpuE5ELNS1_3repE0EEENS1_48merge_mergepath_partition_config_static_selectorELNS0_4arch9wavefront6targetE0EEEvSM_
; %bb.0:
	.section	.rodata,"a",@progbits
	.p2align	6, 0x0
	.amdhsa_kernel _ZN7rocprim17ROCPRIM_400000_NS6detail17trampoline_kernelINS0_14default_configENS1_38merge_sort_block_merge_config_selectorIlNS0_10empty_typeEEEZZNS1_27merge_sort_block_merge_implIS3_PlPS5_mZN2at6native12_GLOBAL__N_124unique_dim_cuda_templateIsEESt5tupleIJNSA_6TensorESF_SF_EERKSF_lbbbEUlllE_EE10hipError_tT0_T1_T2_jT3_P12ihipStream_tbPNSt15iterator_traitsISL_E10value_typeEPNSR_ISM_E10value_typeEPSN_NS1_7vsmem_tEENKUlT_SL_SM_SN_E_clIS8_S8_S9_S9_EESK_S10_SL_SM_SN_EUlS10_E_NS1_11comp_targetILNS1_3genE10ELNS1_11target_archE1201ELNS1_3gpuE5ELNS1_3repE0EEENS1_48merge_mergepath_partition_config_static_selectorELNS0_4arch9wavefront6targetE0EEEvSM_
		.amdhsa_group_segment_fixed_size 0
		.amdhsa_private_segment_fixed_size 0
		.amdhsa_kernarg_size 56
		.amdhsa_user_sgpr_count 15
		.amdhsa_user_sgpr_dispatch_ptr 0
		.amdhsa_user_sgpr_queue_ptr 0
		.amdhsa_user_sgpr_kernarg_segment_ptr 1
		.amdhsa_user_sgpr_dispatch_id 0
		.amdhsa_user_sgpr_private_segment_size 0
		.amdhsa_wavefront_size32 1
		.amdhsa_uses_dynamic_stack 0
		.amdhsa_enable_private_segment 0
		.amdhsa_system_sgpr_workgroup_id_x 1
		.amdhsa_system_sgpr_workgroup_id_y 0
		.amdhsa_system_sgpr_workgroup_id_z 0
		.amdhsa_system_sgpr_workgroup_info 0
		.amdhsa_system_vgpr_workitem_id 0
		.amdhsa_next_free_vgpr 1
		.amdhsa_next_free_sgpr 1
		.amdhsa_reserve_vcc 0
		.amdhsa_float_round_mode_32 0
		.amdhsa_float_round_mode_16_64 0
		.amdhsa_float_denorm_mode_32 3
		.amdhsa_float_denorm_mode_16_64 3
		.amdhsa_dx10_clamp 1
		.amdhsa_ieee_mode 1
		.amdhsa_fp16_overflow 0
		.amdhsa_workgroup_processor_mode 1
		.amdhsa_memory_ordered 1
		.amdhsa_forward_progress 0
		.amdhsa_shared_vgpr_count 0
		.amdhsa_exception_fp_ieee_invalid_op 0
		.amdhsa_exception_fp_denorm_src 0
		.amdhsa_exception_fp_ieee_div_zero 0
		.amdhsa_exception_fp_ieee_overflow 0
		.amdhsa_exception_fp_ieee_underflow 0
		.amdhsa_exception_fp_ieee_inexact 0
		.amdhsa_exception_int_div_zero 0
	.end_amdhsa_kernel
	.section	.text._ZN7rocprim17ROCPRIM_400000_NS6detail17trampoline_kernelINS0_14default_configENS1_38merge_sort_block_merge_config_selectorIlNS0_10empty_typeEEEZZNS1_27merge_sort_block_merge_implIS3_PlPS5_mZN2at6native12_GLOBAL__N_124unique_dim_cuda_templateIsEESt5tupleIJNSA_6TensorESF_SF_EERKSF_lbbbEUlllE_EE10hipError_tT0_T1_T2_jT3_P12ihipStream_tbPNSt15iterator_traitsISL_E10value_typeEPNSR_ISM_E10value_typeEPSN_NS1_7vsmem_tEENKUlT_SL_SM_SN_E_clIS8_S8_S9_S9_EESK_S10_SL_SM_SN_EUlS10_E_NS1_11comp_targetILNS1_3genE10ELNS1_11target_archE1201ELNS1_3gpuE5ELNS1_3repE0EEENS1_48merge_mergepath_partition_config_static_selectorELNS0_4arch9wavefront6targetE0EEEvSM_,"axG",@progbits,_ZN7rocprim17ROCPRIM_400000_NS6detail17trampoline_kernelINS0_14default_configENS1_38merge_sort_block_merge_config_selectorIlNS0_10empty_typeEEEZZNS1_27merge_sort_block_merge_implIS3_PlPS5_mZN2at6native12_GLOBAL__N_124unique_dim_cuda_templateIsEESt5tupleIJNSA_6TensorESF_SF_EERKSF_lbbbEUlllE_EE10hipError_tT0_T1_T2_jT3_P12ihipStream_tbPNSt15iterator_traitsISL_E10value_typeEPNSR_ISM_E10value_typeEPSN_NS1_7vsmem_tEENKUlT_SL_SM_SN_E_clIS8_S8_S9_S9_EESK_S10_SL_SM_SN_EUlS10_E_NS1_11comp_targetILNS1_3genE10ELNS1_11target_archE1201ELNS1_3gpuE5ELNS1_3repE0EEENS1_48merge_mergepath_partition_config_static_selectorELNS0_4arch9wavefront6targetE0EEEvSM_,comdat
.Lfunc_end637:
	.size	_ZN7rocprim17ROCPRIM_400000_NS6detail17trampoline_kernelINS0_14default_configENS1_38merge_sort_block_merge_config_selectorIlNS0_10empty_typeEEEZZNS1_27merge_sort_block_merge_implIS3_PlPS5_mZN2at6native12_GLOBAL__N_124unique_dim_cuda_templateIsEESt5tupleIJNSA_6TensorESF_SF_EERKSF_lbbbEUlllE_EE10hipError_tT0_T1_T2_jT3_P12ihipStream_tbPNSt15iterator_traitsISL_E10value_typeEPNSR_ISM_E10value_typeEPSN_NS1_7vsmem_tEENKUlT_SL_SM_SN_E_clIS8_S8_S9_S9_EESK_S10_SL_SM_SN_EUlS10_E_NS1_11comp_targetILNS1_3genE10ELNS1_11target_archE1201ELNS1_3gpuE5ELNS1_3repE0EEENS1_48merge_mergepath_partition_config_static_selectorELNS0_4arch9wavefront6targetE0EEEvSM_, .Lfunc_end637-_ZN7rocprim17ROCPRIM_400000_NS6detail17trampoline_kernelINS0_14default_configENS1_38merge_sort_block_merge_config_selectorIlNS0_10empty_typeEEEZZNS1_27merge_sort_block_merge_implIS3_PlPS5_mZN2at6native12_GLOBAL__N_124unique_dim_cuda_templateIsEESt5tupleIJNSA_6TensorESF_SF_EERKSF_lbbbEUlllE_EE10hipError_tT0_T1_T2_jT3_P12ihipStream_tbPNSt15iterator_traitsISL_E10value_typeEPNSR_ISM_E10value_typeEPSN_NS1_7vsmem_tEENKUlT_SL_SM_SN_E_clIS8_S8_S9_S9_EESK_S10_SL_SM_SN_EUlS10_E_NS1_11comp_targetILNS1_3genE10ELNS1_11target_archE1201ELNS1_3gpuE5ELNS1_3repE0EEENS1_48merge_mergepath_partition_config_static_selectorELNS0_4arch9wavefront6targetE0EEEvSM_
                                        ; -- End function
	.section	.AMDGPU.csdata,"",@progbits
; Kernel info:
; codeLenInByte = 0
; NumSgprs: 0
; NumVgprs: 0
; ScratchSize: 0
; MemoryBound: 0
; FloatMode: 240
; IeeeMode: 1
; LDSByteSize: 0 bytes/workgroup (compile time only)
; SGPRBlocks: 0
; VGPRBlocks: 0
; NumSGPRsForWavesPerEU: 1
; NumVGPRsForWavesPerEU: 1
; Occupancy: 16
; WaveLimiterHint : 0
; COMPUTE_PGM_RSRC2:SCRATCH_EN: 0
; COMPUTE_PGM_RSRC2:USER_SGPR: 15
; COMPUTE_PGM_RSRC2:TRAP_HANDLER: 0
; COMPUTE_PGM_RSRC2:TGID_X_EN: 1
; COMPUTE_PGM_RSRC2:TGID_Y_EN: 0
; COMPUTE_PGM_RSRC2:TGID_Z_EN: 0
; COMPUTE_PGM_RSRC2:TIDIG_COMP_CNT: 0
	.section	.text._ZN7rocprim17ROCPRIM_400000_NS6detail17trampoline_kernelINS0_14default_configENS1_38merge_sort_block_merge_config_selectorIlNS0_10empty_typeEEEZZNS1_27merge_sort_block_merge_implIS3_PlPS5_mZN2at6native12_GLOBAL__N_124unique_dim_cuda_templateIsEESt5tupleIJNSA_6TensorESF_SF_EERKSF_lbbbEUlllE_EE10hipError_tT0_T1_T2_jT3_P12ihipStream_tbPNSt15iterator_traitsISL_E10value_typeEPNSR_ISM_E10value_typeEPSN_NS1_7vsmem_tEENKUlT_SL_SM_SN_E_clIS8_S8_S9_S9_EESK_S10_SL_SM_SN_EUlS10_E_NS1_11comp_targetILNS1_3genE5ELNS1_11target_archE942ELNS1_3gpuE9ELNS1_3repE0EEENS1_48merge_mergepath_partition_config_static_selectorELNS0_4arch9wavefront6targetE0EEEvSM_,"axG",@progbits,_ZN7rocprim17ROCPRIM_400000_NS6detail17trampoline_kernelINS0_14default_configENS1_38merge_sort_block_merge_config_selectorIlNS0_10empty_typeEEEZZNS1_27merge_sort_block_merge_implIS3_PlPS5_mZN2at6native12_GLOBAL__N_124unique_dim_cuda_templateIsEESt5tupleIJNSA_6TensorESF_SF_EERKSF_lbbbEUlllE_EE10hipError_tT0_T1_T2_jT3_P12ihipStream_tbPNSt15iterator_traitsISL_E10value_typeEPNSR_ISM_E10value_typeEPSN_NS1_7vsmem_tEENKUlT_SL_SM_SN_E_clIS8_S8_S9_S9_EESK_S10_SL_SM_SN_EUlS10_E_NS1_11comp_targetILNS1_3genE5ELNS1_11target_archE942ELNS1_3gpuE9ELNS1_3repE0EEENS1_48merge_mergepath_partition_config_static_selectorELNS0_4arch9wavefront6targetE0EEEvSM_,comdat
	.globl	_ZN7rocprim17ROCPRIM_400000_NS6detail17trampoline_kernelINS0_14default_configENS1_38merge_sort_block_merge_config_selectorIlNS0_10empty_typeEEEZZNS1_27merge_sort_block_merge_implIS3_PlPS5_mZN2at6native12_GLOBAL__N_124unique_dim_cuda_templateIsEESt5tupleIJNSA_6TensorESF_SF_EERKSF_lbbbEUlllE_EE10hipError_tT0_T1_T2_jT3_P12ihipStream_tbPNSt15iterator_traitsISL_E10value_typeEPNSR_ISM_E10value_typeEPSN_NS1_7vsmem_tEENKUlT_SL_SM_SN_E_clIS8_S8_S9_S9_EESK_S10_SL_SM_SN_EUlS10_E_NS1_11comp_targetILNS1_3genE5ELNS1_11target_archE942ELNS1_3gpuE9ELNS1_3repE0EEENS1_48merge_mergepath_partition_config_static_selectorELNS0_4arch9wavefront6targetE0EEEvSM_ ; -- Begin function _ZN7rocprim17ROCPRIM_400000_NS6detail17trampoline_kernelINS0_14default_configENS1_38merge_sort_block_merge_config_selectorIlNS0_10empty_typeEEEZZNS1_27merge_sort_block_merge_implIS3_PlPS5_mZN2at6native12_GLOBAL__N_124unique_dim_cuda_templateIsEESt5tupleIJNSA_6TensorESF_SF_EERKSF_lbbbEUlllE_EE10hipError_tT0_T1_T2_jT3_P12ihipStream_tbPNSt15iterator_traitsISL_E10value_typeEPNSR_ISM_E10value_typeEPSN_NS1_7vsmem_tEENKUlT_SL_SM_SN_E_clIS8_S8_S9_S9_EESK_S10_SL_SM_SN_EUlS10_E_NS1_11comp_targetILNS1_3genE5ELNS1_11target_archE942ELNS1_3gpuE9ELNS1_3repE0EEENS1_48merge_mergepath_partition_config_static_selectorELNS0_4arch9wavefront6targetE0EEEvSM_
	.p2align	8
	.type	_ZN7rocprim17ROCPRIM_400000_NS6detail17trampoline_kernelINS0_14default_configENS1_38merge_sort_block_merge_config_selectorIlNS0_10empty_typeEEEZZNS1_27merge_sort_block_merge_implIS3_PlPS5_mZN2at6native12_GLOBAL__N_124unique_dim_cuda_templateIsEESt5tupleIJNSA_6TensorESF_SF_EERKSF_lbbbEUlllE_EE10hipError_tT0_T1_T2_jT3_P12ihipStream_tbPNSt15iterator_traitsISL_E10value_typeEPNSR_ISM_E10value_typeEPSN_NS1_7vsmem_tEENKUlT_SL_SM_SN_E_clIS8_S8_S9_S9_EESK_S10_SL_SM_SN_EUlS10_E_NS1_11comp_targetILNS1_3genE5ELNS1_11target_archE942ELNS1_3gpuE9ELNS1_3repE0EEENS1_48merge_mergepath_partition_config_static_selectorELNS0_4arch9wavefront6targetE0EEEvSM_,@function
_ZN7rocprim17ROCPRIM_400000_NS6detail17trampoline_kernelINS0_14default_configENS1_38merge_sort_block_merge_config_selectorIlNS0_10empty_typeEEEZZNS1_27merge_sort_block_merge_implIS3_PlPS5_mZN2at6native12_GLOBAL__N_124unique_dim_cuda_templateIsEESt5tupleIJNSA_6TensorESF_SF_EERKSF_lbbbEUlllE_EE10hipError_tT0_T1_T2_jT3_P12ihipStream_tbPNSt15iterator_traitsISL_E10value_typeEPNSR_ISM_E10value_typeEPSN_NS1_7vsmem_tEENKUlT_SL_SM_SN_E_clIS8_S8_S9_S9_EESK_S10_SL_SM_SN_EUlS10_E_NS1_11comp_targetILNS1_3genE5ELNS1_11target_archE942ELNS1_3gpuE9ELNS1_3repE0EEENS1_48merge_mergepath_partition_config_static_selectorELNS0_4arch9wavefront6targetE0EEEvSM_: ; @_ZN7rocprim17ROCPRIM_400000_NS6detail17trampoline_kernelINS0_14default_configENS1_38merge_sort_block_merge_config_selectorIlNS0_10empty_typeEEEZZNS1_27merge_sort_block_merge_implIS3_PlPS5_mZN2at6native12_GLOBAL__N_124unique_dim_cuda_templateIsEESt5tupleIJNSA_6TensorESF_SF_EERKSF_lbbbEUlllE_EE10hipError_tT0_T1_T2_jT3_P12ihipStream_tbPNSt15iterator_traitsISL_E10value_typeEPNSR_ISM_E10value_typeEPSN_NS1_7vsmem_tEENKUlT_SL_SM_SN_E_clIS8_S8_S9_S9_EESK_S10_SL_SM_SN_EUlS10_E_NS1_11comp_targetILNS1_3genE5ELNS1_11target_archE942ELNS1_3gpuE9ELNS1_3repE0EEENS1_48merge_mergepath_partition_config_static_selectorELNS0_4arch9wavefront6targetE0EEEvSM_
; %bb.0:
	.section	.rodata,"a",@progbits
	.p2align	6, 0x0
	.amdhsa_kernel _ZN7rocprim17ROCPRIM_400000_NS6detail17trampoline_kernelINS0_14default_configENS1_38merge_sort_block_merge_config_selectorIlNS0_10empty_typeEEEZZNS1_27merge_sort_block_merge_implIS3_PlPS5_mZN2at6native12_GLOBAL__N_124unique_dim_cuda_templateIsEESt5tupleIJNSA_6TensorESF_SF_EERKSF_lbbbEUlllE_EE10hipError_tT0_T1_T2_jT3_P12ihipStream_tbPNSt15iterator_traitsISL_E10value_typeEPNSR_ISM_E10value_typeEPSN_NS1_7vsmem_tEENKUlT_SL_SM_SN_E_clIS8_S8_S9_S9_EESK_S10_SL_SM_SN_EUlS10_E_NS1_11comp_targetILNS1_3genE5ELNS1_11target_archE942ELNS1_3gpuE9ELNS1_3repE0EEENS1_48merge_mergepath_partition_config_static_selectorELNS0_4arch9wavefront6targetE0EEEvSM_
		.amdhsa_group_segment_fixed_size 0
		.amdhsa_private_segment_fixed_size 0
		.amdhsa_kernarg_size 56
		.amdhsa_user_sgpr_count 15
		.amdhsa_user_sgpr_dispatch_ptr 0
		.amdhsa_user_sgpr_queue_ptr 0
		.amdhsa_user_sgpr_kernarg_segment_ptr 1
		.amdhsa_user_sgpr_dispatch_id 0
		.amdhsa_user_sgpr_private_segment_size 0
		.amdhsa_wavefront_size32 1
		.amdhsa_uses_dynamic_stack 0
		.amdhsa_enable_private_segment 0
		.amdhsa_system_sgpr_workgroup_id_x 1
		.amdhsa_system_sgpr_workgroup_id_y 0
		.amdhsa_system_sgpr_workgroup_id_z 0
		.amdhsa_system_sgpr_workgroup_info 0
		.amdhsa_system_vgpr_workitem_id 0
		.amdhsa_next_free_vgpr 1
		.amdhsa_next_free_sgpr 1
		.amdhsa_reserve_vcc 0
		.amdhsa_float_round_mode_32 0
		.amdhsa_float_round_mode_16_64 0
		.amdhsa_float_denorm_mode_32 3
		.amdhsa_float_denorm_mode_16_64 3
		.amdhsa_dx10_clamp 1
		.amdhsa_ieee_mode 1
		.amdhsa_fp16_overflow 0
		.amdhsa_workgroup_processor_mode 1
		.amdhsa_memory_ordered 1
		.amdhsa_forward_progress 0
		.amdhsa_shared_vgpr_count 0
		.amdhsa_exception_fp_ieee_invalid_op 0
		.amdhsa_exception_fp_denorm_src 0
		.amdhsa_exception_fp_ieee_div_zero 0
		.amdhsa_exception_fp_ieee_overflow 0
		.amdhsa_exception_fp_ieee_underflow 0
		.amdhsa_exception_fp_ieee_inexact 0
		.amdhsa_exception_int_div_zero 0
	.end_amdhsa_kernel
	.section	.text._ZN7rocprim17ROCPRIM_400000_NS6detail17trampoline_kernelINS0_14default_configENS1_38merge_sort_block_merge_config_selectorIlNS0_10empty_typeEEEZZNS1_27merge_sort_block_merge_implIS3_PlPS5_mZN2at6native12_GLOBAL__N_124unique_dim_cuda_templateIsEESt5tupleIJNSA_6TensorESF_SF_EERKSF_lbbbEUlllE_EE10hipError_tT0_T1_T2_jT3_P12ihipStream_tbPNSt15iterator_traitsISL_E10value_typeEPNSR_ISM_E10value_typeEPSN_NS1_7vsmem_tEENKUlT_SL_SM_SN_E_clIS8_S8_S9_S9_EESK_S10_SL_SM_SN_EUlS10_E_NS1_11comp_targetILNS1_3genE5ELNS1_11target_archE942ELNS1_3gpuE9ELNS1_3repE0EEENS1_48merge_mergepath_partition_config_static_selectorELNS0_4arch9wavefront6targetE0EEEvSM_,"axG",@progbits,_ZN7rocprim17ROCPRIM_400000_NS6detail17trampoline_kernelINS0_14default_configENS1_38merge_sort_block_merge_config_selectorIlNS0_10empty_typeEEEZZNS1_27merge_sort_block_merge_implIS3_PlPS5_mZN2at6native12_GLOBAL__N_124unique_dim_cuda_templateIsEESt5tupleIJNSA_6TensorESF_SF_EERKSF_lbbbEUlllE_EE10hipError_tT0_T1_T2_jT3_P12ihipStream_tbPNSt15iterator_traitsISL_E10value_typeEPNSR_ISM_E10value_typeEPSN_NS1_7vsmem_tEENKUlT_SL_SM_SN_E_clIS8_S8_S9_S9_EESK_S10_SL_SM_SN_EUlS10_E_NS1_11comp_targetILNS1_3genE5ELNS1_11target_archE942ELNS1_3gpuE9ELNS1_3repE0EEENS1_48merge_mergepath_partition_config_static_selectorELNS0_4arch9wavefront6targetE0EEEvSM_,comdat
.Lfunc_end638:
	.size	_ZN7rocprim17ROCPRIM_400000_NS6detail17trampoline_kernelINS0_14default_configENS1_38merge_sort_block_merge_config_selectorIlNS0_10empty_typeEEEZZNS1_27merge_sort_block_merge_implIS3_PlPS5_mZN2at6native12_GLOBAL__N_124unique_dim_cuda_templateIsEESt5tupleIJNSA_6TensorESF_SF_EERKSF_lbbbEUlllE_EE10hipError_tT0_T1_T2_jT3_P12ihipStream_tbPNSt15iterator_traitsISL_E10value_typeEPNSR_ISM_E10value_typeEPSN_NS1_7vsmem_tEENKUlT_SL_SM_SN_E_clIS8_S8_S9_S9_EESK_S10_SL_SM_SN_EUlS10_E_NS1_11comp_targetILNS1_3genE5ELNS1_11target_archE942ELNS1_3gpuE9ELNS1_3repE0EEENS1_48merge_mergepath_partition_config_static_selectorELNS0_4arch9wavefront6targetE0EEEvSM_, .Lfunc_end638-_ZN7rocprim17ROCPRIM_400000_NS6detail17trampoline_kernelINS0_14default_configENS1_38merge_sort_block_merge_config_selectorIlNS0_10empty_typeEEEZZNS1_27merge_sort_block_merge_implIS3_PlPS5_mZN2at6native12_GLOBAL__N_124unique_dim_cuda_templateIsEESt5tupleIJNSA_6TensorESF_SF_EERKSF_lbbbEUlllE_EE10hipError_tT0_T1_T2_jT3_P12ihipStream_tbPNSt15iterator_traitsISL_E10value_typeEPNSR_ISM_E10value_typeEPSN_NS1_7vsmem_tEENKUlT_SL_SM_SN_E_clIS8_S8_S9_S9_EESK_S10_SL_SM_SN_EUlS10_E_NS1_11comp_targetILNS1_3genE5ELNS1_11target_archE942ELNS1_3gpuE9ELNS1_3repE0EEENS1_48merge_mergepath_partition_config_static_selectorELNS0_4arch9wavefront6targetE0EEEvSM_
                                        ; -- End function
	.section	.AMDGPU.csdata,"",@progbits
; Kernel info:
; codeLenInByte = 0
; NumSgprs: 0
; NumVgprs: 0
; ScratchSize: 0
; MemoryBound: 0
; FloatMode: 240
; IeeeMode: 1
; LDSByteSize: 0 bytes/workgroup (compile time only)
; SGPRBlocks: 0
; VGPRBlocks: 0
; NumSGPRsForWavesPerEU: 1
; NumVGPRsForWavesPerEU: 1
; Occupancy: 16
; WaveLimiterHint : 0
; COMPUTE_PGM_RSRC2:SCRATCH_EN: 0
; COMPUTE_PGM_RSRC2:USER_SGPR: 15
; COMPUTE_PGM_RSRC2:TRAP_HANDLER: 0
; COMPUTE_PGM_RSRC2:TGID_X_EN: 1
; COMPUTE_PGM_RSRC2:TGID_Y_EN: 0
; COMPUTE_PGM_RSRC2:TGID_Z_EN: 0
; COMPUTE_PGM_RSRC2:TIDIG_COMP_CNT: 0
	.section	.text._ZN7rocprim17ROCPRIM_400000_NS6detail17trampoline_kernelINS0_14default_configENS1_38merge_sort_block_merge_config_selectorIlNS0_10empty_typeEEEZZNS1_27merge_sort_block_merge_implIS3_PlPS5_mZN2at6native12_GLOBAL__N_124unique_dim_cuda_templateIsEESt5tupleIJNSA_6TensorESF_SF_EERKSF_lbbbEUlllE_EE10hipError_tT0_T1_T2_jT3_P12ihipStream_tbPNSt15iterator_traitsISL_E10value_typeEPNSR_ISM_E10value_typeEPSN_NS1_7vsmem_tEENKUlT_SL_SM_SN_E_clIS8_S8_S9_S9_EESK_S10_SL_SM_SN_EUlS10_E_NS1_11comp_targetILNS1_3genE4ELNS1_11target_archE910ELNS1_3gpuE8ELNS1_3repE0EEENS1_48merge_mergepath_partition_config_static_selectorELNS0_4arch9wavefront6targetE0EEEvSM_,"axG",@progbits,_ZN7rocprim17ROCPRIM_400000_NS6detail17trampoline_kernelINS0_14default_configENS1_38merge_sort_block_merge_config_selectorIlNS0_10empty_typeEEEZZNS1_27merge_sort_block_merge_implIS3_PlPS5_mZN2at6native12_GLOBAL__N_124unique_dim_cuda_templateIsEESt5tupleIJNSA_6TensorESF_SF_EERKSF_lbbbEUlllE_EE10hipError_tT0_T1_T2_jT3_P12ihipStream_tbPNSt15iterator_traitsISL_E10value_typeEPNSR_ISM_E10value_typeEPSN_NS1_7vsmem_tEENKUlT_SL_SM_SN_E_clIS8_S8_S9_S9_EESK_S10_SL_SM_SN_EUlS10_E_NS1_11comp_targetILNS1_3genE4ELNS1_11target_archE910ELNS1_3gpuE8ELNS1_3repE0EEENS1_48merge_mergepath_partition_config_static_selectorELNS0_4arch9wavefront6targetE0EEEvSM_,comdat
	.globl	_ZN7rocprim17ROCPRIM_400000_NS6detail17trampoline_kernelINS0_14default_configENS1_38merge_sort_block_merge_config_selectorIlNS0_10empty_typeEEEZZNS1_27merge_sort_block_merge_implIS3_PlPS5_mZN2at6native12_GLOBAL__N_124unique_dim_cuda_templateIsEESt5tupleIJNSA_6TensorESF_SF_EERKSF_lbbbEUlllE_EE10hipError_tT0_T1_T2_jT3_P12ihipStream_tbPNSt15iterator_traitsISL_E10value_typeEPNSR_ISM_E10value_typeEPSN_NS1_7vsmem_tEENKUlT_SL_SM_SN_E_clIS8_S8_S9_S9_EESK_S10_SL_SM_SN_EUlS10_E_NS1_11comp_targetILNS1_3genE4ELNS1_11target_archE910ELNS1_3gpuE8ELNS1_3repE0EEENS1_48merge_mergepath_partition_config_static_selectorELNS0_4arch9wavefront6targetE0EEEvSM_ ; -- Begin function _ZN7rocprim17ROCPRIM_400000_NS6detail17trampoline_kernelINS0_14default_configENS1_38merge_sort_block_merge_config_selectorIlNS0_10empty_typeEEEZZNS1_27merge_sort_block_merge_implIS3_PlPS5_mZN2at6native12_GLOBAL__N_124unique_dim_cuda_templateIsEESt5tupleIJNSA_6TensorESF_SF_EERKSF_lbbbEUlllE_EE10hipError_tT0_T1_T2_jT3_P12ihipStream_tbPNSt15iterator_traitsISL_E10value_typeEPNSR_ISM_E10value_typeEPSN_NS1_7vsmem_tEENKUlT_SL_SM_SN_E_clIS8_S8_S9_S9_EESK_S10_SL_SM_SN_EUlS10_E_NS1_11comp_targetILNS1_3genE4ELNS1_11target_archE910ELNS1_3gpuE8ELNS1_3repE0EEENS1_48merge_mergepath_partition_config_static_selectorELNS0_4arch9wavefront6targetE0EEEvSM_
	.p2align	8
	.type	_ZN7rocprim17ROCPRIM_400000_NS6detail17trampoline_kernelINS0_14default_configENS1_38merge_sort_block_merge_config_selectorIlNS0_10empty_typeEEEZZNS1_27merge_sort_block_merge_implIS3_PlPS5_mZN2at6native12_GLOBAL__N_124unique_dim_cuda_templateIsEESt5tupleIJNSA_6TensorESF_SF_EERKSF_lbbbEUlllE_EE10hipError_tT0_T1_T2_jT3_P12ihipStream_tbPNSt15iterator_traitsISL_E10value_typeEPNSR_ISM_E10value_typeEPSN_NS1_7vsmem_tEENKUlT_SL_SM_SN_E_clIS8_S8_S9_S9_EESK_S10_SL_SM_SN_EUlS10_E_NS1_11comp_targetILNS1_3genE4ELNS1_11target_archE910ELNS1_3gpuE8ELNS1_3repE0EEENS1_48merge_mergepath_partition_config_static_selectorELNS0_4arch9wavefront6targetE0EEEvSM_,@function
_ZN7rocprim17ROCPRIM_400000_NS6detail17trampoline_kernelINS0_14default_configENS1_38merge_sort_block_merge_config_selectorIlNS0_10empty_typeEEEZZNS1_27merge_sort_block_merge_implIS3_PlPS5_mZN2at6native12_GLOBAL__N_124unique_dim_cuda_templateIsEESt5tupleIJNSA_6TensorESF_SF_EERKSF_lbbbEUlllE_EE10hipError_tT0_T1_T2_jT3_P12ihipStream_tbPNSt15iterator_traitsISL_E10value_typeEPNSR_ISM_E10value_typeEPSN_NS1_7vsmem_tEENKUlT_SL_SM_SN_E_clIS8_S8_S9_S9_EESK_S10_SL_SM_SN_EUlS10_E_NS1_11comp_targetILNS1_3genE4ELNS1_11target_archE910ELNS1_3gpuE8ELNS1_3repE0EEENS1_48merge_mergepath_partition_config_static_selectorELNS0_4arch9wavefront6targetE0EEEvSM_: ; @_ZN7rocprim17ROCPRIM_400000_NS6detail17trampoline_kernelINS0_14default_configENS1_38merge_sort_block_merge_config_selectorIlNS0_10empty_typeEEEZZNS1_27merge_sort_block_merge_implIS3_PlPS5_mZN2at6native12_GLOBAL__N_124unique_dim_cuda_templateIsEESt5tupleIJNSA_6TensorESF_SF_EERKSF_lbbbEUlllE_EE10hipError_tT0_T1_T2_jT3_P12ihipStream_tbPNSt15iterator_traitsISL_E10value_typeEPNSR_ISM_E10value_typeEPSN_NS1_7vsmem_tEENKUlT_SL_SM_SN_E_clIS8_S8_S9_S9_EESK_S10_SL_SM_SN_EUlS10_E_NS1_11comp_targetILNS1_3genE4ELNS1_11target_archE910ELNS1_3gpuE8ELNS1_3repE0EEENS1_48merge_mergepath_partition_config_static_selectorELNS0_4arch9wavefront6targetE0EEEvSM_
; %bb.0:
	.section	.rodata,"a",@progbits
	.p2align	6, 0x0
	.amdhsa_kernel _ZN7rocprim17ROCPRIM_400000_NS6detail17trampoline_kernelINS0_14default_configENS1_38merge_sort_block_merge_config_selectorIlNS0_10empty_typeEEEZZNS1_27merge_sort_block_merge_implIS3_PlPS5_mZN2at6native12_GLOBAL__N_124unique_dim_cuda_templateIsEESt5tupleIJNSA_6TensorESF_SF_EERKSF_lbbbEUlllE_EE10hipError_tT0_T1_T2_jT3_P12ihipStream_tbPNSt15iterator_traitsISL_E10value_typeEPNSR_ISM_E10value_typeEPSN_NS1_7vsmem_tEENKUlT_SL_SM_SN_E_clIS8_S8_S9_S9_EESK_S10_SL_SM_SN_EUlS10_E_NS1_11comp_targetILNS1_3genE4ELNS1_11target_archE910ELNS1_3gpuE8ELNS1_3repE0EEENS1_48merge_mergepath_partition_config_static_selectorELNS0_4arch9wavefront6targetE0EEEvSM_
		.amdhsa_group_segment_fixed_size 0
		.amdhsa_private_segment_fixed_size 0
		.amdhsa_kernarg_size 56
		.amdhsa_user_sgpr_count 15
		.amdhsa_user_sgpr_dispatch_ptr 0
		.amdhsa_user_sgpr_queue_ptr 0
		.amdhsa_user_sgpr_kernarg_segment_ptr 1
		.amdhsa_user_sgpr_dispatch_id 0
		.amdhsa_user_sgpr_private_segment_size 0
		.amdhsa_wavefront_size32 1
		.amdhsa_uses_dynamic_stack 0
		.amdhsa_enable_private_segment 0
		.amdhsa_system_sgpr_workgroup_id_x 1
		.amdhsa_system_sgpr_workgroup_id_y 0
		.amdhsa_system_sgpr_workgroup_id_z 0
		.amdhsa_system_sgpr_workgroup_info 0
		.amdhsa_system_vgpr_workitem_id 0
		.amdhsa_next_free_vgpr 1
		.amdhsa_next_free_sgpr 1
		.amdhsa_reserve_vcc 0
		.amdhsa_float_round_mode_32 0
		.amdhsa_float_round_mode_16_64 0
		.amdhsa_float_denorm_mode_32 3
		.amdhsa_float_denorm_mode_16_64 3
		.amdhsa_dx10_clamp 1
		.amdhsa_ieee_mode 1
		.amdhsa_fp16_overflow 0
		.amdhsa_workgroup_processor_mode 1
		.amdhsa_memory_ordered 1
		.amdhsa_forward_progress 0
		.amdhsa_shared_vgpr_count 0
		.amdhsa_exception_fp_ieee_invalid_op 0
		.amdhsa_exception_fp_denorm_src 0
		.amdhsa_exception_fp_ieee_div_zero 0
		.amdhsa_exception_fp_ieee_overflow 0
		.amdhsa_exception_fp_ieee_underflow 0
		.amdhsa_exception_fp_ieee_inexact 0
		.amdhsa_exception_int_div_zero 0
	.end_amdhsa_kernel
	.section	.text._ZN7rocprim17ROCPRIM_400000_NS6detail17trampoline_kernelINS0_14default_configENS1_38merge_sort_block_merge_config_selectorIlNS0_10empty_typeEEEZZNS1_27merge_sort_block_merge_implIS3_PlPS5_mZN2at6native12_GLOBAL__N_124unique_dim_cuda_templateIsEESt5tupleIJNSA_6TensorESF_SF_EERKSF_lbbbEUlllE_EE10hipError_tT0_T1_T2_jT3_P12ihipStream_tbPNSt15iterator_traitsISL_E10value_typeEPNSR_ISM_E10value_typeEPSN_NS1_7vsmem_tEENKUlT_SL_SM_SN_E_clIS8_S8_S9_S9_EESK_S10_SL_SM_SN_EUlS10_E_NS1_11comp_targetILNS1_3genE4ELNS1_11target_archE910ELNS1_3gpuE8ELNS1_3repE0EEENS1_48merge_mergepath_partition_config_static_selectorELNS0_4arch9wavefront6targetE0EEEvSM_,"axG",@progbits,_ZN7rocprim17ROCPRIM_400000_NS6detail17trampoline_kernelINS0_14default_configENS1_38merge_sort_block_merge_config_selectorIlNS0_10empty_typeEEEZZNS1_27merge_sort_block_merge_implIS3_PlPS5_mZN2at6native12_GLOBAL__N_124unique_dim_cuda_templateIsEESt5tupleIJNSA_6TensorESF_SF_EERKSF_lbbbEUlllE_EE10hipError_tT0_T1_T2_jT3_P12ihipStream_tbPNSt15iterator_traitsISL_E10value_typeEPNSR_ISM_E10value_typeEPSN_NS1_7vsmem_tEENKUlT_SL_SM_SN_E_clIS8_S8_S9_S9_EESK_S10_SL_SM_SN_EUlS10_E_NS1_11comp_targetILNS1_3genE4ELNS1_11target_archE910ELNS1_3gpuE8ELNS1_3repE0EEENS1_48merge_mergepath_partition_config_static_selectorELNS0_4arch9wavefront6targetE0EEEvSM_,comdat
.Lfunc_end639:
	.size	_ZN7rocprim17ROCPRIM_400000_NS6detail17trampoline_kernelINS0_14default_configENS1_38merge_sort_block_merge_config_selectorIlNS0_10empty_typeEEEZZNS1_27merge_sort_block_merge_implIS3_PlPS5_mZN2at6native12_GLOBAL__N_124unique_dim_cuda_templateIsEESt5tupleIJNSA_6TensorESF_SF_EERKSF_lbbbEUlllE_EE10hipError_tT0_T1_T2_jT3_P12ihipStream_tbPNSt15iterator_traitsISL_E10value_typeEPNSR_ISM_E10value_typeEPSN_NS1_7vsmem_tEENKUlT_SL_SM_SN_E_clIS8_S8_S9_S9_EESK_S10_SL_SM_SN_EUlS10_E_NS1_11comp_targetILNS1_3genE4ELNS1_11target_archE910ELNS1_3gpuE8ELNS1_3repE0EEENS1_48merge_mergepath_partition_config_static_selectorELNS0_4arch9wavefront6targetE0EEEvSM_, .Lfunc_end639-_ZN7rocprim17ROCPRIM_400000_NS6detail17trampoline_kernelINS0_14default_configENS1_38merge_sort_block_merge_config_selectorIlNS0_10empty_typeEEEZZNS1_27merge_sort_block_merge_implIS3_PlPS5_mZN2at6native12_GLOBAL__N_124unique_dim_cuda_templateIsEESt5tupleIJNSA_6TensorESF_SF_EERKSF_lbbbEUlllE_EE10hipError_tT0_T1_T2_jT3_P12ihipStream_tbPNSt15iterator_traitsISL_E10value_typeEPNSR_ISM_E10value_typeEPSN_NS1_7vsmem_tEENKUlT_SL_SM_SN_E_clIS8_S8_S9_S9_EESK_S10_SL_SM_SN_EUlS10_E_NS1_11comp_targetILNS1_3genE4ELNS1_11target_archE910ELNS1_3gpuE8ELNS1_3repE0EEENS1_48merge_mergepath_partition_config_static_selectorELNS0_4arch9wavefront6targetE0EEEvSM_
                                        ; -- End function
	.section	.AMDGPU.csdata,"",@progbits
; Kernel info:
; codeLenInByte = 0
; NumSgprs: 0
; NumVgprs: 0
; ScratchSize: 0
; MemoryBound: 0
; FloatMode: 240
; IeeeMode: 1
; LDSByteSize: 0 bytes/workgroup (compile time only)
; SGPRBlocks: 0
; VGPRBlocks: 0
; NumSGPRsForWavesPerEU: 1
; NumVGPRsForWavesPerEU: 1
; Occupancy: 16
; WaveLimiterHint : 0
; COMPUTE_PGM_RSRC2:SCRATCH_EN: 0
; COMPUTE_PGM_RSRC2:USER_SGPR: 15
; COMPUTE_PGM_RSRC2:TRAP_HANDLER: 0
; COMPUTE_PGM_RSRC2:TGID_X_EN: 1
; COMPUTE_PGM_RSRC2:TGID_Y_EN: 0
; COMPUTE_PGM_RSRC2:TGID_Z_EN: 0
; COMPUTE_PGM_RSRC2:TIDIG_COMP_CNT: 0
	.section	.text._ZN7rocprim17ROCPRIM_400000_NS6detail17trampoline_kernelINS0_14default_configENS1_38merge_sort_block_merge_config_selectorIlNS0_10empty_typeEEEZZNS1_27merge_sort_block_merge_implIS3_PlPS5_mZN2at6native12_GLOBAL__N_124unique_dim_cuda_templateIsEESt5tupleIJNSA_6TensorESF_SF_EERKSF_lbbbEUlllE_EE10hipError_tT0_T1_T2_jT3_P12ihipStream_tbPNSt15iterator_traitsISL_E10value_typeEPNSR_ISM_E10value_typeEPSN_NS1_7vsmem_tEENKUlT_SL_SM_SN_E_clIS8_S8_S9_S9_EESK_S10_SL_SM_SN_EUlS10_E_NS1_11comp_targetILNS1_3genE3ELNS1_11target_archE908ELNS1_3gpuE7ELNS1_3repE0EEENS1_48merge_mergepath_partition_config_static_selectorELNS0_4arch9wavefront6targetE0EEEvSM_,"axG",@progbits,_ZN7rocprim17ROCPRIM_400000_NS6detail17trampoline_kernelINS0_14default_configENS1_38merge_sort_block_merge_config_selectorIlNS0_10empty_typeEEEZZNS1_27merge_sort_block_merge_implIS3_PlPS5_mZN2at6native12_GLOBAL__N_124unique_dim_cuda_templateIsEESt5tupleIJNSA_6TensorESF_SF_EERKSF_lbbbEUlllE_EE10hipError_tT0_T1_T2_jT3_P12ihipStream_tbPNSt15iterator_traitsISL_E10value_typeEPNSR_ISM_E10value_typeEPSN_NS1_7vsmem_tEENKUlT_SL_SM_SN_E_clIS8_S8_S9_S9_EESK_S10_SL_SM_SN_EUlS10_E_NS1_11comp_targetILNS1_3genE3ELNS1_11target_archE908ELNS1_3gpuE7ELNS1_3repE0EEENS1_48merge_mergepath_partition_config_static_selectorELNS0_4arch9wavefront6targetE0EEEvSM_,comdat
	.globl	_ZN7rocprim17ROCPRIM_400000_NS6detail17trampoline_kernelINS0_14default_configENS1_38merge_sort_block_merge_config_selectorIlNS0_10empty_typeEEEZZNS1_27merge_sort_block_merge_implIS3_PlPS5_mZN2at6native12_GLOBAL__N_124unique_dim_cuda_templateIsEESt5tupleIJNSA_6TensorESF_SF_EERKSF_lbbbEUlllE_EE10hipError_tT0_T1_T2_jT3_P12ihipStream_tbPNSt15iterator_traitsISL_E10value_typeEPNSR_ISM_E10value_typeEPSN_NS1_7vsmem_tEENKUlT_SL_SM_SN_E_clIS8_S8_S9_S9_EESK_S10_SL_SM_SN_EUlS10_E_NS1_11comp_targetILNS1_3genE3ELNS1_11target_archE908ELNS1_3gpuE7ELNS1_3repE0EEENS1_48merge_mergepath_partition_config_static_selectorELNS0_4arch9wavefront6targetE0EEEvSM_ ; -- Begin function _ZN7rocprim17ROCPRIM_400000_NS6detail17trampoline_kernelINS0_14default_configENS1_38merge_sort_block_merge_config_selectorIlNS0_10empty_typeEEEZZNS1_27merge_sort_block_merge_implIS3_PlPS5_mZN2at6native12_GLOBAL__N_124unique_dim_cuda_templateIsEESt5tupleIJNSA_6TensorESF_SF_EERKSF_lbbbEUlllE_EE10hipError_tT0_T1_T2_jT3_P12ihipStream_tbPNSt15iterator_traitsISL_E10value_typeEPNSR_ISM_E10value_typeEPSN_NS1_7vsmem_tEENKUlT_SL_SM_SN_E_clIS8_S8_S9_S9_EESK_S10_SL_SM_SN_EUlS10_E_NS1_11comp_targetILNS1_3genE3ELNS1_11target_archE908ELNS1_3gpuE7ELNS1_3repE0EEENS1_48merge_mergepath_partition_config_static_selectorELNS0_4arch9wavefront6targetE0EEEvSM_
	.p2align	8
	.type	_ZN7rocprim17ROCPRIM_400000_NS6detail17trampoline_kernelINS0_14default_configENS1_38merge_sort_block_merge_config_selectorIlNS0_10empty_typeEEEZZNS1_27merge_sort_block_merge_implIS3_PlPS5_mZN2at6native12_GLOBAL__N_124unique_dim_cuda_templateIsEESt5tupleIJNSA_6TensorESF_SF_EERKSF_lbbbEUlllE_EE10hipError_tT0_T1_T2_jT3_P12ihipStream_tbPNSt15iterator_traitsISL_E10value_typeEPNSR_ISM_E10value_typeEPSN_NS1_7vsmem_tEENKUlT_SL_SM_SN_E_clIS8_S8_S9_S9_EESK_S10_SL_SM_SN_EUlS10_E_NS1_11comp_targetILNS1_3genE3ELNS1_11target_archE908ELNS1_3gpuE7ELNS1_3repE0EEENS1_48merge_mergepath_partition_config_static_selectorELNS0_4arch9wavefront6targetE0EEEvSM_,@function
_ZN7rocprim17ROCPRIM_400000_NS6detail17trampoline_kernelINS0_14default_configENS1_38merge_sort_block_merge_config_selectorIlNS0_10empty_typeEEEZZNS1_27merge_sort_block_merge_implIS3_PlPS5_mZN2at6native12_GLOBAL__N_124unique_dim_cuda_templateIsEESt5tupleIJNSA_6TensorESF_SF_EERKSF_lbbbEUlllE_EE10hipError_tT0_T1_T2_jT3_P12ihipStream_tbPNSt15iterator_traitsISL_E10value_typeEPNSR_ISM_E10value_typeEPSN_NS1_7vsmem_tEENKUlT_SL_SM_SN_E_clIS8_S8_S9_S9_EESK_S10_SL_SM_SN_EUlS10_E_NS1_11comp_targetILNS1_3genE3ELNS1_11target_archE908ELNS1_3gpuE7ELNS1_3repE0EEENS1_48merge_mergepath_partition_config_static_selectorELNS0_4arch9wavefront6targetE0EEEvSM_: ; @_ZN7rocprim17ROCPRIM_400000_NS6detail17trampoline_kernelINS0_14default_configENS1_38merge_sort_block_merge_config_selectorIlNS0_10empty_typeEEEZZNS1_27merge_sort_block_merge_implIS3_PlPS5_mZN2at6native12_GLOBAL__N_124unique_dim_cuda_templateIsEESt5tupleIJNSA_6TensorESF_SF_EERKSF_lbbbEUlllE_EE10hipError_tT0_T1_T2_jT3_P12ihipStream_tbPNSt15iterator_traitsISL_E10value_typeEPNSR_ISM_E10value_typeEPSN_NS1_7vsmem_tEENKUlT_SL_SM_SN_E_clIS8_S8_S9_S9_EESK_S10_SL_SM_SN_EUlS10_E_NS1_11comp_targetILNS1_3genE3ELNS1_11target_archE908ELNS1_3gpuE7ELNS1_3repE0EEENS1_48merge_mergepath_partition_config_static_selectorELNS0_4arch9wavefront6targetE0EEEvSM_
; %bb.0:
	.section	.rodata,"a",@progbits
	.p2align	6, 0x0
	.amdhsa_kernel _ZN7rocprim17ROCPRIM_400000_NS6detail17trampoline_kernelINS0_14default_configENS1_38merge_sort_block_merge_config_selectorIlNS0_10empty_typeEEEZZNS1_27merge_sort_block_merge_implIS3_PlPS5_mZN2at6native12_GLOBAL__N_124unique_dim_cuda_templateIsEESt5tupleIJNSA_6TensorESF_SF_EERKSF_lbbbEUlllE_EE10hipError_tT0_T1_T2_jT3_P12ihipStream_tbPNSt15iterator_traitsISL_E10value_typeEPNSR_ISM_E10value_typeEPSN_NS1_7vsmem_tEENKUlT_SL_SM_SN_E_clIS8_S8_S9_S9_EESK_S10_SL_SM_SN_EUlS10_E_NS1_11comp_targetILNS1_3genE3ELNS1_11target_archE908ELNS1_3gpuE7ELNS1_3repE0EEENS1_48merge_mergepath_partition_config_static_selectorELNS0_4arch9wavefront6targetE0EEEvSM_
		.amdhsa_group_segment_fixed_size 0
		.amdhsa_private_segment_fixed_size 0
		.amdhsa_kernarg_size 56
		.amdhsa_user_sgpr_count 15
		.amdhsa_user_sgpr_dispatch_ptr 0
		.amdhsa_user_sgpr_queue_ptr 0
		.amdhsa_user_sgpr_kernarg_segment_ptr 1
		.amdhsa_user_sgpr_dispatch_id 0
		.amdhsa_user_sgpr_private_segment_size 0
		.amdhsa_wavefront_size32 1
		.amdhsa_uses_dynamic_stack 0
		.amdhsa_enable_private_segment 0
		.amdhsa_system_sgpr_workgroup_id_x 1
		.amdhsa_system_sgpr_workgroup_id_y 0
		.amdhsa_system_sgpr_workgroup_id_z 0
		.amdhsa_system_sgpr_workgroup_info 0
		.amdhsa_system_vgpr_workitem_id 0
		.amdhsa_next_free_vgpr 1
		.amdhsa_next_free_sgpr 1
		.amdhsa_reserve_vcc 0
		.amdhsa_float_round_mode_32 0
		.amdhsa_float_round_mode_16_64 0
		.amdhsa_float_denorm_mode_32 3
		.amdhsa_float_denorm_mode_16_64 3
		.amdhsa_dx10_clamp 1
		.amdhsa_ieee_mode 1
		.amdhsa_fp16_overflow 0
		.amdhsa_workgroup_processor_mode 1
		.amdhsa_memory_ordered 1
		.amdhsa_forward_progress 0
		.amdhsa_shared_vgpr_count 0
		.amdhsa_exception_fp_ieee_invalid_op 0
		.amdhsa_exception_fp_denorm_src 0
		.amdhsa_exception_fp_ieee_div_zero 0
		.amdhsa_exception_fp_ieee_overflow 0
		.amdhsa_exception_fp_ieee_underflow 0
		.amdhsa_exception_fp_ieee_inexact 0
		.amdhsa_exception_int_div_zero 0
	.end_amdhsa_kernel
	.section	.text._ZN7rocprim17ROCPRIM_400000_NS6detail17trampoline_kernelINS0_14default_configENS1_38merge_sort_block_merge_config_selectorIlNS0_10empty_typeEEEZZNS1_27merge_sort_block_merge_implIS3_PlPS5_mZN2at6native12_GLOBAL__N_124unique_dim_cuda_templateIsEESt5tupleIJNSA_6TensorESF_SF_EERKSF_lbbbEUlllE_EE10hipError_tT0_T1_T2_jT3_P12ihipStream_tbPNSt15iterator_traitsISL_E10value_typeEPNSR_ISM_E10value_typeEPSN_NS1_7vsmem_tEENKUlT_SL_SM_SN_E_clIS8_S8_S9_S9_EESK_S10_SL_SM_SN_EUlS10_E_NS1_11comp_targetILNS1_3genE3ELNS1_11target_archE908ELNS1_3gpuE7ELNS1_3repE0EEENS1_48merge_mergepath_partition_config_static_selectorELNS0_4arch9wavefront6targetE0EEEvSM_,"axG",@progbits,_ZN7rocprim17ROCPRIM_400000_NS6detail17trampoline_kernelINS0_14default_configENS1_38merge_sort_block_merge_config_selectorIlNS0_10empty_typeEEEZZNS1_27merge_sort_block_merge_implIS3_PlPS5_mZN2at6native12_GLOBAL__N_124unique_dim_cuda_templateIsEESt5tupleIJNSA_6TensorESF_SF_EERKSF_lbbbEUlllE_EE10hipError_tT0_T1_T2_jT3_P12ihipStream_tbPNSt15iterator_traitsISL_E10value_typeEPNSR_ISM_E10value_typeEPSN_NS1_7vsmem_tEENKUlT_SL_SM_SN_E_clIS8_S8_S9_S9_EESK_S10_SL_SM_SN_EUlS10_E_NS1_11comp_targetILNS1_3genE3ELNS1_11target_archE908ELNS1_3gpuE7ELNS1_3repE0EEENS1_48merge_mergepath_partition_config_static_selectorELNS0_4arch9wavefront6targetE0EEEvSM_,comdat
.Lfunc_end640:
	.size	_ZN7rocprim17ROCPRIM_400000_NS6detail17trampoline_kernelINS0_14default_configENS1_38merge_sort_block_merge_config_selectorIlNS0_10empty_typeEEEZZNS1_27merge_sort_block_merge_implIS3_PlPS5_mZN2at6native12_GLOBAL__N_124unique_dim_cuda_templateIsEESt5tupleIJNSA_6TensorESF_SF_EERKSF_lbbbEUlllE_EE10hipError_tT0_T1_T2_jT3_P12ihipStream_tbPNSt15iterator_traitsISL_E10value_typeEPNSR_ISM_E10value_typeEPSN_NS1_7vsmem_tEENKUlT_SL_SM_SN_E_clIS8_S8_S9_S9_EESK_S10_SL_SM_SN_EUlS10_E_NS1_11comp_targetILNS1_3genE3ELNS1_11target_archE908ELNS1_3gpuE7ELNS1_3repE0EEENS1_48merge_mergepath_partition_config_static_selectorELNS0_4arch9wavefront6targetE0EEEvSM_, .Lfunc_end640-_ZN7rocprim17ROCPRIM_400000_NS6detail17trampoline_kernelINS0_14default_configENS1_38merge_sort_block_merge_config_selectorIlNS0_10empty_typeEEEZZNS1_27merge_sort_block_merge_implIS3_PlPS5_mZN2at6native12_GLOBAL__N_124unique_dim_cuda_templateIsEESt5tupleIJNSA_6TensorESF_SF_EERKSF_lbbbEUlllE_EE10hipError_tT0_T1_T2_jT3_P12ihipStream_tbPNSt15iterator_traitsISL_E10value_typeEPNSR_ISM_E10value_typeEPSN_NS1_7vsmem_tEENKUlT_SL_SM_SN_E_clIS8_S8_S9_S9_EESK_S10_SL_SM_SN_EUlS10_E_NS1_11comp_targetILNS1_3genE3ELNS1_11target_archE908ELNS1_3gpuE7ELNS1_3repE0EEENS1_48merge_mergepath_partition_config_static_selectorELNS0_4arch9wavefront6targetE0EEEvSM_
                                        ; -- End function
	.section	.AMDGPU.csdata,"",@progbits
; Kernel info:
; codeLenInByte = 0
; NumSgprs: 0
; NumVgprs: 0
; ScratchSize: 0
; MemoryBound: 0
; FloatMode: 240
; IeeeMode: 1
; LDSByteSize: 0 bytes/workgroup (compile time only)
; SGPRBlocks: 0
; VGPRBlocks: 0
; NumSGPRsForWavesPerEU: 1
; NumVGPRsForWavesPerEU: 1
; Occupancy: 16
; WaveLimiterHint : 0
; COMPUTE_PGM_RSRC2:SCRATCH_EN: 0
; COMPUTE_PGM_RSRC2:USER_SGPR: 15
; COMPUTE_PGM_RSRC2:TRAP_HANDLER: 0
; COMPUTE_PGM_RSRC2:TGID_X_EN: 1
; COMPUTE_PGM_RSRC2:TGID_Y_EN: 0
; COMPUTE_PGM_RSRC2:TGID_Z_EN: 0
; COMPUTE_PGM_RSRC2:TIDIG_COMP_CNT: 0
	.section	.text._ZN7rocprim17ROCPRIM_400000_NS6detail17trampoline_kernelINS0_14default_configENS1_38merge_sort_block_merge_config_selectorIlNS0_10empty_typeEEEZZNS1_27merge_sort_block_merge_implIS3_PlPS5_mZN2at6native12_GLOBAL__N_124unique_dim_cuda_templateIsEESt5tupleIJNSA_6TensorESF_SF_EERKSF_lbbbEUlllE_EE10hipError_tT0_T1_T2_jT3_P12ihipStream_tbPNSt15iterator_traitsISL_E10value_typeEPNSR_ISM_E10value_typeEPSN_NS1_7vsmem_tEENKUlT_SL_SM_SN_E_clIS8_S8_S9_S9_EESK_S10_SL_SM_SN_EUlS10_E_NS1_11comp_targetILNS1_3genE2ELNS1_11target_archE906ELNS1_3gpuE6ELNS1_3repE0EEENS1_48merge_mergepath_partition_config_static_selectorELNS0_4arch9wavefront6targetE0EEEvSM_,"axG",@progbits,_ZN7rocprim17ROCPRIM_400000_NS6detail17trampoline_kernelINS0_14default_configENS1_38merge_sort_block_merge_config_selectorIlNS0_10empty_typeEEEZZNS1_27merge_sort_block_merge_implIS3_PlPS5_mZN2at6native12_GLOBAL__N_124unique_dim_cuda_templateIsEESt5tupleIJNSA_6TensorESF_SF_EERKSF_lbbbEUlllE_EE10hipError_tT0_T1_T2_jT3_P12ihipStream_tbPNSt15iterator_traitsISL_E10value_typeEPNSR_ISM_E10value_typeEPSN_NS1_7vsmem_tEENKUlT_SL_SM_SN_E_clIS8_S8_S9_S9_EESK_S10_SL_SM_SN_EUlS10_E_NS1_11comp_targetILNS1_3genE2ELNS1_11target_archE906ELNS1_3gpuE6ELNS1_3repE0EEENS1_48merge_mergepath_partition_config_static_selectorELNS0_4arch9wavefront6targetE0EEEvSM_,comdat
	.globl	_ZN7rocprim17ROCPRIM_400000_NS6detail17trampoline_kernelINS0_14default_configENS1_38merge_sort_block_merge_config_selectorIlNS0_10empty_typeEEEZZNS1_27merge_sort_block_merge_implIS3_PlPS5_mZN2at6native12_GLOBAL__N_124unique_dim_cuda_templateIsEESt5tupleIJNSA_6TensorESF_SF_EERKSF_lbbbEUlllE_EE10hipError_tT0_T1_T2_jT3_P12ihipStream_tbPNSt15iterator_traitsISL_E10value_typeEPNSR_ISM_E10value_typeEPSN_NS1_7vsmem_tEENKUlT_SL_SM_SN_E_clIS8_S8_S9_S9_EESK_S10_SL_SM_SN_EUlS10_E_NS1_11comp_targetILNS1_3genE2ELNS1_11target_archE906ELNS1_3gpuE6ELNS1_3repE0EEENS1_48merge_mergepath_partition_config_static_selectorELNS0_4arch9wavefront6targetE0EEEvSM_ ; -- Begin function _ZN7rocprim17ROCPRIM_400000_NS6detail17trampoline_kernelINS0_14default_configENS1_38merge_sort_block_merge_config_selectorIlNS0_10empty_typeEEEZZNS1_27merge_sort_block_merge_implIS3_PlPS5_mZN2at6native12_GLOBAL__N_124unique_dim_cuda_templateIsEESt5tupleIJNSA_6TensorESF_SF_EERKSF_lbbbEUlllE_EE10hipError_tT0_T1_T2_jT3_P12ihipStream_tbPNSt15iterator_traitsISL_E10value_typeEPNSR_ISM_E10value_typeEPSN_NS1_7vsmem_tEENKUlT_SL_SM_SN_E_clIS8_S8_S9_S9_EESK_S10_SL_SM_SN_EUlS10_E_NS1_11comp_targetILNS1_3genE2ELNS1_11target_archE906ELNS1_3gpuE6ELNS1_3repE0EEENS1_48merge_mergepath_partition_config_static_selectorELNS0_4arch9wavefront6targetE0EEEvSM_
	.p2align	8
	.type	_ZN7rocprim17ROCPRIM_400000_NS6detail17trampoline_kernelINS0_14default_configENS1_38merge_sort_block_merge_config_selectorIlNS0_10empty_typeEEEZZNS1_27merge_sort_block_merge_implIS3_PlPS5_mZN2at6native12_GLOBAL__N_124unique_dim_cuda_templateIsEESt5tupleIJNSA_6TensorESF_SF_EERKSF_lbbbEUlllE_EE10hipError_tT0_T1_T2_jT3_P12ihipStream_tbPNSt15iterator_traitsISL_E10value_typeEPNSR_ISM_E10value_typeEPSN_NS1_7vsmem_tEENKUlT_SL_SM_SN_E_clIS8_S8_S9_S9_EESK_S10_SL_SM_SN_EUlS10_E_NS1_11comp_targetILNS1_3genE2ELNS1_11target_archE906ELNS1_3gpuE6ELNS1_3repE0EEENS1_48merge_mergepath_partition_config_static_selectorELNS0_4arch9wavefront6targetE0EEEvSM_,@function
_ZN7rocprim17ROCPRIM_400000_NS6detail17trampoline_kernelINS0_14default_configENS1_38merge_sort_block_merge_config_selectorIlNS0_10empty_typeEEEZZNS1_27merge_sort_block_merge_implIS3_PlPS5_mZN2at6native12_GLOBAL__N_124unique_dim_cuda_templateIsEESt5tupleIJNSA_6TensorESF_SF_EERKSF_lbbbEUlllE_EE10hipError_tT0_T1_T2_jT3_P12ihipStream_tbPNSt15iterator_traitsISL_E10value_typeEPNSR_ISM_E10value_typeEPSN_NS1_7vsmem_tEENKUlT_SL_SM_SN_E_clIS8_S8_S9_S9_EESK_S10_SL_SM_SN_EUlS10_E_NS1_11comp_targetILNS1_3genE2ELNS1_11target_archE906ELNS1_3gpuE6ELNS1_3repE0EEENS1_48merge_mergepath_partition_config_static_selectorELNS0_4arch9wavefront6targetE0EEEvSM_: ; @_ZN7rocprim17ROCPRIM_400000_NS6detail17trampoline_kernelINS0_14default_configENS1_38merge_sort_block_merge_config_selectorIlNS0_10empty_typeEEEZZNS1_27merge_sort_block_merge_implIS3_PlPS5_mZN2at6native12_GLOBAL__N_124unique_dim_cuda_templateIsEESt5tupleIJNSA_6TensorESF_SF_EERKSF_lbbbEUlllE_EE10hipError_tT0_T1_T2_jT3_P12ihipStream_tbPNSt15iterator_traitsISL_E10value_typeEPNSR_ISM_E10value_typeEPSN_NS1_7vsmem_tEENKUlT_SL_SM_SN_E_clIS8_S8_S9_S9_EESK_S10_SL_SM_SN_EUlS10_E_NS1_11comp_targetILNS1_3genE2ELNS1_11target_archE906ELNS1_3gpuE6ELNS1_3repE0EEENS1_48merge_mergepath_partition_config_static_selectorELNS0_4arch9wavefront6targetE0EEEvSM_
; %bb.0:
	.section	.rodata,"a",@progbits
	.p2align	6, 0x0
	.amdhsa_kernel _ZN7rocprim17ROCPRIM_400000_NS6detail17trampoline_kernelINS0_14default_configENS1_38merge_sort_block_merge_config_selectorIlNS0_10empty_typeEEEZZNS1_27merge_sort_block_merge_implIS3_PlPS5_mZN2at6native12_GLOBAL__N_124unique_dim_cuda_templateIsEESt5tupleIJNSA_6TensorESF_SF_EERKSF_lbbbEUlllE_EE10hipError_tT0_T1_T2_jT3_P12ihipStream_tbPNSt15iterator_traitsISL_E10value_typeEPNSR_ISM_E10value_typeEPSN_NS1_7vsmem_tEENKUlT_SL_SM_SN_E_clIS8_S8_S9_S9_EESK_S10_SL_SM_SN_EUlS10_E_NS1_11comp_targetILNS1_3genE2ELNS1_11target_archE906ELNS1_3gpuE6ELNS1_3repE0EEENS1_48merge_mergepath_partition_config_static_selectorELNS0_4arch9wavefront6targetE0EEEvSM_
		.amdhsa_group_segment_fixed_size 0
		.amdhsa_private_segment_fixed_size 0
		.amdhsa_kernarg_size 56
		.amdhsa_user_sgpr_count 15
		.amdhsa_user_sgpr_dispatch_ptr 0
		.amdhsa_user_sgpr_queue_ptr 0
		.amdhsa_user_sgpr_kernarg_segment_ptr 1
		.amdhsa_user_sgpr_dispatch_id 0
		.amdhsa_user_sgpr_private_segment_size 0
		.amdhsa_wavefront_size32 1
		.amdhsa_uses_dynamic_stack 0
		.amdhsa_enable_private_segment 0
		.amdhsa_system_sgpr_workgroup_id_x 1
		.amdhsa_system_sgpr_workgroup_id_y 0
		.amdhsa_system_sgpr_workgroup_id_z 0
		.amdhsa_system_sgpr_workgroup_info 0
		.amdhsa_system_vgpr_workitem_id 0
		.amdhsa_next_free_vgpr 1
		.amdhsa_next_free_sgpr 1
		.amdhsa_reserve_vcc 0
		.amdhsa_float_round_mode_32 0
		.amdhsa_float_round_mode_16_64 0
		.amdhsa_float_denorm_mode_32 3
		.amdhsa_float_denorm_mode_16_64 3
		.amdhsa_dx10_clamp 1
		.amdhsa_ieee_mode 1
		.amdhsa_fp16_overflow 0
		.amdhsa_workgroup_processor_mode 1
		.amdhsa_memory_ordered 1
		.amdhsa_forward_progress 0
		.amdhsa_shared_vgpr_count 0
		.amdhsa_exception_fp_ieee_invalid_op 0
		.amdhsa_exception_fp_denorm_src 0
		.amdhsa_exception_fp_ieee_div_zero 0
		.amdhsa_exception_fp_ieee_overflow 0
		.amdhsa_exception_fp_ieee_underflow 0
		.amdhsa_exception_fp_ieee_inexact 0
		.amdhsa_exception_int_div_zero 0
	.end_amdhsa_kernel
	.section	.text._ZN7rocprim17ROCPRIM_400000_NS6detail17trampoline_kernelINS0_14default_configENS1_38merge_sort_block_merge_config_selectorIlNS0_10empty_typeEEEZZNS1_27merge_sort_block_merge_implIS3_PlPS5_mZN2at6native12_GLOBAL__N_124unique_dim_cuda_templateIsEESt5tupleIJNSA_6TensorESF_SF_EERKSF_lbbbEUlllE_EE10hipError_tT0_T1_T2_jT3_P12ihipStream_tbPNSt15iterator_traitsISL_E10value_typeEPNSR_ISM_E10value_typeEPSN_NS1_7vsmem_tEENKUlT_SL_SM_SN_E_clIS8_S8_S9_S9_EESK_S10_SL_SM_SN_EUlS10_E_NS1_11comp_targetILNS1_3genE2ELNS1_11target_archE906ELNS1_3gpuE6ELNS1_3repE0EEENS1_48merge_mergepath_partition_config_static_selectorELNS0_4arch9wavefront6targetE0EEEvSM_,"axG",@progbits,_ZN7rocprim17ROCPRIM_400000_NS6detail17trampoline_kernelINS0_14default_configENS1_38merge_sort_block_merge_config_selectorIlNS0_10empty_typeEEEZZNS1_27merge_sort_block_merge_implIS3_PlPS5_mZN2at6native12_GLOBAL__N_124unique_dim_cuda_templateIsEESt5tupleIJNSA_6TensorESF_SF_EERKSF_lbbbEUlllE_EE10hipError_tT0_T1_T2_jT3_P12ihipStream_tbPNSt15iterator_traitsISL_E10value_typeEPNSR_ISM_E10value_typeEPSN_NS1_7vsmem_tEENKUlT_SL_SM_SN_E_clIS8_S8_S9_S9_EESK_S10_SL_SM_SN_EUlS10_E_NS1_11comp_targetILNS1_3genE2ELNS1_11target_archE906ELNS1_3gpuE6ELNS1_3repE0EEENS1_48merge_mergepath_partition_config_static_selectorELNS0_4arch9wavefront6targetE0EEEvSM_,comdat
.Lfunc_end641:
	.size	_ZN7rocprim17ROCPRIM_400000_NS6detail17trampoline_kernelINS0_14default_configENS1_38merge_sort_block_merge_config_selectorIlNS0_10empty_typeEEEZZNS1_27merge_sort_block_merge_implIS3_PlPS5_mZN2at6native12_GLOBAL__N_124unique_dim_cuda_templateIsEESt5tupleIJNSA_6TensorESF_SF_EERKSF_lbbbEUlllE_EE10hipError_tT0_T1_T2_jT3_P12ihipStream_tbPNSt15iterator_traitsISL_E10value_typeEPNSR_ISM_E10value_typeEPSN_NS1_7vsmem_tEENKUlT_SL_SM_SN_E_clIS8_S8_S9_S9_EESK_S10_SL_SM_SN_EUlS10_E_NS1_11comp_targetILNS1_3genE2ELNS1_11target_archE906ELNS1_3gpuE6ELNS1_3repE0EEENS1_48merge_mergepath_partition_config_static_selectorELNS0_4arch9wavefront6targetE0EEEvSM_, .Lfunc_end641-_ZN7rocprim17ROCPRIM_400000_NS6detail17trampoline_kernelINS0_14default_configENS1_38merge_sort_block_merge_config_selectorIlNS0_10empty_typeEEEZZNS1_27merge_sort_block_merge_implIS3_PlPS5_mZN2at6native12_GLOBAL__N_124unique_dim_cuda_templateIsEESt5tupleIJNSA_6TensorESF_SF_EERKSF_lbbbEUlllE_EE10hipError_tT0_T1_T2_jT3_P12ihipStream_tbPNSt15iterator_traitsISL_E10value_typeEPNSR_ISM_E10value_typeEPSN_NS1_7vsmem_tEENKUlT_SL_SM_SN_E_clIS8_S8_S9_S9_EESK_S10_SL_SM_SN_EUlS10_E_NS1_11comp_targetILNS1_3genE2ELNS1_11target_archE906ELNS1_3gpuE6ELNS1_3repE0EEENS1_48merge_mergepath_partition_config_static_selectorELNS0_4arch9wavefront6targetE0EEEvSM_
                                        ; -- End function
	.section	.AMDGPU.csdata,"",@progbits
; Kernel info:
; codeLenInByte = 0
; NumSgprs: 0
; NumVgprs: 0
; ScratchSize: 0
; MemoryBound: 0
; FloatMode: 240
; IeeeMode: 1
; LDSByteSize: 0 bytes/workgroup (compile time only)
; SGPRBlocks: 0
; VGPRBlocks: 0
; NumSGPRsForWavesPerEU: 1
; NumVGPRsForWavesPerEU: 1
; Occupancy: 16
; WaveLimiterHint : 0
; COMPUTE_PGM_RSRC2:SCRATCH_EN: 0
; COMPUTE_PGM_RSRC2:USER_SGPR: 15
; COMPUTE_PGM_RSRC2:TRAP_HANDLER: 0
; COMPUTE_PGM_RSRC2:TGID_X_EN: 1
; COMPUTE_PGM_RSRC2:TGID_Y_EN: 0
; COMPUTE_PGM_RSRC2:TGID_Z_EN: 0
; COMPUTE_PGM_RSRC2:TIDIG_COMP_CNT: 0
	.section	.text._ZN7rocprim17ROCPRIM_400000_NS6detail17trampoline_kernelINS0_14default_configENS1_38merge_sort_block_merge_config_selectorIlNS0_10empty_typeEEEZZNS1_27merge_sort_block_merge_implIS3_PlPS5_mZN2at6native12_GLOBAL__N_124unique_dim_cuda_templateIsEESt5tupleIJNSA_6TensorESF_SF_EERKSF_lbbbEUlllE_EE10hipError_tT0_T1_T2_jT3_P12ihipStream_tbPNSt15iterator_traitsISL_E10value_typeEPNSR_ISM_E10value_typeEPSN_NS1_7vsmem_tEENKUlT_SL_SM_SN_E_clIS8_S8_S9_S9_EESK_S10_SL_SM_SN_EUlS10_E_NS1_11comp_targetILNS1_3genE9ELNS1_11target_archE1100ELNS1_3gpuE3ELNS1_3repE0EEENS1_48merge_mergepath_partition_config_static_selectorELNS0_4arch9wavefront6targetE0EEEvSM_,"axG",@progbits,_ZN7rocprim17ROCPRIM_400000_NS6detail17trampoline_kernelINS0_14default_configENS1_38merge_sort_block_merge_config_selectorIlNS0_10empty_typeEEEZZNS1_27merge_sort_block_merge_implIS3_PlPS5_mZN2at6native12_GLOBAL__N_124unique_dim_cuda_templateIsEESt5tupleIJNSA_6TensorESF_SF_EERKSF_lbbbEUlllE_EE10hipError_tT0_T1_T2_jT3_P12ihipStream_tbPNSt15iterator_traitsISL_E10value_typeEPNSR_ISM_E10value_typeEPSN_NS1_7vsmem_tEENKUlT_SL_SM_SN_E_clIS8_S8_S9_S9_EESK_S10_SL_SM_SN_EUlS10_E_NS1_11comp_targetILNS1_3genE9ELNS1_11target_archE1100ELNS1_3gpuE3ELNS1_3repE0EEENS1_48merge_mergepath_partition_config_static_selectorELNS0_4arch9wavefront6targetE0EEEvSM_,comdat
	.globl	_ZN7rocprim17ROCPRIM_400000_NS6detail17trampoline_kernelINS0_14default_configENS1_38merge_sort_block_merge_config_selectorIlNS0_10empty_typeEEEZZNS1_27merge_sort_block_merge_implIS3_PlPS5_mZN2at6native12_GLOBAL__N_124unique_dim_cuda_templateIsEESt5tupleIJNSA_6TensorESF_SF_EERKSF_lbbbEUlllE_EE10hipError_tT0_T1_T2_jT3_P12ihipStream_tbPNSt15iterator_traitsISL_E10value_typeEPNSR_ISM_E10value_typeEPSN_NS1_7vsmem_tEENKUlT_SL_SM_SN_E_clIS8_S8_S9_S9_EESK_S10_SL_SM_SN_EUlS10_E_NS1_11comp_targetILNS1_3genE9ELNS1_11target_archE1100ELNS1_3gpuE3ELNS1_3repE0EEENS1_48merge_mergepath_partition_config_static_selectorELNS0_4arch9wavefront6targetE0EEEvSM_ ; -- Begin function _ZN7rocprim17ROCPRIM_400000_NS6detail17trampoline_kernelINS0_14default_configENS1_38merge_sort_block_merge_config_selectorIlNS0_10empty_typeEEEZZNS1_27merge_sort_block_merge_implIS3_PlPS5_mZN2at6native12_GLOBAL__N_124unique_dim_cuda_templateIsEESt5tupleIJNSA_6TensorESF_SF_EERKSF_lbbbEUlllE_EE10hipError_tT0_T1_T2_jT3_P12ihipStream_tbPNSt15iterator_traitsISL_E10value_typeEPNSR_ISM_E10value_typeEPSN_NS1_7vsmem_tEENKUlT_SL_SM_SN_E_clIS8_S8_S9_S9_EESK_S10_SL_SM_SN_EUlS10_E_NS1_11comp_targetILNS1_3genE9ELNS1_11target_archE1100ELNS1_3gpuE3ELNS1_3repE0EEENS1_48merge_mergepath_partition_config_static_selectorELNS0_4arch9wavefront6targetE0EEEvSM_
	.p2align	8
	.type	_ZN7rocprim17ROCPRIM_400000_NS6detail17trampoline_kernelINS0_14default_configENS1_38merge_sort_block_merge_config_selectorIlNS0_10empty_typeEEEZZNS1_27merge_sort_block_merge_implIS3_PlPS5_mZN2at6native12_GLOBAL__N_124unique_dim_cuda_templateIsEESt5tupleIJNSA_6TensorESF_SF_EERKSF_lbbbEUlllE_EE10hipError_tT0_T1_T2_jT3_P12ihipStream_tbPNSt15iterator_traitsISL_E10value_typeEPNSR_ISM_E10value_typeEPSN_NS1_7vsmem_tEENKUlT_SL_SM_SN_E_clIS8_S8_S9_S9_EESK_S10_SL_SM_SN_EUlS10_E_NS1_11comp_targetILNS1_3genE9ELNS1_11target_archE1100ELNS1_3gpuE3ELNS1_3repE0EEENS1_48merge_mergepath_partition_config_static_selectorELNS0_4arch9wavefront6targetE0EEEvSM_,@function
_ZN7rocprim17ROCPRIM_400000_NS6detail17trampoline_kernelINS0_14default_configENS1_38merge_sort_block_merge_config_selectorIlNS0_10empty_typeEEEZZNS1_27merge_sort_block_merge_implIS3_PlPS5_mZN2at6native12_GLOBAL__N_124unique_dim_cuda_templateIsEESt5tupleIJNSA_6TensorESF_SF_EERKSF_lbbbEUlllE_EE10hipError_tT0_T1_T2_jT3_P12ihipStream_tbPNSt15iterator_traitsISL_E10value_typeEPNSR_ISM_E10value_typeEPSN_NS1_7vsmem_tEENKUlT_SL_SM_SN_E_clIS8_S8_S9_S9_EESK_S10_SL_SM_SN_EUlS10_E_NS1_11comp_targetILNS1_3genE9ELNS1_11target_archE1100ELNS1_3gpuE3ELNS1_3repE0EEENS1_48merge_mergepath_partition_config_static_selectorELNS0_4arch9wavefront6targetE0EEEvSM_: ; @_ZN7rocprim17ROCPRIM_400000_NS6detail17trampoline_kernelINS0_14default_configENS1_38merge_sort_block_merge_config_selectorIlNS0_10empty_typeEEEZZNS1_27merge_sort_block_merge_implIS3_PlPS5_mZN2at6native12_GLOBAL__N_124unique_dim_cuda_templateIsEESt5tupleIJNSA_6TensorESF_SF_EERKSF_lbbbEUlllE_EE10hipError_tT0_T1_T2_jT3_P12ihipStream_tbPNSt15iterator_traitsISL_E10value_typeEPNSR_ISM_E10value_typeEPSN_NS1_7vsmem_tEENKUlT_SL_SM_SN_E_clIS8_S8_S9_S9_EESK_S10_SL_SM_SN_EUlS10_E_NS1_11comp_targetILNS1_3genE9ELNS1_11target_archE1100ELNS1_3gpuE3ELNS1_3repE0EEENS1_48merge_mergepath_partition_config_static_selectorELNS0_4arch9wavefront6targetE0EEEvSM_
; %bb.0:
	s_load_b32 s2, s[0:1], 0x0
	v_lshl_or_b32 v0, s15, 7, v0
	s_waitcnt lgkmcnt(0)
	s_delay_alu instid0(VALU_DEP_1)
	v_cmp_gt_u32_e32 vcc_lo, s2, v0
	s_and_saveexec_b32 s2, vcc_lo
	s_cbranch_execz .LBB642_13
; %bb.1:
	s_load_b128 s[4:7], s[0:1], 0x8
	s_mov_b32 s12, 0
	v_mov_b32_e32 v2, 0
	s_waitcnt lgkmcnt(0)
	v_alignbit_b32 v1, s5, s4, 9
	s_delay_alu instid0(VALU_DEP_1) | instskip(NEXT) | instid1(VALU_DEP_1)
	v_and_b32_e32 v3, -2, v1
	v_sub_nc_u32_e32 v1, 0, v3
	s_delay_alu instid0(VALU_DEP_1) | instskip(NEXT) | instid1(VALU_DEP_1)
	v_and_b32_e32 v1, v0, v1
	v_lshlrev_b64 v[4:5], 10, v[1:2]
	v_add_nc_u32_e32 v1, -1, v3
	s_delay_alu instid0(VALU_DEP_1) | instskip(NEXT) | instid1(VALU_DEP_3)
	v_dual_mov_b32 v11, v2 :: v_dual_and_b32 v10, v1, v0
	v_add_co_u32 v6, vcc_lo, v4, s4
	s_delay_alu instid0(VALU_DEP_4) | instskip(NEXT) | instid1(VALU_DEP_1)
	v_add_co_ci_u32_e32 v7, vcc_lo, s5, v5, vcc_lo
	v_cmp_lt_u64_e32 vcc_lo, s[6:7], v[6:7]
	v_cndmask_b32_e64 v8, v6, s6, vcc_lo
	v_cndmask_b32_e64 v9, v7, s7, vcc_lo
	s_delay_alu instid0(VALU_DEP_2) | instskip(NEXT) | instid1(VALU_DEP_2)
	v_add_co_u32 v6, vcc_lo, v8, s4
	v_add_co_ci_u32_e32 v7, vcc_lo, s5, v9, vcc_lo
	v_cmp_lt_u64_e32 vcc_lo, s[6:7], v[4:5]
	s_delay_alu instid0(VALU_DEP_2) | instskip(SKIP_3) | instid1(VALU_DEP_4)
	v_cmp_lt_u64_e64 s2, s[6:7], v[6:7]
	v_cndmask_b32_e64 v2, v4, s6, vcc_lo
	v_cndmask_b32_e64 v3, v5, s7, vcc_lo
	v_lshlrev_b64 v[4:5], 10, v[10:11]
	v_cndmask_b32_e64 v12, v6, s6, s2
	v_cndmask_b32_e64 v1, v7, s7, s2
	s_load_b256 s[4:11], s[0:1], 0x18
	s_mov_b32 s1, exec_lo
	s_delay_alu instid0(VALU_DEP_2) | instskip(NEXT) | instid1(VALU_DEP_2)
	v_sub_co_u32 v6, vcc_lo, v12, v2
	v_sub_co_ci_u32_e32 v7, vcc_lo, v1, v3, vcc_lo
	s_delay_alu instid0(VALU_DEP_1) | instskip(SKIP_3) | instid1(VALU_DEP_2)
	v_cmp_lt_u64_e32 vcc_lo, v[6:7], v[4:5]
	v_dual_cndmask_b32 v11, v5, v7 :: v_dual_cndmask_b32 v10, v4, v6
	v_sub_co_u32 v4, vcc_lo, v8, v12
	v_sub_co_ci_u32_e32 v1, vcc_lo, v9, v1, vcc_lo
	v_add_co_u32 v4, vcc_lo, v10, v4
	s_delay_alu instid0(VALU_DEP_2) | instskip(SKIP_2) | instid1(VALU_DEP_3)
	v_add_co_ci_u32_e32 v5, vcc_lo, v11, v1, vcc_lo
	v_sub_co_u32 v6, vcc_lo, v8, v2
	v_sub_co_ci_u32_e32 v7, vcc_lo, v9, v3, vcc_lo
	v_cmp_gt_u64_e32 vcc_lo, v[4:5], v[10:11]
	s_delay_alu instid0(VALU_DEP_2) | instskip(SKIP_2) | instid1(VALU_DEP_3)
	v_cmp_lt_u64_e64 s0, v[10:11], v[6:7]
	v_cndmask_b32_e64 v5, v5, 0, vcc_lo
	v_cndmask_b32_e64 v4, v4, 0, vcc_lo
	v_cndmask_b32_e64 v7, v7, v11, s0
	v_cndmask_b32_e64 v6, v6, v10, s0
	s_delay_alu instid0(VALU_DEP_1)
	v_cmpx_lt_u64_e64 v[4:5], v[6:7]
	s_cbranch_execz .LBB642_12
; %bb.2:
	v_lshlrev_b64 v[8:9], 3, v[8:9]
	v_lshlrev_b64 v[12:13], 3, v[2:3]
	v_lshlrev_b64 v[10:11], 3, v[10:11]
	s_waitcnt lgkmcnt(0)
	v_cmp_gt_i64_e64 s13, s[6:7], 0
	s_lshl_b64 s[2:3], s[6:7], 1
	v_add_co_u32 v8, vcc_lo, s4, v8
	v_add_co_ci_u32_e32 v9, vcc_lo, s5, v9, vcc_lo
	v_add_co_u32 v1, vcc_lo, s4, v12
	v_add_co_ci_u32_e32 v14, vcc_lo, s5, v13, vcc_lo
	s_delay_alu instid0(VALU_DEP_4) | instskip(NEXT) | instid1(VALU_DEP_4)
	v_add_co_u32 v15, vcc_lo, v8, v10
	v_add_co_ci_u32_e32 v16, vcc_lo, v9, v11, vcc_lo
	s_branch .LBB642_5
.LBB642_3:                              ;   in Loop: Header=BB642_5 Depth=1
	s_set_inst_prefetch_distance 0x2
	s_or_b32 exec_lo, exec_lo, s15
.LBB642_4:                              ;   in Loop: Header=BB642_5 Depth=1
	s_delay_alu instid0(VALU_DEP_1) | instskip(NEXT) | instid1(VALU_DEP_2)
	v_add_co_u32 v10, vcc_lo, v8, 1
	v_add_co_ci_u32_e32 v11, vcc_lo, 0, v9, vcc_lo
	v_cndmask_b32_e64 v7, v7, v9, s14
	v_cndmask_b32_e64 v6, v6, v8, s14
	s_delay_alu instid0(VALU_DEP_4) | instskip(NEXT) | instid1(VALU_DEP_4)
	v_cndmask_b32_e64 v4, v10, v4, s14
	v_cndmask_b32_e64 v5, v11, v5, s14
	s_delay_alu instid0(VALU_DEP_1) | instskip(SKIP_1) | instid1(SALU_CYCLE_1)
	v_cmp_ge_u64_e32 vcc_lo, v[4:5], v[6:7]
	s_or_b32 s12, vcc_lo, s12
	s_and_not1_b32 exec_lo, exec_lo, s12
	s_cbranch_execz .LBB642_11
.LBB642_5:                              ; =>This Loop Header: Depth=1
                                        ;     Child Loop BB642_8 Depth 2
	v_add_co_u32 v8, vcc_lo, v6, v4
	v_add_co_ci_u32_e32 v9, vcc_lo, v7, v5, vcc_lo
	s_and_not1_b32 vcc_lo, exec_lo, s13
	s_delay_alu instid0(VALU_DEP_1)
	v_lshrrev_b64 v[8:9], 1, v[8:9]
	s_cbranch_vccnz .LBB642_10
; %bb.6:                                ;   in Loop: Header=BB642_5 Depth=1
	s_delay_alu instid0(VALU_DEP_1) | instskip(NEXT) | instid1(VALU_DEP_2)
	v_not_b32_e32 v11, v9
	v_not_b32_e32 v10, v8
	v_lshlrev_b64 v[12:13], 3, v[8:9]
	s_mov_b32 s15, 0
	s_mov_b64 s[4:5], s[6:7]
                                        ; implicit-def: $sgpr14
                                        ; implicit-def: $sgpr16
                                        ; implicit-def: $sgpr17
                                        ; implicit-def: $sgpr18
                                        ; implicit-def: $sgpr19
	s_delay_alu instid0(VALU_DEP_2) | instskip(NEXT) | instid1(VALU_DEP_1)
	v_lshlrev_b64 v[10:11], 3, v[10:11]
	v_add_co_u32 v10, vcc_lo, v15, v10
	s_delay_alu instid0(VALU_DEP_2)
	v_add_co_ci_u32_e32 v11, vcc_lo, v16, v11, vcc_lo
	v_add_co_u32 v12, vcc_lo, v1, v12
	v_add_co_ci_u32_e32 v13, vcc_lo, v14, v13, vcc_lo
	s_clause 0x1
	global_load_b64 v[17:18], v[10:11], off
	global_load_b64 v[19:20], v[12:13], off
	s_waitcnt vmcnt(1)
	v_mul_lo_u32 v18, s2, v18
	v_mul_lo_u32 v21, s3, v17
	v_mad_u64_u32 v[10:11], null, s2, v17, s[8:9]
	s_waitcnt vmcnt(0)
	v_mul_lo_u32 v17, s2, v20
	v_mul_lo_u32 v20, s3, v19
	v_mad_u64_u32 v[12:13], null, s2, v19, s[8:9]
	s_delay_alu instid0(VALU_DEP_4) | instskip(NEXT) | instid1(VALU_DEP_2)
	v_add3_u32 v11, v21, v11, v18
	v_add3_u32 v13, v20, v13, v17
	s_set_inst_prefetch_distance 0x1
	s_branch .LBB642_8
	.p2align	6
.LBB642_7:                              ;   in Loop: Header=BB642_8 Depth=2
	s_or_b32 exec_lo, exec_lo, s0
	s_delay_alu instid0(SALU_CYCLE_1) | instskip(NEXT) | instid1(SALU_CYCLE_1)
	s_and_b32 s0, exec_lo, s16
	s_or_b32 s15, s0, s15
	s_and_not1_b32 s0, s19, exec_lo
	s_and_b32 s19, s17, exec_lo
	s_and_not1_b32 s14, s14, exec_lo
	s_and_b32 s20, s18, exec_lo
	s_or_b32 s19, s0, s19
	s_or_b32 s14, s14, s20
	s_and_not1_b32 exec_lo, exec_lo, s15
	s_cbranch_execz .LBB642_3
.LBB642_8:                              ;   Parent Loop BB642_5 Depth=1
                                        ; =>  This Inner Loop Header: Depth=2
	global_load_u16 v17, v[10:11], off
	global_load_u16 v18, v[12:13], off
	s_and_not1_b32 s18, s18, exec_lo
	s_and_not1_b32 s17, s17, exec_lo
	s_or_b32 s16, s16, exec_lo
	s_waitcnt vmcnt(0)
	v_cmp_le_i16_e32 vcc_lo, v17, v18
	v_cmp_lt_i16_e64 s0, v17, v18
	s_and_b32 s20, vcc_lo, s19
	s_delay_alu instid0(VALU_DEP_1) | instid1(SALU_CYCLE_1)
	s_or_b32 s20, s0, s20
	s_delay_alu instid0(SALU_CYCLE_1) | instskip(NEXT) | instid1(SALU_CYCLE_1)
	s_and_b32 s0, s20, exec_lo
	s_or_b32 s18, s18, s0
	s_mov_b32 s0, exec_lo
	v_cmpx_eq_u16_e64 v17, v18
	s_cbranch_execz .LBB642_7
; %bb.9:                                ;   in Loop: Header=BB642_8 Depth=2
	s_add_u32 s4, s4, -1
	s_addc_u32 s5, s5, -1
	v_add_co_u32 v10, vcc_lo, v10, 2
	s_cmp_eq_u64 s[4:5], 0
	v_add_co_ci_u32_e32 v11, vcc_lo, 0, v11, vcc_lo
	s_cselect_b32 s19, -1, 0
	v_add_co_u32 v12, vcc_lo, v12, 2
	s_and_not1_b32 s17, s17, exec_lo
	s_and_b32 s20, s20, exec_lo
	s_and_not1_b32 s16, s16, exec_lo
	s_and_b32 s19, s19, exec_lo
	v_add_co_ci_u32_e32 v13, vcc_lo, 0, v13, vcc_lo
	s_and_not1_b32 s18, s18, exec_lo
	s_or_b32 s17, s17, s20
	s_or_b32 s16, s16, s19
                                        ; implicit-def: $sgpr19
	s_branch .LBB642_7
.LBB642_10:                             ;   in Loop: Header=BB642_5 Depth=1
	s_mov_b32 s14, 0
	s_branch .LBB642_4
.LBB642_11:
	s_or_b32 exec_lo, exec_lo, s12
.LBB642_12:
	s_delay_alu instid0(SALU_CYCLE_1) | instskip(SKIP_3) | instid1(VALU_DEP_3)
	s_or_b32 exec_lo, exec_lo, s1
	v_mov_b32_e32 v1, 0
	v_add_co_u32 v2, vcc_lo, v4, v2
	v_add_co_ci_u32_e32 v3, vcc_lo, v5, v3, vcc_lo
	v_lshlrev_b64 v[0:1], 3, v[0:1]
	s_waitcnt lgkmcnt(0)
	s_delay_alu instid0(VALU_DEP_1) | instskip(NEXT) | instid1(VALU_DEP_2)
	v_add_co_u32 v0, vcc_lo, s10, v0
	v_add_co_ci_u32_e32 v1, vcc_lo, s11, v1, vcc_lo
	global_store_b64 v[0:1], v[2:3], off
.LBB642_13:
	s_nop 0
	s_sendmsg sendmsg(MSG_DEALLOC_VGPRS)
	s_endpgm
	.section	.rodata,"a",@progbits
	.p2align	6, 0x0
	.amdhsa_kernel _ZN7rocprim17ROCPRIM_400000_NS6detail17trampoline_kernelINS0_14default_configENS1_38merge_sort_block_merge_config_selectorIlNS0_10empty_typeEEEZZNS1_27merge_sort_block_merge_implIS3_PlPS5_mZN2at6native12_GLOBAL__N_124unique_dim_cuda_templateIsEESt5tupleIJNSA_6TensorESF_SF_EERKSF_lbbbEUlllE_EE10hipError_tT0_T1_T2_jT3_P12ihipStream_tbPNSt15iterator_traitsISL_E10value_typeEPNSR_ISM_E10value_typeEPSN_NS1_7vsmem_tEENKUlT_SL_SM_SN_E_clIS8_S8_S9_S9_EESK_S10_SL_SM_SN_EUlS10_E_NS1_11comp_targetILNS1_3genE9ELNS1_11target_archE1100ELNS1_3gpuE3ELNS1_3repE0EEENS1_48merge_mergepath_partition_config_static_selectorELNS0_4arch9wavefront6targetE0EEEvSM_
		.amdhsa_group_segment_fixed_size 0
		.amdhsa_private_segment_fixed_size 0
		.amdhsa_kernarg_size 56
		.amdhsa_user_sgpr_count 15
		.amdhsa_user_sgpr_dispatch_ptr 0
		.amdhsa_user_sgpr_queue_ptr 0
		.amdhsa_user_sgpr_kernarg_segment_ptr 1
		.amdhsa_user_sgpr_dispatch_id 0
		.amdhsa_user_sgpr_private_segment_size 0
		.amdhsa_wavefront_size32 1
		.amdhsa_uses_dynamic_stack 0
		.amdhsa_enable_private_segment 0
		.amdhsa_system_sgpr_workgroup_id_x 1
		.amdhsa_system_sgpr_workgroup_id_y 0
		.amdhsa_system_sgpr_workgroup_id_z 0
		.amdhsa_system_sgpr_workgroup_info 0
		.amdhsa_system_vgpr_workitem_id 0
		.amdhsa_next_free_vgpr 22
		.amdhsa_next_free_sgpr 21
		.amdhsa_reserve_vcc 1
		.amdhsa_float_round_mode_32 0
		.amdhsa_float_round_mode_16_64 0
		.amdhsa_float_denorm_mode_32 3
		.amdhsa_float_denorm_mode_16_64 3
		.amdhsa_dx10_clamp 1
		.amdhsa_ieee_mode 1
		.amdhsa_fp16_overflow 0
		.amdhsa_workgroup_processor_mode 1
		.amdhsa_memory_ordered 1
		.amdhsa_forward_progress 0
		.amdhsa_shared_vgpr_count 0
		.amdhsa_exception_fp_ieee_invalid_op 0
		.amdhsa_exception_fp_denorm_src 0
		.amdhsa_exception_fp_ieee_div_zero 0
		.amdhsa_exception_fp_ieee_overflow 0
		.amdhsa_exception_fp_ieee_underflow 0
		.amdhsa_exception_fp_ieee_inexact 0
		.amdhsa_exception_int_div_zero 0
	.end_amdhsa_kernel
	.section	.text._ZN7rocprim17ROCPRIM_400000_NS6detail17trampoline_kernelINS0_14default_configENS1_38merge_sort_block_merge_config_selectorIlNS0_10empty_typeEEEZZNS1_27merge_sort_block_merge_implIS3_PlPS5_mZN2at6native12_GLOBAL__N_124unique_dim_cuda_templateIsEESt5tupleIJNSA_6TensorESF_SF_EERKSF_lbbbEUlllE_EE10hipError_tT0_T1_T2_jT3_P12ihipStream_tbPNSt15iterator_traitsISL_E10value_typeEPNSR_ISM_E10value_typeEPSN_NS1_7vsmem_tEENKUlT_SL_SM_SN_E_clIS8_S8_S9_S9_EESK_S10_SL_SM_SN_EUlS10_E_NS1_11comp_targetILNS1_3genE9ELNS1_11target_archE1100ELNS1_3gpuE3ELNS1_3repE0EEENS1_48merge_mergepath_partition_config_static_selectorELNS0_4arch9wavefront6targetE0EEEvSM_,"axG",@progbits,_ZN7rocprim17ROCPRIM_400000_NS6detail17trampoline_kernelINS0_14default_configENS1_38merge_sort_block_merge_config_selectorIlNS0_10empty_typeEEEZZNS1_27merge_sort_block_merge_implIS3_PlPS5_mZN2at6native12_GLOBAL__N_124unique_dim_cuda_templateIsEESt5tupleIJNSA_6TensorESF_SF_EERKSF_lbbbEUlllE_EE10hipError_tT0_T1_T2_jT3_P12ihipStream_tbPNSt15iterator_traitsISL_E10value_typeEPNSR_ISM_E10value_typeEPSN_NS1_7vsmem_tEENKUlT_SL_SM_SN_E_clIS8_S8_S9_S9_EESK_S10_SL_SM_SN_EUlS10_E_NS1_11comp_targetILNS1_3genE9ELNS1_11target_archE1100ELNS1_3gpuE3ELNS1_3repE0EEENS1_48merge_mergepath_partition_config_static_selectorELNS0_4arch9wavefront6targetE0EEEvSM_,comdat
.Lfunc_end642:
	.size	_ZN7rocprim17ROCPRIM_400000_NS6detail17trampoline_kernelINS0_14default_configENS1_38merge_sort_block_merge_config_selectorIlNS0_10empty_typeEEEZZNS1_27merge_sort_block_merge_implIS3_PlPS5_mZN2at6native12_GLOBAL__N_124unique_dim_cuda_templateIsEESt5tupleIJNSA_6TensorESF_SF_EERKSF_lbbbEUlllE_EE10hipError_tT0_T1_T2_jT3_P12ihipStream_tbPNSt15iterator_traitsISL_E10value_typeEPNSR_ISM_E10value_typeEPSN_NS1_7vsmem_tEENKUlT_SL_SM_SN_E_clIS8_S8_S9_S9_EESK_S10_SL_SM_SN_EUlS10_E_NS1_11comp_targetILNS1_3genE9ELNS1_11target_archE1100ELNS1_3gpuE3ELNS1_3repE0EEENS1_48merge_mergepath_partition_config_static_selectorELNS0_4arch9wavefront6targetE0EEEvSM_, .Lfunc_end642-_ZN7rocprim17ROCPRIM_400000_NS6detail17trampoline_kernelINS0_14default_configENS1_38merge_sort_block_merge_config_selectorIlNS0_10empty_typeEEEZZNS1_27merge_sort_block_merge_implIS3_PlPS5_mZN2at6native12_GLOBAL__N_124unique_dim_cuda_templateIsEESt5tupleIJNSA_6TensorESF_SF_EERKSF_lbbbEUlllE_EE10hipError_tT0_T1_T2_jT3_P12ihipStream_tbPNSt15iterator_traitsISL_E10value_typeEPNSR_ISM_E10value_typeEPSN_NS1_7vsmem_tEENKUlT_SL_SM_SN_E_clIS8_S8_S9_S9_EESK_S10_SL_SM_SN_EUlS10_E_NS1_11comp_targetILNS1_3genE9ELNS1_11target_archE1100ELNS1_3gpuE3ELNS1_3repE0EEENS1_48merge_mergepath_partition_config_static_selectorELNS0_4arch9wavefront6targetE0EEEvSM_
                                        ; -- End function
	.section	.AMDGPU.csdata,"",@progbits
; Kernel info:
; codeLenInByte = 1020
; NumSgprs: 23
; NumVgprs: 22
; ScratchSize: 0
; MemoryBound: 0
; FloatMode: 240
; IeeeMode: 1
; LDSByteSize: 0 bytes/workgroup (compile time only)
; SGPRBlocks: 2
; VGPRBlocks: 2
; NumSGPRsForWavesPerEU: 23
; NumVGPRsForWavesPerEU: 22
; Occupancy: 16
; WaveLimiterHint : 0
; COMPUTE_PGM_RSRC2:SCRATCH_EN: 0
; COMPUTE_PGM_RSRC2:USER_SGPR: 15
; COMPUTE_PGM_RSRC2:TRAP_HANDLER: 0
; COMPUTE_PGM_RSRC2:TGID_X_EN: 1
; COMPUTE_PGM_RSRC2:TGID_Y_EN: 0
; COMPUTE_PGM_RSRC2:TGID_Z_EN: 0
; COMPUTE_PGM_RSRC2:TIDIG_COMP_CNT: 0
	.section	.text._ZN7rocprim17ROCPRIM_400000_NS6detail17trampoline_kernelINS0_14default_configENS1_38merge_sort_block_merge_config_selectorIlNS0_10empty_typeEEEZZNS1_27merge_sort_block_merge_implIS3_PlPS5_mZN2at6native12_GLOBAL__N_124unique_dim_cuda_templateIsEESt5tupleIJNSA_6TensorESF_SF_EERKSF_lbbbEUlllE_EE10hipError_tT0_T1_T2_jT3_P12ihipStream_tbPNSt15iterator_traitsISL_E10value_typeEPNSR_ISM_E10value_typeEPSN_NS1_7vsmem_tEENKUlT_SL_SM_SN_E_clIS8_S8_S9_S9_EESK_S10_SL_SM_SN_EUlS10_E_NS1_11comp_targetILNS1_3genE8ELNS1_11target_archE1030ELNS1_3gpuE2ELNS1_3repE0EEENS1_48merge_mergepath_partition_config_static_selectorELNS0_4arch9wavefront6targetE0EEEvSM_,"axG",@progbits,_ZN7rocprim17ROCPRIM_400000_NS6detail17trampoline_kernelINS0_14default_configENS1_38merge_sort_block_merge_config_selectorIlNS0_10empty_typeEEEZZNS1_27merge_sort_block_merge_implIS3_PlPS5_mZN2at6native12_GLOBAL__N_124unique_dim_cuda_templateIsEESt5tupleIJNSA_6TensorESF_SF_EERKSF_lbbbEUlllE_EE10hipError_tT0_T1_T2_jT3_P12ihipStream_tbPNSt15iterator_traitsISL_E10value_typeEPNSR_ISM_E10value_typeEPSN_NS1_7vsmem_tEENKUlT_SL_SM_SN_E_clIS8_S8_S9_S9_EESK_S10_SL_SM_SN_EUlS10_E_NS1_11comp_targetILNS1_3genE8ELNS1_11target_archE1030ELNS1_3gpuE2ELNS1_3repE0EEENS1_48merge_mergepath_partition_config_static_selectorELNS0_4arch9wavefront6targetE0EEEvSM_,comdat
	.globl	_ZN7rocprim17ROCPRIM_400000_NS6detail17trampoline_kernelINS0_14default_configENS1_38merge_sort_block_merge_config_selectorIlNS0_10empty_typeEEEZZNS1_27merge_sort_block_merge_implIS3_PlPS5_mZN2at6native12_GLOBAL__N_124unique_dim_cuda_templateIsEESt5tupleIJNSA_6TensorESF_SF_EERKSF_lbbbEUlllE_EE10hipError_tT0_T1_T2_jT3_P12ihipStream_tbPNSt15iterator_traitsISL_E10value_typeEPNSR_ISM_E10value_typeEPSN_NS1_7vsmem_tEENKUlT_SL_SM_SN_E_clIS8_S8_S9_S9_EESK_S10_SL_SM_SN_EUlS10_E_NS1_11comp_targetILNS1_3genE8ELNS1_11target_archE1030ELNS1_3gpuE2ELNS1_3repE0EEENS1_48merge_mergepath_partition_config_static_selectorELNS0_4arch9wavefront6targetE0EEEvSM_ ; -- Begin function _ZN7rocprim17ROCPRIM_400000_NS6detail17trampoline_kernelINS0_14default_configENS1_38merge_sort_block_merge_config_selectorIlNS0_10empty_typeEEEZZNS1_27merge_sort_block_merge_implIS3_PlPS5_mZN2at6native12_GLOBAL__N_124unique_dim_cuda_templateIsEESt5tupleIJNSA_6TensorESF_SF_EERKSF_lbbbEUlllE_EE10hipError_tT0_T1_T2_jT3_P12ihipStream_tbPNSt15iterator_traitsISL_E10value_typeEPNSR_ISM_E10value_typeEPSN_NS1_7vsmem_tEENKUlT_SL_SM_SN_E_clIS8_S8_S9_S9_EESK_S10_SL_SM_SN_EUlS10_E_NS1_11comp_targetILNS1_3genE8ELNS1_11target_archE1030ELNS1_3gpuE2ELNS1_3repE0EEENS1_48merge_mergepath_partition_config_static_selectorELNS0_4arch9wavefront6targetE0EEEvSM_
	.p2align	8
	.type	_ZN7rocprim17ROCPRIM_400000_NS6detail17trampoline_kernelINS0_14default_configENS1_38merge_sort_block_merge_config_selectorIlNS0_10empty_typeEEEZZNS1_27merge_sort_block_merge_implIS3_PlPS5_mZN2at6native12_GLOBAL__N_124unique_dim_cuda_templateIsEESt5tupleIJNSA_6TensorESF_SF_EERKSF_lbbbEUlllE_EE10hipError_tT0_T1_T2_jT3_P12ihipStream_tbPNSt15iterator_traitsISL_E10value_typeEPNSR_ISM_E10value_typeEPSN_NS1_7vsmem_tEENKUlT_SL_SM_SN_E_clIS8_S8_S9_S9_EESK_S10_SL_SM_SN_EUlS10_E_NS1_11comp_targetILNS1_3genE8ELNS1_11target_archE1030ELNS1_3gpuE2ELNS1_3repE0EEENS1_48merge_mergepath_partition_config_static_selectorELNS0_4arch9wavefront6targetE0EEEvSM_,@function
_ZN7rocprim17ROCPRIM_400000_NS6detail17trampoline_kernelINS0_14default_configENS1_38merge_sort_block_merge_config_selectorIlNS0_10empty_typeEEEZZNS1_27merge_sort_block_merge_implIS3_PlPS5_mZN2at6native12_GLOBAL__N_124unique_dim_cuda_templateIsEESt5tupleIJNSA_6TensorESF_SF_EERKSF_lbbbEUlllE_EE10hipError_tT0_T1_T2_jT3_P12ihipStream_tbPNSt15iterator_traitsISL_E10value_typeEPNSR_ISM_E10value_typeEPSN_NS1_7vsmem_tEENKUlT_SL_SM_SN_E_clIS8_S8_S9_S9_EESK_S10_SL_SM_SN_EUlS10_E_NS1_11comp_targetILNS1_3genE8ELNS1_11target_archE1030ELNS1_3gpuE2ELNS1_3repE0EEENS1_48merge_mergepath_partition_config_static_selectorELNS0_4arch9wavefront6targetE0EEEvSM_: ; @_ZN7rocprim17ROCPRIM_400000_NS6detail17trampoline_kernelINS0_14default_configENS1_38merge_sort_block_merge_config_selectorIlNS0_10empty_typeEEEZZNS1_27merge_sort_block_merge_implIS3_PlPS5_mZN2at6native12_GLOBAL__N_124unique_dim_cuda_templateIsEESt5tupleIJNSA_6TensorESF_SF_EERKSF_lbbbEUlllE_EE10hipError_tT0_T1_T2_jT3_P12ihipStream_tbPNSt15iterator_traitsISL_E10value_typeEPNSR_ISM_E10value_typeEPSN_NS1_7vsmem_tEENKUlT_SL_SM_SN_E_clIS8_S8_S9_S9_EESK_S10_SL_SM_SN_EUlS10_E_NS1_11comp_targetILNS1_3genE8ELNS1_11target_archE1030ELNS1_3gpuE2ELNS1_3repE0EEENS1_48merge_mergepath_partition_config_static_selectorELNS0_4arch9wavefront6targetE0EEEvSM_
; %bb.0:
	.section	.rodata,"a",@progbits
	.p2align	6, 0x0
	.amdhsa_kernel _ZN7rocprim17ROCPRIM_400000_NS6detail17trampoline_kernelINS0_14default_configENS1_38merge_sort_block_merge_config_selectorIlNS0_10empty_typeEEEZZNS1_27merge_sort_block_merge_implIS3_PlPS5_mZN2at6native12_GLOBAL__N_124unique_dim_cuda_templateIsEESt5tupleIJNSA_6TensorESF_SF_EERKSF_lbbbEUlllE_EE10hipError_tT0_T1_T2_jT3_P12ihipStream_tbPNSt15iterator_traitsISL_E10value_typeEPNSR_ISM_E10value_typeEPSN_NS1_7vsmem_tEENKUlT_SL_SM_SN_E_clIS8_S8_S9_S9_EESK_S10_SL_SM_SN_EUlS10_E_NS1_11comp_targetILNS1_3genE8ELNS1_11target_archE1030ELNS1_3gpuE2ELNS1_3repE0EEENS1_48merge_mergepath_partition_config_static_selectorELNS0_4arch9wavefront6targetE0EEEvSM_
		.amdhsa_group_segment_fixed_size 0
		.amdhsa_private_segment_fixed_size 0
		.amdhsa_kernarg_size 56
		.amdhsa_user_sgpr_count 15
		.amdhsa_user_sgpr_dispatch_ptr 0
		.amdhsa_user_sgpr_queue_ptr 0
		.amdhsa_user_sgpr_kernarg_segment_ptr 1
		.amdhsa_user_sgpr_dispatch_id 0
		.amdhsa_user_sgpr_private_segment_size 0
		.amdhsa_wavefront_size32 1
		.amdhsa_uses_dynamic_stack 0
		.amdhsa_enable_private_segment 0
		.amdhsa_system_sgpr_workgroup_id_x 1
		.amdhsa_system_sgpr_workgroup_id_y 0
		.amdhsa_system_sgpr_workgroup_id_z 0
		.amdhsa_system_sgpr_workgroup_info 0
		.amdhsa_system_vgpr_workitem_id 0
		.amdhsa_next_free_vgpr 1
		.amdhsa_next_free_sgpr 1
		.amdhsa_reserve_vcc 0
		.amdhsa_float_round_mode_32 0
		.amdhsa_float_round_mode_16_64 0
		.amdhsa_float_denorm_mode_32 3
		.amdhsa_float_denorm_mode_16_64 3
		.amdhsa_dx10_clamp 1
		.amdhsa_ieee_mode 1
		.amdhsa_fp16_overflow 0
		.amdhsa_workgroup_processor_mode 1
		.amdhsa_memory_ordered 1
		.amdhsa_forward_progress 0
		.amdhsa_shared_vgpr_count 0
		.amdhsa_exception_fp_ieee_invalid_op 0
		.amdhsa_exception_fp_denorm_src 0
		.amdhsa_exception_fp_ieee_div_zero 0
		.amdhsa_exception_fp_ieee_overflow 0
		.amdhsa_exception_fp_ieee_underflow 0
		.amdhsa_exception_fp_ieee_inexact 0
		.amdhsa_exception_int_div_zero 0
	.end_amdhsa_kernel
	.section	.text._ZN7rocprim17ROCPRIM_400000_NS6detail17trampoline_kernelINS0_14default_configENS1_38merge_sort_block_merge_config_selectorIlNS0_10empty_typeEEEZZNS1_27merge_sort_block_merge_implIS3_PlPS5_mZN2at6native12_GLOBAL__N_124unique_dim_cuda_templateIsEESt5tupleIJNSA_6TensorESF_SF_EERKSF_lbbbEUlllE_EE10hipError_tT0_T1_T2_jT3_P12ihipStream_tbPNSt15iterator_traitsISL_E10value_typeEPNSR_ISM_E10value_typeEPSN_NS1_7vsmem_tEENKUlT_SL_SM_SN_E_clIS8_S8_S9_S9_EESK_S10_SL_SM_SN_EUlS10_E_NS1_11comp_targetILNS1_3genE8ELNS1_11target_archE1030ELNS1_3gpuE2ELNS1_3repE0EEENS1_48merge_mergepath_partition_config_static_selectorELNS0_4arch9wavefront6targetE0EEEvSM_,"axG",@progbits,_ZN7rocprim17ROCPRIM_400000_NS6detail17trampoline_kernelINS0_14default_configENS1_38merge_sort_block_merge_config_selectorIlNS0_10empty_typeEEEZZNS1_27merge_sort_block_merge_implIS3_PlPS5_mZN2at6native12_GLOBAL__N_124unique_dim_cuda_templateIsEESt5tupleIJNSA_6TensorESF_SF_EERKSF_lbbbEUlllE_EE10hipError_tT0_T1_T2_jT3_P12ihipStream_tbPNSt15iterator_traitsISL_E10value_typeEPNSR_ISM_E10value_typeEPSN_NS1_7vsmem_tEENKUlT_SL_SM_SN_E_clIS8_S8_S9_S9_EESK_S10_SL_SM_SN_EUlS10_E_NS1_11comp_targetILNS1_3genE8ELNS1_11target_archE1030ELNS1_3gpuE2ELNS1_3repE0EEENS1_48merge_mergepath_partition_config_static_selectorELNS0_4arch9wavefront6targetE0EEEvSM_,comdat
.Lfunc_end643:
	.size	_ZN7rocprim17ROCPRIM_400000_NS6detail17trampoline_kernelINS0_14default_configENS1_38merge_sort_block_merge_config_selectorIlNS0_10empty_typeEEEZZNS1_27merge_sort_block_merge_implIS3_PlPS5_mZN2at6native12_GLOBAL__N_124unique_dim_cuda_templateIsEESt5tupleIJNSA_6TensorESF_SF_EERKSF_lbbbEUlllE_EE10hipError_tT0_T1_T2_jT3_P12ihipStream_tbPNSt15iterator_traitsISL_E10value_typeEPNSR_ISM_E10value_typeEPSN_NS1_7vsmem_tEENKUlT_SL_SM_SN_E_clIS8_S8_S9_S9_EESK_S10_SL_SM_SN_EUlS10_E_NS1_11comp_targetILNS1_3genE8ELNS1_11target_archE1030ELNS1_3gpuE2ELNS1_3repE0EEENS1_48merge_mergepath_partition_config_static_selectorELNS0_4arch9wavefront6targetE0EEEvSM_, .Lfunc_end643-_ZN7rocprim17ROCPRIM_400000_NS6detail17trampoline_kernelINS0_14default_configENS1_38merge_sort_block_merge_config_selectorIlNS0_10empty_typeEEEZZNS1_27merge_sort_block_merge_implIS3_PlPS5_mZN2at6native12_GLOBAL__N_124unique_dim_cuda_templateIsEESt5tupleIJNSA_6TensorESF_SF_EERKSF_lbbbEUlllE_EE10hipError_tT0_T1_T2_jT3_P12ihipStream_tbPNSt15iterator_traitsISL_E10value_typeEPNSR_ISM_E10value_typeEPSN_NS1_7vsmem_tEENKUlT_SL_SM_SN_E_clIS8_S8_S9_S9_EESK_S10_SL_SM_SN_EUlS10_E_NS1_11comp_targetILNS1_3genE8ELNS1_11target_archE1030ELNS1_3gpuE2ELNS1_3repE0EEENS1_48merge_mergepath_partition_config_static_selectorELNS0_4arch9wavefront6targetE0EEEvSM_
                                        ; -- End function
	.section	.AMDGPU.csdata,"",@progbits
; Kernel info:
; codeLenInByte = 0
; NumSgprs: 0
; NumVgprs: 0
; ScratchSize: 0
; MemoryBound: 0
; FloatMode: 240
; IeeeMode: 1
; LDSByteSize: 0 bytes/workgroup (compile time only)
; SGPRBlocks: 0
; VGPRBlocks: 0
; NumSGPRsForWavesPerEU: 1
; NumVGPRsForWavesPerEU: 1
; Occupancy: 16
; WaveLimiterHint : 0
; COMPUTE_PGM_RSRC2:SCRATCH_EN: 0
; COMPUTE_PGM_RSRC2:USER_SGPR: 15
; COMPUTE_PGM_RSRC2:TRAP_HANDLER: 0
; COMPUTE_PGM_RSRC2:TGID_X_EN: 1
; COMPUTE_PGM_RSRC2:TGID_Y_EN: 0
; COMPUTE_PGM_RSRC2:TGID_Z_EN: 0
; COMPUTE_PGM_RSRC2:TIDIG_COMP_CNT: 0
	.section	.text._ZN7rocprim17ROCPRIM_400000_NS6detail17trampoline_kernelINS0_14default_configENS1_38merge_sort_block_merge_config_selectorIlNS0_10empty_typeEEEZZNS1_27merge_sort_block_merge_implIS3_PlPS5_mZN2at6native12_GLOBAL__N_124unique_dim_cuda_templateIsEESt5tupleIJNSA_6TensorESF_SF_EERKSF_lbbbEUlllE_EE10hipError_tT0_T1_T2_jT3_P12ihipStream_tbPNSt15iterator_traitsISL_E10value_typeEPNSR_ISM_E10value_typeEPSN_NS1_7vsmem_tEENKUlT_SL_SM_SN_E_clIS8_S8_S9_S9_EESK_S10_SL_SM_SN_EUlS10_E0_NS1_11comp_targetILNS1_3genE0ELNS1_11target_archE4294967295ELNS1_3gpuE0ELNS1_3repE0EEENS1_38merge_mergepath_config_static_selectorELNS0_4arch9wavefront6targetE0EEEvSM_,"axG",@progbits,_ZN7rocprim17ROCPRIM_400000_NS6detail17trampoline_kernelINS0_14default_configENS1_38merge_sort_block_merge_config_selectorIlNS0_10empty_typeEEEZZNS1_27merge_sort_block_merge_implIS3_PlPS5_mZN2at6native12_GLOBAL__N_124unique_dim_cuda_templateIsEESt5tupleIJNSA_6TensorESF_SF_EERKSF_lbbbEUlllE_EE10hipError_tT0_T1_T2_jT3_P12ihipStream_tbPNSt15iterator_traitsISL_E10value_typeEPNSR_ISM_E10value_typeEPSN_NS1_7vsmem_tEENKUlT_SL_SM_SN_E_clIS8_S8_S9_S9_EESK_S10_SL_SM_SN_EUlS10_E0_NS1_11comp_targetILNS1_3genE0ELNS1_11target_archE4294967295ELNS1_3gpuE0ELNS1_3repE0EEENS1_38merge_mergepath_config_static_selectorELNS0_4arch9wavefront6targetE0EEEvSM_,comdat
	.globl	_ZN7rocprim17ROCPRIM_400000_NS6detail17trampoline_kernelINS0_14default_configENS1_38merge_sort_block_merge_config_selectorIlNS0_10empty_typeEEEZZNS1_27merge_sort_block_merge_implIS3_PlPS5_mZN2at6native12_GLOBAL__N_124unique_dim_cuda_templateIsEESt5tupleIJNSA_6TensorESF_SF_EERKSF_lbbbEUlllE_EE10hipError_tT0_T1_T2_jT3_P12ihipStream_tbPNSt15iterator_traitsISL_E10value_typeEPNSR_ISM_E10value_typeEPSN_NS1_7vsmem_tEENKUlT_SL_SM_SN_E_clIS8_S8_S9_S9_EESK_S10_SL_SM_SN_EUlS10_E0_NS1_11comp_targetILNS1_3genE0ELNS1_11target_archE4294967295ELNS1_3gpuE0ELNS1_3repE0EEENS1_38merge_mergepath_config_static_selectorELNS0_4arch9wavefront6targetE0EEEvSM_ ; -- Begin function _ZN7rocprim17ROCPRIM_400000_NS6detail17trampoline_kernelINS0_14default_configENS1_38merge_sort_block_merge_config_selectorIlNS0_10empty_typeEEEZZNS1_27merge_sort_block_merge_implIS3_PlPS5_mZN2at6native12_GLOBAL__N_124unique_dim_cuda_templateIsEESt5tupleIJNSA_6TensorESF_SF_EERKSF_lbbbEUlllE_EE10hipError_tT0_T1_T2_jT3_P12ihipStream_tbPNSt15iterator_traitsISL_E10value_typeEPNSR_ISM_E10value_typeEPSN_NS1_7vsmem_tEENKUlT_SL_SM_SN_E_clIS8_S8_S9_S9_EESK_S10_SL_SM_SN_EUlS10_E0_NS1_11comp_targetILNS1_3genE0ELNS1_11target_archE4294967295ELNS1_3gpuE0ELNS1_3repE0EEENS1_38merge_mergepath_config_static_selectorELNS0_4arch9wavefront6targetE0EEEvSM_
	.p2align	8
	.type	_ZN7rocprim17ROCPRIM_400000_NS6detail17trampoline_kernelINS0_14default_configENS1_38merge_sort_block_merge_config_selectorIlNS0_10empty_typeEEEZZNS1_27merge_sort_block_merge_implIS3_PlPS5_mZN2at6native12_GLOBAL__N_124unique_dim_cuda_templateIsEESt5tupleIJNSA_6TensorESF_SF_EERKSF_lbbbEUlllE_EE10hipError_tT0_T1_T2_jT3_P12ihipStream_tbPNSt15iterator_traitsISL_E10value_typeEPNSR_ISM_E10value_typeEPSN_NS1_7vsmem_tEENKUlT_SL_SM_SN_E_clIS8_S8_S9_S9_EESK_S10_SL_SM_SN_EUlS10_E0_NS1_11comp_targetILNS1_3genE0ELNS1_11target_archE4294967295ELNS1_3gpuE0ELNS1_3repE0EEENS1_38merge_mergepath_config_static_selectorELNS0_4arch9wavefront6targetE0EEEvSM_,@function
_ZN7rocprim17ROCPRIM_400000_NS6detail17trampoline_kernelINS0_14default_configENS1_38merge_sort_block_merge_config_selectorIlNS0_10empty_typeEEEZZNS1_27merge_sort_block_merge_implIS3_PlPS5_mZN2at6native12_GLOBAL__N_124unique_dim_cuda_templateIsEESt5tupleIJNSA_6TensorESF_SF_EERKSF_lbbbEUlllE_EE10hipError_tT0_T1_T2_jT3_P12ihipStream_tbPNSt15iterator_traitsISL_E10value_typeEPNSR_ISM_E10value_typeEPSN_NS1_7vsmem_tEENKUlT_SL_SM_SN_E_clIS8_S8_S9_S9_EESK_S10_SL_SM_SN_EUlS10_E0_NS1_11comp_targetILNS1_3genE0ELNS1_11target_archE4294967295ELNS1_3gpuE0ELNS1_3repE0EEENS1_38merge_mergepath_config_static_selectorELNS0_4arch9wavefront6targetE0EEEvSM_: ; @_ZN7rocprim17ROCPRIM_400000_NS6detail17trampoline_kernelINS0_14default_configENS1_38merge_sort_block_merge_config_selectorIlNS0_10empty_typeEEEZZNS1_27merge_sort_block_merge_implIS3_PlPS5_mZN2at6native12_GLOBAL__N_124unique_dim_cuda_templateIsEESt5tupleIJNSA_6TensorESF_SF_EERKSF_lbbbEUlllE_EE10hipError_tT0_T1_T2_jT3_P12ihipStream_tbPNSt15iterator_traitsISL_E10value_typeEPNSR_ISM_E10value_typeEPSN_NS1_7vsmem_tEENKUlT_SL_SM_SN_E_clIS8_S8_S9_S9_EESK_S10_SL_SM_SN_EUlS10_E0_NS1_11comp_targetILNS1_3genE0ELNS1_11target_archE4294967295ELNS1_3gpuE0ELNS1_3repE0EEENS1_38merge_mergepath_config_static_selectorELNS0_4arch9wavefront6targetE0EEEvSM_
; %bb.0:
	.section	.rodata,"a",@progbits
	.p2align	6, 0x0
	.amdhsa_kernel _ZN7rocprim17ROCPRIM_400000_NS6detail17trampoline_kernelINS0_14default_configENS1_38merge_sort_block_merge_config_selectorIlNS0_10empty_typeEEEZZNS1_27merge_sort_block_merge_implIS3_PlPS5_mZN2at6native12_GLOBAL__N_124unique_dim_cuda_templateIsEESt5tupleIJNSA_6TensorESF_SF_EERKSF_lbbbEUlllE_EE10hipError_tT0_T1_T2_jT3_P12ihipStream_tbPNSt15iterator_traitsISL_E10value_typeEPNSR_ISM_E10value_typeEPSN_NS1_7vsmem_tEENKUlT_SL_SM_SN_E_clIS8_S8_S9_S9_EESK_S10_SL_SM_SN_EUlS10_E0_NS1_11comp_targetILNS1_3genE0ELNS1_11target_archE4294967295ELNS1_3gpuE0ELNS1_3repE0EEENS1_38merge_mergepath_config_static_selectorELNS0_4arch9wavefront6targetE0EEEvSM_
		.amdhsa_group_segment_fixed_size 0
		.amdhsa_private_segment_fixed_size 0
		.amdhsa_kernarg_size 88
		.amdhsa_user_sgpr_count 15
		.amdhsa_user_sgpr_dispatch_ptr 0
		.amdhsa_user_sgpr_queue_ptr 0
		.amdhsa_user_sgpr_kernarg_segment_ptr 1
		.amdhsa_user_sgpr_dispatch_id 0
		.amdhsa_user_sgpr_private_segment_size 0
		.amdhsa_wavefront_size32 1
		.amdhsa_uses_dynamic_stack 0
		.amdhsa_enable_private_segment 0
		.amdhsa_system_sgpr_workgroup_id_x 1
		.amdhsa_system_sgpr_workgroup_id_y 0
		.amdhsa_system_sgpr_workgroup_id_z 0
		.amdhsa_system_sgpr_workgroup_info 0
		.amdhsa_system_vgpr_workitem_id 0
		.amdhsa_next_free_vgpr 1
		.amdhsa_next_free_sgpr 1
		.amdhsa_reserve_vcc 0
		.amdhsa_float_round_mode_32 0
		.amdhsa_float_round_mode_16_64 0
		.amdhsa_float_denorm_mode_32 3
		.amdhsa_float_denorm_mode_16_64 3
		.amdhsa_dx10_clamp 1
		.amdhsa_ieee_mode 1
		.amdhsa_fp16_overflow 0
		.amdhsa_workgroup_processor_mode 1
		.amdhsa_memory_ordered 1
		.amdhsa_forward_progress 0
		.amdhsa_shared_vgpr_count 0
		.amdhsa_exception_fp_ieee_invalid_op 0
		.amdhsa_exception_fp_denorm_src 0
		.amdhsa_exception_fp_ieee_div_zero 0
		.amdhsa_exception_fp_ieee_overflow 0
		.amdhsa_exception_fp_ieee_underflow 0
		.amdhsa_exception_fp_ieee_inexact 0
		.amdhsa_exception_int_div_zero 0
	.end_amdhsa_kernel
	.section	.text._ZN7rocprim17ROCPRIM_400000_NS6detail17trampoline_kernelINS0_14default_configENS1_38merge_sort_block_merge_config_selectorIlNS0_10empty_typeEEEZZNS1_27merge_sort_block_merge_implIS3_PlPS5_mZN2at6native12_GLOBAL__N_124unique_dim_cuda_templateIsEESt5tupleIJNSA_6TensorESF_SF_EERKSF_lbbbEUlllE_EE10hipError_tT0_T1_T2_jT3_P12ihipStream_tbPNSt15iterator_traitsISL_E10value_typeEPNSR_ISM_E10value_typeEPSN_NS1_7vsmem_tEENKUlT_SL_SM_SN_E_clIS8_S8_S9_S9_EESK_S10_SL_SM_SN_EUlS10_E0_NS1_11comp_targetILNS1_3genE0ELNS1_11target_archE4294967295ELNS1_3gpuE0ELNS1_3repE0EEENS1_38merge_mergepath_config_static_selectorELNS0_4arch9wavefront6targetE0EEEvSM_,"axG",@progbits,_ZN7rocprim17ROCPRIM_400000_NS6detail17trampoline_kernelINS0_14default_configENS1_38merge_sort_block_merge_config_selectorIlNS0_10empty_typeEEEZZNS1_27merge_sort_block_merge_implIS3_PlPS5_mZN2at6native12_GLOBAL__N_124unique_dim_cuda_templateIsEESt5tupleIJNSA_6TensorESF_SF_EERKSF_lbbbEUlllE_EE10hipError_tT0_T1_T2_jT3_P12ihipStream_tbPNSt15iterator_traitsISL_E10value_typeEPNSR_ISM_E10value_typeEPSN_NS1_7vsmem_tEENKUlT_SL_SM_SN_E_clIS8_S8_S9_S9_EESK_S10_SL_SM_SN_EUlS10_E0_NS1_11comp_targetILNS1_3genE0ELNS1_11target_archE4294967295ELNS1_3gpuE0ELNS1_3repE0EEENS1_38merge_mergepath_config_static_selectorELNS0_4arch9wavefront6targetE0EEEvSM_,comdat
.Lfunc_end644:
	.size	_ZN7rocprim17ROCPRIM_400000_NS6detail17trampoline_kernelINS0_14default_configENS1_38merge_sort_block_merge_config_selectorIlNS0_10empty_typeEEEZZNS1_27merge_sort_block_merge_implIS3_PlPS5_mZN2at6native12_GLOBAL__N_124unique_dim_cuda_templateIsEESt5tupleIJNSA_6TensorESF_SF_EERKSF_lbbbEUlllE_EE10hipError_tT0_T1_T2_jT3_P12ihipStream_tbPNSt15iterator_traitsISL_E10value_typeEPNSR_ISM_E10value_typeEPSN_NS1_7vsmem_tEENKUlT_SL_SM_SN_E_clIS8_S8_S9_S9_EESK_S10_SL_SM_SN_EUlS10_E0_NS1_11comp_targetILNS1_3genE0ELNS1_11target_archE4294967295ELNS1_3gpuE0ELNS1_3repE0EEENS1_38merge_mergepath_config_static_selectorELNS0_4arch9wavefront6targetE0EEEvSM_, .Lfunc_end644-_ZN7rocprim17ROCPRIM_400000_NS6detail17trampoline_kernelINS0_14default_configENS1_38merge_sort_block_merge_config_selectorIlNS0_10empty_typeEEEZZNS1_27merge_sort_block_merge_implIS3_PlPS5_mZN2at6native12_GLOBAL__N_124unique_dim_cuda_templateIsEESt5tupleIJNSA_6TensorESF_SF_EERKSF_lbbbEUlllE_EE10hipError_tT0_T1_T2_jT3_P12ihipStream_tbPNSt15iterator_traitsISL_E10value_typeEPNSR_ISM_E10value_typeEPSN_NS1_7vsmem_tEENKUlT_SL_SM_SN_E_clIS8_S8_S9_S9_EESK_S10_SL_SM_SN_EUlS10_E0_NS1_11comp_targetILNS1_3genE0ELNS1_11target_archE4294967295ELNS1_3gpuE0ELNS1_3repE0EEENS1_38merge_mergepath_config_static_selectorELNS0_4arch9wavefront6targetE0EEEvSM_
                                        ; -- End function
	.section	.AMDGPU.csdata,"",@progbits
; Kernel info:
; codeLenInByte = 0
; NumSgprs: 0
; NumVgprs: 0
; ScratchSize: 0
; MemoryBound: 0
; FloatMode: 240
; IeeeMode: 1
; LDSByteSize: 0 bytes/workgroup (compile time only)
; SGPRBlocks: 0
; VGPRBlocks: 0
; NumSGPRsForWavesPerEU: 1
; NumVGPRsForWavesPerEU: 1
; Occupancy: 16
; WaveLimiterHint : 0
; COMPUTE_PGM_RSRC2:SCRATCH_EN: 0
; COMPUTE_PGM_RSRC2:USER_SGPR: 15
; COMPUTE_PGM_RSRC2:TRAP_HANDLER: 0
; COMPUTE_PGM_RSRC2:TGID_X_EN: 1
; COMPUTE_PGM_RSRC2:TGID_Y_EN: 0
; COMPUTE_PGM_RSRC2:TGID_Z_EN: 0
; COMPUTE_PGM_RSRC2:TIDIG_COMP_CNT: 0
	.section	.text._ZN7rocprim17ROCPRIM_400000_NS6detail17trampoline_kernelINS0_14default_configENS1_38merge_sort_block_merge_config_selectorIlNS0_10empty_typeEEEZZNS1_27merge_sort_block_merge_implIS3_PlPS5_mZN2at6native12_GLOBAL__N_124unique_dim_cuda_templateIsEESt5tupleIJNSA_6TensorESF_SF_EERKSF_lbbbEUlllE_EE10hipError_tT0_T1_T2_jT3_P12ihipStream_tbPNSt15iterator_traitsISL_E10value_typeEPNSR_ISM_E10value_typeEPSN_NS1_7vsmem_tEENKUlT_SL_SM_SN_E_clIS8_S8_S9_S9_EESK_S10_SL_SM_SN_EUlS10_E0_NS1_11comp_targetILNS1_3genE10ELNS1_11target_archE1201ELNS1_3gpuE5ELNS1_3repE0EEENS1_38merge_mergepath_config_static_selectorELNS0_4arch9wavefront6targetE0EEEvSM_,"axG",@progbits,_ZN7rocprim17ROCPRIM_400000_NS6detail17trampoline_kernelINS0_14default_configENS1_38merge_sort_block_merge_config_selectorIlNS0_10empty_typeEEEZZNS1_27merge_sort_block_merge_implIS3_PlPS5_mZN2at6native12_GLOBAL__N_124unique_dim_cuda_templateIsEESt5tupleIJNSA_6TensorESF_SF_EERKSF_lbbbEUlllE_EE10hipError_tT0_T1_T2_jT3_P12ihipStream_tbPNSt15iterator_traitsISL_E10value_typeEPNSR_ISM_E10value_typeEPSN_NS1_7vsmem_tEENKUlT_SL_SM_SN_E_clIS8_S8_S9_S9_EESK_S10_SL_SM_SN_EUlS10_E0_NS1_11comp_targetILNS1_3genE10ELNS1_11target_archE1201ELNS1_3gpuE5ELNS1_3repE0EEENS1_38merge_mergepath_config_static_selectorELNS0_4arch9wavefront6targetE0EEEvSM_,comdat
	.globl	_ZN7rocprim17ROCPRIM_400000_NS6detail17trampoline_kernelINS0_14default_configENS1_38merge_sort_block_merge_config_selectorIlNS0_10empty_typeEEEZZNS1_27merge_sort_block_merge_implIS3_PlPS5_mZN2at6native12_GLOBAL__N_124unique_dim_cuda_templateIsEESt5tupleIJNSA_6TensorESF_SF_EERKSF_lbbbEUlllE_EE10hipError_tT0_T1_T2_jT3_P12ihipStream_tbPNSt15iterator_traitsISL_E10value_typeEPNSR_ISM_E10value_typeEPSN_NS1_7vsmem_tEENKUlT_SL_SM_SN_E_clIS8_S8_S9_S9_EESK_S10_SL_SM_SN_EUlS10_E0_NS1_11comp_targetILNS1_3genE10ELNS1_11target_archE1201ELNS1_3gpuE5ELNS1_3repE0EEENS1_38merge_mergepath_config_static_selectorELNS0_4arch9wavefront6targetE0EEEvSM_ ; -- Begin function _ZN7rocprim17ROCPRIM_400000_NS6detail17trampoline_kernelINS0_14default_configENS1_38merge_sort_block_merge_config_selectorIlNS0_10empty_typeEEEZZNS1_27merge_sort_block_merge_implIS3_PlPS5_mZN2at6native12_GLOBAL__N_124unique_dim_cuda_templateIsEESt5tupleIJNSA_6TensorESF_SF_EERKSF_lbbbEUlllE_EE10hipError_tT0_T1_T2_jT3_P12ihipStream_tbPNSt15iterator_traitsISL_E10value_typeEPNSR_ISM_E10value_typeEPSN_NS1_7vsmem_tEENKUlT_SL_SM_SN_E_clIS8_S8_S9_S9_EESK_S10_SL_SM_SN_EUlS10_E0_NS1_11comp_targetILNS1_3genE10ELNS1_11target_archE1201ELNS1_3gpuE5ELNS1_3repE0EEENS1_38merge_mergepath_config_static_selectorELNS0_4arch9wavefront6targetE0EEEvSM_
	.p2align	8
	.type	_ZN7rocprim17ROCPRIM_400000_NS6detail17trampoline_kernelINS0_14default_configENS1_38merge_sort_block_merge_config_selectorIlNS0_10empty_typeEEEZZNS1_27merge_sort_block_merge_implIS3_PlPS5_mZN2at6native12_GLOBAL__N_124unique_dim_cuda_templateIsEESt5tupleIJNSA_6TensorESF_SF_EERKSF_lbbbEUlllE_EE10hipError_tT0_T1_T2_jT3_P12ihipStream_tbPNSt15iterator_traitsISL_E10value_typeEPNSR_ISM_E10value_typeEPSN_NS1_7vsmem_tEENKUlT_SL_SM_SN_E_clIS8_S8_S9_S9_EESK_S10_SL_SM_SN_EUlS10_E0_NS1_11comp_targetILNS1_3genE10ELNS1_11target_archE1201ELNS1_3gpuE5ELNS1_3repE0EEENS1_38merge_mergepath_config_static_selectorELNS0_4arch9wavefront6targetE0EEEvSM_,@function
_ZN7rocprim17ROCPRIM_400000_NS6detail17trampoline_kernelINS0_14default_configENS1_38merge_sort_block_merge_config_selectorIlNS0_10empty_typeEEEZZNS1_27merge_sort_block_merge_implIS3_PlPS5_mZN2at6native12_GLOBAL__N_124unique_dim_cuda_templateIsEESt5tupleIJNSA_6TensorESF_SF_EERKSF_lbbbEUlllE_EE10hipError_tT0_T1_T2_jT3_P12ihipStream_tbPNSt15iterator_traitsISL_E10value_typeEPNSR_ISM_E10value_typeEPSN_NS1_7vsmem_tEENKUlT_SL_SM_SN_E_clIS8_S8_S9_S9_EESK_S10_SL_SM_SN_EUlS10_E0_NS1_11comp_targetILNS1_3genE10ELNS1_11target_archE1201ELNS1_3gpuE5ELNS1_3repE0EEENS1_38merge_mergepath_config_static_selectorELNS0_4arch9wavefront6targetE0EEEvSM_: ; @_ZN7rocprim17ROCPRIM_400000_NS6detail17trampoline_kernelINS0_14default_configENS1_38merge_sort_block_merge_config_selectorIlNS0_10empty_typeEEEZZNS1_27merge_sort_block_merge_implIS3_PlPS5_mZN2at6native12_GLOBAL__N_124unique_dim_cuda_templateIsEESt5tupleIJNSA_6TensorESF_SF_EERKSF_lbbbEUlllE_EE10hipError_tT0_T1_T2_jT3_P12ihipStream_tbPNSt15iterator_traitsISL_E10value_typeEPNSR_ISM_E10value_typeEPSN_NS1_7vsmem_tEENKUlT_SL_SM_SN_E_clIS8_S8_S9_S9_EESK_S10_SL_SM_SN_EUlS10_E0_NS1_11comp_targetILNS1_3genE10ELNS1_11target_archE1201ELNS1_3gpuE5ELNS1_3repE0EEENS1_38merge_mergepath_config_static_selectorELNS0_4arch9wavefront6targetE0EEEvSM_
; %bb.0:
	.section	.rodata,"a",@progbits
	.p2align	6, 0x0
	.amdhsa_kernel _ZN7rocprim17ROCPRIM_400000_NS6detail17trampoline_kernelINS0_14default_configENS1_38merge_sort_block_merge_config_selectorIlNS0_10empty_typeEEEZZNS1_27merge_sort_block_merge_implIS3_PlPS5_mZN2at6native12_GLOBAL__N_124unique_dim_cuda_templateIsEESt5tupleIJNSA_6TensorESF_SF_EERKSF_lbbbEUlllE_EE10hipError_tT0_T1_T2_jT3_P12ihipStream_tbPNSt15iterator_traitsISL_E10value_typeEPNSR_ISM_E10value_typeEPSN_NS1_7vsmem_tEENKUlT_SL_SM_SN_E_clIS8_S8_S9_S9_EESK_S10_SL_SM_SN_EUlS10_E0_NS1_11comp_targetILNS1_3genE10ELNS1_11target_archE1201ELNS1_3gpuE5ELNS1_3repE0EEENS1_38merge_mergepath_config_static_selectorELNS0_4arch9wavefront6targetE0EEEvSM_
		.amdhsa_group_segment_fixed_size 0
		.amdhsa_private_segment_fixed_size 0
		.amdhsa_kernarg_size 88
		.amdhsa_user_sgpr_count 15
		.amdhsa_user_sgpr_dispatch_ptr 0
		.amdhsa_user_sgpr_queue_ptr 0
		.amdhsa_user_sgpr_kernarg_segment_ptr 1
		.amdhsa_user_sgpr_dispatch_id 0
		.amdhsa_user_sgpr_private_segment_size 0
		.amdhsa_wavefront_size32 1
		.amdhsa_uses_dynamic_stack 0
		.amdhsa_enable_private_segment 0
		.amdhsa_system_sgpr_workgroup_id_x 1
		.amdhsa_system_sgpr_workgroup_id_y 0
		.amdhsa_system_sgpr_workgroup_id_z 0
		.amdhsa_system_sgpr_workgroup_info 0
		.amdhsa_system_vgpr_workitem_id 0
		.amdhsa_next_free_vgpr 1
		.amdhsa_next_free_sgpr 1
		.amdhsa_reserve_vcc 0
		.amdhsa_float_round_mode_32 0
		.amdhsa_float_round_mode_16_64 0
		.amdhsa_float_denorm_mode_32 3
		.amdhsa_float_denorm_mode_16_64 3
		.amdhsa_dx10_clamp 1
		.amdhsa_ieee_mode 1
		.amdhsa_fp16_overflow 0
		.amdhsa_workgroup_processor_mode 1
		.amdhsa_memory_ordered 1
		.amdhsa_forward_progress 0
		.amdhsa_shared_vgpr_count 0
		.amdhsa_exception_fp_ieee_invalid_op 0
		.amdhsa_exception_fp_denorm_src 0
		.amdhsa_exception_fp_ieee_div_zero 0
		.amdhsa_exception_fp_ieee_overflow 0
		.amdhsa_exception_fp_ieee_underflow 0
		.amdhsa_exception_fp_ieee_inexact 0
		.amdhsa_exception_int_div_zero 0
	.end_amdhsa_kernel
	.section	.text._ZN7rocprim17ROCPRIM_400000_NS6detail17trampoline_kernelINS0_14default_configENS1_38merge_sort_block_merge_config_selectorIlNS0_10empty_typeEEEZZNS1_27merge_sort_block_merge_implIS3_PlPS5_mZN2at6native12_GLOBAL__N_124unique_dim_cuda_templateIsEESt5tupleIJNSA_6TensorESF_SF_EERKSF_lbbbEUlllE_EE10hipError_tT0_T1_T2_jT3_P12ihipStream_tbPNSt15iterator_traitsISL_E10value_typeEPNSR_ISM_E10value_typeEPSN_NS1_7vsmem_tEENKUlT_SL_SM_SN_E_clIS8_S8_S9_S9_EESK_S10_SL_SM_SN_EUlS10_E0_NS1_11comp_targetILNS1_3genE10ELNS1_11target_archE1201ELNS1_3gpuE5ELNS1_3repE0EEENS1_38merge_mergepath_config_static_selectorELNS0_4arch9wavefront6targetE0EEEvSM_,"axG",@progbits,_ZN7rocprim17ROCPRIM_400000_NS6detail17trampoline_kernelINS0_14default_configENS1_38merge_sort_block_merge_config_selectorIlNS0_10empty_typeEEEZZNS1_27merge_sort_block_merge_implIS3_PlPS5_mZN2at6native12_GLOBAL__N_124unique_dim_cuda_templateIsEESt5tupleIJNSA_6TensorESF_SF_EERKSF_lbbbEUlllE_EE10hipError_tT0_T1_T2_jT3_P12ihipStream_tbPNSt15iterator_traitsISL_E10value_typeEPNSR_ISM_E10value_typeEPSN_NS1_7vsmem_tEENKUlT_SL_SM_SN_E_clIS8_S8_S9_S9_EESK_S10_SL_SM_SN_EUlS10_E0_NS1_11comp_targetILNS1_3genE10ELNS1_11target_archE1201ELNS1_3gpuE5ELNS1_3repE0EEENS1_38merge_mergepath_config_static_selectorELNS0_4arch9wavefront6targetE0EEEvSM_,comdat
.Lfunc_end645:
	.size	_ZN7rocprim17ROCPRIM_400000_NS6detail17trampoline_kernelINS0_14default_configENS1_38merge_sort_block_merge_config_selectorIlNS0_10empty_typeEEEZZNS1_27merge_sort_block_merge_implIS3_PlPS5_mZN2at6native12_GLOBAL__N_124unique_dim_cuda_templateIsEESt5tupleIJNSA_6TensorESF_SF_EERKSF_lbbbEUlllE_EE10hipError_tT0_T1_T2_jT3_P12ihipStream_tbPNSt15iterator_traitsISL_E10value_typeEPNSR_ISM_E10value_typeEPSN_NS1_7vsmem_tEENKUlT_SL_SM_SN_E_clIS8_S8_S9_S9_EESK_S10_SL_SM_SN_EUlS10_E0_NS1_11comp_targetILNS1_3genE10ELNS1_11target_archE1201ELNS1_3gpuE5ELNS1_3repE0EEENS1_38merge_mergepath_config_static_selectorELNS0_4arch9wavefront6targetE0EEEvSM_, .Lfunc_end645-_ZN7rocprim17ROCPRIM_400000_NS6detail17trampoline_kernelINS0_14default_configENS1_38merge_sort_block_merge_config_selectorIlNS0_10empty_typeEEEZZNS1_27merge_sort_block_merge_implIS3_PlPS5_mZN2at6native12_GLOBAL__N_124unique_dim_cuda_templateIsEESt5tupleIJNSA_6TensorESF_SF_EERKSF_lbbbEUlllE_EE10hipError_tT0_T1_T2_jT3_P12ihipStream_tbPNSt15iterator_traitsISL_E10value_typeEPNSR_ISM_E10value_typeEPSN_NS1_7vsmem_tEENKUlT_SL_SM_SN_E_clIS8_S8_S9_S9_EESK_S10_SL_SM_SN_EUlS10_E0_NS1_11comp_targetILNS1_3genE10ELNS1_11target_archE1201ELNS1_3gpuE5ELNS1_3repE0EEENS1_38merge_mergepath_config_static_selectorELNS0_4arch9wavefront6targetE0EEEvSM_
                                        ; -- End function
	.section	.AMDGPU.csdata,"",@progbits
; Kernel info:
; codeLenInByte = 0
; NumSgprs: 0
; NumVgprs: 0
; ScratchSize: 0
; MemoryBound: 0
; FloatMode: 240
; IeeeMode: 1
; LDSByteSize: 0 bytes/workgroup (compile time only)
; SGPRBlocks: 0
; VGPRBlocks: 0
; NumSGPRsForWavesPerEU: 1
; NumVGPRsForWavesPerEU: 1
; Occupancy: 16
; WaveLimiterHint : 0
; COMPUTE_PGM_RSRC2:SCRATCH_EN: 0
; COMPUTE_PGM_RSRC2:USER_SGPR: 15
; COMPUTE_PGM_RSRC2:TRAP_HANDLER: 0
; COMPUTE_PGM_RSRC2:TGID_X_EN: 1
; COMPUTE_PGM_RSRC2:TGID_Y_EN: 0
; COMPUTE_PGM_RSRC2:TGID_Z_EN: 0
; COMPUTE_PGM_RSRC2:TIDIG_COMP_CNT: 0
	.section	.text._ZN7rocprim17ROCPRIM_400000_NS6detail17trampoline_kernelINS0_14default_configENS1_38merge_sort_block_merge_config_selectorIlNS0_10empty_typeEEEZZNS1_27merge_sort_block_merge_implIS3_PlPS5_mZN2at6native12_GLOBAL__N_124unique_dim_cuda_templateIsEESt5tupleIJNSA_6TensorESF_SF_EERKSF_lbbbEUlllE_EE10hipError_tT0_T1_T2_jT3_P12ihipStream_tbPNSt15iterator_traitsISL_E10value_typeEPNSR_ISM_E10value_typeEPSN_NS1_7vsmem_tEENKUlT_SL_SM_SN_E_clIS8_S8_S9_S9_EESK_S10_SL_SM_SN_EUlS10_E0_NS1_11comp_targetILNS1_3genE5ELNS1_11target_archE942ELNS1_3gpuE9ELNS1_3repE0EEENS1_38merge_mergepath_config_static_selectorELNS0_4arch9wavefront6targetE0EEEvSM_,"axG",@progbits,_ZN7rocprim17ROCPRIM_400000_NS6detail17trampoline_kernelINS0_14default_configENS1_38merge_sort_block_merge_config_selectorIlNS0_10empty_typeEEEZZNS1_27merge_sort_block_merge_implIS3_PlPS5_mZN2at6native12_GLOBAL__N_124unique_dim_cuda_templateIsEESt5tupleIJNSA_6TensorESF_SF_EERKSF_lbbbEUlllE_EE10hipError_tT0_T1_T2_jT3_P12ihipStream_tbPNSt15iterator_traitsISL_E10value_typeEPNSR_ISM_E10value_typeEPSN_NS1_7vsmem_tEENKUlT_SL_SM_SN_E_clIS8_S8_S9_S9_EESK_S10_SL_SM_SN_EUlS10_E0_NS1_11comp_targetILNS1_3genE5ELNS1_11target_archE942ELNS1_3gpuE9ELNS1_3repE0EEENS1_38merge_mergepath_config_static_selectorELNS0_4arch9wavefront6targetE0EEEvSM_,comdat
	.globl	_ZN7rocprim17ROCPRIM_400000_NS6detail17trampoline_kernelINS0_14default_configENS1_38merge_sort_block_merge_config_selectorIlNS0_10empty_typeEEEZZNS1_27merge_sort_block_merge_implIS3_PlPS5_mZN2at6native12_GLOBAL__N_124unique_dim_cuda_templateIsEESt5tupleIJNSA_6TensorESF_SF_EERKSF_lbbbEUlllE_EE10hipError_tT0_T1_T2_jT3_P12ihipStream_tbPNSt15iterator_traitsISL_E10value_typeEPNSR_ISM_E10value_typeEPSN_NS1_7vsmem_tEENKUlT_SL_SM_SN_E_clIS8_S8_S9_S9_EESK_S10_SL_SM_SN_EUlS10_E0_NS1_11comp_targetILNS1_3genE5ELNS1_11target_archE942ELNS1_3gpuE9ELNS1_3repE0EEENS1_38merge_mergepath_config_static_selectorELNS0_4arch9wavefront6targetE0EEEvSM_ ; -- Begin function _ZN7rocprim17ROCPRIM_400000_NS6detail17trampoline_kernelINS0_14default_configENS1_38merge_sort_block_merge_config_selectorIlNS0_10empty_typeEEEZZNS1_27merge_sort_block_merge_implIS3_PlPS5_mZN2at6native12_GLOBAL__N_124unique_dim_cuda_templateIsEESt5tupleIJNSA_6TensorESF_SF_EERKSF_lbbbEUlllE_EE10hipError_tT0_T1_T2_jT3_P12ihipStream_tbPNSt15iterator_traitsISL_E10value_typeEPNSR_ISM_E10value_typeEPSN_NS1_7vsmem_tEENKUlT_SL_SM_SN_E_clIS8_S8_S9_S9_EESK_S10_SL_SM_SN_EUlS10_E0_NS1_11comp_targetILNS1_3genE5ELNS1_11target_archE942ELNS1_3gpuE9ELNS1_3repE0EEENS1_38merge_mergepath_config_static_selectorELNS0_4arch9wavefront6targetE0EEEvSM_
	.p2align	8
	.type	_ZN7rocprim17ROCPRIM_400000_NS6detail17trampoline_kernelINS0_14default_configENS1_38merge_sort_block_merge_config_selectorIlNS0_10empty_typeEEEZZNS1_27merge_sort_block_merge_implIS3_PlPS5_mZN2at6native12_GLOBAL__N_124unique_dim_cuda_templateIsEESt5tupleIJNSA_6TensorESF_SF_EERKSF_lbbbEUlllE_EE10hipError_tT0_T1_T2_jT3_P12ihipStream_tbPNSt15iterator_traitsISL_E10value_typeEPNSR_ISM_E10value_typeEPSN_NS1_7vsmem_tEENKUlT_SL_SM_SN_E_clIS8_S8_S9_S9_EESK_S10_SL_SM_SN_EUlS10_E0_NS1_11comp_targetILNS1_3genE5ELNS1_11target_archE942ELNS1_3gpuE9ELNS1_3repE0EEENS1_38merge_mergepath_config_static_selectorELNS0_4arch9wavefront6targetE0EEEvSM_,@function
_ZN7rocprim17ROCPRIM_400000_NS6detail17trampoline_kernelINS0_14default_configENS1_38merge_sort_block_merge_config_selectorIlNS0_10empty_typeEEEZZNS1_27merge_sort_block_merge_implIS3_PlPS5_mZN2at6native12_GLOBAL__N_124unique_dim_cuda_templateIsEESt5tupleIJNSA_6TensorESF_SF_EERKSF_lbbbEUlllE_EE10hipError_tT0_T1_T2_jT3_P12ihipStream_tbPNSt15iterator_traitsISL_E10value_typeEPNSR_ISM_E10value_typeEPSN_NS1_7vsmem_tEENKUlT_SL_SM_SN_E_clIS8_S8_S9_S9_EESK_S10_SL_SM_SN_EUlS10_E0_NS1_11comp_targetILNS1_3genE5ELNS1_11target_archE942ELNS1_3gpuE9ELNS1_3repE0EEENS1_38merge_mergepath_config_static_selectorELNS0_4arch9wavefront6targetE0EEEvSM_: ; @_ZN7rocprim17ROCPRIM_400000_NS6detail17trampoline_kernelINS0_14default_configENS1_38merge_sort_block_merge_config_selectorIlNS0_10empty_typeEEEZZNS1_27merge_sort_block_merge_implIS3_PlPS5_mZN2at6native12_GLOBAL__N_124unique_dim_cuda_templateIsEESt5tupleIJNSA_6TensorESF_SF_EERKSF_lbbbEUlllE_EE10hipError_tT0_T1_T2_jT3_P12ihipStream_tbPNSt15iterator_traitsISL_E10value_typeEPNSR_ISM_E10value_typeEPSN_NS1_7vsmem_tEENKUlT_SL_SM_SN_E_clIS8_S8_S9_S9_EESK_S10_SL_SM_SN_EUlS10_E0_NS1_11comp_targetILNS1_3genE5ELNS1_11target_archE942ELNS1_3gpuE9ELNS1_3repE0EEENS1_38merge_mergepath_config_static_selectorELNS0_4arch9wavefront6targetE0EEEvSM_
; %bb.0:
	.section	.rodata,"a",@progbits
	.p2align	6, 0x0
	.amdhsa_kernel _ZN7rocprim17ROCPRIM_400000_NS6detail17trampoline_kernelINS0_14default_configENS1_38merge_sort_block_merge_config_selectorIlNS0_10empty_typeEEEZZNS1_27merge_sort_block_merge_implIS3_PlPS5_mZN2at6native12_GLOBAL__N_124unique_dim_cuda_templateIsEESt5tupleIJNSA_6TensorESF_SF_EERKSF_lbbbEUlllE_EE10hipError_tT0_T1_T2_jT3_P12ihipStream_tbPNSt15iterator_traitsISL_E10value_typeEPNSR_ISM_E10value_typeEPSN_NS1_7vsmem_tEENKUlT_SL_SM_SN_E_clIS8_S8_S9_S9_EESK_S10_SL_SM_SN_EUlS10_E0_NS1_11comp_targetILNS1_3genE5ELNS1_11target_archE942ELNS1_3gpuE9ELNS1_3repE0EEENS1_38merge_mergepath_config_static_selectorELNS0_4arch9wavefront6targetE0EEEvSM_
		.amdhsa_group_segment_fixed_size 0
		.amdhsa_private_segment_fixed_size 0
		.amdhsa_kernarg_size 88
		.amdhsa_user_sgpr_count 15
		.amdhsa_user_sgpr_dispatch_ptr 0
		.amdhsa_user_sgpr_queue_ptr 0
		.amdhsa_user_sgpr_kernarg_segment_ptr 1
		.amdhsa_user_sgpr_dispatch_id 0
		.amdhsa_user_sgpr_private_segment_size 0
		.amdhsa_wavefront_size32 1
		.amdhsa_uses_dynamic_stack 0
		.amdhsa_enable_private_segment 0
		.amdhsa_system_sgpr_workgroup_id_x 1
		.amdhsa_system_sgpr_workgroup_id_y 0
		.amdhsa_system_sgpr_workgroup_id_z 0
		.amdhsa_system_sgpr_workgroup_info 0
		.amdhsa_system_vgpr_workitem_id 0
		.amdhsa_next_free_vgpr 1
		.amdhsa_next_free_sgpr 1
		.amdhsa_reserve_vcc 0
		.amdhsa_float_round_mode_32 0
		.amdhsa_float_round_mode_16_64 0
		.amdhsa_float_denorm_mode_32 3
		.amdhsa_float_denorm_mode_16_64 3
		.amdhsa_dx10_clamp 1
		.amdhsa_ieee_mode 1
		.amdhsa_fp16_overflow 0
		.amdhsa_workgroup_processor_mode 1
		.amdhsa_memory_ordered 1
		.amdhsa_forward_progress 0
		.amdhsa_shared_vgpr_count 0
		.amdhsa_exception_fp_ieee_invalid_op 0
		.amdhsa_exception_fp_denorm_src 0
		.amdhsa_exception_fp_ieee_div_zero 0
		.amdhsa_exception_fp_ieee_overflow 0
		.amdhsa_exception_fp_ieee_underflow 0
		.amdhsa_exception_fp_ieee_inexact 0
		.amdhsa_exception_int_div_zero 0
	.end_amdhsa_kernel
	.section	.text._ZN7rocprim17ROCPRIM_400000_NS6detail17trampoline_kernelINS0_14default_configENS1_38merge_sort_block_merge_config_selectorIlNS0_10empty_typeEEEZZNS1_27merge_sort_block_merge_implIS3_PlPS5_mZN2at6native12_GLOBAL__N_124unique_dim_cuda_templateIsEESt5tupleIJNSA_6TensorESF_SF_EERKSF_lbbbEUlllE_EE10hipError_tT0_T1_T2_jT3_P12ihipStream_tbPNSt15iterator_traitsISL_E10value_typeEPNSR_ISM_E10value_typeEPSN_NS1_7vsmem_tEENKUlT_SL_SM_SN_E_clIS8_S8_S9_S9_EESK_S10_SL_SM_SN_EUlS10_E0_NS1_11comp_targetILNS1_3genE5ELNS1_11target_archE942ELNS1_3gpuE9ELNS1_3repE0EEENS1_38merge_mergepath_config_static_selectorELNS0_4arch9wavefront6targetE0EEEvSM_,"axG",@progbits,_ZN7rocprim17ROCPRIM_400000_NS6detail17trampoline_kernelINS0_14default_configENS1_38merge_sort_block_merge_config_selectorIlNS0_10empty_typeEEEZZNS1_27merge_sort_block_merge_implIS3_PlPS5_mZN2at6native12_GLOBAL__N_124unique_dim_cuda_templateIsEESt5tupleIJNSA_6TensorESF_SF_EERKSF_lbbbEUlllE_EE10hipError_tT0_T1_T2_jT3_P12ihipStream_tbPNSt15iterator_traitsISL_E10value_typeEPNSR_ISM_E10value_typeEPSN_NS1_7vsmem_tEENKUlT_SL_SM_SN_E_clIS8_S8_S9_S9_EESK_S10_SL_SM_SN_EUlS10_E0_NS1_11comp_targetILNS1_3genE5ELNS1_11target_archE942ELNS1_3gpuE9ELNS1_3repE0EEENS1_38merge_mergepath_config_static_selectorELNS0_4arch9wavefront6targetE0EEEvSM_,comdat
.Lfunc_end646:
	.size	_ZN7rocprim17ROCPRIM_400000_NS6detail17trampoline_kernelINS0_14default_configENS1_38merge_sort_block_merge_config_selectorIlNS0_10empty_typeEEEZZNS1_27merge_sort_block_merge_implIS3_PlPS5_mZN2at6native12_GLOBAL__N_124unique_dim_cuda_templateIsEESt5tupleIJNSA_6TensorESF_SF_EERKSF_lbbbEUlllE_EE10hipError_tT0_T1_T2_jT3_P12ihipStream_tbPNSt15iterator_traitsISL_E10value_typeEPNSR_ISM_E10value_typeEPSN_NS1_7vsmem_tEENKUlT_SL_SM_SN_E_clIS8_S8_S9_S9_EESK_S10_SL_SM_SN_EUlS10_E0_NS1_11comp_targetILNS1_3genE5ELNS1_11target_archE942ELNS1_3gpuE9ELNS1_3repE0EEENS1_38merge_mergepath_config_static_selectorELNS0_4arch9wavefront6targetE0EEEvSM_, .Lfunc_end646-_ZN7rocprim17ROCPRIM_400000_NS6detail17trampoline_kernelINS0_14default_configENS1_38merge_sort_block_merge_config_selectorIlNS0_10empty_typeEEEZZNS1_27merge_sort_block_merge_implIS3_PlPS5_mZN2at6native12_GLOBAL__N_124unique_dim_cuda_templateIsEESt5tupleIJNSA_6TensorESF_SF_EERKSF_lbbbEUlllE_EE10hipError_tT0_T1_T2_jT3_P12ihipStream_tbPNSt15iterator_traitsISL_E10value_typeEPNSR_ISM_E10value_typeEPSN_NS1_7vsmem_tEENKUlT_SL_SM_SN_E_clIS8_S8_S9_S9_EESK_S10_SL_SM_SN_EUlS10_E0_NS1_11comp_targetILNS1_3genE5ELNS1_11target_archE942ELNS1_3gpuE9ELNS1_3repE0EEENS1_38merge_mergepath_config_static_selectorELNS0_4arch9wavefront6targetE0EEEvSM_
                                        ; -- End function
	.section	.AMDGPU.csdata,"",@progbits
; Kernel info:
; codeLenInByte = 0
; NumSgprs: 0
; NumVgprs: 0
; ScratchSize: 0
; MemoryBound: 0
; FloatMode: 240
; IeeeMode: 1
; LDSByteSize: 0 bytes/workgroup (compile time only)
; SGPRBlocks: 0
; VGPRBlocks: 0
; NumSGPRsForWavesPerEU: 1
; NumVGPRsForWavesPerEU: 1
; Occupancy: 16
; WaveLimiterHint : 0
; COMPUTE_PGM_RSRC2:SCRATCH_EN: 0
; COMPUTE_PGM_RSRC2:USER_SGPR: 15
; COMPUTE_PGM_RSRC2:TRAP_HANDLER: 0
; COMPUTE_PGM_RSRC2:TGID_X_EN: 1
; COMPUTE_PGM_RSRC2:TGID_Y_EN: 0
; COMPUTE_PGM_RSRC2:TGID_Z_EN: 0
; COMPUTE_PGM_RSRC2:TIDIG_COMP_CNT: 0
	.section	.text._ZN7rocprim17ROCPRIM_400000_NS6detail17trampoline_kernelINS0_14default_configENS1_38merge_sort_block_merge_config_selectorIlNS0_10empty_typeEEEZZNS1_27merge_sort_block_merge_implIS3_PlPS5_mZN2at6native12_GLOBAL__N_124unique_dim_cuda_templateIsEESt5tupleIJNSA_6TensorESF_SF_EERKSF_lbbbEUlllE_EE10hipError_tT0_T1_T2_jT3_P12ihipStream_tbPNSt15iterator_traitsISL_E10value_typeEPNSR_ISM_E10value_typeEPSN_NS1_7vsmem_tEENKUlT_SL_SM_SN_E_clIS8_S8_S9_S9_EESK_S10_SL_SM_SN_EUlS10_E0_NS1_11comp_targetILNS1_3genE4ELNS1_11target_archE910ELNS1_3gpuE8ELNS1_3repE0EEENS1_38merge_mergepath_config_static_selectorELNS0_4arch9wavefront6targetE0EEEvSM_,"axG",@progbits,_ZN7rocprim17ROCPRIM_400000_NS6detail17trampoline_kernelINS0_14default_configENS1_38merge_sort_block_merge_config_selectorIlNS0_10empty_typeEEEZZNS1_27merge_sort_block_merge_implIS3_PlPS5_mZN2at6native12_GLOBAL__N_124unique_dim_cuda_templateIsEESt5tupleIJNSA_6TensorESF_SF_EERKSF_lbbbEUlllE_EE10hipError_tT0_T1_T2_jT3_P12ihipStream_tbPNSt15iterator_traitsISL_E10value_typeEPNSR_ISM_E10value_typeEPSN_NS1_7vsmem_tEENKUlT_SL_SM_SN_E_clIS8_S8_S9_S9_EESK_S10_SL_SM_SN_EUlS10_E0_NS1_11comp_targetILNS1_3genE4ELNS1_11target_archE910ELNS1_3gpuE8ELNS1_3repE0EEENS1_38merge_mergepath_config_static_selectorELNS0_4arch9wavefront6targetE0EEEvSM_,comdat
	.globl	_ZN7rocprim17ROCPRIM_400000_NS6detail17trampoline_kernelINS0_14default_configENS1_38merge_sort_block_merge_config_selectorIlNS0_10empty_typeEEEZZNS1_27merge_sort_block_merge_implIS3_PlPS5_mZN2at6native12_GLOBAL__N_124unique_dim_cuda_templateIsEESt5tupleIJNSA_6TensorESF_SF_EERKSF_lbbbEUlllE_EE10hipError_tT0_T1_T2_jT3_P12ihipStream_tbPNSt15iterator_traitsISL_E10value_typeEPNSR_ISM_E10value_typeEPSN_NS1_7vsmem_tEENKUlT_SL_SM_SN_E_clIS8_S8_S9_S9_EESK_S10_SL_SM_SN_EUlS10_E0_NS1_11comp_targetILNS1_3genE4ELNS1_11target_archE910ELNS1_3gpuE8ELNS1_3repE0EEENS1_38merge_mergepath_config_static_selectorELNS0_4arch9wavefront6targetE0EEEvSM_ ; -- Begin function _ZN7rocprim17ROCPRIM_400000_NS6detail17trampoline_kernelINS0_14default_configENS1_38merge_sort_block_merge_config_selectorIlNS0_10empty_typeEEEZZNS1_27merge_sort_block_merge_implIS3_PlPS5_mZN2at6native12_GLOBAL__N_124unique_dim_cuda_templateIsEESt5tupleIJNSA_6TensorESF_SF_EERKSF_lbbbEUlllE_EE10hipError_tT0_T1_T2_jT3_P12ihipStream_tbPNSt15iterator_traitsISL_E10value_typeEPNSR_ISM_E10value_typeEPSN_NS1_7vsmem_tEENKUlT_SL_SM_SN_E_clIS8_S8_S9_S9_EESK_S10_SL_SM_SN_EUlS10_E0_NS1_11comp_targetILNS1_3genE4ELNS1_11target_archE910ELNS1_3gpuE8ELNS1_3repE0EEENS1_38merge_mergepath_config_static_selectorELNS0_4arch9wavefront6targetE0EEEvSM_
	.p2align	8
	.type	_ZN7rocprim17ROCPRIM_400000_NS6detail17trampoline_kernelINS0_14default_configENS1_38merge_sort_block_merge_config_selectorIlNS0_10empty_typeEEEZZNS1_27merge_sort_block_merge_implIS3_PlPS5_mZN2at6native12_GLOBAL__N_124unique_dim_cuda_templateIsEESt5tupleIJNSA_6TensorESF_SF_EERKSF_lbbbEUlllE_EE10hipError_tT0_T1_T2_jT3_P12ihipStream_tbPNSt15iterator_traitsISL_E10value_typeEPNSR_ISM_E10value_typeEPSN_NS1_7vsmem_tEENKUlT_SL_SM_SN_E_clIS8_S8_S9_S9_EESK_S10_SL_SM_SN_EUlS10_E0_NS1_11comp_targetILNS1_3genE4ELNS1_11target_archE910ELNS1_3gpuE8ELNS1_3repE0EEENS1_38merge_mergepath_config_static_selectorELNS0_4arch9wavefront6targetE0EEEvSM_,@function
_ZN7rocprim17ROCPRIM_400000_NS6detail17trampoline_kernelINS0_14default_configENS1_38merge_sort_block_merge_config_selectorIlNS0_10empty_typeEEEZZNS1_27merge_sort_block_merge_implIS3_PlPS5_mZN2at6native12_GLOBAL__N_124unique_dim_cuda_templateIsEESt5tupleIJNSA_6TensorESF_SF_EERKSF_lbbbEUlllE_EE10hipError_tT0_T1_T2_jT3_P12ihipStream_tbPNSt15iterator_traitsISL_E10value_typeEPNSR_ISM_E10value_typeEPSN_NS1_7vsmem_tEENKUlT_SL_SM_SN_E_clIS8_S8_S9_S9_EESK_S10_SL_SM_SN_EUlS10_E0_NS1_11comp_targetILNS1_3genE4ELNS1_11target_archE910ELNS1_3gpuE8ELNS1_3repE0EEENS1_38merge_mergepath_config_static_selectorELNS0_4arch9wavefront6targetE0EEEvSM_: ; @_ZN7rocprim17ROCPRIM_400000_NS6detail17trampoline_kernelINS0_14default_configENS1_38merge_sort_block_merge_config_selectorIlNS0_10empty_typeEEEZZNS1_27merge_sort_block_merge_implIS3_PlPS5_mZN2at6native12_GLOBAL__N_124unique_dim_cuda_templateIsEESt5tupleIJNSA_6TensorESF_SF_EERKSF_lbbbEUlllE_EE10hipError_tT0_T1_T2_jT3_P12ihipStream_tbPNSt15iterator_traitsISL_E10value_typeEPNSR_ISM_E10value_typeEPSN_NS1_7vsmem_tEENKUlT_SL_SM_SN_E_clIS8_S8_S9_S9_EESK_S10_SL_SM_SN_EUlS10_E0_NS1_11comp_targetILNS1_3genE4ELNS1_11target_archE910ELNS1_3gpuE8ELNS1_3repE0EEENS1_38merge_mergepath_config_static_selectorELNS0_4arch9wavefront6targetE0EEEvSM_
; %bb.0:
	.section	.rodata,"a",@progbits
	.p2align	6, 0x0
	.amdhsa_kernel _ZN7rocprim17ROCPRIM_400000_NS6detail17trampoline_kernelINS0_14default_configENS1_38merge_sort_block_merge_config_selectorIlNS0_10empty_typeEEEZZNS1_27merge_sort_block_merge_implIS3_PlPS5_mZN2at6native12_GLOBAL__N_124unique_dim_cuda_templateIsEESt5tupleIJNSA_6TensorESF_SF_EERKSF_lbbbEUlllE_EE10hipError_tT0_T1_T2_jT3_P12ihipStream_tbPNSt15iterator_traitsISL_E10value_typeEPNSR_ISM_E10value_typeEPSN_NS1_7vsmem_tEENKUlT_SL_SM_SN_E_clIS8_S8_S9_S9_EESK_S10_SL_SM_SN_EUlS10_E0_NS1_11comp_targetILNS1_3genE4ELNS1_11target_archE910ELNS1_3gpuE8ELNS1_3repE0EEENS1_38merge_mergepath_config_static_selectorELNS0_4arch9wavefront6targetE0EEEvSM_
		.amdhsa_group_segment_fixed_size 0
		.amdhsa_private_segment_fixed_size 0
		.amdhsa_kernarg_size 88
		.amdhsa_user_sgpr_count 15
		.amdhsa_user_sgpr_dispatch_ptr 0
		.amdhsa_user_sgpr_queue_ptr 0
		.amdhsa_user_sgpr_kernarg_segment_ptr 1
		.amdhsa_user_sgpr_dispatch_id 0
		.amdhsa_user_sgpr_private_segment_size 0
		.amdhsa_wavefront_size32 1
		.amdhsa_uses_dynamic_stack 0
		.amdhsa_enable_private_segment 0
		.amdhsa_system_sgpr_workgroup_id_x 1
		.amdhsa_system_sgpr_workgroup_id_y 0
		.amdhsa_system_sgpr_workgroup_id_z 0
		.amdhsa_system_sgpr_workgroup_info 0
		.amdhsa_system_vgpr_workitem_id 0
		.amdhsa_next_free_vgpr 1
		.amdhsa_next_free_sgpr 1
		.amdhsa_reserve_vcc 0
		.amdhsa_float_round_mode_32 0
		.amdhsa_float_round_mode_16_64 0
		.amdhsa_float_denorm_mode_32 3
		.amdhsa_float_denorm_mode_16_64 3
		.amdhsa_dx10_clamp 1
		.amdhsa_ieee_mode 1
		.amdhsa_fp16_overflow 0
		.amdhsa_workgroup_processor_mode 1
		.amdhsa_memory_ordered 1
		.amdhsa_forward_progress 0
		.amdhsa_shared_vgpr_count 0
		.amdhsa_exception_fp_ieee_invalid_op 0
		.amdhsa_exception_fp_denorm_src 0
		.amdhsa_exception_fp_ieee_div_zero 0
		.amdhsa_exception_fp_ieee_overflow 0
		.amdhsa_exception_fp_ieee_underflow 0
		.amdhsa_exception_fp_ieee_inexact 0
		.amdhsa_exception_int_div_zero 0
	.end_amdhsa_kernel
	.section	.text._ZN7rocprim17ROCPRIM_400000_NS6detail17trampoline_kernelINS0_14default_configENS1_38merge_sort_block_merge_config_selectorIlNS0_10empty_typeEEEZZNS1_27merge_sort_block_merge_implIS3_PlPS5_mZN2at6native12_GLOBAL__N_124unique_dim_cuda_templateIsEESt5tupleIJNSA_6TensorESF_SF_EERKSF_lbbbEUlllE_EE10hipError_tT0_T1_T2_jT3_P12ihipStream_tbPNSt15iterator_traitsISL_E10value_typeEPNSR_ISM_E10value_typeEPSN_NS1_7vsmem_tEENKUlT_SL_SM_SN_E_clIS8_S8_S9_S9_EESK_S10_SL_SM_SN_EUlS10_E0_NS1_11comp_targetILNS1_3genE4ELNS1_11target_archE910ELNS1_3gpuE8ELNS1_3repE0EEENS1_38merge_mergepath_config_static_selectorELNS0_4arch9wavefront6targetE0EEEvSM_,"axG",@progbits,_ZN7rocprim17ROCPRIM_400000_NS6detail17trampoline_kernelINS0_14default_configENS1_38merge_sort_block_merge_config_selectorIlNS0_10empty_typeEEEZZNS1_27merge_sort_block_merge_implIS3_PlPS5_mZN2at6native12_GLOBAL__N_124unique_dim_cuda_templateIsEESt5tupleIJNSA_6TensorESF_SF_EERKSF_lbbbEUlllE_EE10hipError_tT0_T1_T2_jT3_P12ihipStream_tbPNSt15iterator_traitsISL_E10value_typeEPNSR_ISM_E10value_typeEPSN_NS1_7vsmem_tEENKUlT_SL_SM_SN_E_clIS8_S8_S9_S9_EESK_S10_SL_SM_SN_EUlS10_E0_NS1_11comp_targetILNS1_3genE4ELNS1_11target_archE910ELNS1_3gpuE8ELNS1_3repE0EEENS1_38merge_mergepath_config_static_selectorELNS0_4arch9wavefront6targetE0EEEvSM_,comdat
.Lfunc_end647:
	.size	_ZN7rocprim17ROCPRIM_400000_NS6detail17trampoline_kernelINS0_14default_configENS1_38merge_sort_block_merge_config_selectorIlNS0_10empty_typeEEEZZNS1_27merge_sort_block_merge_implIS3_PlPS5_mZN2at6native12_GLOBAL__N_124unique_dim_cuda_templateIsEESt5tupleIJNSA_6TensorESF_SF_EERKSF_lbbbEUlllE_EE10hipError_tT0_T1_T2_jT3_P12ihipStream_tbPNSt15iterator_traitsISL_E10value_typeEPNSR_ISM_E10value_typeEPSN_NS1_7vsmem_tEENKUlT_SL_SM_SN_E_clIS8_S8_S9_S9_EESK_S10_SL_SM_SN_EUlS10_E0_NS1_11comp_targetILNS1_3genE4ELNS1_11target_archE910ELNS1_3gpuE8ELNS1_3repE0EEENS1_38merge_mergepath_config_static_selectorELNS0_4arch9wavefront6targetE0EEEvSM_, .Lfunc_end647-_ZN7rocprim17ROCPRIM_400000_NS6detail17trampoline_kernelINS0_14default_configENS1_38merge_sort_block_merge_config_selectorIlNS0_10empty_typeEEEZZNS1_27merge_sort_block_merge_implIS3_PlPS5_mZN2at6native12_GLOBAL__N_124unique_dim_cuda_templateIsEESt5tupleIJNSA_6TensorESF_SF_EERKSF_lbbbEUlllE_EE10hipError_tT0_T1_T2_jT3_P12ihipStream_tbPNSt15iterator_traitsISL_E10value_typeEPNSR_ISM_E10value_typeEPSN_NS1_7vsmem_tEENKUlT_SL_SM_SN_E_clIS8_S8_S9_S9_EESK_S10_SL_SM_SN_EUlS10_E0_NS1_11comp_targetILNS1_3genE4ELNS1_11target_archE910ELNS1_3gpuE8ELNS1_3repE0EEENS1_38merge_mergepath_config_static_selectorELNS0_4arch9wavefront6targetE0EEEvSM_
                                        ; -- End function
	.section	.AMDGPU.csdata,"",@progbits
; Kernel info:
; codeLenInByte = 0
; NumSgprs: 0
; NumVgprs: 0
; ScratchSize: 0
; MemoryBound: 0
; FloatMode: 240
; IeeeMode: 1
; LDSByteSize: 0 bytes/workgroup (compile time only)
; SGPRBlocks: 0
; VGPRBlocks: 0
; NumSGPRsForWavesPerEU: 1
; NumVGPRsForWavesPerEU: 1
; Occupancy: 16
; WaveLimiterHint : 0
; COMPUTE_PGM_RSRC2:SCRATCH_EN: 0
; COMPUTE_PGM_RSRC2:USER_SGPR: 15
; COMPUTE_PGM_RSRC2:TRAP_HANDLER: 0
; COMPUTE_PGM_RSRC2:TGID_X_EN: 1
; COMPUTE_PGM_RSRC2:TGID_Y_EN: 0
; COMPUTE_PGM_RSRC2:TGID_Z_EN: 0
; COMPUTE_PGM_RSRC2:TIDIG_COMP_CNT: 0
	.section	.text._ZN7rocprim17ROCPRIM_400000_NS6detail17trampoline_kernelINS0_14default_configENS1_38merge_sort_block_merge_config_selectorIlNS0_10empty_typeEEEZZNS1_27merge_sort_block_merge_implIS3_PlPS5_mZN2at6native12_GLOBAL__N_124unique_dim_cuda_templateIsEESt5tupleIJNSA_6TensorESF_SF_EERKSF_lbbbEUlllE_EE10hipError_tT0_T1_T2_jT3_P12ihipStream_tbPNSt15iterator_traitsISL_E10value_typeEPNSR_ISM_E10value_typeEPSN_NS1_7vsmem_tEENKUlT_SL_SM_SN_E_clIS8_S8_S9_S9_EESK_S10_SL_SM_SN_EUlS10_E0_NS1_11comp_targetILNS1_3genE3ELNS1_11target_archE908ELNS1_3gpuE7ELNS1_3repE0EEENS1_38merge_mergepath_config_static_selectorELNS0_4arch9wavefront6targetE0EEEvSM_,"axG",@progbits,_ZN7rocprim17ROCPRIM_400000_NS6detail17trampoline_kernelINS0_14default_configENS1_38merge_sort_block_merge_config_selectorIlNS0_10empty_typeEEEZZNS1_27merge_sort_block_merge_implIS3_PlPS5_mZN2at6native12_GLOBAL__N_124unique_dim_cuda_templateIsEESt5tupleIJNSA_6TensorESF_SF_EERKSF_lbbbEUlllE_EE10hipError_tT0_T1_T2_jT3_P12ihipStream_tbPNSt15iterator_traitsISL_E10value_typeEPNSR_ISM_E10value_typeEPSN_NS1_7vsmem_tEENKUlT_SL_SM_SN_E_clIS8_S8_S9_S9_EESK_S10_SL_SM_SN_EUlS10_E0_NS1_11comp_targetILNS1_3genE3ELNS1_11target_archE908ELNS1_3gpuE7ELNS1_3repE0EEENS1_38merge_mergepath_config_static_selectorELNS0_4arch9wavefront6targetE0EEEvSM_,comdat
	.globl	_ZN7rocprim17ROCPRIM_400000_NS6detail17trampoline_kernelINS0_14default_configENS1_38merge_sort_block_merge_config_selectorIlNS0_10empty_typeEEEZZNS1_27merge_sort_block_merge_implIS3_PlPS5_mZN2at6native12_GLOBAL__N_124unique_dim_cuda_templateIsEESt5tupleIJNSA_6TensorESF_SF_EERKSF_lbbbEUlllE_EE10hipError_tT0_T1_T2_jT3_P12ihipStream_tbPNSt15iterator_traitsISL_E10value_typeEPNSR_ISM_E10value_typeEPSN_NS1_7vsmem_tEENKUlT_SL_SM_SN_E_clIS8_S8_S9_S9_EESK_S10_SL_SM_SN_EUlS10_E0_NS1_11comp_targetILNS1_3genE3ELNS1_11target_archE908ELNS1_3gpuE7ELNS1_3repE0EEENS1_38merge_mergepath_config_static_selectorELNS0_4arch9wavefront6targetE0EEEvSM_ ; -- Begin function _ZN7rocprim17ROCPRIM_400000_NS6detail17trampoline_kernelINS0_14default_configENS1_38merge_sort_block_merge_config_selectorIlNS0_10empty_typeEEEZZNS1_27merge_sort_block_merge_implIS3_PlPS5_mZN2at6native12_GLOBAL__N_124unique_dim_cuda_templateIsEESt5tupleIJNSA_6TensorESF_SF_EERKSF_lbbbEUlllE_EE10hipError_tT0_T1_T2_jT3_P12ihipStream_tbPNSt15iterator_traitsISL_E10value_typeEPNSR_ISM_E10value_typeEPSN_NS1_7vsmem_tEENKUlT_SL_SM_SN_E_clIS8_S8_S9_S9_EESK_S10_SL_SM_SN_EUlS10_E0_NS1_11comp_targetILNS1_3genE3ELNS1_11target_archE908ELNS1_3gpuE7ELNS1_3repE0EEENS1_38merge_mergepath_config_static_selectorELNS0_4arch9wavefront6targetE0EEEvSM_
	.p2align	8
	.type	_ZN7rocprim17ROCPRIM_400000_NS6detail17trampoline_kernelINS0_14default_configENS1_38merge_sort_block_merge_config_selectorIlNS0_10empty_typeEEEZZNS1_27merge_sort_block_merge_implIS3_PlPS5_mZN2at6native12_GLOBAL__N_124unique_dim_cuda_templateIsEESt5tupleIJNSA_6TensorESF_SF_EERKSF_lbbbEUlllE_EE10hipError_tT0_T1_T2_jT3_P12ihipStream_tbPNSt15iterator_traitsISL_E10value_typeEPNSR_ISM_E10value_typeEPSN_NS1_7vsmem_tEENKUlT_SL_SM_SN_E_clIS8_S8_S9_S9_EESK_S10_SL_SM_SN_EUlS10_E0_NS1_11comp_targetILNS1_3genE3ELNS1_11target_archE908ELNS1_3gpuE7ELNS1_3repE0EEENS1_38merge_mergepath_config_static_selectorELNS0_4arch9wavefront6targetE0EEEvSM_,@function
_ZN7rocprim17ROCPRIM_400000_NS6detail17trampoline_kernelINS0_14default_configENS1_38merge_sort_block_merge_config_selectorIlNS0_10empty_typeEEEZZNS1_27merge_sort_block_merge_implIS3_PlPS5_mZN2at6native12_GLOBAL__N_124unique_dim_cuda_templateIsEESt5tupleIJNSA_6TensorESF_SF_EERKSF_lbbbEUlllE_EE10hipError_tT0_T1_T2_jT3_P12ihipStream_tbPNSt15iterator_traitsISL_E10value_typeEPNSR_ISM_E10value_typeEPSN_NS1_7vsmem_tEENKUlT_SL_SM_SN_E_clIS8_S8_S9_S9_EESK_S10_SL_SM_SN_EUlS10_E0_NS1_11comp_targetILNS1_3genE3ELNS1_11target_archE908ELNS1_3gpuE7ELNS1_3repE0EEENS1_38merge_mergepath_config_static_selectorELNS0_4arch9wavefront6targetE0EEEvSM_: ; @_ZN7rocprim17ROCPRIM_400000_NS6detail17trampoline_kernelINS0_14default_configENS1_38merge_sort_block_merge_config_selectorIlNS0_10empty_typeEEEZZNS1_27merge_sort_block_merge_implIS3_PlPS5_mZN2at6native12_GLOBAL__N_124unique_dim_cuda_templateIsEESt5tupleIJNSA_6TensorESF_SF_EERKSF_lbbbEUlllE_EE10hipError_tT0_T1_T2_jT3_P12ihipStream_tbPNSt15iterator_traitsISL_E10value_typeEPNSR_ISM_E10value_typeEPSN_NS1_7vsmem_tEENKUlT_SL_SM_SN_E_clIS8_S8_S9_S9_EESK_S10_SL_SM_SN_EUlS10_E0_NS1_11comp_targetILNS1_3genE3ELNS1_11target_archE908ELNS1_3gpuE7ELNS1_3repE0EEENS1_38merge_mergepath_config_static_selectorELNS0_4arch9wavefront6targetE0EEEvSM_
; %bb.0:
	.section	.rodata,"a",@progbits
	.p2align	6, 0x0
	.amdhsa_kernel _ZN7rocprim17ROCPRIM_400000_NS6detail17trampoline_kernelINS0_14default_configENS1_38merge_sort_block_merge_config_selectorIlNS0_10empty_typeEEEZZNS1_27merge_sort_block_merge_implIS3_PlPS5_mZN2at6native12_GLOBAL__N_124unique_dim_cuda_templateIsEESt5tupleIJNSA_6TensorESF_SF_EERKSF_lbbbEUlllE_EE10hipError_tT0_T1_T2_jT3_P12ihipStream_tbPNSt15iterator_traitsISL_E10value_typeEPNSR_ISM_E10value_typeEPSN_NS1_7vsmem_tEENKUlT_SL_SM_SN_E_clIS8_S8_S9_S9_EESK_S10_SL_SM_SN_EUlS10_E0_NS1_11comp_targetILNS1_3genE3ELNS1_11target_archE908ELNS1_3gpuE7ELNS1_3repE0EEENS1_38merge_mergepath_config_static_selectorELNS0_4arch9wavefront6targetE0EEEvSM_
		.amdhsa_group_segment_fixed_size 0
		.amdhsa_private_segment_fixed_size 0
		.amdhsa_kernarg_size 88
		.amdhsa_user_sgpr_count 15
		.amdhsa_user_sgpr_dispatch_ptr 0
		.amdhsa_user_sgpr_queue_ptr 0
		.amdhsa_user_sgpr_kernarg_segment_ptr 1
		.amdhsa_user_sgpr_dispatch_id 0
		.amdhsa_user_sgpr_private_segment_size 0
		.amdhsa_wavefront_size32 1
		.amdhsa_uses_dynamic_stack 0
		.amdhsa_enable_private_segment 0
		.amdhsa_system_sgpr_workgroup_id_x 1
		.amdhsa_system_sgpr_workgroup_id_y 0
		.amdhsa_system_sgpr_workgroup_id_z 0
		.amdhsa_system_sgpr_workgroup_info 0
		.amdhsa_system_vgpr_workitem_id 0
		.amdhsa_next_free_vgpr 1
		.amdhsa_next_free_sgpr 1
		.amdhsa_reserve_vcc 0
		.amdhsa_float_round_mode_32 0
		.amdhsa_float_round_mode_16_64 0
		.amdhsa_float_denorm_mode_32 3
		.amdhsa_float_denorm_mode_16_64 3
		.amdhsa_dx10_clamp 1
		.amdhsa_ieee_mode 1
		.amdhsa_fp16_overflow 0
		.amdhsa_workgroup_processor_mode 1
		.amdhsa_memory_ordered 1
		.amdhsa_forward_progress 0
		.amdhsa_shared_vgpr_count 0
		.amdhsa_exception_fp_ieee_invalid_op 0
		.amdhsa_exception_fp_denorm_src 0
		.amdhsa_exception_fp_ieee_div_zero 0
		.amdhsa_exception_fp_ieee_overflow 0
		.amdhsa_exception_fp_ieee_underflow 0
		.amdhsa_exception_fp_ieee_inexact 0
		.amdhsa_exception_int_div_zero 0
	.end_amdhsa_kernel
	.section	.text._ZN7rocprim17ROCPRIM_400000_NS6detail17trampoline_kernelINS0_14default_configENS1_38merge_sort_block_merge_config_selectorIlNS0_10empty_typeEEEZZNS1_27merge_sort_block_merge_implIS3_PlPS5_mZN2at6native12_GLOBAL__N_124unique_dim_cuda_templateIsEESt5tupleIJNSA_6TensorESF_SF_EERKSF_lbbbEUlllE_EE10hipError_tT0_T1_T2_jT3_P12ihipStream_tbPNSt15iterator_traitsISL_E10value_typeEPNSR_ISM_E10value_typeEPSN_NS1_7vsmem_tEENKUlT_SL_SM_SN_E_clIS8_S8_S9_S9_EESK_S10_SL_SM_SN_EUlS10_E0_NS1_11comp_targetILNS1_3genE3ELNS1_11target_archE908ELNS1_3gpuE7ELNS1_3repE0EEENS1_38merge_mergepath_config_static_selectorELNS0_4arch9wavefront6targetE0EEEvSM_,"axG",@progbits,_ZN7rocprim17ROCPRIM_400000_NS6detail17trampoline_kernelINS0_14default_configENS1_38merge_sort_block_merge_config_selectorIlNS0_10empty_typeEEEZZNS1_27merge_sort_block_merge_implIS3_PlPS5_mZN2at6native12_GLOBAL__N_124unique_dim_cuda_templateIsEESt5tupleIJNSA_6TensorESF_SF_EERKSF_lbbbEUlllE_EE10hipError_tT0_T1_T2_jT3_P12ihipStream_tbPNSt15iterator_traitsISL_E10value_typeEPNSR_ISM_E10value_typeEPSN_NS1_7vsmem_tEENKUlT_SL_SM_SN_E_clIS8_S8_S9_S9_EESK_S10_SL_SM_SN_EUlS10_E0_NS1_11comp_targetILNS1_3genE3ELNS1_11target_archE908ELNS1_3gpuE7ELNS1_3repE0EEENS1_38merge_mergepath_config_static_selectorELNS0_4arch9wavefront6targetE0EEEvSM_,comdat
.Lfunc_end648:
	.size	_ZN7rocprim17ROCPRIM_400000_NS6detail17trampoline_kernelINS0_14default_configENS1_38merge_sort_block_merge_config_selectorIlNS0_10empty_typeEEEZZNS1_27merge_sort_block_merge_implIS3_PlPS5_mZN2at6native12_GLOBAL__N_124unique_dim_cuda_templateIsEESt5tupleIJNSA_6TensorESF_SF_EERKSF_lbbbEUlllE_EE10hipError_tT0_T1_T2_jT3_P12ihipStream_tbPNSt15iterator_traitsISL_E10value_typeEPNSR_ISM_E10value_typeEPSN_NS1_7vsmem_tEENKUlT_SL_SM_SN_E_clIS8_S8_S9_S9_EESK_S10_SL_SM_SN_EUlS10_E0_NS1_11comp_targetILNS1_3genE3ELNS1_11target_archE908ELNS1_3gpuE7ELNS1_3repE0EEENS1_38merge_mergepath_config_static_selectorELNS0_4arch9wavefront6targetE0EEEvSM_, .Lfunc_end648-_ZN7rocprim17ROCPRIM_400000_NS6detail17trampoline_kernelINS0_14default_configENS1_38merge_sort_block_merge_config_selectorIlNS0_10empty_typeEEEZZNS1_27merge_sort_block_merge_implIS3_PlPS5_mZN2at6native12_GLOBAL__N_124unique_dim_cuda_templateIsEESt5tupleIJNSA_6TensorESF_SF_EERKSF_lbbbEUlllE_EE10hipError_tT0_T1_T2_jT3_P12ihipStream_tbPNSt15iterator_traitsISL_E10value_typeEPNSR_ISM_E10value_typeEPSN_NS1_7vsmem_tEENKUlT_SL_SM_SN_E_clIS8_S8_S9_S9_EESK_S10_SL_SM_SN_EUlS10_E0_NS1_11comp_targetILNS1_3genE3ELNS1_11target_archE908ELNS1_3gpuE7ELNS1_3repE0EEENS1_38merge_mergepath_config_static_selectorELNS0_4arch9wavefront6targetE0EEEvSM_
                                        ; -- End function
	.section	.AMDGPU.csdata,"",@progbits
; Kernel info:
; codeLenInByte = 0
; NumSgprs: 0
; NumVgprs: 0
; ScratchSize: 0
; MemoryBound: 0
; FloatMode: 240
; IeeeMode: 1
; LDSByteSize: 0 bytes/workgroup (compile time only)
; SGPRBlocks: 0
; VGPRBlocks: 0
; NumSGPRsForWavesPerEU: 1
; NumVGPRsForWavesPerEU: 1
; Occupancy: 16
; WaveLimiterHint : 0
; COMPUTE_PGM_RSRC2:SCRATCH_EN: 0
; COMPUTE_PGM_RSRC2:USER_SGPR: 15
; COMPUTE_PGM_RSRC2:TRAP_HANDLER: 0
; COMPUTE_PGM_RSRC2:TGID_X_EN: 1
; COMPUTE_PGM_RSRC2:TGID_Y_EN: 0
; COMPUTE_PGM_RSRC2:TGID_Z_EN: 0
; COMPUTE_PGM_RSRC2:TIDIG_COMP_CNT: 0
	.section	.text._ZN7rocprim17ROCPRIM_400000_NS6detail17trampoline_kernelINS0_14default_configENS1_38merge_sort_block_merge_config_selectorIlNS0_10empty_typeEEEZZNS1_27merge_sort_block_merge_implIS3_PlPS5_mZN2at6native12_GLOBAL__N_124unique_dim_cuda_templateIsEESt5tupleIJNSA_6TensorESF_SF_EERKSF_lbbbEUlllE_EE10hipError_tT0_T1_T2_jT3_P12ihipStream_tbPNSt15iterator_traitsISL_E10value_typeEPNSR_ISM_E10value_typeEPSN_NS1_7vsmem_tEENKUlT_SL_SM_SN_E_clIS8_S8_S9_S9_EESK_S10_SL_SM_SN_EUlS10_E0_NS1_11comp_targetILNS1_3genE2ELNS1_11target_archE906ELNS1_3gpuE6ELNS1_3repE0EEENS1_38merge_mergepath_config_static_selectorELNS0_4arch9wavefront6targetE0EEEvSM_,"axG",@progbits,_ZN7rocprim17ROCPRIM_400000_NS6detail17trampoline_kernelINS0_14default_configENS1_38merge_sort_block_merge_config_selectorIlNS0_10empty_typeEEEZZNS1_27merge_sort_block_merge_implIS3_PlPS5_mZN2at6native12_GLOBAL__N_124unique_dim_cuda_templateIsEESt5tupleIJNSA_6TensorESF_SF_EERKSF_lbbbEUlllE_EE10hipError_tT0_T1_T2_jT3_P12ihipStream_tbPNSt15iterator_traitsISL_E10value_typeEPNSR_ISM_E10value_typeEPSN_NS1_7vsmem_tEENKUlT_SL_SM_SN_E_clIS8_S8_S9_S9_EESK_S10_SL_SM_SN_EUlS10_E0_NS1_11comp_targetILNS1_3genE2ELNS1_11target_archE906ELNS1_3gpuE6ELNS1_3repE0EEENS1_38merge_mergepath_config_static_selectorELNS0_4arch9wavefront6targetE0EEEvSM_,comdat
	.globl	_ZN7rocprim17ROCPRIM_400000_NS6detail17trampoline_kernelINS0_14default_configENS1_38merge_sort_block_merge_config_selectorIlNS0_10empty_typeEEEZZNS1_27merge_sort_block_merge_implIS3_PlPS5_mZN2at6native12_GLOBAL__N_124unique_dim_cuda_templateIsEESt5tupleIJNSA_6TensorESF_SF_EERKSF_lbbbEUlllE_EE10hipError_tT0_T1_T2_jT3_P12ihipStream_tbPNSt15iterator_traitsISL_E10value_typeEPNSR_ISM_E10value_typeEPSN_NS1_7vsmem_tEENKUlT_SL_SM_SN_E_clIS8_S8_S9_S9_EESK_S10_SL_SM_SN_EUlS10_E0_NS1_11comp_targetILNS1_3genE2ELNS1_11target_archE906ELNS1_3gpuE6ELNS1_3repE0EEENS1_38merge_mergepath_config_static_selectorELNS0_4arch9wavefront6targetE0EEEvSM_ ; -- Begin function _ZN7rocprim17ROCPRIM_400000_NS6detail17trampoline_kernelINS0_14default_configENS1_38merge_sort_block_merge_config_selectorIlNS0_10empty_typeEEEZZNS1_27merge_sort_block_merge_implIS3_PlPS5_mZN2at6native12_GLOBAL__N_124unique_dim_cuda_templateIsEESt5tupleIJNSA_6TensorESF_SF_EERKSF_lbbbEUlllE_EE10hipError_tT0_T1_T2_jT3_P12ihipStream_tbPNSt15iterator_traitsISL_E10value_typeEPNSR_ISM_E10value_typeEPSN_NS1_7vsmem_tEENKUlT_SL_SM_SN_E_clIS8_S8_S9_S9_EESK_S10_SL_SM_SN_EUlS10_E0_NS1_11comp_targetILNS1_3genE2ELNS1_11target_archE906ELNS1_3gpuE6ELNS1_3repE0EEENS1_38merge_mergepath_config_static_selectorELNS0_4arch9wavefront6targetE0EEEvSM_
	.p2align	8
	.type	_ZN7rocprim17ROCPRIM_400000_NS6detail17trampoline_kernelINS0_14default_configENS1_38merge_sort_block_merge_config_selectorIlNS0_10empty_typeEEEZZNS1_27merge_sort_block_merge_implIS3_PlPS5_mZN2at6native12_GLOBAL__N_124unique_dim_cuda_templateIsEESt5tupleIJNSA_6TensorESF_SF_EERKSF_lbbbEUlllE_EE10hipError_tT0_T1_T2_jT3_P12ihipStream_tbPNSt15iterator_traitsISL_E10value_typeEPNSR_ISM_E10value_typeEPSN_NS1_7vsmem_tEENKUlT_SL_SM_SN_E_clIS8_S8_S9_S9_EESK_S10_SL_SM_SN_EUlS10_E0_NS1_11comp_targetILNS1_3genE2ELNS1_11target_archE906ELNS1_3gpuE6ELNS1_3repE0EEENS1_38merge_mergepath_config_static_selectorELNS0_4arch9wavefront6targetE0EEEvSM_,@function
_ZN7rocprim17ROCPRIM_400000_NS6detail17trampoline_kernelINS0_14default_configENS1_38merge_sort_block_merge_config_selectorIlNS0_10empty_typeEEEZZNS1_27merge_sort_block_merge_implIS3_PlPS5_mZN2at6native12_GLOBAL__N_124unique_dim_cuda_templateIsEESt5tupleIJNSA_6TensorESF_SF_EERKSF_lbbbEUlllE_EE10hipError_tT0_T1_T2_jT3_P12ihipStream_tbPNSt15iterator_traitsISL_E10value_typeEPNSR_ISM_E10value_typeEPSN_NS1_7vsmem_tEENKUlT_SL_SM_SN_E_clIS8_S8_S9_S9_EESK_S10_SL_SM_SN_EUlS10_E0_NS1_11comp_targetILNS1_3genE2ELNS1_11target_archE906ELNS1_3gpuE6ELNS1_3repE0EEENS1_38merge_mergepath_config_static_selectorELNS0_4arch9wavefront6targetE0EEEvSM_: ; @_ZN7rocprim17ROCPRIM_400000_NS6detail17trampoline_kernelINS0_14default_configENS1_38merge_sort_block_merge_config_selectorIlNS0_10empty_typeEEEZZNS1_27merge_sort_block_merge_implIS3_PlPS5_mZN2at6native12_GLOBAL__N_124unique_dim_cuda_templateIsEESt5tupleIJNSA_6TensorESF_SF_EERKSF_lbbbEUlllE_EE10hipError_tT0_T1_T2_jT3_P12ihipStream_tbPNSt15iterator_traitsISL_E10value_typeEPNSR_ISM_E10value_typeEPSN_NS1_7vsmem_tEENKUlT_SL_SM_SN_E_clIS8_S8_S9_S9_EESK_S10_SL_SM_SN_EUlS10_E0_NS1_11comp_targetILNS1_3genE2ELNS1_11target_archE906ELNS1_3gpuE6ELNS1_3repE0EEENS1_38merge_mergepath_config_static_selectorELNS0_4arch9wavefront6targetE0EEEvSM_
; %bb.0:
	.section	.rodata,"a",@progbits
	.p2align	6, 0x0
	.amdhsa_kernel _ZN7rocprim17ROCPRIM_400000_NS6detail17trampoline_kernelINS0_14default_configENS1_38merge_sort_block_merge_config_selectorIlNS0_10empty_typeEEEZZNS1_27merge_sort_block_merge_implIS3_PlPS5_mZN2at6native12_GLOBAL__N_124unique_dim_cuda_templateIsEESt5tupleIJNSA_6TensorESF_SF_EERKSF_lbbbEUlllE_EE10hipError_tT0_T1_T2_jT3_P12ihipStream_tbPNSt15iterator_traitsISL_E10value_typeEPNSR_ISM_E10value_typeEPSN_NS1_7vsmem_tEENKUlT_SL_SM_SN_E_clIS8_S8_S9_S9_EESK_S10_SL_SM_SN_EUlS10_E0_NS1_11comp_targetILNS1_3genE2ELNS1_11target_archE906ELNS1_3gpuE6ELNS1_3repE0EEENS1_38merge_mergepath_config_static_selectorELNS0_4arch9wavefront6targetE0EEEvSM_
		.amdhsa_group_segment_fixed_size 0
		.amdhsa_private_segment_fixed_size 0
		.amdhsa_kernarg_size 88
		.amdhsa_user_sgpr_count 15
		.amdhsa_user_sgpr_dispatch_ptr 0
		.amdhsa_user_sgpr_queue_ptr 0
		.amdhsa_user_sgpr_kernarg_segment_ptr 1
		.amdhsa_user_sgpr_dispatch_id 0
		.amdhsa_user_sgpr_private_segment_size 0
		.amdhsa_wavefront_size32 1
		.amdhsa_uses_dynamic_stack 0
		.amdhsa_enable_private_segment 0
		.amdhsa_system_sgpr_workgroup_id_x 1
		.amdhsa_system_sgpr_workgroup_id_y 0
		.amdhsa_system_sgpr_workgroup_id_z 0
		.amdhsa_system_sgpr_workgroup_info 0
		.amdhsa_system_vgpr_workitem_id 0
		.amdhsa_next_free_vgpr 1
		.amdhsa_next_free_sgpr 1
		.amdhsa_reserve_vcc 0
		.amdhsa_float_round_mode_32 0
		.amdhsa_float_round_mode_16_64 0
		.amdhsa_float_denorm_mode_32 3
		.amdhsa_float_denorm_mode_16_64 3
		.amdhsa_dx10_clamp 1
		.amdhsa_ieee_mode 1
		.amdhsa_fp16_overflow 0
		.amdhsa_workgroup_processor_mode 1
		.amdhsa_memory_ordered 1
		.amdhsa_forward_progress 0
		.amdhsa_shared_vgpr_count 0
		.amdhsa_exception_fp_ieee_invalid_op 0
		.amdhsa_exception_fp_denorm_src 0
		.amdhsa_exception_fp_ieee_div_zero 0
		.amdhsa_exception_fp_ieee_overflow 0
		.amdhsa_exception_fp_ieee_underflow 0
		.amdhsa_exception_fp_ieee_inexact 0
		.amdhsa_exception_int_div_zero 0
	.end_amdhsa_kernel
	.section	.text._ZN7rocprim17ROCPRIM_400000_NS6detail17trampoline_kernelINS0_14default_configENS1_38merge_sort_block_merge_config_selectorIlNS0_10empty_typeEEEZZNS1_27merge_sort_block_merge_implIS3_PlPS5_mZN2at6native12_GLOBAL__N_124unique_dim_cuda_templateIsEESt5tupleIJNSA_6TensorESF_SF_EERKSF_lbbbEUlllE_EE10hipError_tT0_T1_T2_jT3_P12ihipStream_tbPNSt15iterator_traitsISL_E10value_typeEPNSR_ISM_E10value_typeEPSN_NS1_7vsmem_tEENKUlT_SL_SM_SN_E_clIS8_S8_S9_S9_EESK_S10_SL_SM_SN_EUlS10_E0_NS1_11comp_targetILNS1_3genE2ELNS1_11target_archE906ELNS1_3gpuE6ELNS1_3repE0EEENS1_38merge_mergepath_config_static_selectorELNS0_4arch9wavefront6targetE0EEEvSM_,"axG",@progbits,_ZN7rocprim17ROCPRIM_400000_NS6detail17trampoline_kernelINS0_14default_configENS1_38merge_sort_block_merge_config_selectorIlNS0_10empty_typeEEEZZNS1_27merge_sort_block_merge_implIS3_PlPS5_mZN2at6native12_GLOBAL__N_124unique_dim_cuda_templateIsEESt5tupleIJNSA_6TensorESF_SF_EERKSF_lbbbEUlllE_EE10hipError_tT0_T1_T2_jT3_P12ihipStream_tbPNSt15iterator_traitsISL_E10value_typeEPNSR_ISM_E10value_typeEPSN_NS1_7vsmem_tEENKUlT_SL_SM_SN_E_clIS8_S8_S9_S9_EESK_S10_SL_SM_SN_EUlS10_E0_NS1_11comp_targetILNS1_3genE2ELNS1_11target_archE906ELNS1_3gpuE6ELNS1_3repE0EEENS1_38merge_mergepath_config_static_selectorELNS0_4arch9wavefront6targetE0EEEvSM_,comdat
.Lfunc_end649:
	.size	_ZN7rocprim17ROCPRIM_400000_NS6detail17trampoline_kernelINS0_14default_configENS1_38merge_sort_block_merge_config_selectorIlNS0_10empty_typeEEEZZNS1_27merge_sort_block_merge_implIS3_PlPS5_mZN2at6native12_GLOBAL__N_124unique_dim_cuda_templateIsEESt5tupleIJNSA_6TensorESF_SF_EERKSF_lbbbEUlllE_EE10hipError_tT0_T1_T2_jT3_P12ihipStream_tbPNSt15iterator_traitsISL_E10value_typeEPNSR_ISM_E10value_typeEPSN_NS1_7vsmem_tEENKUlT_SL_SM_SN_E_clIS8_S8_S9_S9_EESK_S10_SL_SM_SN_EUlS10_E0_NS1_11comp_targetILNS1_3genE2ELNS1_11target_archE906ELNS1_3gpuE6ELNS1_3repE0EEENS1_38merge_mergepath_config_static_selectorELNS0_4arch9wavefront6targetE0EEEvSM_, .Lfunc_end649-_ZN7rocprim17ROCPRIM_400000_NS6detail17trampoline_kernelINS0_14default_configENS1_38merge_sort_block_merge_config_selectorIlNS0_10empty_typeEEEZZNS1_27merge_sort_block_merge_implIS3_PlPS5_mZN2at6native12_GLOBAL__N_124unique_dim_cuda_templateIsEESt5tupleIJNSA_6TensorESF_SF_EERKSF_lbbbEUlllE_EE10hipError_tT0_T1_T2_jT3_P12ihipStream_tbPNSt15iterator_traitsISL_E10value_typeEPNSR_ISM_E10value_typeEPSN_NS1_7vsmem_tEENKUlT_SL_SM_SN_E_clIS8_S8_S9_S9_EESK_S10_SL_SM_SN_EUlS10_E0_NS1_11comp_targetILNS1_3genE2ELNS1_11target_archE906ELNS1_3gpuE6ELNS1_3repE0EEENS1_38merge_mergepath_config_static_selectorELNS0_4arch9wavefront6targetE0EEEvSM_
                                        ; -- End function
	.section	.AMDGPU.csdata,"",@progbits
; Kernel info:
; codeLenInByte = 0
; NumSgprs: 0
; NumVgprs: 0
; ScratchSize: 0
; MemoryBound: 0
; FloatMode: 240
; IeeeMode: 1
; LDSByteSize: 0 bytes/workgroup (compile time only)
; SGPRBlocks: 0
; VGPRBlocks: 0
; NumSGPRsForWavesPerEU: 1
; NumVGPRsForWavesPerEU: 1
; Occupancy: 16
; WaveLimiterHint : 0
; COMPUTE_PGM_RSRC2:SCRATCH_EN: 0
; COMPUTE_PGM_RSRC2:USER_SGPR: 15
; COMPUTE_PGM_RSRC2:TRAP_HANDLER: 0
; COMPUTE_PGM_RSRC2:TGID_X_EN: 1
; COMPUTE_PGM_RSRC2:TGID_Y_EN: 0
; COMPUTE_PGM_RSRC2:TGID_Z_EN: 0
; COMPUTE_PGM_RSRC2:TIDIG_COMP_CNT: 0
	.section	.text._ZN7rocprim17ROCPRIM_400000_NS6detail17trampoline_kernelINS0_14default_configENS1_38merge_sort_block_merge_config_selectorIlNS0_10empty_typeEEEZZNS1_27merge_sort_block_merge_implIS3_PlPS5_mZN2at6native12_GLOBAL__N_124unique_dim_cuda_templateIsEESt5tupleIJNSA_6TensorESF_SF_EERKSF_lbbbEUlllE_EE10hipError_tT0_T1_T2_jT3_P12ihipStream_tbPNSt15iterator_traitsISL_E10value_typeEPNSR_ISM_E10value_typeEPSN_NS1_7vsmem_tEENKUlT_SL_SM_SN_E_clIS8_S8_S9_S9_EESK_S10_SL_SM_SN_EUlS10_E0_NS1_11comp_targetILNS1_3genE9ELNS1_11target_archE1100ELNS1_3gpuE3ELNS1_3repE0EEENS1_38merge_mergepath_config_static_selectorELNS0_4arch9wavefront6targetE0EEEvSM_,"axG",@progbits,_ZN7rocprim17ROCPRIM_400000_NS6detail17trampoline_kernelINS0_14default_configENS1_38merge_sort_block_merge_config_selectorIlNS0_10empty_typeEEEZZNS1_27merge_sort_block_merge_implIS3_PlPS5_mZN2at6native12_GLOBAL__N_124unique_dim_cuda_templateIsEESt5tupleIJNSA_6TensorESF_SF_EERKSF_lbbbEUlllE_EE10hipError_tT0_T1_T2_jT3_P12ihipStream_tbPNSt15iterator_traitsISL_E10value_typeEPNSR_ISM_E10value_typeEPSN_NS1_7vsmem_tEENKUlT_SL_SM_SN_E_clIS8_S8_S9_S9_EESK_S10_SL_SM_SN_EUlS10_E0_NS1_11comp_targetILNS1_3genE9ELNS1_11target_archE1100ELNS1_3gpuE3ELNS1_3repE0EEENS1_38merge_mergepath_config_static_selectorELNS0_4arch9wavefront6targetE0EEEvSM_,comdat
	.globl	_ZN7rocprim17ROCPRIM_400000_NS6detail17trampoline_kernelINS0_14default_configENS1_38merge_sort_block_merge_config_selectorIlNS0_10empty_typeEEEZZNS1_27merge_sort_block_merge_implIS3_PlPS5_mZN2at6native12_GLOBAL__N_124unique_dim_cuda_templateIsEESt5tupleIJNSA_6TensorESF_SF_EERKSF_lbbbEUlllE_EE10hipError_tT0_T1_T2_jT3_P12ihipStream_tbPNSt15iterator_traitsISL_E10value_typeEPNSR_ISM_E10value_typeEPSN_NS1_7vsmem_tEENKUlT_SL_SM_SN_E_clIS8_S8_S9_S9_EESK_S10_SL_SM_SN_EUlS10_E0_NS1_11comp_targetILNS1_3genE9ELNS1_11target_archE1100ELNS1_3gpuE3ELNS1_3repE0EEENS1_38merge_mergepath_config_static_selectorELNS0_4arch9wavefront6targetE0EEEvSM_ ; -- Begin function _ZN7rocprim17ROCPRIM_400000_NS6detail17trampoline_kernelINS0_14default_configENS1_38merge_sort_block_merge_config_selectorIlNS0_10empty_typeEEEZZNS1_27merge_sort_block_merge_implIS3_PlPS5_mZN2at6native12_GLOBAL__N_124unique_dim_cuda_templateIsEESt5tupleIJNSA_6TensorESF_SF_EERKSF_lbbbEUlllE_EE10hipError_tT0_T1_T2_jT3_P12ihipStream_tbPNSt15iterator_traitsISL_E10value_typeEPNSR_ISM_E10value_typeEPSN_NS1_7vsmem_tEENKUlT_SL_SM_SN_E_clIS8_S8_S9_S9_EESK_S10_SL_SM_SN_EUlS10_E0_NS1_11comp_targetILNS1_3genE9ELNS1_11target_archE1100ELNS1_3gpuE3ELNS1_3repE0EEENS1_38merge_mergepath_config_static_selectorELNS0_4arch9wavefront6targetE0EEEvSM_
	.p2align	8
	.type	_ZN7rocprim17ROCPRIM_400000_NS6detail17trampoline_kernelINS0_14default_configENS1_38merge_sort_block_merge_config_selectorIlNS0_10empty_typeEEEZZNS1_27merge_sort_block_merge_implIS3_PlPS5_mZN2at6native12_GLOBAL__N_124unique_dim_cuda_templateIsEESt5tupleIJNSA_6TensorESF_SF_EERKSF_lbbbEUlllE_EE10hipError_tT0_T1_T2_jT3_P12ihipStream_tbPNSt15iterator_traitsISL_E10value_typeEPNSR_ISM_E10value_typeEPSN_NS1_7vsmem_tEENKUlT_SL_SM_SN_E_clIS8_S8_S9_S9_EESK_S10_SL_SM_SN_EUlS10_E0_NS1_11comp_targetILNS1_3genE9ELNS1_11target_archE1100ELNS1_3gpuE3ELNS1_3repE0EEENS1_38merge_mergepath_config_static_selectorELNS0_4arch9wavefront6targetE0EEEvSM_,@function
_ZN7rocprim17ROCPRIM_400000_NS6detail17trampoline_kernelINS0_14default_configENS1_38merge_sort_block_merge_config_selectorIlNS0_10empty_typeEEEZZNS1_27merge_sort_block_merge_implIS3_PlPS5_mZN2at6native12_GLOBAL__N_124unique_dim_cuda_templateIsEESt5tupleIJNSA_6TensorESF_SF_EERKSF_lbbbEUlllE_EE10hipError_tT0_T1_T2_jT3_P12ihipStream_tbPNSt15iterator_traitsISL_E10value_typeEPNSR_ISM_E10value_typeEPSN_NS1_7vsmem_tEENKUlT_SL_SM_SN_E_clIS8_S8_S9_S9_EESK_S10_SL_SM_SN_EUlS10_E0_NS1_11comp_targetILNS1_3genE9ELNS1_11target_archE1100ELNS1_3gpuE3ELNS1_3repE0EEENS1_38merge_mergepath_config_static_selectorELNS0_4arch9wavefront6targetE0EEEvSM_: ; @_ZN7rocprim17ROCPRIM_400000_NS6detail17trampoline_kernelINS0_14default_configENS1_38merge_sort_block_merge_config_selectorIlNS0_10empty_typeEEEZZNS1_27merge_sort_block_merge_implIS3_PlPS5_mZN2at6native12_GLOBAL__N_124unique_dim_cuda_templateIsEESt5tupleIJNSA_6TensorESF_SF_EERKSF_lbbbEUlllE_EE10hipError_tT0_T1_T2_jT3_P12ihipStream_tbPNSt15iterator_traitsISL_E10value_typeEPNSR_ISM_E10value_typeEPSN_NS1_7vsmem_tEENKUlT_SL_SM_SN_E_clIS8_S8_S9_S9_EESK_S10_SL_SM_SN_EUlS10_E0_NS1_11comp_targetILNS1_3genE9ELNS1_11target_archE1100ELNS1_3gpuE3ELNS1_3repE0EEENS1_38merge_mergepath_config_static_selectorELNS0_4arch9wavefront6targetE0EEEvSM_
; %bb.0:
	s_clause 0x1
	s_load_b64 s[24:25], s[0:1], 0x58
	s_load_b32 s3, s[0:1], 0x38
	s_add_u32 s22, s0, 0x58
	s_addc_u32 s23, s1, 0
	s_waitcnt lgkmcnt(0)
	s_mul_i32 s2, s25, s15
	s_delay_alu instid0(SALU_CYCLE_1) | instskip(NEXT) | instid1(SALU_CYCLE_1)
	s_add_i32 s2, s2, s14
	s_mul_i32 s2, s2, s24
	s_delay_alu instid0(SALU_CYCLE_1) | instskip(NEXT) | instid1(SALU_CYCLE_1)
	s_add_i32 s2, s2, s13
	s_cmp_ge_u32 s2, s3
	s_cbranch_scc1 .LBB650_53
; %bb.1:
	s_clause 0x1
	s_load_b128 s[4:7], s[0:1], 0x28
	s_load_b64 s[8:9], s[0:1], 0x50
	s_mov_b32 s3, 0
	s_delay_alu instid0(SALU_CYCLE_1)
	s_lshl_b64 s[10:11], s[2:3], 3
	s_waitcnt lgkmcnt(0)
	v_alignbit_b32 v1, s7, s6, 9
	s_add_u32 s8, s8, s10
	s_addc_u32 s9, s9, s11
	s_lshl_b64 s[20:21], s[2:3], 10
	s_load_b128 s[16:19], s[8:9], 0x0
	v_readfirstlane_b32 s10, v1
	s_mov_b32 s9, s3
	s_delay_alu instid0(VALU_DEP_1) | instskip(NEXT) | instid1(SALU_CYCLE_1)
	s_and_b32 s8, s10, -2
	s_sub_i32 s25, 0, s8
	s_delay_alu instid0(SALU_CYCLE_1) | instskip(NEXT) | instid1(SALU_CYCLE_1)
	s_and_b32 s8, s2, s25
	s_lshl_b64 s[14:15], s[8:9], 10
	s_delay_alu instid0(SALU_CYCLE_1)
	s_sub_u32 s12, s20, s14
	s_subb_u32 s30, s21, s15
	s_lshl_b64 s[26:27], s[8:9], 11
	s_load_b128 s[8:11], s[0:1], 0x8
	s_add_u32 s28, s26, s6
	s_addc_u32 s29, s27, s7
	s_add_u32 s12, s28, s12
	s_addc_u32 s26, s29, s30
	s_waitcnt lgkmcnt(0)
	s_sub_u32 s27, s12, s18
	s_subb_u32 s19, s26, s19
	s_add_u32 s30, s27, 0x400
	s_addc_u32 s31, s19, 0
	s_delay_alu instid0(SALU_CYCLE_1) | instskip(NEXT) | instid1(VALU_DEP_1)
	v_cmp_lt_u64_e64 s19, s[4:5], s[30:31]
	s_and_b32 s19, s19, exec_lo
	s_cselect_b32 s27, s4, s30
	s_or_b32 s19, s2, s25
	s_mov_b32 s25, -1
	s_cmp_lg_u32 s19, -1
	s_cbranch_scc1 .LBB650_3
; %bb.2:
	s_sub_u32 s14, s28, s14
	s_subb_u32 s15, s29, s15
	s_delay_alu instid0(SALU_CYCLE_1) | instskip(NEXT) | instid1(VALU_DEP_1)
	v_cmp_lt_u64_e64 s18, s[4:5], s[14:15]
	s_and_b32 s18, s18, exec_lo
	s_cselect_b32 s18, s4, s14
	s_add_u32 s6, s14, s6
	s_addc_u32 s7, s15, s7
	s_delay_alu instid0(SALU_CYCLE_1) | instskip(NEXT) | instid1(VALU_DEP_1)
	v_cmp_lt_u64_e64 s7, s[4:5], s[6:7]
	s_and_b32 s7, s7, exec_lo
	s_cselect_b32 s27, s4, s6
.LBB650_3:
	s_lshr_b64 s[28:29], s[4:5], 10
	v_mov_b32_e32 v2, 0
	s_cmp_lg_u64 s[28:29], s[2:3]
	v_lshlrev_b32_e32 v11, 3, v0
	s_cselect_b32 s19, -1, 0
	s_sub_u32 s6, s12, s16
	s_subb_u32 s7, s26, s17
	global_load_b32 v1, v2, s[22:23] offset:14
	v_cmp_lt_u64_e64 s12, s[4:5], s[6:7]
	s_delay_alu instid0(VALU_DEP_1)
	s_and_b32 s12, s12, exec_lo
	s_cselect_b32 s30, s4, s6
	s_cselect_b32 s31, s5, s7
	s_lshl_b64 s[14:15], s[16:17], 3
	s_sub_i32 s5, s18, s16
	s_sub_i32 s6, s27, s30
	s_add_u32 s12, s8, s14
	s_addc_u32 s14, s9, s15
	s_lshl_b64 s[16:17], s[30:31], 3
	s_delay_alu instid0(SALU_CYCLE_1) | instskip(SKIP_3) | instid1(SALU_CYCLE_1)
	s_add_u32 s7, s8, s16
	s_addc_u32 s9, s9, s17
	s_cmp_lt_u32 s13, s24
	s_cselect_b32 s8, 12, 18
	s_add_u32 s16, s22, s8
	s_addc_u32 s17, s23, 0
	s_cmp_eq_u64 s[28:29], s[2:3]
	global_load_u16 v3, v2, s[16:17]
	s_waitcnt vmcnt(1)
	v_lshrrev_b32_e32 v4, 16, v1
	v_and_b32_e32 v1, 0xffff, v1
	s_delay_alu instid0(VALU_DEP_1) | instskip(SKIP_1) | instid1(VALU_DEP_1)
	v_mul_lo_u32 v1, v1, v4
	s_waitcnt vmcnt(0)
	v_mul_lo_u32 v7, v1, v3
	s_cbranch_scc1 .LBB650_5
; %bb.4:
	v_subrev_nc_u32_e32 v1, s5, v0
	v_add_co_u32 v8, s2, s12, v11
	s_delay_alu instid0(VALU_DEP_1) | instskip(NEXT) | instid1(VALU_DEP_3)
	v_add_co_ci_u32_e64 v9, null, s14, 0, s2
	v_lshlrev_b64 v[3:4], 3, v[1:2]
	v_add_nc_u32_e32 v1, v7, v0
	s_add_i32 s8, s5, s6
	s_delay_alu instid0(VALU_DEP_1) | instskip(NEXT) | instid1(VALU_DEP_3)
	v_lshlrev_b64 v[5:6], 3, v[1:2]
	v_add_co_u32 v3, s2, s7, v3
	s_delay_alu instid0(VALU_DEP_1) | instskip(SKIP_1) | instid1(VALU_DEP_4)
	v_add_co_ci_u32_e64 v4, s2, s9, v4, s2
	v_cmp_gt_u32_e64 s2, s5, v0
	v_add_co_u32 v5, vcc_lo, s12, v5
	v_add_co_ci_u32_e32 v6, vcc_lo, s14, v6, vcc_lo
	v_cmp_gt_u32_e32 vcc_lo, s5, v1
	v_subrev_nc_u32_e32 v1, s5, v1
	s_delay_alu instid0(VALU_DEP_1) | instskip(NEXT) | instid1(VALU_DEP_1)
	v_lshlrev_b64 v[1:2], 3, v[1:2]
	v_add_co_u32 v10, s3, s7, v1
	s_delay_alu instid0(VALU_DEP_1) | instskip(SKIP_2) | instid1(VALU_DEP_3)
	v_add_co_ci_u32_e64 v12, s3, s9, v2, s3
	v_cndmask_b32_e64 v2, v4, v9, s2
	v_cndmask_b32_e64 v1, v3, v8, s2
	v_dual_cndmask_b32 v3, v10, v5 :: v_dual_cndmask_b32 v4, v12, v6
	global_load_b64 v[1:2], v[1:2], off
	global_load_b64 v[5:6], v[3:4], off
	s_cbranch_execz .LBB650_6
	s_branch .LBB650_11
.LBB650_5:
                                        ; implicit-def: $vgpr5_vgpr6
                                        ; implicit-def: $sgpr8
                                        ; implicit-def: $vgpr1_vgpr2_vgpr3_vgpr4
	s_and_not1_b32 vcc_lo, exec_lo, s25
	s_cbranch_vccnz .LBB650_11
.LBB650_6:
	s_add_i32 s8, s5, s6
	s_mov_b32 s2, exec_lo
                                        ; implicit-def: $vgpr1_vgpr2
	v_cmpx_gt_u32_e64 s8, v0
	s_cbranch_execz .LBB650_8
; %bb.7:
	s_waitcnt vmcnt(1)
	v_subrev_nc_u32_e32 v1, s5, v0
	v_add_co_u32 v3, s3, s12, v11
	v_mov_b32_e32 v2, 0
	v_add_co_ci_u32_e64 v4, null, s14, 0, s3
	s_delay_alu instid0(VALU_DEP_2) | instskip(NEXT) | instid1(VALU_DEP_1)
	v_lshlrev_b64 v[1:2], 3, v[1:2]
	v_add_co_u32 v1, vcc_lo, s7, v1
	s_delay_alu instid0(VALU_DEP_2) | instskip(SKIP_1) | instid1(VALU_DEP_2)
	v_add_co_ci_u32_e32 v2, vcc_lo, s9, v2, vcc_lo
	v_cmp_gt_u32_e32 vcc_lo, s5, v0
	v_dual_cndmask_b32 v1, v1, v3 :: v_dual_cndmask_b32 v2, v2, v4
	global_load_b64 v[1:2], v[1:2], off
.LBB650_8:
	s_or_b32 exec_lo, exec_lo, s2
	v_add_nc_u32_e32 v7, v7, v0
	s_mov_b32 s3, exec_lo
	s_delay_alu instid0(VALU_DEP_1)
	v_cmpx_gt_u32_e64 s8, v7
                                        ; implicit-def: $vgpr3_vgpr4_vgpr5_vgpr6
	s_cbranch_execz .LBB650_10
; %bb.9:
	v_mov_b32_e32 v8, 0
	s_delay_alu instid0(VALU_DEP_1) | instskip(SKIP_1) | instid1(VALU_DEP_1)
	v_lshlrev_b64 v[3:4], 3, v[7:8]
	s_waitcnt vmcnt(0)
	v_add_co_u32 v5, vcc_lo, s12, v3
	s_delay_alu instid0(VALU_DEP_2) | instskip(SKIP_2) | instid1(VALU_DEP_1)
	v_add_co_ci_u32_e32 v6, vcc_lo, s14, v4, vcc_lo
	v_cmp_gt_u32_e32 vcc_lo, s5, v7
	v_subrev_nc_u32_e32 v7, s5, v7
	v_lshlrev_b64 v[3:4], 3, v[7:8]
	s_delay_alu instid0(VALU_DEP_1) | instskip(NEXT) | instid1(VALU_DEP_1)
	v_add_co_u32 v3, s2, s7, v3
	v_add_co_ci_u32_e64 v4, s2, s9, v4, s2
	s_delay_alu instid0(VALU_DEP_1)
	v_dual_cndmask_b32 v3, v3, v5 :: v_dual_cndmask_b32 v4, v4, v6
	global_load_b64 v[5:6], v[3:4], off
.LBB650_10:
	s_or_b32 exec_lo, exec_lo, s3
.LBB650_11:
	s_load_b128 s[12:15], s[0:1], 0x40
	v_lshlrev_b32_e32 v12, 1, v0
	s_mov_b32 s1, exec_lo
	s_waitcnt vmcnt(0)
	ds_store_2addr_stride64_b64 v11, v[1:2], v[5:6] offset1:8
	s_waitcnt lgkmcnt(0)
	s_barrier
	v_min_u32_e32 v9, s8, v12
	buffer_gl0_inv
	v_sub_nc_u32_e64 v13, v9, s6 clamp
	v_min_u32_e32 v10, s5, v9
	s_delay_alu instid0(VALU_DEP_1)
	v_cmpx_lt_u32_e64 v13, v10
	s_cbranch_execz .LBB650_21
; %bb.12:
	v_lshlrev_b32_e32 v3, 3, v9
	v_cmp_gt_i64_e64 s9, s[12:13], 0
	s_lshl_b64 s[2:3], s[12:13], 1
	s_mov_b32 s16, 0
	s_delay_alu instid0(VALU_DEP_2)
	v_lshl_add_u32 v14, s5, 3, v3
	s_branch .LBB650_15
.LBB650_13:                             ;   in Loop: Header=BB650_15 Depth=1
	s_set_inst_prefetch_distance 0x2
	s_or_b32 exec_lo, exec_lo, s17
.LBB650_14:                             ;   in Loop: Header=BB650_15 Depth=1
	s_delay_alu instid0(VALU_DEP_1) | instskip(SKIP_1) | instid1(VALU_DEP_2)
	v_add_nc_u32_e32 v3, 1, v15
	v_cndmask_b32_e64 v10, v10, v15, s18
	v_cndmask_b32_e64 v13, v3, v13, s18
	s_delay_alu instid0(VALU_DEP_1) | instskip(SKIP_1) | instid1(SALU_CYCLE_1)
	v_cmp_ge_u32_e32 vcc_lo, v13, v10
	s_or_b32 s16, vcc_lo, s16
	s_and_not1_b32 exec_lo, exec_lo, s16
	s_cbranch_execz .LBB650_20
.LBB650_15:                             ; =>This Loop Header: Depth=1
                                        ;     Child Loop BB650_18 Depth 2
	v_add_nc_u32_e32 v3, v10, v13
	s_and_not1_b32 vcc_lo, exec_lo, s9
	s_mov_b32 s18, 0
	s_delay_alu instid0(VALU_DEP_1)
	v_lshrrev_b32_e32 v15, 1, v3
	s_cbranch_vccnz .LBB650_14
; %bb.16:                               ;   in Loop: Header=BB650_15 Depth=1
	s_delay_alu instid0(VALU_DEP_1) | instskip(SKIP_3) | instid1(VALU_DEP_2)
	v_not_b32_e32 v3, v15
	v_lshlrev_b32_e32 v4, 3, v15
	s_mov_b32 s17, 0
	s_mov_b64 s[6:7], s[12:13]
                                        ; implicit-def: $sgpr18
                                        ; implicit-def: $sgpr22
                                        ; implicit-def: $sgpr23
                                        ; implicit-def: $sgpr24
                                        ; implicit-def: $sgpr25
	v_lshl_add_u32 v3, v3, 3, v14
	ds_load_b64 v[7:8], v3
	ds_load_b64 v[16:17], v4
	s_waitcnt lgkmcnt(1)
	v_mul_lo_u32 v18, s2, v8
	v_mul_lo_u32 v19, s3, v7
	v_mad_u64_u32 v[3:4], null, s2, v7, s[14:15]
	s_waitcnt lgkmcnt(0)
	v_mul_lo_u32 v17, s2, v17
	v_mul_lo_u32 v20, s3, v16
	v_mad_u64_u32 v[7:8], null, s2, v16, s[14:15]
	s_delay_alu instid0(VALU_DEP_4) | instskip(NEXT) | instid1(VALU_DEP_2)
	v_add3_u32 v4, v19, v4, v18
	v_add3_u32 v8, v20, v8, v17
	s_set_inst_prefetch_distance 0x1
	s_branch .LBB650_18
	.p2align	6
.LBB650_17:                             ;   in Loop: Header=BB650_18 Depth=2
	s_or_b32 exec_lo, exec_lo, s0
	s_delay_alu instid0(SALU_CYCLE_1) | instskip(NEXT) | instid1(SALU_CYCLE_1)
	s_and_b32 s0, exec_lo, s22
	s_or_b32 s17, s0, s17
	s_and_not1_b32 s0, s25, exec_lo
	s_and_b32 s25, s23, exec_lo
	s_and_not1_b32 s18, s18, exec_lo
	s_and_b32 s26, s24, exec_lo
	s_or_b32 s25, s0, s25
	s_or_b32 s18, s18, s26
	s_and_not1_b32 exec_lo, exec_lo, s17
	s_cbranch_execz .LBB650_13
.LBB650_18:                             ;   Parent Loop BB650_15 Depth=1
                                        ; =>  This Inner Loop Header: Depth=2
	global_load_u16 v16, v[3:4], off
	global_load_u16 v17, v[7:8], off
	s_and_not1_b32 s24, s24, exec_lo
	s_and_not1_b32 s23, s23, exec_lo
	s_or_b32 s22, s22, exec_lo
	s_waitcnt vmcnt(0)
	v_cmp_le_i16_e32 vcc_lo, v16, v17
	v_cmp_lt_i16_e64 s0, v16, v17
	s_and_b32 s26, vcc_lo, s25
	s_delay_alu instid0(VALU_DEP_1) | instid1(SALU_CYCLE_1)
	s_or_b32 s26, s0, s26
	s_delay_alu instid0(SALU_CYCLE_1) | instskip(NEXT) | instid1(SALU_CYCLE_1)
	s_and_b32 s0, s26, exec_lo
	s_or_b32 s24, s24, s0
	s_mov_b32 s0, exec_lo
	v_cmpx_eq_u16_e64 v16, v17
	s_cbranch_execz .LBB650_17
; %bb.19:                               ;   in Loop: Header=BB650_18 Depth=2
	s_add_u32 s6, s6, -1
	s_addc_u32 s7, s7, -1
	v_add_co_u32 v3, vcc_lo, v3, 2
	v_add_co_ci_u32_e32 v4, vcc_lo, 0, v4, vcc_lo
	s_cmp_eq_u64 s[6:7], 0
	v_add_co_u32 v7, vcc_lo, v7, 2
	s_cselect_b32 s25, -1, 0
	v_add_co_ci_u32_e32 v8, vcc_lo, 0, v8, vcc_lo
	s_and_not1_b32 s23, s23, exec_lo
	s_and_b32 s26, s26, exec_lo
	s_and_not1_b32 s22, s22, exec_lo
	s_and_b32 s25, s25, exec_lo
	s_and_not1_b32 s24, s24, exec_lo
	s_or_b32 s23, s23, s26
	s_or_b32 s22, s22, s25
                                        ; implicit-def: $sgpr25
	s_branch .LBB650_17
.LBB650_20:
	s_or_b32 exec_lo, exec_lo, s16
.LBB650_21:
	s_delay_alu instid0(SALU_CYCLE_1) | instskip(SKIP_2) | instid1(VALU_DEP_2)
	s_or_b32 exec_lo, exec_lo, s1
	v_sub_nc_u32_e32 v3, v9, v13
	v_cmp_ge_u32_e32 vcc_lo, s5, v13
	v_add_nc_u32_e32 v14, s5, v3
	s_delay_alu instid0(VALU_DEP_1) | instskip(NEXT) | instid1(VALU_DEP_1)
	v_cmp_ge_u32_e64 s0, s8, v14
	s_or_b32 s0, vcc_lo, s0
	s_delay_alu instid0(SALU_CYCLE_1)
	s_and_saveexec_b32 s1, s0
	s_cbranch_execz .LBB650_45
; %bb.22:
	v_cmp_le_u32_e32 vcc_lo, s5, v13
	s_mov_b32 s2, exec_lo
                                        ; implicit-def: $vgpr3_vgpr4
	v_cmpx_gt_u32_e64 s5, v13
	s_cbranch_execz .LBB650_24
; %bb.23:
	v_lshlrev_b32_e32 v1, 3, v13
	ds_load_b64 v[3:4], v1
.LBB650_24:
	s_or_b32 exec_lo, exec_lo, s2
	v_cmp_le_u32_e64 s6, s8, v14
	s_mov_b32 s2, exec_lo
                                        ; implicit-def: $vgpr7_vgpr8
	v_cmpx_gt_u32_e64 s8, v14
	s_cbranch_execz .LBB650_26
; %bb.25:
	v_lshlrev_b32_e32 v1, 3, v14
	ds_load_b64 v[7:8], v1
.LBB650_26:
	s_or_b32 exec_lo, exec_lo, s2
	v_cmp_gt_i64_e64 s7, s[12:13], 0
	s_or_b32 s2, vcc_lo, s6
	s_mov_b32 s0, -1
	s_xor_b32 s2, s2, -1
	s_delay_alu instid0(SALU_CYCLE_1)
	s_and_saveexec_b32 s9, s2
	s_cbranch_execz .LBB650_34
; %bb.27:
	s_and_not1_b32 vcc_lo, exec_lo, s7
	s_cbranch_vccnz .LBB650_33
; %bb.28:
	s_waitcnt lgkmcnt(0)
	v_mul_lo_u32 v9, v8, s12
	v_mul_lo_u32 v10, v7, s13
	v_mad_u64_u32 v[1:2], null, v7, s12, 0
	v_mul_lo_u32 v15, v4, s12
	v_mul_lo_u32 v16, v3, s13
	v_mad_u64_u32 v[5:6], null, v3, s12, 0
	s_mov_b32 s16, 0
	s_mov_b64 s[2:3], s[12:13]
	s_delay_alu instid0(VALU_DEP_4) | instskip(NEXT) | instid1(VALU_DEP_2)
	v_add3_u32 v2, v2, v10, v9
                                        ; implicit-def: $sgpr17
                                        ; implicit-def: $sgpr18
                                        ; implicit-def: $sgpr22
                                        ; implicit-def: $sgpr23
                                        ; implicit-def: $sgpr24
	v_add3_u32 v6, v6, v16, v15
	s_delay_alu instid0(VALU_DEP_2) | instskip(NEXT) | instid1(VALU_DEP_2)
	v_lshlrev_b64 v[1:2], 1, v[1:2]
	v_lshlrev_b64 v[5:6], 1, v[5:6]
	s_delay_alu instid0(VALU_DEP_2) | instskip(NEXT) | instid1(VALU_DEP_3)
	v_add_co_u32 v1, vcc_lo, s14, v1
	v_add_co_ci_u32_e32 v2, vcc_lo, s15, v2, vcc_lo
	s_delay_alu instid0(VALU_DEP_3) | instskip(NEXT) | instid1(VALU_DEP_4)
	v_add_co_u32 v5, vcc_lo, s14, v5
	v_add_co_ci_u32_e32 v6, vcc_lo, s15, v6, vcc_lo
	s_set_inst_prefetch_distance 0x1
	s_branch .LBB650_30
	.p2align	6
.LBB650_29:                             ;   in Loop: Header=BB650_30 Depth=1
	s_or_b32 exec_lo, exec_lo, s0
	s_delay_alu instid0(SALU_CYCLE_1) | instskip(NEXT) | instid1(SALU_CYCLE_1)
	s_and_b32 s0, exec_lo, s18
	s_or_b32 s16, s0, s16
	s_and_not1_b32 s0, s24, exec_lo
	s_and_b32 s24, s23, exec_lo
	s_and_not1_b32 s17, s17, exec_lo
	s_and_b32 s25, s22, exec_lo
	s_or_b32 s24, s0, s24
	s_or_b32 s17, s17, s25
	s_and_not1_b32 exec_lo, exec_lo, s16
	s_cbranch_execz .LBB650_32
.LBB650_30:                             ; =>This Inner Loop Header: Depth=1
	global_load_u16 v9, v[1:2], off
	global_load_u16 v10, v[5:6], off
	s_and_not1_b32 s22, s22, exec_lo
	s_and_not1_b32 s23, s23, exec_lo
	s_or_b32 s18, s18, exec_lo
	s_waitcnt vmcnt(0)
	v_cmp_le_i16_e32 vcc_lo, v9, v10
	v_cmp_lt_i16_e64 s0, v9, v10
	s_and_b32 s25, vcc_lo, s24
	s_delay_alu instid0(VALU_DEP_1) | instid1(SALU_CYCLE_1)
	s_or_b32 s25, s0, s25
	s_delay_alu instid0(SALU_CYCLE_1) | instskip(NEXT) | instid1(SALU_CYCLE_1)
	s_and_b32 s0, s25, exec_lo
	s_or_b32 s22, s22, s0
	s_mov_b32 s0, exec_lo
	v_cmpx_eq_u16_e64 v9, v10
	s_cbranch_execz .LBB650_29
; %bb.31:                               ;   in Loop: Header=BB650_30 Depth=1
	s_add_u32 s2, s2, -1
	s_addc_u32 s3, s3, -1
	v_add_co_u32 v1, vcc_lo, v1, 2
	s_cmp_eq_u64 s[2:3], 0
	v_add_co_ci_u32_e32 v2, vcc_lo, 0, v2, vcc_lo
	v_add_co_u32 v5, vcc_lo, v5, 2
	s_cselect_b32 s24, -1, 0
	v_add_co_ci_u32_e32 v6, vcc_lo, 0, v6, vcc_lo
	s_and_not1_b32 s23, s23, exec_lo
	s_and_b32 s25, s25, exec_lo
	s_and_not1_b32 s18, s18, exec_lo
	s_and_b32 s24, s24, exec_lo
	s_or_b32 s23, s23, s25
	s_and_not1_b32 s22, s22, exec_lo
	s_or_b32 s18, s18, s24
                                        ; implicit-def: $sgpr24
	s_branch .LBB650_29
.LBB650_32:
	s_set_inst_prefetch_distance 0x2
	s_or_b32 exec_lo, exec_lo, s16
	s_xor_b32 s0, s17, -1
.LBB650_33:
	s_and_not1_b32 s2, s6, exec_lo
	s_and_b32 s0, s0, exec_lo
	s_delay_alu instid0(SALU_CYCLE_1)
	s_or_b32 s6, s2, s0
.LBB650_34:
	s_or_b32 exec_lo, exec_lo, s9
	v_mov_b32_e32 v1, s5
	v_cndmask_b32_e64 v2, v14, v13, s6
	s_mov_b32 s2, exec_lo
	s_delay_alu instid0(VALU_DEP_2) | instskip(NEXT) | instid1(VALU_DEP_2)
	v_cndmask_b32_e64 v1, s8, v1, s6
	v_add_nc_u32_e32 v15, 1, v2
	s_waitcnt lgkmcnt(0)
	v_cndmask_b32_e64 v2, v8, v4, s6
	s_delay_alu instid0(VALU_DEP_3) | instskip(NEXT) | instid1(VALU_DEP_3)
	v_add_nc_u32_e32 v1, -1, v1
	v_cndmask_b32_e64 v14, v15, v14, s6
	s_delay_alu instid0(VALU_DEP_2) | instskip(NEXT) | instid1(VALU_DEP_1)
	v_min_u32_e32 v1, v15, v1
	v_lshlrev_b32_e32 v1, 3, v1
	ds_load_b64 v[9:10], v1
	v_cndmask_b32_e64 v1, v7, v3, s6
	s_waitcnt lgkmcnt(0)
	v_cndmask_b32_e64 v6, v4, v10, s6
	v_cndmask_b32_e64 v5, v3, v9, s6
	v_cmpx_gt_u32_e64 s8, v14
	s_cbranch_execz .LBB650_44
; %bb.35:
	v_cndmask_b32_e64 v13, v13, v15, s6
	v_cndmask_b32_e64 v4, v10, v8, s6
	;; [unrolled: 1-line block ×3, first 2 shown]
	s_mov_b32 s3, exec_lo
	s_delay_alu instid0(VALU_DEP_3)
	v_cmpx_gt_u32_e64 s5, v13
	s_cbranch_execz .LBB650_43
; %bb.36:
	s_and_not1_b32 vcc_lo, exec_lo, s7
	s_cbranch_vccnz .LBB650_42
; %bb.37:
	v_mul_lo_u32 v13, v4, s12
	v_mul_lo_u32 v14, v3, s13
	v_mad_u64_u32 v[7:8], null, v3, s12, 0
	v_mul_lo_u32 v15, v6, s12
	v_mul_lo_u32 v16, v5, s13
	v_mad_u64_u32 v[9:10], null, v5, s12, 0
	s_mov_b32 s5, 0
                                        ; implicit-def: $sgpr6
                                        ; implicit-def: $sgpr7
                                        ; implicit-def: $sgpr8
                                        ; implicit-def: $sgpr9
	s_delay_alu instid0(VALU_DEP_4) | instskip(NEXT) | instid1(VALU_DEP_2)
	v_add3_u32 v8, v8, v14, v13
	v_add3_u32 v10, v10, v16, v15
	s_delay_alu instid0(VALU_DEP_2) | instskip(NEXT) | instid1(VALU_DEP_2)
	v_lshlrev_b64 v[7:8], 1, v[7:8]
	v_lshlrev_b64 v[9:10], 1, v[9:10]
	s_delay_alu instid0(VALU_DEP_2) | instskip(NEXT) | instid1(VALU_DEP_3)
	v_add_co_u32 v7, vcc_lo, s14, v7
	v_add_co_ci_u32_e32 v8, vcc_lo, s15, v8, vcc_lo
	s_delay_alu instid0(VALU_DEP_3) | instskip(NEXT) | instid1(VALU_DEP_4)
	v_add_co_u32 v9, vcc_lo, s14, v9
	v_add_co_ci_u32_e32 v10, vcc_lo, s15, v10, vcc_lo
                                        ; implicit-def: $sgpr14
	s_set_inst_prefetch_distance 0x1
	s_branch .LBB650_39
	.p2align	6
.LBB650_38:                             ;   in Loop: Header=BB650_39 Depth=1
	s_or_b32 exec_lo, exec_lo, s0
	s_delay_alu instid0(SALU_CYCLE_1) | instskip(NEXT) | instid1(SALU_CYCLE_1)
	s_and_b32 s0, exec_lo, s7
	s_or_b32 s5, s0, s5
	s_and_not1_b32 s0, s14, exec_lo
	s_and_b32 s14, s9, exec_lo
	s_and_not1_b32 s6, s6, exec_lo
	s_and_b32 s15, s8, exec_lo
	s_or_b32 s14, s0, s14
	s_or_b32 s6, s6, s15
	s_and_not1_b32 exec_lo, exec_lo, s5
	s_cbranch_execz .LBB650_41
.LBB650_39:                             ; =>This Inner Loop Header: Depth=1
	global_load_u16 v13, v[7:8], off
	global_load_u16 v14, v[9:10], off
	s_and_not1_b32 s8, s8, exec_lo
	s_and_not1_b32 s9, s9, exec_lo
	s_or_b32 s7, s7, exec_lo
	s_waitcnt vmcnt(0)
	v_cmp_le_i16_e32 vcc_lo, v13, v14
	v_cmp_lt_i16_e64 s0, v13, v14
	s_and_b32 s15, vcc_lo, s14
	s_delay_alu instid0(VALU_DEP_1) | instid1(SALU_CYCLE_1)
	s_or_b32 s15, s0, s15
	s_delay_alu instid0(SALU_CYCLE_1) | instskip(NEXT) | instid1(SALU_CYCLE_1)
	s_and_b32 s0, s15, exec_lo
	s_or_b32 s8, s8, s0
	s_mov_b32 s0, exec_lo
	v_cmpx_eq_u16_e64 v13, v14
	s_cbranch_execz .LBB650_38
; %bb.40:                               ;   in Loop: Header=BB650_39 Depth=1
	s_add_u32 s12, s12, -1
	s_addc_u32 s13, s13, -1
	v_add_co_u32 v7, vcc_lo, v7, 2
	s_cmp_eq_u64 s[12:13], 0
	v_add_co_ci_u32_e32 v8, vcc_lo, 0, v8, vcc_lo
	v_add_co_u32 v9, vcc_lo, v9, 2
	s_cselect_b32 s14, -1, 0
	v_add_co_ci_u32_e32 v10, vcc_lo, 0, v10, vcc_lo
	s_and_not1_b32 s9, s9, exec_lo
	s_and_b32 s15, s15, exec_lo
	s_and_not1_b32 s7, s7, exec_lo
	s_and_b32 s14, s14, exec_lo
	s_or_b32 s9, s9, s15
	s_and_not1_b32 s8, s8, exec_lo
	s_or_b32 s7, s7, s14
                                        ; implicit-def: $sgpr14
	s_branch .LBB650_38
.LBB650_41:
	s_set_inst_prefetch_distance 0x2
	s_or_b32 exec_lo, exec_lo, s5
	v_cndmask_b32_e64 v6, v6, v4, s6
	v_cndmask_b32_e64 v5, v5, v3, s6
.LBB650_42:
	s_delay_alu instid0(VALU_DEP_1)
	v_dual_mov_b32 v3, v5 :: v_dual_mov_b32 v4, v6
.LBB650_43:
	s_or_b32 exec_lo, exec_lo, s3
	s_delay_alu instid0(VALU_DEP_1)
	v_dual_mov_b32 v6, v4 :: v_dual_mov_b32 v5, v3
.LBB650_44:
	s_or_b32 exec_lo, exec_lo, s2
.LBB650_45:
	s_delay_alu instid0(SALU_CYCLE_1) | instskip(SKIP_4) | instid1(VALU_DEP_3)
	s_or_b32 exec_lo, exec_lo, s1
	v_lshrrev_b32_e32 v3, 1, v0
	v_or_b32_e32 v7, 0x200, v0
	v_lshrrev_b32_e32 v4, 2, v0
	s_lshl_b64 s[0:1], s[20:21], 3
	v_and_b32_e32 v3, 0xf8, v3
	s_delay_alu instid0(VALU_DEP_3) | instskip(NEXT) | instid1(VALU_DEP_3)
	v_lshrrev_b32_e32 v8, 2, v7
	v_and_b32_e32 v4, 0x78, v4
	s_add_u32 s0, s10, s0
	s_barrier
	v_lshl_add_u32 v3, v12, 3, v3
	v_and_b32_e32 v8, 0xf8, v8
	buffer_gl0_inv
	s_barrier
	buffer_gl0_inv
	s_addc_u32 s1, s11, s1
	ds_store_2addr_b64 v3, v[1:2], v[5:6] offset1:1
	v_add_co_u32 v1, s0, s0, v11
	v_add_nc_u32_e32 v5, v11, v4
	v_add_nc_u32_e32 v6, v11, v8
	v_add_co_ci_u32_e64 v2, null, s1, 0, s0
	s_and_b32 vcc_lo, exec_lo, s19
	s_mov_b32 s0, 0
	s_waitcnt lgkmcnt(0)
	s_cbranch_vccz .LBB650_47
; %bb.46:
	s_barrier
	buffer_gl0_inv
	ds_load_b64 v[8:9], v5
	ds_load_b64 v[3:4], v6 offset:4096
	s_mov_b32 s0, -1
	s_waitcnt lgkmcnt(1)
	global_store_b64 v[1:2], v[8:9], off
	s_cbranch_execz .LBB650_48
	s_branch .LBB650_51
.LBB650_47:
                                        ; implicit-def: $vgpr3_vgpr4
.LBB650_48:
	s_waitcnt lgkmcnt(0)
	s_waitcnt_vscnt null, 0x0
	s_barrier
	buffer_gl0_inv
	ds_load_b64 v[3:4], v6 offset:4096
	s_sub_i32 s0, s4, s20
	s_mov_b32 s1, exec_lo
	v_cmpx_gt_u32_e64 s0, v0
	s_cbranch_execz .LBB650_50
; %bb.49:
	ds_load_b64 v[5:6], v5
	s_waitcnt lgkmcnt(0)
	global_store_b64 v[1:2], v[5:6], off
.LBB650_50:
	s_or_b32 exec_lo, exec_lo, s1
	v_cmp_gt_u32_e64 s0, s0, v7
.LBB650_51:
	s_delay_alu instid0(VALU_DEP_1)
	s_and_saveexec_b32 s1, s0
	s_cbranch_execz .LBB650_53
; %bb.52:
	v_add_co_u32 v0, vcc_lo, 0x1000, v1
	v_add_co_ci_u32_e32 v1, vcc_lo, 0, v2, vcc_lo
	s_waitcnt lgkmcnt(0)
	global_store_b64 v[0:1], v[3:4], off
.LBB650_53:
	s_nop 0
	s_sendmsg sendmsg(MSG_DEALLOC_VGPRS)
	s_endpgm
	.section	.rodata,"a",@progbits
	.p2align	6, 0x0
	.amdhsa_kernel _ZN7rocprim17ROCPRIM_400000_NS6detail17trampoline_kernelINS0_14default_configENS1_38merge_sort_block_merge_config_selectorIlNS0_10empty_typeEEEZZNS1_27merge_sort_block_merge_implIS3_PlPS5_mZN2at6native12_GLOBAL__N_124unique_dim_cuda_templateIsEESt5tupleIJNSA_6TensorESF_SF_EERKSF_lbbbEUlllE_EE10hipError_tT0_T1_T2_jT3_P12ihipStream_tbPNSt15iterator_traitsISL_E10value_typeEPNSR_ISM_E10value_typeEPSN_NS1_7vsmem_tEENKUlT_SL_SM_SN_E_clIS8_S8_S9_S9_EESK_S10_SL_SM_SN_EUlS10_E0_NS1_11comp_targetILNS1_3genE9ELNS1_11target_archE1100ELNS1_3gpuE3ELNS1_3repE0EEENS1_38merge_mergepath_config_static_selectorELNS0_4arch9wavefront6targetE0EEEvSM_
		.amdhsa_group_segment_fixed_size 8448
		.amdhsa_private_segment_fixed_size 0
		.amdhsa_kernarg_size 344
		.amdhsa_user_sgpr_count 13
		.amdhsa_user_sgpr_dispatch_ptr 0
		.amdhsa_user_sgpr_queue_ptr 0
		.amdhsa_user_sgpr_kernarg_segment_ptr 1
		.amdhsa_user_sgpr_dispatch_id 0
		.amdhsa_user_sgpr_private_segment_size 0
		.amdhsa_wavefront_size32 1
		.amdhsa_uses_dynamic_stack 0
		.amdhsa_enable_private_segment 0
		.amdhsa_system_sgpr_workgroup_id_x 1
		.amdhsa_system_sgpr_workgroup_id_y 1
		.amdhsa_system_sgpr_workgroup_id_z 1
		.amdhsa_system_sgpr_workgroup_info 0
		.amdhsa_system_vgpr_workitem_id 0
		.amdhsa_next_free_vgpr 21
		.amdhsa_next_free_sgpr 32
		.amdhsa_reserve_vcc 1
		.amdhsa_float_round_mode_32 0
		.amdhsa_float_round_mode_16_64 0
		.amdhsa_float_denorm_mode_32 3
		.amdhsa_float_denorm_mode_16_64 3
		.amdhsa_dx10_clamp 1
		.amdhsa_ieee_mode 1
		.amdhsa_fp16_overflow 0
		.amdhsa_workgroup_processor_mode 1
		.amdhsa_memory_ordered 1
		.amdhsa_forward_progress 0
		.amdhsa_shared_vgpr_count 0
		.amdhsa_exception_fp_ieee_invalid_op 0
		.amdhsa_exception_fp_denorm_src 0
		.amdhsa_exception_fp_ieee_div_zero 0
		.amdhsa_exception_fp_ieee_overflow 0
		.amdhsa_exception_fp_ieee_underflow 0
		.amdhsa_exception_fp_ieee_inexact 0
		.amdhsa_exception_int_div_zero 0
	.end_amdhsa_kernel
	.section	.text._ZN7rocprim17ROCPRIM_400000_NS6detail17trampoline_kernelINS0_14default_configENS1_38merge_sort_block_merge_config_selectorIlNS0_10empty_typeEEEZZNS1_27merge_sort_block_merge_implIS3_PlPS5_mZN2at6native12_GLOBAL__N_124unique_dim_cuda_templateIsEESt5tupleIJNSA_6TensorESF_SF_EERKSF_lbbbEUlllE_EE10hipError_tT0_T1_T2_jT3_P12ihipStream_tbPNSt15iterator_traitsISL_E10value_typeEPNSR_ISM_E10value_typeEPSN_NS1_7vsmem_tEENKUlT_SL_SM_SN_E_clIS8_S8_S9_S9_EESK_S10_SL_SM_SN_EUlS10_E0_NS1_11comp_targetILNS1_3genE9ELNS1_11target_archE1100ELNS1_3gpuE3ELNS1_3repE0EEENS1_38merge_mergepath_config_static_selectorELNS0_4arch9wavefront6targetE0EEEvSM_,"axG",@progbits,_ZN7rocprim17ROCPRIM_400000_NS6detail17trampoline_kernelINS0_14default_configENS1_38merge_sort_block_merge_config_selectorIlNS0_10empty_typeEEEZZNS1_27merge_sort_block_merge_implIS3_PlPS5_mZN2at6native12_GLOBAL__N_124unique_dim_cuda_templateIsEESt5tupleIJNSA_6TensorESF_SF_EERKSF_lbbbEUlllE_EE10hipError_tT0_T1_T2_jT3_P12ihipStream_tbPNSt15iterator_traitsISL_E10value_typeEPNSR_ISM_E10value_typeEPSN_NS1_7vsmem_tEENKUlT_SL_SM_SN_E_clIS8_S8_S9_S9_EESK_S10_SL_SM_SN_EUlS10_E0_NS1_11comp_targetILNS1_3genE9ELNS1_11target_archE1100ELNS1_3gpuE3ELNS1_3repE0EEENS1_38merge_mergepath_config_static_selectorELNS0_4arch9wavefront6targetE0EEEvSM_,comdat
.Lfunc_end650:
	.size	_ZN7rocprim17ROCPRIM_400000_NS6detail17trampoline_kernelINS0_14default_configENS1_38merge_sort_block_merge_config_selectorIlNS0_10empty_typeEEEZZNS1_27merge_sort_block_merge_implIS3_PlPS5_mZN2at6native12_GLOBAL__N_124unique_dim_cuda_templateIsEESt5tupleIJNSA_6TensorESF_SF_EERKSF_lbbbEUlllE_EE10hipError_tT0_T1_T2_jT3_P12ihipStream_tbPNSt15iterator_traitsISL_E10value_typeEPNSR_ISM_E10value_typeEPSN_NS1_7vsmem_tEENKUlT_SL_SM_SN_E_clIS8_S8_S9_S9_EESK_S10_SL_SM_SN_EUlS10_E0_NS1_11comp_targetILNS1_3genE9ELNS1_11target_archE1100ELNS1_3gpuE3ELNS1_3repE0EEENS1_38merge_mergepath_config_static_selectorELNS0_4arch9wavefront6targetE0EEEvSM_, .Lfunc_end650-_ZN7rocprim17ROCPRIM_400000_NS6detail17trampoline_kernelINS0_14default_configENS1_38merge_sort_block_merge_config_selectorIlNS0_10empty_typeEEEZZNS1_27merge_sort_block_merge_implIS3_PlPS5_mZN2at6native12_GLOBAL__N_124unique_dim_cuda_templateIsEESt5tupleIJNSA_6TensorESF_SF_EERKSF_lbbbEUlllE_EE10hipError_tT0_T1_T2_jT3_P12ihipStream_tbPNSt15iterator_traitsISL_E10value_typeEPNSR_ISM_E10value_typeEPSN_NS1_7vsmem_tEENKUlT_SL_SM_SN_E_clIS8_S8_S9_S9_EESK_S10_SL_SM_SN_EUlS10_E0_NS1_11comp_targetILNS1_3genE9ELNS1_11target_archE1100ELNS1_3gpuE3ELNS1_3repE0EEENS1_38merge_mergepath_config_static_selectorELNS0_4arch9wavefront6targetE0EEEvSM_
                                        ; -- End function
	.section	.AMDGPU.csdata,"",@progbits
; Kernel info:
; codeLenInByte = 2856
; NumSgprs: 34
; NumVgprs: 21
; ScratchSize: 0
; MemoryBound: 0
; FloatMode: 240
; IeeeMode: 1
; LDSByteSize: 8448 bytes/workgroup (compile time only)
; SGPRBlocks: 4
; VGPRBlocks: 2
; NumSGPRsForWavesPerEU: 34
; NumVGPRsForWavesPerEU: 21
; Occupancy: 16
; WaveLimiterHint : 1
; COMPUTE_PGM_RSRC2:SCRATCH_EN: 0
; COMPUTE_PGM_RSRC2:USER_SGPR: 13
; COMPUTE_PGM_RSRC2:TRAP_HANDLER: 0
; COMPUTE_PGM_RSRC2:TGID_X_EN: 1
; COMPUTE_PGM_RSRC2:TGID_Y_EN: 1
; COMPUTE_PGM_RSRC2:TGID_Z_EN: 1
; COMPUTE_PGM_RSRC2:TIDIG_COMP_CNT: 0
	.section	.text._ZN7rocprim17ROCPRIM_400000_NS6detail17trampoline_kernelINS0_14default_configENS1_38merge_sort_block_merge_config_selectorIlNS0_10empty_typeEEEZZNS1_27merge_sort_block_merge_implIS3_PlPS5_mZN2at6native12_GLOBAL__N_124unique_dim_cuda_templateIsEESt5tupleIJNSA_6TensorESF_SF_EERKSF_lbbbEUlllE_EE10hipError_tT0_T1_T2_jT3_P12ihipStream_tbPNSt15iterator_traitsISL_E10value_typeEPNSR_ISM_E10value_typeEPSN_NS1_7vsmem_tEENKUlT_SL_SM_SN_E_clIS8_S8_S9_S9_EESK_S10_SL_SM_SN_EUlS10_E0_NS1_11comp_targetILNS1_3genE8ELNS1_11target_archE1030ELNS1_3gpuE2ELNS1_3repE0EEENS1_38merge_mergepath_config_static_selectorELNS0_4arch9wavefront6targetE0EEEvSM_,"axG",@progbits,_ZN7rocprim17ROCPRIM_400000_NS6detail17trampoline_kernelINS0_14default_configENS1_38merge_sort_block_merge_config_selectorIlNS0_10empty_typeEEEZZNS1_27merge_sort_block_merge_implIS3_PlPS5_mZN2at6native12_GLOBAL__N_124unique_dim_cuda_templateIsEESt5tupleIJNSA_6TensorESF_SF_EERKSF_lbbbEUlllE_EE10hipError_tT0_T1_T2_jT3_P12ihipStream_tbPNSt15iterator_traitsISL_E10value_typeEPNSR_ISM_E10value_typeEPSN_NS1_7vsmem_tEENKUlT_SL_SM_SN_E_clIS8_S8_S9_S9_EESK_S10_SL_SM_SN_EUlS10_E0_NS1_11comp_targetILNS1_3genE8ELNS1_11target_archE1030ELNS1_3gpuE2ELNS1_3repE0EEENS1_38merge_mergepath_config_static_selectorELNS0_4arch9wavefront6targetE0EEEvSM_,comdat
	.globl	_ZN7rocprim17ROCPRIM_400000_NS6detail17trampoline_kernelINS0_14default_configENS1_38merge_sort_block_merge_config_selectorIlNS0_10empty_typeEEEZZNS1_27merge_sort_block_merge_implIS3_PlPS5_mZN2at6native12_GLOBAL__N_124unique_dim_cuda_templateIsEESt5tupleIJNSA_6TensorESF_SF_EERKSF_lbbbEUlllE_EE10hipError_tT0_T1_T2_jT3_P12ihipStream_tbPNSt15iterator_traitsISL_E10value_typeEPNSR_ISM_E10value_typeEPSN_NS1_7vsmem_tEENKUlT_SL_SM_SN_E_clIS8_S8_S9_S9_EESK_S10_SL_SM_SN_EUlS10_E0_NS1_11comp_targetILNS1_3genE8ELNS1_11target_archE1030ELNS1_3gpuE2ELNS1_3repE0EEENS1_38merge_mergepath_config_static_selectorELNS0_4arch9wavefront6targetE0EEEvSM_ ; -- Begin function _ZN7rocprim17ROCPRIM_400000_NS6detail17trampoline_kernelINS0_14default_configENS1_38merge_sort_block_merge_config_selectorIlNS0_10empty_typeEEEZZNS1_27merge_sort_block_merge_implIS3_PlPS5_mZN2at6native12_GLOBAL__N_124unique_dim_cuda_templateIsEESt5tupleIJNSA_6TensorESF_SF_EERKSF_lbbbEUlllE_EE10hipError_tT0_T1_T2_jT3_P12ihipStream_tbPNSt15iterator_traitsISL_E10value_typeEPNSR_ISM_E10value_typeEPSN_NS1_7vsmem_tEENKUlT_SL_SM_SN_E_clIS8_S8_S9_S9_EESK_S10_SL_SM_SN_EUlS10_E0_NS1_11comp_targetILNS1_3genE8ELNS1_11target_archE1030ELNS1_3gpuE2ELNS1_3repE0EEENS1_38merge_mergepath_config_static_selectorELNS0_4arch9wavefront6targetE0EEEvSM_
	.p2align	8
	.type	_ZN7rocprim17ROCPRIM_400000_NS6detail17trampoline_kernelINS0_14default_configENS1_38merge_sort_block_merge_config_selectorIlNS0_10empty_typeEEEZZNS1_27merge_sort_block_merge_implIS3_PlPS5_mZN2at6native12_GLOBAL__N_124unique_dim_cuda_templateIsEESt5tupleIJNSA_6TensorESF_SF_EERKSF_lbbbEUlllE_EE10hipError_tT0_T1_T2_jT3_P12ihipStream_tbPNSt15iterator_traitsISL_E10value_typeEPNSR_ISM_E10value_typeEPSN_NS1_7vsmem_tEENKUlT_SL_SM_SN_E_clIS8_S8_S9_S9_EESK_S10_SL_SM_SN_EUlS10_E0_NS1_11comp_targetILNS1_3genE8ELNS1_11target_archE1030ELNS1_3gpuE2ELNS1_3repE0EEENS1_38merge_mergepath_config_static_selectorELNS0_4arch9wavefront6targetE0EEEvSM_,@function
_ZN7rocprim17ROCPRIM_400000_NS6detail17trampoline_kernelINS0_14default_configENS1_38merge_sort_block_merge_config_selectorIlNS0_10empty_typeEEEZZNS1_27merge_sort_block_merge_implIS3_PlPS5_mZN2at6native12_GLOBAL__N_124unique_dim_cuda_templateIsEESt5tupleIJNSA_6TensorESF_SF_EERKSF_lbbbEUlllE_EE10hipError_tT0_T1_T2_jT3_P12ihipStream_tbPNSt15iterator_traitsISL_E10value_typeEPNSR_ISM_E10value_typeEPSN_NS1_7vsmem_tEENKUlT_SL_SM_SN_E_clIS8_S8_S9_S9_EESK_S10_SL_SM_SN_EUlS10_E0_NS1_11comp_targetILNS1_3genE8ELNS1_11target_archE1030ELNS1_3gpuE2ELNS1_3repE0EEENS1_38merge_mergepath_config_static_selectorELNS0_4arch9wavefront6targetE0EEEvSM_: ; @_ZN7rocprim17ROCPRIM_400000_NS6detail17trampoline_kernelINS0_14default_configENS1_38merge_sort_block_merge_config_selectorIlNS0_10empty_typeEEEZZNS1_27merge_sort_block_merge_implIS3_PlPS5_mZN2at6native12_GLOBAL__N_124unique_dim_cuda_templateIsEESt5tupleIJNSA_6TensorESF_SF_EERKSF_lbbbEUlllE_EE10hipError_tT0_T1_T2_jT3_P12ihipStream_tbPNSt15iterator_traitsISL_E10value_typeEPNSR_ISM_E10value_typeEPSN_NS1_7vsmem_tEENKUlT_SL_SM_SN_E_clIS8_S8_S9_S9_EESK_S10_SL_SM_SN_EUlS10_E0_NS1_11comp_targetILNS1_3genE8ELNS1_11target_archE1030ELNS1_3gpuE2ELNS1_3repE0EEENS1_38merge_mergepath_config_static_selectorELNS0_4arch9wavefront6targetE0EEEvSM_
; %bb.0:
	.section	.rodata,"a",@progbits
	.p2align	6, 0x0
	.amdhsa_kernel _ZN7rocprim17ROCPRIM_400000_NS6detail17trampoline_kernelINS0_14default_configENS1_38merge_sort_block_merge_config_selectorIlNS0_10empty_typeEEEZZNS1_27merge_sort_block_merge_implIS3_PlPS5_mZN2at6native12_GLOBAL__N_124unique_dim_cuda_templateIsEESt5tupleIJNSA_6TensorESF_SF_EERKSF_lbbbEUlllE_EE10hipError_tT0_T1_T2_jT3_P12ihipStream_tbPNSt15iterator_traitsISL_E10value_typeEPNSR_ISM_E10value_typeEPSN_NS1_7vsmem_tEENKUlT_SL_SM_SN_E_clIS8_S8_S9_S9_EESK_S10_SL_SM_SN_EUlS10_E0_NS1_11comp_targetILNS1_3genE8ELNS1_11target_archE1030ELNS1_3gpuE2ELNS1_3repE0EEENS1_38merge_mergepath_config_static_selectorELNS0_4arch9wavefront6targetE0EEEvSM_
		.amdhsa_group_segment_fixed_size 0
		.amdhsa_private_segment_fixed_size 0
		.amdhsa_kernarg_size 88
		.amdhsa_user_sgpr_count 15
		.amdhsa_user_sgpr_dispatch_ptr 0
		.amdhsa_user_sgpr_queue_ptr 0
		.amdhsa_user_sgpr_kernarg_segment_ptr 1
		.amdhsa_user_sgpr_dispatch_id 0
		.amdhsa_user_sgpr_private_segment_size 0
		.amdhsa_wavefront_size32 1
		.amdhsa_uses_dynamic_stack 0
		.amdhsa_enable_private_segment 0
		.amdhsa_system_sgpr_workgroup_id_x 1
		.amdhsa_system_sgpr_workgroup_id_y 0
		.amdhsa_system_sgpr_workgroup_id_z 0
		.amdhsa_system_sgpr_workgroup_info 0
		.amdhsa_system_vgpr_workitem_id 0
		.amdhsa_next_free_vgpr 1
		.amdhsa_next_free_sgpr 1
		.amdhsa_reserve_vcc 0
		.amdhsa_float_round_mode_32 0
		.amdhsa_float_round_mode_16_64 0
		.amdhsa_float_denorm_mode_32 3
		.amdhsa_float_denorm_mode_16_64 3
		.amdhsa_dx10_clamp 1
		.amdhsa_ieee_mode 1
		.amdhsa_fp16_overflow 0
		.amdhsa_workgroup_processor_mode 1
		.amdhsa_memory_ordered 1
		.amdhsa_forward_progress 0
		.amdhsa_shared_vgpr_count 0
		.amdhsa_exception_fp_ieee_invalid_op 0
		.amdhsa_exception_fp_denorm_src 0
		.amdhsa_exception_fp_ieee_div_zero 0
		.amdhsa_exception_fp_ieee_overflow 0
		.amdhsa_exception_fp_ieee_underflow 0
		.amdhsa_exception_fp_ieee_inexact 0
		.amdhsa_exception_int_div_zero 0
	.end_amdhsa_kernel
	.section	.text._ZN7rocprim17ROCPRIM_400000_NS6detail17trampoline_kernelINS0_14default_configENS1_38merge_sort_block_merge_config_selectorIlNS0_10empty_typeEEEZZNS1_27merge_sort_block_merge_implIS3_PlPS5_mZN2at6native12_GLOBAL__N_124unique_dim_cuda_templateIsEESt5tupleIJNSA_6TensorESF_SF_EERKSF_lbbbEUlllE_EE10hipError_tT0_T1_T2_jT3_P12ihipStream_tbPNSt15iterator_traitsISL_E10value_typeEPNSR_ISM_E10value_typeEPSN_NS1_7vsmem_tEENKUlT_SL_SM_SN_E_clIS8_S8_S9_S9_EESK_S10_SL_SM_SN_EUlS10_E0_NS1_11comp_targetILNS1_3genE8ELNS1_11target_archE1030ELNS1_3gpuE2ELNS1_3repE0EEENS1_38merge_mergepath_config_static_selectorELNS0_4arch9wavefront6targetE0EEEvSM_,"axG",@progbits,_ZN7rocprim17ROCPRIM_400000_NS6detail17trampoline_kernelINS0_14default_configENS1_38merge_sort_block_merge_config_selectorIlNS0_10empty_typeEEEZZNS1_27merge_sort_block_merge_implIS3_PlPS5_mZN2at6native12_GLOBAL__N_124unique_dim_cuda_templateIsEESt5tupleIJNSA_6TensorESF_SF_EERKSF_lbbbEUlllE_EE10hipError_tT0_T1_T2_jT3_P12ihipStream_tbPNSt15iterator_traitsISL_E10value_typeEPNSR_ISM_E10value_typeEPSN_NS1_7vsmem_tEENKUlT_SL_SM_SN_E_clIS8_S8_S9_S9_EESK_S10_SL_SM_SN_EUlS10_E0_NS1_11comp_targetILNS1_3genE8ELNS1_11target_archE1030ELNS1_3gpuE2ELNS1_3repE0EEENS1_38merge_mergepath_config_static_selectorELNS0_4arch9wavefront6targetE0EEEvSM_,comdat
.Lfunc_end651:
	.size	_ZN7rocprim17ROCPRIM_400000_NS6detail17trampoline_kernelINS0_14default_configENS1_38merge_sort_block_merge_config_selectorIlNS0_10empty_typeEEEZZNS1_27merge_sort_block_merge_implIS3_PlPS5_mZN2at6native12_GLOBAL__N_124unique_dim_cuda_templateIsEESt5tupleIJNSA_6TensorESF_SF_EERKSF_lbbbEUlllE_EE10hipError_tT0_T1_T2_jT3_P12ihipStream_tbPNSt15iterator_traitsISL_E10value_typeEPNSR_ISM_E10value_typeEPSN_NS1_7vsmem_tEENKUlT_SL_SM_SN_E_clIS8_S8_S9_S9_EESK_S10_SL_SM_SN_EUlS10_E0_NS1_11comp_targetILNS1_3genE8ELNS1_11target_archE1030ELNS1_3gpuE2ELNS1_3repE0EEENS1_38merge_mergepath_config_static_selectorELNS0_4arch9wavefront6targetE0EEEvSM_, .Lfunc_end651-_ZN7rocprim17ROCPRIM_400000_NS6detail17trampoline_kernelINS0_14default_configENS1_38merge_sort_block_merge_config_selectorIlNS0_10empty_typeEEEZZNS1_27merge_sort_block_merge_implIS3_PlPS5_mZN2at6native12_GLOBAL__N_124unique_dim_cuda_templateIsEESt5tupleIJNSA_6TensorESF_SF_EERKSF_lbbbEUlllE_EE10hipError_tT0_T1_T2_jT3_P12ihipStream_tbPNSt15iterator_traitsISL_E10value_typeEPNSR_ISM_E10value_typeEPSN_NS1_7vsmem_tEENKUlT_SL_SM_SN_E_clIS8_S8_S9_S9_EESK_S10_SL_SM_SN_EUlS10_E0_NS1_11comp_targetILNS1_3genE8ELNS1_11target_archE1030ELNS1_3gpuE2ELNS1_3repE0EEENS1_38merge_mergepath_config_static_selectorELNS0_4arch9wavefront6targetE0EEEvSM_
                                        ; -- End function
	.section	.AMDGPU.csdata,"",@progbits
; Kernel info:
; codeLenInByte = 0
; NumSgprs: 0
; NumVgprs: 0
; ScratchSize: 0
; MemoryBound: 0
; FloatMode: 240
; IeeeMode: 1
; LDSByteSize: 0 bytes/workgroup (compile time only)
; SGPRBlocks: 0
; VGPRBlocks: 0
; NumSGPRsForWavesPerEU: 1
; NumVGPRsForWavesPerEU: 1
; Occupancy: 16
; WaveLimiterHint : 0
; COMPUTE_PGM_RSRC2:SCRATCH_EN: 0
; COMPUTE_PGM_RSRC2:USER_SGPR: 15
; COMPUTE_PGM_RSRC2:TRAP_HANDLER: 0
; COMPUTE_PGM_RSRC2:TGID_X_EN: 1
; COMPUTE_PGM_RSRC2:TGID_Y_EN: 0
; COMPUTE_PGM_RSRC2:TGID_Z_EN: 0
; COMPUTE_PGM_RSRC2:TIDIG_COMP_CNT: 0
	.section	.text._ZN7rocprim17ROCPRIM_400000_NS6detail17trampoline_kernelINS0_14default_configENS1_38merge_sort_block_merge_config_selectorIlNS0_10empty_typeEEEZZNS1_27merge_sort_block_merge_implIS3_PlPS5_mZN2at6native12_GLOBAL__N_124unique_dim_cuda_templateIsEESt5tupleIJNSA_6TensorESF_SF_EERKSF_lbbbEUlllE_EE10hipError_tT0_T1_T2_jT3_P12ihipStream_tbPNSt15iterator_traitsISL_E10value_typeEPNSR_ISM_E10value_typeEPSN_NS1_7vsmem_tEENKUlT_SL_SM_SN_E_clIS8_S8_S9_S9_EESK_S10_SL_SM_SN_EUlS10_E1_NS1_11comp_targetILNS1_3genE0ELNS1_11target_archE4294967295ELNS1_3gpuE0ELNS1_3repE0EEENS1_36merge_oddeven_config_static_selectorELNS0_4arch9wavefront6targetE0EEEvSM_,"axG",@progbits,_ZN7rocprim17ROCPRIM_400000_NS6detail17trampoline_kernelINS0_14default_configENS1_38merge_sort_block_merge_config_selectorIlNS0_10empty_typeEEEZZNS1_27merge_sort_block_merge_implIS3_PlPS5_mZN2at6native12_GLOBAL__N_124unique_dim_cuda_templateIsEESt5tupleIJNSA_6TensorESF_SF_EERKSF_lbbbEUlllE_EE10hipError_tT0_T1_T2_jT3_P12ihipStream_tbPNSt15iterator_traitsISL_E10value_typeEPNSR_ISM_E10value_typeEPSN_NS1_7vsmem_tEENKUlT_SL_SM_SN_E_clIS8_S8_S9_S9_EESK_S10_SL_SM_SN_EUlS10_E1_NS1_11comp_targetILNS1_3genE0ELNS1_11target_archE4294967295ELNS1_3gpuE0ELNS1_3repE0EEENS1_36merge_oddeven_config_static_selectorELNS0_4arch9wavefront6targetE0EEEvSM_,comdat
	.globl	_ZN7rocprim17ROCPRIM_400000_NS6detail17trampoline_kernelINS0_14default_configENS1_38merge_sort_block_merge_config_selectorIlNS0_10empty_typeEEEZZNS1_27merge_sort_block_merge_implIS3_PlPS5_mZN2at6native12_GLOBAL__N_124unique_dim_cuda_templateIsEESt5tupleIJNSA_6TensorESF_SF_EERKSF_lbbbEUlllE_EE10hipError_tT0_T1_T2_jT3_P12ihipStream_tbPNSt15iterator_traitsISL_E10value_typeEPNSR_ISM_E10value_typeEPSN_NS1_7vsmem_tEENKUlT_SL_SM_SN_E_clIS8_S8_S9_S9_EESK_S10_SL_SM_SN_EUlS10_E1_NS1_11comp_targetILNS1_3genE0ELNS1_11target_archE4294967295ELNS1_3gpuE0ELNS1_3repE0EEENS1_36merge_oddeven_config_static_selectorELNS0_4arch9wavefront6targetE0EEEvSM_ ; -- Begin function _ZN7rocprim17ROCPRIM_400000_NS6detail17trampoline_kernelINS0_14default_configENS1_38merge_sort_block_merge_config_selectorIlNS0_10empty_typeEEEZZNS1_27merge_sort_block_merge_implIS3_PlPS5_mZN2at6native12_GLOBAL__N_124unique_dim_cuda_templateIsEESt5tupleIJNSA_6TensorESF_SF_EERKSF_lbbbEUlllE_EE10hipError_tT0_T1_T2_jT3_P12ihipStream_tbPNSt15iterator_traitsISL_E10value_typeEPNSR_ISM_E10value_typeEPSN_NS1_7vsmem_tEENKUlT_SL_SM_SN_E_clIS8_S8_S9_S9_EESK_S10_SL_SM_SN_EUlS10_E1_NS1_11comp_targetILNS1_3genE0ELNS1_11target_archE4294967295ELNS1_3gpuE0ELNS1_3repE0EEENS1_36merge_oddeven_config_static_selectorELNS0_4arch9wavefront6targetE0EEEvSM_
	.p2align	8
	.type	_ZN7rocprim17ROCPRIM_400000_NS6detail17trampoline_kernelINS0_14default_configENS1_38merge_sort_block_merge_config_selectorIlNS0_10empty_typeEEEZZNS1_27merge_sort_block_merge_implIS3_PlPS5_mZN2at6native12_GLOBAL__N_124unique_dim_cuda_templateIsEESt5tupleIJNSA_6TensorESF_SF_EERKSF_lbbbEUlllE_EE10hipError_tT0_T1_T2_jT3_P12ihipStream_tbPNSt15iterator_traitsISL_E10value_typeEPNSR_ISM_E10value_typeEPSN_NS1_7vsmem_tEENKUlT_SL_SM_SN_E_clIS8_S8_S9_S9_EESK_S10_SL_SM_SN_EUlS10_E1_NS1_11comp_targetILNS1_3genE0ELNS1_11target_archE4294967295ELNS1_3gpuE0ELNS1_3repE0EEENS1_36merge_oddeven_config_static_selectorELNS0_4arch9wavefront6targetE0EEEvSM_,@function
_ZN7rocprim17ROCPRIM_400000_NS6detail17trampoline_kernelINS0_14default_configENS1_38merge_sort_block_merge_config_selectorIlNS0_10empty_typeEEEZZNS1_27merge_sort_block_merge_implIS3_PlPS5_mZN2at6native12_GLOBAL__N_124unique_dim_cuda_templateIsEESt5tupleIJNSA_6TensorESF_SF_EERKSF_lbbbEUlllE_EE10hipError_tT0_T1_T2_jT3_P12ihipStream_tbPNSt15iterator_traitsISL_E10value_typeEPNSR_ISM_E10value_typeEPSN_NS1_7vsmem_tEENKUlT_SL_SM_SN_E_clIS8_S8_S9_S9_EESK_S10_SL_SM_SN_EUlS10_E1_NS1_11comp_targetILNS1_3genE0ELNS1_11target_archE4294967295ELNS1_3gpuE0ELNS1_3repE0EEENS1_36merge_oddeven_config_static_selectorELNS0_4arch9wavefront6targetE0EEEvSM_: ; @_ZN7rocprim17ROCPRIM_400000_NS6detail17trampoline_kernelINS0_14default_configENS1_38merge_sort_block_merge_config_selectorIlNS0_10empty_typeEEEZZNS1_27merge_sort_block_merge_implIS3_PlPS5_mZN2at6native12_GLOBAL__N_124unique_dim_cuda_templateIsEESt5tupleIJNSA_6TensorESF_SF_EERKSF_lbbbEUlllE_EE10hipError_tT0_T1_T2_jT3_P12ihipStream_tbPNSt15iterator_traitsISL_E10value_typeEPNSR_ISM_E10value_typeEPSN_NS1_7vsmem_tEENKUlT_SL_SM_SN_E_clIS8_S8_S9_S9_EESK_S10_SL_SM_SN_EUlS10_E1_NS1_11comp_targetILNS1_3genE0ELNS1_11target_archE4294967295ELNS1_3gpuE0ELNS1_3repE0EEENS1_36merge_oddeven_config_static_selectorELNS0_4arch9wavefront6targetE0EEEvSM_
; %bb.0:
	.section	.rodata,"a",@progbits
	.p2align	6, 0x0
	.amdhsa_kernel _ZN7rocprim17ROCPRIM_400000_NS6detail17trampoline_kernelINS0_14default_configENS1_38merge_sort_block_merge_config_selectorIlNS0_10empty_typeEEEZZNS1_27merge_sort_block_merge_implIS3_PlPS5_mZN2at6native12_GLOBAL__N_124unique_dim_cuda_templateIsEESt5tupleIJNSA_6TensorESF_SF_EERKSF_lbbbEUlllE_EE10hipError_tT0_T1_T2_jT3_P12ihipStream_tbPNSt15iterator_traitsISL_E10value_typeEPNSR_ISM_E10value_typeEPSN_NS1_7vsmem_tEENKUlT_SL_SM_SN_E_clIS8_S8_S9_S9_EESK_S10_SL_SM_SN_EUlS10_E1_NS1_11comp_targetILNS1_3genE0ELNS1_11target_archE4294967295ELNS1_3gpuE0ELNS1_3repE0EEENS1_36merge_oddeven_config_static_selectorELNS0_4arch9wavefront6targetE0EEEvSM_
		.amdhsa_group_segment_fixed_size 0
		.amdhsa_private_segment_fixed_size 0
		.amdhsa_kernarg_size 64
		.amdhsa_user_sgpr_count 15
		.amdhsa_user_sgpr_dispatch_ptr 0
		.amdhsa_user_sgpr_queue_ptr 0
		.amdhsa_user_sgpr_kernarg_segment_ptr 1
		.amdhsa_user_sgpr_dispatch_id 0
		.amdhsa_user_sgpr_private_segment_size 0
		.amdhsa_wavefront_size32 1
		.amdhsa_uses_dynamic_stack 0
		.amdhsa_enable_private_segment 0
		.amdhsa_system_sgpr_workgroup_id_x 1
		.amdhsa_system_sgpr_workgroup_id_y 0
		.amdhsa_system_sgpr_workgroup_id_z 0
		.amdhsa_system_sgpr_workgroup_info 0
		.amdhsa_system_vgpr_workitem_id 0
		.amdhsa_next_free_vgpr 1
		.amdhsa_next_free_sgpr 1
		.amdhsa_reserve_vcc 0
		.amdhsa_float_round_mode_32 0
		.amdhsa_float_round_mode_16_64 0
		.amdhsa_float_denorm_mode_32 3
		.amdhsa_float_denorm_mode_16_64 3
		.amdhsa_dx10_clamp 1
		.amdhsa_ieee_mode 1
		.amdhsa_fp16_overflow 0
		.amdhsa_workgroup_processor_mode 1
		.amdhsa_memory_ordered 1
		.amdhsa_forward_progress 0
		.amdhsa_shared_vgpr_count 0
		.amdhsa_exception_fp_ieee_invalid_op 0
		.amdhsa_exception_fp_denorm_src 0
		.amdhsa_exception_fp_ieee_div_zero 0
		.amdhsa_exception_fp_ieee_overflow 0
		.amdhsa_exception_fp_ieee_underflow 0
		.amdhsa_exception_fp_ieee_inexact 0
		.amdhsa_exception_int_div_zero 0
	.end_amdhsa_kernel
	.section	.text._ZN7rocprim17ROCPRIM_400000_NS6detail17trampoline_kernelINS0_14default_configENS1_38merge_sort_block_merge_config_selectorIlNS0_10empty_typeEEEZZNS1_27merge_sort_block_merge_implIS3_PlPS5_mZN2at6native12_GLOBAL__N_124unique_dim_cuda_templateIsEESt5tupleIJNSA_6TensorESF_SF_EERKSF_lbbbEUlllE_EE10hipError_tT0_T1_T2_jT3_P12ihipStream_tbPNSt15iterator_traitsISL_E10value_typeEPNSR_ISM_E10value_typeEPSN_NS1_7vsmem_tEENKUlT_SL_SM_SN_E_clIS8_S8_S9_S9_EESK_S10_SL_SM_SN_EUlS10_E1_NS1_11comp_targetILNS1_3genE0ELNS1_11target_archE4294967295ELNS1_3gpuE0ELNS1_3repE0EEENS1_36merge_oddeven_config_static_selectorELNS0_4arch9wavefront6targetE0EEEvSM_,"axG",@progbits,_ZN7rocprim17ROCPRIM_400000_NS6detail17trampoline_kernelINS0_14default_configENS1_38merge_sort_block_merge_config_selectorIlNS0_10empty_typeEEEZZNS1_27merge_sort_block_merge_implIS3_PlPS5_mZN2at6native12_GLOBAL__N_124unique_dim_cuda_templateIsEESt5tupleIJNSA_6TensorESF_SF_EERKSF_lbbbEUlllE_EE10hipError_tT0_T1_T2_jT3_P12ihipStream_tbPNSt15iterator_traitsISL_E10value_typeEPNSR_ISM_E10value_typeEPSN_NS1_7vsmem_tEENKUlT_SL_SM_SN_E_clIS8_S8_S9_S9_EESK_S10_SL_SM_SN_EUlS10_E1_NS1_11comp_targetILNS1_3genE0ELNS1_11target_archE4294967295ELNS1_3gpuE0ELNS1_3repE0EEENS1_36merge_oddeven_config_static_selectorELNS0_4arch9wavefront6targetE0EEEvSM_,comdat
.Lfunc_end652:
	.size	_ZN7rocprim17ROCPRIM_400000_NS6detail17trampoline_kernelINS0_14default_configENS1_38merge_sort_block_merge_config_selectorIlNS0_10empty_typeEEEZZNS1_27merge_sort_block_merge_implIS3_PlPS5_mZN2at6native12_GLOBAL__N_124unique_dim_cuda_templateIsEESt5tupleIJNSA_6TensorESF_SF_EERKSF_lbbbEUlllE_EE10hipError_tT0_T1_T2_jT3_P12ihipStream_tbPNSt15iterator_traitsISL_E10value_typeEPNSR_ISM_E10value_typeEPSN_NS1_7vsmem_tEENKUlT_SL_SM_SN_E_clIS8_S8_S9_S9_EESK_S10_SL_SM_SN_EUlS10_E1_NS1_11comp_targetILNS1_3genE0ELNS1_11target_archE4294967295ELNS1_3gpuE0ELNS1_3repE0EEENS1_36merge_oddeven_config_static_selectorELNS0_4arch9wavefront6targetE0EEEvSM_, .Lfunc_end652-_ZN7rocprim17ROCPRIM_400000_NS6detail17trampoline_kernelINS0_14default_configENS1_38merge_sort_block_merge_config_selectorIlNS0_10empty_typeEEEZZNS1_27merge_sort_block_merge_implIS3_PlPS5_mZN2at6native12_GLOBAL__N_124unique_dim_cuda_templateIsEESt5tupleIJNSA_6TensorESF_SF_EERKSF_lbbbEUlllE_EE10hipError_tT0_T1_T2_jT3_P12ihipStream_tbPNSt15iterator_traitsISL_E10value_typeEPNSR_ISM_E10value_typeEPSN_NS1_7vsmem_tEENKUlT_SL_SM_SN_E_clIS8_S8_S9_S9_EESK_S10_SL_SM_SN_EUlS10_E1_NS1_11comp_targetILNS1_3genE0ELNS1_11target_archE4294967295ELNS1_3gpuE0ELNS1_3repE0EEENS1_36merge_oddeven_config_static_selectorELNS0_4arch9wavefront6targetE0EEEvSM_
                                        ; -- End function
	.section	.AMDGPU.csdata,"",@progbits
; Kernel info:
; codeLenInByte = 0
; NumSgprs: 0
; NumVgprs: 0
; ScratchSize: 0
; MemoryBound: 0
; FloatMode: 240
; IeeeMode: 1
; LDSByteSize: 0 bytes/workgroup (compile time only)
; SGPRBlocks: 0
; VGPRBlocks: 0
; NumSGPRsForWavesPerEU: 1
; NumVGPRsForWavesPerEU: 1
; Occupancy: 16
; WaveLimiterHint : 0
; COMPUTE_PGM_RSRC2:SCRATCH_EN: 0
; COMPUTE_PGM_RSRC2:USER_SGPR: 15
; COMPUTE_PGM_RSRC2:TRAP_HANDLER: 0
; COMPUTE_PGM_RSRC2:TGID_X_EN: 1
; COMPUTE_PGM_RSRC2:TGID_Y_EN: 0
; COMPUTE_PGM_RSRC2:TGID_Z_EN: 0
; COMPUTE_PGM_RSRC2:TIDIG_COMP_CNT: 0
	.section	.text._ZN7rocprim17ROCPRIM_400000_NS6detail17trampoline_kernelINS0_14default_configENS1_38merge_sort_block_merge_config_selectorIlNS0_10empty_typeEEEZZNS1_27merge_sort_block_merge_implIS3_PlPS5_mZN2at6native12_GLOBAL__N_124unique_dim_cuda_templateIsEESt5tupleIJNSA_6TensorESF_SF_EERKSF_lbbbEUlllE_EE10hipError_tT0_T1_T2_jT3_P12ihipStream_tbPNSt15iterator_traitsISL_E10value_typeEPNSR_ISM_E10value_typeEPSN_NS1_7vsmem_tEENKUlT_SL_SM_SN_E_clIS8_S8_S9_S9_EESK_S10_SL_SM_SN_EUlS10_E1_NS1_11comp_targetILNS1_3genE10ELNS1_11target_archE1201ELNS1_3gpuE5ELNS1_3repE0EEENS1_36merge_oddeven_config_static_selectorELNS0_4arch9wavefront6targetE0EEEvSM_,"axG",@progbits,_ZN7rocprim17ROCPRIM_400000_NS6detail17trampoline_kernelINS0_14default_configENS1_38merge_sort_block_merge_config_selectorIlNS0_10empty_typeEEEZZNS1_27merge_sort_block_merge_implIS3_PlPS5_mZN2at6native12_GLOBAL__N_124unique_dim_cuda_templateIsEESt5tupleIJNSA_6TensorESF_SF_EERKSF_lbbbEUlllE_EE10hipError_tT0_T1_T2_jT3_P12ihipStream_tbPNSt15iterator_traitsISL_E10value_typeEPNSR_ISM_E10value_typeEPSN_NS1_7vsmem_tEENKUlT_SL_SM_SN_E_clIS8_S8_S9_S9_EESK_S10_SL_SM_SN_EUlS10_E1_NS1_11comp_targetILNS1_3genE10ELNS1_11target_archE1201ELNS1_3gpuE5ELNS1_3repE0EEENS1_36merge_oddeven_config_static_selectorELNS0_4arch9wavefront6targetE0EEEvSM_,comdat
	.globl	_ZN7rocprim17ROCPRIM_400000_NS6detail17trampoline_kernelINS0_14default_configENS1_38merge_sort_block_merge_config_selectorIlNS0_10empty_typeEEEZZNS1_27merge_sort_block_merge_implIS3_PlPS5_mZN2at6native12_GLOBAL__N_124unique_dim_cuda_templateIsEESt5tupleIJNSA_6TensorESF_SF_EERKSF_lbbbEUlllE_EE10hipError_tT0_T1_T2_jT3_P12ihipStream_tbPNSt15iterator_traitsISL_E10value_typeEPNSR_ISM_E10value_typeEPSN_NS1_7vsmem_tEENKUlT_SL_SM_SN_E_clIS8_S8_S9_S9_EESK_S10_SL_SM_SN_EUlS10_E1_NS1_11comp_targetILNS1_3genE10ELNS1_11target_archE1201ELNS1_3gpuE5ELNS1_3repE0EEENS1_36merge_oddeven_config_static_selectorELNS0_4arch9wavefront6targetE0EEEvSM_ ; -- Begin function _ZN7rocprim17ROCPRIM_400000_NS6detail17trampoline_kernelINS0_14default_configENS1_38merge_sort_block_merge_config_selectorIlNS0_10empty_typeEEEZZNS1_27merge_sort_block_merge_implIS3_PlPS5_mZN2at6native12_GLOBAL__N_124unique_dim_cuda_templateIsEESt5tupleIJNSA_6TensorESF_SF_EERKSF_lbbbEUlllE_EE10hipError_tT0_T1_T2_jT3_P12ihipStream_tbPNSt15iterator_traitsISL_E10value_typeEPNSR_ISM_E10value_typeEPSN_NS1_7vsmem_tEENKUlT_SL_SM_SN_E_clIS8_S8_S9_S9_EESK_S10_SL_SM_SN_EUlS10_E1_NS1_11comp_targetILNS1_3genE10ELNS1_11target_archE1201ELNS1_3gpuE5ELNS1_3repE0EEENS1_36merge_oddeven_config_static_selectorELNS0_4arch9wavefront6targetE0EEEvSM_
	.p2align	8
	.type	_ZN7rocprim17ROCPRIM_400000_NS6detail17trampoline_kernelINS0_14default_configENS1_38merge_sort_block_merge_config_selectorIlNS0_10empty_typeEEEZZNS1_27merge_sort_block_merge_implIS3_PlPS5_mZN2at6native12_GLOBAL__N_124unique_dim_cuda_templateIsEESt5tupleIJNSA_6TensorESF_SF_EERKSF_lbbbEUlllE_EE10hipError_tT0_T1_T2_jT3_P12ihipStream_tbPNSt15iterator_traitsISL_E10value_typeEPNSR_ISM_E10value_typeEPSN_NS1_7vsmem_tEENKUlT_SL_SM_SN_E_clIS8_S8_S9_S9_EESK_S10_SL_SM_SN_EUlS10_E1_NS1_11comp_targetILNS1_3genE10ELNS1_11target_archE1201ELNS1_3gpuE5ELNS1_3repE0EEENS1_36merge_oddeven_config_static_selectorELNS0_4arch9wavefront6targetE0EEEvSM_,@function
_ZN7rocprim17ROCPRIM_400000_NS6detail17trampoline_kernelINS0_14default_configENS1_38merge_sort_block_merge_config_selectorIlNS0_10empty_typeEEEZZNS1_27merge_sort_block_merge_implIS3_PlPS5_mZN2at6native12_GLOBAL__N_124unique_dim_cuda_templateIsEESt5tupleIJNSA_6TensorESF_SF_EERKSF_lbbbEUlllE_EE10hipError_tT0_T1_T2_jT3_P12ihipStream_tbPNSt15iterator_traitsISL_E10value_typeEPNSR_ISM_E10value_typeEPSN_NS1_7vsmem_tEENKUlT_SL_SM_SN_E_clIS8_S8_S9_S9_EESK_S10_SL_SM_SN_EUlS10_E1_NS1_11comp_targetILNS1_3genE10ELNS1_11target_archE1201ELNS1_3gpuE5ELNS1_3repE0EEENS1_36merge_oddeven_config_static_selectorELNS0_4arch9wavefront6targetE0EEEvSM_: ; @_ZN7rocprim17ROCPRIM_400000_NS6detail17trampoline_kernelINS0_14default_configENS1_38merge_sort_block_merge_config_selectorIlNS0_10empty_typeEEEZZNS1_27merge_sort_block_merge_implIS3_PlPS5_mZN2at6native12_GLOBAL__N_124unique_dim_cuda_templateIsEESt5tupleIJNSA_6TensorESF_SF_EERKSF_lbbbEUlllE_EE10hipError_tT0_T1_T2_jT3_P12ihipStream_tbPNSt15iterator_traitsISL_E10value_typeEPNSR_ISM_E10value_typeEPSN_NS1_7vsmem_tEENKUlT_SL_SM_SN_E_clIS8_S8_S9_S9_EESK_S10_SL_SM_SN_EUlS10_E1_NS1_11comp_targetILNS1_3genE10ELNS1_11target_archE1201ELNS1_3gpuE5ELNS1_3repE0EEENS1_36merge_oddeven_config_static_selectorELNS0_4arch9wavefront6targetE0EEEvSM_
; %bb.0:
	.section	.rodata,"a",@progbits
	.p2align	6, 0x0
	.amdhsa_kernel _ZN7rocprim17ROCPRIM_400000_NS6detail17trampoline_kernelINS0_14default_configENS1_38merge_sort_block_merge_config_selectorIlNS0_10empty_typeEEEZZNS1_27merge_sort_block_merge_implIS3_PlPS5_mZN2at6native12_GLOBAL__N_124unique_dim_cuda_templateIsEESt5tupleIJNSA_6TensorESF_SF_EERKSF_lbbbEUlllE_EE10hipError_tT0_T1_T2_jT3_P12ihipStream_tbPNSt15iterator_traitsISL_E10value_typeEPNSR_ISM_E10value_typeEPSN_NS1_7vsmem_tEENKUlT_SL_SM_SN_E_clIS8_S8_S9_S9_EESK_S10_SL_SM_SN_EUlS10_E1_NS1_11comp_targetILNS1_3genE10ELNS1_11target_archE1201ELNS1_3gpuE5ELNS1_3repE0EEENS1_36merge_oddeven_config_static_selectorELNS0_4arch9wavefront6targetE0EEEvSM_
		.amdhsa_group_segment_fixed_size 0
		.amdhsa_private_segment_fixed_size 0
		.amdhsa_kernarg_size 64
		.amdhsa_user_sgpr_count 15
		.amdhsa_user_sgpr_dispatch_ptr 0
		.amdhsa_user_sgpr_queue_ptr 0
		.amdhsa_user_sgpr_kernarg_segment_ptr 1
		.amdhsa_user_sgpr_dispatch_id 0
		.amdhsa_user_sgpr_private_segment_size 0
		.amdhsa_wavefront_size32 1
		.amdhsa_uses_dynamic_stack 0
		.amdhsa_enable_private_segment 0
		.amdhsa_system_sgpr_workgroup_id_x 1
		.amdhsa_system_sgpr_workgroup_id_y 0
		.amdhsa_system_sgpr_workgroup_id_z 0
		.amdhsa_system_sgpr_workgroup_info 0
		.amdhsa_system_vgpr_workitem_id 0
		.amdhsa_next_free_vgpr 1
		.amdhsa_next_free_sgpr 1
		.amdhsa_reserve_vcc 0
		.amdhsa_float_round_mode_32 0
		.amdhsa_float_round_mode_16_64 0
		.amdhsa_float_denorm_mode_32 3
		.amdhsa_float_denorm_mode_16_64 3
		.amdhsa_dx10_clamp 1
		.amdhsa_ieee_mode 1
		.amdhsa_fp16_overflow 0
		.amdhsa_workgroup_processor_mode 1
		.amdhsa_memory_ordered 1
		.amdhsa_forward_progress 0
		.amdhsa_shared_vgpr_count 0
		.amdhsa_exception_fp_ieee_invalid_op 0
		.amdhsa_exception_fp_denorm_src 0
		.amdhsa_exception_fp_ieee_div_zero 0
		.amdhsa_exception_fp_ieee_overflow 0
		.amdhsa_exception_fp_ieee_underflow 0
		.amdhsa_exception_fp_ieee_inexact 0
		.amdhsa_exception_int_div_zero 0
	.end_amdhsa_kernel
	.section	.text._ZN7rocprim17ROCPRIM_400000_NS6detail17trampoline_kernelINS0_14default_configENS1_38merge_sort_block_merge_config_selectorIlNS0_10empty_typeEEEZZNS1_27merge_sort_block_merge_implIS3_PlPS5_mZN2at6native12_GLOBAL__N_124unique_dim_cuda_templateIsEESt5tupleIJNSA_6TensorESF_SF_EERKSF_lbbbEUlllE_EE10hipError_tT0_T1_T2_jT3_P12ihipStream_tbPNSt15iterator_traitsISL_E10value_typeEPNSR_ISM_E10value_typeEPSN_NS1_7vsmem_tEENKUlT_SL_SM_SN_E_clIS8_S8_S9_S9_EESK_S10_SL_SM_SN_EUlS10_E1_NS1_11comp_targetILNS1_3genE10ELNS1_11target_archE1201ELNS1_3gpuE5ELNS1_3repE0EEENS1_36merge_oddeven_config_static_selectorELNS0_4arch9wavefront6targetE0EEEvSM_,"axG",@progbits,_ZN7rocprim17ROCPRIM_400000_NS6detail17trampoline_kernelINS0_14default_configENS1_38merge_sort_block_merge_config_selectorIlNS0_10empty_typeEEEZZNS1_27merge_sort_block_merge_implIS3_PlPS5_mZN2at6native12_GLOBAL__N_124unique_dim_cuda_templateIsEESt5tupleIJNSA_6TensorESF_SF_EERKSF_lbbbEUlllE_EE10hipError_tT0_T1_T2_jT3_P12ihipStream_tbPNSt15iterator_traitsISL_E10value_typeEPNSR_ISM_E10value_typeEPSN_NS1_7vsmem_tEENKUlT_SL_SM_SN_E_clIS8_S8_S9_S9_EESK_S10_SL_SM_SN_EUlS10_E1_NS1_11comp_targetILNS1_3genE10ELNS1_11target_archE1201ELNS1_3gpuE5ELNS1_3repE0EEENS1_36merge_oddeven_config_static_selectorELNS0_4arch9wavefront6targetE0EEEvSM_,comdat
.Lfunc_end653:
	.size	_ZN7rocprim17ROCPRIM_400000_NS6detail17trampoline_kernelINS0_14default_configENS1_38merge_sort_block_merge_config_selectorIlNS0_10empty_typeEEEZZNS1_27merge_sort_block_merge_implIS3_PlPS5_mZN2at6native12_GLOBAL__N_124unique_dim_cuda_templateIsEESt5tupleIJNSA_6TensorESF_SF_EERKSF_lbbbEUlllE_EE10hipError_tT0_T1_T2_jT3_P12ihipStream_tbPNSt15iterator_traitsISL_E10value_typeEPNSR_ISM_E10value_typeEPSN_NS1_7vsmem_tEENKUlT_SL_SM_SN_E_clIS8_S8_S9_S9_EESK_S10_SL_SM_SN_EUlS10_E1_NS1_11comp_targetILNS1_3genE10ELNS1_11target_archE1201ELNS1_3gpuE5ELNS1_3repE0EEENS1_36merge_oddeven_config_static_selectorELNS0_4arch9wavefront6targetE0EEEvSM_, .Lfunc_end653-_ZN7rocprim17ROCPRIM_400000_NS6detail17trampoline_kernelINS0_14default_configENS1_38merge_sort_block_merge_config_selectorIlNS0_10empty_typeEEEZZNS1_27merge_sort_block_merge_implIS3_PlPS5_mZN2at6native12_GLOBAL__N_124unique_dim_cuda_templateIsEESt5tupleIJNSA_6TensorESF_SF_EERKSF_lbbbEUlllE_EE10hipError_tT0_T1_T2_jT3_P12ihipStream_tbPNSt15iterator_traitsISL_E10value_typeEPNSR_ISM_E10value_typeEPSN_NS1_7vsmem_tEENKUlT_SL_SM_SN_E_clIS8_S8_S9_S9_EESK_S10_SL_SM_SN_EUlS10_E1_NS1_11comp_targetILNS1_3genE10ELNS1_11target_archE1201ELNS1_3gpuE5ELNS1_3repE0EEENS1_36merge_oddeven_config_static_selectorELNS0_4arch9wavefront6targetE0EEEvSM_
                                        ; -- End function
	.section	.AMDGPU.csdata,"",@progbits
; Kernel info:
; codeLenInByte = 0
; NumSgprs: 0
; NumVgprs: 0
; ScratchSize: 0
; MemoryBound: 0
; FloatMode: 240
; IeeeMode: 1
; LDSByteSize: 0 bytes/workgroup (compile time only)
; SGPRBlocks: 0
; VGPRBlocks: 0
; NumSGPRsForWavesPerEU: 1
; NumVGPRsForWavesPerEU: 1
; Occupancy: 16
; WaveLimiterHint : 0
; COMPUTE_PGM_RSRC2:SCRATCH_EN: 0
; COMPUTE_PGM_RSRC2:USER_SGPR: 15
; COMPUTE_PGM_RSRC2:TRAP_HANDLER: 0
; COMPUTE_PGM_RSRC2:TGID_X_EN: 1
; COMPUTE_PGM_RSRC2:TGID_Y_EN: 0
; COMPUTE_PGM_RSRC2:TGID_Z_EN: 0
; COMPUTE_PGM_RSRC2:TIDIG_COMP_CNT: 0
	.section	.text._ZN7rocprim17ROCPRIM_400000_NS6detail17trampoline_kernelINS0_14default_configENS1_38merge_sort_block_merge_config_selectorIlNS0_10empty_typeEEEZZNS1_27merge_sort_block_merge_implIS3_PlPS5_mZN2at6native12_GLOBAL__N_124unique_dim_cuda_templateIsEESt5tupleIJNSA_6TensorESF_SF_EERKSF_lbbbEUlllE_EE10hipError_tT0_T1_T2_jT3_P12ihipStream_tbPNSt15iterator_traitsISL_E10value_typeEPNSR_ISM_E10value_typeEPSN_NS1_7vsmem_tEENKUlT_SL_SM_SN_E_clIS8_S8_S9_S9_EESK_S10_SL_SM_SN_EUlS10_E1_NS1_11comp_targetILNS1_3genE5ELNS1_11target_archE942ELNS1_3gpuE9ELNS1_3repE0EEENS1_36merge_oddeven_config_static_selectorELNS0_4arch9wavefront6targetE0EEEvSM_,"axG",@progbits,_ZN7rocprim17ROCPRIM_400000_NS6detail17trampoline_kernelINS0_14default_configENS1_38merge_sort_block_merge_config_selectorIlNS0_10empty_typeEEEZZNS1_27merge_sort_block_merge_implIS3_PlPS5_mZN2at6native12_GLOBAL__N_124unique_dim_cuda_templateIsEESt5tupleIJNSA_6TensorESF_SF_EERKSF_lbbbEUlllE_EE10hipError_tT0_T1_T2_jT3_P12ihipStream_tbPNSt15iterator_traitsISL_E10value_typeEPNSR_ISM_E10value_typeEPSN_NS1_7vsmem_tEENKUlT_SL_SM_SN_E_clIS8_S8_S9_S9_EESK_S10_SL_SM_SN_EUlS10_E1_NS1_11comp_targetILNS1_3genE5ELNS1_11target_archE942ELNS1_3gpuE9ELNS1_3repE0EEENS1_36merge_oddeven_config_static_selectorELNS0_4arch9wavefront6targetE0EEEvSM_,comdat
	.globl	_ZN7rocprim17ROCPRIM_400000_NS6detail17trampoline_kernelINS0_14default_configENS1_38merge_sort_block_merge_config_selectorIlNS0_10empty_typeEEEZZNS1_27merge_sort_block_merge_implIS3_PlPS5_mZN2at6native12_GLOBAL__N_124unique_dim_cuda_templateIsEESt5tupleIJNSA_6TensorESF_SF_EERKSF_lbbbEUlllE_EE10hipError_tT0_T1_T2_jT3_P12ihipStream_tbPNSt15iterator_traitsISL_E10value_typeEPNSR_ISM_E10value_typeEPSN_NS1_7vsmem_tEENKUlT_SL_SM_SN_E_clIS8_S8_S9_S9_EESK_S10_SL_SM_SN_EUlS10_E1_NS1_11comp_targetILNS1_3genE5ELNS1_11target_archE942ELNS1_3gpuE9ELNS1_3repE0EEENS1_36merge_oddeven_config_static_selectorELNS0_4arch9wavefront6targetE0EEEvSM_ ; -- Begin function _ZN7rocprim17ROCPRIM_400000_NS6detail17trampoline_kernelINS0_14default_configENS1_38merge_sort_block_merge_config_selectorIlNS0_10empty_typeEEEZZNS1_27merge_sort_block_merge_implIS3_PlPS5_mZN2at6native12_GLOBAL__N_124unique_dim_cuda_templateIsEESt5tupleIJNSA_6TensorESF_SF_EERKSF_lbbbEUlllE_EE10hipError_tT0_T1_T2_jT3_P12ihipStream_tbPNSt15iterator_traitsISL_E10value_typeEPNSR_ISM_E10value_typeEPSN_NS1_7vsmem_tEENKUlT_SL_SM_SN_E_clIS8_S8_S9_S9_EESK_S10_SL_SM_SN_EUlS10_E1_NS1_11comp_targetILNS1_3genE5ELNS1_11target_archE942ELNS1_3gpuE9ELNS1_3repE0EEENS1_36merge_oddeven_config_static_selectorELNS0_4arch9wavefront6targetE0EEEvSM_
	.p2align	8
	.type	_ZN7rocprim17ROCPRIM_400000_NS6detail17trampoline_kernelINS0_14default_configENS1_38merge_sort_block_merge_config_selectorIlNS0_10empty_typeEEEZZNS1_27merge_sort_block_merge_implIS3_PlPS5_mZN2at6native12_GLOBAL__N_124unique_dim_cuda_templateIsEESt5tupleIJNSA_6TensorESF_SF_EERKSF_lbbbEUlllE_EE10hipError_tT0_T1_T2_jT3_P12ihipStream_tbPNSt15iterator_traitsISL_E10value_typeEPNSR_ISM_E10value_typeEPSN_NS1_7vsmem_tEENKUlT_SL_SM_SN_E_clIS8_S8_S9_S9_EESK_S10_SL_SM_SN_EUlS10_E1_NS1_11comp_targetILNS1_3genE5ELNS1_11target_archE942ELNS1_3gpuE9ELNS1_3repE0EEENS1_36merge_oddeven_config_static_selectorELNS0_4arch9wavefront6targetE0EEEvSM_,@function
_ZN7rocprim17ROCPRIM_400000_NS6detail17trampoline_kernelINS0_14default_configENS1_38merge_sort_block_merge_config_selectorIlNS0_10empty_typeEEEZZNS1_27merge_sort_block_merge_implIS3_PlPS5_mZN2at6native12_GLOBAL__N_124unique_dim_cuda_templateIsEESt5tupleIJNSA_6TensorESF_SF_EERKSF_lbbbEUlllE_EE10hipError_tT0_T1_T2_jT3_P12ihipStream_tbPNSt15iterator_traitsISL_E10value_typeEPNSR_ISM_E10value_typeEPSN_NS1_7vsmem_tEENKUlT_SL_SM_SN_E_clIS8_S8_S9_S9_EESK_S10_SL_SM_SN_EUlS10_E1_NS1_11comp_targetILNS1_3genE5ELNS1_11target_archE942ELNS1_3gpuE9ELNS1_3repE0EEENS1_36merge_oddeven_config_static_selectorELNS0_4arch9wavefront6targetE0EEEvSM_: ; @_ZN7rocprim17ROCPRIM_400000_NS6detail17trampoline_kernelINS0_14default_configENS1_38merge_sort_block_merge_config_selectorIlNS0_10empty_typeEEEZZNS1_27merge_sort_block_merge_implIS3_PlPS5_mZN2at6native12_GLOBAL__N_124unique_dim_cuda_templateIsEESt5tupleIJNSA_6TensorESF_SF_EERKSF_lbbbEUlllE_EE10hipError_tT0_T1_T2_jT3_P12ihipStream_tbPNSt15iterator_traitsISL_E10value_typeEPNSR_ISM_E10value_typeEPSN_NS1_7vsmem_tEENKUlT_SL_SM_SN_E_clIS8_S8_S9_S9_EESK_S10_SL_SM_SN_EUlS10_E1_NS1_11comp_targetILNS1_3genE5ELNS1_11target_archE942ELNS1_3gpuE9ELNS1_3repE0EEENS1_36merge_oddeven_config_static_selectorELNS0_4arch9wavefront6targetE0EEEvSM_
; %bb.0:
	.section	.rodata,"a",@progbits
	.p2align	6, 0x0
	.amdhsa_kernel _ZN7rocprim17ROCPRIM_400000_NS6detail17trampoline_kernelINS0_14default_configENS1_38merge_sort_block_merge_config_selectorIlNS0_10empty_typeEEEZZNS1_27merge_sort_block_merge_implIS3_PlPS5_mZN2at6native12_GLOBAL__N_124unique_dim_cuda_templateIsEESt5tupleIJNSA_6TensorESF_SF_EERKSF_lbbbEUlllE_EE10hipError_tT0_T1_T2_jT3_P12ihipStream_tbPNSt15iterator_traitsISL_E10value_typeEPNSR_ISM_E10value_typeEPSN_NS1_7vsmem_tEENKUlT_SL_SM_SN_E_clIS8_S8_S9_S9_EESK_S10_SL_SM_SN_EUlS10_E1_NS1_11comp_targetILNS1_3genE5ELNS1_11target_archE942ELNS1_3gpuE9ELNS1_3repE0EEENS1_36merge_oddeven_config_static_selectorELNS0_4arch9wavefront6targetE0EEEvSM_
		.amdhsa_group_segment_fixed_size 0
		.amdhsa_private_segment_fixed_size 0
		.amdhsa_kernarg_size 64
		.amdhsa_user_sgpr_count 15
		.amdhsa_user_sgpr_dispatch_ptr 0
		.amdhsa_user_sgpr_queue_ptr 0
		.amdhsa_user_sgpr_kernarg_segment_ptr 1
		.amdhsa_user_sgpr_dispatch_id 0
		.amdhsa_user_sgpr_private_segment_size 0
		.amdhsa_wavefront_size32 1
		.amdhsa_uses_dynamic_stack 0
		.amdhsa_enable_private_segment 0
		.amdhsa_system_sgpr_workgroup_id_x 1
		.amdhsa_system_sgpr_workgroup_id_y 0
		.amdhsa_system_sgpr_workgroup_id_z 0
		.amdhsa_system_sgpr_workgroup_info 0
		.amdhsa_system_vgpr_workitem_id 0
		.amdhsa_next_free_vgpr 1
		.amdhsa_next_free_sgpr 1
		.amdhsa_reserve_vcc 0
		.amdhsa_float_round_mode_32 0
		.amdhsa_float_round_mode_16_64 0
		.amdhsa_float_denorm_mode_32 3
		.amdhsa_float_denorm_mode_16_64 3
		.amdhsa_dx10_clamp 1
		.amdhsa_ieee_mode 1
		.amdhsa_fp16_overflow 0
		.amdhsa_workgroup_processor_mode 1
		.amdhsa_memory_ordered 1
		.amdhsa_forward_progress 0
		.amdhsa_shared_vgpr_count 0
		.amdhsa_exception_fp_ieee_invalid_op 0
		.amdhsa_exception_fp_denorm_src 0
		.amdhsa_exception_fp_ieee_div_zero 0
		.amdhsa_exception_fp_ieee_overflow 0
		.amdhsa_exception_fp_ieee_underflow 0
		.amdhsa_exception_fp_ieee_inexact 0
		.amdhsa_exception_int_div_zero 0
	.end_amdhsa_kernel
	.section	.text._ZN7rocprim17ROCPRIM_400000_NS6detail17trampoline_kernelINS0_14default_configENS1_38merge_sort_block_merge_config_selectorIlNS0_10empty_typeEEEZZNS1_27merge_sort_block_merge_implIS3_PlPS5_mZN2at6native12_GLOBAL__N_124unique_dim_cuda_templateIsEESt5tupleIJNSA_6TensorESF_SF_EERKSF_lbbbEUlllE_EE10hipError_tT0_T1_T2_jT3_P12ihipStream_tbPNSt15iterator_traitsISL_E10value_typeEPNSR_ISM_E10value_typeEPSN_NS1_7vsmem_tEENKUlT_SL_SM_SN_E_clIS8_S8_S9_S9_EESK_S10_SL_SM_SN_EUlS10_E1_NS1_11comp_targetILNS1_3genE5ELNS1_11target_archE942ELNS1_3gpuE9ELNS1_3repE0EEENS1_36merge_oddeven_config_static_selectorELNS0_4arch9wavefront6targetE0EEEvSM_,"axG",@progbits,_ZN7rocprim17ROCPRIM_400000_NS6detail17trampoline_kernelINS0_14default_configENS1_38merge_sort_block_merge_config_selectorIlNS0_10empty_typeEEEZZNS1_27merge_sort_block_merge_implIS3_PlPS5_mZN2at6native12_GLOBAL__N_124unique_dim_cuda_templateIsEESt5tupleIJNSA_6TensorESF_SF_EERKSF_lbbbEUlllE_EE10hipError_tT0_T1_T2_jT3_P12ihipStream_tbPNSt15iterator_traitsISL_E10value_typeEPNSR_ISM_E10value_typeEPSN_NS1_7vsmem_tEENKUlT_SL_SM_SN_E_clIS8_S8_S9_S9_EESK_S10_SL_SM_SN_EUlS10_E1_NS1_11comp_targetILNS1_3genE5ELNS1_11target_archE942ELNS1_3gpuE9ELNS1_3repE0EEENS1_36merge_oddeven_config_static_selectorELNS0_4arch9wavefront6targetE0EEEvSM_,comdat
.Lfunc_end654:
	.size	_ZN7rocprim17ROCPRIM_400000_NS6detail17trampoline_kernelINS0_14default_configENS1_38merge_sort_block_merge_config_selectorIlNS0_10empty_typeEEEZZNS1_27merge_sort_block_merge_implIS3_PlPS5_mZN2at6native12_GLOBAL__N_124unique_dim_cuda_templateIsEESt5tupleIJNSA_6TensorESF_SF_EERKSF_lbbbEUlllE_EE10hipError_tT0_T1_T2_jT3_P12ihipStream_tbPNSt15iterator_traitsISL_E10value_typeEPNSR_ISM_E10value_typeEPSN_NS1_7vsmem_tEENKUlT_SL_SM_SN_E_clIS8_S8_S9_S9_EESK_S10_SL_SM_SN_EUlS10_E1_NS1_11comp_targetILNS1_3genE5ELNS1_11target_archE942ELNS1_3gpuE9ELNS1_3repE0EEENS1_36merge_oddeven_config_static_selectorELNS0_4arch9wavefront6targetE0EEEvSM_, .Lfunc_end654-_ZN7rocprim17ROCPRIM_400000_NS6detail17trampoline_kernelINS0_14default_configENS1_38merge_sort_block_merge_config_selectorIlNS0_10empty_typeEEEZZNS1_27merge_sort_block_merge_implIS3_PlPS5_mZN2at6native12_GLOBAL__N_124unique_dim_cuda_templateIsEESt5tupleIJNSA_6TensorESF_SF_EERKSF_lbbbEUlllE_EE10hipError_tT0_T1_T2_jT3_P12ihipStream_tbPNSt15iterator_traitsISL_E10value_typeEPNSR_ISM_E10value_typeEPSN_NS1_7vsmem_tEENKUlT_SL_SM_SN_E_clIS8_S8_S9_S9_EESK_S10_SL_SM_SN_EUlS10_E1_NS1_11comp_targetILNS1_3genE5ELNS1_11target_archE942ELNS1_3gpuE9ELNS1_3repE0EEENS1_36merge_oddeven_config_static_selectorELNS0_4arch9wavefront6targetE0EEEvSM_
                                        ; -- End function
	.section	.AMDGPU.csdata,"",@progbits
; Kernel info:
; codeLenInByte = 0
; NumSgprs: 0
; NumVgprs: 0
; ScratchSize: 0
; MemoryBound: 0
; FloatMode: 240
; IeeeMode: 1
; LDSByteSize: 0 bytes/workgroup (compile time only)
; SGPRBlocks: 0
; VGPRBlocks: 0
; NumSGPRsForWavesPerEU: 1
; NumVGPRsForWavesPerEU: 1
; Occupancy: 16
; WaveLimiterHint : 0
; COMPUTE_PGM_RSRC2:SCRATCH_EN: 0
; COMPUTE_PGM_RSRC2:USER_SGPR: 15
; COMPUTE_PGM_RSRC2:TRAP_HANDLER: 0
; COMPUTE_PGM_RSRC2:TGID_X_EN: 1
; COMPUTE_PGM_RSRC2:TGID_Y_EN: 0
; COMPUTE_PGM_RSRC2:TGID_Z_EN: 0
; COMPUTE_PGM_RSRC2:TIDIG_COMP_CNT: 0
	.section	.text._ZN7rocprim17ROCPRIM_400000_NS6detail17trampoline_kernelINS0_14default_configENS1_38merge_sort_block_merge_config_selectorIlNS0_10empty_typeEEEZZNS1_27merge_sort_block_merge_implIS3_PlPS5_mZN2at6native12_GLOBAL__N_124unique_dim_cuda_templateIsEESt5tupleIJNSA_6TensorESF_SF_EERKSF_lbbbEUlllE_EE10hipError_tT0_T1_T2_jT3_P12ihipStream_tbPNSt15iterator_traitsISL_E10value_typeEPNSR_ISM_E10value_typeEPSN_NS1_7vsmem_tEENKUlT_SL_SM_SN_E_clIS8_S8_S9_S9_EESK_S10_SL_SM_SN_EUlS10_E1_NS1_11comp_targetILNS1_3genE4ELNS1_11target_archE910ELNS1_3gpuE8ELNS1_3repE0EEENS1_36merge_oddeven_config_static_selectorELNS0_4arch9wavefront6targetE0EEEvSM_,"axG",@progbits,_ZN7rocprim17ROCPRIM_400000_NS6detail17trampoline_kernelINS0_14default_configENS1_38merge_sort_block_merge_config_selectorIlNS0_10empty_typeEEEZZNS1_27merge_sort_block_merge_implIS3_PlPS5_mZN2at6native12_GLOBAL__N_124unique_dim_cuda_templateIsEESt5tupleIJNSA_6TensorESF_SF_EERKSF_lbbbEUlllE_EE10hipError_tT0_T1_T2_jT3_P12ihipStream_tbPNSt15iterator_traitsISL_E10value_typeEPNSR_ISM_E10value_typeEPSN_NS1_7vsmem_tEENKUlT_SL_SM_SN_E_clIS8_S8_S9_S9_EESK_S10_SL_SM_SN_EUlS10_E1_NS1_11comp_targetILNS1_3genE4ELNS1_11target_archE910ELNS1_3gpuE8ELNS1_3repE0EEENS1_36merge_oddeven_config_static_selectorELNS0_4arch9wavefront6targetE0EEEvSM_,comdat
	.globl	_ZN7rocprim17ROCPRIM_400000_NS6detail17trampoline_kernelINS0_14default_configENS1_38merge_sort_block_merge_config_selectorIlNS0_10empty_typeEEEZZNS1_27merge_sort_block_merge_implIS3_PlPS5_mZN2at6native12_GLOBAL__N_124unique_dim_cuda_templateIsEESt5tupleIJNSA_6TensorESF_SF_EERKSF_lbbbEUlllE_EE10hipError_tT0_T1_T2_jT3_P12ihipStream_tbPNSt15iterator_traitsISL_E10value_typeEPNSR_ISM_E10value_typeEPSN_NS1_7vsmem_tEENKUlT_SL_SM_SN_E_clIS8_S8_S9_S9_EESK_S10_SL_SM_SN_EUlS10_E1_NS1_11comp_targetILNS1_3genE4ELNS1_11target_archE910ELNS1_3gpuE8ELNS1_3repE0EEENS1_36merge_oddeven_config_static_selectorELNS0_4arch9wavefront6targetE0EEEvSM_ ; -- Begin function _ZN7rocprim17ROCPRIM_400000_NS6detail17trampoline_kernelINS0_14default_configENS1_38merge_sort_block_merge_config_selectorIlNS0_10empty_typeEEEZZNS1_27merge_sort_block_merge_implIS3_PlPS5_mZN2at6native12_GLOBAL__N_124unique_dim_cuda_templateIsEESt5tupleIJNSA_6TensorESF_SF_EERKSF_lbbbEUlllE_EE10hipError_tT0_T1_T2_jT3_P12ihipStream_tbPNSt15iterator_traitsISL_E10value_typeEPNSR_ISM_E10value_typeEPSN_NS1_7vsmem_tEENKUlT_SL_SM_SN_E_clIS8_S8_S9_S9_EESK_S10_SL_SM_SN_EUlS10_E1_NS1_11comp_targetILNS1_3genE4ELNS1_11target_archE910ELNS1_3gpuE8ELNS1_3repE0EEENS1_36merge_oddeven_config_static_selectorELNS0_4arch9wavefront6targetE0EEEvSM_
	.p2align	8
	.type	_ZN7rocprim17ROCPRIM_400000_NS6detail17trampoline_kernelINS0_14default_configENS1_38merge_sort_block_merge_config_selectorIlNS0_10empty_typeEEEZZNS1_27merge_sort_block_merge_implIS3_PlPS5_mZN2at6native12_GLOBAL__N_124unique_dim_cuda_templateIsEESt5tupleIJNSA_6TensorESF_SF_EERKSF_lbbbEUlllE_EE10hipError_tT0_T1_T2_jT3_P12ihipStream_tbPNSt15iterator_traitsISL_E10value_typeEPNSR_ISM_E10value_typeEPSN_NS1_7vsmem_tEENKUlT_SL_SM_SN_E_clIS8_S8_S9_S9_EESK_S10_SL_SM_SN_EUlS10_E1_NS1_11comp_targetILNS1_3genE4ELNS1_11target_archE910ELNS1_3gpuE8ELNS1_3repE0EEENS1_36merge_oddeven_config_static_selectorELNS0_4arch9wavefront6targetE0EEEvSM_,@function
_ZN7rocprim17ROCPRIM_400000_NS6detail17trampoline_kernelINS0_14default_configENS1_38merge_sort_block_merge_config_selectorIlNS0_10empty_typeEEEZZNS1_27merge_sort_block_merge_implIS3_PlPS5_mZN2at6native12_GLOBAL__N_124unique_dim_cuda_templateIsEESt5tupleIJNSA_6TensorESF_SF_EERKSF_lbbbEUlllE_EE10hipError_tT0_T1_T2_jT3_P12ihipStream_tbPNSt15iterator_traitsISL_E10value_typeEPNSR_ISM_E10value_typeEPSN_NS1_7vsmem_tEENKUlT_SL_SM_SN_E_clIS8_S8_S9_S9_EESK_S10_SL_SM_SN_EUlS10_E1_NS1_11comp_targetILNS1_3genE4ELNS1_11target_archE910ELNS1_3gpuE8ELNS1_3repE0EEENS1_36merge_oddeven_config_static_selectorELNS0_4arch9wavefront6targetE0EEEvSM_: ; @_ZN7rocprim17ROCPRIM_400000_NS6detail17trampoline_kernelINS0_14default_configENS1_38merge_sort_block_merge_config_selectorIlNS0_10empty_typeEEEZZNS1_27merge_sort_block_merge_implIS3_PlPS5_mZN2at6native12_GLOBAL__N_124unique_dim_cuda_templateIsEESt5tupleIJNSA_6TensorESF_SF_EERKSF_lbbbEUlllE_EE10hipError_tT0_T1_T2_jT3_P12ihipStream_tbPNSt15iterator_traitsISL_E10value_typeEPNSR_ISM_E10value_typeEPSN_NS1_7vsmem_tEENKUlT_SL_SM_SN_E_clIS8_S8_S9_S9_EESK_S10_SL_SM_SN_EUlS10_E1_NS1_11comp_targetILNS1_3genE4ELNS1_11target_archE910ELNS1_3gpuE8ELNS1_3repE0EEENS1_36merge_oddeven_config_static_selectorELNS0_4arch9wavefront6targetE0EEEvSM_
; %bb.0:
	.section	.rodata,"a",@progbits
	.p2align	6, 0x0
	.amdhsa_kernel _ZN7rocprim17ROCPRIM_400000_NS6detail17trampoline_kernelINS0_14default_configENS1_38merge_sort_block_merge_config_selectorIlNS0_10empty_typeEEEZZNS1_27merge_sort_block_merge_implIS3_PlPS5_mZN2at6native12_GLOBAL__N_124unique_dim_cuda_templateIsEESt5tupleIJNSA_6TensorESF_SF_EERKSF_lbbbEUlllE_EE10hipError_tT0_T1_T2_jT3_P12ihipStream_tbPNSt15iterator_traitsISL_E10value_typeEPNSR_ISM_E10value_typeEPSN_NS1_7vsmem_tEENKUlT_SL_SM_SN_E_clIS8_S8_S9_S9_EESK_S10_SL_SM_SN_EUlS10_E1_NS1_11comp_targetILNS1_3genE4ELNS1_11target_archE910ELNS1_3gpuE8ELNS1_3repE0EEENS1_36merge_oddeven_config_static_selectorELNS0_4arch9wavefront6targetE0EEEvSM_
		.amdhsa_group_segment_fixed_size 0
		.amdhsa_private_segment_fixed_size 0
		.amdhsa_kernarg_size 64
		.amdhsa_user_sgpr_count 15
		.amdhsa_user_sgpr_dispatch_ptr 0
		.amdhsa_user_sgpr_queue_ptr 0
		.amdhsa_user_sgpr_kernarg_segment_ptr 1
		.amdhsa_user_sgpr_dispatch_id 0
		.amdhsa_user_sgpr_private_segment_size 0
		.amdhsa_wavefront_size32 1
		.amdhsa_uses_dynamic_stack 0
		.amdhsa_enable_private_segment 0
		.amdhsa_system_sgpr_workgroup_id_x 1
		.amdhsa_system_sgpr_workgroup_id_y 0
		.amdhsa_system_sgpr_workgroup_id_z 0
		.amdhsa_system_sgpr_workgroup_info 0
		.amdhsa_system_vgpr_workitem_id 0
		.amdhsa_next_free_vgpr 1
		.amdhsa_next_free_sgpr 1
		.amdhsa_reserve_vcc 0
		.amdhsa_float_round_mode_32 0
		.amdhsa_float_round_mode_16_64 0
		.amdhsa_float_denorm_mode_32 3
		.amdhsa_float_denorm_mode_16_64 3
		.amdhsa_dx10_clamp 1
		.amdhsa_ieee_mode 1
		.amdhsa_fp16_overflow 0
		.amdhsa_workgroup_processor_mode 1
		.amdhsa_memory_ordered 1
		.amdhsa_forward_progress 0
		.amdhsa_shared_vgpr_count 0
		.amdhsa_exception_fp_ieee_invalid_op 0
		.amdhsa_exception_fp_denorm_src 0
		.amdhsa_exception_fp_ieee_div_zero 0
		.amdhsa_exception_fp_ieee_overflow 0
		.amdhsa_exception_fp_ieee_underflow 0
		.amdhsa_exception_fp_ieee_inexact 0
		.amdhsa_exception_int_div_zero 0
	.end_amdhsa_kernel
	.section	.text._ZN7rocprim17ROCPRIM_400000_NS6detail17trampoline_kernelINS0_14default_configENS1_38merge_sort_block_merge_config_selectorIlNS0_10empty_typeEEEZZNS1_27merge_sort_block_merge_implIS3_PlPS5_mZN2at6native12_GLOBAL__N_124unique_dim_cuda_templateIsEESt5tupleIJNSA_6TensorESF_SF_EERKSF_lbbbEUlllE_EE10hipError_tT0_T1_T2_jT3_P12ihipStream_tbPNSt15iterator_traitsISL_E10value_typeEPNSR_ISM_E10value_typeEPSN_NS1_7vsmem_tEENKUlT_SL_SM_SN_E_clIS8_S8_S9_S9_EESK_S10_SL_SM_SN_EUlS10_E1_NS1_11comp_targetILNS1_3genE4ELNS1_11target_archE910ELNS1_3gpuE8ELNS1_3repE0EEENS1_36merge_oddeven_config_static_selectorELNS0_4arch9wavefront6targetE0EEEvSM_,"axG",@progbits,_ZN7rocprim17ROCPRIM_400000_NS6detail17trampoline_kernelINS0_14default_configENS1_38merge_sort_block_merge_config_selectorIlNS0_10empty_typeEEEZZNS1_27merge_sort_block_merge_implIS3_PlPS5_mZN2at6native12_GLOBAL__N_124unique_dim_cuda_templateIsEESt5tupleIJNSA_6TensorESF_SF_EERKSF_lbbbEUlllE_EE10hipError_tT0_T1_T2_jT3_P12ihipStream_tbPNSt15iterator_traitsISL_E10value_typeEPNSR_ISM_E10value_typeEPSN_NS1_7vsmem_tEENKUlT_SL_SM_SN_E_clIS8_S8_S9_S9_EESK_S10_SL_SM_SN_EUlS10_E1_NS1_11comp_targetILNS1_3genE4ELNS1_11target_archE910ELNS1_3gpuE8ELNS1_3repE0EEENS1_36merge_oddeven_config_static_selectorELNS0_4arch9wavefront6targetE0EEEvSM_,comdat
.Lfunc_end655:
	.size	_ZN7rocprim17ROCPRIM_400000_NS6detail17trampoline_kernelINS0_14default_configENS1_38merge_sort_block_merge_config_selectorIlNS0_10empty_typeEEEZZNS1_27merge_sort_block_merge_implIS3_PlPS5_mZN2at6native12_GLOBAL__N_124unique_dim_cuda_templateIsEESt5tupleIJNSA_6TensorESF_SF_EERKSF_lbbbEUlllE_EE10hipError_tT0_T1_T2_jT3_P12ihipStream_tbPNSt15iterator_traitsISL_E10value_typeEPNSR_ISM_E10value_typeEPSN_NS1_7vsmem_tEENKUlT_SL_SM_SN_E_clIS8_S8_S9_S9_EESK_S10_SL_SM_SN_EUlS10_E1_NS1_11comp_targetILNS1_3genE4ELNS1_11target_archE910ELNS1_3gpuE8ELNS1_3repE0EEENS1_36merge_oddeven_config_static_selectorELNS0_4arch9wavefront6targetE0EEEvSM_, .Lfunc_end655-_ZN7rocprim17ROCPRIM_400000_NS6detail17trampoline_kernelINS0_14default_configENS1_38merge_sort_block_merge_config_selectorIlNS0_10empty_typeEEEZZNS1_27merge_sort_block_merge_implIS3_PlPS5_mZN2at6native12_GLOBAL__N_124unique_dim_cuda_templateIsEESt5tupleIJNSA_6TensorESF_SF_EERKSF_lbbbEUlllE_EE10hipError_tT0_T1_T2_jT3_P12ihipStream_tbPNSt15iterator_traitsISL_E10value_typeEPNSR_ISM_E10value_typeEPSN_NS1_7vsmem_tEENKUlT_SL_SM_SN_E_clIS8_S8_S9_S9_EESK_S10_SL_SM_SN_EUlS10_E1_NS1_11comp_targetILNS1_3genE4ELNS1_11target_archE910ELNS1_3gpuE8ELNS1_3repE0EEENS1_36merge_oddeven_config_static_selectorELNS0_4arch9wavefront6targetE0EEEvSM_
                                        ; -- End function
	.section	.AMDGPU.csdata,"",@progbits
; Kernel info:
; codeLenInByte = 0
; NumSgprs: 0
; NumVgprs: 0
; ScratchSize: 0
; MemoryBound: 0
; FloatMode: 240
; IeeeMode: 1
; LDSByteSize: 0 bytes/workgroup (compile time only)
; SGPRBlocks: 0
; VGPRBlocks: 0
; NumSGPRsForWavesPerEU: 1
; NumVGPRsForWavesPerEU: 1
; Occupancy: 16
; WaveLimiterHint : 0
; COMPUTE_PGM_RSRC2:SCRATCH_EN: 0
; COMPUTE_PGM_RSRC2:USER_SGPR: 15
; COMPUTE_PGM_RSRC2:TRAP_HANDLER: 0
; COMPUTE_PGM_RSRC2:TGID_X_EN: 1
; COMPUTE_PGM_RSRC2:TGID_Y_EN: 0
; COMPUTE_PGM_RSRC2:TGID_Z_EN: 0
; COMPUTE_PGM_RSRC2:TIDIG_COMP_CNT: 0
	.section	.text._ZN7rocprim17ROCPRIM_400000_NS6detail17trampoline_kernelINS0_14default_configENS1_38merge_sort_block_merge_config_selectorIlNS0_10empty_typeEEEZZNS1_27merge_sort_block_merge_implIS3_PlPS5_mZN2at6native12_GLOBAL__N_124unique_dim_cuda_templateIsEESt5tupleIJNSA_6TensorESF_SF_EERKSF_lbbbEUlllE_EE10hipError_tT0_T1_T2_jT3_P12ihipStream_tbPNSt15iterator_traitsISL_E10value_typeEPNSR_ISM_E10value_typeEPSN_NS1_7vsmem_tEENKUlT_SL_SM_SN_E_clIS8_S8_S9_S9_EESK_S10_SL_SM_SN_EUlS10_E1_NS1_11comp_targetILNS1_3genE3ELNS1_11target_archE908ELNS1_3gpuE7ELNS1_3repE0EEENS1_36merge_oddeven_config_static_selectorELNS0_4arch9wavefront6targetE0EEEvSM_,"axG",@progbits,_ZN7rocprim17ROCPRIM_400000_NS6detail17trampoline_kernelINS0_14default_configENS1_38merge_sort_block_merge_config_selectorIlNS0_10empty_typeEEEZZNS1_27merge_sort_block_merge_implIS3_PlPS5_mZN2at6native12_GLOBAL__N_124unique_dim_cuda_templateIsEESt5tupleIJNSA_6TensorESF_SF_EERKSF_lbbbEUlllE_EE10hipError_tT0_T1_T2_jT3_P12ihipStream_tbPNSt15iterator_traitsISL_E10value_typeEPNSR_ISM_E10value_typeEPSN_NS1_7vsmem_tEENKUlT_SL_SM_SN_E_clIS8_S8_S9_S9_EESK_S10_SL_SM_SN_EUlS10_E1_NS1_11comp_targetILNS1_3genE3ELNS1_11target_archE908ELNS1_3gpuE7ELNS1_3repE0EEENS1_36merge_oddeven_config_static_selectorELNS0_4arch9wavefront6targetE0EEEvSM_,comdat
	.globl	_ZN7rocprim17ROCPRIM_400000_NS6detail17trampoline_kernelINS0_14default_configENS1_38merge_sort_block_merge_config_selectorIlNS0_10empty_typeEEEZZNS1_27merge_sort_block_merge_implIS3_PlPS5_mZN2at6native12_GLOBAL__N_124unique_dim_cuda_templateIsEESt5tupleIJNSA_6TensorESF_SF_EERKSF_lbbbEUlllE_EE10hipError_tT0_T1_T2_jT3_P12ihipStream_tbPNSt15iterator_traitsISL_E10value_typeEPNSR_ISM_E10value_typeEPSN_NS1_7vsmem_tEENKUlT_SL_SM_SN_E_clIS8_S8_S9_S9_EESK_S10_SL_SM_SN_EUlS10_E1_NS1_11comp_targetILNS1_3genE3ELNS1_11target_archE908ELNS1_3gpuE7ELNS1_3repE0EEENS1_36merge_oddeven_config_static_selectorELNS0_4arch9wavefront6targetE0EEEvSM_ ; -- Begin function _ZN7rocprim17ROCPRIM_400000_NS6detail17trampoline_kernelINS0_14default_configENS1_38merge_sort_block_merge_config_selectorIlNS0_10empty_typeEEEZZNS1_27merge_sort_block_merge_implIS3_PlPS5_mZN2at6native12_GLOBAL__N_124unique_dim_cuda_templateIsEESt5tupleIJNSA_6TensorESF_SF_EERKSF_lbbbEUlllE_EE10hipError_tT0_T1_T2_jT3_P12ihipStream_tbPNSt15iterator_traitsISL_E10value_typeEPNSR_ISM_E10value_typeEPSN_NS1_7vsmem_tEENKUlT_SL_SM_SN_E_clIS8_S8_S9_S9_EESK_S10_SL_SM_SN_EUlS10_E1_NS1_11comp_targetILNS1_3genE3ELNS1_11target_archE908ELNS1_3gpuE7ELNS1_3repE0EEENS1_36merge_oddeven_config_static_selectorELNS0_4arch9wavefront6targetE0EEEvSM_
	.p2align	8
	.type	_ZN7rocprim17ROCPRIM_400000_NS6detail17trampoline_kernelINS0_14default_configENS1_38merge_sort_block_merge_config_selectorIlNS0_10empty_typeEEEZZNS1_27merge_sort_block_merge_implIS3_PlPS5_mZN2at6native12_GLOBAL__N_124unique_dim_cuda_templateIsEESt5tupleIJNSA_6TensorESF_SF_EERKSF_lbbbEUlllE_EE10hipError_tT0_T1_T2_jT3_P12ihipStream_tbPNSt15iterator_traitsISL_E10value_typeEPNSR_ISM_E10value_typeEPSN_NS1_7vsmem_tEENKUlT_SL_SM_SN_E_clIS8_S8_S9_S9_EESK_S10_SL_SM_SN_EUlS10_E1_NS1_11comp_targetILNS1_3genE3ELNS1_11target_archE908ELNS1_3gpuE7ELNS1_3repE0EEENS1_36merge_oddeven_config_static_selectorELNS0_4arch9wavefront6targetE0EEEvSM_,@function
_ZN7rocprim17ROCPRIM_400000_NS6detail17trampoline_kernelINS0_14default_configENS1_38merge_sort_block_merge_config_selectorIlNS0_10empty_typeEEEZZNS1_27merge_sort_block_merge_implIS3_PlPS5_mZN2at6native12_GLOBAL__N_124unique_dim_cuda_templateIsEESt5tupleIJNSA_6TensorESF_SF_EERKSF_lbbbEUlllE_EE10hipError_tT0_T1_T2_jT3_P12ihipStream_tbPNSt15iterator_traitsISL_E10value_typeEPNSR_ISM_E10value_typeEPSN_NS1_7vsmem_tEENKUlT_SL_SM_SN_E_clIS8_S8_S9_S9_EESK_S10_SL_SM_SN_EUlS10_E1_NS1_11comp_targetILNS1_3genE3ELNS1_11target_archE908ELNS1_3gpuE7ELNS1_3repE0EEENS1_36merge_oddeven_config_static_selectorELNS0_4arch9wavefront6targetE0EEEvSM_: ; @_ZN7rocprim17ROCPRIM_400000_NS6detail17trampoline_kernelINS0_14default_configENS1_38merge_sort_block_merge_config_selectorIlNS0_10empty_typeEEEZZNS1_27merge_sort_block_merge_implIS3_PlPS5_mZN2at6native12_GLOBAL__N_124unique_dim_cuda_templateIsEESt5tupleIJNSA_6TensorESF_SF_EERKSF_lbbbEUlllE_EE10hipError_tT0_T1_T2_jT3_P12ihipStream_tbPNSt15iterator_traitsISL_E10value_typeEPNSR_ISM_E10value_typeEPSN_NS1_7vsmem_tEENKUlT_SL_SM_SN_E_clIS8_S8_S9_S9_EESK_S10_SL_SM_SN_EUlS10_E1_NS1_11comp_targetILNS1_3genE3ELNS1_11target_archE908ELNS1_3gpuE7ELNS1_3repE0EEENS1_36merge_oddeven_config_static_selectorELNS0_4arch9wavefront6targetE0EEEvSM_
; %bb.0:
	.section	.rodata,"a",@progbits
	.p2align	6, 0x0
	.amdhsa_kernel _ZN7rocprim17ROCPRIM_400000_NS6detail17trampoline_kernelINS0_14default_configENS1_38merge_sort_block_merge_config_selectorIlNS0_10empty_typeEEEZZNS1_27merge_sort_block_merge_implIS3_PlPS5_mZN2at6native12_GLOBAL__N_124unique_dim_cuda_templateIsEESt5tupleIJNSA_6TensorESF_SF_EERKSF_lbbbEUlllE_EE10hipError_tT0_T1_T2_jT3_P12ihipStream_tbPNSt15iterator_traitsISL_E10value_typeEPNSR_ISM_E10value_typeEPSN_NS1_7vsmem_tEENKUlT_SL_SM_SN_E_clIS8_S8_S9_S9_EESK_S10_SL_SM_SN_EUlS10_E1_NS1_11comp_targetILNS1_3genE3ELNS1_11target_archE908ELNS1_3gpuE7ELNS1_3repE0EEENS1_36merge_oddeven_config_static_selectorELNS0_4arch9wavefront6targetE0EEEvSM_
		.amdhsa_group_segment_fixed_size 0
		.amdhsa_private_segment_fixed_size 0
		.amdhsa_kernarg_size 64
		.amdhsa_user_sgpr_count 15
		.amdhsa_user_sgpr_dispatch_ptr 0
		.amdhsa_user_sgpr_queue_ptr 0
		.amdhsa_user_sgpr_kernarg_segment_ptr 1
		.amdhsa_user_sgpr_dispatch_id 0
		.amdhsa_user_sgpr_private_segment_size 0
		.amdhsa_wavefront_size32 1
		.amdhsa_uses_dynamic_stack 0
		.amdhsa_enable_private_segment 0
		.amdhsa_system_sgpr_workgroup_id_x 1
		.amdhsa_system_sgpr_workgroup_id_y 0
		.amdhsa_system_sgpr_workgroup_id_z 0
		.amdhsa_system_sgpr_workgroup_info 0
		.amdhsa_system_vgpr_workitem_id 0
		.amdhsa_next_free_vgpr 1
		.amdhsa_next_free_sgpr 1
		.amdhsa_reserve_vcc 0
		.amdhsa_float_round_mode_32 0
		.amdhsa_float_round_mode_16_64 0
		.amdhsa_float_denorm_mode_32 3
		.amdhsa_float_denorm_mode_16_64 3
		.amdhsa_dx10_clamp 1
		.amdhsa_ieee_mode 1
		.amdhsa_fp16_overflow 0
		.amdhsa_workgroup_processor_mode 1
		.amdhsa_memory_ordered 1
		.amdhsa_forward_progress 0
		.amdhsa_shared_vgpr_count 0
		.amdhsa_exception_fp_ieee_invalid_op 0
		.amdhsa_exception_fp_denorm_src 0
		.amdhsa_exception_fp_ieee_div_zero 0
		.amdhsa_exception_fp_ieee_overflow 0
		.amdhsa_exception_fp_ieee_underflow 0
		.amdhsa_exception_fp_ieee_inexact 0
		.amdhsa_exception_int_div_zero 0
	.end_amdhsa_kernel
	.section	.text._ZN7rocprim17ROCPRIM_400000_NS6detail17trampoline_kernelINS0_14default_configENS1_38merge_sort_block_merge_config_selectorIlNS0_10empty_typeEEEZZNS1_27merge_sort_block_merge_implIS3_PlPS5_mZN2at6native12_GLOBAL__N_124unique_dim_cuda_templateIsEESt5tupleIJNSA_6TensorESF_SF_EERKSF_lbbbEUlllE_EE10hipError_tT0_T1_T2_jT3_P12ihipStream_tbPNSt15iterator_traitsISL_E10value_typeEPNSR_ISM_E10value_typeEPSN_NS1_7vsmem_tEENKUlT_SL_SM_SN_E_clIS8_S8_S9_S9_EESK_S10_SL_SM_SN_EUlS10_E1_NS1_11comp_targetILNS1_3genE3ELNS1_11target_archE908ELNS1_3gpuE7ELNS1_3repE0EEENS1_36merge_oddeven_config_static_selectorELNS0_4arch9wavefront6targetE0EEEvSM_,"axG",@progbits,_ZN7rocprim17ROCPRIM_400000_NS6detail17trampoline_kernelINS0_14default_configENS1_38merge_sort_block_merge_config_selectorIlNS0_10empty_typeEEEZZNS1_27merge_sort_block_merge_implIS3_PlPS5_mZN2at6native12_GLOBAL__N_124unique_dim_cuda_templateIsEESt5tupleIJNSA_6TensorESF_SF_EERKSF_lbbbEUlllE_EE10hipError_tT0_T1_T2_jT3_P12ihipStream_tbPNSt15iterator_traitsISL_E10value_typeEPNSR_ISM_E10value_typeEPSN_NS1_7vsmem_tEENKUlT_SL_SM_SN_E_clIS8_S8_S9_S9_EESK_S10_SL_SM_SN_EUlS10_E1_NS1_11comp_targetILNS1_3genE3ELNS1_11target_archE908ELNS1_3gpuE7ELNS1_3repE0EEENS1_36merge_oddeven_config_static_selectorELNS0_4arch9wavefront6targetE0EEEvSM_,comdat
.Lfunc_end656:
	.size	_ZN7rocprim17ROCPRIM_400000_NS6detail17trampoline_kernelINS0_14default_configENS1_38merge_sort_block_merge_config_selectorIlNS0_10empty_typeEEEZZNS1_27merge_sort_block_merge_implIS3_PlPS5_mZN2at6native12_GLOBAL__N_124unique_dim_cuda_templateIsEESt5tupleIJNSA_6TensorESF_SF_EERKSF_lbbbEUlllE_EE10hipError_tT0_T1_T2_jT3_P12ihipStream_tbPNSt15iterator_traitsISL_E10value_typeEPNSR_ISM_E10value_typeEPSN_NS1_7vsmem_tEENKUlT_SL_SM_SN_E_clIS8_S8_S9_S9_EESK_S10_SL_SM_SN_EUlS10_E1_NS1_11comp_targetILNS1_3genE3ELNS1_11target_archE908ELNS1_3gpuE7ELNS1_3repE0EEENS1_36merge_oddeven_config_static_selectorELNS0_4arch9wavefront6targetE0EEEvSM_, .Lfunc_end656-_ZN7rocprim17ROCPRIM_400000_NS6detail17trampoline_kernelINS0_14default_configENS1_38merge_sort_block_merge_config_selectorIlNS0_10empty_typeEEEZZNS1_27merge_sort_block_merge_implIS3_PlPS5_mZN2at6native12_GLOBAL__N_124unique_dim_cuda_templateIsEESt5tupleIJNSA_6TensorESF_SF_EERKSF_lbbbEUlllE_EE10hipError_tT0_T1_T2_jT3_P12ihipStream_tbPNSt15iterator_traitsISL_E10value_typeEPNSR_ISM_E10value_typeEPSN_NS1_7vsmem_tEENKUlT_SL_SM_SN_E_clIS8_S8_S9_S9_EESK_S10_SL_SM_SN_EUlS10_E1_NS1_11comp_targetILNS1_3genE3ELNS1_11target_archE908ELNS1_3gpuE7ELNS1_3repE0EEENS1_36merge_oddeven_config_static_selectorELNS0_4arch9wavefront6targetE0EEEvSM_
                                        ; -- End function
	.section	.AMDGPU.csdata,"",@progbits
; Kernel info:
; codeLenInByte = 0
; NumSgprs: 0
; NumVgprs: 0
; ScratchSize: 0
; MemoryBound: 0
; FloatMode: 240
; IeeeMode: 1
; LDSByteSize: 0 bytes/workgroup (compile time only)
; SGPRBlocks: 0
; VGPRBlocks: 0
; NumSGPRsForWavesPerEU: 1
; NumVGPRsForWavesPerEU: 1
; Occupancy: 16
; WaveLimiterHint : 0
; COMPUTE_PGM_RSRC2:SCRATCH_EN: 0
; COMPUTE_PGM_RSRC2:USER_SGPR: 15
; COMPUTE_PGM_RSRC2:TRAP_HANDLER: 0
; COMPUTE_PGM_RSRC2:TGID_X_EN: 1
; COMPUTE_PGM_RSRC2:TGID_Y_EN: 0
; COMPUTE_PGM_RSRC2:TGID_Z_EN: 0
; COMPUTE_PGM_RSRC2:TIDIG_COMP_CNT: 0
	.section	.text._ZN7rocprim17ROCPRIM_400000_NS6detail17trampoline_kernelINS0_14default_configENS1_38merge_sort_block_merge_config_selectorIlNS0_10empty_typeEEEZZNS1_27merge_sort_block_merge_implIS3_PlPS5_mZN2at6native12_GLOBAL__N_124unique_dim_cuda_templateIsEESt5tupleIJNSA_6TensorESF_SF_EERKSF_lbbbEUlllE_EE10hipError_tT0_T1_T2_jT3_P12ihipStream_tbPNSt15iterator_traitsISL_E10value_typeEPNSR_ISM_E10value_typeEPSN_NS1_7vsmem_tEENKUlT_SL_SM_SN_E_clIS8_S8_S9_S9_EESK_S10_SL_SM_SN_EUlS10_E1_NS1_11comp_targetILNS1_3genE2ELNS1_11target_archE906ELNS1_3gpuE6ELNS1_3repE0EEENS1_36merge_oddeven_config_static_selectorELNS0_4arch9wavefront6targetE0EEEvSM_,"axG",@progbits,_ZN7rocprim17ROCPRIM_400000_NS6detail17trampoline_kernelINS0_14default_configENS1_38merge_sort_block_merge_config_selectorIlNS0_10empty_typeEEEZZNS1_27merge_sort_block_merge_implIS3_PlPS5_mZN2at6native12_GLOBAL__N_124unique_dim_cuda_templateIsEESt5tupleIJNSA_6TensorESF_SF_EERKSF_lbbbEUlllE_EE10hipError_tT0_T1_T2_jT3_P12ihipStream_tbPNSt15iterator_traitsISL_E10value_typeEPNSR_ISM_E10value_typeEPSN_NS1_7vsmem_tEENKUlT_SL_SM_SN_E_clIS8_S8_S9_S9_EESK_S10_SL_SM_SN_EUlS10_E1_NS1_11comp_targetILNS1_3genE2ELNS1_11target_archE906ELNS1_3gpuE6ELNS1_3repE0EEENS1_36merge_oddeven_config_static_selectorELNS0_4arch9wavefront6targetE0EEEvSM_,comdat
	.globl	_ZN7rocprim17ROCPRIM_400000_NS6detail17trampoline_kernelINS0_14default_configENS1_38merge_sort_block_merge_config_selectorIlNS0_10empty_typeEEEZZNS1_27merge_sort_block_merge_implIS3_PlPS5_mZN2at6native12_GLOBAL__N_124unique_dim_cuda_templateIsEESt5tupleIJNSA_6TensorESF_SF_EERKSF_lbbbEUlllE_EE10hipError_tT0_T1_T2_jT3_P12ihipStream_tbPNSt15iterator_traitsISL_E10value_typeEPNSR_ISM_E10value_typeEPSN_NS1_7vsmem_tEENKUlT_SL_SM_SN_E_clIS8_S8_S9_S9_EESK_S10_SL_SM_SN_EUlS10_E1_NS1_11comp_targetILNS1_3genE2ELNS1_11target_archE906ELNS1_3gpuE6ELNS1_3repE0EEENS1_36merge_oddeven_config_static_selectorELNS0_4arch9wavefront6targetE0EEEvSM_ ; -- Begin function _ZN7rocprim17ROCPRIM_400000_NS6detail17trampoline_kernelINS0_14default_configENS1_38merge_sort_block_merge_config_selectorIlNS0_10empty_typeEEEZZNS1_27merge_sort_block_merge_implIS3_PlPS5_mZN2at6native12_GLOBAL__N_124unique_dim_cuda_templateIsEESt5tupleIJNSA_6TensorESF_SF_EERKSF_lbbbEUlllE_EE10hipError_tT0_T1_T2_jT3_P12ihipStream_tbPNSt15iterator_traitsISL_E10value_typeEPNSR_ISM_E10value_typeEPSN_NS1_7vsmem_tEENKUlT_SL_SM_SN_E_clIS8_S8_S9_S9_EESK_S10_SL_SM_SN_EUlS10_E1_NS1_11comp_targetILNS1_3genE2ELNS1_11target_archE906ELNS1_3gpuE6ELNS1_3repE0EEENS1_36merge_oddeven_config_static_selectorELNS0_4arch9wavefront6targetE0EEEvSM_
	.p2align	8
	.type	_ZN7rocprim17ROCPRIM_400000_NS6detail17trampoline_kernelINS0_14default_configENS1_38merge_sort_block_merge_config_selectorIlNS0_10empty_typeEEEZZNS1_27merge_sort_block_merge_implIS3_PlPS5_mZN2at6native12_GLOBAL__N_124unique_dim_cuda_templateIsEESt5tupleIJNSA_6TensorESF_SF_EERKSF_lbbbEUlllE_EE10hipError_tT0_T1_T2_jT3_P12ihipStream_tbPNSt15iterator_traitsISL_E10value_typeEPNSR_ISM_E10value_typeEPSN_NS1_7vsmem_tEENKUlT_SL_SM_SN_E_clIS8_S8_S9_S9_EESK_S10_SL_SM_SN_EUlS10_E1_NS1_11comp_targetILNS1_3genE2ELNS1_11target_archE906ELNS1_3gpuE6ELNS1_3repE0EEENS1_36merge_oddeven_config_static_selectorELNS0_4arch9wavefront6targetE0EEEvSM_,@function
_ZN7rocprim17ROCPRIM_400000_NS6detail17trampoline_kernelINS0_14default_configENS1_38merge_sort_block_merge_config_selectorIlNS0_10empty_typeEEEZZNS1_27merge_sort_block_merge_implIS3_PlPS5_mZN2at6native12_GLOBAL__N_124unique_dim_cuda_templateIsEESt5tupleIJNSA_6TensorESF_SF_EERKSF_lbbbEUlllE_EE10hipError_tT0_T1_T2_jT3_P12ihipStream_tbPNSt15iterator_traitsISL_E10value_typeEPNSR_ISM_E10value_typeEPSN_NS1_7vsmem_tEENKUlT_SL_SM_SN_E_clIS8_S8_S9_S9_EESK_S10_SL_SM_SN_EUlS10_E1_NS1_11comp_targetILNS1_3genE2ELNS1_11target_archE906ELNS1_3gpuE6ELNS1_3repE0EEENS1_36merge_oddeven_config_static_selectorELNS0_4arch9wavefront6targetE0EEEvSM_: ; @_ZN7rocprim17ROCPRIM_400000_NS6detail17trampoline_kernelINS0_14default_configENS1_38merge_sort_block_merge_config_selectorIlNS0_10empty_typeEEEZZNS1_27merge_sort_block_merge_implIS3_PlPS5_mZN2at6native12_GLOBAL__N_124unique_dim_cuda_templateIsEESt5tupleIJNSA_6TensorESF_SF_EERKSF_lbbbEUlllE_EE10hipError_tT0_T1_T2_jT3_P12ihipStream_tbPNSt15iterator_traitsISL_E10value_typeEPNSR_ISM_E10value_typeEPSN_NS1_7vsmem_tEENKUlT_SL_SM_SN_E_clIS8_S8_S9_S9_EESK_S10_SL_SM_SN_EUlS10_E1_NS1_11comp_targetILNS1_3genE2ELNS1_11target_archE906ELNS1_3gpuE6ELNS1_3repE0EEENS1_36merge_oddeven_config_static_selectorELNS0_4arch9wavefront6targetE0EEEvSM_
; %bb.0:
	.section	.rodata,"a",@progbits
	.p2align	6, 0x0
	.amdhsa_kernel _ZN7rocprim17ROCPRIM_400000_NS6detail17trampoline_kernelINS0_14default_configENS1_38merge_sort_block_merge_config_selectorIlNS0_10empty_typeEEEZZNS1_27merge_sort_block_merge_implIS3_PlPS5_mZN2at6native12_GLOBAL__N_124unique_dim_cuda_templateIsEESt5tupleIJNSA_6TensorESF_SF_EERKSF_lbbbEUlllE_EE10hipError_tT0_T1_T2_jT3_P12ihipStream_tbPNSt15iterator_traitsISL_E10value_typeEPNSR_ISM_E10value_typeEPSN_NS1_7vsmem_tEENKUlT_SL_SM_SN_E_clIS8_S8_S9_S9_EESK_S10_SL_SM_SN_EUlS10_E1_NS1_11comp_targetILNS1_3genE2ELNS1_11target_archE906ELNS1_3gpuE6ELNS1_3repE0EEENS1_36merge_oddeven_config_static_selectorELNS0_4arch9wavefront6targetE0EEEvSM_
		.amdhsa_group_segment_fixed_size 0
		.amdhsa_private_segment_fixed_size 0
		.amdhsa_kernarg_size 64
		.amdhsa_user_sgpr_count 15
		.amdhsa_user_sgpr_dispatch_ptr 0
		.amdhsa_user_sgpr_queue_ptr 0
		.amdhsa_user_sgpr_kernarg_segment_ptr 1
		.amdhsa_user_sgpr_dispatch_id 0
		.amdhsa_user_sgpr_private_segment_size 0
		.amdhsa_wavefront_size32 1
		.amdhsa_uses_dynamic_stack 0
		.amdhsa_enable_private_segment 0
		.amdhsa_system_sgpr_workgroup_id_x 1
		.amdhsa_system_sgpr_workgroup_id_y 0
		.amdhsa_system_sgpr_workgroup_id_z 0
		.amdhsa_system_sgpr_workgroup_info 0
		.amdhsa_system_vgpr_workitem_id 0
		.amdhsa_next_free_vgpr 1
		.amdhsa_next_free_sgpr 1
		.amdhsa_reserve_vcc 0
		.amdhsa_float_round_mode_32 0
		.amdhsa_float_round_mode_16_64 0
		.amdhsa_float_denorm_mode_32 3
		.amdhsa_float_denorm_mode_16_64 3
		.amdhsa_dx10_clamp 1
		.amdhsa_ieee_mode 1
		.amdhsa_fp16_overflow 0
		.amdhsa_workgroup_processor_mode 1
		.amdhsa_memory_ordered 1
		.amdhsa_forward_progress 0
		.amdhsa_shared_vgpr_count 0
		.amdhsa_exception_fp_ieee_invalid_op 0
		.amdhsa_exception_fp_denorm_src 0
		.amdhsa_exception_fp_ieee_div_zero 0
		.amdhsa_exception_fp_ieee_overflow 0
		.amdhsa_exception_fp_ieee_underflow 0
		.amdhsa_exception_fp_ieee_inexact 0
		.amdhsa_exception_int_div_zero 0
	.end_amdhsa_kernel
	.section	.text._ZN7rocprim17ROCPRIM_400000_NS6detail17trampoline_kernelINS0_14default_configENS1_38merge_sort_block_merge_config_selectorIlNS0_10empty_typeEEEZZNS1_27merge_sort_block_merge_implIS3_PlPS5_mZN2at6native12_GLOBAL__N_124unique_dim_cuda_templateIsEESt5tupleIJNSA_6TensorESF_SF_EERKSF_lbbbEUlllE_EE10hipError_tT0_T1_T2_jT3_P12ihipStream_tbPNSt15iterator_traitsISL_E10value_typeEPNSR_ISM_E10value_typeEPSN_NS1_7vsmem_tEENKUlT_SL_SM_SN_E_clIS8_S8_S9_S9_EESK_S10_SL_SM_SN_EUlS10_E1_NS1_11comp_targetILNS1_3genE2ELNS1_11target_archE906ELNS1_3gpuE6ELNS1_3repE0EEENS1_36merge_oddeven_config_static_selectorELNS0_4arch9wavefront6targetE0EEEvSM_,"axG",@progbits,_ZN7rocprim17ROCPRIM_400000_NS6detail17trampoline_kernelINS0_14default_configENS1_38merge_sort_block_merge_config_selectorIlNS0_10empty_typeEEEZZNS1_27merge_sort_block_merge_implIS3_PlPS5_mZN2at6native12_GLOBAL__N_124unique_dim_cuda_templateIsEESt5tupleIJNSA_6TensorESF_SF_EERKSF_lbbbEUlllE_EE10hipError_tT0_T1_T2_jT3_P12ihipStream_tbPNSt15iterator_traitsISL_E10value_typeEPNSR_ISM_E10value_typeEPSN_NS1_7vsmem_tEENKUlT_SL_SM_SN_E_clIS8_S8_S9_S9_EESK_S10_SL_SM_SN_EUlS10_E1_NS1_11comp_targetILNS1_3genE2ELNS1_11target_archE906ELNS1_3gpuE6ELNS1_3repE0EEENS1_36merge_oddeven_config_static_selectorELNS0_4arch9wavefront6targetE0EEEvSM_,comdat
.Lfunc_end657:
	.size	_ZN7rocprim17ROCPRIM_400000_NS6detail17trampoline_kernelINS0_14default_configENS1_38merge_sort_block_merge_config_selectorIlNS0_10empty_typeEEEZZNS1_27merge_sort_block_merge_implIS3_PlPS5_mZN2at6native12_GLOBAL__N_124unique_dim_cuda_templateIsEESt5tupleIJNSA_6TensorESF_SF_EERKSF_lbbbEUlllE_EE10hipError_tT0_T1_T2_jT3_P12ihipStream_tbPNSt15iterator_traitsISL_E10value_typeEPNSR_ISM_E10value_typeEPSN_NS1_7vsmem_tEENKUlT_SL_SM_SN_E_clIS8_S8_S9_S9_EESK_S10_SL_SM_SN_EUlS10_E1_NS1_11comp_targetILNS1_3genE2ELNS1_11target_archE906ELNS1_3gpuE6ELNS1_3repE0EEENS1_36merge_oddeven_config_static_selectorELNS0_4arch9wavefront6targetE0EEEvSM_, .Lfunc_end657-_ZN7rocprim17ROCPRIM_400000_NS6detail17trampoline_kernelINS0_14default_configENS1_38merge_sort_block_merge_config_selectorIlNS0_10empty_typeEEEZZNS1_27merge_sort_block_merge_implIS3_PlPS5_mZN2at6native12_GLOBAL__N_124unique_dim_cuda_templateIsEESt5tupleIJNSA_6TensorESF_SF_EERKSF_lbbbEUlllE_EE10hipError_tT0_T1_T2_jT3_P12ihipStream_tbPNSt15iterator_traitsISL_E10value_typeEPNSR_ISM_E10value_typeEPSN_NS1_7vsmem_tEENKUlT_SL_SM_SN_E_clIS8_S8_S9_S9_EESK_S10_SL_SM_SN_EUlS10_E1_NS1_11comp_targetILNS1_3genE2ELNS1_11target_archE906ELNS1_3gpuE6ELNS1_3repE0EEENS1_36merge_oddeven_config_static_selectorELNS0_4arch9wavefront6targetE0EEEvSM_
                                        ; -- End function
	.section	.AMDGPU.csdata,"",@progbits
; Kernel info:
; codeLenInByte = 0
; NumSgprs: 0
; NumVgprs: 0
; ScratchSize: 0
; MemoryBound: 0
; FloatMode: 240
; IeeeMode: 1
; LDSByteSize: 0 bytes/workgroup (compile time only)
; SGPRBlocks: 0
; VGPRBlocks: 0
; NumSGPRsForWavesPerEU: 1
; NumVGPRsForWavesPerEU: 1
; Occupancy: 16
; WaveLimiterHint : 0
; COMPUTE_PGM_RSRC2:SCRATCH_EN: 0
; COMPUTE_PGM_RSRC2:USER_SGPR: 15
; COMPUTE_PGM_RSRC2:TRAP_HANDLER: 0
; COMPUTE_PGM_RSRC2:TGID_X_EN: 1
; COMPUTE_PGM_RSRC2:TGID_Y_EN: 0
; COMPUTE_PGM_RSRC2:TGID_Z_EN: 0
; COMPUTE_PGM_RSRC2:TIDIG_COMP_CNT: 0
	.section	.text._ZN7rocprim17ROCPRIM_400000_NS6detail17trampoline_kernelINS0_14default_configENS1_38merge_sort_block_merge_config_selectorIlNS0_10empty_typeEEEZZNS1_27merge_sort_block_merge_implIS3_PlPS5_mZN2at6native12_GLOBAL__N_124unique_dim_cuda_templateIsEESt5tupleIJNSA_6TensorESF_SF_EERKSF_lbbbEUlllE_EE10hipError_tT0_T1_T2_jT3_P12ihipStream_tbPNSt15iterator_traitsISL_E10value_typeEPNSR_ISM_E10value_typeEPSN_NS1_7vsmem_tEENKUlT_SL_SM_SN_E_clIS8_S8_S9_S9_EESK_S10_SL_SM_SN_EUlS10_E1_NS1_11comp_targetILNS1_3genE9ELNS1_11target_archE1100ELNS1_3gpuE3ELNS1_3repE0EEENS1_36merge_oddeven_config_static_selectorELNS0_4arch9wavefront6targetE0EEEvSM_,"axG",@progbits,_ZN7rocprim17ROCPRIM_400000_NS6detail17trampoline_kernelINS0_14default_configENS1_38merge_sort_block_merge_config_selectorIlNS0_10empty_typeEEEZZNS1_27merge_sort_block_merge_implIS3_PlPS5_mZN2at6native12_GLOBAL__N_124unique_dim_cuda_templateIsEESt5tupleIJNSA_6TensorESF_SF_EERKSF_lbbbEUlllE_EE10hipError_tT0_T1_T2_jT3_P12ihipStream_tbPNSt15iterator_traitsISL_E10value_typeEPNSR_ISM_E10value_typeEPSN_NS1_7vsmem_tEENKUlT_SL_SM_SN_E_clIS8_S8_S9_S9_EESK_S10_SL_SM_SN_EUlS10_E1_NS1_11comp_targetILNS1_3genE9ELNS1_11target_archE1100ELNS1_3gpuE3ELNS1_3repE0EEENS1_36merge_oddeven_config_static_selectorELNS0_4arch9wavefront6targetE0EEEvSM_,comdat
	.globl	_ZN7rocprim17ROCPRIM_400000_NS6detail17trampoline_kernelINS0_14default_configENS1_38merge_sort_block_merge_config_selectorIlNS0_10empty_typeEEEZZNS1_27merge_sort_block_merge_implIS3_PlPS5_mZN2at6native12_GLOBAL__N_124unique_dim_cuda_templateIsEESt5tupleIJNSA_6TensorESF_SF_EERKSF_lbbbEUlllE_EE10hipError_tT0_T1_T2_jT3_P12ihipStream_tbPNSt15iterator_traitsISL_E10value_typeEPNSR_ISM_E10value_typeEPSN_NS1_7vsmem_tEENKUlT_SL_SM_SN_E_clIS8_S8_S9_S9_EESK_S10_SL_SM_SN_EUlS10_E1_NS1_11comp_targetILNS1_3genE9ELNS1_11target_archE1100ELNS1_3gpuE3ELNS1_3repE0EEENS1_36merge_oddeven_config_static_selectorELNS0_4arch9wavefront6targetE0EEEvSM_ ; -- Begin function _ZN7rocprim17ROCPRIM_400000_NS6detail17trampoline_kernelINS0_14default_configENS1_38merge_sort_block_merge_config_selectorIlNS0_10empty_typeEEEZZNS1_27merge_sort_block_merge_implIS3_PlPS5_mZN2at6native12_GLOBAL__N_124unique_dim_cuda_templateIsEESt5tupleIJNSA_6TensorESF_SF_EERKSF_lbbbEUlllE_EE10hipError_tT0_T1_T2_jT3_P12ihipStream_tbPNSt15iterator_traitsISL_E10value_typeEPNSR_ISM_E10value_typeEPSN_NS1_7vsmem_tEENKUlT_SL_SM_SN_E_clIS8_S8_S9_S9_EESK_S10_SL_SM_SN_EUlS10_E1_NS1_11comp_targetILNS1_3genE9ELNS1_11target_archE1100ELNS1_3gpuE3ELNS1_3repE0EEENS1_36merge_oddeven_config_static_selectorELNS0_4arch9wavefront6targetE0EEEvSM_
	.p2align	8
	.type	_ZN7rocprim17ROCPRIM_400000_NS6detail17trampoline_kernelINS0_14default_configENS1_38merge_sort_block_merge_config_selectorIlNS0_10empty_typeEEEZZNS1_27merge_sort_block_merge_implIS3_PlPS5_mZN2at6native12_GLOBAL__N_124unique_dim_cuda_templateIsEESt5tupleIJNSA_6TensorESF_SF_EERKSF_lbbbEUlllE_EE10hipError_tT0_T1_T2_jT3_P12ihipStream_tbPNSt15iterator_traitsISL_E10value_typeEPNSR_ISM_E10value_typeEPSN_NS1_7vsmem_tEENKUlT_SL_SM_SN_E_clIS8_S8_S9_S9_EESK_S10_SL_SM_SN_EUlS10_E1_NS1_11comp_targetILNS1_3genE9ELNS1_11target_archE1100ELNS1_3gpuE3ELNS1_3repE0EEENS1_36merge_oddeven_config_static_selectorELNS0_4arch9wavefront6targetE0EEEvSM_,@function
_ZN7rocprim17ROCPRIM_400000_NS6detail17trampoline_kernelINS0_14default_configENS1_38merge_sort_block_merge_config_selectorIlNS0_10empty_typeEEEZZNS1_27merge_sort_block_merge_implIS3_PlPS5_mZN2at6native12_GLOBAL__N_124unique_dim_cuda_templateIsEESt5tupleIJNSA_6TensorESF_SF_EERKSF_lbbbEUlllE_EE10hipError_tT0_T1_T2_jT3_P12ihipStream_tbPNSt15iterator_traitsISL_E10value_typeEPNSR_ISM_E10value_typeEPSN_NS1_7vsmem_tEENKUlT_SL_SM_SN_E_clIS8_S8_S9_S9_EESK_S10_SL_SM_SN_EUlS10_E1_NS1_11comp_targetILNS1_3genE9ELNS1_11target_archE1100ELNS1_3gpuE3ELNS1_3repE0EEENS1_36merge_oddeven_config_static_selectorELNS0_4arch9wavefront6targetE0EEEvSM_: ; @_ZN7rocprim17ROCPRIM_400000_NS6detail17trampoline_kernelINS0_14default_configENS1_38merge_sort_block_merge_config_selectorIlNS0_10empty_typeEEEZZNS1_27merge_sort_block_merge_implIS3_PlPS5_mZN2at6native12_GLOBAL__N_124unique_dim_cuda_templateIsEESt5tupleIJNSA_6TensorESF_SF_EERKSF_lbbbEUlllE_EE10hipError_tT0_T1_T2_jT3_P12ihipStream_tbPNSt15iterator_traitsISL_E10value_typeEPNSR_ISM_E10value_typeEPSN_NS1_7vsmem_tEENKUlT_SL_SM_SN_E_clIS8_S8_S9_S9_EESK_S10_SL_SM_SN_EUlS10_E1_NS1_11comp_targetILNS1_3genE9ELNS1_11target_archE1100ELNS1_3gpuE3ELNS1_3repE0EEENS1_36merge_oddeven_config_static_selectorELNS0_4arch9wavefront6targetE0EEEvSM_
; %bb.0:
	s_load_b32 s3, s[0:1], 0x20
	s_waitcnt lgkmcnt(0)
	s_lshr_b32 s2, s3, 8
	s_delay_alu instid0(SALU_CYCLE_1) | instskip(SKIP_4) | instid1(SALU_CYCLE_1)
	s_cmp_lg_u32 s15, s2
	s_cselect_b32 s8, -1, 0
	s_cmp_eq_u32 s15, s2
	s_cselect_b32 s14, -1, 0
	s_lshl_b32 s12, s15, 8
	s_sub_i32 s2, s3, s12
	s_delay_alu instid0(SALU_CYCLE_1) | instskip(NEXT) | instid1(VALU_DEP_1)
	v_cmp_gt_u32_e64 s2, s2, v0
	s_or_b32 s4, s8, s2
	s_delay_alu instid0(SALU_CYCLE_1)
	s_and_saveexec_b32 s5, s4
	s_cbranch_execz .LBB658_54
; %bb.1:
	s_clause 0x1
	s_load_b128 s[4:7], s[0:1], 0x0
	s_load_b32 s18, s[0:1], 0x28
	s_mov_b32 s13, 0
	v_lshlrev_b32_e32 v1, 3, v0
	s_lshl_b64 s[10:11], s[12:13], 3
	s_waitcnt lgkmcnt(0)
	s_add_u32 s10, s4, s10
	s_addc_u32 s11, s5, s11
	s_lshr_b32 s9, s18, 8
	global_load_b64 v[1:2], v1, s[10:11]
	s_sub_i32 s10, 0, s9
	s_delay_alu instid0(SALU_CYCLE_1) | instskip(NEXT) | instid1(SALU_CYCLE_1)
	s_and_b32 s10, s15, s10
	s_and_b32 s9, s10, s9
	s_delay_alu instid0(SALU_CYCLE_1)
	s_cmp_lg_u32 s9, 0
	s_cselect_b32 s16, -1, 0
	s_lshl_b32 s15, s10, 8
	s_sub_i32 s10, 0, s18
	s_cmp_eq_u32 s9, 0
	s_cselect_b32 s17, s18, s10
	s_delay_alu instid0(SALU_CYCLE_1) | instskip(NEXT) | instid1(SALU_CYCLE_1)
	s_add_i32 s17, s17, s15
	s_cmp_lt_u32 s17, s3
	s_cbranch_scc1 .LBB658_3
; %bb.2:
	v_add_nc_u32_e32 v3, s12, v0
	s_delay_alu instid0(VALU_DEP_1) | instskip(SKIP_1) | instid1(SALU_CYCLE_1)
	v_cmp_gt_u32_e32 vcc_lo, s3, v3
	s_or_b32 s9, vcc_lo, s8
	s_and_b32 s13, s9, exec_lo
	s_cbranch_execz .LBB658_4
	s_branch .LBB658_52
.LBB658_3:
                                        ; implicit-def: $vgpr3
.LBB658_4:
	s_load_b128 s[8:11], s[0:1], 0x30
	v_add_nc_u32_e32 v0, s12, v0
	s_min_u32 s1, s17, s3
	s_and_b32 vcc_lo, exec_lo, s14
	s_add_i32 s0, s15, s1
	s_add_i32 s12, s1, s18
	v_subrev_nc_u32_e32 v0, s0, v0
	s_min_u32 s0, s15, s1
	s_min_u32 s12, s12, s3
	s_delay_alu instid0(VALU_DEP_1)
	v_add_nc_u32_e32 v0, s0, v0
	s_cbranch_vccz .LBB658_26
; %bb.5:
                                        ; implicit-def: $vgpr3
	s_and_saveexec_b32 s18, s2
	s_cbranch_execz .LBB658_29
; %bb.6:
	v_mov_b32_e32 v13, s1
	s_cmp_ge_u32 s17, s12
	s_cbranch_scc1 .LBB658_28
; %bb.7:
	s_waitcnt vmcnt(0) lgkmcnt(0)
	v_mul_lo_u32 v5, v2, s8
	v_mul_lo_u32 v6, v1, s9
	v_mad_u64_u32 v[3:4], null, v1, s8, 0
	v_cmp_gt_i64_e64 s19, s[8:9], 0
	v_dual_mov_b32 v14, s12 :: v_dual_mov_b32 v13, s1
	s_lshl_b64 s[2:3], s[8:9], 1
	s_mov_b32 s20, 0
	s_delay_alu instid0(VALU_DEP_3) | instskip(NEXT) | instid1(VALU_DEP_1)
	v_add3_u32 v4, v4, v6, v5
	v_lshlrev_b64 v[5:6], 1, v[3:4]
	v_mov_b32_e32 v4, 0
	s_delay_alu instid0(VALU_DEP_2) | instskip(NEXT) | instid1(VALU_DEP_3)
	v_add_co_u32 v5, vcc_lo, s10, v5
	v_add_co_ci_u32_e32 v6, vcc_lo, s11, v6, vcc_lo
	s_branch .LBB658_10
.LBB658_8:                              ;   in Loop: Header=BB658_10 Depth=1
	s_set_inst_prefetch_distance 0x2
	s_or_b32 exec_lo, exec_lo, s22
.LBB658_9:                              ;   in Loop: Header=BB658_10 Depth=1
	s_waitcnt vmcnt(0)
	v_add_nc_u32_e32 v7, 1, v3
	v_cndmask_b32_e64 v14, v3, v14, s21
	s_delay_alu instid0(VALU_DEP_2) | instskip(NEXT) | instid1(VALU_DEP_1)
	v_cndmask_b32_e64 v13, v13, v7, s21
	v_cmp_ge_u32_e32 vcc_lo, v13, v14
	s_or_b32 s20, vcc_lo, s20
	s_delay_alu instid0(SALU_CYCLE_1)
	s_and_not1_b32 exec_lo, exec_lo, s20
	s_cbranch_execz .LBB658_27
.LBB658_10:                             ; =>This Loop Header: Depth=1
                                        ;     Child Loop BB658_14 Depth 2
                                        ;     Child Loop BB658_23 Depth 2
	v_add_nc_u32_e32 v3, v13, v14
	s_mov_b32 s0, -1
                                        ; implicit-def: $sgpr21
	s_delay_alu instid0(VALU_DEP_1) | instskip(NEXT) | instid1(VALU_DEP_1)
	v_lshrrev_b32_e32 v3, 1, v3
	v_lshlrev_b64 v[7:8], 3, v[3:4]
	s_delay_alu instid0(VALU_DEP_1) | instskip(NEXT) | instid1(VALU_DEP_2)
	v_add_co_u32 v7, vcc_lo, s4, v7
	v_add_co_ci_u32_e32 v8, vcc_lo, s5, v8, vcc_lo
	s_and_not1_b32 vcc_lo, exec_lo, s16
	global_load_b64 v[7:8], v[7:8], off
	s_cbranch_vccnz .LBB658_19
; %bb.11:                               ;   in Loop: Header=BB658_10 Depth=1
	s_and_not1_b32 vcc_lo, exec_lo, s19
	s_cbranch_vccnz .LBB658_17
; %bb.12:                               ;   in Loop: Header=BB658_10 Depth=1
	s_waitcnt vmcnt(0)
	v_mad_u64_u32 v[9:10], null, s2, v7, s[10:11]
	v_mul_lo_u32 v11, s2, v8
	v_mul_lo_u32 v12, s3, v7
	s_mov_b32 s22, 0
	s_mov_b64 s[14:15], s[8:9]
                                        ; implicit-def: $sgpr21
                                        ; implicit-def: $sgpr23
                                        ; implicit-def: $sgpr24
                                        ; implicit-def: $sgpr25
                                        ; implicit-def: $sgpr26
	s_delay_alu instid0(VALU_DEP_1)
	v_add3_u32 v10, v12, v10, v11
	v_dual_mov_b32 v12, v6 :: v_dual_mov_b32 v11, v5
	s_set_inst_prefetch_distance 0x1
	s_branch .LBB658_14
	.p2align	6
.LBB658_13:                             ;   in Loop: Header=BB658_14 Depth=2
	s_or_b32 exec_lo, exec_lo, s0
	s_delay_alu instid0(SALU_CYCLE_1) | instskip(NEXT) | instid1(SALU_CYCLE_1)
	s_and_b32 s0, exec_lo, s23
	s_or_b32 s22, s0, s22
	s_and_not1_b32 s0, s26, exec_lo
	s_and_b32 s26, s24, exec_lo
	s_and_not1_b32 s21, s21, exec_lo
	s_and_b32 s27, s25, exec_lo
	s_or_b32 s26, s0, s26
	s_or_b32 s21, s21, s27
	s_and_not1_b32 exec_lo, exec_lo, s22
	s_cbranch_execz .LBB658_16
.LBB658_14:                             ;   Parent Loop BB658_10 Depth=1
                                        ; =>  This Inner Loop Header: Depth=2
	global_load_u16 v15, v[11:12], off
	global_load_u16 v16, v[9:10], off
	s_and_not1_b32 s25, s25, exec_lo
	s_and_not1_b32 s24, s24, exec_lo
	s_or_b32 s23, s23, exec_lo
	s_waitcnt vmcnt(0)
	v_cmp_le_i16_e32 vcc_lo, v15, v16
	v_cmp_lt_i16_e64 s0, v15, v16
	s_and_b32 s27, vcc_lo, s26
	s_delay_alu instid0(VALU_DEP_1) | instid1(SALU_CYCLE_1)
	s_or_b32 s27, s0, s27
	s_delay_alu instid0(SALU_CYCLE_1) | instskip(NEXT) | instid1(SALU_CYCLE_1)
	s_and_b32 s0, s27, exec_lo
	s_or_b32 s25, s25, s0
	s_mov_b32 s0, exec_lo
	v_cmpx_eq_u16_e64 v15, v16
	s_cbranch_execz .LBB658_13
; %bb.15:                               ;   in Loop: Header=BB658_14 Depth=2
	s_add_u32 s14, s14, -1
	s_addc_u32 s15, s15, -1
	v_add_co_u32 v11, vcc_lo, v11, 2
	s_cmp_eq_u64 s[14:15], 0
	v_add_co_ci_u32_e32 v12, vcc_lo, 0, v12, vcc_lo
	s_cselect_b32 s26, -1, 0
	v_add_co_u32 v9, vcc_lo, v9, 2
	s_and_not1_b32 s24, s24, exec_lo
	s_and_b32 s27, s27, exec_lo
	s_and_not1_b32 s23, s23, exec_lo
	s_and_b32 s26, s26, exec_lo
	v_add_co_ci_u32_e32 v10, vcc_lo, 0, v10, vcc_lo
	s_and_not1_b32 s25, s25, exec_lo
	s_or_b32 s24, s24, s27
	s_or_b32 s23, s23, s26
                                        ; implicit-def: $sgpr26
	s_branch .LBB658_13
.LBB658_16:                             ;   in Loop: Header=BB658_10 Depth=1
	s_set_inst_prefetch_distance 0x2
	s_or_b32 exec_lo, exec_lo, s22
	s_branch .LBB658_18
.LBB658_17:                             ;   in Loop: Header=BB658_10 Depth=1
	s_mov_b32 s21, 0
.LBB658_18:                             ;   in Loop: Header=BB658_10 Depth=1
	s_delay_alu instid0(SALU_CYCLE_1)
	s_xor_b32 s21, s21, -1
	s_mov_b32 s0, 0
.LBB658_19:                             ;   in Loop: Header=BB658_10 Depth=1
	s_delay_alu instid0(SALU_CYCLE_1)
	s_and_b32 vcc_lo, exec_lo, s0
	s_cbranch_vccz .LBB658_9
; %bb.20:                               ;   in Loop: Header=BB658_10 Depth=1
	s_and_not1_b32 vcc_lo, exec_lo, s19
	s_cbranch_vccnz .LBB658_25
; %bb.21:                               ;   in Loop: Header=BB658_10 Depth=1
	s_waitcnt vmcnt(0)
	v_mad_u64_u32 v[9:10], null, s2, v7, s[10:11]
	v_mul_lo_u32 v8, s2, v8
	v_mul_lo_u32 v7, s3, v7
	s_mov_b32 s22, 0
	s_mov_b64 s[14:15], s[8:9]
                                        ; implicit-def: $sgpr21
                                        ; implicit-def: $sgpr23
                                        ; implicit-def: $sgpr24
                                        ; implicit-def: $sgpr25
                                        ; implicit-def: $sgpr26
	s_delay_alu instid0(VALU_DEP_1)
	v_add3_u32 v10, v7, v10, v8
	v_dual_mov_b32 v8, v6 :: v_dual_mov_b32 v7, v5
	s_set_inst_prefetch_distance 0x1
	s_branch .LBB658_23
	.p2align	6
.LBB658_22:                             ;   in Loop: Header=BB658_23 Depth=2
	s_or_b32 exec_lo, exec_lo, s0
	s_delay_alu instid0(SALU_CYCLE_1) | instskip(NEXT) | instid1(SALU_CYCLE_1)
	s_and_b32 s0, exec_lo, s23
	s_or_b32 s22, s0, s22
	s_and_not1_b32 s0, s26, exec_lo
	s_and_b32 s26, s24, exec_lo
	s_and_not1_b32 s21, s21, exec_lo
	s_and_b32 s27, s25, exec_lo
	s_or_b32 s26, s0, s26
	s_or_b32 s21, s21, s27
	s_and_not1_b32 exec_lo, exec_lo, s22
	s_cbranch_execz .LBB658_8
.LBB658_23:                             ;   Parent Loop BB658_10 Depth=1
                                        ; =>  This Inner Loop Header: Depth=2
	global_load_u16 v11, v[9:10], off
	global_load_u16 v12, v[7:8], off
	s_and_not1_b32 s25, s25, exec_lo
	s_and_not1_b32 s24, s24, exec_lo
	s_or_b32 s23, s23, exec_lo
	s_waitcnt vmcnt(0)
	v_cmp_le_i16_e32 vcc_lo, v11, v12
	v_cmp_lt_i16_e64 s0, v11, v12
	s_and_b32 s27, vcc_lo, s26
	s_delay_alu instid0(VALU_DEP_1) | instid1(SALU_CYCLE_1)
	s_or_b32 s27, s0, s27
	s_delay_alu instid0(SALU_CYCLE_1) | instskip(NEXT) | instid1(SALU_CYCLE_1)
	s_and_b32 s0, s27, exec_lo
	s_or_b32 s25, s25, s0
	s_mov_b32 s0, exec_lo
	v_cmpx_eq_u16_e64 v11, v12
	s_cbranch_execz .LBB658_22
; %bb.24:                               ;   in Loop: Header=BB658_23 Depth=2
	s_add_u32 s14, s14, -1
	s_addc_u32 s15, s15, -1
	v_add_co_u32 v9, vcc_lo, v9, 2
	s_cmp_eq_u64 s[14:15], 0
	v_add_co_ci_u32_e32 v10, vcc_lo, 0, v10, vcc_lo
	s_cselect_b32 s26, -1, 0
	v_add_co_u32 v7, vcc_lo, v7, 2
	s_and_not1_b32 s24, s24, exec_lo
	s_and_b32 s27, s27, exec_lo
	s_and_not1_b32 s23, s23, exec_lo
	s_and_b32 s26, s26, exec_lo
	v_add_co_ci_u32_e32 v8, vcc_lo, 0, v8, vcc_lo
	s_and_not1_b32 s25, s25, exec_lo
	s_or_b32 s24, s24, s27
	s_or_b32 s23, s23, s26
                                        ; implicit-def: $sgpr26
	s_branch .LBB658_22
.LBB658_25:                             ;   in Loop: Header=BB658_10 Depth=1
	s_mov_b32 s21, 0
	s_branch .LBB658_9
.LBB658_26:
                                        ; implicit-def: $vgpr3
	s_cbranch_execnz .LBB658_30
	s_branch .LBB658_52
.LBB658_27:
	s_or_b32 exec_lo, exec_lo, s20
.LBB658_28:
	s_delay_alu instid0(VALU_DEP_1)
	v_add_nc_u32_e32 v3, v13, v0
	s_or_b32 s13, s13, exec_lo
.LBB658_29:
	s_or_b32 exec_lo, exec_lo, s18
	s_branch .LBB658_52
.LBB658_30:
	v_mov_b32_e32 v13, s1
	s_cmp_ge_u32 s17, s12
	s_cbranch_scc1 .LBB658_51
; %bb.31:
	s_waitcnt vmcnt(0) lgkmcnt(0)
	v_mul_lo_u32 v5, v2, s8
	v_mul_lo_u32 v6, v1, s9
	v_mad_u64_u32 v[3:4], null, v1, s8, 0
	v_dual_mov_b32 v14, s12 :: v_dual_mov_b32 v13, s1
	v_cmp_gt_i64_e64 s1, s[8:9], 0
	s_lshl_b64 s[2:3], s[8:9], 1
	s_mov_b32 s14, 0
	s_delay_alu instid0(VALU_DEP_3) | instskip(NEXT) | instid1(VALU_DEP_2)
	v_add3_u32 v4, v4, v6, v5
	v_cndmask_b32_e64 v15, 0, 1, s1
	s_delay_alu instid0(VALU_DEP_2) | instskip(SKIP_1) | instid1(VALU_DEP_2)
	v_lshlrev_b64 v[5:6], 1, v[3:4]
	v_mov_b32_e32 v4, 0
	v_add_co_u32 v5, vcc_lo, s10, v5
	s_delay_alu instid0(VALU_DEP_3)
	v_add_co_ci_u32_e32 v6, vcc_lo, s11, v6, vcc_lo
	s_branch .LBB658_34
.LBB658_32:                             ;   in Loop: Header=BB658_34 Depth=1
	s_set_inst_prefetch_distance 0x2
	s_or_b32 exec_lo, exec_lo, s17
.LBB658_33:                             ;   in Loop: Header=BB658_34 Depth=1
	s_waitcnt vmcnt(0)
	v_add_nc_u32_e32 v7, 1, v3
	v_cndmask_b32_e64 v14, v3, v14, s15
	s_delay_alu instid0(VALU_DEP_2) | instskip(NEXT) | instid1(VALU_DEP_1)
	v_cndmask_b32_e64 v13, v13, v7, s15
	v_cmp_ge_u32_e32 vcc_lo, v13, v14
	s_or_b32 s14, vcc_lo, s14
	s_delay_alu instid0(SALU_CYCLE_1)
	s_and_not1_b32 exec_lo, exec_lo, s14
	s_cbranch_execz .LBB658_50
.LBB658_34:                             ; =>This Loop Header: Depth=1
                                        ;     Child Loop BB658_38 Depth 2
                                        ;     Child Loop BB658_47 Depth 2
	v_add_nc_u32_e32 v3, v13, v14
	v_cmp_ne_u32_e64 s0, 1, v15
	s_mov_b32 s12, -1
                                        ; implicit-def: $sgpr15
	s_delay_alu instid0(VALU_DEP_2) | instskip(NEXT) | instid1(VALU_DEP_1)
	v_lshrrev_b32_e32 v3, 1, v3
	v_lshlrev_b64 v[7:8], 3, v[3:4]
	s_delay_alu instid0(VALU_DEP_1) | instskip(NEXT) | instid1(VALU_DEP_2)
	v_add_co_u32 v7, vcc_lo, s4, v7
	v_add_co_ci_u32_e32 v8, vcc_lo, s5, v8, vcc_lo
	s_and_not1_b32 vcc_lo, exec_lo, s16
	global_load_b64 v[7:8], v[7:8], off
	s_cbranch_vccnz .LBB658_43
; %bb.35:                               ;   in Loop: Header=BB658_34 Depth=1
	s_and_b32 vcc_lo, exec_lo, s0
	s_cbranch_vccnz .LBB658_41
; %bb.36:                               ;   in Loop: Header=BB658_34 Depth=1
	s_waitcnt vmcnt(0)
	v_mad_u64_u32 v[9:10], null, s2, v7, s[10:11]
	v_mul_lo_u32 v11, s2, v8
	v_mul_lo_u32 v12, s3, v7
	s_mov_b32 s17, 0
	s_mov_b64 s[12:13], s[8:9]
                                        ; implicit-def: $sgpr15
                                        ; implicit-def: $sgpr18
                                        ; implicit-def: $sgpr19
                                        ; implicit-def: $sgpr20
                                        ; implicit-def: $sgpr21
	s_delay_alu instid0(VALU_DEP_1)
	v_add3_u32 v10, v12, v10, v11
	v_dual_mov_b32 v12, v6 :: v_dual_mov_b32 v11, v5
	s_set_inst_prefetch_distance 0x1
	s_branch .LBB658_38
	.p2align	6
.LBB658_37:                             ;   in Loop: Header=BB658_38 Depth=2
	s_or_b32 exec_lo, exec_lo, s0
	s_delay_alu instid0(SALU_CYCLE_1) | instskip(NEXT) | instid1(SALU_CYCLE_1)
	s_and_b32 s0, exec_lo, s18
	s_or_b32 s17, s0, s17
	s_and_not1_b32 s0, s21, exec_lo
	s_and_b32 s21, s19, exec_lo
	s_and_not1_b32 s15, s15, exec_lo
	s_and_b32 s22, s20, exec_lo
	s_or_b32 s21, s0, s21
	s_or_b32 s15, s15, s22
	s_and_not1_b32 exec_lo, exec_lo, s17
	s_cbranch_execz .LBB658_40
.LBB658_38:                             ;   Parent Loop BB658_34 Depth=1
                                        ; =>  This Inner Loop Header: Depth=2
	global_load_u16 v16, v[11:12], off
	global_load_u16 v17, v[9:10], off
	s_and_not1_b32 s20, s20, exec_lo
	s_and_not1_b32 s19, s19, exec_lo
	s_or_b32 s18, s18, exec_lo
	s_waitcnt vmcnt(0)
	v_cmp_le_i16_e32 vcc_lo, v16, v17
	v_cmp_lt_i16_e64 s0, v16, v17
	s_and_b32 s22, vcc_lo, s21
	s_delay_alu instid0(VALU_DEP_1) | instid1(SALU_CYCLE_1)
	s_or_b32 s22, s0, s22
	s_delay_alu instid0(SALU_CYCLE_1) | instskip(NEXT) | instid1(SALU_CYCLE_1)
	s_and_b32 s0, s22, exec_lo
	s_or_b32 s20, s20, s0
	s_mov_b32 s0, exec_lo
	v_cmpx_eq_u16_e64 v16, v17
	s_cbranch_execz .LBB658_37
; %bb.39:                               ;   in Loop: Header=BB658_38 Depth=2
	s_add_u32 s12, s12, -1
	s_addc_u32 s13, s13, -1
	v_add_co_u32 v11, vcc_lo, v11, 2
	s_cmp_eq_u64 s[12:13], 0
	v_add_co_ci_u32_e32 v12, vcc_lo, 0, v12, vcc_lo
	s_cselect_b32 s21, -1, 0
	v_add_co_u32 v9, vcc_lo, v9, 2
	s_and_not1_b32 s19, s19, exec_lo
	s_and_b32 s22, s22, exec_lo
	s_and_not1_b32 s18, s18, exec_lo
	s_and_b32 s21, s21, exec_lo
	v_add_co_ci_u32_e32 v10, vcc_lo, 0, v10, vcc_lo
	s_and_not1_b32 s20, s20, exec_lo
	s_or_b32 s19, s19, s22
	s_or_b32 s18, s18, s21
                                        ; implicit-def: $sgpr21
	s_branch .LBB658_37
.LBB658_40:                             ;   in Loop: Header=BB658_34 Depth=1
	s_set_inst_prefetch_distance 0x2
	s_or_b32 exec_lo, exec_lo, s17
	s_branch .LBB658_42
.LBB658_41:                             ;   in Loop: Header=BB658_34 Depth=1
	s_mov_b32 s15, 0
.LBB658_42:                             ;   in Loop: Header=BB658_34 Depth=1
	s_delay_alu instid0(SALU_CYCLE_1)
	s_xor_b32 s15, s15, -1
	s_mov_b32 s12, 0
.LBB658_43:                             ;   in Loop: Header=BB658_34 Depth=1
	s_delay_alu instid0(SALU_CYCLE_1)
	s_and_b32 vcc_lo, exec_lo, s12
	s_cbranch_vccz .LBB658_33
; %bb.44:                               ;   in Loop: Header=BB658_34 Depth=1
	s_and_not1_b32 vcc_lo, exec_lo, s1
	s_cbranch_vccnz .LBB658_49
; %bb.45:                               ;   in Loop: Header=BB658_34 Depth=1
	s_waitcnt vmcnt(0)
	v_mad_u64_u32 v[9:10], null, s2, v7, s[10:11]
	v_mul_lo_u32 v8, s2, v8
	v_mul_lo_u32 v7, s3, v7
	s_mov_b32 s17, 0
	s_mov_b64 s[12:13], s[8:9]
                                        ; implicit-def: $sgpr15
                                        ; implicit-def: $sgpr18
                                        ; implicit-def: $sgpr19
                                        ; implicit-def: $sgpr20
                                        ; implicit-def: $sgpr21
	s_delay_alu instid0(VALU_DEP_1)
	v_add3_u32 v10, v7, v10, v8
	v_dual_mov_b32 v8, v6 :: v_dual_mov_b32 v7, v5
	s_set_inst_prefetch_distance 0x1
	s_branch .LBB658_47
	.p2align	6
.LBB658_46:                             ;   in Loop: Header=BB658_47 Depth=2
	s_or_b32 exec_lo, exec_lo, s0
	s_delay_alu instid0(SALU_CYCLE_1) | instskip(NEXT) | instid1(SALU_CYCLE_1)
	s_and_b32 s0, exec_lo, s18
	s_or_b32 s17, s0, s17
	s_and_not1_b32 s0, s21, exec_lo
	s_and_b32 s21, s19, exec_lo
	s_and_not1_b32 s15, s15, exec_lo
	s_and_b32 s22, s20, exec_lo
	s_or_b32 s21, s0, s21
	s_or_b32 s15, s15, s22
	s_and_not1_b32 exec_lo, exec_lo, s17
	s_cbranch_execz .LBB658_32
.LBB658_47:                             ;   Parent Loop BB658_34 Depth=1
                                        ; =>  This Inner Loop Header: Depth=2
	global_load_u16 v11, v[9:10], off
	global_load_u16 v12, v[7:8], off
	s_and_not1_b32 s20, s20, exec_lo
	s_and_not1_b32 s19, s19, exec_lo
	s_or_b32 s18, s18, exec_lo
	s_waitcnt vmcnt(0)
	v_cmp_le_i16_e32 vcc_lo, v11, v12
	v_cmp_lt_i16_e64 s0, v11, v12
	s_and_b32 s22, vcc_lo, s21
	s_delay_alu instid0(VALU_DEP_1) | instid1(SALU_CYCLE_1)
	s_or_b32 s22, s0, s22
	s_delay_alu instid0(SALU_CYCLE_1) | instskip(NEXT) | instid1(SALU_CYCLE_1)
	s_and_b32 s0, s22, exec_lo
	s_or_b32 s20, s20, s0
	s_mov_b32 s0, exec_lo
	v_cmpx_eq_u16_e64 v11, v12
	s_cbranch_execz .LBB658_46
; %bb.48:                               ;   in Loop: Header=BB658_47 Depth=2
	s_add_u32 s12, s12, -1
	s_addc_u32 s13, s13, -1
	v_add_co_u32 v9, vcc_lo, v9, 2
	s_cmp_eq_u64 s[12:13], 0
	v_add_co_ci_u32_e32 v10, vcc_lo, 0, v10, vcc_lo
	s_cselect_b32 s21, -1, 0
	v_add_co_u32 v7, vcc_lo, v7, 2
	s_and_not1_b32 s19, s19, exec_lo
	s_and_b32 s22, s22, exec_lo
	s_and_not1_b32 s18, s18, exec_lo
	s_and_b32 s21, s21, exec_lo
	v_add_co_ci_u32_e32 v8, vcc_lo, 0, v8, vcc_lo
	s_and_not1_b32 s20, s20, exec_lo
	s_or_b32 s19, s19, s22
	s_or_b32 s18, s18, s21
                                        ; implicit-def: $sgpr21
	s_branch .LBB658_46
.LBB658_49:                             ;   in Loop: Header=BB658_34 Depth=1
	s_mov_b32 s15, 0
	s_branch .LBB658_33
.LBB658_50:
	s_or_b32 exec_lo, exec_lo, s14
.LBB658_51:
	s_delay_alu instid0(VALU_DEP_1)
	v_add_nc_u32_e32 v3, v13, v0
	s_mov_b32 s13, -1
.LBB658_52:
	s_delay_alu instid0(SALU_CYCLE_1)
	s_and_b32 exec_lo, exec_lo, s13
	s_cbranch_execz .LBB658_54
; %bb.53:
	v_mov_b32_e32 v4, 0
	s_delay_alu instid0(VALU_DEP_1) | instskip(NEXT) | instid1(VALU_DEP_1)
	v_lshlrev_b64 v[3:4], 3, v[3:4]
	v_add_co_u32 v3, vcc_lo, s6, v3
	s_delay_alu instid0(VALU_DEP_2)
	v_add_co_ci_u32_e32 v4, vcc_lo, s7, v4, vcc_lo
	s_waitcnt vmcnt(0)
	global_store_b64 v[3:4], v[1:2], off
.LBB658_54:
	s_nop 0
	s_sendmsg sendmsg(MSG_DEALLOC_VGPRS)
	s_endpgm
	.section	.rodata,"a",@progbits
	.p2align	6, 0x0
	.amdhsa_kernel _ZN7rocprim17ROCPRIM_400000_NS6detail17trampoline_kernelINS0_14default_configENS1_38merge_sort_block_merge_config_selectorIlNS0_10empty_typeEEEZZNS1_27merge_sort_block_merge_implIS3_PlPS5_mZN2at6native12_GLOBAL__N_124unique_dim_cuda_templateIsEESt5tupleIJNSA_6TensorESF_SF_EERKSF_lbbbEUlllE_EE10hipError_tT0_T1_T2_jT3_P12ihipStream_tbPNSt15iterator_traitsISL_E10value_typeEPNSR_ISM_E10value_typeEPSN_NS1_7vsmem_tEENKUlT_SL_SM_SN_E_clIS8_S8_S9_S9_EESK_S10_SL_SM_SN_EUlS10_E1_NS1_11comp_targetILNS1_3genE9ELNS1_11target_archE1100ELNS1_3gpuE3ELNS1_3repE0EEENS1_36merge_oddeven_config_static_selectorELNS0_4arch9wavefront6targetE0EEEvSM_
		.amdhsa_group_segment_fixed_size 0
		.amdhsa_private_segment_fixed_size 0
		.amdhsa_kernarg_size 64
		.amdhsa_user_sgpr_count 15
		.amdhsa_user_sgpr_dispatch_ptr 0
		.amdhsa_user_sgpr_queue_ptr 0
		.amdhsa_user_sgpr_kernarg_segment_ptr 1
		.amdhsa_user_sgpr_dispatch_id 0
		.amdhsa_user_sgpr_private_segment_size 0
		.amdhsa_wavefront_size32 1
		.amdhsa_uses_dynamic_stack 0
		.amdhsa_enable_private_segment 0
		.amdhsa_system_sgpr_workgroup_id_x 1
		.amdhsa_system_sgpr_workgroup_id_y 0
		.amdhsa_system_sgpr_workgroup_id_z 0
		.amdhsa_system_sgpr_workgroup_info 0
		.amdhsa_system_vgpr_workitem_id 0
		.amdhsa_next_free_vgpr 18
		.amdhsa_next_free_sgpr 28
		.amdhsa_reserve_vcc 1
		.amdhsa_float_round_mode_32 0
		.amdhsa_float_round_mode_16_64 0
		.amdhsa_float_denorm_mode_32 3
		.amdhsa_float_denorm_mode_16_64 3
		.amdhsa_dx10_clamp 1
		.amdhsa_ieee_mode 1
		.amdhsa_fp16_overflow 0
		.amdhsa_workgroup_processor_mode 1
		.amdhsa_memory_ordered 1
		.amdhsa_forward_progress 0
		.amdhsa_shared_vgpr_count 0
		.amdhsa_exception_fp_ieee_invalid_op 0
		.amdhsa_exception_fp_denorm_src 0
		.amdhsa_exception_fp_ieee_div_zero 0
		.amdhsa_exception_fp_ieee_overflow 0
		.amdhsa_exception_fp_ieee_underflow 0
		.amdhsa_exception_fp_ieee_inexact 0
		.amdhsa_exception_int_div_zero 0
	.end_amdhsa_kernel
	.section	.text._ZN7rocprim17ROCPRIM_400000_NS6detail17trampoline_kernelINS0_14default_configENS1_38merge_sort_block_merge_config_selectorIlNS0_10empty_typeEEEZZNS1_27merge_sort_block_merge_implIS3_PlPS5_mZN2at6native12_GLOBAL__N_124unique_dim_cuda_templateIsEESt5tupleIJNSA_6TensorESF_SF_EERKSF_lbbbEUlllE_EE10hipError_tT0_T1_T2_jT3_P12ihipStream_tbPNSt15iterator_traitsISL_E10value_typeEPNSR_ISM_E10value_typeEPSN_NS1_7vsmem_tEENKUlT_SL_SM_SN_E_clIS8_S8_S9_S9_EESK_S10_SL_SM_SN_EUlS10_E1_NS1_11comp_targetILNS1_3genE9ELNS1_11target_archE1100ELNS1_3gpuE3ELNS1_3repE0EEENS1_36merge_oddeven_config_static_selectorELNS0_4arch9wavefront6targetE0EEEvSM_,"axG",@progbits,_ZN7rocprim17ROCPRIM_400000_NS6detail17trampoline_kernelINS0_14default_configENS1_38merge_sort_block_merge_config_selectorIlNS0_10empty_typeEEEZZNS1_27merge_sort_block_merge_implIS3_PlPS5_mZN2at6native12_GLOBAL__N_124unique_dim_cuda_templateIsEESt5tupleIJNSA_6TensorESF_SF_EERKSF_lbbbEUlllE_EE10hipError_tT0_T1_T2_jT3_P12ihipStream_tbPNSt15iterator_traitsISL_E10value_typeEPNSR_ISM_E10value_typeEPSN_NS1_7vsmem_tEENKUlT_SL_SM_SN_E_clIS8_S8_S9_S9_EESK_S10_SL_SM_SN_EUlS10_E1_NS1_11comp_targetILNS1_3genE9ELNS1_11target_archE1100ELNS1_3gpuE3ELNS1_3repE0EEENS1_36merge_oddeven_config_static_selectorELNS0_4arch9wavefront6targetE0EEEvSM_,comdat
.Lfunc_end658:
	.size	_ZN7rocprim17ROCPRIM_400000_NS6detail17trampoline_kernelINS0_14default_configENS1_38merge_sort_block_merge_config_selectorIlNS0_10empty_typeEEEZZNS1_27merge_sort_block_merge_implIS3_PlPS5_mZN2at6native12_GLOBAL__N_124unique_dim_cuda_templateIsEESt5tupleIJNSA_6TensorESF_SF_EERKSF_lbbbEUlllE_EE10hipError_tT0_T1_T2_jT3_P12ihipStream_tbPNSt15iterator_traitsISL_E10value_typeEPNSR_ISM_E10value_typeEPSN_NS1_7vsmem_tEENKUlT_SL_SM_SN_E_clIS8_S8_S9_S9_EESK_S10_SL_SM_SN_EUlS10_E1_NS1_11comp_targetILNS1_3genE9ELNS1_11target_archE1100ELNS1_3gpuE3ELNS1_3repE0EEENS1_36merge_oddeven_config_static_selectorELNS0_4arch9wavefront6targetE0EEEvSM_, .Lfunc_end658-_ZN7rocprim17ROCPRIM_400000_NS6detail17trampoline_kernelINS0_14default_configENS1_38merge_sort_block_merge_config_selectorIlNS0_10empty_typeEEEZZNS1_27merge_sort_block_merge_implIS3_PlPS5_mZN2at6native12_GLOBAL__N_124unique_dim_cuda_templateIsEESt5tupleIJNSA_6TensorESF_SF_EERKSF_lbbbEUlllE_EE10hipError_tT0_T1_T2_jT3_P12ihipStream_tbPNSt15iterator_traitsISL_E10value_typeEPNSR_ISM_E10value_typeEPSN_NS1_7vsmem_tEENKUlT_SL_SM_SN_E_clIS8_S8_S9_S9_EESK_S10_SL_SM_SN_EUlS10_E1_NS1_11comp_targetILNS1_3genE9ELNS1_11target_archE1100ELNS1_3gpuE3ELNS1_3repE0EEENS1_36merge_oddeven_config_static_selectorELNS0_4arch9wavefront6targetE0EEEvSM_
                                        ; -- End function
	.section	.AMDGPU.csdata,"",@progbits
; Kernel info:
; codeLenInByte = 2052
; NumSgprs: 30
; NumVgprs: 18
; ScratchSize: 0
; MemoryBound: 0
; FloatMode: 240
; IeeeMode: 1
; LDSByteSize: 0 bytes/workgroup (compile time only)
; SGPRBlocks: 3
; VGPRBlocks: 2
; NumSGPRsForWavesPerEU: 30
; NumVGPRsForWavesPerEU: 18
; Occupancy: 16
; WaveLimiterHint : 0
; COMPUTE_PGM_RSRC2:SCRATCH_EN: 0
; COMPUTE_PGM_RSRC2:USER_SGPR: 15
; COMPUTE_PGM_RSRC2:TRAP_HANDLER: 0
; COMPUTE_PGM_RSRC2:TGID_X_EN: 1
; COMPUTE_PGM_RSRC2:TGID_Y_EN: 0
; COMPUTE_PGM_RSRC2:TGID_Z_EN: 0
; COMPUTE_PGM_RSRC2:TIDIG_COMP_CNT: 0
	.section	.text._ZN7rocprim17ROCPRIM_400000_NS6detail17trampoline_kernelINS0_14default_configENS1_38merge_sort_block_merge_config_selectorIlNS0_10empty_typeEEEZZNS1_27merge_sort_block_merge_implIS3_PlPS5_mZN2at6native12_GLOBAL__N_124unique_dim_cuda_templateIsEESt5tupleIJNSA_6TensorESF_SF_EERKSF_lbbbEUlllE_EE10hipError_tT0_T1_T2_jT3_P12ihipStream_tbPNSt15iterator_traitsISL_E10value_typeEPNSR_ISM_E10value_typeEPSN_NS1_7vsmem_tEENKUlT_SL_SM_SN_E_clIS8_S8_S9_S9_EESK_S10_SL_SM_SN_EUlS10_E1_NS1_11comp_targetILNS1_3genE8ELNS1_11target_archE1030ELNS1_3gpuE2ELNS1_3repE0EEENS1_36merge_oddeven_config_static_selectorELNS0_4arch9wavefront6targetE0EEEvSM_,"axG",@progbits,_ZN7rocprim17ROCPRIM_400000_NS6detail17trampoline_kernelINS0_14default_configENS1_38merge_sort_block_merge_config_selectorIlNS0_10empty_typeEEEZZNS1_27merge_sort_block_merge_implIS3_PlPS5_mZN2at6native12_GLOBAL__N_124unique_dim_cuda_templateIsEESt5tupleIJNSA_6TensorESF_SF_EERKSF_lbbbEUlllE_EE10hipError_tT0_T1_T2_jT3_P12ihipStream_tbPNSt15iterator_traitsISL_E10value_typeEPNSR_ISM_E10value_typeEPSN_NS1_7vsmem_tEENKUlT_SL_SM_SN_E_clIS8_S8_S9_S9_EESK_S10_SL_SM_SN_EUlS10_E1_NS1_11comp_targetILNS1_3genE8ELNS1_11target_archE1030ELNS1_3gpuE2ELNS1_3repE0EEENS1_36merge_oddeven_config_static_selectorELNS0_4arch9wavefront6targetE0EEEvSM_,comdat
	.globl	_ZN7rocprim17ROCPRIM_400000_NS6detail17trampoline_kernelINS0_14default_configENS1_38merge_sort_block_merge_config_selectorIlNS0_10empty_typeEEEZZNS1_27merge_sort_block_merge_implIS3_PlPS5_mZN2at6native12_GLOBAL__N_124unique_dim_cuda_templateIsEESt5tupleIJNSA_6TensorESF_SF_EERKSF_lbbbEUlllE_EE10hipError_tT0_T1_T2_jT3_P12ihipStream_tbPNSt15iterator_traitsISL_E10value_typeEPNSR_ISM_E10value_typeEPSN_NS1_7vsmem_tEENKUlT_SL_SM_SN_E_clIS8_S8_S9_S9_EESK_S10_SL_SM_SN_EUlS10_E1_NS1_11comp_targetILNS1_3genE8ELNS1_11target_archE1030ELNS1_3gpuE2ELNS1_3repE0EEENS1_36merge_oddeven_config_static_selectorELNS0_4arch9wavefront6targetE0EEEvSM_ ; -- Begin function _ZN7rocprim17ROCPRIM_400000_NS6detail17trampoline_kernelINS0_14default_configENS1_38merge_sort_block_merge_config_selectorIlNS0_10empty_typeEEEZZNS1_27merge_sort_block_merge_implIS3_PlPS5_mZN2at6native12_GLOBAL__N_124unique_dim_cuda_templateIsEESt5tupleIJNSA_6TensorESF_SF_EERKSF_lbbbEUlllE_EE10hipError_tT0_T1_T2_jT3_P12ihipStream_tbPNSt15iterator_traitsISL_E10value_typeEPNSR_ISM_E10value_typeEPSN_NS1_7vsmem_tEENKUlT_SL_SM_SN_E_clIS8_S8_S9_S9_EESK_S10_SL_SM_SN_EUlS10_E1_NS1_11comp_targetILNS1_3genE8ELNS1_11target_archE1030ELNS1_3gpuE2ELNS1_3repE0EEENS1_36merge_oddeven_config_static_selectorELNS0_4arch9wavefront6targetE0EEEvSM_
	.p2align	8
	.type	_ZN7rocprim17ROCPRIM_400000_NS6detail17trampoline_kernelINS0_14default_configENS1_38merge_sort_block_merge_config_selectorIlNS0_10empty_typeEEEZZNS1_27merge_sort_block_merge_implIS3_PlPS5_mZN2at6native12_GLOBAL__N_124unique_dim_cuda_templateIsEESt5tupleIJNSA_6TensorESF_SF_EERKSF_lbbbEUlllE_EE10hipError_tT0_T1_T2_jT3_P12ihipStream_tbPNSt15iterator_traitsISL_E10value_typeEPNSR_ISM_E10value_typeEPSN_NS1_7vsmem_tEENKUlT_SL_SM_SN_E_clIS8_S8_S9_S9_EESK_S10_SL_SM_SN_EUlS10_E1_NS1_11comp_targetILNS1_3genE8ELNS1_11target_archE1030ELNS1_3gpuE2ELNS1_3repE0EEENS1_36merge_oddeven_config_static_selectorELNS0_4arch9wavefront6targetE0EEEvSM_,@function
_ZN7rocprim17ROCPRIM_400000_NS6detail17trampoline_kernelINS0_14default_configENS1_38merge_sort_block_merge_config_selectorIlNS0_10empty_typeEEEZZNS1_27merge_sort_block_merge_implIS3_PlPS5_mZN2at6native12_GLOBAL__N_124unique_dim_cuda_templateIsEESt5tupleIJNSA_6TensorESF_SF_EERKSF_lbbbEUlllE_EE10hipError_tT0_T1_T2_jT3_P12ihipStream_tbPNSt15iterator_traitsISL_E10value_typeEPNSR_ISM_E10value_typeEPSN_NS1_7vsmem_tEENKUlT_SL_SM_SN_E_clIS8_S8_S9_S9_EESK_S10_SL_SM_SN_EUlS10_E1_NS1_11comp_targetILNS1_3genE8ELNS1_11target_archE1030ELNS1_3gpuE2ELNS1_3repE0EEENS1_36merge_oddeven_config_static_selectorELNS0_4arch9wavefront6targetE0EEEvSM_: ; @_ZN7rocprim17ROCPRIM_400000_NS6detail17trampoline_kernelINS0_14default_configENS1_38merge_sort_block_merge_config_selectorIlNS0_10empty_typeEEEZZNS1_27merge_sort_block_merge_implIS3_PlPS5_mZN2at6native12_GLOBAL__N_124unique_dim_cuda_templateIsEESt5tupleIJNSA_6TensorESF_SF_EERKSF_lbbbEUlllE_EE10hipError_tT0_T1_T2_jT3_P12ihipStream_tbPNSt15iterator_traitsISL_E10value_typeEPNSR_ISM_E10value_typeEPSN_NS1_7vsmem_tEENKUlT_SL_SM_SN_E_clIS8_S8_S9_S9_EESK_S10_SL_SM_SN_EUlS10_E1_NS1_11comp_targetILNS1_3genE8ELNS1_11target_archE1030ELNS1_3gpuE2ELNS1_3repE0EEENS1_36merge_oddeven_config_static_selectorELNS0_4arch9wavefront6targetE0EEEvSM_
; %bb.0:
	.section	.rodata,"a",@progbits
	.p2align	6, 0x0
	.amdhsa_kernel _ZN7rocprim17ROCPRIM_400000_NS6detail17trampoline_kernelINS0_14default_configENS1_38merge_sort_block_merge_config_selectorIlNS0_10empty_typeEEEZZNS1_27merge_sort_block_merge_implIS3_PlPS5_mZN2at6native12_GLOBAL__N_124unique_dim_cuda_templateIsEESt5tupleIJNSA_6TensorESF_SF_EERKSF_lbbbEUlllE_EE10hipError_tT0_T1_T2_jT3_P12ihipStream_tbPNSt15iterator_traitsISL_E10value_typeEPNSR_ISM_E10value_typeEPSN_NS1_7vsmem_tEENKUlT_SL_SM_SN_E_clIS8_S8_S9_S9_EESK_S10_SL_SM_SN_EUlS10_E1_NS1_11comp_targetILNS1_3genE8ELNS1_11target_archE1030ELNS1_3gpuE2ELNS1_3repE0EEENS1_36merge_oddeven_config_static_selectorELNS0_4arch9wavefront6targetE0EEEvSM_
		.amdhsa_group_segment_fixed_size 0
		.amdhsa_private_segment_fixed_size 0
		.amdhsa_kernarg_size 64
		.amdhsa_user_sgpr_count 15
		.amdhsa_user_sgpr_dispatch_ptr 0
		.amdhsa_user_sgpr_queue_ptr 0
		.amdhsa_user_sgpr_kernarg_segment_ptr 1
		.amdhsa_user_sgpr_dispatch_id 0
		.amdhsa_user_sgpr_private_segment_size 0
		.amdhsa_wavefront_size32 1
		.amdhsa_uses_dynamic_stack 0
		.amdhsa_enable_private_segment 0
		.amdhsa_system_sgpr_workgroup_id_x 1
		.amdhsa_system_sgpr_workgroup_id_y 0
		.amdhsa_system_sgpr_workgroup_id_z 0
		.amdhsa_system_sgpr_workgroup_info 0
		.amdhsa_system_vgpr_workitem_id 0
		.amdhsa_next_free_vgpr 1
		.amdhsa_next_free_sgpr 1
		.amdhsa_reserve_vcc 0
		.amdhsa_float_round_mode_32 0
		.amdhsa_float_round_mode_16_64 0
		.amdhsa_float_denorm_mode_32 3
		.amdhsa_float_denorm_mode_16_64 3
		.amdhsa_dx10_clamp 1
		.amdhsa_ieee_mode 1
		.amdhsa_fp16_overflow 0
		.amdhsa_workgroup_processor_mode 1
		.amdhsa_memory_ordered 1
		.amdhsa_forward_progress 0
		.amdhsa_shared_vgpr_count 0
		.amdhsa_exception_fp_ieee_invalid_op 0
		.amdhsa_exception_fp_denorm_src 0
		.amdhsa_exception_fp_ieee_div_zero 0
		.amdhsa_exception_fp_ieee_overflow 0
		.amdhsa_exception_fp_ieee_underflow 0
		.amdhsa_exception_fp_ieee_inexact 0
		.amdhsa_exception_int_div_zero 0
	.end_amdhsa_kernel
	.section	.text._ZN7rocprim17ROCPRIM_400000_NS6detail17trampoline_kernelINS0_14default_configENS1_38merge_sort_block_merge_config_selectorIlNS0_10empty_typeEEEZZNS1_27merge_sort_block_merge_implIS3_PlPS5_mZN2at6native12_GLOBAL__N_124unique_dim_cuda_templateIsEESt5tupleIJNSA_6TensorESF_SF_EERKSF_lbbbEUlllE_EE10hipError_tT0_T1_T2_jT3_P12ihipStream_tbPNSt15iterator_traitsISL_E10value_typeEPNSR_ISM_E10value_typeEPSN_NS1_7vsmem_tEENKUlT_SL_SM_SN_E_clIS8_S8_S9_S9_EESK_S10_SL_SM_SN_EUlS10_E1_NS1_11comp_targetILNS1_3genE8ELNS1_11target_archE1030ELNS1_3gpuE2ELNS1_3repE0EEENS1_36merge_oddeven_config_static_selectorELNS0_4arch9wavefront6targetE0EEEvSM_,"axG",@progbits,_ZN7rocprim17ROCPRIM_400000_NS6detail17trampoline_kernelINS0_14default_configENS1_38merge_sort_block_merge_config_selectorIlNS0_10empty_typeEEEZZNS1_27merge_sort_block_merge_implIS3_PlPS5_mZN2at6native12_GLOBAL__N_124unique_dim_cuda_templateIsEESt5tupleIJNSA_6TensorESF_SF_EERKSF_lbbbEUlllE_EE10hipError_tT0_T1_T2_jT3_P12ihipStream_tbPNSt15iterator_traitsISL_E10value_typeEPNSR_ISM_E10value_typeEPSN_NS1_7vsmem_tEENKUlT_SL_SM_SN_E_clIS8_S8_S9_S9_EESK_S10_SL_SM_SN_EUlS10_E1_NS1_11comp_targetILNS1_3genE8ELNS1_11target_archE1030ELNS1_3gpuE2ELNS1_3repE0EEENS1_36merge_oddeven_config_static_selectorELNS0_4arch9wavefront6targetE0EEEvSM_,comdat
.Lfunc_end659:
	.size	_ZN7rocprim17ROCPRIM_400000_NS6detail17trampoline_kernelINS0_14default_configENS1_38merge_sort_block_merge_config_selectorIlNS0_10empty_typeEEEZZNS1_27merge_sort_block_merge_implIS3_PlPS5_mZN2at6native12_GLOBAL__N_124unique_dim_cuda_templateIsEESt5tupleIJNSA_6TensorESF_SF_EERKSF_lbbbEUlllE_EE10hipError_tT0_T1_T2_jT3_P12ihipStream_tbPNSt15iterator_traitsISL_E10value_typeEPNSR_ISM_E10value_typeEPSN_NS1_7vsmem_tEENKUlT_SL_SM_SN_E_clIS8_S8_S9_S9_EESK_S10_SL_SM_SN_EUlS10_E1_NS1_11comp_targetILNS1_3genE8ELNS1_11target_archE1030ELNS1_3gpuE2ELNS1_3repE0EEENS1_36merge_oddeven_config_static_selectorELNS0_4arch9wavefront6targetE0EEEvSM_, .Lfunc_end659-_ZN7rocprim17ROCPRIM_400000_NS6detail17trampoline_kernelINS0_14default_configENS1_38merge_sort_block_merge_config_selectorIlNS0_10empty_typeEEEZZNS1_27merge_sort_block_merge_implIS3_PlPS5_mZN2at6native12_GLOBAL__N_124unique_dim_cuda_templateIsEESt5tupleIJNSA_6TensorESF_SF_EERKSF_lbbbEUlllE_EE10hipError_tT0_T1_T2_jT3_P12ihipStream_tbPNSt15iterator_traitsISL_E10value_typeEPNSR_ISM_E10value_typeEPSN_NS1_7vsmem_tEENKUlT_SL_SM_SN_E_clIS8_S8_S9_S9_EESK_S10_SL_SM_SN_EUlS10_E1_NS1_11comp_targetILNS1_3genE8ELNS1_11target_archE1030ELNS1_3gpuE2ELNS1_3repE0EEENS1_36merge_oddeven_config_static_selectorELNS0_4arch9wavefront6targetE0EEEvSM_
                                        ; -- End function
	.section	.AMDGPU.csdata,"",@progbits
; Kernel info:
; codeLenInByte = 0
; NumSgprs: 0
; NumVgprs: 0
; ScratchSize: 0
; MemoryBound: 0
; FloatMode: 240
; IeeeMode: 1
; LDSByteSize: 0 bytes/workgroup (compile time only)
; SGPRBlocks: 0
; VGPRBlocks: 0
; NumSGPRsForWavesPerEU: 1
; NumVGPRsForWavesPerEU: 1
; Occupancy: 16
; WaveLimiterHint : 0
; COMPUTE_PGM_RSRC2:SCRATCH_EN: 0
; COMPUTE_PGM_RSRC2:USER_SGPR: 15
; COMPUTE_PGM_RSRC2:TRAP_HANDLER: 0
; COMPUTE_PGM_RSRC2:TGID_X_EN: 1
; COMPUTE_PGM_RSRC2:TGID_Y_EN: 0
; COMPUTE_PGM_RSRC2:TGID_Z_EN: 0
; COMPUTE_PGM_RSRC2:TIDIG_COMP_CNT: 0
	.section	.text._ZN7rocprim17ROCPRIM_400000_NS6detail17trampoline_kernelINS0_14default_configENS1_35adjacent_difference_config_selectorILb0ElEEZNS1_24adjacent_difference_implIS3_Lb0ELb0EPlS7_ZN2at6native12_GLOBAL__N_124unique_dim_cuda_templateIsEESt5tupleIJNS8_6TensorESD_SD_EERKSD_lbbbEUlllE1_EE10hipError_tPvRmT2_T3_mT4_P12ihipStream_tbEUlT_E_NS1_11comp_targetILNS1_3genE0ELNS1_11target_archE4294967295ELNS1_3gpuE0ELNS1_3repE0EEENS1_30default_config_static_selectorELNS0_4arch9wavefront6targetE0EEEvT1_,"axG",@progbits,_ZN7rocprim17ROCPRIM_400000_NS6detail17trampoline_kernelINS0_14default_configENS1_35adjacent_difference_config_selectorILb0ElEEZNS1_24adjacent_difference_implIS3_Lb0ELb0EPlS7_ZN2at6native12_GLOBAL__N_124unique_dim_cuda_templateIsEESt5tupleIJNS8_6TensorESD_SD_EERKSD_lbbbEUlllE1_EE10hipError_tPvRmT2_T3_mT4_P12ihipStream_tbEUlT_E_NS1_11comp_targetILNS1_3genE0ELNS1_11target_archE4294967295ELNS1_3gpuE0ELNS1_3repE0EEENS1_30default_config_static_selectorELNS0_4arch9wavefront6targetE0EEEvT1_,comdat
	.globl	_ZN7rocprim17ROCPRIM_400000_NS6detail17trampoline_kernelINS0_14default_configENS1_35adjacent_difference_config_selectorILb0ElEEZNS1_24adjacent_difference_implIS3_Lb0ELb0EPlS7_ZN2at6native12_GLOBAL__N_124unique_dim_cuda_templateIsEESt5tupleIJNS8_6TensorESD_SD_EERKSD_lbbbEUlllE1_EE10hipError_tPvRmT2_T3_mT4_P12ihipStream_tbEUlT_E_NS1_11comp_targetILNS1_3genE0ELNS1_11target_archE4294967295ELNS1_3gpuE0ELNS1_3repE0EEENS1_30default_config_static_selectorELNS0_4arch9wavefront6targetE0EEEvT1_ ; -- Begin function _ZN7rocprim17ROCPRIM_400000_NS6detail17trampoline_kernelINS0_14default_configENS1_35adjacent_difference_config_selectorILb0ElEEZNS1_24adjacent_difference_implIS3_Lb0ELb0EPlS7_ZN2at6native12_GLOBAL__N_124unique_dim_cuda_templateIsEESt5tupleIJNS8_6TensorESD_SD_EERKSD_lbbbEUlllE1_EE10hipError_tPvRmT2_T3_mT4_P12ihipStream_tbEUlT_E_NS1_11comp_targetILNS1_3genE0ELNS1_11target_archE4294967295ELNS1_3gpuE0ELNS1_3repE0EEENS1_30default_config_static_selectorELNS0_4arch9wavefront6targetE0EEEvT1_
	.p2align	8
	.type	_ZN7rocprim17ROCPRIM_400000_NS6detail17trampoline_kernelINS0_14default_configENS1_35adjacent_difference_config_selectorILb0ElEEZNS1_24adjacent_difference_implIS3_Lb0ELb0EPlS7_ZN2at6native12_GLOBAL__N_124unique_dim_cuda_templateIsEESt5tupleIJNS8_6TensorESD_SD_EERKSD_lbbbEUlllE1_EE10hipError_tPvRmT2_T3_mT4_P12ihipStream_tbEUlT_E_NS1_11comp_targetILNS1_3genE0ELNS1_11target_archE4294967295ELNS1_3gpuE0ELNS1_3repE0EEENS1_30default_config_static_selectorELNS0_4arch9wavefront6targetE0EEEvT1_,@function
_ZN7rocprim17ROCPRIM_400000_NS6detail17trampoline_kernelINS0_14default_configENS1_35adjacent_difference_config_selectorILb0ElEEZNS1_24adjacent_difference_implIS3_Lb0ELb0EPlS7_ZN2at6native12_GLOBAL__N_124unique_dim_cuda_templateIsEESt5tupleIJNS8_6TensorESD_SD_EERKSD_lbbbEUlllE1_EE10hipError_tPvRmT2_T3_mT4_P12ihipStream_tbEUlT_E_NS1_11comp_targetILNS1_3genE0ELNS1_11target_archE4294967295ELNS1_3gpuE0ELNS1_3repE0EEENS1_30default_config_static_selectorELNS0_4arch9wavefront6targetE0EEEvT1_: ; @_ZN7rocprim17ROCPRIM_400000_NS6detail17trampoline_kernelINS0_14default_configENS1_35adjacent_difference_config_selectorILb0ElEEZNS1_24adjacent_difference_implIS3_Lb0ELb0EPlS7_ZN2at6native12_GLOBAL__N_124unique_dim_cuda_templateIsEESt5tupleIJNS8_6TensorESD_SD_EERKSD_lbbbEUlllE1_EE10hipError_tPvRmT2_T3_mT4_P12ihipStream_tbEUlT_E_NS1_11comp_targetILNS1_3genE0ELNS1_11target_archE4294967295ELNS1_3gpuE0ELNS1_3repE0EEENS1_30default_config_static_selectorELNS0_4arch9wavefront6targetE0EEEvT1_
; %bb.0:
	.section	.rodata,"a",@progbits
	.p2align	6, 0x0
	.amdhsa_kernel _ZN7rocprim17ROCPRIM_400000_NS6detail17trampoline_kernelINS0_14default_configENS1_35adjacent_difference_config_selectorILb0ElEEZNS1_24adjacent_difference_implIS3_Lb0ELb0EPlS7_ZN2at6native12_GLOBAL__N_124unique_dim_cuda_templateIsEESt5tupleIJNS8_6TensorESD_SD_EERKSD_lbbbEUlllE1_EE10hipError_tPvRmT2_T3_mT4_P12ihipStream_tbEUlT_E_NS1_11comp_targetILNS1_3genE0ELNS1_11target_archE4294967295ELNS1_3gpuE0ELNS1_3repE0EEENS1_30default_config_static_selectorELNS0_4arch9wavefront6targetE0EEEvT1_
		.amdhsa_group_segment_fixed_size 0
		.amdhsa_private_segment_fixed_size 0
		.amdhsa_kernarg_size 64
		.amdhsa_user_sgpr_count 15
		.amdhsa_user_sgpr_dispatch_ptr 0
		.amdhsa_user_sgpr_queue_ptr 0
		.amdhsa_user_sgpr_kernarg_segment_ptr 1
		.amdhsa_user_sgpr_dispatch_id 0
		.amdhsa_user_sgpr_private_segment_size 0
		.amdhsa_wavefront_size32 1
		.amdhsa_uses_dynamic_stack 0
		.amdhsa_enable_private_segment 0
		.amdhsa_system_sgpr_workgroup_id_x 1
		.amdhsa_system_sgpr_workgroup_id_y 0
		.amdhsa_system_sgpr_workgroup_id_z 0
		.amdhsa_system_sgpr_workgroup_info 0
		.amdhsa_system_vgpr_workitem_id 0
		.amdhsa_next_free_vgpr 1
		.amdhsa_next_free_sgpr 1
		.amdhsa_reserve_vcc 0
		.amdhsa_float_round_mode_32 0
		.amdhsa_float_round_mode_16_64 0
		.amdhsa_float_denorm_mode_32 3
		.amdhsa_float_denorm_mode_16_64 3
		.amdhsa_dx10_clamp 1
		.amdhsa_ieee_mode 1
		.amdhsa_fp16_overflow 0
		.amdhsa_workgroup_processor_mode 1
		.amdhsa_memory_ordered 1
		.amdhsa_forward_progress 0
		.amdhsa_shared_vgpr_count 0
		.amdhsa_exception_fp_ieee_invalid_op 0
		.amdhsa_exception_fp_denorm_src 0
		.amdhsa_exception_fp_ieee_div_zero 0
		.amdhsa_exception_fp_ieee_overflow 0
		.amdhsa_exception_fp_ieee_underflow 0
		.amdhsa_exception_fp_ieee_inexact 0
		.amdhsa_exception_int_div_zero 0
	.end_amdhsa_kernel
	.section	.text._ZN7rocprim17ROCPRIM_400000_NS6detail17trampoline_kernelINS0_14default_configENS1_35adjacent_difference_config_selectorILb0ElEEZNS1_24adjacent_difference_implIS3_Lb0ELb0EPlS7_ZN2at6native12_GLOBAL__N_124unique_dim_cuda_templateIsEESt5tupleIJNS8_6TensorESD_SD_EERKSD_lbbbEUlllE1_EE10hipError_tPvRmT2_T3_mT4_P12ihipStream_tbEUlT_E_NS1_11comp_targetILNS1_3genE0ELNS1_11target_archE4294967295ELNS1_3gpuE0ELNS1_3repE0EEENS1_30default_config_static_selectorELNS0_4arch9wavefront6targetE0EEEvT1_,"axG",@progbits,_ZN7rocprim17ROCPRIM_400000_NS6detail17trampoline_kernelINS0_14default_configENS1_35adjacent_difference_config_selectorILb0ElEEZNS1_24adjacent_difference_implIS3_Lb0ELb0EPlS7_ZN2at6native12_GLOBAL__N_124unique_dim_cuda_templateIsEESt5tupleIJNS8_6TensorESD_SD_EERKSD_lbbbEUlllE1_EE10hipError_tPvRmT2_T3_mT4_P12ihipStream_tbEUlT_E_NS1_11comp_targetILNS1_3genE0ELNS1_11target_archE4294967295ELNS1_3gpuE0ELNS1_3repE0EEENS1_30default_config_static_selectorELNS0_4arch9wavefront6targetE0EEEvT1_,comdat
.Lfunc_end660:
	.size	_ZN7rocprim17ROCPRIM_400000_NS6detail17trampoline_kernelINS0_14default_configENS1_35adjacent_difference_config_selectorILb0ElEEZNS1_24adjacent_difference_implIS3_Lb0ELb0EPlS7_ZN2at6native12_GLOBAL__N_124unique_dim_cuda_templateIsEESt5tupleIJNS8_6TensorESD_SD_EERKSD_lbbbEUlllE1_EE10hipError_tPvRmT2_T3_mT4_P12ihipStream_tbEUlT_E_NS1_11comp_targetILNS1_3genE0ELNS1_11target_archE4294967295ELNS1_3gpuE0ELNS1_3repE0EEENS1_30default_config_static_selectorELNS0_4arch9wavefront6targetE0EEEvT1_, .Lfunc_end660-_ZN7rocprim17ROCPRIM_400000_NS6detail17trampoline_kernelINS0_14default_configENS1_35adjacent_difference_config_selectorILb0ElEEZNS1_24adjacent_difference_implIS3_Lb0ELb0EPlS7_ZN2at6native12_GLOBAL__N_124unique_dim_cuda_templateIsEESt5tupleIJNS8_6TensorESD_SD_EERKSD_lbbbEUlllE1_EE10hipError_tPvRmT2_T3_mT4_P12ihipStream_tbEUlT_E_NS1_11comp_targetILNS1_3genE0ELNS1_11target_archE4294967295ELNS1_3gpuE0ELNS1_3repE0EEENS1_30default_config_static_selectorELNS0_4arch9wavefront6targetE0EEEvT1_
                                        ; -- End function
	.section	.AMDGPU.csdata,"",@progbits
; Kernel info:
; codeLenInByte = 0
; NumSgprs: 0
; NumVgprs: 0
; ScratchSize: 0
; MemoryBound: 0
; FloatMode: 240
; IeeeMode: 1
; LDSByteSize: 0 bytes/workgroup (compile time only)
; SGPRBlocks: 0
; VGPRBlocks: 0
; NumSGPRsForWavesPerEU: 1
; NumVGPRsForWavesPerEU: 1
; Occupancy: 16
; WaveLimiterHint : 0
; COMPUTE_PGM_RSRC2:SCRATCH_EN: 0
; COMPUTE_PGM_RSRC2:USER_SGPR: 15
; COMPUTE_PGM_RSRC2:TRAP_HANDLER: 0
; COMPUTE_PGM_RSRC2:TGID_X_EN: 1
; COMPUTE_PGM_RSRC2:TGID_Y_EN: 0
; COMPUTE_PGM_RSRC2:TGID_Z_EN: 0
; COMPUTE_PGM_RSRC2:TIDIG_COMP_CNT: 0
	.section	.text._ZN7rocprim17ROCPRIM_400000_NS6detail17trampoline_kernelINS0_14default_configENS1_35adjacent_difference_config_selectorILb0ElEEZNS1_24adjacent_difference_implIS3_Lb0ELb0EPlS7_ZN2at6native12_GLOBAL__N_124unique_dim_cuda_templateIsEESt5tupleIJNS8_6TensorESD_SD_EERKSD_lbbbEUlllE1_EE10hipError_tPvRmT2_T3_mT4_P12ihipStream_tbEUlT_E_NS1_11comp_targetILNS1_3genE10ELNS1_11target_archE1201ELNS1_3gpuE5ELNS1_3repE0EEENS1_30default_config_static_selectorELNS0_4arch9wavefront6targetE0EEEvT1_,"axG",@progbits,_ZN7rocprim17ROCPRIM_400000_NS6detail17trampoline_kernelINS0_14default_configENS1_35adjacent_difference_config_selectorILb0ElEEZNS1_24adjacent_difference_implIS3_Lb0ELb0EPlS7_ZN2at6native12_GLOBAL__N_124unique_dim_cuda_templateIsEESt5tupleIJNS8_6TensorESD_SD_EERKSD_lbbbEUlllE1_EE10hipError_tPvRmT2_T3_mT4_P12ihipStream_tbEUlT_E_NS1_11comp_targetILNS1_3genE10ELNS1_11target_archE1201ELNS1_3gpuE5ELNS1_3repE0EEENS1_30default_config_static_selectorELNS0_4arch9wavefront6targetE0EEEvT1_,comdat
	.globl	_ZN7rocprim17ROCPRIM_400000_NS6detail17trampoline_kernelINS0_14default_configENS1_35adjacent_difference_config_selectorILb0ElEEZNS1_24adjacent_difference_implIS3_Lb0ELb0EPlS7_ZN2at6native12_GLOBAL__N_124unique_dim_cuda_templateIsEESt5tupleIJNS8_6TensorESD_SD_EERKSD_lbbbEUlllE1_EE10hipError_tPvRmT2_T3_mT4_P12ihipStream_tbEUlT_E_NS1_11comp_targetILNS1_3genE10ELNS1_11target_archE1201ELNS1_3gpuE5ELNS1_3repE0EEENS1_30default_config_static_selectorELNS0_4arch9wavefront6targetE0EEEvT1_ ; -- Begin function _ZN7rocprim17ROCPRIM_400000_NS6detail17trampoline_kernelINS0_14default_configENS1_35adjacent_difference_config_selectorILb0ElEEZNS1_24adjacent_difference_implIS3_Lb0ELb0EPlS7_ZN2at6native12_GLOBAL__N_124unique_dim_cuda_templateIsEESt5tupleIJNS8_6TensorESD_SD_EERKSD_lbbbEUlllE1_EE10hipError_tPvRmT2_T3_mT4_P12ihipStream_tbEUlT_E_NS1_11comp_targetILNS1_3genE10ELNS1_11target_archE1201ELNS1_3gpuE5ELNS1_3repE0EEENS1_30default_config_static_selectorELNS0_4arch9wavefront6targetE0EEEvT1_
	.p2align	8
	.type	_ZN7rocprim17ROCPRIM_400000_NS6detail17trampoline_kernelINS0_14default_configENS1_35adjacent_difference_config_selectorILb0ElEEZNS1_24adjacent_difference_implIS3_Lb0ELb0EPlS7_ZN2at6native12_GLOBAL__N_124unique_dim_cuda_templateIsEESt5tupleIJNS8_6TensorESD_SD_EERKSD_lbbbEUlllE1_EE10hipError_tPvRmT2_T3_mT4_P12ihipStream_tbEUlT_E_NS1_11comp_targetILNS1_3genE10ELNS1_11target_archE1201ELNS1_3gpuE5ELNS1_3repE0EEENS1_30default_config_static_selectorELNS0_4arch9wavefront6targetE0EEEvT1_,@function
_ZN7rocprim17ROCPRIM_400000_NS6detail17trampoline_kernelINS0_14default_configENS1_35adjacent_difference_config_selectorILb0ElEEZNS1_24adjacent_difference_implIS3_Lb0ELb0EPlS7_ZN2at6native12_GLOBAL__N_124unique_dim_cuda_templateIsEESt5tupleIJNS8_6TensorESD_SD_EERKSD_lbbbEUlllE1_EE10hipError_tPvRmT2_T3_mT4_P12ihipStream_tbEUlT_E_NS1_11comp_targetILNS1_3genE10ELNS1_11target_archE1201ELNS1_3gpuE5ELNS1_3repE0EEENS1_30default_config_static_selectorELNS0_4arch9wavefront6targetE0EEEvT1_: ; @_ZN7rocprim17ROCPRIM_400000_NS6detail17trampoline_kernelINS0_14default_configENS1_35adjacent_difference_config_selectorILb0ElEEZNS1_24adjacent_difference_implIS3_Lb0ELb0EPlS7_ZN2at6native12_GLOBAL__N_124unique_dim_cuda_templateIsEESt5tupleIJNS8_6TensorESD_SD_EERKSD_lbbbEUlllE1_EE10hipError_tPvRmT2_T3_mT4_P12ihipStream_tbEUlT_E_NS1_11comp_targetILNS1_3genE10ELNS1_11target_archE1201ELNS1_3gpuE5ELNS1_3repE0EEENS1_30default_config_static_selectorELNS0_4arch9wavefront6targetE0EEEvT1_
; %bb.0:
	.section	.rodata,"a",@progbits
	.p2align	6, 0x0
	.amdhsa_kernel _ZN7rocprim17ROCPRIM_400000_NS6detail17trampoline_kernelINS0_14default_configENS1_35adjacent_difference_config_selectorILb0ElEEZNS1_24adjacent_difference_implIS3_Lb0ELb0EPlS7_ZN2at6native12_GLOBAL__N_124unique_dim_cuda_templateIsEESt5tupleIJNS8_6TensorESD_SD_EERKSD_lbbbEUlllE1_EE10hipError_tPvRmT2_T3_mT4_P12ihipStream_tbEUlT_E_NS1_11comp_targetILNS1_3genE10ELNS1_11target_archE1201ELNS1_3gpuE5ELNS1_3repE0EEENS1_30default_config_static_selectorELNS0_4arch9wavefront6targetE0EEEvT1_
		.amdhsa_group_segment_fixed_size 0
		.amdhsa_private_segment_fixed_size 0
		.amdhsa_kernarg_size 64
		.amdhsa_user_sgpr_count 15
		.amdhsa_user_sgpr_dispatch_ptr 0
		.amdhsa_user_sgpr_queue_ptr 0
		.amdhsa_user_sgpr_kernarg_segment_ptr 1
		.amdhsa_user_sgpr_dispatch_id 0
		.amdhsa_user_sgpr_private_segment_size 0
		.amdhsa_wavefront_size32 1
		.amdhsa_uses_dynamic_stack 0
		.amdhsa_enable_private_segment 0
		.amdhsa_system_sgpr_workgroup_id_x 1
		.amdhsa_system_sgpr_workgroup_id_y 0
		.amdhsa_system_sgpr_workgroup_id_z 0
		.amdhsa_system_sgpr_workgroup_info 0
		.amdhsa_system_vgpr_workitem_id 0
		.amdhsa_next_free_vgpr 1
		.amdhsa_next_free_sgpr 1
		.amdhsa_reserve_vcc 0
		.amdhsa_float_round_mode_32 0
		.amdhsa_float_round_mode_16_64 0
		.amdhsa_float_denorm_mode_32 3
		.amdhsa_float_denorm_mode_16_64 3
		.amdhsa_dx10_clamp 1
		.amdhsa_ieee_mode 1
		.amdhsa_fp16_overflow 0
		.amdhsa_workgroup_processor_mode 1
		.amdhsa_memory_ordered 1
		.amdhsa_forward_progress 0
		.amdhsa_shared_vgpr_count 0
		.amdhsa_exception_fp_ieee_invalid_op 0
		.amdhsa_exception_fp_denorm_src 0
		.amdhsa_exception_fp_ieee_div_zero 0
		.amdhsa_exception_fp_ieee_overflow 0
		.amdhsa_exception_fp_ieee_underflow 0
		.amdhsa_exception_fp_ieee_inexact 0
		.amdhsa_exception_int_div_zero 0
	.end_amdhsa_kernel
	.section	.text._ZN7rocprim17ROCPRIM_400000_NS6detail17trampoline_kernelINS0_14default_configENS1_35adjacent_difference_config_selectorILb0ElEEZNS1_24adjacent_difference_implIS3_Lb0ELb0EPlS7_ZN2at6native12_GLOBAL__N_124unique_dim_cuda_templateIsEESt5tupleIJNS8_6TensorESD_SD_EERKSD_lbbbEUlllE1_EE10hipError_tPvRmT2_T3_mT4_P12ihipStream_tbEUlT_E_NS1_11comp_targetILNS1_3genE10ELNS1_11target_archE1201ELNS1_3gpuE5ELNS1_3repE0EEENS1_30default_config_static_selectorELNS0_4arch9wavefront6targetE0EEEvT1_,"axG",@progbits,_ZN7rocprim17ROCPRIM_400000_NS6detail17trampoline_kernelINS0_14default_configENS1_35adjacent_difference_config_selectorILb0ElEEZNS1_24adjacent_difference_implIS3_Lb0ELb0EPlS7_ZN2at6native12_GLOBAL__N_124unique_dim_cuda_templateIsEESt5tupleIJNS8_6TensorESD_SD_EERKSD_lbbbEUlllE1_EE10hipError_tPvRmT2_T3_mT4_P12ihipStream_tbEUlT_E_NS1_11comp_targetILNS1_3genE10ELNS1_11target_archE1201ELNS1_3gpuE5ELNS1_3repE0EEENS1_30default_config_static_selectorELNS0_4arch9wavefront6targetE0EEEvT1_,comdat
.Lfunc_end661:
	.size	_ZN7rocprim17ROCPRIM_400000_NS6detail17trampoline_kernelINS0_14default_configENS1_35adjacent_difference_config_selectorILb0ElEEZNS1_24adjacent_difference_implIS3_Lb0ELb0EPlS7_ZN2at6native12_GLOBAL__N_124unique_dim_cuda_templateIsEESt5tupleIJNS8_6TensorESD_SD_EERKSD_lbbbEUlllE1_EE10hipError_tPvRmT2_T3_mT4_P12ihipStream_tbEUlT_E_NS1_11comp_targetILNS1_3genE10ELNS1_11target_archE1201ELNS1_3gpuE5ELNS1_3repE0EEENS1_30default_config_static_selectorELNS0_4arch9wavefront6targetE0EEEvT1_, .Lfunc_end661-_ZN7rocprim17ROCPRIM_400000_NS6detail17trampoline_kernelINS0_14default_configENS1_35adjacent_difference_config_selectorILb0ElEEZNS1_24adjacent_difference_implIS3_Lb0ELb0EPlS7_ZN2at6native12_GLOBAL__N_124unique_dim_cuda_templateIsEESt5tupleIJNS8_6TensorESD_SD_EERKSD_lbbbEUlllE1_EE10hipError_tPvRmT2_T3_mT4_P12ihipStream_tbEUlT_E_NS1_11comp_targetILNS1_3genE10ELNS1_11target_archE1201ELNS1_3gpuE5ELNS1_3repE0EEENS1_30default_config_static_selectorELNS0_4arch9wavefront6targetE0EEEvT1_
                                        ; -- End function
	.section	.AMDGPU.csdata,"",@progbits
; Kernel info:
; codeLenInByte = 0
; NumSgprs: 0
; NumVgprs: 0
; ScratchSize: 0
; MemoryBound: 0
; FloatMode: 240
; IeeeMode: 1
; LDSByteSize: 0 bytes/workgroup (compile time only)
; SGPRBlocks: 0
; VGPRBlocks: 0
; NumSGPRsForWavesPerEU: 1
; NumVGPRsForWavesPerEU: 1
; Occupancy: 16
; WaveLimiterHint : 0
; COMPUTE_PGM_RSRC2:SCRATCH_EN: 0
; COMPUTE_PGM_RSRC2:USER_SGPR: 15
; COMPUTE_PGM_RSRC2:TRAP_HANDLER: 0
; COMPUTE_PGM_RSRC2:TGID_X_EN: 1
; COMPUTE_PGM_RSRC2:TGID_Y_EN: 0
; COMPUTE_PGM_RSRC2:TGID_Z_EN: 0
; COMPUTE_PGM_RSRC2:TIDIG_COMP_CNT: 0
	.section	.text._ZN7rocprim17ROCPRIM_400000_NS6detail17trampoline_kernelINS0_14default_configENS1_35adjacent_difference_config_selectorILb0ElEEZNS1_24adjacent_difference_implIS3_Lb0ELb0EPlS7_ZN2at6native12_GLOBAL__N_124unique_dim_cuda_templateIsEESt5tupleIJNS8_6TensorESD_SD_EERKSD_lbbbEUlllE1_EE10hipError_tPvRmT2_T3_mT4_P12ihipStream_tbEUlT_E_NS1_11comp_targetILNS1_3genE5ELNS1_11target_archE942ELNS1_3gpuE9ELNS1_3repE0EEENS1_30default_config_static_selectorELNS0_4arch9wavefront6targetE0EEEvT1_,"axG",@progbits,_ZN7rocprim17ROCPRIM_400000_NS6detail17trampoline_kernelINS0_14default_configENS1_35adjacent_difference_config_selectorILb0ElEEZNS1_24adjacent_difference_implIS3_Lb0ELb0EPlS7_ZN2at6native12_GLOBAL__N_124unique_dim_cuda_templateIsEESt5tupleIJNS8_6TensorESD_SD_EERKSD_lbbbEUlllE1_EE10hipError_tPvRmT2_T3_mT4_P12ihipStream_tbEUlT_E_NS1_11comp_targetILNS1_3genE5ELNS1_11target_archE942ELNS1_3gpuE9ELNS1_3repE0EEENS1_30default_config_static_selectorELNS0_4arch9wavefront6targetE0EEEvT1_,comdat
	.globl	_ZN7rocprim17ROCPRIM_400000_NS6detail17trampoline_kernelINS0_14default_configENS1_35adjacent_difference_config_selectorILb0ElEEZNS1_24adjacent_difference_implIS3_Lb0ELb0EPlS7_ZN2at6native12_GLOBAL__N_124unique_dim_cuda_templateIsEESt5tupleIJNS8_6TensorESD_SD_EERKSD_lbbbEUlllE1_EE10hipError_tPvRmT2_T3_mT4_P12ihipStream_tbEUlT_E_NS1_11comp_targetILNS1_3genE5ELNS1_11target_archE942ELNS1_3gpuE9ELNS1_3repE0EEENS1_30default_config_static_selectorELNS0_4arch9wavefront6targetE0EEEvT1_ ; -- Begin function _ZN7rocprim17ROCPRIM_400000_NS6detail17trampoline_kernelINS0_14default_configENS1_35adjacent_difference_config_selectorILb0ElEEZNS1_24adjacent_difference_implIS3_Lb0ELb0EPlS7_ZN2at6native12_GLOBAL__N_124unique_dim_cuda_templateIsEESt5tupleIJNS8_6TensorESD_SD_EERKSD_lbbbEUlllE1_EE10hipError_tPvRmT2_T3_mT4_P12ihipStream_tbEUlT_E_NS1_11comp_targetILNS1_3genE5ELNS1_11target_archE942ELNS1_3gpuE9ELNS1_3repE0EEENS1_30default_config_static_selectorELNS0_4arch9wavefront6targetE0EEEvT1_
	.p2align	8
	.type	_ZN7rocprim17ROCPRIM_400000_NS6detail17trampoline_kernelINS0_14default_configENS1_35adjacent_difference_config_selectorILb0ElEEZNS1_24adjacent_difference_implIS3_Lb0ELb0EPlS7_ZN2at6native12_GLOBAL__N_124unique_dim_cuda_templateIsEESt5tupleIJNS8_6TensorESD_SD_EERKSD_lbbbEUlllE1_EE10hipError_tPvRmT2_T3_mT4_P12ihipStream_tbEUlT_E_NS1_11comp_targetILNS1_3genE5ELNS1_11target_archE942ELNS1_3gpuE9ELNS1_3repE0EEENS1_30default_config_static_selectorELNS0_4arch9wavefront6targetE0EEEvT1_,@function
_ZN7rocprim17ROCPRIM_400000_NS6detail17trampoline_kernelINS0_14default_configENS1_35adjacent_difference_config_selectorILb0ElEEZNS1_24adjacent_difference_implIS3_Lb0ELb0EPlS7_ZN2at6native12_GLOBAL__N_124unique_dim_cuda_templateIsEESt5tupleIJNS8_6TensorESD_SD_EERKSD_lbbbEUlllE1_EE10hipError_tPvRmT2_T3_mT4_P12ihipStream_tbEUlT_E_NS1_11comp_targetILNS1_3genE5ELNS1_11target_archE942ELNS1_3gpuE9ELNS1_3repE0EEENS1_30default_config_static_selectorELNS0_4arch9wavefront6targetE0EEEvT1_: ; @_ZN7rocprim17ROCPRIM_400000_NS6detail17trampoline_kernelINS0_14default_configENS1_35adjacent_difference_config_selectorILb0ElEEZNS1_24adjacent_difference_implIS3_Lb0ELb0EPlS7_ZN2at6native12_GLOBAL__N_124unique_dim_cuda_templateIsEESt5tupleIJNS8_6TensorESD_SD_EERKSD_lbbbEUlllE1_EE10hipError_tPvRmT2_T3_mT4_P12ihipStream_tbEUlT_E_NS1_11comp_targetILNS1_3genE5ELNS1_11target_archE942ELNS1_3gpuE9ELNS1_3repE0EEENS1_30default_config_static_selectorELNS0_4arch9wavefront6targetE0EEEvT1_
; %bb.0:
	.section	.rodata,"a",@progbits
	.p2align	6, 0x0
	.amdhsa_kernel _ZN7rocprim17ROCPRIM_400000_NS6detail17trampoline_kernelINS0_14default_configENS1_35adjacent_difference_config_selectorILb0ElEEZNS1_24adjacent_difference_implIS3_Lb0ELb0EPlS7_ZN2at6native12_GLOBAL__N_124unique_dim_cuda_templateIsEESt5tupleIJNS8_6TensorESD_SD_EERKSD_lbbbEUlllE1_EE10hipError_tPvRmT2_T3_mT4_P12ihipStream_tbEUlT_E_NS1_11comp_targetILNS1_3genE5ELNS1_11target_archE942ELNS1_3gpuE9ELNS1_3repE0EEENS1_30default_config_static_selectorELNS0_4arch9wavefront6targetE0EEEvT1_
		.amdhsa_group_segment_fixed_size 0
		.amdhsa_private_segment_fixed_size 0
		.amdhsa_kernarg_size 64
		.amdhsa_user_sgpr_count 15
		.amdhsa_user_sgpr_dispatch_ptr 0
		.amdhsa_user_sgpr_queue_ptr 0
		.amdhsa_user_sgpr_kernarg_segment_ptr 1
		.amdhsa_user_sgpr_dispatch_id 0
		.amdhsa_user_sgpr_private_segment_size 0
		.amdhsa_wavefront_size32 1
		.amdhsa_uses_dynamic_stack 0
		.amdhsa_enable_private_segment 0
		.amdhsa_system_sgpr_workgroup_id_x 1
		.amdhsa_system_sgpr_workgroup_id_y 0
		.amdhsa_system_sgpr_workgroup_id_z 0
		.amdhsa_system_sgpr_workgroup_info 0
		.amdhsa_system_vgpr_workitem_id 0
		.amdhsa_next_free_vgpr 1
		.amdhsa_next_free_sgpr 1
		.amdhsa_reserve_vcc 0
		.amdhsa_float_round_mode_32 0
		.amdhsa_float_round_mode_16_64 0
		.amdhsa_float_denorm_mode_32 3
		.amdhsa_float_denorm_mode_16_64 3
		.amdhsa_dx10_clamp 1
		.amdhsa_ieee_mode 1
		.amdhsa_fp16_overflow 0
		.amdhsa_workgroup_processor_mode 1
		.amdhsa_memory_ordered 1
		.amdhsa_forward_progress 0
		.amdhsa_shared_vgpr_count 0
		.amdhsa_exception_fp_ieee_invalid_op 0
		.amdhsa_exception_fp_denorm_src 0
		.amdhsa_exception_fp_ieee_div_zero 0
		.amdhsa_exception_fp_ieee_overflow 0
		.amdhsa_exception_fp_ieee_underflow 0
		.amdhsa_exception_fp_ieee_inexact 0
		.amdhsa_exception_int_div_zero 0
	.end_amdhsa_kernel
	.section	.text._ZN7rocprim17ROCPRIM_400000_NS6detail17trampoline_kernelINS0_14default_configENS1_35adjacent_difference_config_selectorILb0ElEEZNS1_24adjacent_difference_implIS3_Lb0ELb0EPlS7_ZN2at6native12_GLOBAL__N_124unique_dim_cuda_templateIsEESt5tupleIJNS8_6TensorESD_SD_EERKSD_lbbbEUlllE1_EE10hipError_tPvRmT2_T3_mT4_P12ihipStream_tbEUlT_E_NS1_11comp_targetILNS1_3genE5ELNS1_11target_archE942ELNS1_3gpuE9ELNS1_3repE0EEENS1_30default_config_static_selectorELNS0_4arch9wavefront6targetE0EEEvT1_,"axG",@progbits,_ZN7rocprim17ROCPRIM_400000_NS6detail17trampoline_kernelINS0_14default_configENS1_35adjacent_difference_config_selectorILb0ElEEZNS1_24adjacent_difference_implIS3_Lb0ELb0EPlS7_ZN2at6native12_GLOBAL__N_124unique_dim_cuda_templateIsEESt5tupleIJNS8_6TensorESD_SD_EERKSD_lbbbEUlllE1_EE10hipError_tPvRmT2_T3_mT4_P12ihipStream_tbEUlT_E_NS1_11comp_targetILNS1_3genE5ELNS1_11target_archE942ELNS1_3gpuE9ELNS1_3repE0EEENS1_30default_config_static_selectorELNS0_4arch9wavefront6targetE0EEEvT1_,comdat
.Lfunc_end662:
	.size	_ZN7rocprim17ROCPRIM_400000_NS6detail17trampoline_kernelINS0_14default_configENS1_35adjacent_difference_config_selectorILb0ElEEZNS1_24adjacent_difference_implIS3_Lb0ELb0EPlS7_ZN2at6native12_GLOBAL__N_124unique_dim_cuda_templateIsEESt5tupleIJNS8_6TensorESD_SD_EERKSD_lbbbEUlllE1_EE10hipError_tPvRmT2_T3_mT4_P12ihipStream_tbEUlT_E_NS1_11comp_targetILNS1_3genE5ELNS1_11target_archE942ELNS1_3gpuE9ELNS1_3repE0EEENS1_30default_config_static_selectorELNS0_4arch9wavefront6targetE0EEEvT1_, .Lfunc_end662-_ZN7rocprim17ROCPRIM_400000_NS6detail17trampoline_kernelINS0_14default_configENS1_35adjacent_difference_config_selectorILb0ElEEZNS1_24adjacent_difference_implIS3_Lb0ELb0EPlS7_ZN2at6native12_GLOBAL__N_124unique_dim_cuda_templateIsEESt5tupleIJNS8_6TensorESD_SD_EERKSD_lbbbEUlllE1_EE10hipError_tPvRmT2_T3_mT4_P12ihipStream_tbEUlT_E_NS1_11comp_targetILNS1_3genE5ELNS1_11target_archE942ELNS1_3gpuE9ELNS1_3repE0EEENS1_30default_config_static_selectorELNS0_4arch9wavefront6targetE0EEEvT1_
                                        ; -- End function
	.section	.AMDGPU.csdata,"",@progbits
; Kernel info:
; codeLenInByte = 0
; NumSgprs: 0
; NumVgprs: 0
; ScratchSize: 0
; MemoryBound: 0
; FloatMode: 240
; IeeeMode: 1
; LDSByteSize: 0 bytes/workgroup (compile time only)
; SGPRBlocks: 0
; VGPRBlocks: 0
; NumSGPRsForWavesPerEU: 1
; NumVGPRsForWavesPerEU: 1
; Occupancy: 16
; WaveLimiterHint : 0
; COMPUTE_PGM_RSRC2:SCRATCH_EN: 0
; COMPUTE_PGM_RSRC2:USER_SGPR: 15
; COMPUTE_PGM_RSRC2:TRAP_HANDLER: 0
; COMPUTE_PGM_RSRC2:TGID_X_EN: 1
; COMPUTE_PGM_RSRC2:TGID_Y_EN: 0
; COMPUTE_PGM_RSRC2:TGID_Z_EN: 0
; COMPUTE_PGM_RSRC2:TIDIG_COMP_CNT: 0
	.section	.text._ZN7rocprim17ROCPRIM_400000_NS6detail17trampoline_kernelINS0_14default_configENS1_35adjacent_difference_config_selectorILb0ElEEZNS1_24adjacent_difference_implIS3_Lb0ELb0EPlS7_ZN2at6native12_GLOBAL__N_124unique_dim_cuda_templateIsEESt5tupleIJNS8_6TensorESD_SD_EERKSD_lbbbEUlllE1_EE10hipError_tPvRmT2_T3_mT4_P12ihipStream_tbEUlT_E_NS1_11comp_targetILNS1_3genE4ELNS1_11target_archE910ELNS1_3gpuE8ELNS1_3repE0EEENS1_30default_config_static_selectorELNS0_4arch9wavefront6targetE0EEEvT1_,"axG",@progbits,_ZN7rocprim17ROCPRIM_400000_NS6detail17trampoline_kernelINS0_14default_configENS1_35adjacent_difference_config_selectorILb0ElEEZNS1_24adjacent_difference_implIS3_Lb0ELb0EPlS7_ZN2at6native12_GLOBAL__N_124unique_dim_cuda_templateIsEESt5tupleIJNS8_6TensorESD_SD_EERKSD_lbbbEUlllE1_EE10hipError_tPvRmT2_T3_mT4_P12ihipStream_tbEUlT_E_NS1_11comp_targetILNS1_3genE4ELNS1_11target_archE910ELNS1_3gpuE8ELNS1_3repE0EEENS1_30default_config_static_selectorELNS0_4arch9wavefront6targetE0EEEvT1_,comdat
	.globl	_ZN7rocprim17ROCPRIM_400000_NS6detail17trampoline_kernelINS0_14default_configENS1_35adjacent_difference_config_selectorILb0ElEEZNS1_24adjacent_difference_implIS3_Lb0ELb0EPlS7_ZN2at6native12_GLOBAL__N_124unique_dim_cuda_templateIsEESt5tupleIJNS8_6TensorESD_SD_EERKSD_lbbbEUlllE1_EE10hipError_tPvRmT2_T3_mT4_P12ihipStream_tbEUlT_E_NS1_11comp_targetILNS1_3genE4ELNS1_11target_archE910ELNS1_3gpuE8ELNS1_3repE0EEENS1_30default_config_static_selectorELNS0_4arch9wavefront6targetE0EEEvT1_ ; -- Begin function _ZN7rocprim17ROCPRIM_400000_NS6detail17trampoline_kernelINS0_14default_configENS1_35adjacent_difference_config_selectorILb0ElEEZNS1_24adjacent_difference_implIS3_Lb0ELb0EPlS7_ZN2at6native12_GLOBAL__N_124unique_dim_cuda_templateIsEESt5tupleIJNS8_6TensorESD_SD_EERKSD_lbbbEUlllE1_EE10hipError_tPvRmT2_T3_mT4_P12ihipStream_tbEUlT_E_NS1_11comp_targetILNS1_3genE4ELNS1_11target_archE910ELNS1_3gpuE8ELNS1_3repE0EEENS1_30default_config_static_selectorELNS0_4arch9wavefront6targetE0EEEvT1_
	.p2align	8
	.type	_ZN7rocprim17ROCPRIM_400000_NS6detail17trampoline_kernelINS0_14default_configENS1_35adjacent_difference_config_selectorILb0ElEEZNS1_24adjacent_difference_implIS3_Lb0ELb0EPlS7_ZN2at6native12_GLOBAL__N_124unique_dim_cuda_templateIsEESt5tupleIJNS8_6TensorESD_SD_EERKSD_lbbbEUlllE1_EE10hipError_tPvRmT2_T3_mT4_P12ihipStream_tbEUlT_E_NS1_11comp_targetILNS1_3genE4ELNS1_11target_archE910ELNS1_3gpuE8ELNS1_3repE0EEENS1_30default_config_static_selectorELNS0_4arch9wavefront6targetE0EEEvT1_,@function
_ZN7rocprim17ROCPRIM_400000_NS6detail17trampoline_kernelINS0_14default_configENS1_35adjacent_difference_config_selectorILb0ElEEZNS1_24adjacent_difference_implIS3_Lb0ELb0EPlS7_ZN2at6native12_GLOBAL__N_124unique_dim_cuda_templateIsEESt5tupleIJNS8_6TensorESD_SD_EERKSD_lbbbEUlllE1_EE10hipError_tPvRmT2_T3_mT4_P12ihipStream_tbEUlT_E_NS1_11comp_targetILNS1_3genE4ELNS1_11target_archE910ELNS1_3gpuE8ELNS1_3repE0EEENS1_30default_config_static_selectorELNS0_4arch9wavefront6targetE0EEEvT1_: ; @_ZN7rocprim17ROCPRIM_400000_NS6detail17trampoline_kernelINS0_14default_configENS1_35adjacent_difference_config_selectorILb0ElEEZNS1_24adjacent_difference_implIS3_Lb0ELb0EPlS7_ZN2at6native12_GLOBAL__N_124unique_dim_cuda_templateIsEESt5tupleIJNS8_6TensorESD_SD_EERKSD_lbbbEUlllE1_EE10hipError_tPvRmT2_T3_mT4_P12ihipStream_tbEUlT_E_NS1_11comp_targetILNS1_3genE4ELNS1_11target_archE910ELNS1_3gpuE8ELNS1_3repE0EEENS1_30default_config_static_selectorELNS0_4arch9wavefront6targetE0EEEvT1_
; %bb.0:
	.section	.rodata,"a",@progbits
	.p2align	6, 0x0
	.amdhsa_kernel _ZN7rocprim17ROCPRIM_400000_NS6detail17trampoline_kernelINS0_14default_configENS1_35adjacent_difference_config_selectorILb0ElEEZNS1_24adjacent_difference_implIS3_Lb0ELb0EPlS7_ZN2at6native12_GLOBAL__N_124unique_dim_cuda_templateIsEESt5tupleIJNS8_6TensorESD_SD_EERKSD_lbbbEUlllE1_EE10hipError_tPvRmT2_T3_mT4_P12ihipStream_tbEUlT_E_NS1_11comp_targetILNS1_3genE4ELNS1_11target_archE910ELNS1_3gpuE8ELNS1_3repE0EEENS1_30default_config_static_selectorELNS0_4arch9wavefront6targetE0EEEvT1_
		.amdhsa_group_segment_fixed_size 0
		.amdhsa_private_segment_fixed_size 0
		.amdhsa_kernarg_size 64
		.amdhsa_user_sgpr_count 15
		.amdhsa_user_sgpr_dispatch_ptr 0
		.amdhsa_user_sgpr_queue_ptr 0
		.amdhsa_user_sgpr_kernarg_segment_ptr 1
		.amdhsa_user_sgpr_dispatch_id 0
		.amdhsa_user_sgpr_private_segment_size 0
		.amdhsa_wavefront_size32 1
		.amdhsa_uses_dynamic_stack 0
		.amdhsa_enable_private_segment 0
		.amdhsa_system_sgpr_workgroup_id_x 1
		.amdhsa_system_sgpr_workgroup_id_y 0
		.amdhsa_system_sgpr_workgroup_id_z 0
		.amdhsa_system_sgpr_workgroup_info 0
		.amdhsa_system_vgpr_workitem_id 0
		.amdhsa_next_free_vgpr 1
		.amdhsa_next_free_sgpr 1
		.amdhsa_reserve_vcc 0
		.amdhsa_float_round_mode_32 0
		.amdhsa_float_round_mode_16_64 0
		.amdhsa_float_denorm_mode_32 3
		.amdhsa_float_denorm_mode_16_64 3
		.amdhsa_dx10_clamp 1
		.amdhsa_ieee_mode 1
		.amdhsa_fp16_overflow 0
		.amdhsa_workgroup_processor_mode 1
		.amdhsa_memory_ordered 1
		.amdhsa_forward_progress 0
		.amdhsa_shared_vgpr_count 0
		.amdhsa_exception_fp_ieee_invalid_op 0
		.amdhsa_exception_fp_denorm_src 0
		.amdhsa_exception_fp_ieee_div_zero 0
		.amdhsa_exception_fp_ieee_overflow 0
		.amdhsa_exception_fp_ieee_underflow 0
		.amdhsa_exception_fp_ieee_inexact 0
		.amdhsa_exception_int_div_zero 0
	.end_amdhsa_kernel
	.section	.text._ZN7rocprim17ROCPRIM_400000_NS6detail17trampoline_kernelINS0_14default_configENS1_35adjacent_difference_config_selectorILb0ElEEZNS1_24adjacent_difference_implIS3_Lb0ELb0EPlS7_ZN2at6native12_GLOBAL__N_124unique_dim_cuda_templateIsEESt5tupleIJNS8_6TensorESD_SD_EERKSD_lbbbEUlllE1_EE10hipError_tPvRmT2_T3_mT4_P12ihipStream_tbEUlT_E_NS1_11comp_targetILNS1_3genE4ELNS1_11target_archE910ELNS1_3gpuE8ELNS1_3repE0EEENS1_30default_config_static_selectorELNS0_4arch9wavefront6targetE0EEEvT1_,"axG",@progbits,_ZN7rocprim17ROCPRIM_400000_NS6detail17trampoline_kernelINS0_14default_configENS1_35adjacent_difference_config_selectorILb0ElEEZNS1_24adjacent_difference_implIS3_Lb0ELb0EPlS7_ZN2at6native12_GLOBAL__N_124unique_dim_cuda_templateIsEESt5tupleIJNS8_6TensorESD_SD_EERKSD_lbbbEUlllE1_EE10hipError_tPvRmT2_T3_mT4_P12ihipStream_tbEUlT_E_NS1_11comp_targetILNS1_3genE4ELNS1_11target_archE910ELNS1_3gpuE8ELNS1_3repE0EEENS1_30default_config_static_selectorELNS0_4arch9wavefront6targetE0EEEvT1_,comdat
.Lfunc_end663:
	.size	_ZN7rocprim17ROCPRIM_400000_NS6detail17trampoline_kernelINS0_14default_configENS1_35adjacent_difference_config_selectorILb0ElEEZNS1_24adjacent_difference_implIS3_Lb0ELb0EPlS7_ZN2at6native12_GLOBAL__N_124unique_dim_cuda_templateIsEESt5tupleIJNS8_6TensorESD_SD_EERKSD_lbbbEUlllE1_EE10hipError_tPvRmT2_T3_mT4_P12ihipStream_tbEUlT_E_NS1_11comp_targetILNS1_3genE4ELNS1_11target_archE910ELNS1_3gpuE8ELNS1_3repE0EEENS1_30default_config_static_selectorELNS0_4arch9wavefront6targetE0EEEvT1_, .Lfunc_end663-_ZN7rocprim17ROCPRIM_400000_NS6detail17trampoline_kernelINS0_14default_configENS1_35adjacent_difference_config_selectorILb0ElEEZNS1_24adjacent_difference_implIS3_Lb0ELb0EPlS7_ZN2at6native12_GLOBAL__N_124unique_dim_cuda_templateIsEESt5tupleIJNS8_6TensorESD_SD_EERKSD_lbbbEUlllE1_EE10hipError_tPvRmT2_T3_mT4_P12ihipStream_tbEUlT_E_NS1_11comp_targetILNS1_3genE4ELNS1_11target_archE910ELNS1_3gpuE8ELNS1_3repE0EEENS1_30default_config_static_selectorELNS0_4arch9wavefront6targetE0EEEvT1_
                                        ; -- End function
	.section	.AMDGPU.csdata,"",@progbits
; Kernel info:
; codeLenInByte = 0
; NumSgprs: 0
; NumVgprs: 0
; ScratchSize: 0
; MemoryBound: 0
; FloatMode: 240
; IeeeMode: 1
; LDSByteSize: 0 bytes/workgroup (compile time only)
; SGPRBlocks: 0
; VGPRBlocks: 0
; NumSGPRsForWavesPerEU: 1
; NumVGPRsForWavesPerEU: 1
; Occupancy: 16
; WaveLimiterHint : 0
; COMPUTE_PGM_RSRC2:SCRATCH_EN: 0
; COMPUTE_PGM_RSRC2:USER_SGPR: 15
; COMPUTE_PGM_RSRC2:TRAP_HANDLER: 0
; COMPUTE_PGM_RSRC2:TGID_X_EN: 1
; COMPUTE_PGM_RSRC2:TGID_Y_EN: 0
; COMPUTE_PGM_RSRC2:TGID_Z_EN: 0
; COMPUTE_PGM_RSRC2:TIDIG_COMP_CNT: 0
	.section	.text._ZN7rocprim17ROCPRIM_400000_NS6detail17trampoline_kernelINS0_14default_configENS1_35adjacent_difference_config_selectorILb0ElEEZNS1_24adjacent_difference_implIS3_Lb0ELb0EPlS7_ZN2at6native12_GLOBAL__N_124unique_dim_cuda_templateIsEESt5tupleIJNS8_6TensorESD_SD_EERKSD_lbbbEUlllE1_EE10hipError_tPvRmT2_T3_mT4_P12ihipStream_tbEUlT_E_NS1_11comp_targetILNS1_3genE3ELNS1_11target_archE908ELNS1_3gpuE7ELNS1_3repE0EEENS1_30default_config_static_selectorELNS0_4arch9wavefront6targetE0EEEvT1_,"axG",@progbits,_ZN7rocprim17ROCPRIM_400000_NS6detail17trampoline_kernelINS0_14default_configENS1_35adjacent_difference_config_selectorILb0ElEEZNS1_24adjacent_difference_implIS3_Lb0ELb0EPlS7_ZN2at6native12_GLOBAL__N_124unique_dim_cuda_templateIsEESt5tupleIJNS8_6TensorESD_SD_EERKSD_lbbbEUlllE1_EE10hipError_tPvRmT2_T3_mT4_P12ihipStream_tbEUlT_E_NS1_11comp_targetILNS1_3genE3ELNS1_11target_archE908ELNS1_3gpuE7ELNS1_3repE0EEENS1_30default_config_static_selectorELNS0_4arch9wavefront6targetE0EEEvT1_,comdat
	.globl	_ZN7rocprim17ROCPRIM_400000_NS6detail17trampoline_kernelINS0_14default_configENS1_35adjacent_difference_config_selectorILb0ElEEZNS1_24adjacent_difference_implIS3_Lb0ELb0EPlS7_ZN2at6native12_GLOBAL__N_124unique_dim_cuda_templateIsEESt5tupleIJNS8_6TensorESD_SD_EERKSD_lbbbEUlllE1_EE10hipError_tPvRmT2_T3_mT4_P12ihipStream_tbEUlT_E_NS1_11comp_targetILNS1_3genE3ELNS1_11target_archE908ELNS1_3gpuE7ELNS1_3repE0EEENS1_30default_config_static_selectorELNS0_4arch9wavefront6targetE0EEEvT1_ ; -- Begin function _ZN7rocprim17ROCPRIM_400000_NS6detail17trampoline_kernelINS0_14default_configENS1_35adjacent_difference_config_selectorILb0ElEEZNS1_24adjacent_difference_implIS3_Lb0ELb0EPlS7_ZN2at6native12_GLOBAL__N_124unique_dim_cuda_templateIsEESt5tupleIJNS8_6TensorESD_SD_EERKSD_lbbbEUlllE1_EE10hipError_tPvRmT2_T3_mT4_P12ihipStream_tbEUlT_E_NS1_11comp_targetILNS1_3genE3ELNS1_11target_archE908ELNS1_3gpuE7ELNS1_3repE0EEENS1_30default_config_static_selectorELNS0_4arch9wavefront6targetE0EEEvT1_
	.p2align	8
	.type	_ZN7rocprim17ROCPRIM_400000_NS6detail17trampoline_kernelINS0_14default_configENS1_35adjacent_difference_config_selectorILb0ElEEZNS1_24adjacent_difference_implIS3_Lb0ELb0EPlS7_ZN2at6native12_GLOBAL__N_124unique_dim_cuda_templateIsEESt5tupleIJNS8_6TensorESD_SD_EERKSD_lbbbEUlllE1_EE10hipError_tPvRmT2_T3_mT4_P12ihipStream_tbEUlT_E_NS1_11comp_targetILNS1_3genE3ELNS1_11target_archE908ELNS1_3gpuE7ELNS1_3repE0EEENS1_30default_config_static_selectorELNS0_4arch9wavefront6targetE0EEEvT1_,@function
_ZN7rocprim17ROCPRIM_400000_NS6detail17trampoline_kernelINS0_14default_configENS1_35adjacent_difference_config_selectorILb0ElEEZNS1_24adjacent_difference_implIS3_Lb0ELb0EPlS7_ZN2at6native12_GLOBAL__N_124unique_dim_cuda_templateIsEESt5tupleIJNS8_6TensorESD_SD_EERKSD_lbbbEUlllE1_EE10hipError_tPvRmT2_T3_mT4_P12ihipStream_tbEUlT_E_NS1_11comp_targetILNS1_3genE3ELNS1_11target_archE908ELNS1_3gpuE7ELNS1_3repE0EEENS1_30default_config_static_selectorELNS0_4arch9wavefront6targetE0EEEvT1_: ; @_ZN7rocprim17ROCPRIM_400000_NS6detail17trampoline_kernelINS0_14default_configENS1_35adjacent_difference_config_selectorILb0ElEEZNS1_24adjacent_difference_implIS3_Lb0ELb0EPlS7_ZN2at6native12_GLOBAL__N_124unique_dim_cuda_templateIsEESt5tupleIJNS8_6TensorESD_SD_EERKSD_lbbbEUlllE1_EE10hipError_tPvRmT2_T3_mT4_P12ihipStream_tbEUlT_E_NS1_11comp_targetILNS1_3genE3ELNS1_11target_archE908ELNS1_3gpuE7ELNS1_3repE0EEENS1_30default_config_static_selectorELNS0_4arch9wavefront6targetE0EEEvT1_
; %bb.0:
	.section	.rodata,"a",@progbits
	.p2align	6, 0x0
	.amdhsa_kernel _ZN7rocprim17ROCPRIM_400000_NS6detail17trampoline_kernelINS0_14default_configENS1_35adjacent_difference_config_selectorILb0ElEEZNS1_24adjacent_difference_implIS3_Lb0ELb0EPlS7_ZN2at6native12_GLOBAL__N_124unique_dim_cuda_templateIsEESt5tupleIJNS8_6TensorESD_SD_EERKSD_lbbbEUlllE1_EE10hipError_tPvRmT2_T3_mT4_P12ihipStream_tbEUlT_E_NS1_11comp_targetILNS1_3genE3ELNS1_11target_archE908ELNS1_3gpuE7ELNS1_3repE0EEENS1_30default_config_static_selectorELNS0_4arch9wavefront6targetE0EEEvT1_
		.amdhsa_group_segment_fixed_size 0
		.amdhsa_private_segment_fixed_size 0
		.amdhsa_kernarg_size 64
		.amdhsa_user_sgpr_count 15
		.amdhsa_user_sgpr_dispatch_ptr 0
		.amdhsa_user_sgpr_queue_ptr 0
		.amdhsa_user_sgpr_kernarg_segment_ptr 1
		.amdhsa_user_sgpr_dispatch_id 0
		.amdhsa_user_sgpr_private_segment_size 0
		.amdhsa_wavefront_size32 1
		.amdhsa_uses_dynamic_stack 0
		.amdhsa_enable_private_segment 0
		.amdhsa_system_sgpr_workgroup_id_x 1
		.amdhsa_system_sgpr_workgroup_id_y 0
		.amdhsa_system_sgpr_workgroup_id_z 0
		.amdhsa_system_sgpr_workgroup_info 0
		.amdhsa_system_vgpr_workitem_id 0
		.amdhsa_next_free_vgpr 1
		.amdhsa_next_free_sgpr 1
		.amdhsa_reserve_vcc 0
		.amdhsa_float_round_mode_32 0
		.amdhsa_float_round_mode_16_64 0
		.amdhsa_float_denorm_mode_32 3
		.amdhsa_float_denorm_mode_16_64 3
		.amdhsa_dx10_clamp 1
		.amdhsa_ieee_mode 1
		.amdhsa_fp16_overflow 0
		.amdhsa_workgroup_processor_mode 1
		.amdhsa_memory_ordered 1
		.amdhsa_forward_progress 0
		.amdhsa_shared_vgpr_count 0
		.amdhsa_exception_fp_ieee_invalid_op 0
		.amdhsa_exception_fp_denorm_src 0
		.amdhsa_exception_fp_ieee_div_zero 0
		.amdhsa_exception_fp_ieee_overflow 0
		.amdhsa_exception_fp_ieee_underflow 0
		.amdhsa_exception_fp_ieee_inexact 0
		.amdhsa_exception_int_div_zero 0
	.end_amdhsa_kernel
	.section	.text._ZN7rocprim17ROCPRIM_400000_NS6detail17trampoline_kernelINS0_14default_configENS1_35adjacent_difference_config_selectorILb0ElEEZNS1_24adjacent_difference_implIS3_Lb0ELb0EPlS7_ZN2at6native12_GLOBAL__N_124unique_dim_cuda_templateIsEESt5tupleIJNS8_6TensorESD_SD_EERKSD_lbbbEUlllE1_EE10hipError_tPvRmT2_T3_mT4_P12ihipStream_tbEUlT_E_NS1_11comp_targetILNS1_3genE3ELNS1_11target_archE908ELNS1_3gpuE7ELNS1_3repE0EEENS1_30default_config_static_selectorELNS0_4arch9wavefront6targetE0EEEvT1_,"axG",@progbits,_ZN7rocprim17ROCPRIM_400000_NS6detail17trampoline_kernelINS0_14default_configENS1_35adjacent_difference_config_selectorILb0ElEEZNS1_24adjacent_difference_implIS3_Lb0ELb0EPlS7_ZN2at6native12_GLOBAL__N_124unique_dim_cuda_templateIsEESt5tupleIJNS8_6TensorESD_SD_EERKSD_lbbbEUlllE1_EE10hipError_tPvRmT2_T3_mT4_P12ihipStream_tbEUlT_E_NS1_11comp_targetILNS1_3genE3ELNS1_11target_archE908ELNS1_3gpuE7ELNS1_3repE0EEENS1_30default_config_static_selectorELNS0_4arch9wavefront6targetE0EEEvT1_,comdat
.Lfunc_end664:
	.size	_ZN7rocprim17ROCPRIM_400000_NS6detail17trampoline_kernelINS0_14default_configENS1_35adjacent_difference_config_selectorILb0ElEEZNS1_24adjacent_difference_implIS3_Lb0ELb0EPlS7_ZN2at6native12_GLOBAL__N_124unique_dim_cuda_templateIsEESt5tupleIJNS8_6TensorESD_SD_EERKSD_lbbbEUlllE1_EE10hipError_tPvRmT2_T3_mT4_P12ihipStream_tbEUlT_E_NS1_11comp_targetILNS1_3genE3ELNS1_11target_archE908ELNS1_3gpuE7ELNS1_3repE0EEENS1_30default_config_static_selectorELNS0_4arch9wavefront6targetE0EEEvT1_, .Lfunc_end664-_ZN7rocprim17ROCPRIM_400000_NS6detail17trampoline_kernelINS0_14default_configENS1_35adjacent_difference_config_selectorILb0ElEEZNS1_24adjacent_difference_implIS3_Lb0ELb0EPlS7_ZN2at6native12_GLOBAL__N_124unique_dim_cuda_templateIsEESt5tupleIJNS8_6TensorESD_SD_EERKSD_lbbbEUlllE1_EE10hipError_tPvRmT2_T3_mT4_P12ihipStream_tbEUlT_E_NS1_11comp_targetILNS1_3genE3ELNS1_11target_archE908ELNS1_3gpuE7ELNS1_3repE0EEENS1_30default_config_static_selectorELNS0_4arch9wavefront6targetE0EEEvT1_
                                        ; -- End function
	.section	.AMDGPU.csdata,"",@progbits
; Kernel info:
; codeLenInByte = 0
; NumSgprs: 0
; NumVgprs: 0
; ScratchSize: 0
; MemoryBound: 0
; FloatMode: 240
; IeeeMode: 1
; LDSByteSize: 0 bytes/workgroup (compile time only)
; SGPRBlocks: 0
; VGPRBlocks: 0
; NumSGPRsForWavesPerEU: 1
; NumVGPRsForWavesPerEU: 1
; Occupancy: 16
; WaveLimiterHint : 0
; COMPUTE_PGM_RSRC2:SCRATCH_EN: 0
; COMPUTE_PGM_RSRC2:USER_SGPR: 15
; COMPUTE_PGM_RSRC2:TRAP_HANDLER: 0
; COMPUTE_PGM_RSRC2:TGID_X_EN: 1
; COMPUTE_PGM_RSRC2:TGID_Y_EN: 0
; COMPUTE_PGM_RSRC2:TGID_Z_EN: 0
; COMPUTE_PGM_RSRC2:TIDIG_COMP_CNT: 0
	.section	.text._ZN7rocprim17ROCPRIM_400000_NS6detail17trampoline_kernelINS0_14default_configENS1_35adjacent_difference_config_selectorILb0ElEEZNS1_24adjacent_difference_implIS3_Lb0ELb0EPlS7_ZN2at6native12_GLOBAL__N_124unique_dim_cuda_templateIsEESt5tupleIJNS8_6TensorESD_SD_EERKSD_lbbbEUlllE1_EE10hipError_tPvRmT2_T3_mT4_P12ihipStream_tbEUlT_E_NS1_11comp_targetILNS1_3genE2ELNS1_11target_archE906ELNS1_3gpuE6ELNS1_3repE0EEENS1_30default_config_static_selectorELNS0_4arch9wavefront6targetE0EEEvT1_,"axG",@progbits,_ZN7rocprim17ROCPRIM_400000_NS6detail17trampoline_kernelINS0_14default_configENS1_35adjacent_difference_config_selectorILb0ElEEZNS1_24adjacent_difference_implIS3_Lb0ELb0EPlS7_ZN2at6native12_GLOBAL__N_124unique_dim_cuda_templateIsEESt5tupleIJNS8_6TensorESD_SD_EERKSD_lbbbEUlllE1_EE10hipError_tPvRmT2_T3_mT4_P12ihipStream_tbEUlT_E_NS1_11comp_targetILNS1_3genE2ELNS1_11target_archE906ELNS1_3gpuE6ELNS1_3repE0EEENS1_30default_config_static_selectorELNS0_4arch9wavefront6targetE0EEEvT1_,comdat
	.globl	_ZN7rocprim17ROCPRIM_400000_NS6detail17trampoline_kernelINS0_14default_configENS1_35adjacent_difference_config_selectorILb0ElEEZNS1_24adjacent_difference_implIS3_Lb0ELb0EPlS7_ZN2at6native12_GLOBAL__N_124unique_dim_cuda_templateIsEESt5tupleIJNS8_6TensorESD_SD_EERKSD_lbbbEUlllE1_EE10hipError_tPvRmT2_T3_mT4_P12ihipStream_tbEUlT_E_NS1_11comp_targetILNS1_3genE2ELNS1_11target_archE906ELNS1_3gpuE6ELNS1_3repE0EEENS1_30default_config_static_selectorELNS0_4arch9wavefront6targetE0EEEvT1_ ; -- Begin function _ZN7rocprim17ROCPRIM_400000_NS6detail17trampoline_kernelINS0_14default_configENS1_35adjacent_difference_config_selectorILb0ElEEZNS1_24adjacent_difference_implIS3_Lb0ELb0EPlS7_ZN2at6native12_GLOBAL__N_124unique_dim_cuda_templateIsEESt5tupleIJNS8_6TensorESD_SD_EERKSD_lbbbEUlllE1_EE10hipError_tPvRmT2_T3_mT4_P12ihipStream_tbEUlT_E_NS1_11comp_targetILNS1_3genE2ELNS1_11target_archE906ELNS1_3gpuE6ELNS1_3repE0EEENS1_30default_config_static_selectorELNS0_4arch9wavefront6targetE0EEEvT1_
	.p2align	8
	.type	_ZN7rocprim17ROCPRIM_400000_NS6detail17trampoline_kernelINS0_14default_configENS1_35adjacent_difference_config_selectorILb0ElEEZNS1_24adjacent_difference_implIS3_Lb0ELb0EPlS7_ZN2at6native12_GLOBAL__N_124unique_dim_cuda_templateIsEESt5tupleIJNS8_6TensorESD_SD_EERKSD_lbbbEUlllE1_EE10hipError_tPvRmT2_T3_mT4_P12ihipStream_tbEUlT_E_NS1_11comp_targetILNS1_3genE2ELNS1_11target_archE906ELNS1_3gpuE6ELNS1_3repE0EEENS1_30default_config_static_selectorELNS0_4arch9wavefront6targetE0EEEvT1_,@function
_ZN7rocprim17ROCPRIM_400000_NS6detail17trampoline_kernelINS0_14default_configENS1_35adjacent_difference_config_selectorILb0ElEEZNS1_24adjacent_difference_implIS3_Lb0ELb0EPlS7_ZN2at6native12_GLOBAL__N_124unique_dim_cuda_templateIsEESt5tupleIJNS8_6TensorESD_SD_EERKSD_lbbbEUlllE1_EE10hipError_tPvRmT2_T3_mT4_P12ihipStream_tbEUlT_E_NS1_11comp_targetILNS1_3genE2ELNS1_11target_archE906ELNS1_3gpuE6ELNS1_3repE0EEENS1_30default_config_static_selectorELNS0_4arch9wavefront6targetE0EEEvT1_: ; @_ZN7rocprim17ROCPRIM_400000_NS6detail17trampoline_kernelINS0_14default_configENS1_35adjacent_difference_config_selectorILb0ElEEZNS1_24adjacent_difference_implIS3_Lb0ELb0EPlS7_ZN2at6native12_GLOBAL__N_124unique_dim_cuda_templateIsEESt5tupleIJNS8_6TensorESD_SD_EERKSD_lbbbEUlllE1_EE10hipError_tPvRmT2_T3_mT4_P12ihipStream_tbEUlT_E_NS1_11comp_targetILNS1_3genE2ELNS1_11target_archE906ELNS1_3gpuE6ELNS1_3repE0EEENS1_30default_config_static_selectorELNS0_4arch9wavefront6targetE0EEEvT1_
; %bb.0:
	.section	.rodata,"a",@progbits
	.p2align	6, 0x0
	.amdhsa_kernel _ZN7rocprim17ROCPRIM_400000_NS6detail17trampoline_kernelINS0_14default_configENS1_35adjacent_difference_config_selectorILb0ElEEZNS1_24adjacent_difference_implIS3_Lb0ELb0EPlS7_ZN2at6native12_GLOBAL__N_124unique_dim_cuda_templateIsEESt5tupleIJNS8_6TensorESD_SD_EERKSD_lbbbEUlllE1_EE10hipError_tPvRmT2_T3_mT4_P12ihipStream_tbEUlT_E_NS1_11comp_targetILNS1_3genE2ELNS1_11target_archE906ELNS1_3gpuE6ELNS1_3repE0EEENS1_30default_config_static_selectorELNS0_4arch9wavefront6targetE0EEEvT1_
		.amdhsa_group_segment_fixed_size 0
		.amdhsa_private_segment_fixed_size 0
		.amdhsa_kernarg_size 64
		.amdhsa_user_sgpr_count 15
		.amdhsa_user_sgpr_dispatch_ptr 0
		.amdhsa_user_sgpr_queue_ptr 0
		.amdhsa_user_sgpr_kernarg_segment_ptr 1
		.amdhsa_user_sgpr_dispatch_id 0
		.amdhsa_user_sgpr_private_segment_size 0
		.amdhsa_wavefront_size32 1
		.amdhsa_uses_dynamic_stack 0
		.amdhsa_enable_private_segment 0
		.amdhsa_system_sgpr_workgroup_id_x 1
		.amdhsa_system_sgpr_workgroup_id_y 0
		.amdhsa_system_sgpr_workgroup_id_z 0
		.amdhsa_system_sgpr_workgroup_info 0
		.amdhsa_system_vgpr_workitem_id 0
		.amdhsa_next_free_vgpr 1
		.amdhsa_next_free_sgpr 1
		.amdhsa_reserve_vcc 0
		.amdhsa_float_round_mode_32 0
		.amdhsa_float_round_mode_16_64 0
		.amdhsa_float_denorm_mode_32 3
		.amdhsa_float_denorm_mode_16_64 3
		.amdhsa_dx10_clamp 1
		.amdhsa_ieee_mode 1
		.amdhsa_fp16_overflow 0
		.amdhsa_workgroup_processor_mode 1
		.amdhsa_memory_ordered 1
		.amdhsa_forward_progress 0
		.amdhsa_shared_vgpr_count 0
		.amdhsa_exception_fp_ieee_invalid_op 0
		.amdhsa_exception_fp_denorm_src 0
		.amdhsa_exception_fp_ieee_div_zero 0
		.amdhsa_exception_fp_ieee_overflow 0
		.amdhsa_exception_fp_ieee_underflow 0
		.amdhsa_exception_fp_ieee_inexact 0
		.amdhsa_exception_int_div_zero 0
	.end_amdhsa_kernel
	.section	.text._ZN7rocprim17ROCPRIM_400000_NS6detail17trampoline_kernelINS0_14default_configENS1_35adjacent_difference_config_selectorILb0ElEEZNS1_24adjacent_difference_implIS3_Lb0ELb0EPlS7_ZN2at6native12_GLOBAL__N_124unique_dim_cuda_templateIsEESt5tupleIJNS8_6TensorESD_SD_EERKSD_lbbbEUlllE1_EE10hipError_tPvRmT2_T3_mT4_P12ihipStream_tbEUlT_E_NS1_11comp_targetILNS1_3genE2ELNS1_11target_archE906ELNS1_3gpuE6ELNS1_3repE0EEENS1_30default_config_static_selectorELNS0_4arch9wavefront6targetE0EEEvT1_,"axG",@progbits,_ZN7rocprim17ROCPRIM_400000_NS6detail17trampoline_kernelINS0_14default_configENS1_35adjacent_difference_config_selectorILb0ElEEZNS1_24adjacent_difference_implIS3_Lb0ELb0EPlS7_ZN2at6native12_GLOBAL__N_124unique_dim_cuda_templateIsEESt5tupleIJNS8_6TensorESD_SD_EERKSD_lbbbEUlllE1_EE10hipError_tPvRmT2_T3_mT4_P12ihipStream_tbEUlT_E_NS1_11comp_targetILNS1_3genE2ELNS1_11target_archE906ELNS1_3gpuE6ELNS1_3repE0EEENS1_30default_config_static_selectorELNS0_4arch9wavefront6targetE0EEEvT1_,comdat
.Lfunc_end665:
	.size	_ZN7rocprim17ROCPRIM_400000_NS6detail17trampoline_kernelINS0_14default_configENS1_35adjacent_difference_config_selectorILb0ElEEZNS1_24adjacent_difference_implIS3_Lb0ELb0EPlS7_ZN2at6native12_GLOBAL__N_124unique_dim_cuda_templateIsEESt5tupleIJNS8_6TensorESD_SD_EERKSD_lbbbEUlllE1_EE10hipError_tPvRmT2_T3_mT4_P12ihipStream_tbEUlT_E_NS1_11comp_targetILNS1_3genE2ELNS1_11target_archE906ELNS1_3gpuE6ELNS1_3repE0EEENS1_30default_config_static_selectorELNS0_4arch9wavefront6targetE0EEEvT1_, .Lfunc_end665-_ZN7rocprim17ROCPRIM_400000_NS6detail17trampoline_kernelINS0_14default_configENS1_35adjacent_difference_config_selectorILb0ElEEZNS1_24adjacent_difference_implIS3_Lb0ELb0EPlS7_ZN2at6native12_GLOBAL__N_124unique_dim_cuda_templateIsEESt5tupleIJNS8_6TensorESD_SD_EERKSD_lbbbEUlllE1_EE10hipError_tPvRmT2_T3_mT4_P12ihipStream_tbEUlT_E_NS1_11comp_targetILNS1_3genE2ELNS1_11target_archE906ELNS1_3gpuE6ELNS1_3repE0EEENS1_30default_config_static_selectorELNS0_4arch9wavefront6targetE0EEEvT1_
                                        ; -- End function
	.section	.AMDGPU.csdata,"",@progbits
; Kernel info:
; codeLenInByte = 0
; NumSgprs: 0
; NumVgprs: 0
; ScratchSize: 0
; MemoryBound: 0
; FloatMode: 240
; IeeeMode: 1
; LDSByteSize: 0 bytes/workgroup (compile time only)
; SGPRBlocks: 0
; VGPRBlocks: 0
; NumSGPRsForWavesPerEU: 1
; NumVGPRsForWavesPerEU: 1
; Occupancy: 16
; WaveLimiterHint : 0
; COMPUTE_PGM_RSRC2:SCRATCH_EN: 0
; COMPUTE_PGM_RSRC2:USER_SGPR: 15
; COMPUTE_PGM_RSRC2:TRAP_HANDLER: 0
; COMPUTE_PGM_RSRC2:TGID_X_EN: 1
; COMPUTE_PGM_RSRC2:TGID_Y_EN: 0
; COMPUTE_PGM_RSRC2:TGID_Z_EN: 0
; COMPUTE_PGM_RSRC2:TIDIG_COMP_CNT: 0
	.section	.text._ZN7rocprim17ROCPRIM_400000_NS6detail17trampoline_kernelINS0_14default_configENS1_35adjacent_difference_config_selectorILb0ElEEZNS1_24adjacent_difference_implIS3_Lb0ELb0EPlS7_ZN2at6native12_GLOBAL__N_124unique_dim_cuda_templateIsEESt5tupleIJNS8_6TensorESD_SD_EERKSD_lbbbEUlllE1_EE10hipError_tPvRmT2_T3_mT4_P12ihipStream_tbEUlT_E_NS1_11comp_targetILNS1_3genE9ELNS1_11target_archE1100ELNS1_3gpuE3ELNS1_3repE0EEENS1_30default_config_static_selectorELNS0_4arch9wavefront6targetE0EEEvT1_,"axG",@progbits,_ZN7rocprim17ROCPRIM_400000_NS6detail17trampoline_kernelINS0_14default_configENS1_35adjacent_difference_config_selectorILb0ElEEZNS1_24adjacent_difference_implIS3_Lb0ELb0EPlS7_ZN2at6native12_GLOBAL__N_124unique_dim_cuda_templateIsEESt5tupleIJNS8_6TensorESD_SD_EERKSD_lbbbEUlllE1_EE10hipError_tPvRmT2_T3_mT4_P12ihipStream_tbEUlT_E_NS1_11comp_targetILNS1_3genE9ELNS1_11target_archE1100ELNS1_3gpuE3ELNS1_3repE0EEENS1_30default_config_static_selectorELNS0_4arch9wavefront6targetE0EEEvT1_,comdat
	.globl	_ZN7rocprim17ROCPRIM_400000_NS6detail17trampoline_kernelINS0_14default_configENS1_35adjacent_difference_config_selectorILb0ElEEZNS1_24adjacent_difference_implIS3_Lb0ELb0EPlS7_ZN2at6native12_GLOBAL__N_124unique_dim_cuda_templateIsEESt5tupleIJNS8_6TensorESD_SD_EERKSD_lbbbEUlllE1_EE10hipError_tPvRmT2_T3_mT4_P12ihipStream_tbEUlT_E_NS1_11comp_targetILNS1_3genE9ELNS1_11target_archE1100ELNS1_3gpuE3ELNS1_3repE0EEENS1_30default_config_static_selectorELNS0_4arch9wavefront6targetE0EEEvT1_ ; -- Begin function _ZN7rocprim17ROCPRIM_400000_NS6detail17trampoline_kernelINS0_14default_configENS1_35adjacent_difference_config_selectorILb0ElEEZNS1_24adjacent_difference_implIS3_Lb0ELb0EPlS7_ZN2at6native12_GLOBAL__N_124unique_dim_cuda_templateIsEESt5tupleIJNS8_6TensorESD_SD_EERKSD_lbbbEUlllE1_EE10hipError_tPvRmT2_T3_mT4_P12ihipStream_tbEUlT_E_NS1_11comp_targetILNS1_3genE9ELNS1_11target_archE1100ELNS1_3gpuE3ELNS1_3repE0EEENS1_30default_config_static_selectorELNS0_4arch9wavefront6targetE0EEEvT1_
	.p2align	8
	.type	_ZN7rocprim17ROCPRIM_400000_NS6detail17trampoline_kernelINS0_14default_configENS1_35adjacent_difference_config_selectorILb0ElEEZNS1_24adjacent_difference_implIS3_Lb0ELb0EPlS7_ZN2at6native12_GLOBAL__N_124unique_dim_cuda_templateIsEESt5tupleIJNS8_6TensorESD_SD_EERKSD_lbbbEUlllE1_EE10hipError_tPvRmT2_T3_mT4_P12ihipStream_tbEUlT_E_NS1_11comp_targetILNS1_3genE9ELNS1_11target_archE1100ELNS1_3gpuE3ELNS1_3repE0EEENS1_30default_config_static_selectorELNS0_4arch9wavefront6targetE0EEEvT1_,@function
_ZN7rocprim17ROCPRIM_400000_NS6detail17trampoline_kernelINS0_14default_configENS1_35adjacent_difference_config_selectorILb0ElEEZNS1_24adjacent_difference_implIS3_Lb0ELb0EPlS7_ZN2at6native12_GLOBAL__N_124unique_dim_cuda_templateIsEESt5tupleIJNS8_6TensorESD_SD_EERKSD_lbbbEUlllE1_EE10hipError_tPvRmT2_T3_mT4_P12ihipStream_tbEUlT_E_NS1_11comp_targetILNS1_3genE9ELNS1_11target_archE1100ELNS1_3gpuE3ELNS1_3repE0EEENS1_30default_config_static_selectorELNS0_4arch9wavefront6targetE0EEEvT1_: ; @_ZN7rocprim17ROCPRIM_400000_NS6detail17trampoline_kernelINS0_14default_configENS1_35adjacent_difference_config_selectorILb0ElEEZNS1_24adjacent_difference_implIS3_Lb0ELb0EPlS7_ZN2at6native12_GLOBAL__N_124unique_dim_cuda_templateIsEESt5tupleIJNS8_6TensorESD_SD_EERKSD_lbbbEUlllE1_EE10hipError_tPvRmT2_T3_mT4_P12ihipStream_tbEUlT_E_NS1_11comp_targetILNS1_3genE9ELNS1_11target_archE1100ELNS1_3gpuE3ELNS1_3repE0EEENS1_30default_config_static_selectorELNS0_4arch9wavefront6targetE0EEEvT1_
; %bb.0:
	s_clause 0x1
	s_load_b256 s[4:11], s[0:1], 0x0
	s_load_b64 s[18:19], s[0:1], 0x38
	s_mov_b32 s17, 0
	s_waitcnt lgkmcnt(0)
	s_lshl_b64 s[12:13], s[6:7], 3
	s_delay_alu instid0(SALU_CYCLE_1)
	s_add_u32 s20, s4, s12
	s_addc_u32 s21, s5, s13
	s_load_b128 s[4:7], s[0:1], 0x20
	s_and_b32 s16, s10, 0x1ff
	s_lshl_b32 s2, s15, 9
	s_lshr_b64 s[22:23], s[10:11], 9
	s_cmp_lg_u64 s[16:17], 0
	s_cselect_b32 s3, -1, 0
	s_delay_alu instid0(SALU_CYCLE_1) | instskip(NEXT) | instid1(VALU_DEP_1)
	v_cndmask_b32_e64 v1, 0, 1, s3
	v_readfirstlane_b32 s3, v1
	s_delay_alu instid0(VALU_DEP_1)
	s_add_u32 s16, s22, s3
	s_addc_u32 s17, s23, 0
	s_add_u32 s18, s18, s15
	s_addc_u32 s19, s19, 0
	s_add_u32 s14, s16, -1
	s_addc_u32 s15, s17, -1
	s_delay_alu instid0(SALU_CYCLE_1) | instskip(NEXT) | instid1(VALU_DEP_1)
	v_cmp_ge_u64_e64 s1, s[18:19], s[14:15]
	s_and_b32 vcc_lo, exec_lo, s1
	s_cbranch_vccz .LBB666_4
; %bb.1:
	s_lshl_b32 s0, s14, 9
                                        ; implicit-def: $vgpr1_vgpr2
	s_delay_alu instid0(SALU_CYCLE_1) | instskip(NEXT) | instid1(SALU_CYCLE_1)
	s_sub_i32 s0, s10, s0
	v_cmp_gt_u32_e32 vcc_lo, s0, v0
	s_and_saveexec_b32 s0, vcc_lo
	s_cbranch_execz .LBB666_3
; %bb.2:
	s_mov_b32 s3, 0
	v_lshlrev_b32_e32 v1, 3, v0
	s_lshl_b64 s[22:23], s[2:3], 3
	s_delay_alu instid0(SALU_CYCLE_1)
	s_add_u32 s22, s20, s22
	s_addc_u32 s23, s21, s23
	global_load_b64 v[1:2], v1, s[22:23]
.LBB666_3:
	s_or_b32 exec_lo, exec_lo, s0
	v_lshlrev_b32_e32 v3, 3, v0
	s_waitcnt vmcnt(0)
	ds_store_b64 v3, v[1:2]
	s_waitcnt lgkmcnt(0)
	s_barrier
	v_lshlrev_b32_e32 v9, 3, v0
	s_branch .LBB666_6
.LBB666_4:
                                        ; implicit-def: $vgpr3
	v_lshlrev_b32_e32 v9, 3, v0
	s_cbranch_execz .LBB666_6
; %bb.5:
	s_mov_b32 s3, 0
	s_delay_alu instid0(VALU_DEP_1) | instskip(SKIP_1) | instid1(SALU_CYCLE_1)
	v_mov_b32_e32 v3, v9
	s_lshl_b64 s[22:23], s[2:3], 3
	s_add_u32 s22, s20, s22
	s_addc_u32 s23, s21, s23
	global_load_b64 v[1:2], v9, s[22:23]
	s_waitcnt vmcnt(0)
	ds_store_b64 v9, v[1:2]
	s_waitcnt lgkmcnt(0)
	s_barrier
.LBB666_6:
	s_waitcnt lgkmcnt(0)
	buffer_gl0_inv
	ds_load_b64 v[1:2], v3
	s_cmp_eq_u64 s[18:19], 0
	s_waitcnt lgkmcnt(0)
	s_barrier
	buffer_gl0_inv
	s_cbranch_scc1 .LBB666_17
; %bb.7:
	s_mov_b32 s3, 0
	s_delay_alu instid0(SALU_CYCLE_1) | instskip(NEXT) | instid1(SALU_CYCLE_1)
	s_lshl_b64 s[22:23], s[2:3], 3
	s_add_u32 s0, s20, s22
	s_addc_u32 s11, s21, s23
	s_add_u32 s20, s0, -8
	s_addc_u32 s21, s11, -1
	s_cmp_lg_u64 s[18:19], s[14:15]
	s_load_b64 s[20:21], s[20:21], 0x0
	s_cbranch_scc0 .LBB666_18
; %bb.8:
	s_waitcnt lgkmcnt(0)
	v_dual_mov_b32 v3, s20 :: v_dual_mov_b32 v4, s21
	s_mov_b32 s0, 0
	s_mov_b32 s3, exec_lo
	ds_store_b64 v9, v[1:2]
	s_waitcnt lgkmcnt(0)
	s_barrier
	buffer_gl0_inv
	v_cmpx_ne_u32_e32 0, v0
	s_cbranch_execz .LBB666_10
; %bb.9:
	v_add_nc_u32_e32 v3, -8, v9
	ds_load_b64 v[3:4], v3
.LBB666_10:
	s_or_b32 exec_lo, exec_lo, s3
	v_cmp_lt_i64_e64 s3, s[4:5], 1
	s_delay_alu instid0(VALU_DEP_1)
	s_and_b32 vcc_lo, exec_lo, s3
	s_cbranch_vccnz .LBB666_21
; %bb.11:
	v_mul_lo_u32 v10, v2, s4
	v_mul_lo_u32 v11, v1, s5
	v_mad_u64_u32 v[5:6], null, v1, s4, 0
	s_waitcnt lgkmcnt(0)
	v_mul_lo_u32 v4, v4, s4
	v_mul_lo_u32 v12, v3, s5
	v_mad_u64_u32 v[7:8], null, v3, s4, 0
	s_mov_b32 s0, -1
	s_mov_b32 s3, exec_lo
	s_delay_alu instid0(VALU_DEP_4) | instskip(NEXT) | instid1(VALU_DEP_2)
	v_add3_u32 v6, v6, v11, v10
	v_add3_u32 v8, v8, v12, v4
	s_delay_alu instid0(VALU_DEP_2) | instskip(NEXT) | instid1(VALU_DEP_2)
	v_lshlrev_b64 v[3:4], 1, v[5:6]
	v_lshlrev_b64 v[7:8], 1, v[7:8]
	s_delay_alu instid0(VALU_DEP_2) | instskip(NEXT) | instid1(VALU_DEP_3)
	v_add_co_u32 v5, vcc_lo, s6, v3
	v_add_co_ci_u32_e32 v6, vcc_lo, s7, v4, vcc_lo
	s_delay_alu instid0(VALU_DEP_3) | instskip(NEXT) | instid1(VALU_DEP_4)
	v_add_co_u32 v3, vcc_lo, s6, v7
	v_add_co_ci_u32_e32 v4, vcc_lo, s7, v8, vcc_lo
	s_clause 0x1
	global_load_u16 v7, v[5:6], off
	global_load_u16 v8, v[3:4], off
	s_waitcnt vmcnt(0)
	v_cmpx_eq_u16_e64 v7, v8
	s_cbranch_execz .LBB666_20
; %bb.12:
	v_add_co_u32 v3, vcc_lo, v3, 2
	v_add_co_ci_u32_e32 v4, vcc_lo, 0, v4, vcc_lo
	v_add_co_u32 v5, vcc_lo, v5, 2
	v_add_co_ci_u32_e32 v6, vcc_lo, 0, v6, vcc_lo
	s_add_u32 s22, s4, -1
	s_addc_u32 s23, s5, -1
	s_mov_b64 s[24:25], 0
	s_mov_b32 s11, 0
                                        ; implicit-def: $sgpr15
	s_set_inst_prefetch_distance 0x1
	s_branch .LBB666_15
	.p2align	6
.LBB666_13:                             ;   in Loop: Header=BB666_15 Depth=1
	global_load_u16 v7, v[5:6], off
	global_load_u16 v8, v[3:4], off
	v_add_co_u32 v3, vcc_lo, v3, 2
	v_add_co_ci_u32_e32 v4, vcc_lo, 0, v4, vcc_lo
	v_add_co_u32 v5, s0, v5, 2
	s_delay_alu instid0(VALU_DEP_1)
	v_add_co_ci_u32_e64 v6, s0, 0, v6, s0
	s_add_u32 s24, s24, 1
	s_addc_u32 s25, s25, 0
	s_and_not1_b32 s0, s15, exec_lo
	s_waitcnt vmcnt(0)
	v_cmp_ne_u16_e32 vcc_lo, v7, v8
	s_and_b32 s15, vcc_lo, exec_lo
	s_delay_alu instid0(SALU_CYCLE_1)
	s_or_b32 s15, s0, s15
.LBB666_14:                             ;   in Loop: Header=BB666_15 Depth=1
	v_dual_mov_b32 v7, s24 :: v_dual_mov_b32 v8, s25
	s_and_b32 s0, exec_lo, s15
	s_delay_alu instid0(SALU_CYCLE_1) | instskip(NEXT) | instid1(SALU_CYCLE_1)
	s_or_b32 s11, s0, s11
	s_and_not1_b32 exec_lo, exec_lo, s11
	s_cbranch_execz .LBB666_19
.LBB666_15:                             ; =>This Inner Loop Header: Depth=1
	s_or_b32 s15, s15, exec_lo
	s_cmp_eq_u64 s[22:23], s[24:25]
	s_cbranch_scc0 .LBB666_13
; %bb.16:                               ;   in Loop: Header=BB666_15 Depth=1
	s_mov_b64 s[24:25], s[4:5]
                                        ; implicit-def: $vgpr3_vgpr4
                                        ; implicit-def: $vgpr5_vgpr6
	s_branch .LBB666_14
.LBB666_17:
	s_mov_b32 s3, 0
                                        ; implicit-def: $sgpr0
	s_cbranch_execnz .LBB666_38
	s_branch .LBB666_65
.LBB666_18:
                                        ; implicit-def: $sgpr0
	s_cbranch_execnz .LBB666_22
	s_branch .LBB666_37
.LBB666_19:
	s_set_inst_prefetch_distance 0x2
	s_or_b32 exec_lo, exec_lo, s11
	v_cmp_gt_i64_e32 vcc_lo, s[4:5], v[7:8]
	s_or_not1_b32 s0, vcc_lo, exec_lo
.LBB666_20:
	s_or_b32 exec_lo, exec_lo, s3
.LBB666_21:
	s_mov_b32 s3, -1
	s_branch .LBB666_37
.LBB666_22:
	s_waitcnt lgkmcnt(0)
	v_dual_mov_b32 v3, s20 :: v_dual_mov_b32 v4, s21
	s_mov_b32 s0, exec_lo
	ds_store_b64 v9, v[1:2]
	s_waitcnt lgkmcnt(0)
	s_barrier
	buffer_gl0_inv
	v_cmpx_ne_u32_e32 0, v0
	s_cbranch_execz .LBB666_24
; %bb.23:
	v_add_nc_u32_e32 v3, -8, v9
	ds_load_b64 v[3:4], v3
.LBB666_24:
	s_or_b32 exec_lo, exec_lo, s0
	s_lshl_b32 s0, s18, 9
	s_delay_alu instid0(SALU_CYCLE_1) | instskip(NEXT) | instid1(SALU_CYCLE_1)
	s_sub_i32 s0, s10, s0
	v_cmp_gt_u32_e32 vcc_lo, s0, v0
                                        ; implicit-def: $sgpr0
	s_and_saveexec_b32 s11, vcc_lo
	s_cbranch_execz .LBB666_36
; %bb.25:
	v_cmp_lt_i64_e64 s0, s[4:5], 1
	s_delay_alu instid0(VALU_DEP_1)
	s_and_b32 vcc_lo, exec_lo, s0
	s_cbranch_vccnz .LBB666_32
; %bb.26:
	v_mul_lo_u32 v10, v2, s4
	v_mul_lo_u32 v11, v1, s5
	v_mad_u64_u32 v[5:6], null, v1, s4, 0
	s_waitcnt lgkmcnt(0)
	v_mul_lo_u32 v4, v4, s4
	v_mul_lo_u32 v12, v3, s5
	v_mad_u64_u32 v[7:8], null, v3, s4, 0
	s_mov_b32 s0, -1
	s_mov_b32 s15, exec_lo
	s_delay_alu instid0(VALU_DEP_4) | instskip(NEXT) | instid1(VALU_DEP_2)
	v_add3_u32 v6, v6, v11, v10
	v_add3_u32 v8, v8, v12, v4
	s_delay_alu instid0(VALU_DEP_2) | instskip(NEXT) | instid1(VALU_DEP_2)
	v_lshlrev_b64 v[3:4], 1, v[5:6]
	v_lshlrev_b64 v[7:8], 1, v[7:8]
	s_delay_alu instid0(VALU_DEP_2) | instskip(NEXT) | instid1(VALU_DEP_3)
	v_add_co_u32 v5, vcc_lo, s6, v3
	v_add_co_ci_u32_e32 v6, vcc_lo, s7, v4, vcc_lo
	s_delay_alu instid0(VALU_DEP_3) | instskip(NEXT) | instid1(VALU_DEP_4)
	v_add_co_u32 v3, vcc_lo, s6, v7
	v_add_co_ci_u32_e32 v4, vcc_lo, s7, v8, vcc_lo
	s_clause 0x1
	global_load_u16 v7, v[5:6], off
	global_load_u16 v8, v[3:4], off
	s_waitcnt vmcnt(0)
	v_cmpx_eq_u16_e64 v7, v8
	s_cbranch_execz .LBB666_34
; %bb.27:
	v_add_co_u32 v3, vcc_lo, v3, 2
	v_add_co_ci_u32_e32 v4, vcc_lo, 0, v4, vcc_lo
	v_add_co_u32 v5, vcc_lo, v5, 2
	v_add_co_ci_u32_e32 v6, vcc_lo, 0, v6, vcc_lo
	s_add_u32 s18, s4, -1
	s_addc_u32 s19, s5, -1
	s_mov_b64 s[20:21], 0
	s_mov_b32 s22, 0
                                        ; implicit-def: $sgpr23
	s_set_inst_prefetch_distance 0x1
	s_branch .LBB666_30
	.p2align	6
.LBB666_28:                             ;   in Loop: Header=BB666_30 Depth=1
	global_load_u16 v7, v[5:6], off
	global_load_u16 v8, v[3:4], off
	v_add_co_u32 v3, vcc_lo, v3, 2
	v_add_co_ci_u32_e32 v4, vcc_lo, 0, v4, vcc_lo
	v_add_co_u32 v5, s0, v5, 2
	s_delay_alu instid0(VALU_DEP_1)
	v_add_co_ci_u32_e64 v6, s0, 0, v6, s0
	s_add_u32 s20, s20, 1
	s_addc_u32 s21, s21, 0
	s_and_not1_b32 s0, s23, exec_lo
	s_waitcnt vmcnt(0)
	v_cmp_ne_u16_e32 vcc_lo, v7, v8
	s_and_b32 s23, vcc_lo, exec_lo
	s_delay_alu instid0(SALU_CYCLE_1)
	s_or_b32 s23, s0, s23
.LBB666_29:                             ;   in Loop: Header=BB666_30 Depth=1
	v_dual_mov_b32 v7, s20 :: v_dual_mov_b32 v8, s21
	s_and_b32 s0, exec_lo, s23
	s_delay_alu instid0(SALU_CYCLE_1) | instskip(NEXT) | instid1(SALU_CYCLE_1)
	s_or_b32 s22, s0, s22
	s_and_not1_b32 exec_lo, exec_lo, s22
	s_cbranch_execz .LBB666_33
.LBB666_30:                             ; =>This Inner Loop Header: Depth=1
	s_or_b32 s23, s23, exec_lo
	s_cmp_eq_u64 s[18:19], s[20:21]
	s_cbranch_scc0 .LBB666_28
; %bb.31:                               ;   in Loop: Header=BB666_30 Depth=1
	s_mov_b64 s[20:21], s[4:5]
                                        ; implicit-def: $vgpr3_vgpr4
                                        ; implicit-def: $vgpr5_vgpr6
	s_branch .LBB666_29
.LBB666_32:
	s_mov_b32 s0, 0
	s_branch .LBB666_35
.LBB666_33:
	s_set_inst_prefetch_distance 0x2
	s_or_b32 exec_lo, exec_lo, s22
	v_cmp_gt_i64_e32 vcc_lo, s[4:5], v[7:8]
	s_or_not1_b32 s0, vcc_lo, exec_lo
.LBB666_34:
	s_or_b32 exec_lo, exec_lo, s15
.LBB666_35:
	s_delay_alu instid0(SALU_CYCLE_1)
	s_and_b32 s0, s0, exec_lo
	s_or_b32 s3, s3, exec_lo
.LBB666_36:
	s_or_b32 exec_lo, exec_lo, s11
.LBB666_37:
	s_branch .LBB666_65
.LBB666_38:
	s_cmp_lg_u64 s[16:17], 1
	s_cbranch_scc0 .LBB666_47
; %bb.39:
	s_mov_b32 s11, 0
	s_mov_b32 s15, exec_lo
	ds_store_b64 v9, v[1:2]
	s_waitcnt lgkmcnt(0)
	s_barrier
	buffer_gl0_inv
                                        ; implicit-def: $sgpr0
	v_cmpx_ne_u32_e32 0, v0
	s_cbranch_execz .LBB666_48
; %bb.40:
	v_cmp_lt_i64_e64 s0, s[4:5], 1
	s_delay_alu instid0(VALU_DEP_1)
	s_and_b32 vcc_lo, exec_lo, s0
	s_cbranch_vccnz .LBB666_49
; %bb.41:
	v_add_nc_u32_e32 v3, -8, v9
	v_mul_lo_u32 v10, v2, s4
	v_mul_lo_u32 v11, v1, s5
	v_mad_u64_u32 v[5:6], null, v1, s4, 0
	ds_load_b64 v[3:4], v3
	s_mov_b32 s0, -1
	s_mov_b32 s20, exec_lo
	v_add3_u32 v6, v6, v11, v10
	s_waitcnt lgkmcnt(0)
	v_mul_lo_u32 v4, v4, s4
	v_mul_lo_u32 v12, v3, s5
	v_mad_u64_u32 v[7:8], null, v3, s4, 0
	s_delay_alu instid0(VALU_DEP_1) | instskip(SKIP_1) | instid1(VALU_DEP_2)
	v_add3_u32 v8, v8, v12, v4
	v_lshlrev_b64 v[3:4], 1, v[5:6]
	v_lshlrev_b64 v[7:8], 1, v[7:8]
	s_delay_alu instid0(VALU_DEP_2) | instskip(NEXT) | instid1(VALU_DEP_3)
	v_add_co_u32 v5, vcc_lo, s6, v3
	v_add_co_ci_u32_e32 v6, vcc_lo, s7, v4, vcc_lo
	s_delay_alu instid0(VALU_DEP_3) | instskip(NEXT) | instid1(VALU_DEP_4)
	v_add_co_u32 v3, vcc_lo, s6, v7
	v_add_co_ci_u32_e32 v4, vcc_lo, s7, v8, vcc_lo
	s_clause 0x1
	global_load_u16 v7, v[5:6], off
	global_load_u16 v8, v[3:4], off
	s_waitcnt vmcnt(0)
	v_cmpx_eq_u16_e64 v7, v8
	s_cbranch_execz .LBB666_51
; %bb.42:
	v_add_co_u32 v3, vcc_lo, v3, 2
	v_add_co_ci_u32_e32 v4, vcc_lo, 0, v4, vcc_lo
	v_add_co_u32 v5, vcc_lo, v5, 2
	v_add_co_ci_u32_e32 v6, vcc_lo, 0, v6, vcc_lo
	s_add_u32 s16, s4, -1
	s_addc_u32 s17, s5, -1
	s_mov_b64 s[18:19], 0
	s_mov_b32 s21, 0
                                        ; implicit-def: $sgpr22
	s_set_inst_prefetch_distance 0x1
	s_branch .LBB666_45
	.p2align	6
.LBB666_43:                             ;   in Loop: Header=BB666_45 Depth=1
	global_load_u16 v7, v[5:6], off
	global_load_u16 v8, v[3:4], off
	v_add_co_u32 v3, vcc_lo, v3, 2
	v_add_co_ci_u32_e32 v4, vcc_lo, 0, v4, vcc_lo
	v_add_co_u32 v5, s0, v5, 2
	s_delay_alu instid0(VALU_DEP_1)
	v_add_co_ci_u32_e64 v6, s0, 0, v6, s0
	s_add_u32 s18, s18, 1
	s_addc_u32 s19, s19, 0
	s_and_not1_b32 s0, s22, exec_lo
	s_waitcnt vmcnt(0)
	v_cmp_ne_u16_e32 vcc_lo, v7, v8
	s_and_b32 s22, vcc_lo, exec_lo
	s_delay_alu instid0(SALU_CYCLE_1)
	s_or_b32 s22, s0, s22
.LBB666_44:                             ;   in Loop: Header=BB666_45 Depth=1
	v_dual_mov_b32 v7, s18 :: v_dual_mov_b32 v8, s19
	s_and_b32 s0, exec_lo, s22
	s_delay_alu instid0(SALU_CYCLE_1) | instskip(NEXT) | instid1(SALU_CYCLE_1)
	s_or_b32 s21, s0, s21
	s_and_not1_b32 exec_lo, exec_lo, s21
	s_cbranch_execz .LBB666_50
.LBB666_45:                             ; =>This Inner Loop Header: Depth=1
	s_or_b32 s22, s22, exec_lo
	s_cmp_eq_u64 s[16:17], s[18:19]
	s_cbranch_scc0 .LBB666_43
; %bb.46:                               ;   in Loop: Header=BB666_45 Depth=1
	s_mov_b64 s[18:19], s[4:5]
                                        ; implicit-def: $vgpr3_vgpr4
                                        ; implicit-def: $vgpr5_vgpr6
	s_branch .LBB666_44
.LBB666_47:
                                        ; implicit-def: $sgpr0
	s_cbranch_execnz .LBB666_53
	s_branch .LBB666_65
.LBB666_48:
	s_or_b32 exec_lo, exec_lo, s15
	s_delay_alu instid0(SALU_CYCLE_1)
	s_and_b32 vcc_lo, exec_lo, s11
	s_cbranch_vccnz .LBB666_53
	s_branch .LBB666_65
.LBB666_49:
	s_mov_b32 s0, 0
	s_branch .LBB666_52
.LBB666_50:
	s_set_inst_prefetch_distance 0x2
	s_or_b32 exec_lo, exec_lo, s21
	v_cmp_gt_i64_e32 vcc_lo, s[4:5], v[7:8]
	s_or_not1_b32 s0, vcc_lo, exec_lo
.LBB666_51:
	s_or_b32 exec_lo, exec_lo, s20
.LBB666_52:
	s_delay_alu instid0(SALU_CYCLE_1) | instskip(SKIP_2) | instid1(SALU_CYCLE_1)
	s_and_b32 s0, s0, exec_lo
	s_or_b32 s3, s3, exec_lo
	s_or_b32 exec_lo, exec_lo, s15
	s_and_b32 vcc_lo, exec_lo, s11
	s_cbranch_vccz .LBB666_65
.LBB666_53:
	v_cmp_ne_u32_e32 vcc_lo, 0, v0
	v_cmp_gt_u32_e64 s0, s10, v0
	s_mov_b32 s16, 0
	ds_store_b64 v9, v[1:2]
	s_waitcnt lgkmcnt(0)
	s_barrier
	s_and_b32 s15, vcc_lo, s0
	buffer_gl0_inv
                                        ; implicit-def: $sgpr0
	s_and_saveexec_b32 s11, s15
	s_cbranch_execz .LBB666_64
; %bb.54:
	v_cmp_lt_i64_e64 s0, s[4:5], 1
	s_delay_alu instid0(VALU_DEP_1)
	s_and_b32 vcc_lo, exec_lo, s0
	s_cbranch_vccnz .LBB666_63
; %bb.55:
	v_add_nc_u32_e32 v3, -8, v9
	v_mul_lo_u32 v7, v2, s4
	v_mul_lo_u32 v8, v1, s5
	v_mad_u64_u32 v[5:6], null, v1, s4, 0
	ds_load_b64 v[3:4], v3
	s_mov_b32 s16, -1
	s_mov_b32 s15, exec_lo
	v_add3_u32 v6, v6, v8, v7
	s_waitcnt lgkmcnt(0)
	v_mul_lo_u32 v4, v4, s4
	v_mul_lo_u32 v10, v3, s5
	v_mad_u64_u32 v[1:2], null, v3, s4, 0
	s_delay_alu instid0(VALU_DEP_1) | instskip(SKIP_1) | instid1(VALU_DEP_2)
	v_add3_u32 v2, v2, v10, v4
	v_lshlrev_b64 v[3:4], 1, v[5:6]
	v_lshlrev_b64 v[1:2], 1, v[1:2]
	s_delay_alu instid0(VALU_DEP_2) | instskip(NEXT) | instid1(VALU_DEP_3)
	v_add_co_u32 v3, vcc_lo, s6, v3
	v_add_co_ci_u32_e32 v4, vcc_lo, s7, v4, vcc_lo
	s_delay_alu instid0(VALU_DEP_3) | instskip(NEXT) | instid1(VALU_DEP_4)
	v_add_co_u32 v1, vcc_lo, s6, v1
	v_add_co_ci_u32_e32 v2, vcc_lo, s7, v2, vcc_lo
	s_clause 0x1
	global_load_u16 v5, v[3:4], off
	global_load_u16 v6, v[1:2], off
	s_waitcnt vmcnt(0)
	v_cmpx_eq_u16_e64 v5, v6
	s_cbranch_execz .LBB666_62
; %bb.56:
	v_add_co_u32 v1, vcc_lo, v1, 2
	v_add_co_ci_u32_e32 v2, vcc_lo, 0, v2, vcc_lo
	v_add_co_u32 v3, vcc_lo, v3, 2
	v_add_co_ci_u32_e32 v4, vcc_lo, 0, v4, vcc_lo
	s_add_u32 s6, s4, -1
	s_addc_u32 s7, s5, -1
	s_mov_b64 s[16:17], 0
	s_mov_b32 s18, 0
                                        ; implicit-def: $sgpr19
	s_set_inst_prefetch_distance 0x1
	s_branch .LBB666_59
	.p2align	6
.LBB666_57:                             ;   in Loop: Header=BB666_59 Depth=1
	global_load_u16 v5, v[3:4], off
	global_load_u16 v6, v[1:2], off
	v_add_co_u32 v1, vcc_lo, v1, 2
	v_add_co_ci_u32_e32 v2, vcc_lo, 0, v2, vcc_lo
	v_add_co_u32 v3, s0, v3, 2
	s_delay_alu instid0(VALU_DEP_1)
	v_add_co_ci_u32_e64 v4, s0, 0, v4, s0
	s_add_u32 s16, s16, 1
	s_addc_u32 s17, s17, 0
	s_and_not1_b32 s0, s19, exec_lo
	s_waitcnt vmcnt(0)
	v_cmp_ne_u16_e32 vcc_lo, v5, v6
	s_and_b32 s19, vcc_lo, exec_lo
	s_delay_alu instid0(SALU_CYCLE_1)
	s_or_b32 s19, s0, s19
.LBB666_58:                             ;   in Loop: Header=BB666_59 Depth=1
	v_dual_mov_b32 v5, s16 :: v_dual_mov_b32 v6, s17
	s_and_b32 s0, exec_lo, s19
	s_delay_alu instid0(SALU_CYCLE_1) | instskip(NEXT) | instid1(SALU_CYCLE_1)
	s_or_b32 s18, s0, s18
	s_and_not1_b32 exec_lo, exec_lo, s18
	s_cbranch_execz .LBB666_61
.LBB666_59:                             ; =>This Inner Loop Header: Depth=1
	s_or_b32 s19, s19, exec_lo
	s_cmp_eq_u64 s[6:7], s[16:17]
	s_cbranch_scc0 .LBB666_57
; %bb.60:                               ;   in Loop: Header=BB666_59 Depth=1
	s_mov_b64 s[16:17], s[4:5]
                                        ; implicit-def: $vgpr1_vgpr2
                                        ; implicit-def: $vgpr3_vgpr4
	s_branch .LBB666_58
.LBB666_61:
	s_set_inst_prefetch_distance 0x2
	s_or_b32 exec_lo, exec_lo, s18
	v_cmp_gt_i64_e32 vcc_lo, s[4:5], v[5:6]
	s_or_not1_b32 s16, vcc_lo, exec_lo
.LBB666_62:
	s_or_b32 exec_lo, exec_lo, s15
.LBB666_63:
	s_delay_alu instid0(SALU_CYCLE_1)
	s_and_b32 s0, s16, exec_lo
	s_or_b32 s3, s3, exec_lo
                                        ; implicit-def: $vgpr1_vgpr2
.LBB666_64:
	s_or_b32 exec_lo, exec_lo, s11
.LBB666_65:
	s_and_saveexec_b32 s4, s3
; %bb.66:
	s_mov_b32 s3, 0
	v_cndmask_b32_e64 v1, 0, 1, s0
	v_mov_b32_e32 v2, s3
; %bb.67:
	s_or_b32 exec_lo, exec_lo, s4
	s_add_u32 s0, s8, s12
	s_addc_u32 s4, s9, s13
	s_and_b32 vcc_lo, exec_lo, s1
	s_mov_b32 s1, -1
	s_waitcnt lgkmcnt(0)
	s_barrier
	buffer_gl0_inv
	s_cbranch_vccnz .LBB666_70
; %bb.68:
	s_and_not1_b32 vcc_lo, exec_lo, s1
	s_cbranch_vccz .LBB666_73
.LBB666_69:
	s_nop 0
	s_sendmsg sendmsg(MSG_DEALLOC_VGPRS)
	s_endpgm
.LBB666_70:
	s_lshl_b32 s1, s14, 9
	ds_store_b64 v9, v[1:2]
	s_sub_i32 s1, s10, s1
	s_waitcnt lgkmcnt(0)
	v_cmp_gt_u32_e32 vcc_lo, s1, v0
	s_barrier
	buffer_gl0_inv
	s_and_saveexec_b32 s1, vcc_lo
	s_cbranch_execz .LBB666_72
; %bb.71:
	ds_load_b64 v[3:4], v9
	s_mov_b32 s3, 0
	s_delay_alu instid0(SALU_CYCLE_1) | instskip(NEXT) | instid1(SALU_CYCLE_1)
	s_lshl_b64 s[6:7], s[2:3], 3
	s_add_u32 s6, s0, s6
	s_addc_u32 s7, s4, s7
	s_waitcnt lgkmcnt(0)
	global_store_b64 v9, v[3:4], s[6:7]
.LBB666_72:
	s_or_b32 exec_lo, exec_lo, s1
	s_cbranch_execnz .LBB666_69
.LBB666_73:
	ds_store_b64 v9, v[1:2]
	s_waitcnt lgkmcnt(0)
	s_waitcnt_vscnt null, 0x0
	s_barrier
	buffer_gl0_inv
	ds_load_b64 v[0:1], v9
	s_mov_b32 s3, 0
	s_delay_alu instid0(SALU_CYCLE_1) | instskip(NEXT) | instid1(SALU_CYCLE_1)
	s_lshl_b64 s[2:3], s[2:3], 3
	s_add_u32 s0, s0, s2
	s_addc_u32 s1, s4, s3
	s_waitcnt lgkmcnt(0)
	global_store_b64 v9, v[0:1], s[0:1]
	s_nop 0
	s_sendmsg sendmsg(MSG_DEALLOC_VGPRS)
	s_endpgm
	.section	.rodata,"a",@progbits
	.p2align	6, 0x0
	.amdhsa_kernel _ZN7rocprim17ROCPRIM_400000_NS6detail17trampoline_kernelINS0_14default_configENS1_35adjacent_difference_config_selectorILb0ElEEZNS1_24adjacent_difference_implIS3_Lb0ELb0EPlS7_ZN2at6native12_GLOBAL__N_124unique_dim_cuda_templateIsEESt5tupleIJNS8_6TensorESD_SD_EERKSD_lbbbEUlllE1_EE10hipError_tPvRmT2_T3_mT4_P12ihipStream_tbEUlT_E_NS1_11comp_targetILNS1_3genE9ELNS1_11target_archE1100ELNS1_3gpuE3ELNS1_3repE0EEENS1_30default_config_static_selectorELNS0_4arch9wavefront6targetE0EEEvT1_
		.amdhsa_group_segment_fixed_size 8192
		.amdhsa_private_segment_fixed_size 0
		.amdhsa_kernarg_size 64
		.amdhsa_user_sgpr_count 15
		.amdhsa_user_sgpr_dispatch_ptr 0
		.amdhsa_user_sgpr_queue_ptr 0
		.amdhsa_user_sgpr_kernarg_segment_ptr 1
		.amdhsa_user_sgpr_dispatch_id 0
		.amdhsa_user_sgpr_private_segment_size 0
		.amdhsa_wavefront_size32 1
		.amdhsa_uses_dynamic_stack 0
		.amdhsa_enable_private_segment 0
		.amdhsa_system_sgpr_workgroup_id_x 1
		.amdhsa_system_sgpr_workgroup_id_y 0
		.amdhsa_system_sgpr_workgroup_id_z 0
		.amdhsa_system_sgpr_workgroup_info 0
		.amdhsa_system_vgpr_workitem_id 0
		.amdhsa_next_free_vgpr 13
		.amdhsa_next_free_sgpr 26
		.amdhsa_reserve_vcc 1
		.amdhsa_float_round_mode_32 0
		.amdhsa_float_round_mode_16_64 0
		.amdhsa_float_denorm_mode_32 3
		.amdhsa_float_denorm_mode_16_64 3
		.amdhsa_dx10_clamp 1
		.amdhsa_ieee_mode 1
		.amdhsa_fp16_overflow 0
		.amdhsa_workgroup_processor_mode 1
		.amdhsa_memory_ordered 1
		.amdhsa_forward_progress 0
		.amdhsa_shared_vgpr_count 0
		.amdhsa_exception_fp_ieee_invalid_op 0
		.amdhsa_exception_fp_denorm_src 0
		.amdhsa_exception_fp_ieee_div_zero 0
		.amdhsa_exception_fp_ieee_overflow 0
		.amdhsa_exception_fp_ieee_underflow 0
		.amdhsa_exception_fp_ieee_inexact 0
		.amdhsa_exception_int_div_zero 0
	.end_amdhsa_kernel
	.section	.text._ZN7rocprim17ROCPRIM_400000_NS6detail17trampoline_kernelINS0_14default_configENS1_35adjacent_difference_config_selectorILb0ElEEZNS1_24adjacent_difference_implIS3_Lb0ELb0EPlS7_ZN2at6native12_GLOBAL__N_124unique_dim_cuda_templateIsEESt5tupleIJNS8_6TensorESD_SD_EERKSD_lbbbEUlllE1_EE10hipError_tPvRmT2_T3_mT4_P12ihipStream_tbEUlT_E_NS1_11comp_targetILNS1_3genE9ELNS1_11target_archE1100ELNS1_3gpuE3ELNS1_3repE0EEENS1_30default_config_static_selectorELNS0_4arch9wavefront6targetE0EEEvT1_,"axG",@progbits,_ZN7rocprim17ROCPRIM_400000_NS6detail17trampoline_kernelINS0_14default_configENS1_35adjacent_difference_config_selectorILb0ElEEZNS1_24adjacent_difference_implIS3_Lb0ELb0EPlS7_ZN2at6native12_GLOBAL__N_124unique_dim_cuda_templateIsEESt5tupleIJNS8_6TensorESD_SD_EERKSD_lbbbEUlllE1_EE10hipError_tPvRmT2_T3_mT4_P12ihipStream_tbEUlT_E_NS1_11comp_targetILNS1_3genE9ELNS1_11target_archE1100ELNS1_3gpuE3ELNS1_3repE0EEENS1_30default_config_static_selectorELNS0_4arch9wavefront6targetE0EEEvT1_,comdat
.Lfunc_end666:
	.size	_ZN7rocprim17ROCPRIM_400000_NS6detail17trampoline_kernelINS0_14default_configENS1_35adjacent_difference_config_selectorILb0ElEEZNS1_24adjacent_difference_implIS3_Lb0ELb0EPlS7_ZN2at6native12_GLOBAL__N_124unique_dim_cuda_templateIsEESt5tupleIJNS8_6TensorESD_SD_EERKSD_lbbbEUlllE1_EE10hipError_tPvRmT2_T3_mT4_P12ihipStream_tbEUlT_E_NS1_11comp_targetILNS1_3genE9ELNS1_11target_archE1100ELNS1_3gpuE3ELNS1_3repE0EEENS1_30default_config_static_selectorELNS0_4arch9wavefront6targetE0EEEvT1_, .Lfunc_end666-_ZN7rocprim17ROCPRIM_400000_NS6detail17trampoline_kernelINS0_14default_configENS1_35adjacent_difference_config_selectorILb0ElEEZNS1_24adjacent_difference_implIS3_Lb0ELb0EPlS7_ZN2at6native12_GLOBAL__N_124unique_dim_cuda_templateIsEESt5tupleIJNS8_6TensorESD_SD_EERKSD_lbbbEUlllE1_EE10hipError_tPvRmT2_T3_mT4_P12ihipStream_tbEUlT_E_NS1_11comp_targetILNS1_3genE9ELNS1_11target_archE1100ELNS1_3gpuE3ELNS1_3repE0EEENS1_30default_config_static_selectorELNS0_4arch9wavefront6targetE0EEEvT1_
                                        ; -- End function
	.section	.AMDGPU.csdata,"",@progbits
; Kernel info:
; codeLenInByte = 2572
; NumSgprs: 28
; NumVgprs: 13
; ScratchSize: 0
; MemoryBound: 0
; FloatMode: 240
; IeeeMode: 1
; LDSByteSize: 8192 bytes/workgroup (compile time only)
; SGPRBlocks: 3
; VGPRBlocks: 1
; NumSGPRsForWavesPerEU: 28
; NumVGPRsForWavesPerEU: 13
; Occupancy: 16
; WaveLimiterHint : 0
; COMPUTE_PGM_RSRC2:SCRATCH_EN: 0
; COMPUTE_PGM_RSRC2:USER_SGPR: 15
; COMPUTE_PGM_RSRC2:TRAP_HANDLER: 0
; COMPUTE_PGM_RSRC2:TGID_X_EN: 1
; COMPUTE_PGM_RSRC2:TGID_Y_EN: 0
; COMPUTE_PGM_RSRC2:TGID_Z_EN: 0
; COMPUTE_PGM_RSRC2:TIDIG_COMP_CNT: 0
	.section	.text._ZN7rocprim17ROCPRIM_400000_NS6detail17trampoline_kernelINS0_14default_configENS1_35adjacent_difference_config_selectorILb0ElEEZNS1_24adjacent_difference_implIS3_Lb0ELb0EPlS7_ZN2at6native12_GLOBAL__N_124unique_dim_cuda_templateIsEESt5tupleIJNS8_6TensorESD_SD_EERKSD_lbbbEUlllE1_EE10hipError_tPvRmT2_T3_mT4_P12ihipStream_tbEUlT_E_NS1_11comp_targetILNS1_3genE8ELNS1_11target_archE1030ELNS1_3gpuE2ELNS1_3repE0EEENS1_30default_config_static_selectorELNS0_4arch9wavefront6targetE0EEEvT1_,"axG",@progbits,_ZN7rocprim17ROCPRIM_400000_NS6detail17trampoline_kernelINS0_14default_configENS1_35adjacent_difference_config_selectorILb0ElEEZNS1_24adjacent_difference_implIS3_Lb0ELb0EPlS7_ZN2at6native12_GLOBAL__N_124unique_dim_cuda_templateIsEESt5tupleIJNS8_6TensorESD_SD_EERKSD_lbbbEUlllE1_EE10hipError_tPvRmT2_T3_mT4_P12ihipStream_tbEUlT_E_NS1_11comp_targetILNS1_3genE8ELNS1_11target_archE1030ELNS1_3gpuE2ELNS1_3repE0EEENS1_30default_config_static_selectorELNS0_4arch9wavefront6targetE0EEEvT1_,comdat
	.globl	_ZN7rocprim17ROCPRIM_400000_NS6detail17trampoline_kernelINS0_14default_configENS1_35adjacent_difference_config_selectorILb0ElEEZNS1_24adjacent_difference_implIS3_Lb0ELb0EPlS7_ZN2at6native12_GLOBAL__N_124unique_dim_cuda_templateIsEESt5tupleIJNS8_6TensorESD_SD_EERKSD_lbbbEUlllE1_EE10hipError_tPvRmT2_T3_mT4_P12ihipStream_tbEUlT_E_NS1_11comp_targetILNS1_3genE8ELNS1_11target_archE1030ELNS1_3gpuE2ELNS1_3repE0EEENS1_30default_config_static_selectorELNS0_4arch9wavefront6targetE0EEEvT1_ ; -- Begin function _ZN7rocprim17ROCPRIM_400000_NS6detail17trampoline_kernelINS0_14default_configENS1_35adjacent_difference_config_selectorILb0ElEEZNS1_24adjacent_difference_implIS3_Lb0ELb0EPlS7_ZN2at6native12_GLOBAL__N_124unique_dim_cuda_templateIsEESt5tupleIJNS8_6TensorESD_SD_EERKSD_lbbbEUlllE1_EE10hipError_tPvRmT2_T3_mT4_P12ihipStream_tbEUlT_E_NS1_11comp_targetILNS1_3genE8ELNS1_11target_archE1030ELNS1_3gpuE2ELNS1_3repE0EEENS1_30default_config_static_selectorELNS0_4arch9wavefront6targetE0EEEvT1_
	.p2align	8
	.type	_ZN7rocprim17ROCPRIM_400000_NS6detail17trampoline_kernelINS0_14default_configENS1_35adjacent_difference_config_selectorILb0ElEEZNS1_24adjacent_difference_implIS3_Lb0ELb0EPlS7_ZN2at6native12_GLOBAL__N_124unique_dim_cuda_templateIsEESt5tupleIJNS8_6TensorESD_SD_EERKSD_lbbbEUlllE1_EE10hipError_tPvRmT2_T3_mT4_P12ihipStream_tbEUlT_E_NS1_11comp_targetILNS1_3genE8ELNS1_11target_archE1030ELNS1_3gpuE2ELNS1_3repE0EEENS1_30default_config_static_selectorELNS0_4arch9wavefront6targetE0EEEvT1_,@function
_ZN7rocprim17ROCPRIM_400000_NS6detail17trampoline_kernelINS0_14default_configENS1_35adjacent_difference_config_selectorILb0ElEEZNS1_24adjacent_difference_implIS3_Lb0ELb0EPlS7_ZN2at6native12_GLOBAL__N_124unique_dim_cuda_templateIsEESt5tupleIJNS8_6TensorESD_SD_EERKSD_lbbbEUlllE1_EE10hipError_tPvRmT2_T3_mT4_P12ihipStream_tbEUlT_E_NS1_11comp_targetILNS1_3genE8ELNS1_11target_archE1030ELNS1_3gpuE2ELNS1_3repE0EEENS1_30default_config_static_selectorELNS0_4arch9wavefront6targetE0EEEvT1_: ; @_ZN7rocprim17ROCPRIM_400000_NS6detail17trampoline_kernelINS0_14default_configENS1_35adjacent_difference_config_selectorILb0ElEEZNS1_24adjacent_difference_implIS3_Lb0ELb0EPlS7_ZN2at6native12_GLOBAL__N_124unique_dim_cuda_templateIsEESt5tupleIJNS8_6TensorESD_SD_EERKSD_lbbbEUlllE1_EE10hipError_tPvRmT2_T3_mT4_P12ihipStream_tbEUlT_E_NS1_11comp_targetILNS1_3genE8ELNS1_11target_archE1030ELNS1_3gpuE2ELNS1_3repE0EEENS1_30default_config_static_selectorELNS0_4arch9wavefront6targetE0EEEvT1_
; %bb.0:
	.section	.rodata,"a",@progbits
	.p2align	6, 0x0
	.amdhsa_kernel _ZN7rocprim17ROCPRIM_400000_NS6detail17trampoline_kernelINS0_14default_configENS1_35adjacent_difference_config_selectorILb0ElEEZNS1_24adjacent_difference_implIS3_Lb0ELb0EPlS7_ZN2at6native12_GLOBAL__N_124unique_dim_cuda_templateIsEESt5tupleIJNS8_6TensorESD_SD_EERKSD_lbbbEUlllE1_EE10hipError_tPvRmT2_T3_mT4_P12ihipStream_tbEUlT_E_NS1_11comp_targetILNS1_3genE8ELNS1_11target_archE1030ELNS1_3gpuE2ELNS1_3repE0EEENS1_30default_config_static_selectorELNS0_4arch9wavefront6targetE0EEEvT1_
		.amdhsa_group_segment_fixed_size 0
		.amdhsa_private_segment_fixed_size 0
		.amdhsa_kernarg_size 64
		.amdhsa_user_sgpr_count 15
		.amdhsa_user_sgpr_dispatch_ptr 0
		.amdhsa_user_sgpr_queue_ptr 0
		.amdhsa_user_sgpr_kernarg_segment_ptr 1
		.amdhsa_user_sgpr_dispatch_id 0
		.amdhsa_user_sgpr_private_segment_size 0
		.amdhsa_wavefront_size32 1
		.amdhsa_uses_dynamic_stack 0
		.amdhsa_enable_private_segment 0
		.amdhsa_system_sgpr_workgroup_id_x 1
		.amdhsa_system_sgpr_workgroup_id_y 0
		.amdhsa_system_sgpr_workgroup_id_z 0
		.amdhsa_system_sgpr_workgroup_info 0
		.amdhsa_system_vgpr_workitem_id 0
		.amdhsa_next_free_vgpr 1
		.amdhsa_next_free_sgpr 1
		.amdhsa_reserve_vcc 0
		.amdhsa_float_round_mode_32 0
		.amdhsa_float_round_mode_16_64 0
		.amdhsa_float_denorm_mode_32 3
		.amdhsa_float_denorm_mode_16_64 3
		.amdhsa_dx10_clamp 1
		.amdhsa_ieee_mode 1
		.amdhsa_fp16_overflow 0
		.amdhsa_workgroup_processor_mode 1
		.amdhsa_memory_ordered 1
		.amdhsa_forward_progress 0
		.amdhsa_shared_vgpr_count 0
		.amdhsa_exception_fp_ieee_invalid_op 0
		.amdhsa_exception_fp_denorm_src 0
		.amdhsa_exception_fp_ieee_div_zero 0
		.amdhsa_exception_fp_ieee_overflow 0
		.amdhsa_exception_fp_ieee_underflow 0
		.amdhsa_exception_fp_ieee_inexact 0
		.amdhsa_exception_int_div_zero 0
	.end_amdhsa_kernel
	.section	.text._ZN7rocprim17ROCPRIM_400000_NS6detail17trampoline_kernelINS0_14default_configENS1_35adjacent_difference_config_selectorILb0ElEEZNS1_24adjacent_difference_implIS3_Lb0ELb0EPlS7_ZN2at6native12_GLOBAL__N_124unique_dim_cuda_templateIsEESt5tupleIJNS8_6TensorESD_SD_EERKSD_lbbbEUlllE1_EE10hipError_tPvRmT2_T3_mT4_P12ihipStream_tbEUlT_E_NS1_11comp_targetILNS1_3genE8ELNS1_11target_archE1030ELNS1_3gpuE2ELNS1_3repE0EEENS1_30default_config_static_selectorELNS0_4arch9wavefront6targetE0EEEvT1_,"axG",@progbits,_ZN7rocprim17ROCPRIM_400000_NS6detail17trampoline_kernelINS0_14default_configENS1_35adjacent_difference_config_selectorILb0ElEEZNS1_24adjacent_difference_implIS3_Lb0ELb0EPlS7_ZN2at6native12_GLOBAL__N_124unique_dim_cuda_templateIsEESt5tupleIJNS8_6TensorESD_SD_EERKSD_lbbbEUlllE1_EE10hipError_tPvRmT2_T3_mT4_P12ihipStream_tbEUlT_E_NS1_11comp_targetILNS1_3genE8ELNS1_11target_archE1030ELNS1_3gpuE2ELNS1_3repE0EEENS1_30default_config_static_selectorELNS0_4arch9wavefront6targetE0EEEvT1_,comdat
.Lfunc_end667:
	.size	_ZN7rocprim17ROCPRIM_400000_NS6detail17trampoline_kernelINS0_14default_configENS1_35adjacent_difference_config_selectorILb0ElEEZNS1_24adjacent_difference_implIS3_Lb0ELb0EPlS7_ZN2at6native12_GLOBAL__N_124unique_dim_cuda_templateIsEESt5tupleIJNS8_6TensorESD_SD_EERKSD_lbbbEUlllE1_EE10hipError_tPvRmT2_T3_mT4_P12ihipStream_tbEUlT_E_NS1_11comp_targetILNS1_3genE8ELNS1_11target_archE1030ELNS1_3gpuE2ELNS1_3repE0EEENS1_30default_config_static_selectorELNS0_4arch9wavefront6targetE0EEEvT1_, .Lfunc_end667-_ZN7rocprim17ROCPRIM_400000_NS6detail17trampoline_kernelINS0_14default_configENS1_35adjacent_difference_config_selectorILb0ElEEZNS1_24adjacent_difference_implIS3_Lb0ELb0EPlS7_ZN2at6native12_GLOBAL__N_124unique_dim_cuda_templateIsEESt5tupleIJNS8_6TensorESD_SD_EERKSD_lbbbEUlllE1_EE10hipError_tPvRmT2_T3_mT4_P12ihipStream_tbEUlT_E_NS1_11comp_targetILNS1_3genE8ELNS1_11target_archE1030ELNS1_3gpuE2ELNS1_3repE0EEENS1_30default_config_static_selectorELNS0_4arch9wavefront6targetE0EEEvT1_
                                        ; -- End function
	.section	.AMDGPU.csdata,"",@progbits
; Kernel info:
; codeLenInByte = 0
; NumSgprs: 0
; NumVgprs: 0
; ScratchSize: 0
; MemoryBound: 0
; FloatMode: 240
; IeeeMode: 1
; LDSByteSize: 0 bytes/workgroup (compile time only)
; SGPRBlocks: 0
; VGPRBlocks: 0
; NumSGPRsForWavesPerEU: 1
; NumVGPRsForWavesPerEU: 1
; Occupancy: 16
; WaveLimiterHint : 0
; COMPUTE_PGM_RSRC2:SCRATCH_EN: 0
; COMPUTE_PGM_RSRC2:USER_SGPR: 15
; COMPUTE_PGM_RSRC2:TRAP_HANDLER: 0
; COMPUTE_PGM_RSRC2:TGID_X_EN: 1
; COMPUTE_PGM_RSRC2:TGID_Y_EN: 0
; COMPUTE_PGM_RSRC2:TGID_Z_EN: 0
; COMPUTE_PGM_RSRC2:TIDIG_COMP_CNT: 0
	.section	.text._ZN7rocprim17ROCPRIM_400000_NS6detail17trampoline_kernelINS0_14default_configENS1_25transform_config_selectorIlLb0EEEZNS1_14transform_implILb0ES3_S5_NS0_18transform_iteratorINS0_17counting_iteratorImlEEZNS1_24adjacent_difference_implIS3_Lb1ELb0EPlSB_ZN2at6native12_GLOBAL__N_124unique_dim_cuda_templateIsEESt5tupleIJNSC_6TensorESH_SH_EERKSH_lbbbEUlllE1_EE10hipError_tPvRmT2_T3_mT4_P12ihipStream_tbEUlmE_lEESB_NS0_8identityIvEEEESM_SP_SQ_mSR_ST_bEUlT_E_NS1_11comp_targetILNS1_3genE0ELNS1_11target_archE4294967295ELNS1_3gpuE0ELNS1_3repE0EEENS1_30default_config_static_selectorELNS0_4arch9wavefront6targetE0EEEvT1_,"axG",@progbits,_ZN7rocprim17ROCPRIM_400000_NS6detail17trampoline_kernelINS0_14default_configENS1_25transform_config_selectorIlLb0EEEZNS1_14transform_implILb0ES3_S5_NS0_18transform_iteratorINS0_17counting_iteratorImlEEZNS1_24adjacent_difference_implIS3_Lb1ELb0EPlSB_ZN2at6native12_GLOBAL__N_124unique_dim_cuda_templateIsEESt5tupleIJNSC_6TensorESH_SH_EERKSH_lbbbEUlllE1_EE10hipError_tPvRmT2_T3_mT4_P12ihipStream_tbEUlmE_lEESB_NS0_8identityIvEEEESM_SP_SQ_mSR_ST_bEUlT_E_NS1_11comp_targetILNS1_3genE0ELNS1_11target_archE4294967295ELNS1_3gpuE0ELNS1_3repE0EEENS1_30default_config_static_selectorELNS0_4arch9wavefront6targetE0EEEvT1_,comdat
	.globl	_ZN7rocprim17ROCPRIM_400000_NS6detail17trampoline_kernelINS0_14default_configENS1_25transform_config_selectorIlLb0EEEZNS1_14transform_implILb0ES3_S5_NS0_18transform_iteratorINS0_17counting_iteratorImlEEZNS1_24adjacent_difference_implIS3_Lb1ELb0EPlSB_ZN2at6native12_GLOBAL__N_124unique_dim_cuda_templateIsEESt5tupleIJNSC_6TensorESH_SH_EERKSH_lbbbEUlllE1_EE10hipError_tPvRmT2_T3_mT4_P12ihipStream_tbEUlmE_lEESB_NS0_8identityIvEEEESM_SP_SQ_mSR_ST_bEUlT_E_NS1_11comp_targetILNS1_3genE0ELNS1_11target_archE4294967295ELNS1_3gpuE0ELNS1_3repE0EEENS1_30default_config_static_selectorELNS0_4arch9wavefront6targetE0EEEvT1_ ; -- Begin function _ZN7rocprim17ROCPRIM_400000_NS6detail17trampoline_kernelINS0_14default_configENS1_25transform_config_selectorIlLb0EEEZNS1_14transform_implILb0ES3_S5_NS0_18transform_iteratorINS0_17counting_iteratorImlEEZNS1_24adjacent_difference_implIS3_Lb1ELb0EPlSB_ZN2at6native12_GLOBAL__N_124unique_dim_cuda_templateIsEESt5tupleIJNSC_6TensorESH_SH_EERKSH_lbbbEUlllE1_EE10hipError_tPvRmT2_T3_mT4_P12ihipStream_tbEUlmE_lEESB_NS0_8identityIvEEEESM_SP_SQ_mSR_ST_bEUlT_E_NS1_11comp_targetILNS1_3genE0ELNS1_11target_archE4294967295ELNS1_3gpuE0ELNS1_3repE0EEENS1_30default_config_static_selectorELNS0_4arch9wavefront6targetE0EEEvT1_
	.p2align	8
	.type	_ZN7rocprim17ROCPRIM_400000_NS6detail17trampoline_kernelINS0_14default_configENS1_25transform_config_selectorIlLb0EEEZNS1_14transform_implILb0ES3_S5_NS0_18transform_iteratorINS0_17counting_iteratorImlEEZNS1_24adjacent_difference_implIS3_Lb1ELb0EPlSB_ZN2at6native12_GLOBAL__N_124unique_dim_cuda_templateIsEESt5tupleIJNSC_6TensorESH_SH_EERKSH_lbbbEUlllE1_EE10hipError_tPvRmT2_T3_mT4_P12ihipStream_tbEUlmE_lEESB_NS0_8identityIvEEEESM_SP_SQ_mSR_ST_bEUlT_E_NS1_11comp_targetILNS1_3genE0ELNS1_11target_archE4294967295ELNS1_3gpuE0ELNS1_3repE0EEENS1_30default_config_static_selectorELNS0_4arch9wavefront6targetE0EEEvT1_,@function
_ZN7rocprim17ROCPRIM_400000_NS6detail17trampoline_kernelINS0_14default_configENS1_25transform_config_selectorIlLb0EEEZNS1_14transform_implILb0ES3_S5_NS0_18transform_iteratorINS0_17counting_iteratorImlEEZNS1_24adjacent_difference_implIS3_Lb1ELb0EPlSB_ZN2at6native12_GLOBAL__N_124unique_dim_cuda_templateIsEESt5tupleIJNSC_6TensorESH_SH_EERKSH_lbbbEUlllE1_EE10hipError_tPvRmT2_T3_mT4_P12ihipStream_tbEUlmE_lEESB_NS0_8identityIvEEEESM_SP_SQ_mSR_ST_bEUlT_E_NS1_11comp_targetILNS1_3genE0ELNS1_11target_archE4294967295ELNS1_3gpuE0ELNS1_3repE0EEENS1_30default_config_static_selectorELNS0_4arch9wavefront6targetE0EEEvT1_: ; @_ZN7rocprim17ROCPRIM_400000_NS6detail17trampoline_kernelINS0_14default_configENS1_25transform_config_selectorIlLb0EEEZNS1_14transform_implILb0ES3_S5_NS0_18transform_iteratorINS0_17counting_iteratorImlEEZNS1_24adjacent_difference_implIS3_Lb1ELb0EPlSB_ZN2at6native12_GLOBAL__N_124unique_dim_cuda_templateIsEESt5tupleIJNSC_6TensorESH_SH_EERKSH_lbbbEUlllE1_EE10hipError_tPvRmT2_T3_mT4_P12ihipStream_tbEUlmE_lEESB_NS0_8identityIvEEEESM_SP_SQ_mSR_ST_bEUlT_E_NS1_11comp_targetILNS1_3genE0ELNS1_11target_archE4294967295ELNS1_3gpuE0ELNS1_3repE0EEENS1_30default_config_static_selectorELNS0_4arch9wavefront6targetE0EEEvT1_
; %bb.0:
	.section	.rodata,"a",@progbits
	.p2align	6, 0x0
	.amdhsa_kernel _ZN7rocprim17ROCPRIM_400000_NS6detail17trampoline_kernelINS0_14default_configENS1_25transform_config_selectorIlLb0EEEZNS1_14transform_implILb0ES3_S5_NS0_18transform_iteratorINS0_17counting_iteratorImlEEZNS1_24adjacent_difference_implIS3_Lb1ELb0EPlSB_ZN2at6native12_GLOBAL__N_124unique_dim_cuda_templateIsEESt5tupleIJNSC_6TensorESH_SH_EERKSH_lbbbEUlllE1_EE10hipError_tPvRmT2_T3_mT4_P12ihipStream_tbEUlmE_lEESB_NS0_8identityIvEEEESM_SP_SQ_mSR_ST_bEUlT_E_NS1_11comp_targetILNS1_3genE0ELNS1_11target_archE4294967295ELNS1_3gpuE0ELNS1_3repE0EEENS1_30default_config_static_selectorELNS0_4arch9wavefront6targetE0EEEvT1_
		.amdhsa_group_segment_fixed_size 0
		.amdhsa_private_segment_fixed_size 0
		.amdhsa_kernarg_size 56
		.amdhsa_user_sgpr_count 15
		.amdhsa_user_sgpr_dispatch_ptr 0
		.amdhsa_user_sgpr_queue_ptr 0
		.amdhsa_user_sgpr_kernarg_segment_ptr 1
		.amdhsa_user_sgpr_dispatch_id 0
		.amdhsa_user_sgpr_private_segment_size 0
		.amdhsa_wavefront_size32 1
		.amdhsa_uses_dynamic_stack 0
		.amdhsa_enable_private_segment 0
		.amdhsa_system_sgpr_workgroup_id_x 1
		.amdhsa_system_sgpr_workgroup_id_y 0
		.amdhsa_system_sgpr_workgroup_id_z 0
		.amdhsa_system_sgpr_workgroup_info 0
		.amdhsa_system_vgpr_workitem_id 0
		.amdhsa_next_free_vgpr 1
		.amdhsa_next_free_sgpr 1
		.amdhsa_reserve_vcc 0
		.amdhsa_float_round_mode_32 0
		.amdhsa_float_round_mode_16_64 0
		.amdhsa_float_denorm_mode_32 3
		.amdhsa_float_denorm_mode_16_64 3
		.amdhsa_dx10_clamp 1
		.amdhsa_ieee_mode 1
		.amdhsa_fp16_overflow 0
		.amdhsa_workgroup_processor_mode 1
		.amdhsa_memory_ordered 1
		.amdhsa_forward_progress 0
		.amdhsa_shared_vgpr_count 0
		.amdhsa_exception_fp_ieee_invalid_op 0
		.amdhsa_exception_fp_denorm_src 0
		.amdhsa_exception_fp_ieee_div_zero 0
		.amdhsa_exception_fp_ieee_overflow 0
		.amdhsa_exception_fp_ieee_underflow 0
		.amdhsa_exception_fp_ieee_inexact 0
		.amdhsa_exception_int_div_zero 0
	.end_amdhsa_kernel
	.section	.text._ZN7rocprim17ROCPRIM_400000_NS6detail17trampoline_kernelINS0_14default_configENS1_25transform_config_selectorIlLb0EEEZNS1_14transform_implILb0ES3_S5_NS0_18transform_iteratorINS0_17counting_iteratorImlEEZNS1_24adjacent_difference_implIS3_Lb1ELb0EPlSB_ZN2at6native12_GLOBAL__N_124unique_dim_cuda_templateIsEESt5tupleIJNSC_6TensorESH_SH_EERKSH_lbbbEUlllE1_EE10hipError_tPvRmT2_T3_mT4_P12ihipStream_tbEUlmE_lEESB_NS0_8identityIvEEEESM_SP_SQ_mSR_ST_bEUlT_E_NS1_11comp_targetILNS1_3genE0ELNS1_11target_archE4294967295ELNS1_3gpuE0ELNS1_3repE0EEENS1_30default_config_static_selectorELNS0_4arch9wavefront6targetE0EEEvT1_,"axG",@progbits,_ZN7rocprim17ROCPRIM_400000_NS6detail17trampoline_kernelINS0_14default_configENS1_25transform_config_selectorIlLb0EEEZNS1_14transform_implILb0ES3_S5_NS0_18transform_iteratorINS0_17counting_iteratorImlEEZNS1_24adjacent_difference_implIS3_Lb1ELb0EPlSB_ZN2at6native12_GLOBAL__N_124unique_dim_cuda_templateIsEESt5tupleIJNSC_6TensorESH_SH_EERKSH_lbbbEUlllE1_EE10hipError_tPvRmT2_T3_mT4_P12ihipStream_tbEUlmE_lEESB_NS0_8identityIvEEEESM_SP_SQ_mSR_ST_bEUlT_E_NS1_11comp_targetILNS1_3genE0ELNS1_11target_archE4294967295ELNS1_3gpuE0ELNS1_3repE0EEENS1_30default_config_static_selectorELNS0_4arch9wavefront6targetE0EEEvT1_,comdat
.Lfunc_end668:
	.size	_ZN7rocprim17ROCPRIM_400000_NS6detail17trampoline_kernelINS0_14default_configENS1_25transform_config_selectorIlLb0EEEZNS1_14transform_implILb0ES3_S5_NS0_18transform_iteratorINS0_17counting_iteratorImlEEZNS1_24adjacent_difference_implIS3_Lb1ELb0EPlSB_ZN2at6native12_GLOBAL__N_124unique_dim_cuda_templateIsEESt5tupleIJNSC_6TensorESH_SH_EERKSH_lbbbEUlllE1_EE10hipError_tPvRmT2_T3_mT4_P12ihipStream_tbEUlmE_lEESB_NS0_8identityIvEEEESM_SP_SQ_mSR_ST_bEUlT_E_NS1_11comp_targetILNS1_3genE0ELNS1_11target_archE4294967295ELNS1_3gpuE0ELNS1_3repE0EEENS1_30default_config_static_selectorELNS0_4arch9wavefront6targetE0EEEvT1_, .Lfunc_end668-_ZN7rocprim17ROCPRIM_400000_NS6detail17trampoline_kernelINS0_14default_configENS1_25transform_config_selectorIlLb0EEEZNS1_14transform_implILb0ES3_S5_NS0_18transform_iteratorINS0_17counting_iteratorImlEEZNS1_24adjacent_difference_implIS3_Lb1ELb0EPlSB_ZN2at6native12_GLOBAL__N_124unique_dim_cuda_templateIsEESt5tupleIJNSC_6TensorESH_SH_EERKSH_lbbbEUlllE1_EE10hipError_tPvRmT2_T3_mT4_P12ihipStream_tbEUlmE_lEESB_NS0_8identityIvEEEESM_SP_SQ_mSR_ST_bEUlT_E_NS1_11comp_targetILNS1_3genE0ELNS1_11target_archE4294967295ELNS1_3gpuE0ELNS1_3repE0EEENS1_30default_config_static_selectorELNS0_4arch9wavefront6targetE0EEEvT1_
                                        ; -- End function
	.section	.AMDGPU.csdata,"",@progbits
; Kernel info:
; codeLenInByte = 0
; NumSgprs: 0
; NumVgprs: 0
; ScratchSize: 0
; MemoryBound: 0
; FloatMode: 240
; IeeeMode: 1
; LDSByteSize: 0 bytes/workgroup (compile time only)
; SGPRBlocks: 0
; VGPRBlocks: 0
; NumSGPRsForWavesPerEU: 1
; NumVGPRsForWavesPerEU: 1
; Occupancy: 16
; WaveLimiterHint : 0
; COMPUTE_PGM_RSRC2:SCRATCH_EN: 0
; COMPUTE_PGM_RSRC2:USER_SGPR: 15
; COMPUTE_PGM_RSRC2:TRAP_HANDLER: 0
; COMPUTE_PGM_RSRC2:TGID_X_EN: 1
; COMPUTE_PGM_RSRC2:TGID_Y_EN: 0
; COMPUTE_PGM_RSRC2:TGID_Z_EN: 0
; COMPUTE_PGM_RSRC2:TIDIG_COMP_CNT: 0
	.section	.text._ZN7rocprim17ROCPRIM_400000_NS6detail17trampoline_kernelINS0_14default_configENS1_25transform_config_selectorIlLb0EEEZNS1_14transform_implILb0ES3_S5_NS0_18transform_iteratorINS0_17counting_iteratorImlEEZNS1_24adjacent_difference_implIS3_Lb1ELb0EPlSB_ZN2at6native12_GLOBAL__N_124unique_dim_cuda_templateIsEESt5tupleIJNSC_6TensorESH_SH_EERKSH_lbbbEUlllE1_EE10hipError_tPvRmT2_T3_mT4_P12ihipStream_tbEUlmE_lEESB_NS0_8identityIvEEEESM_SP_SQ_mSR_ST_bEUlT_E_NS1_11comp_targetILNS1_3genE5ELNS1_11target_archE942ELNS1_3gpuE9ELNS1_3repE0EEENS1_30default_config_static_selectorELNS0_4arch9wavefront6targetE0EEEvT1_,"axG",@progbits,_ZN7rocprim17ROCPRIM_400000_NS6detail17trampoline_kernelINS0_14default_configENS1_25transform_config_selectorIlLb0EEEZNS1_14transform_implILb0ES3_S5_NS0_18transform_iteratorINS0_17counting_iteratorImlEEZNS1_24adjacent_difference_implIS3_Lb1ELb0EPlSB_ZN2at6native12_GLOBAL__N_124unique_dim_cuda_templateIsEESt5tupleIJNSC_6TensorESH_SH_EERKSH_lbbbEUlllE1_EE10hipError_tPvRmT2_T3_mT4_P12ihipStream_tbEUlmE_lEESB_NS0_8identityIvEEEESM_SP_SQ_mSR_ST_bEUlT_E_NS1_11comp_targetILNS1_3genE5ELNS1_11target_archE942ELNS1_3gpuE9ELNS1_3repE0EEENS1_30default_config_static_selectorELNS0_4arch9wavefront6targetE0EEEvT1_,comdat
	.globl	_ZN7rocprim17ROCPRIM_400000_NS6detail17trampoline_kernelINS0_14default_configENS1_25transform_config_selectorIlLb0EEEZNS1_14transform_implILb0ES3_S5_NS0_18transform_iteratorINS0_17counting_iteratorImlEEZNS1_24adjacent_difference_implIS3_Lb1ELb0EPlSB_ZN2at6native12_GLOBAL__N_124unique_dim_cuda_templateIsEESt5tupleIJNSC_6TensorESH_SH_EERKSH_lbbbEUlllE1_EE10hipError_tPvRmT2_T3_mT4_P12ihipStream_tbEUlmE_lEESB_NS0_8identityIvEEEESM_SP_SQ_mSR_ST_bEUlT_E_NS1_11comp_targetILNS1_3genE5ELNS1_11target_archE942ELNS1_3gpuE9ELNS1_3repE0EEENS1_30default_config_static_selectorELNS0_4arch9wavefront6targetE0EEEvT1_ ; -- Begin function _ZN7rocprim17ROCPRIM_400000_NS6detail17trampoline_kernelINS0_14default_configENS1_25transform_config_selectorIlLb0EEEZNS1_14transform_implILb0ES3_S5_NS0_18transform_iteratorINS0_17counting_iteratorImlEEZNS1_24adjacent_difference_implIS3_Lb1ELb0EPlSB_ZN2at6native12_GLOBAL__N_124unique_dim_cuda_templateIsEESt5tupleIJNSC_6TensorESH_SH_EERKSH_lbbbEUlllE1_EE10hipError_tPvRmT2_T3_mT4_P12ihipStream_tbEUlmE_lEESB_NS0_8identityIvEEEESM_SP_SQ_mSR_ST_bEUlT_E_NS1_11comp_targetILNS1_3genE5ELNS1_11target_archE942ELNS1_3gpuE9ELNS1_3repE0EEENS1_30default_config_static_selectorELNS0_4arch9wavefront6targetE0EEEvT1_
	.p2align	8
	.type	_ZN7rocprim17ROCPRIM_400000_NS6detail17trampoline_kernelINS0_14default_configENS1_25transform_config_selectorIlLb0EEEZNS1_14transform_implILb0ES3_S5_NS0_18transform_iteratorINS0_17counting_iteratorImlEEZNS1_24adjacent_difference_implIS3_Lb1ELb0EPlSB_ZN2at6native12_GLOBAL__N_124unique_dim_cuda_templateIsEESt5tupleIJNSC_6TensorESH_SH_EERKSH_lbbbEUlllE1_EE10hipError_tPvRmT2_T3_mT4_P12ihipStream_tbEUlmE_lEESB_NS0_8identityIvEEEESM_SP_SQ_mSR_ST_bEUlT_E_NS1_11comp_targetILNS1_3genE5ELNS1_11target_archE942ELNS1_3gpuE9ELNS1_3repE0EEENS1_30default_config_static_selectorELNS0_4arch9wavefront6targetE0EEEvT1_,@function
_ZN7rocprim17ROCPRIM_400000_NS6detail17trampoline_kernelINS0_14default_configENS1_25transform_config_selectorIlLb0EEEZNS1_14transform_implILb0ES3_S5_NS0_18transform_iteratorINS0_17counting_iteratorImlEEZNS1_24adjacent_difference_implIS3_Lb1ELb0EPlSB_ZN2at6native12_GLOBAL__N_124unique_dim_cuda_templateIsEESt5tupleIJNSC_6TensorESH_SH_EERKSH_lbbbEUlllE1_EE10hipError_tPvRmT2_T3_mT4_P12ihipStream_tbEUlmE_lEESB_NS0_8identityIvEEEESM_SP_SQ_mSR_ST_bEUlT_E_NS1_11comp_targetILNS1_3genE5ELNS1_11target_archE942ELNS1_3gpuE9ELNS1_3repE0EEENS1_30default_config_static_selectorELNS0_4arch9wavefront6targetE0EEEvT1_: ; @_ZN7rocprim17ROCPRIM_400000_NS6detail17trampoline_kernelINS0_14default_configENS1_25transform_config_selectorIlLb0EEEZNS1_14transform_implILb0ES3_S5_NS0_18transform_iteratorINS0_17counting_iteratorImlEEZNS1_24adjacent_difference_implIS3_Lb1ELb0EPlSB_ZN2at6native12_GLOBAL__N_124unique_dim_cuda_templateIsEESt5tupleIJNSC_6TensorESH_SH_EERKSH_lbbbEUlllE1_EE10hipError_tPvRmT2_T3_mT4_P12ihipStream_tbEUlmE_lEESB_NS0_8identityIvEEEESM_SP_SQ_mSR_ST_bEUlT_E_NS1_11comp_targetILNS1_3genE5ELNS1_11target_archE942ELNS1_3gpuE9ELNS1_3repE0EEENS1_30default_config_static_selectorELNS0_4arch9wavefront6targetE0EEEvT1_
; %bb.0:
	.section	.rodata,"a",@progbits
	.p2align	6, 0x0
	.amdhsa_kernel _ZN7rocprim17ROCPRIM_400000_NS6detail17trampoline_kernelINS0_14default_configENS1_25transform_config_selectorIlLb0EEEZNS1_14transform_implILb0ES3_S5_NS0_18transform_iteratorINS0_17counting_iteratorImlEEZNS1_24adjacent_difference_implIS3_Lb1ELb0EPlSB_ZN2at6native12_GLOBAL__N_124unique_dim_cuda_templateIsEESt5tupleIJNSC_6TensorESH_SH_EERKSH_lbbbEUlllE1_EE10hipError_tPvRmT2_T3_mT4_P12ihipStream_tbEUlmE_lEESB_NS0_8identityIvEEEESM_SP_SQ_mSR_ST_bEUlT_E_NS1_11comp_targetILNS1_3genE5ELNS1_11target_archE942ELNS1_3gpuE9ELNS1_3repE0EEENS1_30default_config_static_selectorELNS0_4arch9wavefront6targetE0EEEvT1_
		.amdhsa_group_segment_fixed_size 0
		.amdhsa_private_segment_fixed_size 0
		.amdhsa_kernarg_size 56
		.amdhsa_user_sgpr_count 15
		.amdhsa_user_sgpr_dispatch_ptr 0
		.amdhsa_user_sgpr_queue_ptr 0
		.amdhsa_user_sgpr_kernarg_segment_ptr 1
		.amdhsa_user_sgpr_dispatch_id 0
		.amdhsa_user_sgpr_private_segment_size 0
		.amdhsa_wavefront_size32 1
		.amdhsa_uses_dynamic_stack 0
		.amdhsa_enable_private_segment 0
		.amdhsa_system_sgpr_workgroup_id_x 1
		.amdhsa_system_sgpr_workgroup_id_y 0
		.amdhsa_system_sgpr_workgroup_id_z 0
		.amdhsa_system_sgpr_workgroup_info 0
		.amdhsa_system_vgpr_workitem_id 0
		.amdhsa_next_free_vgpr 1
		.amdhsa_next_free_sgpr 1
		.amdhsa_reserve_vcc 0
		.amdhsa_float_round_mode_32 0
		.amdhsa_float_round_mode_16_64 0
		.amdhsa_float_denorm_mode_32 3
		.amdhsa_float_denorm_mode_16_64 3
		.amdhsa_dx10_clamp 1
		.amdhsa_ieee_mode 1
		.amdhsa_fp16_overflow 0
		.amdhsa_workgroup_processor_mode 1
		.amdhsa_memory_ordered 1
		.amdhsa_forward_progress 0
		.amdhsa_shared_vgpr_count 0
		.amdhsa_exception_fp_ieee_invalid_op 0
		.amdhsa_exception_fp_denorm_src 0
		.amdhsa_exception_fp_ieee_div_zero 0
		.amdhsa_exception_fp_ieee_overflow 0
		.amdhsa_exception_fp_ieee_underflow 0
		.amdhsa_exception_fp_ieee_inexact 0
		.amdhsa_exception_int_div_zero 0
	.end_amdhsa_kernel
	.section	.text._ZN7rocprim17ROCPRIM_400000_NS6detail17trampoline_kernelINS0_14default_configENS1_25transform_config_selectorIlLb0EEEZNS1_14transform_implILb0ES3_S5_NS0_18transform_iteratorINS0_17counting_iteratorImlEEZNS1_24adjacent_difference_implIS3_Lb1ELb0EPlSB_ZN2at6native12_GLOBAL__N_124unique_dim_cuda_templateIsEESt5tupleIJNSC_6TensorESH_SH_EERKSH_lbbbEUlllE1_EE10hipError_tPvRmT2_T3_mT4_P12ihipStream_tbEUlmE_lEESB_NS0_8identityIvEEEESM_SP_SQ_mSR_ST_bEUlT_E_NS1_11comp_targetILNS1_3genE5ELNS1_11target_archE942ELNS1_3gpuE9ELNS1_3repE0EEENS1_30default_config_static_selectorELNS0_4arch9wavefront6targetE0EEEvT1_,"axG",@progbits,_ZN7rocprim17ROCPRIM_400000_NS6detail17trampoline_kernelINS0_14default_configENS1_25transform_config_selectorIlLb0EEEZNS1_14transform_implILb0ES3_S5_NS0_18transform_iteratorINS0_17counting_iteratorImlEEZNS1_24adjacent_difference_implIS3_Lb1ELb0EPlSB_ZN2at6native12_GLOBAL__N_124unique_dim_cuda_templateIsEESt5tupleIJNSC_6TensorESH_SH_EERKSH_lbbbEUlllE1_EE10hipError_tPvRmT2_T3_mT4_P12ihipStream_tbEUlmE_lEESB_NS0_8identityIvEEEESM_SP_SQ_mSR_ST_bEUlT_E_NS1_11comp_targetILNS1_3genE5ELNS1_11target_archE942ELNS1_3gpuE9ELNS1_3repE0EEENS1_30default_config_static_selectorELNS0_4arch9wavefront6targetE0EEEvT1_,comdat
.Lfunc_end669:
	.size	_ZN7rocprim17ROCPRIM_400000_NS6detail17trampoline_kernelINS0_14default_configENS1_25transform_config_selectorIlLb0EEEZNS1_14transform_implILb0ES3_S5_NS0_18transform_iteratorINS0_17counting_iteratorImlEEZNS1_24adjacent_difference_implIS3_Lb1ELb0EPlSB_ZN2at6native12_GLOBAL__N_124unique_dim_cuda_templateIsEESt5tupleIJNSC_6TensorESH_SH_EERKSH_lbbbEUlllE1_EE10hipError_tPvRmT2_T3_mT4_P12ihipStream_tbEUlmE_lEESB_NS0_8identityIvEEEESM_SP_SQ_mSR_ST_bEUlT_E_NS1_11comp_targetILNS1_3genE5ELNS1_11target_archE942ELNS1_3gpuE9ELNS1_3repE0EEENS1_30default_config_static_selectorELNS0_4arch9wavefront6targetE0EEEvT1_, .Lfunc_end669-_ZN7rocprim17ROCPRIM_400000_NS6detail17trampoline_kernelINS0_14default_configENS1_25transform_config_selectorIlLb0EEEZNS1_14transform_implILb0ES3_S5_NS0_18transform_iteratorINS0_17counting_iteratorImlEEZNS1_24adjacent_difference_implIS3_Lb1ELb0EPlSB_ZN2at6native12_GLOBAL__N_124unique_dim_cuda_templateIsEESt5tupleIJNSC_6TensorESH_SH_EERKSH_lbbbEUlllE1_EE10hipError_tPvRmT2_T3_mT4_P12ihipStream_tbEUlmE_lEESB_NS0_8identityIvEEEESM_SP_SQ_mSR_ST_bEUlT_E_NS1_11comp_targetILNS1_3genE5ELNS1_11target_archE942ELNS1_3gpuE9ELNS1_3repE0EEENS1_30default_config_static_selectorELNS0_4arch9wavefront6targetE0EEEvT1_
                                        ; -- End function
	.section	.AMDGPU.csdata,"",@progbits
; Kernel info:
; codeLenInByte = 0
; NumSgprs: 0
; NumVgprs: 0
; ScratchSize: 0
; MemoryBound: 0
; FloatMode: 240
; IeeeMode: 1
; LDSByteSize: 0 bytes/workgroup (compile time only)
; SGPRBlocks: 0
; VGPRBlocks: 0
; NumSGPRsForWavesPerEU: 1
; NumVGPRsForWavesPerEU: 1
; Occupancy: 16
; WaveLimiterHint : 0
; COMPUTE_PGM_RSRC2:SCRATCH_EN: 0
; COMPUTE_PGM_RSRC2:USER_SGPR: 15
; COMPUTE_PGM_RSRC2:TRAP_HANDLER: 0
; COMPUTE_PGM_RSRC2:TGID_X_EN: 1
; COMPUTE_PGM_RSRC2:TGID_Y_EN: 0
; COMPUTE_PGM_RSRC2:TGID_Z_EN: 0
; COMPUTE_PGM_RSRC2:TIDIG_COMP_CNT: 0
	.section	.text._ZN7rocprim17ROCPRIM_400000_NS6detail17trampoline_kernelINS0_14default_configENS1_25transform_config_selectorIlLb0EEEZNS1_14transform_implILb0ES3_S5_NS0_18transform_iteratorINS0_17counting_iteratorImlEEZNS1_24adjacent_difference_implIS3_Lb1ELb0EPlSB_ZN2at6native12_GLOBAL__N_124unique_dim_cuda_templateIsEESt5tupleIJNSC_6TensorESH_SH_EERKSH_lbbbEUlllE1_EE10hipError_tPvRmT2_T3_mT4_P12ihipStream_tbEUlmE_lEESB_NS0_8identityIvEEEESM_SP_SQ_mSR_ST_bEUlT_E_NS1_11comp_targetILNS1_3genE4ELNS1_11target_archE910ELNS1_3gpuE8ELNS1_3repE0EEENS1_30default_config_static_selectorELNS0_4arch9wavefront6targetE0EEEvT1_,"axG",@progbits,_ZN7rocprim17ROCPRIM_400000_NS6detail17trampoline_kernelINS0_14default_configENS1_25transform_config_selectorIlLb0EEEZNS1_14transform_implILb0ES3_S5_NS0_18transform_iteratorINS0_17counting_iteratorImlEEZNS1_24adjacent_difference_implIS3_Lb1ELb0EPlSB_ZN2at6native12_GLOBAL__N_124unique_dim_cuda_templateIsEESt5tupleIJNSC_6TensorESH_SH_EERKSH_lbbbEUlllE1_EE10hipError_tPvRmT2_T3_mT4_P12ihipStream_tbEUlmE_lEESB_NS0_8identityIvEEEESM_SP_SQ_mSR_ST_bEUlT_E_NS1_11comp_targetILNS1_3genE4ELNS1_11target_archE910ELNS1_3gpuE8ELNS1_3repE0EEENS1_30default_config_static_selectorELNS0_4arch9wavefront6targetE0EEEvT1_,comdat
	.globl	_ZN7rocprim17ROCPRIM_400000_NS6detail17trampoline_kernelINS0_14default_configENS1_25transform_config_selectorIlLb0EEEZNS1_14transform_implILb0ES3_S5_NS0_18transform_iteratorINS0_17counting_iteratorImlEEZNS1_24adjacent_difference_implIS3_Lb1ELb0EPlSB_ZN2at6native12_GLOBAL__N_124unique_dim_cuda_templateIsEESt5tupleIJNSC_6TensorESH_SH_EERKSH_lbbbEUlllE1_EE10hipError_tPvRmT2_T3_mT4_P12ihipStream_tbEUlmE_lEESB_NS0_8identityIvEEEESM_SP_SQ_mSR_ST_bEUlT_E_NS1_11comp_targetILNS1_3genE4ELNS1_11target_archE910ELNS1_3gpuE8ELNS1_3repE0EEENS1_30default_config_static_selectorELNS0_4arch9wavefront6targetE0EEEvT1_ ; -- Begin function _ZN7rocprim17ROCPRIM_400000_NS6detail17trampoline_kernelINS0_14default_configENS1_25transform_config_selectorIlLb0EEEZNS1_14transform_implILb0ES3_S5_NS0_18transform_iteratorINS0_17counting_iteratorImlEEZNS1_24adjacent_difference_implIS3_Lb1ELb0EPlSB_ZN2at6native12_GLOBAL__N_124unique_dim_cuda_templateIsEESt5tupleIJNSC_6TensorESH_SH_EERKSH_lbbbEUlllE1_EE10hipError_tPvRmT2_T3_mT4_P12ihipStream_tbEUlmE_lEESB_NS0_8identityIvEEEESM_SP_SQ_mSR_ST_bEUlT_E_NS1_11comp_targetILNS1_3genE4ELNS1_11target_archE910ELNS1_3gpuE8ELNS1_3repE0EEENS1_30default_config_static_selectorELNS0_4arch9wavefront6targetE0EEEvT1_
	.p2align	8
	.type	_ZN7rocprim17ROCPRIM_400000_NS6detail17trampoline_kernelINS0_14default_configENS1_25transform_config_selectorIlLb0EEEZNS1_14transform_implILb0ES3_S5_NS0_18transform_iteratorINS0_17counting_iteratorImlEEZNS1_24adjacent_difference_implIS3_Lb1ELb0EPlSB_ZN2at6native12_GLOBAL__N_124unique_dim_cuda_templateIsEESt5tupleIJNSC_6TensorESH_SH_EERKSH_lbbbEUlllE1_EE10hipError_tPvRmT2_T3_mT4_P12ihipStream_tbEUlmE_lEESB_NS0_8identityIvEEEESM_SP_SQ_mSR_ST_bEUlT_E_NS1_11comp_targetILNS1_3genE4ELNS1_11target_archE910ELNS1_3gpuE8ELNS1_3repE0EEENS1_30default_config_static_selectorELNS0_4arch9wavefront6targetE0EEEvT1_,@function
_ZN7rocprim17ROCPRIM_400000_NS6detail17trampoline_kernelINS0_14default_configENS1_25transform_config_selectorIlLb0EEEZNS1_14transform_implILb0ES3_S5_NS0_18transform_iteratorINS0_17counting_iteratorImlEEZNS1_24adjacent_difference_implIS3_Lb1ELb0EPlSB_ZN2at6native12_GLOBAL__N_124unique_dim_cuda_templateIsEESt5tupleIJNSC_6TensorESH_SH_EERKSH_lbbbEUlllE1_EE10hipError_tPvRmT2_T3_mT4_P12ihipStream_tbEUlmE_lEESB_NS0_8identityIvEEEESM_SP_SQ_mSR_ST_bEUlT_E_NS1_11comp_targetILNS1_3genE4ELNS1_11target_archE910ELNS1_3gpuE8ELNS1_3repE0EEENS1_30default_config_static_selectorELNS0_4arch9wavefront6targetE0EEEvT1_: ; @_ZN7rocprim17ROCPRIM_400000_NS6detail17trampoline_kernelINS0_14default_configENS1_25transform_config_selectorIlLb0EEEZNS1_14transform_implILb0ES3_S5_NS0_18transform_iteratorINS0_17counting_iteratorImlEEZNS1_24adjacent_difference_implIS3_Lb1ELb0EPlSB_ZN2at6native12_GLOBAL__N_124unique_dim_cuda_templateIsEESt5tupleIJNSC_6TensorESH_SH_EERKSH_lbbbEUlllE1_EE10hipError_tPvRmT2_T3_mT4_P12ihipStream_tbEUlmE_lEESB_NS0_8identityIvEEEESM_SP_SQ_mSR_ST_bEUlT_E_NS1_11comp_targetILNS1_3genE4ELNS1_11target_archE910ELNS1_3gpuE8ELNS1_3repE0EEENS1_30default_config_static_selectorELNS0_4arch9wavefront6targetE0EEEvT1_
; %bb.0:
	.section	.rodata,"a",@progbits
	.p2align	6, 0x0
	.amdhsa_kernel _ZN7rocprim17ROCPRIM_400000_NS6detail17trampoline_kernelINS0_14default_configENS1_25transform_config_selectorIlLb0EEEZNS1_14transform_implILb0ES3_S5_NS0_18transform_iteratorINS0_17counting_iteratorImlEEZNS1_24adjacent_difference_implIS3_Lb1ELb0EPlSB_ZN2at6native12_GLOBAL__N_124unique_dim_cuda_templateIsEESt5tupleIJNSC_6TensorESH_SH_EERKSH_lbbbEUlllE1_EE10hipError_tPvRmT2_T3_mT4_P12ihipStream_tbEUlmE_lEESB_NS0_8identityIvEEEESM_SP_SQ_mSR_ST_bEUlT_E_NS1_11comp_targetILNS1_3genE4ELNS1_11target_archE910ELNS1_3gpuE8ELNS1_3repE0EEENS1_30default_config_static_selectorELNS0_4arch9wavefront6targetE0EEEvT1_
		.amdhsa_group_segment_fixed_size 0
		.amdhsa_private_segment_fixed_size 0
		.amdhsa_kernarg_size 56
		.amdhsa_user_sgpr_count 15
		.amdhsa_user_sgpr_dispatch_ptr 0
		.amdhsa_user_sgpr_queue_ptr 0
		.amdhsa_user_sgpr_kernarg_segment_ptr 1
		.amdhsa_user_sgpr_dispatch_id 0
		.amdhsa_user_sgpr_private_segment_size 0
		.amdhsa_wavefront_size32 1
		.amdhsa_uses_dynamic_stack 0
		.amdhsa_enable_private_segment 0
		.amdhsa_system_sgpr_workgroup_id_x 1
		.amdhsa_system_sgpr_workgroup_id_y 0
		.amdhsa_system_sgpr_workgroup_id_z 0
		.amdhsa_system_sgpr_workgroup_info 0
		.amdhsa_system_vgpr_workitem_id 0
		.amdhsa_next_free_vgpr 1
		.amdhsa_next_free_sgpr 1
		.amdhsa_reserve_vcc 0
		.amdhsa_float_round_mode_32 0
		.amdhsa_float_round_mode_16_64 0
		.amdhsa_float_denorm_mode_32 3
		.amdhsa_float_denorm_mode_16_64 3
		.amdhsa_dx10_clamp 1
		.amdhsa_ieee_mode 1
		.amdhsa_fp16_overflow 0
		.amdhsa_workgroup_processor_mode 1
		.amdhsa_memory_ordered 1
		.amdhsa_forward_progress 0
		.amdhsa_shared_vgpr_count 0
		.amdhsa_exception_fp_ieee_invalid_op 0
		.amdhsa_exception_fp_denorm_src 0
		.amdhsa_exception_fp_ieee_div_zero 0
		.amdhsa_exception_fp_ieee_overflow 0
		.amdhsa_exception_fp_ieee_underflow 0
		.amdhsa_exception_fp_ieee_inexact 0
		.amdhsa_exception_int_div_zero 0
	.end_amdhsa_kernel
	.section	.text._ZN7rocprim17ROCPRIM_400000_NS6detail17trampoline_kernelINS0_14default_configENS1_25transform_config_selectorIlLb0EEEZNS1_14transform_implILb0ES3_S5_NS0_18transform_iteratorINS0_17counting_iteratorImlEEZNS1_24adjacent_difference_implIS3_Lb1ELb0EPlSB_ZN2at6native12_GLOBAL__N_124unique_dim_cuda_templateIsEESt5tupleIJNSC_6TensorESH_SH_EERKSH_lbbbEUlllE1_EE10hipError_tPvRmT2_T3_mT4_P12ihipStream_tbEUlmE_lEESB_NS0_8identityIvEEEESM_SP_SQ_mSR_ST_bEUlT_E_NS1_11comp_targetILNS1_3genE4ELNS1_11target_archE910ELNS1_3gpuE8ELNS1_3repE0EEENS1_30default_config_static_selectorELNS0_4arch9wavefront6targetE0EEEvT1_,"axG",@progbits,_ZN7rocprim17ROCPRIM_400000_NS6detail17trampoline_kernelINS0_14default_configENS1_25transform_config_selectorIlLb0EEEZNS1_14transform_implILb0ES3_S5_NS0_18transform_iteratorINS0_17counting_iteratorImlEEZNS1_24adjacent_difference_implIS3_Lb1ELb0EPlSB_ZN2at6native12_GLOBAL__N_124unique_dim_cuda_templateIsEESt5tupleIJNSC_6TensorESH_SH_EERKSH_lbbbEUlllE1_EE10hipError_tPvRmT2_T3_mT4_P12ihipStream_tbEUlmE_lEESB_NS0_8identityIvEEEESM_SP_SQ_mSR_ST_bEUlT_E_NS1_11comp_targetILNS1_3genE4ELNS1_11target_archE910ELNS1_3gpuE8ELNS1_3repE0EEENS1_30default_config_static_selectorELNS0_4arch9wavefront6targetE0EEEvT1_,comdat
.Lfunc_end670:
	.size	_ZN7rocprim17ROCPRIM_400000_NS6detail17trampoline_kernelINS0_14default_configENS1_25transform_config_selectorIlLb0EEEZNS1_14transform_implILb0ES3_S5_NS0_18transform_iteratorINS0_17counting_iteratorImlEEZNS1_24adjacent_difference_implIS3_Lb1ELb0EPlSB_ZN2at6native12_GLOBAL__N_124unique_dim_cuda_templateIsEESt5tupleIJNSC_6TensorESH_SH_EERKSH_lbbbEUlllE1_EE10hipError_tPvRmT2_T3_mT4_P12ihipStream_tbEUlmE_lEESB_NS0_8identityIvEEEESM_SP_SQ_mSR_ST_bEUlT_E_NS1_11comp_targetILNS1_3genE4ELNS1_11target_archE910ELNS1_3gpuE8ELNS1_3repE0EEENS1_30default_config_static_selectorELNS0_4arch9wavefront6targetE0EEEvT1_, .Lfunc_end670-_ZN7rocprim17ROCPRIM_400000_NS6detail17trampoline_kernelINS0_14default_configENS1_25transform_config_selectorIlLb0EEEZNS1_14transform_implILb0ES3_S5_NS0_18transform_iteratorINS0_17counting_iteratorImlEEZNS1_24adjacent_difference_implIS3_Lb1ELb0EPlSB_ZN2at6native12_GLOBAL__N_124unique_dim_cuda_templateIsEESt5tupleIJNSC_6TensorESH_SH_EERKSH_lbbbEUlllE1_EE10hipError_tPvRmT2_T3_mT4_P12ihipStream_tbEUlmE_lEESB_NS0_8identityIvEEEESM_SP_SQ_mSR_ST_bEUlT_E_NS1_11comp_targetILNS1_3genE4ELNS1_11target_archE910ELNS1_3gpuE8ELNS1_3repE0EEENS1_30default_config_static_selectorELNS0_4arch9wavefront6targetE0EEEvT1_
                                        ; -- End function
	.section	.AMDGPU.csdata,"",@progbits
; Kernel info:
; codeLenInByte = 0
; NumSgprs: 0
; NumVgprs: 0
; ScratchSize: 0
; MemoryBound: 0
; FloatMode: 240
; IeeeMode: 1
; LDSByteSize: 0 bytes/workgroup (compile time only)
; SGPRBlocks: 0
; VGPRBlocks: 0
; NumSGPRsForWavesPerEU: 1
; NumVGPRsForWavesPerEU: 1
; Occupancy: 16
; WaveLimiterHint : 0
; COMPUTE_PGM_RSRC2:SCRATCH_EN: 0
; COMPUTE_PGM_RSRC2:USER_SGPR: 15
; COMPUTE_PGM_RSRC2:TRAP_HANDLER: 0
; COMPUTE_PGM_RSRC2:TGID_X_EN: 1
; COMPUTE_PGM_RSRC2:TGID_Y_EN: 0
; COMPUTE_PGM_RSRC2:TGID_Z_EN: 0
; COMPUTE_PGM_RSRC2:TIDIG_COMP_CNT: 0
	.section	.text._ZN7rocprim17ROCPRIM_400000_NS6detail17trampoline_kernelINS0_14default_configENS1_25transform_config_selectorIlLb0EEEZNS1_14transform_implILb0ES3_S5_NS0_18transform_iteratorINS0_17counting_iteratorImlEEZNS1_24adjacent_difference_implIS3_Lb1ELb0EPlSB_ZN2at6native12_GLOBAL__N_124unique_dim_cuda_templateIsEESt5tupleIJNSC_6TensorESH_SH_EERKSH_lbbbEUlllE1_EE10hipError_tPvRmT2_T3_mT4_P12ihipStream_tbEUlmE_lEESB_NS0_8identityIvEEEESM_SP_SQ_mSR_ST_bEUlT_E_NS1_11comp_targetILNS1_3genE3ELNS1_11target_archE908ELNS1_3gpuE7ELNS1_3repE0EEENS1_30default_config_static_selectorELNS0_4arch9wavefront6targetE0EEEvT1_,"axG",@progbits,_ZN7rocprim17ROCPRIM_400000_NS6detail17trampoline_kernelINS0_14default_configENS1_25transform_config_selectorIlLb0EEEZNS1_14transform_implILb0ES3_S5_NS0_18transform_iteratorINS0_17counting_iteratorImlEEZNS1_24adjacent_difference_implIS3_Lb1ELb0EPlSB_ZN2at6native12_GLOBAL__N_124unique_dim_cuda_templateIsEESt5tupleIJNSC_6TensorESH_SH_EERKSH_lbbbEUlllE1_EE10hipError_tPvRmT2_T3_mT4_P12ihipStream_tbEUlmE_lEESB_NS0_8identityIvEEEESM_SP_SQ_mSR_ST_bEUlT_E_NS1_11comp_targetILNS1_3genE3ELNS1_11target_archE908ELNS1_3gpuE7ELNS1_3repE0EEENS1_30default_config_static_selectorELNS0_4arch9wavefront6targetE0EEEvT1_,comdat
	.globl	_ZN7rocprim17ROCPRIM_400000_NS6detail17trampoline_kernelINS0_14default_configENS1_25transform_config_selectorIlLb0EEEZNS1_14transform_implILb0ES3_S5_NS0_18transform_iteratorINS0_17counting_iteratorImlEEZNS1_24adjacent_difference_implIS3_Lb1ELb0EPlSB_ZN2at6native12_GLOBAL__N_124unique_dim_cuda_templateIsEESt5tupleIJNSC_6TensorESH_SH_EERKSH_lbbbEUlllE1_EE10hipError_tPvRmT2_T3_mT4_P12ihipStream_tbEUlmE_lEESB_NS0_8identityIvEEEESM_SP_SQ_mSR_ST_bEUlT_E_NS1_11comp_targetILNS1_3genE3ELNS1_11target_archE908ELNS1_3gpuE7ELNS1_3repE0EEENS1_30default_config_static_selectorELNS0_4arch9wavefront6targetE0EEEvT1_ ; -- Begin function _ZN7rocprim17ROCPRIM_400000_NS6detail17trampoline_kernelINS0_14default_configENS1_25transform_config_selectorIlLb0EEEZNS1_14transform_implILb0ES3_S5_NS0_18transform_iteratorINS0_17counting_iteratorImlEEZNS1_24adjacent_difference_implIS3_Lb1ELb0EPlSB_ZN2at6native12_GLOBAL__N_124unique_dim_cuda_templateIsEESt5tupleIJNSC_6TensorESH_SH_EERKSH_lbbbEUlllE1_EE10hipError_tPvRmT2_T3_mT4_P12ihipStream_tbEUlmE_lEESB_NS0_8identityIvEEEESM_SP_SQ_mSR_ST_bEUlT_E_NS1_11comp_targetILNS1_3genE3ELNS1_11target_archE908ELNS1_3gpuE7ELNS1_3repE0EEENS1_30default_config_static_selectorELNS0_4arch9wavefront6targetE0EEEvT1_
	.p2align	8
	.type	_ZN7rocprim17ROCPRIM_400000_NS6detail17trampoline_kernelINS0_14default_configENS1_25transform_config_selectorIlLb0EEEZNS1_14transform_implILb0ES3_S5_NS0_18transform_iteratorINS0_17counting_iteratorImlEEZNS1_24adjacent_difference_implIS3_Lb1ELb0EPlSB_ZN2at6native12_GLOBAL__N_124unique_dim_cuda_templateIsEESt5tupleIJNSC_6TensorESH_SH_EERKSH_lbbbEUlllE1_EE10hipError_tPvRmT2_T3_mT4_P12ihipStream_tbEUlmE_lEESB_NS0_8identityIvEEEESM_SP_SQ_mSR_ST_bEUlT_E_NS1_11comp_targetILNS1_3genE3ELNS1_11target_archE908ELNS1_3gpuE7ELNS1_3repE0EEENS1_30default_config_static_selectorELNS0_4arch9wavefront6targetE0EEEvT1_,@function
_ZN7rocprim17ROCPRIM_400000_NS6detail17trampoline_kernelINS0_14default_configENS1_25transform_config_selectorIlLb0EEEZNS1_14transform_implILb0ES3_S5_NS0_18transform_iteratorINS0_17counting_iteratorImlEEZNS1_24adjacent_difference_implIS3_Lb1ELb0EPlSB_ZN2at6native12_GLOBAL__N_124unique_dim_cuda_templateIsEESt5tupleIJNSC_6TensorESH_SH_EERKSH_lbbbEUlllE1_EE10hipError_tPvRmT2_T3_mT4_P12ihipStream_tbEUlmE_lEESB_NS0_8identityIvEEEESM_SP_SQ_mSR_ST_bEUlT_E_NS1_11comp_targetILNS1_3genE3ELNS1_11target_archE908ELNS1_3gpuE7ELNS1_3repE0EEENS1_30default_config_static_selectorELNS0_4arch9wavefront6targetE0EEEvT1_: ; @_ZN7rocprim17ROCPRIM_400000_NS6detail17trampoline_kernelINS0_14default_configENS1_25transform_config_selectorIlLb0EEEZNS1_14transform_implILb0ES3_S5_NS0_18transform_iteratorINS0_17counting_iteratorImlEEZNS1_24adjacent_difference_implIS3_Lb1ELb0EPlSB_ZN2at6native12_GLOBAL__N_124unique_dim_cuda_templateIsEESt5tupleIJNSC_6TensorESH_SH_EERKSH_lbbbEUlllE1_EE10hipError_tPvRmT2_T3_mT4_P12ihipStream_tbEUlmE_lEESB_NS0_8identityIvEEEESM_SP_SQ_mSR_ST_bEUlT_E_NS1_11comp_targetILNS1_3genE3ELNS1_11target_archE908ELNS1_3gpuE7ELNS1_3repE0EEENS1_30default_config_static_selectorELNS0_4arch9wavefront6targetE0EEEvT1_
; %bb.0:
	.section	.rodata,"a",@progbits
	.p2align	6, 0x0
	.amdhsa_kernel _ZN7rocprim17ROCPRIM_400000_NS6detail17trampoline_kernelINS0_14default_configENS1_25transform_config_selectorIlLb0EEEZNS1_14transform_implILb0ES3_S5_NS0_18transform_iteratorINS0_17counting_iteratorImlEEZNS1_24adjacent_difference_implIS3_Lb1ELb0EPlSB_ZN2at6native12_GLOBAL__N_124unique_dim_cuda_templateIsEESt5tupleIJNSC_6TensorESH_SH_EERKSH_lbbbEUlllE1_EE10hipError_tPvRmT2_T3_mT4_P12ihipStream_tbEUlmE_lEESB_NS0_8identityIvEEEESM_SP_SQ_mSR_ST_bEUlT_E_NS1_11comp_targetILNS1_3genE3ELNS1_11target_archE908ELNS1_3gpuE7ELNS1_3repE0EEENS1_30default_config_static_selectorELNS0_4arch9wavefront6targetE0EEEvT1_
		.amdhsa_group_segment_fixed_size 0
		.amdhsa_private_segment_fixed_size 0
		.amdhsa_kernarg_size 56
		.amdhsa_user_sgpr_count 15
		.amdhsa_user_sgpr_dispatch_ptr 0
		.amdhsa_user_sgpr_queue_ptr 0
		.amdhsa_user_sgpr_kernarg_segment_ptr 1
		.amdhsa_user_sgpr_dispatch_id 0
		.amdhsa_user_sgpr_private_segment_size 0
		.amdhsa_wavefront_size32 1
		.amdhsa_uses_dynamic_stack 0
		.amdhsa_enable_private_segment 0
		.amdhsa_system_sgpr_workgroup_id_x 1
		.amdhsa_system_sgpr_workgroup_id_y 0
		.amdhsa_system_sgpr_workgroup_id_z 0
		.amdhsa_system_sgpr_workgroup_info 0
		.amdhsa_system_vgpr_workitem_id 0
		.amdhsa_next_free_vgpr 1
		.amdhsa_next_free_sgpr 1
		.amdhsa_reserve_vcc 0
		.amdhsa_float_round_mode_32 0
		.amdhsa_float_round_mode_16_64 0
		.amdhsa_float_denorm_mode_32 3
		.amdhsa_float_denorm_mode_16_64 3
		.amdhsa_dx10_clamp 1
		.amdhsa_ieee_mode 1
		.amdhsa_fp16_overflow 0
		.amdhsa_workgroup_processor_mode 1
		.amdhsa_memory_ordered 1
		.amdhsa_forward_progress 0
		.amdhsa_shared_vgpr_count 0
		.amdhsa_exception_fp_ieee_invalid_op 0
		.amdhsa_exception_fp_denorm_src 0
		.amdhsa_exception_fp_ieee_div_zero 0
		.amdhsa_exception_fp_ieee_overflow 0
		.amdhsa_exception_fp_ieee_underflow 0
		.amdhsa_exception_fp_ieee_inexact 0
		.amdhsa_exception_int_div_zero 0
	.end_amdhsa_kernel
	.section	.text._ZN7rocprim17ROCPRIM_400000_NS6detail17trampoline_kernelINS0_14default_configENS1_25transform_config_selectorIlLb0EEEZNS1_14transform_implILb0ES3_S5_NS0_18transform_iteratorINS0_17counting_iteratorImlEEZNS1_24adjacent_difference_implIS3_Lb1ELb0EPlSB_ZN2at6native12_GLOBAL__N_124unique_dim_cuda_templateIsEESt5tupleIJNSC_6TensorESH_SH_EERKSH_lbbbEUlllE1_EE10hipError_tPvRmT2_T3_mT4_P12ihipStream_tbEUlmE_lEESB_NS0_8identityIvEEEESM_SP_SQ_mSR_ST_bEUlT_E_NS1_11comp_targetILNS1_3genE3ELNS1_11target_archE908ELNS1_3gpuE7ELNS1_3repE0EEENS1_30default_config_static_selectorELNS0_4arch9wavefront6targetE0EEEvT1_,"axG",@progbits,_ZN7rocprim17ROCPRIM_400000_NS6detail17trampoline_kernelINS0_14default_configENS1_25transform_config_selectorIlLb0EEEZNS1_14transform_implILb0ES3_S5_NS0_18transform_iteratorINS0_17counting_iteratorImlEEZNS1_24adjacent_difference_implIS3_Lb1ELb0EPlSB_ZN2at6native12_GLOBAL__N_124unique_dim_cuda_templateIsEESt5tupleIJNSC_6TensorESH_SH_EERKSH_lbbbEUlllE1_EE10hipError_tPvRmT2_T3_mT4_P12ihipStream_tbEUlmE_lEESB_NS0_8identityIvEEEESM_SP_SQ_mSR_ST_bEUlT_E_NS1_11comp_targetILNS1_3genE3ELNS1_11target_archE908ELNS1_3gpuE7ELNS1_3repE0EEENS1_30default_config_static_selectorELNS0_4arch9wavefront6targetE0EEEvT1_,comdat
.Lfunc_end671:
	.size	_ZN7rocprim17ROCPRIM_400000_NS6detail17trampoline_kernelINS0_14default_configENS1_25transform_config_selectorIlLb0EEEZNS1_14transform_implILb0ES3_S5_NS0_18transform_iteratorINS0_17counting_iteratorImlEEZNS1_24adjacent_difference_implIS3_Lb1ELb0EPlSB_ZN2at6native12_GLOBAL__N_124unique_dim_cuda_templateIsEESt5tupleIJNSC_6TensorESH_SH_EERKSH_lbbbEUlllE1_EE10hipError_tPvRmT2_T3_mT4_P12ihipStream_tbEUlmE_lEESB_NS0_8identityIvEEEESM_SP_SQ_mSR_ST_bEUlT_E_NS1_11comp_targetILNS1_3genE3ELNS1_11target_archE908ELNS1_3gpuE7ELNS1_3repE0EEENS1_30default_config_static_selectorELNS0_4arch9wavefront6targetE0EEEvT1_, .Lfunc_end671-_ZN7rocprim17ROCPRIM_400000_NS6detail17trampoline_kernelINS0_14default_configENS1_25transform_config_selectorIlLb0EEEZNS1_14transform_implILb0ES3_S5_NS0_18transform_iteratorINS0_17counting_iteratorImlEEZNS1_24adjacent_difference_implIS3_Lb1ELb0EPlSB_ZN2at6native12_GLOBAL__N_124unique_dim_cuda_templateIsEESt5tupleIJNSC_6TensorESH_SH_EERKSH_lbbbEUlllE1_EE10hipError_tPvRmT2_T3_mT4_P12ihipStream_tbEUlmE_lEESB_NS0_8identityIvEEEESM_SP_SQ_mSR_ST_bEUlT_E_NS1_11comp_targetILNS1_3genE3ELNS1_11target_archE908ELNS1_3gpuE7ELNS1_3repE0EEENS1_30default_config_static_selectorELNS0_4arch9wavefront6targetE0EEEvT1_
                                        ; -- End function
	.section	.AMDGPU.csdata,"",@progbits
; Kernel info:
; codeLenInByte = 0
; NumSgprs: 0
; NumVgprs: 0
; ScratchSize: 0
; MemoryBound: 0
; FloatMode: 240
; IeeeMode: 1
; LDSByteSize: 0 bytes/workgroup (compile time only)
; SGPRBlocks: 0
; VGPRBlocks: 0
; NumSGPRsForWavesPerEU: 1
; NumVGPRsForWavesPerEU: 1
; Occupancy: 16
; WaveLimiterHint : 0
; COMPUTE_PGM_RSRC2:SCRATCH_EN: 0
; COMPUTE_PGM_RSRC2:USER_SGPR: 15
; COMPUTE_PGM_RSRC2:TRAP_HANDLER: 0
; COMPUTE_PGM_RSRC2:TGID_X_EN: 1
; COMPUTE_PGM_RSRC2:TGID_Y_EN: 0
; COMPUTE_PGM_RSRC2:TGID_Z_EN: 0
; COMPUTE_PGM_RSRC2:TIDIG_COMP_CNT: 0
	.section	.text._ZN7rocprim17ROCPRIM_400000_NS6detail17trampoline_kernelINS0_14default_configENS1_25transform_config_selectorIlLb0EEEZNS1_14transform_implILb0ES3_S5_NS0_18transform_iteratorINS0_17counting_iteratorImlEEZNS1_24adjacent_difference_implIS3_Lb1ELb0EPlSB_ZN2at6native12_GLOBAL__N_124unique_dim_cuda_templateIsEESt5tupleIJNSC_6TensorESH_SH_EERKSH_lbbbEUlllE1_EE10hipError_tPvRmT2_T3_mT4_P12ihipStream_tbEUlmE_lEESB_NS0_8identityIvEEEESM_SP_SQ_mSR_ST_bEUlT_E_NS1_11comp_targetILNS1_3genE2ELNS1_11target_archE906ELNS1_3gpuE6ELNS1_3repE0EEENS1_30default_config_static_selectorELNS0_4arch9wavefront6targetE0EEEvT1_,"axG",@progbits,_ZN7rocprim17ROCPRIM_400000_NS6detail17trampoline_kernelINS0_14default_configENS1_25transform_config_selectorIlLb0EEEZNS1_14transform_implILb0ES3_S5_NS0_18transform_iteratorINS0_17counting_iteratorImlEEZNS1_24adjacent_difference_implIS3_Lb1ELb0EPlSB_ZN2at6native12_GLOBAL__N_124unique_dim_cuda_templateIsEESt5tupleIJNSC_6TensorESH_SH_EERKSH_lbbbEUlllE1_EE10hipError_tPvRmT2_T3_mT4_P12ihipStream_tbEUlmE_lEESB_NS0_8identityIvEEEESM_SP_SQ_mSR_ST_bEUlT_E_NS1_11comp_targetILNS1_3genE2ELNS1_11target_archE906ELNS1_3gpuE6ELNS1_3repE0EEENS1_30default_config_static_selectorELNS0_4arch9wavefront6targetE0EEEvT1_,comdat
	.globl	_ZN7rocprim17ROCPRIM_400000_NS6detail17trampoline_kernelINS0_14default_configENS1_25transform_config_selectorIlLb0EEEZNS1_14transform_implILb0ES3_S5_NS0_18transform_iteratorINS0_17counting_iteratorImlEEZNS1_24adjacent_difference_implIS3_Lb1ELb0EPlSB_ZN2at6native12_GLOBAL__N_124unique_dim_cuda_templateIsEESt5tupleIJNSC_6TensorESH_SH_EERKSH_lbbbEUlllE1_EE10hipError_tPvRmT2_T3_mT4_P12ihipStream_tbEUlmE_lEESB_NS0_8identityIvEEEESM_SP_SQ_mSR_ST_bEUlT_E_NS1_11comp_targetILNS1_3genE2ELNS1_11target_archE906ELNS1_3gpuE6ELNS1_3repE0EEENS1_30default_config_static_selectorELNS0_4arch9wavefront6targetE0EEEvT1_ ; -- Begin function _ZN7rocprim17ROCPRIM_400000_NS6detail17trampoline_kernelINS0_14default_configENS1_25transform_config_selectorIlLb0EEEZNS1_14transform_implILb0ES3_S5_NS0_18transform_iteratorINS0_17counting_iteratorImlEEZNS1_24adjacent_difference_implIS3_Lb1ELb0EPlSB_ZN2at6native12_GLOBAL__N_124unique_dim_cuda_templateIsEESt5tupleIJNSC_6TensorESH_SH_EERKSH_lbbbEUlllE1_EE10hipError_tPvRmT2_T3_mT4_P12ihipStream_tbEUlmE_lEESB_NS0_8identityIvEEEESM_SP_SQ_mSR_ST_bEUlT_E_NS1_11comp_targetILNS1_3genE2ELNS1_11target_archE906ELNS1_3gpuE6ELNS1_3repE0EEENS1_30default_config_static_selectorELNS0_4arch9wavefront6targetE0EEEvT1_
	.p2align	8
	.type	_ZN7rocprim17ROCPRIM_400000_NS6detail17trampoline_kernelINS0_14default_configENS1_25transform_config_selectorIlLb0EEEZNS1_14transform_implILb0ES3_S5_NS0_18transform_iteratorINS0_17counting_iteratorImlEEZNS1_24adjacent_difference_implIS3_Lb1ELb0EPlSB_ZN2at6native12_GLOBAL__N_124unique_dim_cuda_templateIsEESt5tupleIJNSC_6TensorESH_SH_EERKSH_lbbbEUlllE1_EE10hipError_tPvRmT2_T3_mT4_P12ihipStream_tbEUlmE_lEESB_NS0_8identityIvEEEESM_SP_SQ_mSR_ST_bEUlT_E_NS1_11comp_targetILNS1_3genE2ELNS1_11target_archE906ELNS1_3gpuE6ELNS1_3repE0EEENS1_30default_config_static_selectorELNS0_4arch9wavefront6targetE0EEEvT1_,@function
_ZN7rocprim17ROCPRIM_400000_NS6detail17trampoline_kernelINS0_14default_configENS1_25transform_config_selectorIlLb0EEEZNS1_14transform_implILb0ES3_S5_NS0_18transform_iteratorINS0_17counting_iteratorImlEEZNS1_24adjacent_difference_implIS3_Lb1ELb0EPlSB_ZN2at6native12_GLOBAL__N_124unique_dim_cuda_templateIsEESt5tupleIJNSC_6TensorESH_SH_EERKSH_lbbbEUlllE1_EE10hipError_tPvRmT2_T3_mT4_P12ihipStream_tbEUlmE_lEESB_NS0_8identityIvEEEESM_SP_SQ_mSR_ST_bEUlT_E_NS1_11comp_targetILNS1_3genE2ELNS1_11target_archE906ELNS1_3gpuE6ELNS1_3repE0EEENS1_30default_config_static_selectorELNS0_4arch9wavefront6targetE0EEEvT1_: ; @_ZN7rocprim17ROCPRIM_400000_NS6detail17trampoline_kernelINS0_14default_configENS1_25transform_config_selectorIlLb0EEEZNS1_14transform_implILb0ES3_S5_NS0_18transform_iteratorINS0_17counting_iteratorImlEEZNS1_24adjacent_difference_implIS3_Lb1ELb0EPlSB_ZN2at6native12_GLOBAL__N_124unique_dim_cuda_templateIsEESt5tupleIJNSC_6TensorESH_SH_EERKSH_lbbbEUlllE1_EE10hipError_tPvRmT2_T3_mT4_P12ihipStream_tbEUlmE_lEESB_NS0_8identityIvEEEESM_SP_SQ_mSR_ST_bEUlT_E_NS1_11comp_targetILNS1_3genE2ELNS1_11target_archE906ELNS1_3gpuE6ELNS1_3repE0EEENS1_30default_config_static_selectorELNS0_4arch9wavefront6targetE0EEEvT1_
; %bb.0:
	.section	.rodata,"a",@progbits
	.p2align	6, 0x0
	.amdhsa_kernel _ZN7rocprim17ROCPRIM_400000_NS6detail17trampoline_kernelINS0_14default_configENS1_25transform_config_selectorIlLb0EEEZNS1_14transform_implILb0ES3_S5_NS0_18transform_iteratorINS0_17counting_iteratorImlEEZNS1_24adjacent_difference_implIS3_Lb1ELb0EPlSB_ZN2at6native12_GLOBAL__N_124unique_dim_cuda_templateIsEESt5tupleIJNSC_6TensorESH_SH_EERKSH_lbbbEUlllE1_EE10hipError_tPvRmT2_T3_mT4_P12ihipStream_tbEUlmE_lEESB_NS0_8identityIvEEEESM_SP_SQ_mSR_ST_bEUlT_E_NS1_11comp_targetILNS1_3genE2ELNS1_11target_archE906ELNS1_3gpuE6ELNS1_3repE0EEENS1_30default_config_static_selectorELNS0_4arch9wavefront6targetE0EEEvT1_
		.amdhsa_group_segment_fixed_size 0
		.amdhsa_private_segment_fixed_size 0
		.amdhsa_kernarg_size 56
		.amdhsa_user_sgpr_count 15
		.amdhsa_user_sgpr_dispatch_ptr 0
		.amdhsa_user_sgpr_queue_ptr 0
		.amdhsa_user_sgpr_kernarg_segment_ptr 1
		.amdhsa_user_sgpr_dispatch_id 0
		.amdhsa_user_sgpr_private_segment_size 0
		.amdhsa_wavefront_size32 1
		.amdhsa_uses_dynamic_stack 0
		.amdhsa_enable_private_segment 0
		.amdhsa_system_sgpr_workgroup_id_x 1
		.amdhsa_system_sgpr_workgroup_id_y 0
		.amdhsa_system_sgpr_workgroup_id_z 0
		.amdhsa_system_sgpr_workgroup_info 0
		.amdhsa_system_vgpr_workitem_id 0
		.amdhsa_next_free_vgpr 1
		.amdhsa_next_free_sgpr 1
		.amdhsa_reserve_vcc 0
		.amdhsa_float_round_mode_32 0
		.amdhsa_float_round_mode_16_64 0
		.amdhsa_float_denorm_mode_32 3
		.amdhsa_float_denorm_mode_16_64 3
		.amdhsa_dx10_clamp 1
		.amdhsa_ieee_mode 1
		.amdhsa_fp16_overflow 0
		.amdhsa_workgroup_processor_mode 1
		.amdhsa_memory_ordered 1
		.amdhsa_forward_progress 0
		.amdhsa_shared_vgpr_count 0
		.amdhsa_exception_fp_ieee_invalid_op 0
		.amdhsa_exception_fp_denorm_src 0
		.amdhsa_exception_fp_ieee_div_zero 0
		.amdhsa_exception_fp_ieee_overflow 0
		.amdhsa_exception_fp_ieee_underflow 0
		.amdhsa_exception_fp_ieee_inexact 0
		.amdhsa_exception_int_div_zero 0
	.end_amdhsa_kernel
	.section	.text._ZN7rocprim17ROCPRIM_400000_NS6detail17trampoline_kernelINS0_14default_configENS1_25transform_config_selectorIlLb0EEEZNS1_14transform_implILb0ES3_S5_NS0_18transform_iteratorINS0_17counting_iteratorImlEEZNS1_24adjacent_difference_implIS3_Lb1ELb0EPlSB_ZN2at6native12_GLOBAL__N_124unique_dim_cuda_templateIsEESt5tupleIJNSC_6TensorESH_SH_EERKSH_lbbbEUlllE1_EE10hipError_tPvRmT2_T3_mT4_P12ihipStream_tbEUlmE_lEESB_NS0_8identityIvEEEESM_SP_SQ_mSR_ST_bEUlT_E_NS1_11comp_targetILNS1_3genE2ELNS1_11target_archE906ELNS1_3gpuE6ELNS1_3repE0EEENS1_30default_config_static_selectorELNS0_4arch9wavefront6targetE0EEEvT1_,"axG",@progbits,_ZN7rocprim17ROCPRIM_400000_NS6detail17trampoline_kernelINS0_14default_configENS1_25transform_config_selectorIlLb0EEEZNS1_14transform_implILb0ES3_S5_NS0_18transform_iteratorINS0_17counting_iteratorImlEEZNS1_24adjacent_difference_implIS3_Lb1ELb0EPlSB_ZN2at6native12_GLOBAL__N_124unique_dim_cuda_templateIsEESt5tupleIJNSC_6TensorESH_SH_EERKSH_lbbbEUlllE1_EE10hipError_tPvRmT2_T3_mT4_P12ihipStream_tbEUlmE_lEESB_NS0_8identityIvEEEESM_SP_SQ_mSR_ST_bEUlT_E_NS1_11comp_targetILNS1_3genE2ELNS1_11target_archE906ELNS1_3gpuE6ELNS1_3repE0EEENS1_30default_config_static_selectorELNS0_4arch9wavefront6targetE0EEEvT1_,comdat
.Lfunc_end672:
	.size	_ZN7rocprim17ROCPRIM_400000_NS6detail17trampoline_kernelINS0_14default_configENS1_25transform_config_selectorIlLb0EEEZNS1_14transform_implILb0ES3_S5_NS0_18transform_iteratorINS0_17counting_iteratorImlEEZNS1_24adjacent_difference_implIS3_Lb1ELb0EPlSB_ZN2at6native12_GLOBAL__N_124unique_dim_cuda_templateIsEESt5tupleIJNSC_6TensorESH_SH_EERKSH_lbbbEUlllE1_EE10hipError_tPvRmT2_T3_mT4_P12ihipStream_tbEUlmE_lEESB_NS0_8identityIvEEEESM_SP_SQ_mSR_ST_bEUlT_E_NS1_11comp_targetILNS1_3genE2ELNS1_11target_archE906ELNS1_3gpuE6ELNS1_3repE0EEENS1_30default_config_static_selectorELNS0_4arch9wavefront6targetE0EEEvT1_, .Lfunc_end672-_ZN7rocprim17ROCPRIM_400000_NS6detail17trampoline_kernelINS0_14default_configENS1_25transform_config_selectorIlLb0EEEZNS1_14transform_implILb0ES3_S5_NS0_18transform_iteratorINS0_17counting_iteratorImlEEZNS1_24adjacent_difference_implIS3_Lb1ELb0EPlSB_ZN2at6native12_GLOBAL__N_124unique_dim_cuda_templateIsEESt5tupleIJNSC_6TensorESH_SH_EERKSH_lbbbEUlllE1_EE10hipError_tPvRmT2_T3_mT4_P12ihipStream_tbEUlmE_lEESB_NS0_8identityIvEEEESM_SP_SQ_mSR_ST_bEUlT_E_NS1_11comp_targetILNS1_3genE2ELNS1_11target_archE906ELNS1_3gpuE6ELNS1_3repE0EEENS1_30default_config_static_selectorELNS0_4arch9wavefront6targetE0EEEvT1_
                                        ; -- End function
	.section	.AMDGPU.csdata,"",@progbits
; Kernel info:
; codeLenInByte = 0
; NumSgprs: 0
; NumVgprs: 0
; ScratchSize: 0
; MemoryBound: 0
; FloatMode: 240
; IeeeMode: 1
; LDSByteSize: 0 bytes/workgroup (compile time only)
; SGPRBlocks: 0
; VGPRBlocks: 0
; NumSGPRsForWavesPerEU: 1
; NumVGPRsForWavesPerEU: 1
; Occupancy: 16
; WaveLimiterHint : 0
; COMPUTE_PGM_RSRC2:SCRATCH_EN: 0
; COMPUTE_PGM_RSRC2:USER_SGPR: 15
; COMPUTE_PGM_RSRC2:TRAP_HANDLER: 0
; COMPUTE_PGM_RSRC2:TGID_X_EN: 1
; COMPUTE_PGM_RSRC2:TGID_Y_EN: 0
; COMPUTE_PGM_RSRC2:TGID_Z_EN: 0
; COMPUTE_PGM_RSRC2:TIDIG_COMP_CNT: 0
	.section	.text._ZN7rocprim17ROCPRIM_400000_NS6detail17trampoline_kernelINS0_14default_configENS1_25transform_config_selectorIlLb0EEEZNS1_14transform_implILb0ES3_S5_NS0_18transform_iteratorINS0_17counting_iteratorImlEEZNS1_24adjacent_difference_implIS3_Lb1ELb0EPlSB_ZN2at6native12_GLOBAL__N_124unique_dim_cuda_templateIsEESt5tupleIJNSC_6TensorESH_SH_EERKSH_lbbbEUlllE1_EE10hipError_tPvRmT2_T3_mT4_P12ihipStream_tbEUlmE_lEESB_NS0_8identityIvEEEESM_SP_SQ_mSR_ST_bEUlT_E_NS1_11comp_targetILNS1_3genE10ELNS1_11target_archE1201ELNS1_3gpuE5ELNS1_3repE0EEENS1_30default_config_static_selectorELNS0_4arch9wavefront6targetE0EEEvT1_,"axG",@progbits,_ZN7rocprim17ROCPRIM_400000_NS6detail17trampoline_kernelINS0_14default_configENS1_25transform_config_selectorIlLb0EEEZNS1_14transform_implILb0ES3_S5_NS0_18transform_iteratorINS0_17counting_iteratorImlEEZNS1_24adjacent_difference_implIS3_Lb1ELb0EPlSB_ZN2at6native12_GLOBAL__N_124unique_dim_cuda_templateIsEESt5tupleIJNSC_6TensorESH_SH_EERKSH_lbbbEUlllE1_EE10hipError_tPvRmT2_T3_mT4_P12ihipStream_tbEUlmE_lEESB_NS0_8identityIvEEEESM_SP_SQ_mSR_ST_bEUlT_E_NS1_11comp_targetILNS1_3genE10ELNS1_11target_archE1201ELNS1_3gpuE5ELNS1_3repE0EEENS1_30default_config_static_selectorELNS0_4arch9wavefront6targetE0EEEvT1_,comdat
	.globl	_ZN7rocprim17ROCPRIM_400000_NS6detail17trampoline_kernelINS0_14default_configENS1_25transform_config_selectorIlLb0EEEZNS1_14transform_implILb0ES3_S5_NS0_18transform_iteratorINS0_17counting_iteratorImlEEZNS1_24adjacent_difference_implIS3_Lb1ELb0EPlSB_ZN2at6native12_GLOBAL__N_124unique_dim_cuda_templateIsEESt5tupleIJNSC_6TensorESH_SH_EERKSH_lbbbEUlllE1_EE10hipError_tPvRmT2_T3_mT4_P12ihipStream_tbEUlmE_lEESB_NS0_8identityIvEEEESM_SP_SQ_mSR_ST_bEUlT_E_NS1_11comp_targetILNS1_3genE10ELNS1_11target_archE1201ELNS1_3gpuE5ELNS1_3repE0EEENS1_30default_config_static_selectorELNS0_4arch9wavefront6targetE0EEEvT1_ ; -- Begin function _ZN7rocprim17ROCPRIM_400000_NS6detail17trampoline_kernelINS0_14default_configENS1_25transform_config_selectorIlLb0EEEZNS1_14transform_implILb0ES3_S5_NS0_18transform_iteratorINS0_17counting_iteratorImlEEZNS1_24adjacent_difference_implIS3_Lb1ELb0EPlSB_ZN2at6native12_GLOBAL__N_124unique_dim_cuda_templateIsEESt5tupleIJNSC_6TensorESH_SH_EERKSH_lbbbEUlllE1_EE10hipError_tPvRmT2_T3_mT4_P12ihipStream_tbEUlmE_lEESB_NS0_8identityIvEEEESM_SP_SQ_mSR_ST_bEUlT_E_NS1_11comp_targetILNS1_3genE10ELNS1_11target_archE1201ELNS1_3gpuE5ELNS1_3repE0EEENS1_30default_config_static_selectorELNS0_4arch9wavefront6targetE0EEEvT1_
	.p2align	8
	.type	_ZN7rocprim17ROCPRIM_400000_NS6detail17trampoline_kernelINS0_14default_configENS1_25transform_config_selectorIlLb0EEEZNS1_14transform_implILb0ES3_S5_NS0_18transform_iteratorINS0_17counting_iteratorImlEEZNS1_24adjacent_difference_implIS3_Lb1ELb0EPlSB_ZN2at6native12_GLOBAL__N_124unique_dim_cuda_templateIsEESt5tupleIJNSC_6TensorESH_SH_EERKSH_lbbbEUlllE1_EE10hipError_tPvRmT2_T3_mT4_P12ihipStream_tbEUlmE_lEESB_NS0_8identityIvEEEESM_SP_SQ_mSR_ST_bEUlT_E_NS1_11comp_targetILNS1_3genE10ELNS1_11target_archE1201ELNS1_3gpuE5ELNS1_3repE0EEENS1_30default_config_static_selectorELNS0_4arch9wavefront6targetE0EEEvT1_,@function
_ZN7rocprim17ROCPRIM_400000_NS6detail17trampoline_kernelINS0_14default_configENS1_25transform_config_selectorIlLb0EEEZNS1_14transform_implILb0ES3_S5_NS0_18transform_iteratorINS0_17counting_iteratorImlEEZNS1_24adjacent_difference_implIS3_Lb1ELb0EPlSB_ZN2at6native12_GLOBAL__N_124unique_dim_cuda_templateIsEESt5tupleIJNSC_6TensorESH_SH_EERKSH_lbbbEUlllE1_EE10hipError_tPvRmT2_T3_mT4_P12ihipStream_tbEUlmE_lEESB_NS0_8identityIvEEEESM_SP_SQ_mSR_ST_bEUlT_E_NS1_11comp_targetILNS1_3genE10ELNS1_11target_archE1201ELNS1_3gpuE5ELNS1_3repE0EEENS1_30default_config_static_selectorELNS0_4arch9wavefront6targetE0EEEvT1_: ; @_ZN7rocprim17ROCPRIM_400000_NS6detail17trampoline_kernelINS0_14default_configENS1_25transform_config_selectorIlLb0EEEZNS1_14transform_implILb0ES3_S5_NS0_18transform_iteratorINS0_17counting_iteratorImlEEZNS1_24adjacent_difference_implIS3_Lb1ELb0EPlSB_ZN2at6native12_GLOBAL__N_124unique_dim_cuda_templateIsEESt5tupleIJNSC_6TensorESH_SH_EERKSH_lbbbEUlllE1_EE10hipError_tPvRmT2_T3_mT4_P12ihipStream_tbEUlmE_lEESB_NS0_8identityIvEEEESM_SP_SQ_mSR_ST_bEUlT_E_NS1_11comp_targetILNS1_3genE10ELNS1_11target_archE1201ELNS1_3gpuE5ELNS1_3repE0EEENS1_30default_config_static_selectorELNS0_4arch9wavefront6targetE0EEEvT1_
; %bb.0:
	.section	.rodata,"a",@progbits
	.p2align	6, 0x0
	.amdhsa_kernel _ZN7rocprim17ROCPRIM_400000_NS6detail17trampoline_kernelINS0_14default_configENS1_25transform_config_selectorIlLb0EEEZNS1_14transform_implILb0ES3_S5_NS0_18transform_iteratorINS0_17counting_iteratorImlEEZNS1_24adjacent_difference_implIS3_Lb1ELb0EPlSB_ZN2at6native12_GLOBAL__N_124unique_dim_cuda_templateIsEESt5tupleIJNSC_6TensorESH_SH_EERKSH_lbbbEUlllE1_EE10hipError_tPvRmT2_T3_mT4_P12ihipStream_tbEUlmE_lEESB_NS0_8identityIvEEEESM_SP_SQ_mSR_ST_bEUlT_E_NS1_11comp_targetILNS1_3genE10ELNS1_11target_archE1201ELNS1_3gpuE5ELNS1_3repE0EEENS1_30default_config_static_selectorELNS0_4arch9wavefront6targetE0EEEvT1_
		.amdhsa_group_segment_fixed_size 0
		.amdhsa_private_segment_fixed_size 0
		.amdhsa_kernarg_size 56
		.amdhsa_user_sgpr_count 15
		.amdhsa_user_sgpr_dispatch_ptr 0
		.amdhsa_user_sgpr_queue_ptr 0
		.amdhsa_user_sgpr_kernarg_segment_ptr 1
		.amdhsa_user_sgpr_dispatch_id 0
		.amdhsa_user_sgpr_private_segment_size 0
		.amdhsa_wavefront_size32 1
		.amdhsa_uses_dynamic_stack 0
		.amdhsa_enable_private_segment 0
		.amdhsa_system_sgpr_workgroup_id_x 1
		.amdhsa_system_sgpr_workgroup_id_y 0
		.amdhsa_system_sgpr_workgroup_id_z 0
		.amdhsa_system_sgpr_workgroup_info 0
		.amdhsa_system_vgpr_workitem_id 0
		.amdhsa_next_free_vgpr 1
		.amdhsa_next_free_sgpr 1
		.amdhsa_reserve_vcc 0
		.amdhsa_float_round_mode_32 0
		.amdhsa_float_round_mode_16_64 0
		.amdhsa_float_denorm_mode_32 3
		.amdhsa_float_denorm_mode_16_64 3
		.amdhsa_dx10_clamp 1
		.amdhsa_ieee_mode 1
		.amdhsa_fp16_overflow 0
		.amdhsa_workgroup_processor_mode 1
		.amdhsa_memory_ordered 1
		.amdhsa_forward_progress 0
		.amdhsa_shared_vgpr_count 0
		.amdhsa_exception_fp_ieee_invalid_op 0
		.amdhsa_exception_fp_denorm_src 0
		.amdhsa_exception_fp_ieee_div_zero 0
		.amdhsa_exception_fp_ieee_overflow 0
		.amdhsa_exception_fp_ieee_underflow 0
		.amdhsa_exception_fp_ieee_inexact 0
		.amdhsa_exception_int_div_zero 0
	.end_amdhsa_kernel
	.section	.text._ZN7rocprim17ROCPRIM_400000_NS6detail17trampoline_kernelINS0_14default_configENS1_25transform_config_selectorIlLb0EEEZNS1_14transform_implILb0ES3_S5_NS0_18transform_iteratorINS0_17counting_iteratorImlEEZNS1_24adjacent_difference_implIS3_Lb1ELb0EPlSB_ZN2at6native12_GLOBAL__N_124unique_dim_cuda_templateIsEESt5tupleIJNSC_6TensorESH_SH_EERKSH_lbbbEUlllE1_EE10hipError_tPvRmT2_T3_mT4_P12ihipStream_tbEUlmE_lEESB_NS0_8identityIvEEEESM_SP_SQ_mSR_ST_bEUlT_E_NS1_11comp_targetILNS1_3genE10ELNS1_11target_archE1201ELNS1_3gpuE5ELNS1_3repE0EEENS1_30default_config_static_selectorELNS0_4arch9wavefront6targetE0EEEvT1_,"axG",@progbits,_ZN7rocprim17ROCPRIM_400000_NS6detail17trampoline_kernelINS0_14default_configENS1_25transform_config_selectorIlLb0EEEZNS1_14transform_implILb0ES3_S5_NS0_18transform_iteratorINS0_17counting_iteratorImlEEZNS1_24adjacent_difference_implIS3_Lb1ELb0EPlSB_ZN2at6native12_GLOBAL__N_124unique_dim_cuda_templateIsEESt5tupleIJNSC_6TensorESH_SH_EERKSH_lbbbEUlllE1_EE10hipError_tPvRmT2_T3_mT4_P12ihipStream_tbEUlmE_lEESB_NS0_8identityIvEEEESM_SP_SQ_mSR_ST_bEUlT_E_NS1_11comp_targetILNS1_3genE10ELNS1_11target_archE1201ELNS1_3gpuE5ELNS1_3repE0EEENS1_30default_config_static_selectorELNS0_4arch9wavefront6targetE0EEEvT1_,comdat
.Lfunc_end673:
	.size	_ZN7rocprim17ROCPRIM_400000_NS6detail17trampoline_kernelINS0_14default_configENS1_25transform_config_selectorIlLb0EEEZNS1_14transform_implILb0ES3_S5_NS0_18transform_iteratorINS0_17counting_iteratorImlEEZNS1_24adjacent_difference_implIS3_Lb1ELb0EPlSB_ZN2at6native12_GLOBAL__N_124unique_dim_cuda_templateIsEESt5tupleIJNSC_6TensorESH_SH_EERKSH_lbbbEUlllE1_EE10hipError_tPvRmT2_T3_mT4_P12ihipStream_tbEUlmE_lEESB_NS0_8identityIvEEEESM_SP_SQ_mSR_ST_bEUlT_E_NS1_11comp_targetILNS1_3genE10ELNS1_11target_archE1201ELNS1_3gpuE5ELNS1_3repE0EEENS1_30default_config_static_selectorELNS0_4arch9wavefront6targetE0EEEvT1_, .Lfunc_end673-_ZN7rocprim17ROCPRIM_400000_NS6detail17trampoline_kernelINS0_14default_configENS1_25transform_config_selectorIlLb0EEEZNS1_14transform_implILb0ES3_S5_NS0_18transform_iteratorINS0_17counting_iteratorImlEEZNS1_24adjacent_difference_implIS3_Lb1ELb0EPlSB_ZN2at6native12_GLOBAL__N_124unique_dim_cuda_templateIsEESt5tupleIJNSC_6TensorESH_SH_EERKSH_lbbbEUlllE1_EE10hipError_tPvRmT2_T3_mT4_P12ihipStream_tbEUlmE_lEESB_NS0_8identityIvEEEESM_SP_SQ_mSR_ST_bEUlT_E_NS1_11comp_targetILNS1_3genE10ELNS1_11target_archE1201ELNS1_3gpuE5ELNS1_3repE0EEENS1_30default_config_static_selectorELNS0_4arch9wavefront6targetE0EEEvT1_
                                        ; -- End function
	.section	.AMDGPU.csdata,"",@progbits
; Kernel info:
; codeLenInByte = 0
; NumSgprs: 0
; NumVgprs: 0
; ScratchSize: 0
; MemoryBound: 0
; FloatMode: 240
; IeeeMode: 1
; LDSByteSize: 0 bytes/workgroup (compile time only)
; SGPRBlocks: 0
; VGPRBlocks: 0
; NumSGPRsForWavesPerEU: 1
; NumVGPRsForWavesPerEU: 1
; Occupancy: 16
; WaveLimiterHint : 0
; COMPUTE_PGM_RSRC2:SCRATCH_EN: 0
; COMPUTE_PGM_RSRC2:USER_SGPR: 15
; COMPUTE_PGM_RSRC2:TRAP_HANDLER: 0
; COMPUTE_PGM_RSRC2:TGID_X_EN: 1
; COMPUTE_PGM_RSRC2:TGID_Y_EN: 0
; COMPUTE_PGM_RSRC2:TGID_Z_EN: 0
; COMPUTE_PGM_RSRC2:TIDIG_COMP_CNT: 0
	.section	.text._ZN7rocprim17ROCPRIM_400000_NS6detail17trampoline_kernelINS0_14default_configENS1_25transform_config_selectorIlLb0EEEZNS1_14transform_implILb0ES3_S5_NS0_18transform_iteratorINS0_17counting_iteratorImlEEZNS1_24adjacent_difference_implIS3_Lb1ELb0EPlSB_ZN2at6native12_GLOBAL__N_124unique_dim_cuda_templateIsEESt5tupleIJNSC_6TensorESH_SH_EERKSH_lbbbEUlllE1_EE10hipError_tPvRmT2_T3_mT4_P12ihipStream_tbEUlmE_lEESB_NS0_8identityIvEEEESM_SP_SQ_mSR_ST_bEUlT_E_NS1_11comp_targetILNS1_3genE10ELNS1_11target_archE1200ELNS1_3gpuE4ELNS1_3repE0EEENS1_30default_config_static_selectorELNS0_4arch9wavefront6targetE0EEEvT1_,"axG",@progbits,_ZN7rocprim17ROCPRIM_400000_NS6detail17trampoline_kernelINS0_14default_configENS1_25transform_config_selectorIlLb0EEEZNS1_14transform_implILb0ES3_S5_NS0_18transform_iteratorINS0_17counting_iteratorImlEEZNS1_24adjacent_difference_implIS3_Lb1ELb0EPlSB_ZN2at6native12_GLOBAL__N_124unique_dim_cuda_templateIsEESt5tupleIJNSC_6TensorESH_SH_EERKSH_lbbbEUlllE1_EE10hipError_tPvRmT2_T3_mT4_P12ihipStream_tbEUlmE_lEESB_NS0_8identityIvEEEESM_SP_SQ_mSR_ST_bEUlT_E_NS1_11comp_targetILNS1_3genE10ELNS1_11target_archE1200ELNS1_3gpuE4ELNS1_3repE0EEENS1_30default_config_static_selectorELNS0_4arch9wavefront6targetE0EEEvT1_,comdat
	.globl	_ZN7rocprim17ROCPRIM_400000_NS6detail17trampoline_kernelINS0_14default_configENS1_25transform_config_selectorIlLb0EEEZNS1_14transform_implILb0ES3_S5_NS0_18transform_iteratorINS0_17counting_iteratorImlEEZNS1_24adjacent_difference_implIS3_Lb1ELb0EPlSB_ZN2at6native12_GLOBAL__N_124unique_dim_cuda_templateIsEESt5tupleIJNSC_6TensorESH_SH_EERKSH_lbbbEUlllE1_EE10hipError_tPvRmT2_T3_mT4_P12ihipStream_tbEUlmE_lEESB_NS0_8identityIvEEEESM_SP_SQ_mSR_ST_bEUlT_E_NS1_11comp_targetILNS1_3genE10ELNS1_11target_archE1200ELNS1_3gpuE4ELNS1_3repE0EEENS1_30default_config_static_selectorELNS0_4arch9wavefront6targetE0EEEvT1_ ; -- Begin function _ZN7rocprim17ROCPRIM_400000_NS6detail17trampoline_kernelINS0_14default_configENS1_25transform_config_selectorIlLb0EEEZNS1_14transform_implILb0ES3_S5_NS0_18transform_iteratorINS0_17counting_iteratorImlEEZNS1_24adjacent_difference_implIS3_Lb1ELb0EPlSB_ZN2at6native12_GLOBAL__N_124unique_dim_cuda_templateIsEESt5tupleIJNSC_6TensorESH_SH_EERKSH_lbbbEUlllE1_EE10hipError_tPvRmT2_T3_mT4_P12ihipStream_tbEUlmE_lEESB_NS0_8identityIvEEEESM_SP_SQ_mSR_ST_bEUlT_E_NS1_11comp_targetILNS1_3genE10ELNS1_11target_archE1200ELNS1_3gpuE4ELNS1_3repE0EEENS1_30default_config_static_selectorELNS0_4arch9wavefront6targetE0EEEvT1_
	.p2align	8
	.type	_ZN7rocprim17ROCPRIM_400000_NS6detail17trampoline_kernelINS0_14default_configENS1_25transform_config_selectorIlLb0EEEZNS1_14transform_implILb0ES3_S5_NS0_18transform_iteratorINS0_17counting_iteratorImlEEZNS1_24adjacent_difference_implIS3_Lb1ELb0EPlSB_ZN2at6native12_GLOBAL__N_124unique_dim_cuda_templateIsEESt5tupleIJNSC_6TensorESH_SH_EERKSH_lbbbEUlllE1_EE10hipError_tPvRmT2_T3_mT4_P12ihipStream_tbEUlmE_lEESB_NS0_8identityIvEEEESM_SP_SQ_mSR_ST_bEUlT_E_NS1_11comp_targetILNS1_3genE10ELNS1_11target_archE1200ELNS1_3gpuE4ELNS1_3repE0EEENS1_30default_config_static_selectorELNS0_4arch9wavefront6targetE0EEEvT1_,@function
_ZN7rocprim17ROCPRIM_400000_NS6detail17trampoline_kernelINS0_14default_configENS1_25transform_config_selectorIlLb0EEEZNS1_14transform_implILb0ES3_S5_NS0_18transform_iteratorINS0_17counting_iteratorImlEEZNS1_24adjacent_difference_implIS3_Lb1ELb0EPlSB_ZN2at6native12_GLOBAL__N_124unique_dim_cuda_templateIsEESt5tupleIJNSC_6TensorESH_SH_EERKSH_lbbbEUlllE1_EE10hipError_tPvRmT2_T3_mT4_P12ihipStream_tbEUlmE_lEESB_NS0_8identityIvEEEESM_SP_SQ_mSR_ST_bEUlT_E_NS1_11comp_targetILNS1_3genE10ELNS1_11target_archE1200ELNS1_3gpuE4ELNS1_3repE0EEENS1_30default_config_static_selectorELNS0_4arch9wavefront6targetE0EEEvT1_: ; @_ZN7rocprim17ROCPRIM_400000_NS6detail17trampoline_kernelINS0_14default_configENS1_25transform_config_selectorIlLb0EEEZNS1_14transform_implILb0ES3_S5_NS0_18transform_iteratorINS0_17counting_iteratorImlEEZNS1_24adjacent_difference_implIS3_Lb1ELb0EPlSB_ZN2at6native12_GLOBAL__N_124unique_dim_cuda_templateIsEESt5tupleIJNSC_6TensorESH_SH_EERKSH_lbbbEUlllE1_EE10hipError_tPvRmT2_T3_mT4_P12ihipStream_tbEUlmE_lEESB_NS0_8identityIvEEEESM_SP_SQ_mSR_ST_bEUlT_E_NS1_11comp_targetILNS1_3genE10ELNS1_11target_archE1200ELNS1_3gpuE4ELNS1_3repE0EEENS1_30default_config_static_selectorELNS0_4arch9wavefront6targetE0EEEvT1_
; %bb.0:
	.section	.rodata,"a",@progbits
	.p2align	6, 0x0
	.amdhsa_kernel _ZN7rocprim17ROCPRIM_400000_NS6detail17trampoline_kernelINS0_14default_configENS1_25transform_config_selectorIlLb0EEEZNS1_14transform_implILb0ES3_S5_NS0_18transform_iteratorINS0_17counting_iteratorImlEEZNS1_24adjacent_difference_implIS3_Lb1ELb0EPlSB_ZN2at6native12_GLOBAL__N_124unique_dim_cuda_templateIsEESt5tupleIJNSC_6TensorESH_SH_EERKSH_lbbbEUlllE1_EE10hipError_tPvRmT2_T3_mT4_P12ihipStream_tbEUlmE_lEESB_NS0_8identityIvEEEESM_SP_SQ_mSR_ST_bEUlT_E_NS1_11comp_targetILNS1_3genE10ELNS1_11target_archE1200ELNS1_3gpuE4ELNS1_3repE0EEENS1_30default_config_static_selectorELNS0_4arch9wavefront6targetE0EEEvT1_
		.amdhsa_group_segment_fixed_size 0
		.amdhsa_private_segment_fixed_size 0
		.amdhsa_kernarg_size 56
		.amdhsa_user_sgpr_count 15
		.amdhsa_user_sgpr_dispatch_ptr 0
		.amdhsa_user_sgpr_queue_ptr 0
		.amdhsa_user_sgpr_kernarg_segment_ptr 1
		.amdhsa_user_sgpr_dispatch_id 0
		.amdhsa_user_sgpr_private_segment_size 0
		.amdhsa_wavefront_size32 1
		.amdhsa_uses_dynamic_stack 0
		.amdhsa_enable_private_segment 0
		.amdhsa_system_sgpr_workgroup_id_x 1
		.amdhsa_system_sgpr_workgroup_id_y 0
		.amdhsa_system_sgpr_workgroup_id_z 0
		.amdhsa_system_sgpr_workgroup_info 0
		.amdhsa_system_vgpr_workitem_id 0
		.amdhsa_next_free_vgpr 1
		.amdhsa_next_free_sgpr 1
		.amdhsa_reserve_vcc 0
		.amdhsa_float_round_mode_32 0
		.amdhsa_float_round_mode_16_64 0
		.amdhsa_float_denorm_mode_32 3
		.amdhsa_float_denorm_mode_16_64 3
		.amdhsa_dx10_clamp 1
		.amdhsa_ieee_mode 1
		.amdhsa_fp16_overflow 0
		.amdhsa_workgroup_processor_mode 1
		.amdhsa_memory_ordered 1
		.amdhsa_forward_progress 0
		.amdhsa_shared_vgpr_count 0
		.amdhsa_exception_fp_ieee_invalid_op 0
		.amdhsa_exception_fp_denorm_src 0
		.amdhsa_exception_fp_ieee_div_zero 0
		.amdhsa_exception_fp_ieee_overflow 0
		.amdhsa_exception_fp_ieee_underflow 0
		.amdhsa_exception_fp_ieee_inexact 0
		.amdhsa_exception_int_div_zero 0
	.end_amdhsa_kernel
	.section	.text._ZN7rocprim17ROCPRIM_400000_NS6detail17trampoline_kernelINS0_14default_configENS1_25transform_config_selectorIlLb0EEEZNS1_14transform_implILb0ES3_S5_NS0_18transform_iteratorINS0_17counting_iteratorImlEEZNS1_24adjacent_difference_implIS3_Lb1ELb0EPlSB_ZN2at6native12_GLOBAL__N_124unique_dim_cuda_templateIsEESt5tupleIJNSC_6TensorESH_SH_EERKSH_lbbbEUlllE1_EE10hipError_tPvRmT2_T3_mT4_P12ihipStream_tbEUlmE_lEESB_NS0_8identityIvEEEESM_SP_SQ_mSR_ST_bEUlT_E_NS1_11comp_targetILNS1_3genE10ELNS1_11target_archE1200ELNS1_3gpuE4ELNS1_3repE0EEENS1_30default_config_static_selectorELNS0_4arch9wavefront6targetE0EEEvT1_,"axG",@progbits,_ZN7rocprim17ROCPRIM_400000_NS6detail17trampoline_kernelINS0_14default_configENS1_25transform_config_selectorIlLb0EEEZNS1_14transform_implILb0ES3_S5_NS0_18transform_iteratorINS0_17counting_iteratorImlEEZNS1_24adjacent_difference_implIS3_Lb1ELb0EPlSB_ZN2at6native12_GLOBAL__N_124unique_dim_cuda_templateIsEESt5tupleIJNSC_6TensorESH_SH_EERKSH_lbbbEUlllE1_EE10hipError_tPvRmT2_T3_mT4_P12ihipStream_tbEUlmE_lEESB_NS0_8identityIvEEEESM_SP_SQ_mSR_ST_bEUlT_E_NS1_11comp_targetILNS1_3genE10ELNS1_11target_archE1200ELNS1_3gpuE4ELNS1_3repE0EEENS1_30default_config_static_selectorELNS0_4arch9wavefront6targetE0EEEvT1_,comdat
.Lfunc_end674:
	.size	_ZN7rocprim17ROCPRIM_400000_NS6detail17trampoline_kernelINS0_14default_configENS1_25transform_config_selectorIlLb0EEEZNS1_14transform_implILb0ES3_S5_NS0_18transform_iteratorINS0_17counting_iteratorImlEEZNS1_24adjacent_difference_implIS3_Lb1ELb0EPlSB_ZN2at6native12_GLOBAL__N_124unique_dim_cuda_templateIsEESt5tupleIJNSC_6TensorESH_SH_EERKSH_lbbbEUlllE1_EE10hipError_tPvRmT2_T3_mT4_P12ihipStream_tbEUlmE_lEESB_NS0_8identityIvEEEESM_SP_SQ_mSR_ST_bEUlT_E_NS1_11comp_targetILNS1_3genE10ELNS1_11target_archE1200ELNS1_3gpuE4ELNS1_3repE0EEENS1_30default_config_static_selectorELNS0_4arch9wavefront6targetE0EEEvT1_, .Lfunc_end674-_ZN7rocprim17ROCPRIM_400000_NS6detail17trampoline_kernelINS0_14default_configENS1_25transform_config_selectorIlLb0EEEZNS1_14transform_implILb0ES3_S5_NS0_18transform_iteratorINS0_17counting_iteratorImlEEZNS1_24adjacent_difference_implIS3_Lb1ELb0EPlSB_ZN2at6native12_GLOBAL__N_124unique_dim_cuda_templateIsEESt5tupleIJNSC_6TensorESH_SH_EERKSH_lbbbEUlllE1_EE10hipError_tPvRmT2_T3_mT4_P12ihipStream_tbEUlmE_lEESB_NS0_8identityIvEEEESM_SP_SQ_mSR_ST_bEUlT_E_NS1_11comp_targetILNS1_3genE10ELNS1_11target_archE1200ELNS1_3gpuE4ELNS1_3repE0EEENS1_30default_config_static_selectorELNS0_4arch9wavefront6targetE0EEEvT1_
                                        ; -- End function
	.section	.AMDGPU.csdata,"",@progbits
; Kernel info:
; codeLenInByte = 0
; NumSgprs: 0
; NumVgprs: 0
; ScratchSize: 0
; MemoryBound: 0
; FloatMode: 240
; IeeeMode: 1
; LDSByteSize: 0 bytes/workgroup (compile time only)
; SGPRBlocks: 0
; VGPRBlocks: 0
; NumSGPRsForWavesPerEU: 1
; NumVGPRsForWavesPerEU: 1
; Occupancy: 16
; WaveLimiterHint : 0
; COMPUTE_PGM_RSRC2:SCRATCH_EN: 0
; COMPUTE_PGM_RSRC2:USER_SGPR: 15
; COMPUTE_PGM_RSRC2:TRAP_HANDLER: 0
; COMPUTE_PGM_RSRC2:TGID_X_EN: 1
; COMPUTE_PGM_RSRC2:TGID_Y_EN: 0
; COMPUTE_PGM_RSRC2:TGID_Z_EN: 0
; COMPUTE_PGM_RSRC2:TIDIG_COMP_CNT: 0
	.section	.text._ZN7rocprim17ROCPRIM_400000_NS6detail17trampoline_kernelINS0_14default_configENS1_25transform_config_selectorIlLb0EEEZNS1_14transform_implILb0ES3_S5_NS0_18transform_iteratorINS0_17counting_iteratorImlEEZNS1_24adjacent_difference_implIS3_Lb1ELb0EPlSB_ZN2at6native12_GLOBAL__N_124unique_dim_cuda_templateIsEESt5tupleIJNSC_6TensorESH_SH_EERKSH_lbbbEUlllE1_EE10hipError_tPvRmT2_T3_mT4_P12ihipStream_tbEUlmE_lEESB_NS0_8identityIvEEEESM_SP_SQ_mSR_ST_bEUlT_E_NS1_11comp_targetILNS1_3genE9ELNS1_11target_archE1100ELNS1_3gpuE3ELNS1_3repE0EEENS1_30default_config_static_selectorELNS0_4arch9wavefront6targetE0EEEvT1_,"axG",@progbits,_ZN7rocprim17ROCPRIM_400000_NS6detail17trampoline_kernelINS0_14default_configENS1_25transform_config_selectorIlLb0EEEZNS1_14transform_implILb0ES3_S5_NS0_18transform_iteratorINS0_17counting_iteratorImlEEZNS1_24adjacent_difference_implIS3_Lb1ELb0EPlSB_ZN2at6native12_GLOBAL__N_124unique_dim_cuda_templateIsEESt5tupleIJNSC_6TensorESH_SH_EERKSH_lbbbEUlllE1_EE10hipError_tPvRmT2_T3_mT4_P12ihipStream_tbEUlmE_lEESB_NS0_8identityIvEEEESM_SP_SQ_mSR_ST_bEUlT_E_NS1_11comp_targetILNS1_3genE9ELNS1_11target_archE1100ELNS1_3gpuE3ELNS1_3repE0EEENS1_30default_config_static_selectorELNS0_4arch9wavefront6targetE0EEEvT1_,comdat
	.globl	_ZN7rocprim17ROCPRIM_400000_NS6detail17trampoline_kernelINS0_14default_configENS1_25transform_config_selectorIlLb0EEEZNS1_14transform_implILb0ES3_S5_NS0_18transform_iteratorINS0_17counting_iteratorImlEEZNS1_24adjacent_difference_implIS3_Lb1ELb0EPlSB_ZN2at6native12_GLOBAL__N_124unique_dim_cuda_templateIsEESt5tupleIJNSC_6TensorESH_SH_EERKSH_lbbbEUlllE1_EE10hipError_tPvRmT2_T3_mT4_P12ihipStream_tbEUlmE_lEESB_NS0_8identityIvEEEESM_SP_SQ_mSR_ST_bEUlT_E_NS1_11comp_targetILNS1_3genE9ELNS1_11target_archE1100ELNS1_3gpuE3ELNS1_3repE0EEENS1_30default_config_static_selectorELNS0_4arch9wavefront6targetE0EEEvT1_ ; -- Begin function _ZN7rocprim17ROCPRIM_400000_NS6detail17trampoline_kernelINS0_14default_configENS1_25transform_config_selectorIlLb0EEEZNS1_14transform_implILb0ES3_S5_NS0_18transform_iteratorINS0_17counting_iteratorImlEEZNS1_24adjacent_difference_implIS3_Lb1ELb0EPlSB_ZN2at6native12_GLOBAL__N_124unique_dim_cuda_templateIsEESt5tupleIJNSC_6TensorESH_SH_EERKSH_lbbbEUlllE1_EE10hipError_tPvRmT2_T3_mT4_P12ihipStream_tbEUlmE_lEESB_NS0_8identityIvEEEESM_SP_SQ_mSR_ST_bEUlT_E_NS1_11comp_targetILNS1_3genE9ELNS1_11target_archE1100ELNS1_3gpuE3ELNS1_3repE0EEENS1_30default_config_static_selectorELNS0_4arch9wavefront6targetE0EEEvT1_
	.p2align	8
	.type	_ZN7rocprim17ROCPRIM_400000_NS6detail17trampoline_kernelINS0_14default_configENS1_25transform_config_selectorIlLb0EEEZNS1_14transform_implILb0ES3_S5_NS0_18transform_iteratorINS0_17counting_iteratorImlEEZNS1_24adjacent_difference_implIS3_Lb1ELb0EPlSB_ZN2at6native12_GLOBAL__N_124unique_dim_cuda_templateIsEESt5tupleIJNSC_6TensorESH_SH_EERKSH_lbbbEUlllE1_EE10hipError_tPvRmT2_T3_mT4_P12ihipStream_tbEUlmE_lEESB_NS0_8identityIvEEEESM_SP_SQ_mSR_ST_bEUlT_E_NS1_11comp_targetILNS1_3genE9ELNS1_11target_archE1100ELNS1_3gpuE3ELNS1_3repE0EEENS1_30default_config_static_selectorELNS0_4arch9wavefront6targetE0EEEvT1_,@function
_ZN7rocprim17ROCPRIM_400000_NS6detail17trampoline_kernelINS0_14default_configENS1_25transform_config_selectorIlLb0EEEZNS1_14transform_implILb0ES3_S5_NS0_18transform_iteratorINS0_17counting_iteratorImlEEZNS1_24adjacent_difference_implIS3_Lb1ELb0EPlSB_ZN2at6native12_GLOBAL__N_124unique_dim_cuda_templateIsEESt5tupleIJNSC_6TensorESH_SH_EERKSH_lbbbEUlllE1_EE10hipError_tPvRmT2_T3_mT4_P12ihipStream_tbEUlmE_lEESB_NS0_8identityIvEEEESM_SP_SQ_mSR_ST_bEUlT_E_NS1_11comp_targetILNS1_3genE9ELNS1_11target_archE1100ELNS1_3gpuE3ELNS1_3repE0EEENS1_30default_config_static_selectorELNS0_4arch9wavefront6targetE0EEEvT1_: ; @_ZN7rocprim17ROCPRIM_400000_NS6detail17trampoline_kernelINS0_14default_configENS1_25transform_config_selectorIlLb0EEEZNS1_14transform_implILb0ES3_S5_NS0_18transform_iteratorINS0_17counting_iteratorImlEEZNS1_24adjacent_difference_implIS3_Lb1ELb0EPlSB_ZN2at6native12_GLOBAL__N_124unique_dim_cuda_templateIsEESt5tupleIJNSC_6TensorESH_SH_EERKSH_lbbbEUlllE1_EE10hipError_tPvRmT2_T3_mT4_P12ihipStream_tbEUlmE_lEESB_NS0_8identityIvEEEESM_SP_SQ_mSR_ST_bEUlT_E_NS1_11comp_targetILNS1_3genE9ELNS1_11target_archE1100ELNS1_3gpuE3ELNS1_3repE0EEENS1_30default_config_static_selectorELNS0_4arch9wavefront6targetE0EEEvT1_
; %bb.0:
	s_clause 0x4
	s_load_b128 s[4:7], s[0:1], 0x0
	s_load_b64 s[2:3], s[0:1], 0x18
	s_load_b64 s[12:13], s[0:1], 0x28
	s_load_b32 s11, s[0:1], 0x38
	s_load_b32 s8, s[0:1], 0x10
	s_waitcnt lgkmcnt(0)
	s_add_u32 s9, s2, s4
	s_addc_u32 s10, s3, s5
	s_lshl_b64 s[2:3], s[2:3], 3
	s_delay_alu instid0(SALU_CYCLE_1)
	s_add_u32 s4, s12, s2
	s_addc_u32 s5, s13, s3
	s_add_i32 s11, s11, -1
	s_lshl_b32 s2, s15, 9
	s_mov_b32 s3, 0
	s_cmp_lg_u32 s15, s11
	s_mov_b32 s11, -1
	s_cbranch_scc0 .LBB675_2
; %bb.1:
	s_add_u32 s11, s9, s2
	s_addc_u32 s12, s10, 0
	v_add_co_u32 v3, s11, s11, v0
	s_delay_alu instid0(VALU_DEP_1) | instskip(SKIP_1) | instid1(VALU_DEP_2)
	v_add_co_ci_u32_e64 v5, null, s12, 0, s11
	s_lshl_b64 s[12:13], s[2:3], 3
	v_mad_u64_u32 v[1:2], null, v3, s8, 0
	s_add_u32 s12, s4, s12
	s_addc_u32 s13, s5, s13
	s_mov_b32 s11, s3
	s_delay_alu instid0(VALU_DEP_1) | instskip(NEXT) | instid1(VALU_DEP_1)
	v_mad_u64_u32 v[3:4], null, v5, s8, v[2:3]
	v_dual_mov_b32 v2, v3 :: v_dual_lshlrev_b32 v3, 3, v0
	s_delay_alu instid0(VALU_DEP_1) | instskip(NEXT) | instid1(VALU_DEP_1)
	v_lshlrev_b64 v[1:2], 3, v[1:2]
	v_add_co_u32 v1, vcc_lo, s6, v1
	s_delay_alu instid0(VALU_DEP_2)
	v_add_co_ci_u32_e32 v2, vcc_lo, s7, v2, vcc_lo
	global_load_b64 v[1:2], v[1:2], off
	s_waitcnt vmcnt(0)
	global_store_b64 v3, v[1:2], s[12:13]
.LBB675_2:
	s_and_not1_b32 vcc_lo, exec_lo, s11
	s_cbranch_vccnz .LBB675_7
; %bb.3:
	s_load_b32 s0, s[0:1], 0x20
                                        ; implicit-def: $vgpr1_vgpr2
	s_waitcnt lgkmcnt(0)
	s_sub_i32 s0, s0, s2
	s_delay_alu instid0(SALU_CYCLE_1)
	v_cmp_gt_u32_e32 vcc_lo, s0, v0
	s_and_saveexec_b32 s1, vcc_lo
	s_cbranch_execz .LBB675_5
; %bb.4:
	s_add_u32 s0, s9, s2
	s_addc_u32 s9, s10, 0
	v_add_co_u32 v3, s0, s0, v0
	s_delay_alu instid0(VALU_DEP_1) | instskip(NEXT) | instid1(VALU_DEP_2)
	v_add_co_ci_u32_e64 v5, null, s9, 0, s0
	v_mad_u64_u32 v[1:2], null, v3, s8, 0
	s_delay_alu instid0(VALU_DEP_1) | instskip(NEXT) | instid1(VALU_DEP_1)
	v_mad_u64_u32 v[3:4], null, v5, s8, v[2:3]
	v_mov_b32_e32 v2, v3
	s_delay_alu instid0(VALU_DEP_1) | instskip(NEXT) | instid1(VALU_DEP_1)
	v_lshlrev_b64 v[1:2], 3, v[1:2]
	v_add_co_u32 v1, s0, s6, v1
	s_delay_alu instid0(VALU_DEP_1)
	v_add_co_ci_u32_e64 v2, s0, s7, v2, s0
	global_load_b64 v[1:2], v[1:2], off
.LBB675_5:
	s_or_b32 exec_lo, exec_lo, s1
	s_and_saveexec_b32 s0, vcc_lo
	s_cbranch_execz .LBB675_7
; %bb.6:
	s_lshl_b64 s[0:1], s[2:3], 3
	v_lshlrev_b32_e32 v0, 3, v0
	s_add_u32 s0, s4, s0
	s_addc_u32 s1, s5, s1
	s_waitcnt vmcnt(0)
	global_store_b64 v0, v[1:2], s[0:1]
.LBB675_7:
	s_nop 0
	s_sendmsg sendmsg(MSG_DEALLOC_VGPRS)
	s_endpgm
	.section	.rodata,"a",@progbits
	.p2align	6, 0x0
	.amdhsa_kernel _ZN7rocprim17ROCPRIM_400000_NS6detail17trampoline_kernelINS0_14default_configENS1_25transform_config_selectorIlLb0EEEZNS1_14transform_implILb0ES3_S5_NS0_18transform_iteratorINS0_17counting_iteratorImlEEZNS1_24adjacent_difference_implIS3_Lb1ELb0EPlSB_ZN2at6native12_GLOBAL__N_124unique_dim_cuda_templateIsEESt5tupleIJNSC_6TensorESH_SH_EERKSH_lbbbEUlllE1_EE10hipError_tPvRmT2_T3_mT4_P12ihipStream_tbEUlmE_lEESB_NS0_8identityIvEEEESM_SP_SQ_mSR_ST_bEUlT_E_NS1_11comp_targetILNS1_3genE9ELNS1_11target_archE1100ELNS1_3gpuE3ELNS1_3repE0EEENS1_30default_config_static_selectorELNS0_4arch9wavefront6targetE0EEEvT1_
		.amdhsa_group_segment_fixed_size 0
		.amdhsa_private_segment_fixed_size 0
		.amdhsa_kernarg_size 312
		.amdhsa_user_sgpr_count 15
		.amdhsa_user_sgpr_dispatch_ptr 0
		.amdhsa_user_sgpr_queue_ptr 0
		.amdhsa_user_sgpr_kernarg_segment_ptr 1
		.amdhsa_user_sgpr_dispatch_id 0
		.amdhsa_user_sgpr_private_segment_size 0
		.amdhsa_wavefront_size32 1
		.amdhsa_uses_dynamic_stack 0
		.amdhsa_enable_private_segment 0
		.amdhsa_system_sgpr_workgroup_id_x 1
		.amdhsa_system_sgpr_workgroup_id_y 0
		.amdhsa_system_sgpr_workgroup_id_z 0
		.amdhsa_system_sgpr_workgroup_info 0
		.amdhsa_system_vgpr_workitem_id 0
		.amdhsa_next_free_vgpr 6
		.amdhsa_next_free_sgpr 16
		.amdhsa_reserve_vcc 1
		.amdhsa_float_round_mode_32 0
		.amdhsa_float_round_mode_16_64 0
		.amdhsa_float_denorm_mode_32 3
		.amdhsa_float_denorm_mode_16_64 3
		.amdhsa_dx10_clamp 1
		.amdhsa_ieee_mode 1
		.amdhsa_fp16_overflow 0
		.amdhsa_workgroup_processor_mode 1
		.amdhsa_memory_ordered 1
		.amdhsa_forward_progress 0
		.amdhsa_shared_vgpr_count 0
		.amdhsa_exception_fp_ieee_invalid_op 0
		.amdhsa_exception_fp_denorm_src 0
		.amdhsa_exception_fp_ieee_div_zero 0
		.amdhsa_exception_fp_ieee_overflow 0
		.amdhsa_exception_fp_ieee_underflow 0
		.amdhsa_exception_fp_ieee_inexact 0
		.amdhsa_exception_int_div_zero 0
	.end_amdhsa_kernel
	.section	.text._ZN7rocprim17ROCPRIM_400000_NS6detail17trampoline_kernelINS0_14default_configENS1_25transform_config_selectorIlLb0EEEZNS1_14transform_implILb0ES3_S5_NS0_18transform_iteratorINS0_17counting_iteratorImlEEZNS1_24adjacent_difference_implIS3_Lb1ELb0EPlSB_ZN2at6native12_GLOBAL__N_124unique_dim_cuda_templateIsEESt5tupleIJNSC_6TensorESH_SH_EERKSH_lbbbEUlllE1_EE10hipError_tPvRmT2_T3_mT4_P12ihipStream_tbEUlmE_lEESB_NS0_8identityIvEEEESM_SP_SQ_mSR_ST_bEUlT_E_NS1_11comp_targetILNS1_3genE9ELNS1_11target_archE1100ELNS1_3gpuE3ELNS1_3repE0EEENS1_30default_config_static_selectorELNS0_4arch9wavefront6targetE0EEEvT1_,"axG",@progbits,_ZN7rocprim17ROCPRIM_400000_NS6detail17trampoline_kernelINS0_14default_configENS1_25transform_config_selectorIlLb0EEEZNS1_14transform_implILb0ES3_S5_NS0_18transform_iteratorINS0_17counting_iteratorImlEEZNS1_24adjacent_difference_implIS3_Lb1ELb0EPlSB_ZN2at6native12_GLOBAL__N_124unique_dim_cuda_templateIsEESt5tupleIJNSC_6TensorESH_SH_EERKSH_lbbbEUlllE1_EE10hipError_tPvRmT2_T3_mT4_P12ihipStream_tbEUlmE_lEESB_NS0_8identityIvEEEESM_SP_SQ_mSR_ST_bEUlT_E_NS1_11comp_targetILNS1_3genE9ELNS1_11target_archE1100ELNS1_3gpuE3ELNS1_3repE0EEENS1_30default_config_static_selectorELNS0_4arch9wavefront6targetE0EEEvT1_,comdat
.Lfunc_end675:
	.size	_ZN7rocprim17ROCPRIM_400000_NS6detail17trampoline_kernelINS0_14default_configENS1_25transform_config_selectorIlLb0EEEZNS1_14transform_implILb0ES3_S5_NS0_18transform_iteratorINS0_17counting_iteratorImlEEZNS1_24adjacent_difference_implIS3_Lb1ELb0EPlSB_ZN2at6native12_GLOBAL__N_124unique_dim_cuda_templateIsEESt5tupleIJNSC_6TensorESH_SH_EERKSH_lbbbEUlllE1_EE10hipError_tPvRmT2_T3_mT4_P12ihipStream_tbEUlmE_lEESB_NS0_8identityIvEEEESM_SP_SQ_mSR_ST_bEUlT_E_NS1_11comp_targetILNS1_3genE9ELNS1_11target_archE1100ELNS1_3gpuE3ELNS1_3repE0EEENS1_30default_config_static_selectorELNS0_4arch9wavefront6targetE0EEEvT1_, .Lfunc_end675-_ZN7rocprim17ROCPRIM_400000_NS6detail17trampoline_kernelINS0_14default_configENS1_25transform_config_selectorIlLb0EEEZNS1_14transform_implILb0ES3_S5_NS0_18transform_iteratorINS0_17counting_iteratorImlEEZNS1_24adjacent_difference_implIS3_Lb1ELb0EPlSB_ZN2at6native12_GLOBAL__N_124unique_dim_cuda_templateIsEESt5tupleIJNSC_6TensorESH_SH_EERKSH_lbbbEUlllE1_EE10hipError_tPvRmT2_T3_mT4_P12ihipStream_tbEUlmE_lEESB_NS0_8identityIvEEEESM_SP_SQ_mSR_ST_bEUlT_E_NS1_11comp_targetILNS1_3genE9ELNS1_11target_archE1100ELNS1_3gpuE3ELNS1_3repE0EEENS1_30default_config_static_selectorELNS0_4arch9wavefront6targetE0EEEvT1_
                                        ; -- End function
	.section	.AMDGPU.csdata,"",@progbits
; Kernel info:
; codeLenInByte = 400
; NumSgprs: 18
; NumVgprs: 6
; ScratchSize: 0
; MemoryBound: 0
; FloatMode: 240
; IeeeMode: 1
; LDSByteSize: 0 bytes/workgroup (compile time only)
; SGPRBlocks: 2
; VGPRBlocks: 0
; NumSGPRsForWavesPerEU: 18
; NumVGPRsForWavesPerEU: 6
; Occupancy: 16
; WaveLimiterHint : 0
; COMPUTE_PGM_RSRC2:SCRATCH_EN: 0
; COMPUTE_PGM_RSRC2:USER_SGPR: 15
; COMPUTE_PGM_RSRC2:TRAP_HANDLER: 0
; COMPUTE_PGM_RSRC2:TGID_X_EN: 1
; COMPUTE_PGM_RSRC2:TGID_Y_EN: 0
; COMPUTE_PGM_RSRC2:TGID_Z_EN: 0
; COMPUTE_PGM_RSRC2:TIDIG_COMP_CNT: 0
	.section	.text._ZN7rocprim17ROCPRIM_400000_NS6detail17trampoline_kernelINS0_14default_configENS1_25transform_config_selectorIlLb0EEEZNS1_14transform_implILb0ES3_S5_NS0_18transform_iteratorINS0_17counting_iteratorImlEEZNS1_24adjacent_difference_implIS3_Lb1ELb0EPlSB_ZN2at6native12_GLOBAL__N_124unique_dim_cuda_templateIsEESt5tupleIJNSC_6TensorESH_SH_EERKSH_lbbbEUlllE1_EE10hipError_tPvRmT2_T3_mT4_P12ihipStream_tbEUlmE_lEESB_NS0_8identityIvEEEESM_SP_SQ_mSR_ST_bEUlT_E_NS1_11comp_targetILNS1_3genE8ELNS1_11target_archE1030ELNS1_3gpuE2ELNS1_3repE0EEENS1_30default_config_static_selectorELNS0_4arch9wavefront6targetE0EEEvT1_,"axG",@progbits,_ZN7rocprim17ROCPRIM_400000_NS6detail17trampoline_kernelINS0_14default_configENS1_25transform_config_selectorIlLb0EEEZNS1_14transform_implILb0ES3_S5_NS0_18transform_iteratorINS0_17counting_iteratorImlEEZNS1_24adjacent_difference_implIS3_Lb1ELb0EPlSB_ZN2at6native12_GLOBAL__N_124unique_dim_cuda_templateIsEESt5tupleIJNSC_6TensorESH_SH_EERKSH_lbbbEUlllE1_EE10hipError_tPvRmT2_T3_mT4_P12ihipStream_tbEUlmE_lEESB_NS0_8identityIvEEEESM_SP_SQ_mSR_ST_bEUlT_E_NS1_11comp_targetILNS1_3genE8ELNS1_11target_archE1030ELNS1_3gpuE2ELNS1_3repE0EEENS1_30default_config_static_selectorELNS0_4arch9wavefront6targetE0EEEvT1_,comdat
	.globl	_ZN7rocprim17ROCPRIM_400000_NS6detail17trampoline_kernelINS0_14default_configENS1_25transform_config_selectorIlLb0EEEZNS1_14transform_implILb0ES3_S5_NS0_18transform_iteratorINS0_17counting_iteratorImlEEZNS1_24adjacent_difference_implIS3_Lb1ELb0EPlSB_ZN2at6native12_GLOBAL__N_124unique_dim_cuda_templateIsEESt5tupleIJNSC_6TensorESH_SH_EERKSH_lbbbEUlllE1_EE10hipError_tPvRmT2_T3_mT4_P12ihipStream_tbEUlmE_lEESB_NS0_8identityIvEEEESM_SP_SQ_mSR_ST_bEUlT_E_NS1_11comp_targetILNS1_3genE8ELNS1_11target_archE1030ELNS1_3gpuE2ELNS1_3repE0EEENS1_30default_config_static_selectorELNS0_4arch9wavefront6targetE0EEEvT1_ ; -- Begin function _ZN7rocprim17ROCPRIM_400000_NS6detail17trampoline_kernelINS0_14default_configENS1_25transform_config_selectorIlLb0EEEZNS1_14transform_implILb0ES3_S5_NS0_18transform_iteratorINS0_17counting_iteratorImlEEZNS1_24adjacent_difference_implIS3_Lb1ELb0EPlSB_ZN2at6native12_GLOBAL__N_124unique_dim_cuda_templateIsEESt5tupleIJNSC_6TensorESH_SH_EERKSH_lbbbEUlllE1_EE10hipError_tPvRmT2_T3_mT4_P12ihipStream_tbEUlmE_lEESB_NS0_8identityIvEEEESM_SP_SQ_mSR_ST_bEUlT_E_NS1_11comp_targetILNS1_3genE8ELNS1_11target_archE1030ELNS1_3gpuE2ELNS1_3repE0EEENS1_30default_config_static_selectorELNS0_4arch9wavefront6targetE0EEEvT1_
	.p2align	8
	.type	_ZN7rocprim17ROCPRIM_400000_NS6detail17trampoline_kernelINS0_14default_configENS1_25transform_config_selectorIlLb0EEEZNS1_14transform_implILb0ES3_S5_NS0_18transform_iteratorINS0_17counting_iteratorImlEEZNS1_24adjacent_difference_implIS3_Lb1ELb0EPlSB_ZN2at6native12_GLOBAL__N_124unique_dim_cuda_templateIsEESt5tupleIJNSC_6TensorESH_SH_EERKSH_lbbbEUlllE1_EE10hipError_tPvRmT2_T3_mT4_P12ihipStream_tbEUlmE_lEESB_NS0_8identityIvEEEESM_SP_SQ_mSR_ST_bEUlT_E_NS1_11comp_targetILNS1_3genE8ELNS1_11target_archE1030ELNS1_3gpuE2ELNS1_3repE0EEENS1_30default_config_static_selectorELNS0_4arch9wavefront6targetE0EEEvT1_,@function
_ZN7rocprim17ROCPRIM_400000_NS6detail17trampoline_kernelINS0_14default_configENS1_25transform_config_selectorIlLb0EEEZNS1_14transform_implILb0ES3_S5_NS0_18transform_iteratorINS0_17counting_iteratorImlEEZNS1_24adjacent_difference_implIS3_Lb1ELb0EPlSB_ZN2at6native12_GLOBAL__N_124unique_dim_cuda_templateIsEESt5tupleIJNSC_6TensorESH_SH_EERKSH_lbbbEUlllE1_EE10hipError_tPvRmT2_T3_mT4_P12ihipStream_tbEUlmE_lEESB_NS0_8identityIvEEEESM_SP_SQ_mSR_ST_bEUlT_E_NS1_11comp_targetILNS1_3genE8ELNS1_11target_archE1030ELNS1_3gpuE2ELNS1_3repE0EEENS1_30default_config_static_selectorELNS0_4arch9wavefront6targetE0EEEvT1_: ; @_ZN7rocprim17ROCPRIM_400000_NS6detail17trampoline_kernelINS0_14default_configENS1_25transform_config_selectorIlLb0EEEZNS1_14transform_implILb0ES3_S5_NS0_18transform_iteratorINS0_17counting_iteratorImlEEZNS1_24adjacent_difference_implIS3_Lb1ELb0EPlSB_ZN2at6native12_GLOBAL__N_124unique_dim_cuda_templateIsEESt5tupleIJNSC_6TensorESH_SH_EERKSH_lbbbEUlllE1_EE10hipError_tPvRmT2_T3_mT4_P12ihipStream_tbEUlmE_lEESB_NS0_8identityIvEEEESM_SP_SQ_mSR_ST_bEUlT_E_NS1_11comp_targetILNS1_3genE8ELNS1_11target_archE1030ELNS1_3gpuE2ELNS1_3repE0EEENS1_30default_config_static_selectorELNS0_4arch9wavefront6targetE0EEEvT1_
; %bb.0:
	.section	.rodata,"a",@progbits
	.p2align	6, 0x0
	.amdhsa_kernel _ZN7rocprim17ROCPRIM_400000_NS6detail17trampoline_kernelINS0_14default_configENS1_25transform_config_selectorIlLb0EEEZNS1_14transform_implILb0ES3_S5_NS0_18transform_iteratorINS0_17counting_iteratorImlEEZNS1_24adjacent_difference_implIS3_Lb1ELb0EPlSB_ZN2at6native12_GLOBAL__N_124unique_dim_cuda_templateIsEESt5tupleIJNSC_6TensorESH_SH_EERKSH_lbbbEUlllE1_EE10hipError_tPvRmT2_T3_mT4_P12ihipStream_tbEUlmE_lEESB_NS0_8identityIvEEEESM_SP_SQ_mSR_ST_bEUlT_E_NS1_11comp_targetILNS1_3genE8ELNS1_11target_archE1030ELNS1_3gpuE2ELNS1_3repE0EEENS1_30default_config_static_selectorELNS0_4arch9wavefront6targetE0EEEvT1_
		.amdhsa_group_segment_fixed_size 0
		.amdhsa_private_segment_fixed_size 0
		.amdhsa_kernarg_size 56
		.amdhsa_user_sgpr_count 15
		.amdhsa_user_sgpr_dispatch_ptr 0
		.amdhsa_user_sgpr_queue_ptr 0
		.amdhsa_user_sgpr_kernarg_segment_ptr 1
		.amdhsa_user_sgpr_dispatch_id 0
		.amdhsa_user_sgpr_private_segment_size 0
		.amdhsa_wavefront_size32 1
		.amdhsa_uses_dynamic_stack 0
		.amdhsa_enable_private_segment 0
		.amdhsa_system_sgpr_workgroup_id_x 1
		.amdhsa_system_sgpr_workgroup_id_y 0
		.amdhsa_system_sgpr_workgroup_id_z 0
		.amdhsa_system_sgpr_workgroup_info 0
		.amdhsa_system_vgpr_workitem_id 0
		.amdhsa_next_free_vgpr 1
		.amdhsa_next_free_sgpr 1
		.amdhsa_reserve_vcc 0
		.amdhsa_float_round_mode_32 0
		.amdhsa_float_round_mode_16_64 0
		.amdhsa_float_denorm_mode_32 3
		.amdhsa_float_denorm_mode_16_64 3
		.amdhsa_dx10_clamp 1
		.amdhsa_ieee_mode 1
		.amdhsa_fp16_overflow 0
		.amdhsa_workgroup_processor_mode 1
		.amdhsa_memory_ordered 1
		.amdhsa_forward_progress 0
		.amdhsa_shared_vgpr_count 0
		.amdhsa_exception_fp_ieee_invalid_op 0
		.amdhsa_exception_fp_denorm_src 0
		.amdhsa_exception_fp_ieee_div_zero 0
		.amdhsa_exception_fp_ieee_overflow 0
		.amdhsa_exception_fp_ieee_underflow 0
		.amdhsa_exception_fp_ieee_inexact 0
		.amdhsa_exception_int_div_zero 0
	.end_amdhsa_kernel
	.section	.text._ZN7rocprim17ROCPRIM_400000_NS6detail17trampoline_kernelINS0_14default_configENS1_25transform_config_selectorIlLb0EEEZNS1_14transform_implILb0ES3_S5_NS0_18transform_iteratorINS0_17counting_iteratorImlEEZNS1_24adjacent_difference_implIS3_Lb1ELb0EPlSB_ZN2at6native12_GLOBAL__N_124unique_dim_cuda_templateIsEESt5tupleIJNSC_6TensorESH_SH_EERKSH_lbbbEUlllE1_EE10hipError_tPvRmT2_T3_mT4_P12ihipStream_tbEUlmE_lEESB_NS0_8identityIvEEEESM_SP_SQ_mSR_ST_bEUlT_E_NS1_11comp_targetILNS1_3genE8ELNS1_11target_archE1030ELNS1_3gpuE2ELNS1_3repE0EEENS1_30default_config_static_selectorELNS0_4arch9wavefront6targetE0EEEvT1_,"axG",@progbits,_ZN7rocprim17ROCPRIM_400000_NS6detail17trampoline_kernelINS0_14default_configENS1_25transform_config_selectorIlLb0EEEZNS1_14transform_implILb0ES3_S5_NS0_18transform_iteratorINS0_17counting_iteratorImlEEZNS1_24adjacent_difference_implIS3_Lb1ELb0EPlSB_ZN2at6native12_GLOBAL__N_124unique_dim_cuda_templateIsEESt5tupleIJNSC_6TensorESH_SH_EERKSH_lbbbEUlllE1_EE10hipError_tPvRmT2_T3_mT4_P12ihipStream_tbEUlmE_lEESB_NS0_8identityIvEEEESM_SP_SQ_mSR_ST_bEUlT_E_NS1_11comp_targetILNS1_3genE8ELNS1_11target_archE1030ELNS1_3gpuE2ELNS1_3repE0EEENS1_30default_config_static_selectorELNS0_4arch9wavefront6targetE0EEEvT1_,comdat
.Lfunc_end676:
	.size	_ZN7rocprim17ROCPRIM_400000_NS6detail17trampoline_kernelINS0_14default_configENS1_25transform_config_selectorIlLb0EEEZNS1_14transform_implILb0ES3_S5_NS0_18transform_iteratorINS0_17counting_iteratorImlEEZNS1_24adjacent_difference_implIS3_Lb1ELb0EPlSB_ZN2at6native12_GLOBAL__N_124unique_dim_cuda_templateIsEESt5tupleIJNSC_6TensorESH_SH_EERKSH_lbbbEUlllE1_EE10hipError_tPvRmT2_T3_mT4_P12ihipStream_tbEUlmE_lEESB_NS0_8identityIvEEEESM_SP_SQ_mSR_ST_bEUlT_E_NS1_11comp_targetILNS1_3genE8ELNS1_11target_archE1030ELNS1_3gpuE2ELNS1_3repE0EEENS1_30default_config_static_selectorELNS0_4arch9wavefront6targetE0EEEvT1_, .Lfunc_end676-_ZN7rocprim17ROCPRIM_400000_NS6detail17trampoline_kernelINS0_14default_configENS1_25transform_config_selectorIlLb0EEEZNS1_14transform_implILb0ES3_S5_NS0_18transform_iteratorINS0_17counting_iteratorImlEEZNS1_24adjacent_difference_implIS3_Lb1ELb0EPlSB_ZN2at6native12_GLOBAL__N_124unique_dim_cuda_templateIsEESt5tupleIJNSC_6TensorESH_SH_EERKSH_lbbbEUlllE1_EE10hipError_tPvRmT2_T3_mT4_P12ihipStream_tbEUlmE_lEESB_NS0_8identityIvEEEESM_SP_SQ_mSR_ST_bEUlT_E_NS1_11comp_targetILNS1_3genE8ELNS1_11target_archE1030ELNS1_3gpuE2ELNS1_3repE0EEENS1_30default_config_static_selectorELNS0_4arch9wavefront6targetE0EEEvT1_
                                        ; -- End function
	.section	.AMDGPU.csdata,"",@progbits
; Kernel info:
; codeLenInByte = 0
; NumSgprs: 0
; NumVgprs: 0
; ScratchSize: 0
; MemoryBound: 0
; FloatMode: 240
; IeeeMode: 1
; LDSByteSize: 0 bytes/workgroup (compile time only)
; SGPRBlocks: 0
; VGPRBlocks: 0
; NumSGPRsForWavesPerEU: 1
; NumVGPRsForWavesPerEU: 1
; Occupancy: 16
; WaveLimiterHint : 0
; COMPUTE_PGM_RSRC2:SCRATCH_EN: 0
; COMPUTE_PGM_RSRC2:USER_SGPR: 15
; COMPUTE_PGM_RSRC2:TRAP_HANDLER: 0
; COMPUTE_PGM_RSRC2:TGID_X_EN: 1
; COMPUTE_PGM_RSRC2:TGID_Y_EN: 0
; COMPUTE_PGM_RSRC2:TGID_Z_EN: 0
; COMPUTE_PGM_RSRC2:TIDIG_COMP_CNT: 0
	.section	.text._ZN7rocprim17ROCPRIM_400000_NS6detail17trampoline_kernelINS0_14default_configENS1_35adjacent_difference_config_selectorILb1ElEEZNS1_24adjacent_difference_implIS3_Lb1ELb0EPlS7_ZN2at6native12_GLOBAL__N_124unique_dim_cuda_templateIsEESt5tupleIJNS8_6TensorESD_SD_EERKSD_lbbbEUlllE1_EE10hipError_tPvRmT2_T3_mT4_P12ihipStream_tbEUlT_E_NS1_11comp_targetILNS1_3genE0ELNS1_11target_archE4294967295ELNS1_3gpuE0ELNS1_3repE0EEENS1_30default_config_static_selectorELNS0_4arch9wavefront6targetE0EEEvT1_,"axG",@progbits,_ZN7rocprim17ROCPRIM_400000_NS6detail17trampoline_kernelINS0_14default_configENS1_35adjacent_difference_config_selectorILb1ElEEZNS1_24adjacent_difference_implIS3_Lb1ELb0EPlS7_ZN2at6native12_GLOBAL__N_124unique_dim_cuda_templateIsEESt5tupleIJNS8_6TensorESD_SD_EERKSD_lbbbEUlllE1_EE10hipError_tPvRmT2_T3_mT4_P12ihipStream_tbEUlT_E_NS1_11comp_targetILNS1_3genE0ELNS1_11target_archE4294967295ELNS1_3gpuE0ELNS1_3repE0EEENS1_30default_config_static_selectorELNS0_4arch9wavefront6targetE0EEEvT1_,comdat
	.globl	_ZN7rocprim17ROCPRIM_400000_NS6detail17trampoline_kernelINS0_14default_configENS1_35adjacent_difference_config_selectorILb1ElEEZNS1_24adjacent_difference_implIS3_Lb1ELb0EPlS7_ZN2at6native12_GLOBAL__N_124unique_dim_cuda_templateIsEESt5tupleIJNS8_6TensorESD_SD_EERKSD_lbbbEUlllE1_EE10hipError_tPvRmT2_T3_mT4_P12ihipStream_tbEUlT_E_NS1_11comp_targetILNS1_3genE0ELNS1_11target_archE4294967295ELNS1_3gpuE0ELNS1_3repE0EEENS1_30default_config_static_selectorELNS0_4arch9wavefront6targetE0EEEvT1_ ; -- Begin function _ZN7rocprim17ROCPRIM_400000_NS6detail17trampoline_kernelINS0_14default_configENS1_35adjacent_difference_config_selectorILb1ElEEZNS1_24adjacent_difference_implIS3_Lb1ELb0EPlS7_ZN2at6native12_GLOBAL__N_124unique_dim_cuda_templateIsEESt5tupleIJNS8_6TensorESD_SD_EERKSD_lbbbEUlllE1_EE10hipError_tPvRmT2_T3_mT4_P12ihipStream_tbEUlT_E_NS1_11comp_targetILNS1_3genE0ELNS1_11target_archE4294967295ELNS1_3gpuE0ELNS1_3repE0EEENS1_30default_config_static_selectorELNS0_4arch9wavefront6targetE0EEEvT1_
	.p2align	8
	.type	_ZN7rocprim17ROCPRIM_400000_NS6detail17trampoline_kernelINS0_14default_configENS1_35adjacent_difference_config_selectorILb1ElEEZNS1_24adjacent_difference_implIS3_Lb1ELb0EPlS7_ZN2at6native12_GLOBAL__N_124unique_dim_cuda_templateIsEESt5tupleIJNS8_6TensorESD_SD_EERKSD_lbbbEUlllE1_EE10hipError_tPvRmT2_T3_mT4_P12ihipStream_tbEUlT_E_NS1_11comp_targetILNS1_3genE0ELNS1_11target_archE4294967295ELNS1_3gpuE0ELNS1_3repE0EEENS1_30default_config_static_selectorELNS0_4arch9wavefront6targetE0EEEvT1_,@function
_ZN7rocprim17ROCPRIM_400000_NS6detail17trampoline_kernelINS0_14default_configENS1_35adjacent_difference_config_selectorILb1ElEEZNS1_24adjacent_difference_implIS3_Lb1ELb0EPlS7_ZN2at6native12_GLOBAL__N_124unique_dim_cuda_templateIsEESt5tupleIJNS8_6TensorESD_SD_EERKSD_lbbbEUlllE1_EE10hipError_tPvRmT2_T3_mT4_P12ihipStream_tbEUlT_E_NS1_11comp_targetILNS1_3genE0ELNS1_11target_archE4294967295ELNS1_3gpuE0ELNS1_3repE0EEENS1_30default_config_static_selectorELNS0_4arch9wavefront6targetE0EEEvT1_: ; @_ZN7rocprim17ROCPRIM_400000_NS6detail17trampoline_kernelINS0_14default_configENS1_35adjacent_difference_config_selectorILb1ElEEZNS1_24adjacent_difference_implIS3_Lb1ELb0EPlS7_ZN2at6native12_GLOBAL__N_124unique_dim_cuda_templateIsEESt5tupleIJNS8_6TensorESD_SD_EERKSD_lbbbEUlllE1_EE10hipError_tPvRmT2_T3_mT4_P12ihipStream_tbEUlT_E_NS1_11comp_targetILNS1_3genE0ELNS1_11target_archE4294967295ELNS1_3gpuE0ELNS1_3repE0EEENS1_30default_config_static_selectorELNS0_4arch9wavefront6targetE0EEEvT1_
; %bb.0:
	.section	.rodata,"a",@progbits
	.p2align	6, 0x0
	.amdhsa_kernel _ZN7rocprim17ROCPRIM_400000_NS6detail17trampoline_kernelINS0_14default_configENS1_35adjacent_difference_config_selectorILb1ElEEZNS1_24adjacent_difference_implIS3_Lb1ELb0EPlS7_ZN2at6native12_GLOBAL__N_124unique_dim_cuda_templateIsEESt5tupleIJNS8_6TensorESD_SD_EERKSD_lbbbEUlllE1_EE10hipError_tPvRmT2_T3_mT4_P12ihipStream_tbEUlT_E_NS1_11comp_targetILNS1_3genE0ELNS1_11target_archE4294967295ELNS1_3gpuE0ELNS1_3repE0EEENS1_30default_config_static_selectorELNS0_4arch9wavefront6targetE0EEEvT1_
		.amdhsa_group_segment_fixed_size 0
		.amdhsa_private_segment_fixed_size 0
		.amdhsa_kernarg_size 64
		.amdhsa_user_sgpr_count 15
		.amdhsa_user_sgpr_dispatch_ptr 0
		.amdhsa_user_sgpr_queue_ptr 0
		.amdhsa_user_sgpr_kernarg_segment_ptr 1
		.amdhsa_user_sgpr_dispatch_id 0
		.amdhsa_user_sgpr_private_segment_size 0
		.amdhsa_wavefront_size32 1
		.amdhsa_uses_dynamic_stack 0
		.amdhsa_enable_private_segment 0
		.amdhsa_system_sgpr_workgroup_id_x 1
		.amdhsa_system_sgpr_workgroup_id_y 0
		.amdhsa_system_sgpr_workgroup_id_z 0
		.amdhsa_system_sgpr_workgroup_info 0
		.amdhsa_system_vgpr_workitem_id 0
		.amdhsa_next_free_vgpr 1
		.amdhsa_next_free_sgpr 1
		.amdhsa_reserve_vcc 0
		.amdhsa_float_round_mode_32 0
		.amdhsa_float_round_mode_16_64 0
		.amdhsa_float_denorm_mode_32 3
		.amdhsa_float_denorm_mode_16_64 3
		.amdhsa_dx10_clamp 1
		.amdhsa_ieee_mode 1
		.amdhsa_fp16_overflow 0
		.amdhsa_workgroup_processor_mode 1
		.amdhsa_memory_ordered 1
		.amdhsa_forward_progress 0
		.amdhsa_shared_vgpr_count 0
		.amdhsa_exception_fp_ieee_invalid_op 0
		.amdhsa_exception_fp_denorm_src 0
		.amdhsa_exception_fp_ieee_div_zero 0
		.amdhsa_exception_fp_ieee_overflow 0
		.amdhsa_exception_fp_ieee_underflow 0
		.amdhsa_exception_fp_ieee_inexact 0
		.amdhsa_exception_int_div_zero 0
	.end_amdhsa_kernel
	.section	.text._ZN7rocprim17ROCPRIM_400000_NS6detail17trampoline_kernelINS0_14default_configENS1_35adjacent_difference_config_selectorILb1ElEEZNS1_24adjacent_difference_implIS3_Lb1ELb0EPlS7_ZN2at6native12_GLOBAL__N_124unique_dim_cuda_templateIsEESt5tupleIJNS8_6TensorESD_SD_EERKSD_lbbbEUlllE1_EE10hipError_tPvRmT2_T3_mT4_P12ihipStream_tbEUlT_E_NS1_11comp_targetILNS1_3genE0ELNS1_11target_archE4294967295ELNS1_3gpuE0ELNS1_3repE0EEENS1_30default_config_static_selectorELNS0_4arch9wavefront6targetE0EEEvT1_,"axG",@progbits,_ZN7rocprim17ROCPRIM_400000_NS6detail17trampoline_kernelINS0_14default_configENS1_35adjacent_difference_config_selectorILb1ElEEZNS1_24adjacent_difference_implIS3_Lb1ELb0EPlS7_ZN2at6native12_GLOBAL__N_124unique_dim_cuda_templateIsEESt5tupleIJNS8_6TensorESD_SD_EERKSD_lbbbEUlllE1_EE10hipError_tPvRmT2_T3_mT4_P12ihipStream_tbEUlT_E_NS1_11comp_targetILNS1_3genE0ELNS1_11target_archE4294967295ELNS1_3gpuE0ELNS1_3repE0EEENS1_30default_config_static_selectorELNS0_4arch9wavefront6targetE0EEEvT1_,comdat
.Lfunc_end677:
	.size	_ZN7rocprim17ROCPRIM_400000_NS6detail17trampoline_kernelINS0_14default_configENS1_35adjacent_difference_config_selectorILb1ElEEZNS1_24adjacent_difference_implIS3_Lb1ELb0EPlS7_ZN2at6native12_GLOBAL__N_124unique_dim_cuda_templateIsEESt5tupleIJNS8_6TensorESD_SD_EERKSD_lbbbEUlllE1_EE10hipError_tPvRmT2_T3_mT4_P12ihipStream_tbEUlT_E_NS1_11comp_targetILNS1_3genE0ELNS1_11target_archE4294967295ELNS1_3gpuE0ELNS1_3repE0EEENS1_30default_config_static_selectorELNS0_4arch9wavefront6targetE0EEEvT1_, .Lfunc_end677-_ZN7rocprim17ROCPRIM_400000_NS6detail17trampoline_kernelINS0_14default_configENS1_35adjacent_difference_config_selectorILb1ElEEZNS1_24adjacent_difference_implIS3_Lb1ELb0EPlS7_ZN2at6native12_GLOBAL__N_124unique_dim_cuda_templateIsEESt5tupleIJNS8_6TensorESD_SD_EERKSD_lbbbEUlllE1_EE10hipError_tPvRmT2_T3_mT4_P12ihipStream_tbEUlT_E_NS1_11comp_targetILNS1_3genE0ELNS1_11target_archE4294967295ELNS1_3gpuE0ELNS1_3repE0EEENS1_30default_config_static_selectorELNS0_4arch9wavefront6targetE0EEEvT1_
                                        ; -- End function
	.section	.AMDGPU.csdata,"",@progbits
; Kernel info:
; codeLenInByte = 0
; NumSgprs: 0
; NumVgprs: 0
; ScratchSize: 0
; MemoryBound: 0
; FloatMode: 240
; IeeeMode: 1
; LDSByteSize: 0 bytes/workgroup (compile time only)
; SGPRBlocks: 0
; VGPRBlocks: 0
; NumSGPRsForWavesPerEU: 1
; NumVGPRsForWavesPerEU: 1
; Occupancy: 16
; WaveLimiterHint : 0
; COMPUTE_PGM_RSRC2:SCRATCH_EN: 0
; COMPUTE_PGM_RSRC2:USER_SGPR: 15
; COMPUTE_PGM_RSRC2:TRAP_HANDLER: 0
; COMPUTE_PGM_RSRC2:TGID_X_EN: 1
; COMPUTE_PGM_RSRC2:TGID_Y_EN: 0
; COMPUTE_PGM_RSRC2:TGID_Z_EN: 0
; COMPUTE_PGM_RSRC2:TIDIG_COMP_CNT: 0
	.section	.text._ZN7rocprim17ROCPRIM_400000_NS6detail17trampoline_kernelINS0_14default_configENS1_35adjacent_difference_config_selectorILb1ElEEZNS1_24adjacent_difference_implIS3_Lb1ELb0EPlS7_ZN2at6native12_GLOBAL__N_124unique_dim_cuda_templateIsEESt5tupleIJNS8_6TensorESD_SD_EERKSD_lbbbEUlllE1_EE10hipError_tPvRmT2_T3_mT4_P12ihipStream_tbEUlT_E_NS1_11comp_targetILNS1_3genE10ELNS1_11target_archE1201ELNS1_3gpuE5ELNS1_3repE0EEENS1_30default_config_static_selectorELNS0_4arch9wavefront6targetE0EEEvT1_,"axG",@progbits,_ZN7rocprim17ROCPRIM_400000_NS6detail17trampoline_kernelINS0_14default_configENS1_35adjacent_difference_config_selectorILb1ElEEZNS1_24adjacent_difference_implIS3_Lb1ELb0EPlS7_ZN2at6native12_GLOBAL__N_124unique_dim_cuda_templateIsEESt5tupleIJNS8_6TensorESD_SD_EERKSD_lbbbEUlllE1_EE10hipError_tPvRmT2_T3_mT4_P12ihipStream_tbEUlT_E_NS1_11comp_targetILNS1_3genE10ELNS1_11target_archE1201ELNS1_3gpuE5ELNS1_3repE0EEENS1_30default_config_static_selectorELNS0_4arch9wavefront6targetE0EEEvT1_,comdat
	.globl	_ZN7rocprim17ROCPRIM_400000_NS6detail17trampoline_kernelINS0_14default_configENS1_35adjacent_difference_config_selectorILb1ElEEZNS1_24adjacent_difference_implIS3_Lb1ELb0EPlS7_ZN2at6native12_GLOBAL__N_124unique_dim_cuda_templateIsEESt5tupleIJNS8_6TensorESD_SD_EERKSD_lbbbEUlllE1_EE10hipError_tPvRmT2_T3_mT4_P12ihipStream_tbEUlT_E_NS1_11comp_targetILNS1_3genE10ELNS1_11target_archE1201ELNS1_3gpuE5ELNS1_3repE0EEENS1_30default_config_static_selectorELNS0_4arch9wavefront6targetE0EEEvT1_ ; -- Begin function _ZN7rocprim17ROCPRIM_400000_NS6detail17trampoline_kernelINS0_14default_configENS1_35adjacent_difference_config_selectorILb1ElEEZNS1_24adjacent_difference_implIS3_Lb1ELb0EPlS7_ZN2at6native12_GLOBAL__N_124unique_dim_cuda_templateIsEESt5tupleIJNS8_6TensorESD_SD_EERKSD_lbbbEUlllE1_EE10hipError_tPvRmT2_T3_mT4_P12ihipStream_tbEUlT_E_NS1_11comp_targetILNS1_3genE10ELNS1_11target_archE1201ELNS1_3gpuE5ELNS1_3repE0EEENS1_30default_config_static_selectorELNS0_4arch9wavefront6targetE0EEEvT1_
	.p2align	8
	.type	_ZN7rocprim17ROCPRIM_400000_NS6detail17trampoline_kernelINS0_14default_configENS1_35adjacent_difference_config_selectorILb1ElEEZNS1_24adjacent_difference_implIS3_Lb1ELb0EPlS7_ZN2at6native12_GLOBAL__N_124unique_dim_cuda_templateIsEESt5tupleIJNS8_6TensorESD_SD_EERKSD_lbbbEUlllE1_EE10hipError_tPvRmT2_T3_mT4_P12ihipStream_tbEUlT_E_NS1_11comp_targetILNS1_3genE10ELNS1_11target_archE1201ELNS1_3gpuE5ELNS1_3repE0EEENS1_30default_config_static_selectorELNS0_4arch9wavefront6targetE0EEEvT1_,@function
_ZN7rocprim17ROCPRIM_400000_NS6detail17trampoline_kernelINS0_14default_configENS1_35adjacent_difference_config_selectorILb1ElEEZNS1_24adjacent_difference_implIS3_Lb1ELb0EPlS7_ZN2at6native12_GLOBAL__N_124unique_dim_cuda_templateIsEESt5tupleIJNS8_6TensorESD_SD_EERKSD_lbbbEUlllE1_EE10hipError_tPvRmT2_T3_mT4_P12ihipStream_tbEUlT_E_NS1_11comp_targetILNS1_3genE10ELNS1_11target_archE1201ELNS1_3gpuE5ELNS1_3repE0EEENS1_30default_config_static_selectorELNS0_4arch9wavefront6targetE0EEEvT1_: ; @_ZN7rocprim17ROCPRIM_400000_NS6detail17trampoline_kernelINS0_14default_configENS1_35adjacent_difference_config_selectorILb1ElEEZNS1_24adjacent_difference_implIS3_Lb1ELb0EPlS7_ZN2at6native12_GLOBAL__N_124unique_dim_cuda_templateIsEESt5tupleIJNS8_6TensorESD_SD_EERKSD_lbbbEUlllE1_EE10hipError_tPvRmT2_T3_mT4_P12ihipStream_tbEUlT_E_NS1_11comp_targetILNS1_3genE10ELNS1_11target_archE1201ELNS1_3gpuE5ELNS1_3repE0EEENS1_30default_config_static_selectorELNS0_4arch9wavefront6targetE0EEEvT1_
; %bb.0:
	.section	.rodata,"a",@progbits
	.p2align	6, 0x0
	.amdhsa_kernel _ZN7rocprim17ROCPRIM_400000_NS6detail17trampoline_kernelINS0_14default_configENS1_35adjacent_difference_config_selectorILb1ElEEZNS1_24adjacent_difference_implIS3_Lb1ELb0EPlS7_ZN2at6native12_GLOBAL__N_124unique_dim_cuda_templateIsEESt5tupleIJNS8_6TensorESD_SD_EERKSD_lbbbEUlllE1_EE10hipError_tPvRmT2_T3_mT4_P12ihipStream_tbEUlT_E_NS1_11comp_targetILNS1_3genE10ELNS1_11target_archE1201ELNS1_3gpuE5ELNS1_3repE0EEENS1_30default_config_static_selectorELNS0_4arch9wavefront6targetE0EEEvT1_
		.amdhsa_group_segment_fixed_size 0
		.amdhsa_private_segment_fixed_size 0
		.amdhsa_kernarg_size 64
		.amdhsa_user_sgpr_count 15
		.amdhsa_user_sgpr_dispatch_ptr 0
		.amdhsa_user_sgpr_queue_ptr 0
		.amdhsa_user_sgpr_kernarg_segment_ptr 1
		.amdhsa_user_sgpr_dispatch_id 0
		.amdhsa_user_sgpr_private_segment_size 0
		.amdhsa_wavefront_size32 1
		.amdhsa_uses_dynamic_stack 0
		.amdhsa_enable_private_segment 0
		.amdhsa_system_sgpr_workgroup_id_x 1
		.amdhsa_system_sgpr_workgroup_id_y 0
		.amdhsa_system_sgpr_workgroup_id_z 0
		.amdhsa_system_sgpr_workgroup_info 0
		.amdhsa_system_vgpr_workitem_id 0
		.amdhsa_next_free_vgpr 1
		.amdhsa_next_free_sgpr 1
		.amdhsa_reserve_vcc 0
		.amdhsa_float_round_mode_32 0
		.amdhsa_float_round_mode_16_64 0
		.amdhsa_float_denorm_mode_32 3
		.amdhsa_float_denorm_mode_16_64 3
		.amdhsa_dx10_clamp 1
		.amdhsa_ieee_mode 1
		.amdhsa_fp16_overflow 0
		.amdhsa_workgroup_processor_mode 1
		.amdhsa_memory_ordered 1
		.amdhsa_forward_progress 0
		.amdhsa_shared_vgpr_count 0
		.amdhsa_exception_fp_ieee_invalid_op 0
		.amdhsa_exception_fp_denorm_src 0
		.amdhsa_exception_fp_ieee_div_zero 0
		.amdhsa_exception_fp_ieee_overflow 0
		.amdhsa_exception_fp_ieee_underflow 0
		.amdhsa_exception_fp_ieee_inexact 0
		.amdhsa_exception_int_div_zero 0
	.end_amdhsa_kernel
	.section	.text._ZN7rocprim17ROCPRIM_400000_NS6detail17trampoline_kernelINS0_14default_configENS1_35adjacent_difference_config_selectorILb1ElEEZNS1_24adjacent_difference_implIS3_Lb1ELb0EPlS7_ZN2at6native12_GLOBAL__N_124unique_dim_cuda_templateIsEESt5tupleIJNS8_6TensorESD_SD_EERKSD_lbbbEUlllE1_EE10hipError_tPvRmT2_T3_mT4_P12ihipStream_tbEUlT_E_NS1_11comp_targetILNS1_3genE10ELNS1_11target_archE1201ELNS1_3gpuE5ELNS1_3repE0EEENS1_30default_config_static_selectorELNS0_4arch9wavefront6targetE0EEEvT1_,"axG",@progbits,_ZN7rocprim17ROCPRIM_400000_NS6detail17trampoline_kernelINS0_14default_configENS1_35adjacent_difference_config_selectorILb1ElEEZNS1_24adjacent_difference_implIS3_Lb1ELb0EPlS7_ZN2at6native12_GLOBAL__N_124unique_dim_cuda_templateIsEESt5tupleIJNS8_6TensorESD_SD_EERKSD_lbbbEUlllE1_EE10hipError_tPvRmT2_T3_mT4_P12ihipStream_tbEUlT_E_NS1_11comp_targetILNS1_3genE10ELNS1_11target_archE1201ELNS1_3gpuE5ELNS1_3repE0EEENS1_30default_config_static_selectorELNS0_4arch9wavefront6targetE0EEEvT1_,comdat
.Lfunc_end678:
	.size	_ZN7rocprim17ROCPRIM_400000_NS6detail17trampoline_kernelINS0_14default_configENS1_35adjacent_difference_config_selectorILb1ElEEZNS1_24adjacent_difference_implIS3_Lb1ELb0EPlS7_ZN2at6native12_GLOBAL__N_124unique_dim_cuda_templateIsEESt5tupleIJNS8_6TensorESD_SD_EERKSD_lbbbEUlllE1_EE10hipError_tPvRmT2_T3_mT4_P12ihipStream_tbEUlT_E_NS1_11comp_targetILNS1_3genE10ELNS1_11target_archE1201ELNS1_3gpuE5ELNS1_3repE0EEENS1_30default_config_static_selectorELNS0_4arch9wavefront6targetE0EEEvT1_, .Lfunc_end678-_ZN7rocprim17ROCPRIM_400000_NS6detail17trampoline_kernelINS0_14default_configENS1_35adjacent_difference_config_selectorILb1ElEEZNS1_24adjacent_difference_implIS3_Lb1ELb0EPlS7_ZN2at6native12_GLOBAL__N_124unique_dim_cuda_templateIsEESt5tupleIJNS8_6TensorESD_SD_EERKSD_lbbbEUlllE1_EE10hipError_tPvRmT2_T3_mT4_P12ihipStream_tbEUlT_E_NS1_11comp_targetILNS1_3genE10ELNS1_11target_archE1201ELNS1_3gpuE5ELNS1_3repE0EEENS1_30default_config_static_selectorELNS0_4arch9wavefront6targetE0EEEvT1_
                                        ; -- End function
	.section	.AMDGPU.csdata,"",@progbits
; Kernel info:
; codeLenInByte = 0
; NumSgprs: 0
; NumVgprs: 0
; ScratchSize: 0
; MemoryBound: 0
; FloatMode: 240
; IeeeMode: 1
; LDSByteSize: 0 bytes/workgroup (compile time only)
; SGPRBlocks: 0
; VGPRBlocks: 0
; NumSGPRsForWavesPerEU: 1
; NumVGPRsForWavesPerEU: 1
; Occupancy: 16
; WaveLimiterHint : 0
; COMPUTE_PGM_RSRC2:SCRATCH_EN: 0
; COMPUTE_PGM_RSRC2:USER_SGPR: 15
; COMPUTE_PGM_RSRC2:TRAP_HANDLER: 0
; COMPUTE_PGM_RSRC2:TGID_X_EN: 1
; COMPUTE_PGM_RSRC2:TGID_Y_EN: 0
; COMPUTE_PGM_RSRC2:TGID_Z_EN: 0
; COMPUTE_PGM_RSRC2:TIDIG_COMP_CNT: 0
	.section	.text._ZN7rocprim17ROCPRIM_400000_NS6detail17trampoline_kernelINS0_14default_configENS1_35adjacent_difference_config_selectorILb1ElEEZNS1_24adjacent_difference_implIS3_Lb1ELb0EPlS7_ZN2at6native12_GLOBAL__N_124unique_dim_cuda_templateIsEESt5tupleIJNS8_6TensorESD_SD_EERKSD_lbbbEUlllE1_EE10hipError_tPvRmT2_T3_mT4_P12ihipStream_tbEUlT_E_NS1_11comp_targetILNS1_3genE5ELNS1_11target_archE942ELNS1_3gpuE9ELNS1_3repE0EEENS1_30default_config_static_selectorELNS0_4arch9wavefront6targetE0EEEvT1_,"axG",@progbits,_ZN7rocprim17ROCPRIM_400000_NS6detail17trampoline_kernelINS0_14default_configENS1_35adjacent_difference_config_selectorILb1ElEEZNS1_24adjacent_difference_implIS3_Lb1ELb0EPlS7_ZN2at6native12_GLOBAL__N_124unique_dim_cuda_templateIsEESt5tupleIJNS8_6TensorESD_SD_EERKSD_lbbbEUlllE1_EE10hipError_tPvRmT2_T3_mT4_P12ihipStream_tbEUlT_E_NS1_11comp_targetILNS1_3genE5ELNS1_11target_archE942ELNS1_3gpuE9ELNS1_3repE0EEENS1_30default_config_static_selectorELNS0_4arch9wavefront6targetE0EEEvT1_,comdat
	.globl	_ZN7rocprim17ROCPRIM_400000_NS6detail17trampoline_kernelINS0_14default_configENS1_35adjacent_difference_config_selectorILb1ElEEZNS1_24adjacent_difference_implIS3_Lb1ELb0EPlS7_ZN2at6native12_GLOBAL__N_124unique_dim_cuda_templateIsEESt5tupleIJNS8_6TensorESD_SD_EERKSD_lbbbEUlllE1_EE10hipError_tPvRmT2_T3_mT4_P12ihipStream_tbEUlT_E_NS1_11comp_targetILNS1_3genE5ELNS1_11target_archE942ELNS1_3gpuE9ELNS1_3repE0EEENS1_30default_config_static_selectorELNS0_4arch9wavefront6targetE0EEEvT1_ ; -- Begin function _ZN7rocprim17ROCPRIM_400000_NS6detail17trampoline_kernelINS0_14default_configENS1_35adjacent_difference_config_selectorILb1ElEEZNS1_24adjacent_difference_implIS3_Lb1ELb0EPlS7_ZN2at6native12_GLOBAL__N_124unique_dim_cuda_templateIsEESt5tupleIJNS8_6TensorESD_SD_EERKSD_lbbbEUlllE1_EE10hipError_tPvRmT2_T3_mT4_P12ihipStream_tbEUlT_E_NS1_11comp_targetILNS1_3genE5ELNS1_11target_archE942ELNS1_3gpuE9ELNS1_3repE0EEENS1_30default_config_static_selectorELNS0_4arch9wavefront6targetE0EEEvT1_
	.p2align	8
	.type	_ZN7rocprim17ROCPRIM_400000_NS6detail17trampoline_kernelINS0_14default_configENS1_35adjacent_difference_config_selectorILb1ElEEZNS1_24adjacent_difference_implIS3_Lb1ELb0EPlS7_ZN2at6native12_GLOBAL__N_124unique_dim_cuda_templateIsEESt5tupleIJNS8_6TensorESD_SD_EERKSD_lbbbEUlllE1_EE10hipError_tPvRmT2_T3_mT4_P12ihipStream_tbEUlT_E_NS1_11comp_targetILNS1_3genE5ELNS1_11target_archE942ELNS1_3gpuE9ELNS1_3repE0EEENS1_30default_config_static_selectorELNS0_4arch9wavefront6targetE0EEEvT1_,@function
_ZN7rocprim17ROCPRIM_400000_NS6detail17trampoline_kernelINS0_14default_configENS1_35adjacent_difference_config_selectorILb1ElEEZNS1_24adjacent_difference_implIS3_Lb1ELb0EPlS7_ZN2at6native12_GLOBAL__N_124unique_dim_cuda_templateIsEESt5tupleIJNS8_6TensorESD_SD_EERKSD_lbbbEUlllE1_EE10hipError_tPvRmT2_T3_mT4_P12ihipStream_tbEUlT_E_NS1_11comp_targetILNS1_3genE5ELNS1_11target_archE942ELNS1_3gpuE9ELNS1_3repE0EEENS1_30default_config_static_selectorELNS0_4arch9wavefront6targetE0EEEvT1_: ; @_ZN7rocprim17ROCPRIM_400000_NS6detail17trampoline_kernelINS0_14default_configENS1_35adjacent_difference_config_selectorILb1ElEEZNS1_24adjacent_difference_implIS3_Lb1ELb0EPlS7_ZN2at6native12_GLOBAL__N_124unique_dim_cuda_templateIsEESt5tupleIJNS8_6TensorESD_SD_EERKSD_lbbbEUlllE1_EE10hipError_tPvRmT2_T3_mT4_P12ihipStream_tbEUlT_E_NS1_11comp_targetILNS1_3genE5ELNS1_11target_archE942ELNS1_3gpuE9ELNS1_3repE0EEENS1_30default_config_static_selectorELNS0_4arch9wavefront6targetE0EEEvT1_
; %bb.0:
	.section	.rodata,"a",@progbits
	.p2align	6, 0x0
	.amdhsa_kernel _ZN7rocprim17ROCPRIM_400000_NS6detail17trampoline_kernelINS0_14default_configENS1_35adjacent_difference_config_selectorILb1ElEEZNS1_24adjacent_difference_implIS3_Lb1ELb0EPlS7_ZN2at6native12_GLOBAL__N_124unique_dim_cuda_templateIsEESt5tupleIJNS8_6TensorESD_SD_EERKSD_lbbbEUlllE1_EE10hipError_tPvRmT2_T3_mT4_P12ihipStream_tbEUlT_E_NS1_11comp_targetILNS1_3genE5ELNS1_11target_archE942ELNS1_3gpuE9ELNS1_3repE0EEENS1_30default_config_static_selectorELNS0_4arch9wavefront6targetE0EEEvT1_
		.amdhsa_group_segment_fixed_size 0
		.amdhsa_private_segment_fixed_size 0
		.amdhsa_kernarg_size 64
		.amdhsa_user_sgpr_count 15
		.amdhsa_user_sgpr_dispatch_ptr 0
		.amdhsa_user_sgpr_queue_ptr 0
		.amdhsa_user_sgpr_kernarg_segment_ptr 1
		.amdhsa_user_sgpr_dispatch_id 0
		.amdhsa_user_sgpr_private_segment_size 0
		.amdhsa_wavefront_size32 1
		.amdhsa_uses_dynamic_stack 0
		.amdhsa_enable_private_segment 0
		.amdhsa_system_sgpr_workgroup_id_x 1
		.amdhsa_system_sgpr_workgroup_id_y 0
		.amdhsa_system_sgpr_workgroup_id_z 0
		.amdhsa_system_sgpr_workgroup_info 0
		.amdhsa_system_vgpr_workitem_id 0
		.amdhsa_next_free_vgpr 1
		.amdhsa_next_free_sgpr 1
		.amdhsa_reserve_vcc 0
		.amdhsa_float_round_mode_32 0
		.amdhsa_float_round_mode_16_64 0
		.amdhsa_float_denorm_mode_32 3
		.amdhsa_float_denorm_mode_16_64 3
		.amdhsa_dx10_clamp 1
		.amdhsa_ieee_mode 1
		.amdhsa_fp16_overflow 0
		.amdhsa_workgroup_processor_mode 1
		.amdhsa_memory_ordered 1
		.amdhsa_forward_progress 0
		.amdhsa_shared_vgpr_count 0
		.amdhsa_exception_fp_ieee_invalid_op 0
		.amdhsa_exception_fp_denorm_src 0
		.amdhsa_exception_fp_ieee_div_zero 0
		.amdhsa_exception_fp_ieee_overflow 0
		.amdhsa_exception_fp_ieee_underflow 0
		.amdhsa_exception_fp_ieee_inexact 0
		.amdhsa_exception_int_div_zero 0
	.end_amdhsa_kernel
	.section	.text._ZN7rocprim17ROCPRIM_400000_NS6detail17trampoline_kernelINS0_14default_configENS1_35adjacent_difference_config_selectorILb1ElEEZNS1_24adjacent_difference_implIS3_Lb1ELb0EPlS7_ZN2at6native12_GLOBAL__N_124unique_dim_cuda_templateIsEESt5tupleIJNS8_6TensorESD_SD_EERKSD_lbbbEUlllE1_EE10hipError_tPvRmT2_T3_mT4_P12ihipStream_tbEUlT_E_NS1_11comp_targetILNS1_3genE5ELNS1_11target_archE942ELNS1_3gpuE9ELNS1_3repE0EEENS1_30default_config_static_selectorELNS0_4arch9wavefront6targetE0EEEvT1_,"axG",@progbits,_ZN7rocprim17ROCPRIM_400000_NS6detail17trampoline_kernelINS0_14default_configENS1_35adjacent_difference_config_selectorILb1ElEEZNS1_24adjacent_difference_implIS3_Lb1ELb0EPlS7_ZN2at6native12_GLOBAL__N_124unique_dim_cuda_templateIsEESt5tupleIJNS8_6TensorESD_SD_EERKSD_lbbbEUlllE1_EE10hipError_tPvRmT2_T3_mT4_P12ihipStream_tbEUlT_E_NS1_11comp_targetILNS1_3genE5ELNS1_11target_archE942ELNS1_3gpuE9ELNS1_3repE0EEENS1_30default_config_static_selectorELNS0_4arch9wavefront6targetE0EEEvT1_,comdat
.Lfunc_end679:
	.size	_ZN7rocprim17ROCPRIM_400000_NS6detail17trampoline_kernelINS0_14default_configENS1_35adjacent_difference_config_selectorILb1ElEEZNS1_24adjacent_difference_implIS3_Lb1ELb0EPlS7_ZN2at6native12_GLOBAL__N_124unique_dim_cuda_templateIsEESt5tupleIJNS8_6TensorESD_SD_EERKSD_lbbbEUlllE1_EE10hipError_tPvRmT2_T3_mT4_P12ihipStream_tbEUlT_E_NS1_11comp_targetILNS1_3genE5ELNS1_11target_archE942ELNS1_3gpuE9ELNS1_3repE0EEENS1_30default_config_static_selectorELNS0_4arch9wavefront6targetE0EEEvT1_, .Lfunc_end679-_ZN7rocprim17ROCPRIM_400000_NS6detail17trampoline_kernelINS0_14default_configENS1_35adjacent_difference_config_selectorILb1ElEEZNS1_24adjacent_difference_implIS3_Lb1ELb0EPlS7_ZN2at6native12_GLOBAL__N_124unique_dim_cuda_templateIsEESt5tupleIJNS8_6TensorESD_SD_EERKSD_lbbbEUlllE1_EE10hipError_tPvRmT2_T3_mT4_P12ihipStream_tbEUlT_E_NS1_11comp_targetILNS1_3genE5ELNS1_11target_archE942ELNS1_3gpuE9ELNS1_3repE0EEENS1_30default_config_static_selectorELNS0_4arch9wavefront6targetE0EEEvT1_
                                        ; -- End function
	.section	.AMDGPU.csdata,"",@progbits
; Kernel info:
; codeLenInByte = 0
; NumSgprs: 0
; NumVgprs: 0
; ScratchSize: 0
; MemoryBound: 0
; FloatMode: 240
; IeeeMode: 1
; LDSByteSize: 0 bytes/workgroup (compile time only)
; SGPRBlocks: 0
; VGPRBlocks: 0
; NumSGPRsForWavesPerEU: 1
; NumVGPRsForWavesPerEU: 1
; Occupancy: 16
; WaveLimiterHint : 0
; COMPUTE_PGM_RSRC2:SCRATCH_EN: 0
; COMPUTE_PGM_RSRC2:USER_SGPR: 15
; COMPUTE_PGM_RSRC2:TRAP_HANDLER: 0
; COMPUTE_PGM_RSRC2:TGID_X_EN: 1
; COMPUTE_PGM_RSRC2:TGID_Y_EN: 0
; COMPUTE_PGM_RSRC2:TGID_Z_EN: 0
; COMPUTE_PGM_RSRC2:TIDIG_COMP_CNT: 0
	.section	.text._ZN7rocprim17ROCPRIM_400000_NS6detail17trampoline_kernelINS0_14default_configENS1_35adjacent_difference_config_selectorILb1ElEEZNS1_24adjacent_difference_implIS3_Lb1ELb0EPlS7_ZN2at6native12_GLOBAL__N_124unique_dim_cuda_templateIsEESt5tupleIJNS8_6TensorESD_SD_EERKSD_lbbbEUlllE1_EE10hipError_tPvRmT2_T3_mT4_P12ihipStream_tbEUlT_E_NS1_11comp_targetILNS1_3genE4ELNS1_11target_archE910ELNS1_3gpuE8ELNS1_3repE0EEENS1_30default_config_static_selectorELNS0_4arch9wavefront6targetE0EEEvT1_,"axG",@progbits,_ZN7rocprim17ROCPRIM_400000_NS6detail17trampoline_kernelINS0_14default_configENS1_35adjacent_difference_config_selectorILb1ElEEZNS1_24adjacent_difference_implIS3_Lb1ELb0EPlS7_ZN2at6native12_GLOBAL__N_124unique_dim_cuda_templateIsEESt5tupleIJNS8_6TensorESD_SD_EERKSD_lbbbEUlllE1_EE10hipError_tPvRmT2_T3_mT4_P12ihipStream_tbEUlT_E_NS1_11comp_targetILNS1_3genE4ELNS1_11target_archE910ELNS1_3gpuE8ELNS1_3repE0EEENS1_30default_config_static_selectorELNS0_4arch9wavefront6targetE0EEEvT1_,comdat
	.globl	_ZN7rocprim17ROCPRIM_400000_NS6detail17trampoline_kernelINS0_14default_configENS1_35adjacent_difference_config_selectorILb1ElEEZNS1_24adjacent_difference_implIS3_Lb1ELb0EPlS7_ZN2at6native12_GLOBAL__N_124unique_dim_cuda_templateIsEESt5tupleIJNS8_6TensorESD_SD_EERKSD_lbbbEUlllE1_EE10hipError_tPvRmT2_T3_mT4_P12ihipStream_tbEUlT_E_NS1_11comp_targetILNS1_3genE4ELNS1_11target_archE910ELNS1_3gpuE8ELNS1_3repE0EEENS1_30default_config_static_selectorELNS0_4arch9wavefront6targetE0EEEvT1_ ; -- Begin function _ZN7rocprim17ROCPRIM_400000_NS6detail17trampoline_kernelINS0_14default_configENS1_35adjacent_difference_config_selectorILb1ElEEZNS1_24adjacent_difference_implIS3_Lb1ELb0EPlS7_ZN2at6native12_GLOBAL__N_124unique_dim_cuda_templateIsEESt5tupleIJNS8_6TensorESD_SD_EERKSD_lbbbEUlllE1_EE10hipError_tPvRmT2_T3_mT4_P12ihipStream_tbEUlT_E_NS1_11comp_targetILNS1_3genE4ELNS1_11target_archE910ELNS1_3gpuE8ELNS1_3repE0EEENS1_30default_config_static_selectorELNS0_4arch9wavefront6targetE0EEEvT1_
	.p2align	8
	.type	_ZN7rocprim17ROCPRIM_400000_NS6detail17trampoline_kernelINS0_14default_configENS1_35adjacent_difference_config_selectorILb1ElEEZNS1_24adjacent_difference_implIS3_Lb1ELb0EPlS7_ZN2at6native12_GLOBAL__N_124unique_dim_cuda_templateIsEESt5tupleIJNS8_6TensorESD_SD_EERKSD_lbbbEUlllE1_EE10hipError_tPvRmT2_T3_mT4_P12ihipStream_tbEUlT_E_NS1_11comp_targetILNS1_3genE4ELNS1_11target_archE910ELNS1_3gpuE8ELNS1_3repE0EEENS1_30default_config_static_selectorELNS0_4arch9wavefront6targetE0EEEvT1_,@function
_ZN7rocprim17ROCPRIM_400000_NS6detail17trampoline_kernelINS0_14default_configENS1_35adjacent_difference_config_selectorILb1ElEEZNS1_24adjacent_difference_implIS3_Lb1ELb0EPlS7_ZN2at6native12_GLOBAL__N_124unique_dim_cuda_templateIsEESt5tupleIJNS8_6TensorESD_SD_EERKSD_lbbbEUlllE1_EE10hipError_tPvRmT2_T3_mT4_P12ihipStream_tbEUlT_E_NS1_11comp_targetILNS1_3genE4ELNS1_11target_archE910ELNS1_3gpuE8ELNS1_3repE0EEENS1_30default_config_static_selectorELNS0_4arch9wavefront6targetE0EEEvT1_: ; @_ZN7rocprim17ROCPRIM_400000_NS6detail17trampoline_kernelINS0_14default_configENS1_35adjacent_difference_config_selectorILb1ElEEZNS1_24adjacent_difference_implIS3_Lb1ELb0EPlS7_ZN2at6native12_GLOBAL__N_124unique_dim_cuda_templateIsEESt5tupleIJNS8_6TensorESD_SD_EERKSD_lbbbEUlllE1_EE10hipError_tPvRmT2_T3_mT4_P12ihipStream_tbEUlT_E_NS1_11comp_targetILNS1_3genE4ELNS1_11target_archE910ELNS1_3gpuE8ELNS1_3repE0EEENS1_30default_config_static_selectorELNS0_4arch9wavefront6targetE0EEEvT1_
; %bb.0:
	.section	.rodata,"a",@progbits
	.p2align	6, 0x0
	.amdhsa_kernel _ZN7rocprim17ROCPRIM_400000_NS6detail17trampoline_kernelINS0_14default_configENS1_35adjacent_difference_config_selectorILb1ElEEZNS1_24adjacent_difference_implIS3_Lb1ELb0EPlS7_ZN2at6native12_GLOBAL__N_124unique_dim_cuda_templateIsEESt5tupleIJNS8_6TensorESD_SD_EERKSD_lbbbEUlllE1_EE10hipError_tPvRmT2_T3_mT4_P12ihipStream_tbEUlT_E_NS1_11comp_targetILNS1_3genE4ELNS1_11target_archE910ELNS1_3gpuE8ELNS1_3repE0EEENS1_30default_config_static_selectorELNS0_4arch9wavefront6targetE0EEEvT1_
		.amdhsa_group_segment_fixed_size 0
		.amdhsa_private_segment_fixed_size 0
		.amdhsa_kernarg_size 64
		.amdhsa_user_sgpr_count 15
		.amdhsa_user_sgpr_dispatch_ptr 0
		.amdhsa_user_sgpr_queue_ptr 0
		.amdhsa_user_sgpr_kernarg_segment_ptr 1
		.amdhsa_user_sgpr_dispatch_id 0
		.amdhsa_user_sgpr_private_segment_size 0
		.amdhsa_wavefront_size32 1
		.amdhsa_uses_dynamic_stack 0
		.amdhsa_enable_private_segment 0
		.amdhsa_system_sgpr_workgroup_id_x 1
		.amdhsa_system_sgpr_workgroup_id_y 0
		.amdhsa_system_sgpr_workgroup_id_z 0
		.amdhsa_system_sgpr_workgroup_info 0
		.amdhsa_system_vgpr_workitem_id 0
		.amdhsa_next_free_vgpr 1
		.amdhsa_next_free_sgpr 1
		.amdhsa_reserve_vcc 0
		.amdhsa_float_round_mode_32 0
		.amdhsa_float_round_mode_16_64 0
		.amdhsa_float_denorm_mode_32 3
		.amdhsa_float_denorm_mode_16_64 3
		.amdhsa_dx10_clamp 1
		.amdhsa_ieee_mode 1
		.amdhsa_fp16_overflow 0
		.amdhsa_workgroup_processor_mode 1
		.amdhsa_memory_ordered 1
		.amdhsa_forward_progress 0
		.amdhsa_shared_vgpr_count 0
		.amdhsa_exception_fp_ieee_invalid_op 0
		.amdhsa_exception_fp_denorm_src 0
		.amdhsa_exception_fp_ieee_div_zero 0
		.amdhsa_exception_fp_ieee_overflow 0
		.amdhsa_exception_fp_ieee_underflow 0
		.amdhsa_exception_fp_ieee_inexact 0
		.amdhsa_exception_int_div_zero 0
	.end_amdhsa_kernel
	.section	.text._ZN7rocprim17ROCPRIM_400000_NS6detail17trampoline_kernelINS0_14default_configENS1_35adjacent_difference_config_selectorILb1ElEEZNS1_24adjacent_difference_implIS3_Lb1ELb0EPlS7_ZN2at6native12_GLOBAL__N_124unique_dim_cuda_templateIsEESt5tupleIJNS8_6TensorESD_SD_EERKSD_lbbbEUlllE1_EE10hipError_tPvRmT2_T3_mT4_P12ihipStream_tbEUlT_E_NS1_11comp_targetILNS1_3genE4ELNS1_11target_archE910ELNS1_3gpuE8ELNS1_3repE0EEENS1_30default_config_static_selectorELNS0_4arch9wavefront6targetE0EEEvT1_,"axG",@progbits,_ZN7rocprim17ROCPRIM_400000_NS6detail17trampoline_kernelINS0_14default_configENS1_35adjacent_difference_config_selectorILb1ElEEZNS1_24adjacent_difference_implIS3_Lb1ELb0EPlS7_ZN2at6native12_GLOBAL__N_124unique_dim_cuda_templateIsEESt5tupleIJNS8_6TensorESD_SD_EERKSD_lbbbEUlllE1_EE10hipError_tPvRmT2_T3_mT4_P12ihipStream_tbEUlT_E_NS1_11comp_targetILNS1_3genE4ELNS1_11target_archE910ELNS1_3gpuE8ELNS1_3repE0EEENS1_30default_config_static_selectorELNS0_4arch9wavefront6targetE0EEEvT1_,comdat
.Lfunc_end680:
	.size	_ZN7rocprim17ROCPRIM_400000_NS6detail17trampoline_kernelINS0_14default_configENS1_35adjacent_difference_config_selectorILb1ElEEZNS1_24adjacent_difference_implIS3_Lb1ELb0EPlS7_ZN2at6native12_GLOBAL__N_124unique_dim_cuda_templateIsEESt5tupleIJNS8_6TensorESD_SD_EERKSD_lbbbEUlllE1_EE10hipError_tPvRmT2_T3_mT4_P12ihipStream_tbEUlT_E_NS1_11comp_targetILNS1_3genE4ELNS1_11target_archE910ELNS1_3gpuE8ELNS1_3repE0EEENS1_30default_config_static_selectorELNS0_4arch9wavefront6targetE0EEEvT1_, .Lfunc_end680-_ZN7rocprim17ROCPRIM_400000_NS6detail17trampoline_kernelINS0_14default_configENS1_35adjacent_difference_config_selectorILb1ElEEZNS1_24adjacent_difference_implIS3_Lb1ELb0EPlS7_ZN2at6native12_GLOBAL__N_124unique_dim_cuda_templateIsEESt5tupleIJNS8_6TensorESD_SD_EERKSD_lbbbEUlllE1_EE10hipError_tPvRmT2_T3_mT4_P12ihipStream_tbEUlT_E_NS1_11comp_targetILNS1_3genE4ELNS1_11target_archE910ELNS1_3gpuE8ELNS1_3repE0EEENS1_30default_config_static_selectorELNS0_4arch9wavefront6targetE0EEEvT1_
                                        ; -- End function
	.section	.AMDGPU.csdata,"",@progbits
; Kernel info:
; codeLenInByte = 0
; NumSgprs: 0
; NumVgprs: 0
; ScratchSize: 0
; MemoryBound: 0
; FloatMode: 240
; IeeeMode: 1
; LDSByteSize: 0 bytes/workgroup (compile time only)
; SGPRBlocks: 0
; VGPRBlocks: 0
; NumSGPRsForWavesPerEU: 1
; NumVGPRsForWavesPerEU: 1
; Occupancy: 16
; WaveLimiterHint : 0
; COMPUTE_PGM_RSRC2:SCRATCH_EN: 0
; COMPUTE_PGM_RSRC2:USER_SGPR: 15
; COMPUTE_PGM_RSRC2:TRAP_HANDLER: 0
; COMPUTE_PGM_RSRC2:TGID_X_EN: 1
; COMPUTE_PGM_RSRC2:TGID_Y_EN: 0
; COMPUTE_PGM_RSRC2:TGID_Z_EN: 0
; COMPUTE_PGM_RSRC2:TIDIG_COMP_CNT: 0
	.section	.text._ZN7rocprim17ROCPRIM_400000_NS6detail17trampoline_kernelINS0_14default_configENS1_35adjacent_difference_config_selectorILb1ElEEZNS1_24adjacent_difference_implIS3_Lb1ELb0EPlS7_ZN2at6native12_GLOBAL__N_124unique_dim_cuda_templateIsEESt5tupleIJNS8_6TensorESD_SD_EERKSD_lbbbEUlllE1_EE10hipError_tPvRmT2_T3_mT4_P12ihipStream_tbEUlT_E_NS1_11comp_targetILNS1_3genE3ELNS1_11target_archE908ELNS1_3gpuE7ELNS1_3repE0EEENS1_30default_config_static_selectorELNS0_4arch9wavefront6targetE0EEEvT1_,"axG",@progbits,_ZN7rocprim17ROCPRIM_400000_NS6detail17trampoline_kernelINS0_14default_configENS1_35adjacent_difference_config_selectorILb1ElEEZNS1_24adjacent_difference_implIS3_Lb1ELb0EPlS7_ZN2at6native12_GLOBAL__N_124unique_dim_cuda_templateIsEESt5tupleIJNS8_6TensorESD_SD_EERKSD_lbbbEUlllE1_EE10hipError_tPvRmT2_T3_mT4_P12ihipStream_tbEUlT_E_NS1_11comp_targetILNS1_3genE3ELNS1_11target_archE908ELNS1_3gpuE7ELNS1_3repE0EEENS1_30default_config_static_selectorELNS0_4arch9wavefront6targetE0EEEvT1_,comdat
	.globl	_ZN7rocprim17ROCPRIM_400000_NS6detail17trampoline_kernelINS0_14default_configENS1_35adjacent_difference_config_selectorILb1ElEEZNS1_24adjacent_difference_implIS3_Lb1ELb0EPlS7_ZN2at6native12_GLOBAL__N_124unique_dim_cuda_templateIsEESt5tupleIJNS8_6TensorESD_SD_EERKSD_lbbbEUlllE1_EE10hipError_tPvRmT2_T3_mT4_P12ihipStream_tbEUlT_E_NS1_11comp_targetILNS1_3genE3ELNS1_11target_archE908ELNS1_3gpuE7ELNS1_3repE0EEENS1_30default_config_static_selectorELNS0_4arch9wavefront6targetE0EEEvT1_ ; -- Begin function _ZN7rocprim17ROCPRIM_400000_NS6detail17trampoline_kernelINS0_14default_configENS1_35adjacent_difference_config_selectorILb1ElEEZNS1_24adjacent_difference_implIS3_Lb1ELb0EPlS7_ZN2at6native12_GLOBAL__N_124unique_dim_cuda_templateIsEESt5tupleIJNS8_6TensorESD_SD_EERKSD_lbbbEUlllE1_EE10hipError_tPvRmT2_T3_mT4_P12ihipStream_tbEUlT_E_NS1_11comp_targetILNS1_3genE3ELNS1_11target_archE908ELNS1_3gpuE7ELNS1_3repE0EEENS1_30default_config_static_selectorELNS0_4arch9wavefront6targetE0EEEvT1_
	.p2align	8
	.type	_ZN7rocprim17ROCPRIM_400000_NS6detail17trampoline_kernelINS0_14default_configENS1_35adjacent_difference_config_selectorILb1ElEEZNS1_24adjacent_difference_implIS3_Lb1ELb0EPlS7_ZN2at6native12_GLOBAL__N_124unique_dim_cuda_templateIsEESt5tupleIJNS8_6TensorESD_SD_EERKSD_lbbbEUlllE1_EE10hipError_tPvRmT2_T3_mT4_P12ihipStream_tbEUlT_E_NS1_11comp_targetILNS1_3genE3ELNS1_11target_archE908ELNS1_3gpuE7ELNS1_3repE0EEENS1_30default_config_static_selectorELNS0_4arch9wavefront6targetE0EEEvT1_,@function
_ZN7rocprim17ROCPRIM_400000_NS6detail17trampoline_kernelINS0_14default_configENS1_35adjacent_difference_config_selectorILb1ElEEZNS1_24adjacent_difference_implIS3_Lb1ELb0EPlS7_ZN2at6native12_GLOBAL__N_124unique_dim_cuda_templateIsEESt5tupleIJNS8_6TensorESD_SD_EERKSD_lbbbEUlllE1_EE10hipError_tPvRmT2_T3_mT4_P12ihipStream_tbEUlT_E_NS1_11comp_targetILNS1_3genE3ELNS1_11target_archE908ELNS1_3gpuE7ELNS1_3repE0EEENS1_30default_config_static_selectorELNS0_4arch9wavefront6targetE0EEEvT1_: ; @_ZN7rocprim17ROCPRIM_400000_NS6detail17trampoline_kernelINS0_14default_configENS1_35adjacent_difference_config_selectorILb1ElEEZNS1_24adjacent_difference_implIS3_Lb1ELb0EPlS7_ZN2at6native12_GLOBAL__N_124unique_dim_cuda_templateIsEESt5tupleIJNS8_6TensorESD_SD_EERKSD_lbbbEUlllE1_EE10hipError_tPvRmT2_T3_mT4_P12ihipStream_tbEUlT_E_NS1_11comp_targetILNS1_3genE3ELNS1_11target_archE908ELNS1_3gpuE7ELNS1_3repE0EEENS1_30default_config_static_selectorELNS0_4arch9wavefront6targetE0EEEvT1_
; %bb.0:
	.section	.rodata,"a",@progbits
	.p2align	6, 0x0
	.amdhsa_kernel _ZN7rocprim17ROCPRIM_400000_NS6detail17trampoline_kernelINS0_14default_configENS1_35adjacent_difference_config_selectorILb1ElEEZNS1_24adjacent_difference_implIS3_Lb1ELb0EPlS7_ZN2at6native12_GLOBAL__N_124unique_dim_cuda_templateIsEESt5tupleIJNS8_6TensorESD_SD_EERKSD_lbbbEUlllE1_EE10hipError_tPvRmT2_T3_mT4_P12ihipStream_tbEUlT_E_NS1_11comp_targetILNS1_3genE3ELNS1_11target_archE908ELNS1_3gpuE7ELNS1_3repE0EEENS1_30default_config_static_selectorELNS0_4arch9wavefront6targetE0EEEvT1_
		.amdhsa_group_segment_fixed_size 0
		.amdhsa_private_segment_fixed_size 0
		.amdhsa_kernarg_size 64
		.amdhsa_user_sgpr_count 15
		.amdhsa_user_sgpr_dispatch_ptr 0
		.amdhsa_user_sgpr_queue_ptr 0
		.amdhsa_user_sgpr_kernarg_segment_ptr 1
		.amdhsa_user_sgpr_dispatch_id 0
		.amdhsa_user_sgpr_private_segment_size 0
		.amdhsa_wavefront_size32 1
		.amdhsa_uses_dynamic_stack 0
		.amdhsa_enable_private_segment 0
		.amdhsa_system_sgpr_workgroup_id_x 1
		.amdhsa_system_sgpr_workgroup_id_y 0
		.amdhsa_system_sgpr_workgroup_id_z 0
		.amdhsa_system_sgpr_workgroup_info 0
		.amdhsa_system_vgpr_workitem_id 0
		.amdhsa_next_free_vgpr 1
		.amdhsa_next_free_sgpr 1
		.amdhsa_reserve_vcc 0
		.amdhsa_float_round_mode_32 0
		.amdhsa_float_round_mode_16_64 0
		.amdhsa_float_denorm_mode_32 3
		.amdhsa_float_denorm_mode_16_64 3
		.amdhsa_dx10_clamp 1
		.amdhsa_ieee_mode 1
		.amdhsa_fp16_overflow 0
		.amdhsa_workgroup_processor_mode 1
		.amdhsa_memory_ordered 1
		.amdhsa_forward_progress 0
		.amdhsa_shared_vgpr_count 0
		.amdhsa_exception_fp_ieee_invalid_op 0
		.amdhsa_exception_fp_denorm_src 0
		.amdhsa_exception_fp_ieee_div_zero 0
		.amdhsa_exception_fp_ieee_overflow 0
		.amdhsa_exception_fp_ieee_underflow 0
		.amdhsa_exception_fp_ieee_inexact 0
		.amdhsa_exception_int_div_zero 0
	.end_amdhsa_kernel
	.section	.text._ZN7rocprim17ROCPRIM_400000_NS6detail17trampoline_kernelINS0_14default_configENS1_35adjacent_difference_config_selectorILb1ElEEZNS1_24adjacent_difference_implIS3_Lb1ELb0EPlS7_ZN2at6native12_GLOBAL__N_124unique_dim_cuda_templateIsEESt5tupleIJNS8_6TensorESD_SD_EERKSD_lbbbEUlllE1_EE10hipError_tPvRmT2_T3_mT4_P12ihipStream_tbEUlT_E_NS1_11comp_targetILNS1_3genE3ELNS1_11target_archE908ELNS1_3gpuE7ELNS1_3repE0EEENS1_30default_config_static_selectorELNS0_4arch9wavefront6targetE0EEEvT1_,"axG",@progbits,_ZN7rocprim17ROCPRIM_400000_NS6detail17trampoline_kernelINS0_14default_configENS1_35adjacent_difference_config_selectorILb1ElEEZNS1_24adjacent_difference_implIS3_Lb1ELb0EPlS7_ZN2at6native12_GLOBAL__N_124unique_dim_cuda_templateIsEESt5tupleIJNS8_6TensorESD_SD_EERKSD_lbbbEUlllE1_EE10hipError_tPvRmT2_T3_mT4_P12ihipStream_tbEUlT_E_NS1_11comp_targetILNS1_3genE3ELNS1_11target_archE908ELNS1_3gpuE7ELNS1_3repE0EEENS1_30default_config_static_selectorELNS0_4arch9wavefront6targetE0EEEvT1_,comdat
.Lfunc_end681:
	.size	_ZN7rocprim17ROCPRIM_400000_NS6detail17trampoline_kernelINS0_14default_configENS1_35adjacent_difference_config_selectorILb1ElEEZNS1_24adjacent_difference_implIS3_Lb1ELb0EPlS7_ZN2at6native12_GLOBAL__N_124unique_dim_cuda_templateIsEESt5tupleIJNS8_6TensorESD_SD_EERKSD_lbbbEUlllE1_EE10hipError_tPvRmT2_T3_mT4_P12ihipStream_tbEUlT_E_NS1_11comp_targetILNS1_3genE3ELNS1_11target_archE908ELNS1_3gpuE7ELNS1_3repE0EEENS1_30default_config_static_selectorELNS0_4arch9wavefront6targetE0EEEvT1_, .Lfunc_end681-_ZN7rocprim17ROCPRIM_400000_NS6detail17trampoline_kernelINS0_14default_configENS1_35adjacent_difference_config_selectorILb1ElEEZNS1_24adjacent_difference_implIS3_Lb1ELb0EPlS7_ZN2at6native12_GLOBAL__N_124unique_dim_cuda_templateIsEESt5tupleIJNS8_6TensorESD_SD_EERKSD_lbbbEUlllE1_EE10hipError_tPvRmT2_T3_mT4_P12ihipStream_tbEUlT_E_NS1_11comp_targetILNS1_3genE3ELNS1_11target_archE908ELNS1_3gpuE7ELNS1_3repE0EEENS1_30default_config_static_selectorELNS0_4arch9wavefront6targetE0EEEvT1_
                                        ; -- End function
	.section	.AMDGPU.csdata,"",@progbits
; Kernel info:
; codeLenInByte = 0
; NumSgprs: 0
; NumVgprs: 0
; ScratchSize: 0
; MemoryBound: 0
; FloatMode: 240
; IeeeMode: 1
; LDSByteSize: 0 bytes/workgroup (compile time only)
; SGPRBlocks: 0
; VGPRBlocks: 0
; NumSGPRsForWavesPerEU: 1
; NumVGPRsForWavesPerEU: 1
; Occupancy: 16
; WaveLimiterHint : 0
; COMPUTE_PGM_RSRC2:SCRATCH_EN: 0
; COMPUTE_PGM_RSRC2:USER_SGPR: 15
; COMPUTE_PGM_RSRC2:TRAP_HANDLER: 0
; COMPUTE_PGM_RSRC2:TGID_X_EN: 1
; COMPUTE_PGM_RSRC2:TGID_Y_EN: 0
; COMPUTE_PGM_RSRC2:TGID_Z_EN: 0
; COMPUTE_PGM_RSRC2:TIDIG_COMP_CNT: 0
	.section	.text._ZN7rocprim17ROCPRIM_400000_NS6detail17trampoline_kernelINS0_14default_configENS1_35adjacent_difference_config_selectorILb1ElEEZNS1_24adjacent_difference_implIS3_Lb1ELb0EPlS7_ZN2at6native12_GLOBAL__N_124unique_dim_cuda_templateIsEESt5tupleIJNS8_6TensorESD_SD_EERKSD_lbbbEUlllE1_EE10hipError_tPvRmT2_T3_mT4_P12ihipStream_tbEUlT_E_NS1_11comp_targetILNS1_3genE2ELNS1_11target_archE906ELNS1_3gpuE6ELNS1_3repE0EEENS1_30default_config_static_selectorELNS0_4arch9wavefront6targetE0EEEvT1_,"axG",@progbits,_ZN7rocprim17ROCPRIM_400000_NS6detail17trampoline_kernelINS0_14default_configENS1_35adjacent_difference_config_selectorILb1ElEEZNS1_24adjacent_difference_implIS3_Lb1ELb0EPlS7_ZN2at6native12_GLOBAL__N_124unique_dim_cuda_templateIsEESt5tupleIJNS8_6TensorESD_SD_EERKSD_lbbbEUlllE1_EE10hipError_tPvRmT2_T3_mT4_P12ihipStream_tbEUlT_E_NS1_11comp_targetILNS1_3genE2ELNS1_11target_archE906ELNS1_3gpuE6ELNS1_3repE0EEENS1_30default_config_static_selectorELNS0_4arch9wavefront6targetE0EEEvT1_,comdat
	.globl	_ZN7rocprim17ROCPRIM_400000_NS6detail17trampoline_kernelINS0_14default_configENS1_35adjacent_difference_config_selectorILb1ElEEZNS1_24adjacent_difference_implIS3_Lb1ELb0EPlS7_ZN2at6native12_GLOBAL__N_124unique_dim_cuda_templateIsEESt5tupleIJNS8_6TensorESD_SD_EERKSD_lbbbEUlllE1_EE10hipError_tPvRmT2_T3_mT4_P12ihipStream_tbEUlT_E_NS1_11comp_targetILNS1_3genE2ELNS1_11target_archE906ELNS1_3gpuE6ELNS1_3repE0EEENS1_30default_config_static_selectorELNS0_4arch9wavefront6targetE0EEEvT1_ ; -- Begin function _ZN7rocprim17ROCPRIM_400000_NS6detail17trampoline_kernelINS0_14default_configENS1_35adjacent_difference_config_selectorILb1ElEEZNS1_24adjacent_difference_implIS3_Lb1ELb0EPlS7_ZN2at6native12_GLOBAL__N_124unique_dim_cuda_templateIsEESt5tupleIJNS8_6TensorESD_SD_EERKSD_lbbbEUlllE1_EE10hipError_tPvRmT2_T3_mT4_P12ihipStream_tbEUlT_E_NS1_11comp_targetILNS1_3genE2ELNS1_11target_archE906ELNS1_3gpuE6ELNS1_3repE0EEENS1_30default_config_static_selectorELNS0_4arch9wavefront6targetE0EEEvT1_
	.p2align	8
	.type	_ZN7rocprim17ROCPRIM_400000_NS6detail17trampoline_kernelINS0_14default_configENS1_35adjacent_difference_config_selectorILb1ElEEZNS1_24adjacent_difference_implIS3_Lb1ELb0EPlS7_ZN2at6native12_GLOBAL__N_124unique_dim_cuda_templateIsEESt5tupleIJNS8_6TensorESD_SD_EERKSD_lbbbEUlllE1_EE10hipError_tPvRmT2_T3_mT4_P12ihipStream_tbEUlT_E_NS1_11comp_targetILNS1_3genE2ELNS1_11target_archE906ELNS1_3gpuE6ELNS1_3repE0EEENS1_30default_config_static_selectorELNS0_4arch9wavefront6targetE0EEEvT1_,@function
_ZN7rocprim17ROCPRIM_400000_NS6detail17trampoline_kernelINS0_14default_configENS1_35adjacent_difference_config_selectorILb1ElEEZNS1_24adjacent_difference_implIS3_Lb1ELb0EPlS7_ZN2at6native12_GLOBAL__N_124unique_dim_cuda_templateIsEESt5tupleIJNS8_6TensorESD_SD_EERKSD_lbbbEUlllE1_EE10hipError_tPvRmT2_T3_mT4_P12ihipStream_tbEUlT_E_NS1_11comp_targetILNS1_3genE2ELNS1_11target_archE906ELNS1_3gpuE6ELNS1_3repE0EEENS1_30default_config_static_selectorELNS0_4arch9wavefront6targetE0EEEvT1_: ; @_ZN7rocprim17ROCPRIM_400000_NS6detail17trampoline_kernelINS0_14default_configENS1_35adjacent_difference_config_selectorILb1ElEEZNS1_24adjacent_difference_implIS3_Lb1ELb0EPlS7_ZN2at6native12_GLOBAL__N_124unique_dim_cuda_templateIsEESt5tupleIJNS8_6TensorESD_SD_EERKSD_lbbbEUlllE1_EE10hipError_tPvRmT2_T3_mT4_P12ihipStream_tbEUlT_E_NS1_11comp_targetILNS1_3genE2ELNS1_11target_archE906ELNS1_3gpuE6ELNS1_3repE0EEENS1_30default_config_static_selectorELNS0_4arch9wavefront6targetE0EEEvT1_
; %bb.0:
	.section	.rodata,"a",@progbits
	.p2align	6, 0x0
	.amdhsa_kernel _ZN7rocprim17ROCPRIM_400000_NS6detail17trampoline_kernelINS0_14default_configENS1_35adjacent_difference_config_selectorILb1ElEEZNS1_24adjacent_difference_implIS3_Lb1ELb0EPlS7_ZN2at6native12_GLOBAL__N_124unique_dim_cuda_templateIsEESt5tupleIJNS8_6TensorESD_SD_EERKSD_lbbbEUlllE1_EE10hipError_tPvRmT2_T3_mT4_P12ihipStream_tbEUlT_E_NS1_11comp_targetILNS1_3genE2ELNS1_11target_archE906ELNS1_3gpuE6ELNS1_3repE0EEENS1_30default_config_static_selectorELNS0_4arch9wavefront6targetE0EEEvT1_
		.amdhsa_group_segment_fixed_size 0
		.amdhsa_private_segment_fixed_size 0
		.amdhsa_kernarg_size 64
		.amdhsa_user_sgpr_count 15
		.amdhsa_user_sgpr_dispatch_ptr 0
		.amdhsa_user_sgpr_queue_ptr 0
		.amdhsa_user_sgpr_kernarg_segment_ptr 1
		.amdhsa_user_sgpr_dispatch_id 0
		.amdhsa_user_sgpr_private_segment_size 0
		.amdhsa_wavefront_size32 1
		.amdhsa_uses_dynamic_stack 0
		.amdhsa_enable_private_segment 0
		.amdhsa_system_sgpr_workgroup_id_x 1
		.amdhsa_system_sgpr_workgroup_id_y 0
		.amdhsa_system_sgpr_workgroup_id_z 0
		.amdhsa_system_sgpr_workgroup_info 0
		.amdhsa_system_vgpr_workitem_id 0
		.amdhsa_next_free_vgpr 1
		.amdhsa_next_free_sgpr 1
		.amdhsa_reserve_vcc 0
		.amdhsa_float_round_mode_32 0
		.amdhsa_float_round_mode_16_64 0
		.amdhsa_float_denorm_mode_32 3
		.amdhsa_float_denorm_mode_16_64 3
		.amdhsa_dx10_clamp 1
		.amdhsa_ieee_mode 1
		.amdhsa_fp16_overflow 0
		.amdhsa_workgroup_processor_mode 1
		.amdhsa_memory_ordered 1
		.amdhsa_forward_progress 0
		.amdhsa_shared_vgpr_count 0
		.amdhsa_exception_fp_ieee_invalid_op 0
		.amdhsa_exception_fp_denorm_src 0
		.amdhsa_exception_fp_ieee_div_zero 0
		.amdhsa_exception_fp_ieee_overflow 0
		.amdhsa_exception_fp_ieee_underflow 0
		.amdhsa_exception_fp_ieee_inexact 0
		.amdhsa_exception_int_div_zero 0
	.end_amdhsa_kernel
	.section	.text._ZN7rocprim17ROCPRIM_400000_NS6detail17trampoline_kernelINS0_14default_configENS1_35adjacent_difference_config_selectorILb1ElEEZNS1_24adjacent_difference_implIS3_Lb1ELb0EPlS7_ZN2at6native12_GLOBAL__N_124unique_dim_cuda_templateIsEESt5tupleIJNS8_6TensorESD_SD_EERKSD_lbbbEUlllE1_EE10hipError_tPvRmT2_T3_mT4_P12ihipStream_tbEUlT_E_NS1_11comp_targetILNS1_3genE2ELNS1_11target_archE906ELNS1_3gpuE6ELNS1_3repE0EEENS1_30default_config_static_selectorELNS0_4arch9wavefront6targetE0EEEvT1_,"axG",@progbits,_ZN7rocprim17ROCPRIM_400000_NS6detail17trampoline_kernelINS0_14default_configENS1_35adjacent_difference_config_selectorILb1ElEEZNS1_24adjacent_difference_implIS3_Lb1ELb0EPlS7_ZN2at6native12_GLOBAL__N_124unique_dim_cuda_templateIsEESt5tupleIJNS8_6TensorESD_SD_EERKSD_lbbbEUlllE1_EE10hipError_tPvRmT2_T3_mT4_P12ihipStream_tbEUlT_E_NS1_11comp_targetILNS1_3genE2ELNS1_11target_archE906ELNS1_3gpuE6ELNS1_3repE0EEENS1_30default_config_static_selectorELNS0_4arch9wavefront6targetE0EEEvT1_,comdat
.Lfunc_end682:
	.size	_ZN7rocprim17ROCPRIM_400000_NS6detail17trampoline_kernelINS0_14default_configENS1_35adjacent_difference_config_selectorILb1ElEEZNS1_24adjacent_difference_implIS3_Lb1ELb0EPlS7_ZN2at6native12_GLOBAL__N_124unique_dim_cuda_templateIsEESt5tupleIJNS8_6TensorESD_SD_EERKSD_lbbbEUlllE1_EE10hipError_tPvRmT2_T3_mT4_P12ihipStream_tbEUlT_E_NS1_11comp_targetILNS1_3genE2ELNS1_11target_archE906ELNS1_3gpuE6ELNS1_3repE0EEENS1_30default_config_static_selectorELNS0_4arch9wavefront6targetE0EEEvT1_, .Lfunc_end682-_ZN7rocprim17ROCPRIM_400000_NS6detail17trampoline_kernelINS0_14default_configENS1_35adjacent_difference_config_selectorILb1ElEEZNS1_24adjacent_difference_implIS3_Lb1ELb0EPlS7_ZN2at6native12_GLOBAL__N_124unique_dim_cuda_templateIsEESt5tupleIJNS8_6TensorESD_SD_EERKSD_lbbbEUlllE1_EE10hipError_tPvRmT2_T3_mT4_P12ihipStream_tbEUlT_E_NS1_11comp_targetILNS1_3genE2ELNS1_11target_archE906ELNS1_3gpuE6ELNS1_3repE0EEENS1_30default_config_static_selectorELNS0_4arch9wavefront6targetE0EEEvT1_
                                        ; -- End function
	.section	.AMDGPU.csdata,"",@progbits
; Kernel info:
; codeLenInByte = 0
; NumSgprs: 0
; NumVgprs: 0
; ScratchSize: 0
; MemoryBound: 0
; FloatMode: 240
; IeeeMode: 1
; LDSByteSize: 0 bytes/workgroup (compile time only)
; SGPRBlocks: 0
; VGPRBlocks: 0
; NumSGPRsForWavesPerEU: 1
; NumVGPRsForWavesPerEU: 1
; Occupancy: 16
; WaveLimiterHint : 0
; COMPUTE_PGM_RSRC2:SCRATCH_EN: 0
; COMPUTE_PGM_RSRC2:USER_SGPR: 15
; COMPUTE_PGM_RSRC2:TRAP_HANDLER: 0
; COMPUTE_PGM_RSRC2:TGID_X_EN: 1
; COMPUTE_PGM_RSRC2:TGID_Y_EN: 0
; COMPUTE_PGM_RSRC2:TGID_Z_EN: 0
; COMPUTE_PGM_RSRC2:TIDIG_COMP_CNT: 0
	.section	.text._ZN7rocprim17ROCPRIM_400000_NS6detail17trampoline_kernelINS0_14default_configENS1_35adjacent_difference_config_selectorILb1ElEEZNS1_24adjacent_difference_implIS3_Lb1ELb0EPlS7_ZN2at6native12_GLOBAL__N_124unique_dim_cuda_templateIsEESt5tupleIJNS8_6TensorESD_SD_EERKSD_lbbbEUlllE1_EE10hipError_tPvRmT2_T3_mT4_P12ihipStream_tbEUlT_E_NS1_11comp_targetILNS1_3genE9ELNS1_11target_archE1100ELNS1_3gpuE3ELNS1_3repE0EEENS1_30default_config_static_selectorELNS0_4arch9wavefront6targetE0EEEvT1_,"axG",@progbits,_ZN7rocprim17ROCPRIM_400000_NS6detail17trampoline_kernelINS0_14default_configENS1_35adjacent_difference_config_selectorILb1ElEEZNS1_24adjacent_difference_implIS3_Lb1ELb0EPlS7_ZN2at6native12_GLOBAL__N_124unique_dim_cuda_templateIsEESt5tupleIJNS8_6TensorESD_SD_EERKSD_lbbbEUlllE1_EE10hipError_tPvRmT2_T3_mT4_P12ihipStream_tbEUlT_E_NS1_11comp_targetILNS1_3genE9ELNS1_11target_archE1100ELNS1_3gpuE3ELNS1_3repE0EEENS1_30default_config_static_selectorELNS0_4arch9wavefront6targetE0EEEvT1_,comdat
	.globl	_ZN7rocprim17ROCPRIM_400000_NS6detail17trampoline_kernelINS0_14default_configENS1_35adjacent_difference_config_selectorILb1ElEEZNS1_24adjacent_difference_implIS3_Lb1ELb0EPlS7_ZN2at6native12_GLOBAL__N_124unique_dim_cuda_templateIsEESt5tupleIJNS8_6TensorESD_SD_EERKSD_lbbbEUlllE1_EE10hipError_tPvRmT2_T3_mT4_P12ihipStream_tbEUlT_E_NS1_11comp_targetILNS1_3genE9ELNS1_11target_archE1100ELNS1_3gpuE3ELNS1_3repE0EEENS1_30default_config_static_selectorELNS0_4arch9wavefront6targetE0EEEvT1_ ; -- Begin function _ZN7rocprim17ROCPRIM_400000_NS6detail17trampoline_kernelINS0_14default_configENS1_35adjacent_difference_config_selectorILb1ElEEZNS1_24adjacent_difference_implIS3_Lb1ELb0EPlS7_ZN2at6native12_GLOBAL__N_124unique_dim_cuda_templateIsEESt5tupleIJNS8_6TensorESD_SD_EERKSD_lbbbEUlllE1_EE10hipError_tPvRmT2_T3_mT4_P12ihipStream_tbEUlT_E_NS1_11comp_targetILNS1_3genE9ELNS1_11target_archE1100ELNS1_3gpuE3ELNS1_3repE0EEENS1_30default_config_static_selectorELNS0_4arch9wavefront6targetE0EEEvT1_
	.p2align	8
	.type	_ZN7rocprim17ROCPRIM_400000_NS6detail17trampoline_kernelINS0_14default_configENS1_35adjacent_difference_config_selectorILb1ElEEZNS1_24adjacent_difference_implIS3_Lb1ELb0EPlS7_ZN2at6native12_GLOBAL__N_124unique_dim_cuda_templateIsEESt5tupleIJNS8_6TensorESD_SD_EERKSD_lbbbEUlllE1_EE10hipError_tPvRmT2_T3_mT4_P12ihipStream_tbEUlT_E_NS1_11comp_targetILNS1_3genE9ELNS1_11target_archE1100ELNS1_3gpuE3ELNS1_3repE0EEENS1_30default_config_static_selectorELNS0_4arch9wavefront6targetE0EEEvT1_,@function
_ZN7rocprim17ROCPRIM_400000_NS6detail17trampoline_kernelINS0_14default_configENS1_35adjacent_difference_config_selectorILb1ElEEZNS1_24adjacent_difference_implIS3_Lb1ELb0EPlS7_ZN2at6native12_GLOBAL__N_124unique_dim_cuda_templateIsEESt5tupleIJNS8_6TensorESD_SD_EERKSD_lbbbEUlllE1_EE10hipError_tPvRmT2_T3_mT4_P12ihipStream_tbEUlT_E_NS1_11comp_targetILNS1_3genE9ELNS1_11target_archE1100ELNS1_3gpuE3ELNS1_3repE0EEENS1_30default_config_static_selectorELNS0_4arch9wavefront6targetE0EEEvT1_: ; @_ZN7rocprim17ROCPRIM_400000_NS6detail17trampoline_kernelINS0_14default_configENS1_35adjacent_difference_config_selectorILb1ElEEZNS1_24adjacent_difference_implIS3_Lb1ELb0EPlS7_ZN2at6native12_GLOBAL__N_124unique_dim_cuda_templateIsEESt5tupleIJNS8_6TensorESD_SD_EERKSD_lbbbEUlllE1_EE10hipError_tPvRmT2_T3_mT4_P12ihipStream_tbEUlT_E_NS1_11comp_targetILNS1_3genE9ELNS1_11target_archE1100ELNS1_3gpuE3ELNS1_3repE0EEENS1_30default_config_static_selectorELNS0_4arch9wavefront6targetE0EEEvT1_
; %bb.0:
	s_mov_b32 s22, s15
	s_load_b512 s[0:15], s[0:1], 0x0
	s_waitcnt lgkmcnt(0)
	s_lshl_b64 s[16:17], s[2:3], 3
	s_mov_b32 s2, 0x411a7a30
	s_add_u32 s27, s0, s16
	s_addc_u32 s28, s1, s17
	s_add_u32 s0, 0x76, s2
	s_addc_u32 s1, 0, 0
	v_add_co_u32 v1, s0, 0x20000000, s0
	s_delay_alu instid0(VALU_DEP_1) | instskip(SKIP_1) | instid1(VALU_DEP_1)
	s_cmp_lg_u32 s0, 0
	s_addc_u32 s1, s1, 0x11a7b9
	v_readfirstlane_b32 s0, v1
	s_mul_i32 s2, s1, 0xfffff180
	s_delay_alu instid0(VALU_DEP_1)
	s_mul_hi_u32 s3, s0, 0xfffff180
	s_mul_i32 s18, s0, 0xfffff180
	s_sub_i32 s3, s3, s0
	s_mul_hi_u32 s19, s0, s18
	s_add_i32 s3, s3, s2
	s_mul_hi_u32 s20, s1, s18
	s_mul_i32 s2, s1, s18
	s_mul_hi_u32 s18, s0, s3
	s_mul_i32 s0, s0, s3
	s_mul_hi_u32 s21, s1, s3
	s_add_u32 s0, s19, s0
	s_addc_u32 s18, 0, s18
	s_add_u32 s0, s0, s2
	s_mul_i32 s3, s1, s3
	s_addc_u32 s0, s18, s20
	s_addc_u32 s2, s21, 0
	s_add_u32 s0, s0, s3
	s_addc_u32 s2, 0, s2
	v_add_co_u32 v1, s0, v1, s0
	s_delay_alu instid0(VALU_DEP_1) | instskip(SKIP_1) | instid1(VALU_DEP_1)
	s_cmp_lg_u32 s0, 0
	s_addc_u32 s0, s1, s2
	v_readfirstlane_b32 s1, v1
	s_mul_i32 s3, s6, s0
	s_mul_hi_u32 s2, s6, s0
	s_mul_hi_u32 s18, s7, s0
	s_mul_i32 s0, s7, s0
	s_mul_hi_u32 s19, s6, s1
	s_mul_hi_u32 s20, s7, s1
	s_mul_i32 s1, s7, s1
	s_add_u32 s3, s19, s3
	s_addc_u32 s2, 0, s2
	s_add_u32 s1, s3, s1
	s_addc_u32 s1, s2, s20
	s_addc_u32 s2, s18, 0
	s_add_u32 s0, s1, s0
	s_addc_u32 s1, 0, s2
	s_mul_i32 s3, s0, 0xe80
	s_add_u32 s2, s0, 1
	v_sub_co_u32 v1, s3, s6, s3
	s_mul_hi_u32 s18, s0, 0xe80
	s_addc_u32 s19, s1, 0
	s_mul_i32 s20, s1, 0xe80
	s_delay_alu instid0(VALU_DEP_1)
	v_subrev_co_u32 v2, s21, 0xe80, v1
	s_add_u32 s23, s0, 2
	s_addc_u32 s24, s1, 0
	s_add_i32 s18, s18, s20
	s_cmp_lg_u32 s3, 0
	v_readfirstlane_b32 s3, v2
	s_subb_u32 s18, s7, s18
	s_cmp_lg_u32 s21, 0
	s_subb_u32 s20, s18, 0
	s_delay_alu instid0(VALU_DEP_1) | instskip(SKIP_4) | instid1(SALU_CYCLE_1)
	s_cmpk_gt_u32 s3, 0xe7f
	s_cselect_b32 s3, -1, 0
	s_cmp_eq_u32 s20, 0
	v_readfirstlane_b32 s20, v1
	s_cselect_b32 s3, s3, -1
	s_cmp_lg_u32 s3, 0
	s_cselect_b32 s2, s23, s2
	s_cselect_b32 s3, s24, s19
	s_cmpk_gt_u32 s20, 0xe7f
	s_mov_b32 s23, 0
	s_cselect_b32 s19, -1, 0
	s_cmp_eq_u32 s18, 0
	s_cselect_b32 s18, s19, -1
	s_delay_alu instid0(SALU_CYCLE_1)
	s_cmp_lg_u32 s18, 0
	s_cselect_b32 s3, s3, s1
	s_cselect_b32 s2, s2, s0
	s_mul_i32 s0, s3, 0xe80
	s_mul_hi_u32 s1, s2, 0xe80
	s_mul_i32 s18, s2, 0xe80
	s_add_i32 s1, s1, s0
	s_sub_u32 s0, s6, s18
	s_subb_u32 s1, s7, s1
	s_delay_alu instid0(SALU_CYCLE_1) | instskip(SKIP_1) | instid1(SALU_CYCLE_1)
	s_cmp_lg_u64 s[0:1], 0
	s_cselect_b32 s0, -1, 0
	v_cndmask_b32_e64 v1, 0, 1, s0
	s_delay_alu instid0(VALU_DEP_1) | instskip(NEXT) | instid1(VALU_DEP_1)
	v_readfirstlane_b32 s0, v1
	s_add_u32 s18, s2, s0
	s_addc_u32 s19, s3, 0
	s_add_u32 s20, s14, s22
	s_addc_u32 s21, s15, 0
	s_add_u32 s0, s18, -1
	s_addc_u32 s1, s19, -1
	s_mul_i32 s2, s22, 0xe80
	v_cmp_ge_u64_e64 s26, s[20:21], s[0:1]
	s_mov_b32 s3, -1
	s_mul_i32 s7, s0, 0xfffff180
	s_delay_alu instid0(VALU_DEP_1)
	s_and_b32 vcc_lo, exec_lo, s26
	s_cbranch_vccz .LBB683_60
; %bb.1:
	s_mov_b32 s3, s23
	s_add_i32 s29, s7, s6
	s_lshl_b64 s[24:25], s[2:3], 3
	s_mov_b32 s3, exec_lo
	s_add_u32 s24, s27, s24
	s_addc_u32 s25, s28, s25
                                        ; implicit-def: $vgpr1_vgpr2
	v_cmpx_gt_u32_e64 s29, v0
	s_cbranch_execz .LBB683_3
; %bb.2:
	v_lshlrev_b32_e32 v1, 3, v0
	global_load_b64 v[1:2], v1, s[24:25]
.LBB683_3:
	s_or_b32 exec_lo, exec_lo, s3
	v_or_b32_e32 v3, 0x80, v0
	s_delay_alu instid0(VALU_DEP_1)
	v_cmp_gt_u32_e32 vcc_lo, s29, v3
                                        ; implicit-def: $vgpr3_vgpr4
	s_and_saveexec_b32 s3, vcc_lo
	s_cbranch_execz .LBB683_5
; %bb.4:
	v_lshlrev_b32_e32 v3, 3, v0
	global_load_b64 v[3:4], v3, s[24:25] offset:1024
.LBB683_5:
	s_or_b32 exec_lo, exec_lo, s3
	v_or_b32_e32 v5, 0x100, v0
	s_delay_alu instid0(VALU_DEP_1)
	v_cmp_gt_u32_e32 vcc_lo, s29, v5
                                        ; implicit-def: $vgpr5_vgpr6
	s_and_saveexec_b32 s3, vcc_lo
	s_cbranch_execz .LBB683_7
; %bb.6:
	v_lshlrev_b32_e32 v5, 3, v0
	global_load_b64 v[5:6], v5, s[24:25] offset:2048
.LBB683_7:
	s_or_b32 exec_lo, exec_lo, s3
	v_or_b32_e32 v7, 0x180, v0
	s_delay_alu instid0(VALU_DEP_1)
	v_cmp_gt_u32_e32 vcc_lo, s29, v7
                                        ; implicit-def: $vgpr7_vgpr8
	s_and_saveexec_b32 s3, vcc_lo
	s_cbranch_execz .LBB683_9
; %bb.8:
	v_lshlrev_b32_e32 v7, 3, v0
	global_load_b64 v[7:8], v7, s[24:25] offset:3072
.LBB683_9:
	s_or_b32 exec_lo, exec_lo, s3
	v_or_b32_e32 v11, 0x200, v0
	s_mov_b32 s3, exec_lo
                                        ; implicit-def: $vgpr9_vgpr10
	s_delay_alu instid0(VALU_DEP_1)
	v_cmpx_gt_u32_e64 s29, v11
	s_cbranch_execz .LBB683_11
; %bb.10:
	v_lshlrev_b32_e32 v9, 3, v11
	global_load_b64 v[9:10], v9, s[24:25]
.LBB683_11:
	s_or_b32 exec_lo, exec_lo, s3
	v_or_b32_e32 v13, 0x280, v0
	s_mov_b32 s3, exec_lo
                                        ; implicit-def: $vgpr11_vgpr12
	s_delay_alu instid0(VALU_DEP_1)
	v_cmpx_gt_u32_e64 s29, v13
	s_cbranch_execz .LBB683_13
; %bb.12:
	v_lshlrev_b32_e32 v11, 3, v13
	global_load_b64 v[11:12], v11, s[24:25]
.LBB683_13:
	s_or_b32 exec_lo, exec_lo, s3
	v_or_b32_e32 v15, 0x300, v0
	s_mov_b32 s3, exec_lo
                                        ; implicit-def: $vgpr13_vgpr14
	s_delay_alu instid0(VALU_DEP_1)
	v_cmpx_gt_u32_e64 s29, v15
	s_cbranch_execz .LBB683_15
; %bb.14:
	v_lshlrev_b32_e32 v13, 3, v15
	global_load_b64 v[13:14], v13, s[24:25]
.LBB683_15:
	s_or_b32 exec_lo, exec_lo, s3
	v_or_b32_e32 v17, 0x380, v0
	s_mov_b32 s3, exec_lo
                                        ; implicit-def: $vgpr15_vgpr16
	s_delay_alu instid0(VALU_DEP_1)
	v_cmpx_gt_u32_e64 s29, v17
	s_cbranch_execz .LBB683_17
; %bb.16:
	v_lshlrev_b32_e32 v15, 3, v17
	global_load_b64 v[15:16], v15, s[24:25]
.LBB683_17:
	s_or_b32 exec_lo, exec_lo, s3
	v_or_b32_e32 v19, 0x400, v0
	s_mov_b32 s3, exec_lo
                                        ; implicit-def: $vgpr17_vgpr18
	s_delay_alu instid0(VALU_DEP_1)
	v_cmpx_gt_u32_e64 s29, v19
	s_cbranch_execz .LBB683_19
; %bb.18:
	v_lshlrev_b32_e32 v17, 3, v19
	global_load_b64 v[17:18], v17, s[24:25]
.LBB683_19:
	s_or_b32 exec_lo, exec_lo, s3
	v_or_b32_e32 v21, 0x480, v0
	s_mov_b32 s3, exec_lo
                                        ; implicit-def: $vgpr19_vgpr20
	s_delay_alu instid0(VALU_DEP_1)
	v_cmpx_gt_u32_e64 s29, v21
	s_cbranch_execz .LBB683_21
; %bb.20:
	v_lshlrev_b32_e32 v19, 3, v21
	global_load_b64 v[19:20], v19, s[24:25]
.LBB683_21:
	s_or_b32 exec_lo, exec_lo, s3
	v_or_b32_e32 v23, 0x500, v0
	s_mov_b32 s3, exec_lo
                                        ; implicit-def: $vgpr21_vgpr22
	s_delay_alu instid0(VALU_DEP_1)
	v_cmpx_gt_u32_e64 s29, v23
	s_cbranch_execz .LBB683_23
; %bb.22:
	v_lshlrev_b32_e32 v21, 3, v23
	global_load_b64 v[21:22], v21, s[24:25]
.LBB683_23:
	s_or_b32 exec_lo, exec_lo, s3
	v_or_b32_e32 v25, 0x580, v0
	s_mov_b32 s3, exec_lo
                                        ; implicit-def: $vgpr23_vgpr24
	s_delay_alu instid0(VALU_DEP_1)
	v_cmpx_gt_u32_e64 s29, v25
	s_cbranch_execz .LBB683_25
; %bb.24:
	v_lshlrev_b32_e32 v23, 3, v25
	global_load_b64 v[23:24], v23, s[24:25]
.LBB683_25:
	s_or_b32 exec_lo, exec_lo, s3
	v_or_b32_e32 v27, 0x600, v0
	s_mov_b32 s3, exec_lo
                                        ; implicit-def: $vgpr25_vgpr26
	s_delay_alu instid0(VALU_DEP_1)
	v_cmpx_gt_u32_e64 s29, v27
	s_cbranch_execz .LBB683_27
; %bb.26:
	v_lshlrev_b32_e32 v25, 3, v27
	global_load_b64 v[25:26], v25, s[24:25]
.LBB683_27:
	s_or_b32 exec_lo, exec_lo, s3
	v_or_b32_e32 v29, 0x680, v0
	s_mov_b32 s3, exec_lo
                                        ; implicit-def: $vgpr27_vgpr28
	s_delay_alu instid0(VALU_DEP_1)
	v_cmpx_gt_u32_e64 s29, v29
	s_cbranch_execz .LBB683_29
; %bb.28:
	v_lshlrev_b32_e32 v27, 3, v29
	global_load_b64 v[27:28], v27, s[24:25]
.LBB683_29:
	s_or_b32 exec_lo, exec_lo, s3
	v_or_b32_e32 v31, 0x700, v0
	s_mov_b32 s3, exec_lo
                                        ; implicit-def: $vgpr29_vgpr30
	s_delay_alu instid0(VALU_DEP_1)
	v_cmpx_gt_u32_e64 s29, v31
	s_cbranch_execz .LBB683_31
; %bb.30:
	v_lshlrev_b32_e32 v29, 3, v31
	global_load_b64 v[29:30], v29, s[24:25]
.LBB683_31:
	s_or_b32 exec_lo, exec_lo, s3
	v_or_b32_e32 v33, 0x780, v0
	s_mov_b32 s3, exec_lo
                                        ; implicit-def: $vgpr31_vgpr32
	s_delay_alu instid0(VALU_DEP_1)
	v_cmpx_gt_u32_e64 s29, v33
	s_cbranch_execz .LBB683_33
; %bb.32:
	v_lshlrev_b32_e32 v31, 3, v33
	global_load_b64 v[31:32], v31, s[24:25]
.LBB683_33:
	s_or_b32 exec_lo, exec_lo, s3
	v_or_b32_e32 v35, 0x800, v0
	s_mov_b32 s3, exec_lo
                                        ; implicit-def: $vgpr33_vgpr34
	s_delay_alu instid0(VALU_DEP_1)
	v_cmpx_gt_u32_e64 s29, v35
	s_cbranch_execz .LBB683_35
; %bb.34:
	v_lshlrev_b32_e32 v33, 3, v35
	global_load_b64 v[33:34], v33, s[24:25]
.LBB683_35:
	s_or_b32 exec_lo, exec_lo, s3
	v_or_b32_e32 v37, 0x880, v0
	s_mov_b32 s3, exec_lo
                                        ; implicit-def: $vgpr35_vgpr36
	s_delay_alu instid0(VALU_DEP_1)
	v_cmpx_gt_u32_e64 s29, v37
	s_cbranch_execz .LBB683_37
; %bb.36:
	v_lshlrev_b32_e32 v35, 3, v37
	global_load_b64 v[35:36], v35, s[24:25]
.LBB683_37:
	s_or_b32 exec_lo, exec_lo, s3
	v_or_b32_e32 v39, 0x900, v0
	s_mov_b32 s3, exec_lo
                                        ; implicit-def: $vgpr37_vgpr38
	s_delay_alu instid0(VALU_DEP_1)
	v_cmpx_gt_u32_e64 s29, v39
	s_cbranch_execz .LBB683_39
; %bb.38:
	v_lshlrev_b32_e32 v37, 3, v39
	global_load_b64 v[37:38], v37, s[24:25]
.LBB683_39:
	s_or_b32 exec_lo, exec_lo, s3
	v_or_b32_e32 v41, 0x980, v0
	s_mov_b32 s3, exec_lo
                                        ; implicit-def: $vgpr39_vgpr40
	s_delay_alu instid0(VALU_DEP_1)
	v_cmpx_gt_u32_e64 s29, v41
	s_cbranch_execz .LBB683_41
; %bb.40:
	v_lshlrev_b32_e32 v39, 3, v41
	global_load_b64 v[39:40], v39, s[24:25]
.LBB683_41:
	s_or_b32 exec_lo, exec_lo, s3
	v_or_b32_e32 v43, 0xa00, v0
	s_mov_b32 s3, exec_lo
                                        ; implicit-def: $vgpr41_vgpr42
	s_delay_alu instid0(VALU_DEP_1)
	v_cmpx_gt_u32_e64 s29, v43
	s_cbranch_execz .LBB683_43
; %bb.42:
	v_lshlrev_b32_e32 v41, 3, v43
	global_load_b64 v[41:42], v41, s[24:25]
.LBB683_43:
	s_or_b32 exec_lo, exec_lo, s3
	v_or_b32_e32 v45, 0xa80, v0
	s_mov_b32 s3, exec_lo
                                        ; implicit-def: $vgpr43_vgpr44
	s_delay_alu instid0(VALU_DEP_1)
	v_cmpx_gt_u32_e64 s29, v45
	s_cbranch_execz .LBB683_45
; %bb.44:
	v_lshlrev_b32_e32 v43, 3, v45
	global_load_b64 v[43:44], v43, s[24:25]
.LBB683_45:
	s_or_b32 exec_lo, exec_lo, s3
	v_or_b32_e32 v47, 0xb00, v0
	s_mov_b32 s3, exec_lo
                                        ; implicit-def: $vgpr45_vgpr46
	s_delay_alu instid0(VALU_DEP_1)
	v_cmpx_gt_u32_e64 s29, v47
	s_cbranch_execz .LBB683_47
; %bb.46:
	v_lshlrev_b32_e32 v45, 3, v47
	global_load_b64 v[45:46], v45, s[24:25]
.LBB683_47:
	s_or_b32 exec_lo, exec_lo, s3
	v_or_b32_e32 v49, 0xb80, v0
	s_mov_b32 s3, exec_lo
                                        ; implicit-def: $vgpr47_vgpr48
	s_delay_alu instid0(VALU_DEP_1)
	v_cmpx_gt_u32_e64 s29, v49
	s_cbranch_execz .LBB683_49
; %bb.48:
	v_lshlrev_b32_e32 v47, 3, v49
	global_load_b64 v[47:48], v47, s[24:25]
.LBB683_49:
	s_or_b32 exec_lo, exec_lo, s3
	v_or_b32_e32 v51, 0xc00, v0
	s_mov_b32 s3, exec_lo
                                        ; implicit-def: $vgpr49_vgpr50
	s_delay_alu instid0(VALU_DEP_1)
	v_cmpx_gt_u32_e64 s29, v51
	s_cbranch_execz .LBB683_51
; %bb.50:
	v_lshlrev_b32_e32 v49, 3, v51
	global_load_b64 v[49:50], v49, s[24:25]
.LBB683_51:
	s_or_b32 exec_lo, exec_lo, s3
	v_or_b32_e32 v53, 0xc80, v0
	s_mov_b32 s3, exec_lo
                                        ; implicit-def: $vgpr51_vgpr52
	s_delay_alu instid0(VALU_DEP_1)
	v_cmpx_gt_u32_e64 s29, v53
	s_cbranch_execz .LBB683_53
; %bb.52:
	v_lshlrev_b32_e32 v51, 3, v53
	global_load_b64 v[51:52], v51, s[24:25]
.LBB683_53:
	s_or_b32 exec_lo, exec_lo, s3
	v_or_b32_e32 v55, 0xd00, v0
	s_mov_b32 s3, exec_lo
                                        ; implicit-def: $vgpr53_vgpr54
	s_delay_alu instid0(VALU_DEP_1)
	v_cmpx_gt_u32_e64 s29, v55
	s_cbranch_execz .LBB683_55
; %bb.54:
	v_lshlrev_b32_e32 v53, 3, v55
	global_load_b64 v[53:54], v53, s[24:25]
.LBB683_55:
	s_or_b32 exec_lo, exec_lo, s3
	v_or_b32_e32 v57, 0xd80, v0
	s_mov_b32 s3, exec_lo
                                        ; implicit-def: $vgpr55_vgpr56
	s_delay_alu instid0(VALU_DEP_1)
	v_cmpx_gt_u32_e64 s29, v57
	s_cbranch_execz .LBB683_57
; %bb.56:
	v_lshlrev_b32_e32 v55, 3, v57
	global_load_b64 v[55:56], v55, s[24:25]
.LBB683_57:
	s_or_b32 exec_lo, exec_lo, s3
	v_or_b32_e32 v59, 0xe00, v0
	s_mov_b32 s3, exec_lo
                                        ; implicit-def: $vgpr57_vgpr58
	s_delay_alu instid0(VALU_DEP_1)
	v_cmpx_gt_u32_e64 s29, v59
	s_cbranch_execz .LBB683_59
; %bb.58:
	v_lshlrev_b32_e32 v57, 3, v59
	global_load_b64 v[57:58], v57, s[24:25]
.LBB683_59:
	s_or_b32 exec_lo, exec_lo, s3
	v_lshlrev_b32_e32 v59, 3, v0
	s_mov_b32 s3, 0
	s_waitcnt vmcnt(0)
	ds_store_2addr_stride64_b64 v59, v[1:2], v[3:4] offset1:2
	ds_store_2addr_stride64_b64 v59, v[5:6], v[7:8] offset0:4 offset1:6
	ds_store_2addr_stride64_b64 v59, v[9:10], v[11:12] offset0:8 offset1:10
	;; [unrolled: 1-line block ×13, first 2 shown]
	ds_store_b64 v59, v[57:58] offset:28672
	s_waitcnt lgkmcnt(0)
	s_barrier
.LBB683_60:
	v_lshlrev_b32_e32 v195, 3, v0
	s_and_b32 vcc_lo, exec_lo, s3
	s_cbranch_vccz .LBB683_62
; %bb.61:
	s_mov_b32 s3, 0
	s_delay_alu instid0(SALU_CYCLE_1) | instskip(NEXT) | instid1(SALU_CYCLE_1)
	s_lshl_b64 s[24:25], s[2:3], 3
	s_add_u32 s24, s27, s24
	s_addc_u32 s25, s28, s25
	v_add_co_u32 v49, s3, s24, v195
	s_delay_alu instid0(VALU_DEP_1)
	v_add_co_ci_u32_e64 v50, null, s25, 0, s3
	s_clause 0x3
	global_load_b64 v[1:2], v195, s[24:25]
	global_load_b64 v[3:4], v195, s[24:25] offset:1024
	global_load_b64 v[5:6], v195, s[24:25] offset:2048
	;; [unrolled: 1-line block ×3, first 2 shown]
	v_add_co_u32 v9, vcc_lo, 0x1000, v49
	v_add_co_ci_u32_e32 v10, vcc_lo, 0, v50, vcc_lo
	v_add_co_u32 v11, vcc_lo, v49, 0x2000
	v_add_co_ci_u32_e32 v12, vcc_lo, 0, v50, vcc_lo
	;; [unrolled: 2-line block ×10, first 2 shown]
	s_clause 0x18
	global_load_b64 v[15:16], v[11:12], off offset:-4096
	global_load_b64 v[17:18], v[9:10], off offset:1024
	global_load_b64 v[19:20], v[9:10], off offset:2048
	global_load_b64 v[9:10], v[9:10], off offset:3072
	global_load_b64 v[21:22], v[13:14], off offset:1024
	global_load_b64 v[29:30], v[13:14], off offset:2048
	global_load_b64 v[13:14], v[13:14], off offset:3072
	global_load_b64 v[31:32], v[23:24], off offset:1024
	global_load_b64 v[33:34], v[23:24], off offset:2048
	global_load_b64 v[23:24], v[23:24], off offset:3072
	global_load_b64 v[35:36], v[27:28], off offset:1024
	global_load_b64 v[37:38], v[27:28], off offset:2048
	global_load_b64 v[27:28], v[27:28], off offset:3072
	global_load_b64 v[11:12], v[11:12], off
	global_load_b64 v[43:44], v[25:26], off offset:-4096
	global_load_b64 v[25:26], v[25:26], off
	global_load_b64 v[45:46], v[39:40], off offset:-4096
	global_load_b64 v[39:40], v[39:40], off
	global_load_b64 v[51:52], v[41:42], off offset:1024
	global_load_b64 v[53:54], v[41:42], off offset:2048
	;; [unrolled: 1-line block ×6, first 2 shown]
	global_load_b64 v[49:50], v[49:50], off
	s_waitcnt vmcnt(27)
	ds_store_2addr_stride64_b64 v195, v[1:2], v[3:4] offset1:2
	s_waitcnt vmcnt(25)
	ds_store_2addr_stride64_b64 v195, v[5:6], v[7:8] offset0:4 offset1:6
	s_waitcnt vmcnt(23)
	ds_store_2addr_stride64_b64 v195, v[15:16], v[17:18] offset0:8 offset1:10
	;; [unrolled: 2-line block ×4, first 2 shown]
	ds_store_2addr_stride64_b64 v195, v[29:30], v[13:14] offset0:20 offset1:22
	s_waitcnt vmcnt(10)
	ds_store_2addr_stride64_b64 v195, v[43:44], v[31:32] offset0:24 offset1:26
	ds_store_2addr_stride64_b64 v195, v[33:34], v[23:24] offset0:28 offset1:30
	s_waitcnt vmcnt(9)
	ds_store_2addr_stride64_b64 v195, v[25:26], v[35:36] offset0:32 offset1:34
	;; [unrolled: 3-line block ×3, first 2 shown]
	s_waitcnt vmcnt(4)
	ds_store_2addr_stride64_b64 v195, v[53:54], v[41:42] offset0:44 offset1:46
	s_waitcnt vmcnt(3)
	ds_store_2addr_stride64_b64 v195, v[39:40], v[55:56] offset0:48 offset1:50
	;; [unrolled: 2-line block ×3, first 2 shown]
	s_waitcnt vmcnt(0)
	ds_store_b64 v195, v[49:50] offset:28672
	s_waitcnt lgkmcnt(0)
	s_barrier
.LBB683_62:
	v_mul_u32_u24_e32 v1, 29, v0
	buffer_gl0_inv
	s_cmp_eq_u64 s[20:21], 0
	v_lshlrev_b32_e32 v53, 3, v1
	ds_load_b64 v[109:110], v53 offset:224
	ds_load_2addr_b64 v[5:8], v53 offset0:26 offset1:27
	ds_load_2addr_b64 v[9:12], v53 offset0:24 offset1:25
	ds_load_2addr_b64 v[1:4], v53 offset1:1
	ds_load_2addr_b64 v[13:16], v53 offset0:2 offset1:3
	ds_load_2addr_b64 v[17:20], v53 offset0:4 offset1:5
	;; [unrolled: 1-line block ×11, first 2 shown]
	s_waitcnt lgkmcnt(0)
	s_barrier
	buffer_gl0_inv
	s_cbranch_scc1 .LBB683_71
; %bb.63:
	s_lshl_b64 s[14:15], s[14:15], 3
	s_delay_alu instid0(SALU_CYCLE_1) | instskip(SKIP_2) | instid1(SALU_CYCLE_1)
	s_add_u32 s3, s12, s14
	s_addc_u32 s14, s13, s15
	s_lshl_b64 s[12:13], s[22:23], 3
	s_add_u32 s3, s3, s12
	s_addc_u32 s13, s14, s13
	s_add_u32 s12, s3, -8
	s_addc_u32 s13, s13, -1
	s_cmp_lg_u64 s[20:21], s[0:1]
	s_load_b64 s[12:13], s[12:13], 0x0
	s_cbranch_scc0 .LBB683_72
; %bb.64:
	v_mul_lo_u32 v59, v8, s8
	v_mul_lo_u32 v60, v7, s9
	v_mad_u64_u32 v[57:58], null, v7, s8, 0
	v_mov_b32_e32 v113, 0
	v_mov_b32_e32 v114, 0
	v_cmp_lt_i64_e64 s0, s[8:9], 1
	v_cmp_gt_i64_e64 s1, s[8:9], 0
	s_delay_alu instid0(VALU_DEP_4) | instskip(SKIP_4) | instid1(VALU_DEP_1)
	v_mov_b32_e32 v111, v113
	ds_store_b64 v195, v[109:110]
	v_mov_b32_e32 v112, v114
	v_add3_u32 v58, v58, v60, v59
	s_and_b32 vcc_lo, exec_lo, s0
	v_lshlrev_b64 v[57:58], 1, v[57:58]
	s_cbranch_vccnz .LBB683_76
; %bb.65:
	v_mul_lo_u32 v61, v110, s8
	v_mul_lo_u32 v62, v109, s9
	v_mad_u64_u32 v[59:60], null, v109, s8, 0
	v_mov_b32_e32 v111, 1
	v_mov_b32_e32 v112, 0
	s_mov_b32 s3, exec_lo
	s_delay_alu instid0(VALU_DEP_3) | instskip(NEXT) | instid1(VALU_DEP_1)
	v_add3_u32 v60, v60, v62, v61
	v_lshlrev_b64 v[59:60], 1, v[59:60]
	s_delay_alu instid0(VALU_DEP_1) | instskip(NEXT) | instid1(VALU_DEP_2)
	v_add_co_u32 v61, vcc_lo, s10, v59
	v_add_co_ci_u32_e32 v62, vcc_lo, s11, v60, vcc_lo
	v_add_co_u32 v59, vcc_lo, s10, v57
	v_add_co_ci_u32_e32 v60, vcc_lo, s11, v58, vcc_lo
	s_clause 0x1
	global_load_u16 v63, v[61:62], off
	global_load_u16 v64, v[59:60], off
	s_waitcnt vmcnt(0)
	v_cmpx_eq_u16_e64 v63, v64
	s_cbranch_execz .LBB683_75
; %bb.66:
	v_add_co_u32 v59, vcc_lo, v59, 2
	v_add_co_ci_u32_e32 v60, vcc_lo, 0, v60, vcc_lo
	v_add_co_u32 v61, vcc_lo, v61, 2
	v_add_co_ci_u32_e32 v62, vcc_lo, 0, v62, vcc_lo
	s_add_u32 s14, s8, -1
	s_addc_u32 s15, s9, -1
	s_mov_b64 s[22:23], 0
	s_mov_b32 s21, 0
                                        ; implicit-def: $sgpr24
	s_set_inst_prefetch_distance 0x1
	s_branch .LBB683_69
	.p2align	6
.LBB683_67:                             ;   in Loop: Header=BB683_69 Depth=1
	global_load_u16 v63, v[61:62], off
	global_load_u16 v64, v[59:60], off
	v_add_co_u32 v59, vcc_lo, v59, 2
	v_add_co_ci_u32_e32 v60, vcc_lo, 0, v60, vcc_lo
	v_add_co_u32 v61, s0, v61, 2
	s_delay_alu instid0(VALU_DEP_1)
	v_add_co_ci_u32_e64 v62, s0, 0, v62, s0
	s_add_u32 s22, s22, 1
	s_addc_u32 s23, s23, 0
	s_and_not1_b32 s0, s24, exec_lo
	s_waitcnt vmcnt(0)
	v_cmp_ne_u16_e32 vcc_lo, v63, v64
	s_and_b32 s24, vcc_lo, exec_lo
	s_delay_alu instid0(SALU_CYCLE_1)
	s_or_b32 s24, s0, s24
.LBB683_68:                             ;   in Loop: Header=BB683_69 Depth=1
	v_dual_mov_b32 v64, s23 :: v_dual_mov_b32 v63, s22
	s_and_b32 s0, exec_lo, s24
	s_delay_alu instid0(SALU_CYCLE_1) | instskip(NEXT) | instid1(SALU_CYCLE_1)
	s_or_b32 s21, s0, s21
	s_and_not1_b32 exec_lo, exec_lo, s21
	s_cbranch_execz .LBB683_74
.LBB683_69:                             ; =>This Inner Loop Header: Depth=1
	s_or_b32 s24, s24, exec_lo
	s_cmp_eq_u64 s[14:15], s[22:23]
	s_cbranch_scc0 .LBB683_67
; %bb.70:                               ;   in Loop: Header=BB683_69 Depth=1
	s_mov_b64 s[22:23], s[8:9]
                                        ; implicit-def: $vgpr59_vgpr60
                                        ; implicit-def: $vgpr61_vgpr62
	s_branch .LBB683_68
.LBB683_71:
	s_mov_b32 s1, 0
                                        ; implicit-def: $sgpr0
                                        ; implicit-def: $vgpr165_vgpr166
                                        ; implicit-def: $vgpr163_vgpr164
                                        ; implicit-def: $vgpr161_vgpr162
                                        ; implicit-def: $vgpr159_vgpr160
                                        ; implicit-def: $vgpr157_vgpr158
                                        ; implicit-def: $vgpr155_vgpr156
                                        ; implicit-def: $vgpr153_vgpr154
                                        ; implicit-def: $vgpr151_vgpr152
                                        ; implicit-def: $vgpr149_vgpr150
                                        ; implicit-def: $vgpr147_vgpr148
                                        ; implicit-def: $vgpr145_vgpr146
                                        ; implicit-def: $vgpr143_vgpr144
                                        ; implicit-def: $vgpr141_vgpr142
                                        ; implicit-def: $vgpr139_vgpr140
                                        ; implicit-def: $vgpr137_vgpr138
                                        ; implicit-def: $vgpr135_vgpr136
                                        ; implicit-def: $vgpr133_vgpr134
                                        ; implicit-def: $vgpr131_vgpr132
                                        ; implicit-def: $vgpr129_vgpr130
                                        ; implicit-def: $vgpr127_vgpr128
                                        ; implicit-def: $vgpr125_vgpr126
                                        ; implicit-def: $vgpr123_vgpr124
                                        ; implicit-def: $vgpr121_vgpr122
                                        ; implicit-def: $vgpr119_vgpr120
                                        ; implicit-def: $vgpr117_vgpr118
                                        ; implicit-def: $vgpr113_vgpr114
                                        ; implicit-def: $vgpr115_vgpr116
                                        ; implicit-def: $vgpr111_vgpr112
                                        ; implicit-def: $vgpr181_vgpr182
                                        ; implicit-def: $vgpr167_vgpr168
                                        ; implicit-def: $vgpr169_vgpr170
                                        ; implicit-def: $vgpr171_vgpr172
                                        ; implicit-def: $vgpr173_vgpr174
                                        ; implicit-def: $vgpr175_vgpr176
                                        ; implicit-def: $vgpr177_vgpr178
                                        ; implicit-def: $vgpr179_vgpr180
                                        ; implicit-def: $vgpr183_vgpr184
                                        ; implicit-def: $vgpr185_vgpr186
                                        ; implicit-def: $vgpr187_vgpr188
                                        ; implicit-def: $vgpr189_vgpr190
                                        ; implicit-def: $vgpr191_vgpr192
                                        ; implicit-def: $vgpr193_vgpr194
                                        ; implicit-def: $vgpr57_vgpr58_vgpr59_vgpr60
                                        ; implicit-def: $vgpr61_vgpr62_vgpr63_vgpr64
                                        ; implicit-def: $vgpr65_vgpr66_vgpr67_vgpr68
                                        ; implicit-def: $vgpr69_vgpr70_vgpr71_vgpr72
                                        ; implicit-def: $vgpr73_vgpr74_vgpr75_vgpr76
                                        ; implicit-def: $vgpr77_vgpr78_vgpr79_vgpr80
                                        ; implicit-def: $vgpr81_vgpr82_vgpr83_vgpr84
                                        ; implicit-def: $vgpr85_vgpr86_vgpr87_vgpr88
                                        ; implicit-def: $vgpr89_vgpr90_vgpr91_vgpr92
                                        ; implicit-def: $vgpr93_vgpr94_vgpr95_vgpr96
                                        ; implicit-def: $vgpr97_vgpr98_vgpr99_vgpr100
                                        ; implicit-def: $vgpr101_vgpr102_vgpr103_vgpr104
                                        ; implicit-def: $vgpr105_vgpr106_vgpr107_vgpr108
	s_cbranch_execnz .LBB683_655
	s_branch .LBB683_1243
.LBB683_72:
	s_mov_b32 s1, 0
                                        ; implicit-def: $sgpr0
                                        ; implicit-def: $vgpr165_vgpr166
                                        ; implicit-def: $vgpr163_vgpr164
                                        ; implicit-def: $vgpr161_vgpr162
                                        ; implicit-def: $vgpr159_vgpr160
                                        ; implicit-def: $vgpr157_vgpr158
                                        ; implicit-def: $vgpr155_vgpr156
                                        ; implicit-def: $vgpr153_vgpr154
                                        ; implicit-def: $vgpr151_vgpr152
                                        ; implicit-def: $vgpr149_vgpr150
                                        ; implicit-def: $vgpr147_vgpr148
                                        ; implicit-def: $vgpr145_vgpr146
                                        ; implicit-def: $vgpr143_vgpr144
                                        ; implicit-def: $vgpr141_vgpr142
                                        ; implicit-def: $vgpr139_vgpr140
                                        ; implicit-def: $vgpr137_vgpr138
                                        ; implicit-def: $vgpr135_vgpr136
                                        ; implicit-def: $vgpr133_vgpr134
                                        ; implicit-def: $vgpr131_vgpr132
                                        ; implicit-def: $vgpr129_vgpr130
                                        ; implicit-def: $vgpr127_vgpr128
                                        ; implicit-def: $vgpr125_vgpr126
                                        ; implicit-def: $vgpr123_vgpr124
                                        ; implicit-def: $vgpr121_vgpr122
                                        ; implicit-def: $vgpr119_vgpr120
                                        ; implicit-def: $vgpr117_vgpr118
                                        ; implicit-def: $vgpr113_vgpr114
                                        ; implicit-def: $vgpr115_vgpr116
                                        ; implicit-def: $vgpr111_vgpr112
	s_cbranch_execnz .LBB683_332
.LBB683_73:
                                        ; implicit-def: $vgpr181_vgpr182
                                        ; implicit-def: $vgpr167_vgpr168
                                        ; implicit-def: $vgpr169_vgpr170
                                        ; implicit-def: $vgpr171_vgpr172
                                        ; implicit-def: $vgpr173_vgpr174
                                        ; implicit-def: $vgpr175_vgpr176
                                        ; implicit-def: $vgpr177_vgpr178
                                        ; implicit-def: $vgpr179_vgpr180
                                        ; implicit-def: $vgpr183_vgpr184
                                        ; implicit-def: $vgpr185_vgpr186
                                        ; implicit-def: $vgpr187_vgpr188
                                        ; implicit-def: $vgpr189_vgpr190
                                        ; implicit-def: $vgpr191_vgpr192
                                        ; implicit-def: $vgpr193_vgpr194
                                        ; implicit-def: $vgpr57_vgpr58_vgpr59_vgpr60
                                        ; implicit-def: $vgpr61_vgpr62_vgpr63_vgpr64
                                        ; implicit-def: $vgpr65_vgpr66_vgpr67_vgpr68
                                        ; implicit-def: $vgpr69_vgpr70_vgpr71_vgpr72
                                        ; implicit-def: $vgpr73_vgpr74_vgpr75_vgpr76
                                        ; implicit-def: $vgpr77_vgpr78_vgpr79_vgpr80
                                        ; implicit-def: $vgpr81_vgpr82_vgpr83_vgpr84
                                        ; implicit-def: $vgpr85_vgpr86_vgpr87_vgpr88
                                        ; implicit-def: $vgpr89_vgpr90_vgpr91_vgpr92
                                        ; implicit-def: $vgpr93_vgpr94_vgpr95_vgpr96
                                        ; implicit-def: $vgpr97_vgpr98_vgpr99_vgpr100
                                        ; implicit-def: $vgpr101_vgpr102_vgpr103_vgpr104
                                        ; implicit-def: $vgpr105_vgpr106_vgpr107_vgpr108
	s_branch .LBB683_1243
.LBB683_74:
	s_set_inst_prefetch_distance 0x2
	s_or_b32 exec_lo, exec_lo, s21
	v_cmp_gt_i64_e32 vcc_lo, s[8:9], v[63:64]
	s_mov_b32 s0, 0
	s_delay_alu instid0(SALU_CYCLE_1)
	v_mov_b32_e32 v112, s0
	v_cndmask_b32_e64 v111, 0, 1, vcc_lo
.LBB683_75:
	s_or_b32 exec_lo, exec_lo, s3
.LBB683_76:
	v_mul_lo_u32 v61, v6, s8
	v_mul_lo_u32 v62, v5, s9
	v_mad_u64_u32 v[59:60], null, v5, s8, 0
	v_cndmask_b32_e64 v65, 0, 1, s1
	v_dual_mov_b32 v116, v114 :: v_dual_mov_b32 v115, v113
	s_and_not1_b32 vcc_lo, exec_lo, s1
	s_delay_alu instid0(VALU_DEP_3) | instskip(NEXT) | instid1(VALU_DEP_1)
	v_add3_u32 v60, v60, v62, v61
	v_lshlrev_b64 v[59:60], 1, v[59:60]
	s_cbranch_vccnz .LBB683_85
; %bb.77:
	v_add_co_u32 v61, vcc_lo, s10, v57
	v_add_co_ci_u32_e32 v62, vcc_lo, s11, v58, vcc_lo
	s_delay_alu instid0(VALU_DEP_3) | instskip(NEXT) | instid1(VALU_DEP_4)
	v_add_co_u32 v57, vcc_lo, s10, v59
	v_add_co_ci_u32_e32 v58, vcc_lo, s11, v60, vcc_lo
	v_mov_b32_e32 v115, 1
	s_clause 0x1
	global_load_u16 v63, v[61:62], off
	global_load_u16 v64, v[57:58], off
	v_mov_b32_e32 v116, 0
	s_mov_b32 s1, exec_lo
	s_waitcnt vmcnt(0)
	v_cmpx_eq_u16_e64 v63, v64
	s_cbranch_execz .LBB683_84
; %bb.78:
	v_add_co_u32 v57, vcc_lo, v57, 2
	v_add_co_ci_u32_e32 v58, vcc_lo, 0, v58, vcc_lo
	v_add_co_u32 v61, vcc_lo, v61, 2
	v_add_co_ci_u32_e32 v62, vcc_lo, 0, v62, vcc_lo
	s_add_u32 s14, s8, -1
	s_addc_u32 s15, s9, -1
	s_mov_b64 s[22:23], 0
	s_mov_b32 s3, 0
                                        ; implicit-def: $sgpr21
	s_set_inst_prefetch_distance 0x1
	s_branch .LBB683_81
	.p2align	6
.LBB683_79:                             ;   in Loop: Header=BB683_81 Depth=1
	global_load_u16 v63, v[61:62], off
	global_load_u16 v64, v[57:58], off
	v_add_co_u32 v57, vcc_lo, v57, 2
	v_add_co_ci_u32_e32 v58, vcc_lo, 0, v58, vcc_lo
	v_add_co_u32 v61, s0, v61, 2
	s_delay_alu instid0(VALU_DEP_1)
	v_add_co_ci_u32_e64 v62, s0, 0, v62, s0
	s_add_u32 s22, s22, 1
	s_addc_u32 s23, s23, 0
	s_and_not1_b32 s0, s21, exec_lo
	s_waitcnt vmcnt(0)
	v_cmp_ne_u16_e32 vcc_lo, v63, v64
	s_and_b32 s21, vcc_lo, exec_lo
	s_delay_alu instid0(SALU_CYCLE_1)
	s_or_b32 s21, s0, s21
.LBB683_80:                             ;   in Loop: Header=BB683_81 Depth=1
	v_dual_mov_b32 v64, s23 :: v_dual_mov_b32 v63, s22
	s_and_b32 s0, exec_lo, s21
	s_delay_alu instid0(SALU_CYCLE_1) | instskip(NEXT) | instid1(SALU_CYCLE_1)
	s_or_b32 s3, s0, s3
	s_and_not1_b32 exec_lo, exec_lo, s3
	s_cbranch_execz .LBB683_83
.LBB683_81:                             ; =>This Inner Loop Header: Depth=1
	s_or_b32 s21, s21, exec_lo
	s_cmp_eq_u64 s[14:15], s[22:23]
	s_cbranch_scc0 .LBB683_79
; %bb.82:                               ;   in Loop: Header=BB683_81 Depth=1
	s_mov_b64 s[22:23], s[8:9]
                                        ; implicit-def: $vgpr57_vgpr58
                                        ; implicit-def: $vgpr61_vgpr62
	s_branch .LBB683_80
.LBB683_83:
	s_set_inst_prefetch_distance 0x2
	s_or_b32 exec_lo, exec_lo, s3
	v_cmp_gt_i64_e32 vcc_lo, s[8:9], v[63:64]
	s_mov_b32 s0, 0
	s_delay_alu instid0(SALU_CYCLE_1)
	v_mov_b32_e32 v116, s0
	v_cndmask_b32_e64 v115, 0, 1, vcc_lo
.LBB683_84:
	s_or_b32 exec_lo, exec_lo, s1
.LBB683_85:
	v_mul_lo_u32 v61, v12, s8
	v_mul_lo_u32 v62, v11, s9
	v_mad_u64_u32 v[57:58], null, v11, s8, 0
	v_cmp_ne_u32_e32 vcc_lo, 1, v65
	s_delay_alu instid0(VALU_DEP_2) | instskip(NEXT) | instid1(VALU_DEP_1)
	v_add3_u32 v58, v58, v62, v61
	v_lshlrev_b64 v[57:58], 1, v[57:58]
	s_cbranch_vccnz .LBB683_94
; %bb.86:
	v_add_co_u32 v61, vcc_lo, s10, v59
	v_add_co_ci_u32_e32 v62, vcc_lo, s11, v60, vcc_lo
	s_delay_alu instid0(VALU_DEP_3) | instskip(NEXT) | instid1(VALU_DEP_4)
	v_add_co_u32 v59, vcc_lo, s10, v57
	v_add_co_ci_u32_e32 v60, vcc_lo, s11, v58, vcc_lo
	v_mov_b32_e32 v113, 1
	s_clause 0x1
	global_load_u16 v63, v[61:62], off
	global_load_u16 v64, v[59:60], off
	v_mov_b32_e32 v114, 0
	s_mov_b32 s1, exec_lo
	s_waitcnt vmcnt(0)
	v_cmpx_eq_u16_e64 v63, v64
	s_cbranch_execz .LBB683_93
; %bb.87:
	v_add_co_u32 v59, vcc_lo, v59, 2
	v_add_co_ci_u32_e32 v60, vcc_lo, 0, v60, vcc_lo
	v_add_co_u32 v61, vcc_lo, v61, 2
	v_add_co_ci_u32_e32 v62, vcc_lo, 0, v62, vcc_lo
	s_add_u32 s14, s8, -1
	s_addc_u32 s15, s9, -1
	s_mov_b64 s[22:23], 0
	s_mov_b32 s3, 0
                                        ; implicit-def: $sgpr21
	s_set_inst_prefetch_distance 0x1
	s_branch .LBB683_90
	.p2align	6
.LBB683_88:                             ;   in Loop: Header=BB683_90 Depth=1
	global_load_u16 v63, v[61:62], off
	global_load_u16 v64, v[59:60], off
	v_add_co_u32 v59, vcc_lo, v59, 2
	v_add_co_ci_u32_e32 v60, vcc_lo, 0, v60, vcc_lo
	v_add_co_u32 v61, s0, v61, 2
	s_delay_alu instid0(VALU_DEP_1)
	v_add_co_ci_u32_e64 v62, s0, 0, v62, s0
	s_add_u32 s22, s22, 1
	s_addc_u32 s23, s23, 0
	s_and_not1_b32 s0, s21, exec_lo
	s_waitcnt vmcnt(0)
	v_cmp_ne_u16_e32 vcc_lo, v63, v64
	s_and_b32 s21, vcc_lo, exec_lo
	s_delay_alu instid0(SALU_CYCLE_1)
	s_or_b32 s21, s0, s21
.LBB683_89:                             ;   in Loop: Header=BB683_90 Depth=1
	v_dual_mov_b32 v64, s23 :: v_dual_mov_b32 v63, s22
	s_and_b32 s0, exec_lo, s21
	s_delay_alu instid0(SALU_CYCLE_1) | instskip(NEXT) | instid1(SALU_CYCLE_1)
	s_or_b32 s3, s0, s3
	s_and_not1_b32 exec_lo, exec_lo, s3
	s_cbranch_execz .LBB683_92
.LBB683_90:                             ; =>This Inner Loop Header: Depth=1
	s_or_b32 s21, s21, exec_lo
	s_cmp_eq_u64 s[14:15], s[22:23]
	s_cbranch_scc0 .LBB683_88
; %bb.91:                               ;   in Loop: Header=BB683_90 Depth=1
	s_mov_b64 s[22:23], s[8:9]
                                        ; implicit-def: $vgpr59_vgpr60
                                        ; implicit-def: $vgpr61_vgpr62
	s_branch .LBB683_89
.LBB683_92:
	s_set_inst_prefetch_distance 0x2
	s_or_b32 exec_lo, exec_lo, s3
	v_cmp_gt_i64_e32 vcc_lo, s[8:9], v[63:64]
	s_mov_b32 s0, 0
	s_delay_alu instid0(SALU_CYCLE_1)
	v_mov_b32_e32 v114, s0
	v_cndmask_b32_e64 v113, 0, 1, vcc_lo
.LBB683_93:
	s_or_b32 exec_lo, exec_lo, s1
.LBB683_94:
	v_mul_lo_u32 v61, v10, s8
	v_mul_lo_u32 v62, v9, s9
	v_mad_u64_u32 v[59:60], null, v9, s8, 0
	v_mov_b32_e32 v119, 0
	v_mov_b32_e32 v120, 0
	v_cmp_ne_u32_e32 vcc_lo, 1, v65
	s_delay_alu instid0(VALU_DEP_2) | instskip(SKIP_1) | instid1(VALU_DEP_1)
	v_dual_mov_b32 v117, v119 :: v_dual_mov_b32 v118, v120
	v_add3_u32 v60, v60, v62, v61
	v_lshlrev_b64 v[59:60], 1, v[59:60]
	s_cbranch_vccnz .LBB683_103
; %bb.95:
	v_add_co_u32 v61, vcc_lo, s10, v57
	v_add_co_ci_u32_e32 v62, vcc_lo, s11, v58, vcc_lo
	s_delay_alu instid0(VALU_DEP_3) | instskip(NEXT) | instid1(VALU_DEP_4)
	v_add_co_u32 v57, vcc_lo, s10, v59
	v_add_co_ci_u32_e32 v58, vcc_lo, s11, v60, vcc_lo
	v_mov_b32_e32 v117, 1
	s_clause 0x1
	global_load_u16 v63, v[61:62], off
	global_load_u16 v64, v[57:58], off
	v_mov_b32_e32 v118, 0
	s_mov_b32 s1, exec_lo
	s_waitcnt vmcnt(0)
	v_cmpx_eq_u16_e64 v63, v64
	s_cbranch_execz .LBB683_102
; %bb.96:
	v_add_co_u32 v57, vcc_lo, v57, 2
	v_add_co_ci_u32_e32 v58, vcc_lo, 0, v58, vcc_lo
	v_add_co_u32 v61, vcc_lo, v61, 2
	v_add_co_ci_u32_e32 v62, vcc_lo, 0, v62, vcc_lo
	s_add_u32 s14, s8, -1
	s_addc_u32 s15, s9, -1
	s_mov_b64 s[22:23], 0
	s_mov_b32 s3, 0
                                        ; implicit-def: $sgpr21
	s_set_inst_prefetch_distance 0x1
	s_branch .LBB683_99
	.p2align	6
.LBB683_97:                             ;   in Loop: Header=BB683_99 Depth=1
	global_load_u16 v63, v[61:62], off
	global_load_u16 v64, v[57:58], off
	v_add_co_u32 v57, vcc_lo, v57, 2
	v_add_co_ci_u32_e32 v58, vcc_lo, 0, v58, vcc_lo
	v_add_co_u32 v61, s0, v61, 2
	s_delay_alu instid0(VALU_DEP_1)
	v_add_co_ci_u32_e64 v62, s0, 0, v62, s0
	s_add_u32 s22, s22, 1
	s_addc_u32 s23, s23, 0
	s_and_not1_b32 s0, s21, exec_lo
	s_waitcnt vmcnt(0)
	v_cmp_ne_u16_e32 vcc_lo, v63, v64
	s_and_b32 s21, vcc_lo, exec_lo
	s_delay_alu instid0(SALU_CYCLE_1)
	s_or_b32 s21, s0, s21
.LBB683_98:                             ;   in Loop: Header=BB683_99 Depth=1
	v_dual_mov_b32 v64, s23 :: v_dual_mov_b32 v63, s22
	s_and_b32 s0, exec_lo, s21
	s_delay_alu instid0(SALU_CYCLE_1) | instskip(NEXT) | instid1(SALU_CYCLE_1)
	s_or_b32 s3, s0, s3
	s_and_not1_b32 exec_lo, exec_lo, s3
	s_cbranch_execz .LBB683_101
.LBB683_99:                             ; =>This Inner Loop Header: Depth=1
	s_or_b32 s21, s21, exec_lo
	s_cmp_eq_u64 s[14:15], s[22:23]
	s_cbranch_scc0 .LBB683_97
; %bb.100:                              ;   in Loop: Header=BB683_99 Depth=1
	s_mov_b64 s[22:23], s[8:9]
                                        ; implicit-def: $vgpr57_vgpr58
                                        ; implicit-def: $vgpr61_vgpr62
	s_branch .LBB683_98
.LBB683_101:
	s_set_inst_prefetch_distance 0x2
	s_or_b32 exec_lo, exec_lo, s3
	v_cmp_gt_i64_e32 vcc_lo, s[8:9], v[63:64]
	s_mov_b32 s0, 0
	s_delay_alu instid0(SALU_CYCLE_1)
	v_mov_b32_e32 v118, s0
	v_cndmask_b32_e64 v117, 0, 1, vcc_lo
.LBB683_102:
	s_or_b32 exec_lo, exec_lo, s1
.LBB683_103:
	v_mul_lo_u32 v61, v56, s8
	v_mul_lo_u32 v62, v55, s9
	v_mad_u64_u32 v[57:58], null, v55, s8, 0
	v_cmp_ne_u32_e32 vcc_lo, 1, v65
	s_delay_alu instid0(VALU_DEP_2) | instskip(NEXT) | instid1(VALU_DEP_1)
	v_add3_u32 v58, v58, v62, v61
	v_lshlrev_b64 v[57:58], 1, v[57:58]
	s_cbranch_vccnz .LBB683_112
; %bb.104:
	v_add_co_u32 v61, vcc_lo, s10, v59
	v_add_co_ci_u32_e32 v62, vcc_lo, s11, v60, vcc_lo
	s_delay_alu instid0(VALU_DEP_3) | instskip(NEXT) | instid1(VALU_DEP_4)
	v_add_co_u32 v59, vcc_lo, s10, v57
	v_add_co_ci_u32_e32 v60, vcc_lo, s11, v58, vcc_lo
	v_mov_b32_e32 v119, 1
	s_clause 0x1
	global_load_u16 v63, v[61:62], off
	global_load_u16 v64, v[59:60], off
	v_mov_b32_e32 v120, 0
	s_mov_b32 s1, exec_lo
	s_waitcnt vmcnt(0)
	v_cmpx_eq_u16_e64 v63, v64
	s_cbranch_execz .LBB683_111
; %bb.105:
	v_add_co_u32 v59, vcc_lo, v59, 2
	v_add_co_ci_u32_e32 v60, vcc_lo, 0, v60, vcc_lo
	v_add_co_u32 v61, vcc_lo, v61, 2
	v_add_co_ci_u32_e32 v62, vcc_lo, 0, v62, vcc_lo
	s_add_u32 s14, s8, -1
	s_addc_u32 s15, s9, -1
	s_mov_b64 s[22:23], 0
	s_mov_b32 s3, 0
                                        ; implicit-def: $sgpr21
	s_set_inst_prefetch_distance 0x1
	s_branch .LBB683_108
	.p2align	6
.LBB683_106:                            ;   in Loop: Header=BB683_108 Depth=1
	global_load_u16 v63, v[61:62], off
	global_load_u16 v64, v[59:60], off
	v_add_co_u32 v59, vcc_lo, v59, 2
	v_add_co_ci_u32_e32 v60, vcc_lo, 0, v60, vcc_lo
	v_add_co_u32 v61, s0, v61, 2
	s_delay_alu instid0(VALU_DEP_1)
	v_add_co_ci_u32_e64 v62, s0, 0, v62, s0
	s_add_u32 s22, s22, 1
	s_addc_u32 s23, s23, 0
	s_and_not1_b32 s0, s21, exec_lo
	s_waitcnt vmcnt(0)
	v_cmp_ne_u16_e32 vcc_lo, v63, v64
	s_and_b32 s21, vcc_lo, exec_lo
	s_delay_alu instid0(SALU_CYCLE_1)
	s_or_b32 s21, s0, s21
.LBB683_107:                            ;   in Loop: Header=BB683_108 Depth=1
	v_dual_mov_b32 v64, s23 :: v_dual_mov_b32 v63, s22
	s_and_b32 s0, exec_lo, s21
	s_delay_alu instid0(SALU_CYCLE_1) | instskip(NEXT) | instid1(SALU_CYCLE_1)
	s_or_b32 s3, s0, s3
	s_and_not1_b32 exec_lo, exec_lo, s3
	s_cbranch_execz .LBB683_110
.LBB683_108:                            ; =>This Inner Loop Header: Depth=1
	s_or_b32 s21, s21, exec_lo
	s_cmp_eq_u64 s[14:15], s[22:23]
	s_cbranch_scc0 .LBB683_106
; %bb.109:                              ;   in Loop: Header=BB683_108 Depth=1
	s_mov_b64 s[22:23], s[8:9]
                                        ; implicit-def: $vgpr59_vgpr60
                                        ; implicit-def: $vgpr61_vgpr62
	s_branch .LBB683_107
.LBB683_110:
	s_set_inst_prefetch_distance 0x2
	s_or_b32 exec_lo, exec_lo, s3
	v_cmp_gt_i64_e32 vcc_lo, s[8:9], v[63:64]
	s_mov_b32 s0, 0
	s_delay_alu instid0(SALU_CYCLE_1)
	v_mov_b32_e32 v120, s0
	v_cndmask_b32_e64 v119, 0, 1, vcc_lo
.LBB683_111:
	s_or_b32 exec_lo, exec_lo, s1
.LBB683_112:
	v_mul_lo_u32 v61, v54, s8
	v_mul_lo_u32 v62, v53, s9
	v_mad_u64_u32 v[59:60], null, v53, s8, 0
	v_mov_b32_e32 v123, 0
	v_mov_b32_e32 v124, 0
	v_cmp_ne_u32_e32 vcc_lo, 1, v65
	s_delay_alu instid0(VALU_DEP_2) | instskip(SKIP_1) | instid1(VALU_DEP_1)
	v_dual_mov_b32 v121, v123 :: v_dual_mov_b32 v122, v124
	v_add3_u32 v60, v60, v62, v61
	v_lshlrev_b64 v[59:60], 1, v[59:60]
	s_cbranch_vccnz .LBB683_121
; %bb.113:
	v_add_co_u32 v61, vcc_lo, s10, v57
	v_add_co_ci_u32_e32 v62, vcc_lo, s11, v58, vcc_lo
	s_delay_alu instid0(VALU_DEP_3) | instskip(NEXT) | instid1(VALU_DEP_4)
	v_add_co_u32 v57, vcc_lo, s10, v59
	v_add_co_ci_u32_e32 v58, vcc_lo, s11, v60, vcc_lo
	v_mov_b32_e32 v121, 1
	s_clause 0x1
	global_load_u16 v63, v[61:62], off
	global_load_u16 v64, v[57:58], off
	v_mov_b32_e32 v122, 0
	s_mov_b32 s1, exec_lo
	s_waitcnt vmcnt(0)
	v_cmpx_eq_u16_e64 v63, v64
	s_cbranch_execz .LBB683_120
; %bb.114:
	v_add_co_u32 v57, vcc_lo, v57, 2
	v_add_co_ci_u32_e32 v58, vcc_lo, 0, v58, vcc_lo
	v_add_co_u32 v61, vcc_lo, v61, 2
	v_add_co_ci_u32_e32 v62, vcc_lo, 0, v62, vcc_lo
	s_add_u32 s14, s8, -1
	s_addc_u32 s15, s9, -1
	s_mov_b64 s[22:23], 0
	s_mov_b32 s3, 0
                                        ; implicit-def: $sgpr21
	s_set_inst_prefetch_distance 0x1
	s_branch .LBB683_117
	.p2align	6
.LBB683_115:                            ;   in Loop: Header=BB683_117 Depth=1
	global_load_u16 v63, v[61:62], off
	global_load_u16 v64, v[57:58], off
	v_add_co_u32 v57, vcc_lo, v57, 2
	v_add_co_ci_u32_e32 v58, vcc_lo, 0, v58, vcc_lo
	v_add_co_u32 v61, s0, v61, 2
	s_delay_alu instid0(VALU_DEP_1)
	v_add_co_ci_u32_e64 v62, s0, 0, v62, s0
	s_add_u32 s22, s22, 1
	s_addc_u32 s23, s23, 0
	s_and_not1_b32 s0, s21, exec_lo
	s_waitcnt vmcnt(0)
	v_cmp_ne_u16_e32 vcc_lo, v63, v64
	s_and_b32 s21, vcc_lo, exec_lo
	s_delay_alu instid0(SALU_CYCLE_1)
	s_or_b32 s21, s0, s21
.LBB683_116:                            ;   in Loop: Header=BB683_117 Depth=1
	v_dual_mov_b32 v64, s23 :: v_dual_mov_b32 v63, s22
	s_and_b32 s0, exec_lo, s21
	s_delay_alu instid0(SALU_CYCLE_1) | instskip(NEXT) | instid1(SALU_CYCLE_1)
	s_or_b32 s3, s0, s3
	s_and_not1_b32 exec_lo, exec_lo, s3
	s_cbranch_execz .LBB683_119
.LBB683_117:                            ; =>This Inner Loop Header: Depth=1
	s_or_b32 s21, s21, exec_lo
	s_cmp_eq_u64 s[14:15], s[22:23]
	s_cbranch_scc0 .LBB683_115
; %bb.118:                              ;   in Loop: Header=BB683_117 Depth=1
	s_mov_b64 s[22:23], s[8:9]
                                        ; implicit-def: $vgpr57_vgpr58
                                        ; implicit-def: $vgpr61_vgpr62
	s_branch .LBB683_116
.LBB683_119:
	s_set_inst_prefetch_distance 0x2
	s_or_b32 exec_lo, exec_lo, s3
	v_cmp_gt_i64_e32 vcc_lo, s[8:9], v[63:64]
	s_mov_b32 s0, 0
	s_delay_alu instid0(SALU_CYCLE_1)
	v_mov_b32_e32 v122, s0
	v_cndmask_b32_e64 v121, 0, 1, vcc_lo
.LBB683_120:
	s_or_b32 exec_lo, exec_lo, s1
.LBB683_121:
	v_mul_lo_u32 v61, v52, s8
	v_mul_lo_u32 v62, v51, s9
	v_mad_u64_u32 v[57:58], null, v51, s8, 0
	v_cmp_ne_u32_e32 vcc_lo, 1, v65
	s_delay_alu instid0(VALU_DEP_2) | instskip(NEXT) | instid1(VALU_DEP_1)
	v_add3_u32 v58, v58, v62, v61
	v_lshlrev_b64 v[57:58], 1, v[57:58]
	s_cbranch_vccnz .LBB683_130
; %bb.122:
	v_add_co_u32 v61, vcc_lo, s10, v59
	v_add_co_ci_u32_e32 v62, vcc_lo, s11, v60, vcc_lo
	s_delay_alu instid0(VALU_DEP_3) | instskip(NEXT) | instid1(VALU_DEP_4)
	v_add_co_u32 v59, vcc_lo, s10, v57
	v_add_co_ci_u32_e32 v60, vcc_lo, s11, v58, vcc_lo
	v_mov_b32_e32 v123, 1
	s_clause 0x1
	global_load_u16 v63, v[61:62], off
	global_load_u16 v64, v[59:60], off
	v_mov_b32_e32 v124, 0
	s_mov_b32 s1, exec_lo
	s_waitcnt vmcnt(0)
	v_cmpx_eq_u16_e64 v63, v64
	s_cbranch_execz .LBB683_129
; %bb.123:
	v_add_co_u32 v59, vcc_lo, v59, 2
	v_add_co_ci_u32_e32 v60, vcc_lo, 0, v60, vcc_lo
	v_add_co_u32 v61, vcc_lo, v61, 2
	v_add_co_ci_u32_e32 v62, vcc_lo, 0, v62, vcc_lo
	s_add_u32 s14, s8, -1
	s_addc_u32 s15, s9, -1
	s_mov_b64 s[22:23], 0
	s_mov_b32 s3, 0
                                        ; implicit-def: $sgpr21
	s_set_inst_prefetch_distance 0x1
	s_branch .LBB683_126
	.p2align	6
.LBB683_124:                            ;   in Loop: Header=BB683_126 Depth=1
	global_load_u16 v63, v[61:62], off
	global_load_u16 v64, v[59:60], off
	v_add_co_u32 v59, vcc_lo, v59, 2
	v_add_co_ci_u32_e32 v60, vcc_lo, 0, v60, vcc_lo
	v_add_co_u32 v61, s0, v61, 2
	s_delay_alu instid0(VALU_DEP_1)
	v_add_co_ci_u32_e64 v62, s0, 0, v62, s0
	s_add_u32 s22, s22, 1
	s_addc_u32 s23, s23, 0
	s_and_not1_b32 s0, s21, exec_lo
	s_waitcnt vmcnt(0)
	v_cmp_ne_u16_e32 vcc_lo, v63, v64
	s_and_b32 s21, vcc_lo, exec_lo
	s_delay_alu instid0(SALU_CYCLE_1)
	s_or_b32 s21, s0, s21
.LBB683_125:                            ;   in Loop: Header=BB683_126 Depth=1
	v_dual_mov_b32 v64, s23 :: v_dual_mov_b32 v63, s22
	s_and_b32 s0, exec_lo, s21
	s_delay_alu instid0(SALU_CYCLE_1) | instskip(NEXT) | instid1(SALU_CYCLE_1)
	s_or_b32 s3, s0, s3
	s_and_not1_b32 exec_lo, exec_lo, s3
	s_cbranch_execz .LBB683_128
.LBB683_126:                            ; =>This Inner Loop Header: Depth=1
	s_or_b32 s21, s21, exec_lo
	s_cmp_eq_u64 s[14:15], s[22:23]
	s_cbranch_scc0 .LBB683_124
; %bb.127:                              ;   in Loop: Header=BB683_126 Depth=1
	s_mov_b64 s[22:23], s[8:9]
                                        ; implicit-def: $vgpr59_vgpr60
                                        ; implicit-def: $vgpr61_vgpr62
	s_branch .LBB683_125
.LBB683_128:
	s_set_inst_prefetch_distance 0x2
	s_or_b32 exec_lo, exec_lo, s3
	v_cmp_gt_i64_e32 vcc_lo, s[8:9], v[63:64]
	s_mov_b32 s0, 0
	s_delay_alu instid0(SALU_CYCLE_1)
	v_mov_b32_e32 v124, s0
	v_cndmask_b32_e64 v123, 0, 1, vcc_lo
.LBB683_129:
	s_or_b32 exec_lo, exec_lo, s1
.LBB683_130:
	v_mul_lo_u32 v61, v50, s8
	v_mul_lo_u32 v62, v49, s9
	v_mad_u64_u32 v[59:60], null, v49, s8, 0
	v_mov_b32_e32 v127, 0
	v_mov_b32_e32 v128, 0
	v_cmp_ne_u32_e32 vcc_lo, 1, v65
	s_delay_alu instid0(VALU_DEP_2) | instskip(SKIP_1) | instid1(VALU_DEP_1)
	v_dual_mov_b32 v125, v127 :: v_dual_mov_b32 v126, v128
	v_add3_u32 v60, v60, v62, v61
	v_lshlrev_b64 v[59:60], 1, v[59:60]
	s_cbranch_vccnz .LBB683_139
; %bb.131:
	v_add_co_u32 v61, vcc_lo, s10, v57
	v_add_co_ci_u32_e32 v62, vcc_lo, s11, v58, vcc_lo
	s_delay_alu instid0(VALU_DEP_3) | instskip(NEXT) | instid1(VALU_DEP_4)
	v_add_co_u32 v57, vcc_lo, s10, v59
	v_add_co_ci_u32_e32 v58, vcc_lo, s11, v60, vcc_lo
	v_mov_b32_e32 v125, 1
	s_clause 0x1
	global_load_u16 v63, v[61:62], off
	global_load_u16 v64, v[57:58], off
	v_mov_b32_e32 v126, 0
	s_mov_b32 s1, exec_lo
	s_waitcnt vmcnt(0)
	v_cmpx_eq_u16_e64 v63, v64
	s_cbranch_execz .LBB683_138
; %bb.132:
	v_add_co_u32 v57, vcc_lo, v57, 2
	v_add_co_ci_u32_e32 v58, vcc_lo, 0, v58, vcc_lo
	v_add_co_u32 v61, vcc_lo, v61, 2
	v_add_co_ci_u32_e32 v62, vcc_lo, 0, v62, vcc_lo
	s_add_u32 s14, s8, -1
	s_addc_u32 s15, s9, -1
	s_mov_b64 s[22:23], 0
	s_mov_b32 s3, 0
                                        ; implicit-def: $sgpr21
	s_set_inst_prefetch_distance 0x1
	s_branch .LBB683_135
	.p2align	6
.LBB683_133:                            ;   in Loop: Header=BB683_135 Depth=1
	global_load_u16 v63, v[61:62], off
	global_load_u16 v64, v[57:58], off
	v_add_co_u32 v57, vcc_lo, v57, 2
	v_add_co_ci_u32_e32 v58, vcc_lo, 0, v58, vcc_lo
	v_add_co_u32 v61, s0, v61, 2
	s_delay_alu instid0(VALU_DEP_1)
	v_add_co_ci_u32_e64 v62, s0, 0, v62, s0
	s_add_u32 s22, s22, 1
	s_addc_u32 s23, s23, 0
	s_and_not1_b32 s0, s21, exec_lo
	s_waitcnt vmcnt(0)
	v_cmp_ne_u16_e32 vcc_lo, v63, v64
	s_and_b32 s21, vcc_lo, exec_lo
	s_delay_alu instid0(SALU_CYCLE_1)
	s_or_b32 s21, s0, s21
.LBB683_134:                            ;   in Loop: Header=BB683_135 Depth=1
	v_dual_mov_b32 v64, s23 :: v_dual_mov_b32 v63, s22
	s_and_b32 s0, exec_lo, s21
	s_delay_alu instid0(SALU_CYCLE_1) | instskip(NEXT) | instid1(SALU_CYCLE_1)
	s_or_b32 s3, s0, s3
	s_and_not1_b32 exec_lo, exec_lo, s3
	s_cbranch_execz .LBB683_137
.LBB683_135:                            ; =>This Inner Loop Header: Depth=1
	s_or_b32 s21, s21, exec_lo
	s_cmp_eq_u64 s[14:15], s[22:23]
	s_cbranch_scc0 .LBB683_133
; %bb.136:                              ;   in Loop: Header=BB683_135 Depth=1
	s_mov_b64 s[22:23], s[8:9]
                                        ; implicit-def: $vgpr57_vgpr58
                                        ; implicit-def: $vgpr61_vgpr62
	s_branch .LBB683_134
.LBB683_137:
	s_set_inst_prefetch_distance 0x2
	s_or_b32 exec_lo, exec_lo, s3
	v_cmp_gt_i64_e32 vcc_lo, s[8:9], v[63:64]
	s_mov_b32 s0, 0
	s_delay_alu instid0(SALU_CYCLE_1)
	v_mov_b32_e32 v126, s0
	v_cndmask_b32_e64 v125, 0, 1, vcc_lo
.LBB683_138:
	s_or_b32 exec_lo, exec_lo, s1
.LBB683_139:
	v_mul_lo_u32 v61, v48, s8
	v_mul_lo_u32 v62, v47, s9
	v_mad_u64_u32 v[57:58], null, v47, s8, 0
	v_cmp_ne_u32_e32 vcc_lo, 1, v65
	s_delay_alu instid0(VALU_DEP_2) | instskip(NEXT) | instid1(VALU_DEP_1)
	v_add3_u32 v58, v58, v62, v61
	v_lshlrev_b64 v[57:58], 1, v[57:58]
	s_cbranch_vccnz .LBB683_148
; %bb.140:
	v_add_co_u32 v61, vcc_lo, s10, v59
	v_add_co_ci_u32_e32 v62, vcc_lo, s11, v60, vcc_lo
	s_delay_alu instid0(VALU_DEP_3) | instskip(NEXT) | instid1(VALU_DEP_4)
	v_add_co_u32 v59, vcc_lo, s10, v57
	v_add_co_ci_u32_e32 v60, vcc_lo, s11, v58, vcc_lo
	v_mov_b32_e32 v127, 1
	s_clause 0x1
	global_load_u16 v63, v[61:62], off
	global_load_u16 v64, v[59:60], off
	v_mov_b32_e32 v128, 0
	s_mov_b32 s1, exec_lo
	s_waitcnt vmcnt(0)
	v_cmpx_eq_u16_e64 v63, v64
	s_cbranch_execz .LBB683_147
; %bb.141:
	v_add_co_u32 v59, vcc_lo, v59, 2
	v_add_co_ci_u32_e32 v60, vcc_lo, 0, v60, vcc_lo
	v_add_co_u32 v61, vcc_lo, v61, 2
	v_add_co_ci_u32_e32 v62, vcc_lo, 0, v62, vcc_lo
	s_add_u32 s14, s8, -1
	s_addc_u32 s15, s9, -1
	s_mov_b64 s[22:23], 0
	s_mov_b32 s3, 0
                                        ; implicit-def: $sgpr21
	s_set_inst_prefetch_distance 0x1
	s_branch .LBB683_144
	.p2align	6
.LBB683_142:                            ;   in Loop: Header=BB683_144 Depth=1
	global_load_u16 v63, v[61:62], off
	global_load_u16 v64, v[59:60], off
	v_add_co_u32 v59, vcc_lo, v59, 2
	v_add_co_ci_u32_e32 v60, vcc_lo, 0, v60, vcc_lo
	v_add_co_u32 v61, s0, v61, 2
	s_delay_alu instid0(VALU_DEP_1)
	v_add_co_ci_u32_e64 v62, s0, 0, v62, s0
	s_add_u32 s22, s22, 1
	s_addc_u32 s23, s23, 0
	s_and_not1_b32 s0, s21, exec_lo
	s_waitcnt vmcnt(0)
	v_cmp_ne_u16_e32 vcc_lo, v63, v64
	s_and_b32 s21, vcc_lo, exec_lo
	s_delay_alu instid0(SALU_CYCLE_1)
	s_or_b32 s21, s0, s21
.LBB683_143:                            ;   in Loop: Header=BB683_144 Depth=1
	v_dual_mov_b32 v64, s23 :: v_dual_mov_b32 v63, s22
	s_and_b32 s0, exec_lo, s21
	s_delay_alu instid0(SALU_CYCLE_1) | instskip(NEXT) | instid1(SALU_CYCLE_1)
	s_or_b32 s3, s0, s3
	s_and_not1_b32 exec_lo, exec_lo, s3
	s_cbranch_execz .LBB683_146
.LBB683_144:                            ; =>This Inner Loop Header: Depth=1
	s_or_b32 s21, s21, exec_lo
	s_cmp_eq_u64 s[14:15], s[22:23]
	s_cbranch_scc0 .LBB683_142
; %bb.145:                              ;   in Loop: Header=BB683_144 Depth=1
	s_mov_b64 s[22:23], s[8:9]
                                        ; implicit-def: $vgpr59_vgpr60
                                        ; implicit-def: $vgpr61_vgpr62
	s_branch .LBB683_143
.LBB683_146:
	s_set_inst_prefetch_distance 0x2
	s_or_b32 exec_lo, exec_lo, s3
	v_cmp_gt_i64_e32 vcc_lo, s[8:9], v[63:64]
	s_mov_b32 s0, 0
	s_delay_alu instid0(SALU_CYCLE_1)
	v_mov_b32_e32 v128, s0
	v_cndmask_b32_e64 v127, 0, 1, vcc_lo
.LBB683_147:
	s_or_b32 exec_lo, exec_lo, s1
.LBB683_148:
	v_mul_lo_u32 v61, v46, s8
	v_mul_lo_u32 v62, v45, s9
	v_mad_u64_u32 v[59:60], null, v45, s8, 0
	v_mov_b32_e32 v131, 0
	v_mov_b32_e32 v132, 0
	v_cmp_ne_u32_e32 vcc_lo, 1, v65
	s_delay_alu instid0(VALU_DEP_2) | instskip(SKIP_1) | instid1(VALU_DEP_1)
	v_dual_mov_b32 v129, v131 :: v_dual_mov_b32 v130, v132
	v_add3_u32 v60, v60, v62, v61
	v_lshlrev_b64 v[59:60], 1, v[59:60]
	s_cbranch_vccnz .LBB683_157
; %bb.149:
	v_add_co_u32 v61, vcc_lo, s10, v57
	v_add_co_ci_u32_e32 v62, vcc_lo, s11, v58, vcc_lo
	s_delay_alu instid0(VALU_DEP_3) | instskip(NEXT) | instid1(VALU_DEP_4)
	v_add_co_u32 v57, vcc_lo, s10, v59
	v_add_co_ci_u32_e32 v58, vcc_lo, s11, v60, vcc_lo
	v_mov_b32_e32 v129, 1
	s_clause 0x1
	global_load_u16 v63, v[61:62], off
	global_load_u16 v64, v[57:58], off
	v_mov_b32_e32 v130, 0
	s_mov_b32 s1, exec_lo
	s_waitcnt vmcnt(0)
	v_cmpx_eq_u16_e64 v63, v64
	s_cbranch_execz .LBB683_156
; %bb.150:
	v_add_co_u32 v57, vcc_lo, v57, 2
	v_add_co_ci_u32_e32 v58, vcc_lo, 0, v58, vcc_lo
	v_add_co_u32 v61, vcc_lo, v61, 2
	v_add_co_ci_u32_e32 v62, vcc_lo, 0, v62, vcc_lo
	s_add_u32 s14, s8, -1
	s_addc_u32 s15, s9, -1
	s_mov_b64 s[22:23], 0
	s_mov_b32 s3, 0
                                        ; implicit-def: $sgpr21
	s_set_inst_prefetch_distance 0x1
	s_branch .LBB683_153
	.p2align	6
.LBB683_151:                            ;   in Loop: Header=BB683_153 Depth=1
	global_load_u16 v63, v[61:62], off
	global_load_u16 v64, v[57:58], off
	v_add_co_u32 v57, vcc_lo, v57, 2
	v_add_co_ci_u32_e32 v58, vcc_lo, 0, v58, vcc_lo
	v_add_co_u32 v61, s0, v61, 2
	s_delay_alu instid0(VALU_DEP_1)
	v_add_co_ci_u32_e64 v62, s0, 0, v62, s0
	s_add_u32 s22, s22, 1
	s_addc_u32 s23, s23, 0
	s_and_not1_b32 s0, s21, exec_lo
	s_waitcnt vmcnt(0)
	v_cmp_ne_u16_e32 vcc_lo, v63, v64
	s_and_b32 s21, vcc_lo, exec_lo
	s_delay_alu instid0(SALU_CYCLE_1)
	s_or_b32 s21, s0, s21
.LBB683_152:                            ;   in Loop: Header=BB683_153 Depth=1
	v_dual_mov_b32 v64, s23 :: v_dual_mov_b32 v63, s22
	s_and_b32 s0, exec_lo, s21
	s_delay_alu instid0(SALU_CYCLE_1) | instskip(NEXT) | instid1(SALU_CYCLE_1)
	s_or_b32 s3, s0, s3
	s_and_not1_b32 exec_lo, exec_lo, s3
	s_cbranch_execz .LBB683_155
.LBB683_153:                            ; =>This Inner Loop Header: Depth=1
	s_or_b32 s21, s21, exec_lo
	s_cmp_eq_u64 s[14:15], s[22:23]
	s_cbranch_scc0 .LBB683_151
; %bb.154:                              ;   in Loop: Header=BB683_153 Depth=1
	s_mov_b64 s[22:23], s[8:9]
                                        ; implicit-def: $vgpr57_vgpr58
                                        ; implicit-def: $vgpr61_vgpr62
	s_branch .LBB683_152
.LBB683_155:
	s_set_inst_prefetch_distance 0x2
	s_or_b32 exec_lo, exec_lo, s3
	v_cmp_gt_i64_e32 vcc_lo, s[8:9], v[63:64]
	s_mov_b32 s0, 0
	s_delay_alu instid0(SALU_CYCLE_1)
	v_mov_b32_e32 v130, s0
	v_cndmask_b32_e64 v129, 0, 1, vcc_lo
.LBB683_156:
	s_or_b32 exec_lo, exec_lo, s1
.LBB683_157:
	v_mul_lo_u32 v61, v44, s8
	v_mul_lo_u32 v62, v43, s9
	v_mad_u64_u32 v[57:58], null, v43, s8, 0
	v_cmp_ne_u32_e32 vcc_lo, 1, v65
	s_delay_alu instid0(VALU_DEP_2) | instskip(NEXT) | instid1(VALU_DEP_1)
	v_add3_u32 v58, v58, v62, v61
	v_lshlrev_b64 v[57:58], 1, v[57:58]
	s_cbranch_vccnz .LBB683_166
; %bb.158:
	v_add_co_u32 v61, vcc_lo, s10, v59
	v_add_co_ci_u32_e32 v62, vcc_lo, s11, v60, vcc_lo
	s_delay_alu instid0(VALU_DEP_3) | instskip(NEXT) | instid1(VALU_DEP_4)
	v_add_co_u32 v59, vcc_lo, s10, v57
	v_add_co_ci_u32_e32 v60, vcc_lo, s11, v58, vcc_lo
	v_mov_b32_e32 v131, 1
	s_clause 0x1
	global_load_u16 v63, v[61:62], off
	global_load_u16 v64, v[59:60], off
	v_mov_b32_e32 v132, 0
	s_mov_b32 s1, exec_lo
	s_waitcnt vmcnt(0)
	v_cmpx_eq_u16_e64 v63, v64
	s_cbranch_execz .LBB683_165
; %bb.159:
	v_add_co_u32 v59, vcc_lo, v59, 2
	v_add_co_ci_u32_e32 v60, vcc_lo, 0, v60, vcc_lo
	v_add_co_u32 v61, vcc_lo, v61, 2
	v_add_co_ci_u32_e32 v62, vcc_lo, 0, v62, vcc_lo
	s_add_u32 s14, s8, -1
	s_addc_u32 s15, s9, -1
	s_mov_b64 s[22:23], 0
	s_mov_b32 s3, 0
                                        ; implicit-def: $sgpr21
	s_set_inst_prefetch_distance 0x1
	s_branch .LBB683_162
	.p2align	6
.LBB683_160:                            ;   in Loop: Header=BB683_162 Depth=1
	global_load_u16 v63, v[61:62], off
	global_load_u16 v64, v[59:60], off
	v_add_co_u32 v59, vcc_lo, v59, 2
	v_add_co_ci_u32_e32 v60, vcc_lo, 0, v60, vcc_lo
	v_add_co_u32 v61, s0, v61, 2
	s_delay_alu instid0(VALU_DEP_1)
	v_add_co_ci_u32_e64 v62, s0, 0, v62, s0
	s_add_u32 s22, s22, 1
	s_addc_u32 s23, s23, 0
	s_and_not1_b32 s0, s21, exec_lo
	s_waitcnt vmcnt(0)
	v_cmp_ne_u16_e32 vcc_lo, v63, v64
	s_and_b32 s21, vcc_lo, exec_lo
	s_delay_alu instid0(SALU_CYCLE_1)
	s_or_b32 s21, s0, s21
.LBB683_161:                            ;   in Loop: Header=BB683_162 Depth=1
	v_dual_mov_b32 v64, s23 :: v_dual_mov_b32 v63, s22
	s_and_b32 s0, exec_lo, s21
	s_delay_alu instid0(SALU_CYCLE_1) | instskip(NEXT) | instid1(SALU_CYCLE_1)
	s_or_b32 s3, s0, s3
	s_and_not1_b32 exec_lo, exec_lo, s3
	s_cbranch_execz .LBB683_164
.LBB683_162:                            ; =>This Inner Loop Header: Depth=1
	s_or_b32 s21, s21, exec_lo
	s_cmp_eq_u64 s[14:15], s[22:23]
	s_cbranch_scc0 .LBB683_160
; %bb.163:                              ;   in Loop: Header=BB683_162 Depth=1
	s_mov_b64 s[22:23], s[8:9]
                                        ; implicit-def: $vgpr59_vgpr60
                                        ; implicit-def: $vgpr61_vgpr62
	s_branch .LBB683_161
.LBB683_164:
	s_set_inst_prefetch_distance 0x2
	s_or_b32 exec_lo, exec_lo, s3
	v_cmp_gt_i64_e32 vcc_lo, s[8:9], v[63:64]
	s_mov_b32 s0, 0
	s_delay_alu instid0(SALU_CYCLE_1)
	v_mov_b32_e32 v132, s0
	v_cndmask_b32_e64 v131, 0, 1, vcc_lo
.LBB683_165:
	s_or_b32 exec_lo, exec_lo, s1
.LBB683_166:
	v_mul_lo_u32 v61, v42, s8
	v_mul_lo_u32 v62, v41, s9
	v_mad_u64_u32 v[59:60], null, v41, s8, 0
	v_mov_b32_e32 v135, 0
	v_mov_b32_e32 v136, 0
	v_cmp_ne_u32_e32 vcc_lo, 1, v65
	s_delay_alu instid0(VALU_DEP_2) | instskip(SKIP_1) | instid1(VALU_DEP_1)
	v_dual_mov_b32 v133, v135 :: v_dual_mov_b32 v134, v136
	v_add3_u32 v60, v60, v62, v61
	v_lshlrev_b64 v[59:60], 1, v[59:60]
	s_cbranch_vccnz .LBB683_175
; %bb.167:
	v_add_co_u32 v61, vcc_lo, s10, v57
	v_add_co_ci_u32_e32 v62, vcc_lo, s11, v58, vcc_lo
	s_delay_alu instid0(VALU_DEP_3) | instskip(NEXT) | instid1(VALU_DEP_4)
	v_add_co_u32 v57, vcc_lo, s10, v59
	v_add_co_ci_u32_e32 v58, vcc_lo, s11, v60, vcc_lo
	v_mov_b32_e32 v133, 1
	s_clause 0x1
	global_load_u16 v63, v[61:62], off
	global_load_u16 v64, v[57:58], off
	v_mov_b32_e32 v134, 0
	s_mov_b32 s1, exec_lo
	s_waitcnt vmcnt(0)
	v_cmpx_eq_u16_e64 v63, v64
	s_cbranch_execz .LBB683_174
; %bb.168:
	v_add_co_u32 v57, vcc_lo, v57, 2
	v_add_co_ci_u32_e32 v58, vcc_lo, 0, v58, vcc_lo
	v_add_co_u32 v61, vcc_lo, v61, 2
	v_add_co_ci_u32_e32 v62, vcc_lo, 0, v62, vcc_lo
	s_add_u32 s14, s8, -1
	s_addc_u32 s15, s9, -1
	s_mov_b64 s[22:23], 0
	s_mov_b32 s3, 0
                                        ; implicit-def: $sgpr21
	s_set_inst_prefetch_distance 0x1
	s_branch .LBB683_171
	.p2align	6
.LBB683_169:                            ;   in Loop: Header=BB683_171 Depth=1
	global_load_u16 v63, v[61:62], off
	global_load_u16 v64, v[57:58], off
	v_add_co_u32 v57, vcc_lo, v57, 2
	v_add_co_ci_u32_e32 v58, vcc_lo, 0, v58, vcc_lo
	v_add_co_u32 v61, s0, v61, 2
	s_delay_alu instid0(VALU_DEP_1)
	v_add_co_ci_u32_e64 v62, s0, 0, v62, s0
	s_add_u32 s22, s22, 1
	s_addc_u32 s23, s23, 0
	s_and_not1_b32 s0, s21, exec_lo
	s_waitcnt vmcnt(0)
	v_cmp_ne_u16_e32 vcc_lo, v63, v64
	s_and_b32 s21, vcc_lo, exec_lo
	s_delay_alu instid0(SALU_CYCLE_1)
	s_or_b32 s21, s0, s21
.LBB683_170:                            ;   in Loop: Header=BB683_171 Depth=1
	v_dual_mov_b32 v64, s23 :: v_dual_mov_b32 v63, s22
	s_and_b32 s0, exec_lo, s21
	s_delay_alu instid0(SALU_CYCLE_1) | instskip(NEXT) | instid1(SALU_CYCLE_1)
	s_or_b32 s3, s0, s3
	s_and_not1_b32 exec_lo, exec_lo, s3
	s_cbranch_execz .LBB683_173
.LBB683_171:                            ; =>This Inner Loop Header: Depth=1
	s_or_b32 s21, s21, exec_lo
	s_cmp_eq_u64 s[14:15], s[22:23]
	s_cbranch_scc0 .LBB683_169
; %bb.172:                              ;   in Loop: Header=BB683_171 Depth=1
	s_mov_b64 s[22:23], s[8:9]
                                        ; implicit-def: $vgpr57_vgpr58
                                        ; implicit-def: $vgpr61_vgpr62
	s_branch .LBB683_170
.LBB683_173:
	s_set_inst_prefetch_distance 0x2
	s_or_b32 exec_lo, exec_lo, s3
	v_cmp_gt_i64_e32 vcc_lo, s[8:9], v[63:64]
	s_mov_b32 s0, 0
	s_delay_alu instid0(SALU_CYCLE_1)
	v_mov_b32_e32 v134, s0
	v_cndmask_b32_e64 v133, 0, 1, vcc_lo
.LBB683_174:
	s_or_b32 exec_lo, exec_lo, s1
.LBB683_175:
	v_mul_lo_u32 v61, v40, s8
	v_mul_lo_u32 v62, v39, s9
	v_mad_u64_u32 v[57:58], null, v39, s8, 0
	v_cmp_ne_u32_e32 vcc_lo, 1, v65
	s_delay_alu instid0(VALU_DEP_2) | instskip(NEXT) | instid1(VALU_DEP_1)
	v_add3_u32 v58, v58, v62, v61
	v_lshlrev_b64 v[57:58], 1, v[57:58]
	s_cbranch_vccnz .LBB683_184
; %bb.176:
	v_add_co_u32 v61, vcc_lo, s10, v59
	v_add_co_ci_u32_e32 v62, vcc_lo, s11, v60, vcc_lo
	s_delay_alu instid0(VALU_DEP_3) | instskip(NEXT) | instid1(VALU_DEP_4)
	v_add_co_u32 v59, vcc_lo, s10, v57
	v_add_co_ci_u32_e32 v60, vcc_lo, s11, v58, vcc_lo
	v_mov_b32_e32 v135, 1
	s_clause 0x1
	global_load_u16 v63, v[61:62], off
	global_load_u16 v64, v[59:60], off
	v_mov_b32_e32 v136, 0
	s_mov_b32 s1, exec_lo
	s_waitcnt vmcnt(0)
	v_cmpx_eq_u16_e64 v63, v64
	s_cbranch_execz .LBB683_183
; %bb.177:
	v_add_co_u32 v59, vcc_lo, v59, 2
	v_add_co_ci_u32_e32 v60, vcc_lo, 0, v60, vcc_lo
	v_add_co_u32 v61, vcc_lo, v61, 2
	v_add_co_ci_u32_e32 v62, vcc_lo, 0, v62, vcc_lo
	s_add_u32 s14, s8, -1
	s_addc_u32 s15, s9, -1
	s_mov_b64 s[22:23], 0
	s_mov_b32 s3, 0
                                        ; implicit-def: $sgpr21
	s_set_inst_prefetch_distance 0x1
	s_branch .LBB683_180
	.p2align	6
.LBB683_178:                            ;   in Loop: Header=BB683_180 Depth=1
	global_load_u16 v63, v[61:62], off
	global_load_u16 v64, v[59:60], off
	v_add_co_u32 v59, vcc_lo, v59, 2
	v_add_co_ci_u32_e32 v60, vcc_lo, 0, v60, vcc_lo
	v_add_co_u32 v61, s0, v61, 2
	s_delay_alu instid0(VALU_DEP_1)
	v_add_co_ci_u32_e64 v62, s0, 0, v62, s0
	s_add_u32 s22, s22, 1
	s_addc_u32 s23, s23, 0
	s_and_not1_b32 s0, s21, exec_lo
	s_waitcnt vmcnt(0)
	v_cmp_ne_u16_e32 vcc_lo, v63, v64
	s_and_b32 s21, vcc_lo, exec_lo
	s_delay_alu instid0(SALU_CYCLE_1)
	s_or_b32 s21, s0, s21
.LBB683_179:                            ;   in Loop: Header=BB683_180 Depth=1
	v_dual_mov_b32 v64, s23 :: v_dual_mov_b32 v63, s22
	s_and_b32 s0, exec_lo, s21
	s_delay_alu instid0(SALU_CYCLE_1) | instskip(NEXT) | instid1(SALU_CYCLE_1)
	s_or_b32 s3, s0, s3
	s_and_not1_b32 exec_lo, exec_lo, s3
	s_cbranch_execz .LBB683_182
.LBB683_180:                            ; =>This Inner Loop Header: Depth=1
	s_or_b32 s21, s21, exec_lo
	s_cmp_eq_u64 s[14:15], s[22:23]
	s_cbranch_scc0 .LBB683_178
; %bb.181:                              ;   in Loop: Header=BB683_180 Depth=1
	s_mov_b64 s[22:23], s[8:9]
                                        ; implicit-def: $vgpr59_vgpr60
                                        ; implicit-def: $vgpr61_vgpr62
	s_branch .LBB683_179
.LBB683_182:
	s_set_inst_prefetch_distance 0x2
	s_or_b32 exec_lo, exec_lo, s3
	v_cmp_gt_i64_e32 vcc_lo, s[8:9], v[63:64]
	s_mov_b32 s0, 0
	s_delay_alu instid0(SALU_CYCLE_1)
	v_mov_b32_e32 v136, s0
	v_cndmask_b32_e64 v135, 0, 1, vcc_lo
.LBB683_183:
	s_or_b32 exec_lo, exec_lo, s1
.LBB683_184:
	v_mul_lo_u32 v61, v38, s8
	v_mul_lo_u32 v62, v37, s9
	v_mad_u64_u32 v[59:60], null, v37, s8, 0
	v_mov_b32_e32 v139, 0
	v_mov_b32_e32 v140, 0
	v_cmp_ne_u32_e32 vcc_lo, 1, v65
	s_delay_alu instid0(VALU_DEP_2) | instskip(SKIP_1) | instid1(VALU_DEP_1)
	v_dual_mov_b32 v137, v139 :: v_dual_mov_b32 v138, v140
	v_add3_u32 v60, v60, v62, v61
	v_lshlrev_b64 v[59:60], 1, v[59:60]
	s_cbranch_vccnz .LBB683_193
; %bb.185:
	v_add_co_u32 v61, vcc_lo, s10, v57
	v_add_co_ci_u32_e32 v62, vcc_lo, s11, v58, vcc_lo
	s_delay_alu instid0(VALU_DEP_3) | instskip(NEXT) | instid1(VALU_DEP_4)
	v_add_co_u32 v57, vcc_lo, s10, v59
	v_add_co_ci_u32_e32 v58, vcc_lo, s11, v60, vcc_lo
	v_mov_b32_e32 v137, 1
	s_clause 0x1
	global_load_u16 v63, v[61:62], off
	global_load_u16 v64, v[57:58], off
	v_mov_b32_e32 v138, 0
	s_mov_b32 s1, exec_lo
	s_waitcnt vmcnt(0)
	v_cmpx_eq_u16_e64 v63, v64
	s_cbranch_execz .LBB683_192
; %bb.186:
	v_add_co_u32 v57, vcc_lo, v57, 2
	v_add_co_ci_u32_e32 v58, vcc_lo, 0, v58, vcc_lo
	v_add_co_u32 v61, vcc_lo, v61, 2
	v_add_co_ci_u32_e32 v62, vcc_lo, 0, v62, vcc_lo
	s_add_u32 s14, s8, -1
	s_addc_u32 s15, s9, -1
	s_mov_b64 s[22:23], 0
	s_mov_b32 s3, 0
                                        ; implicit-def: $sgpr21
	s_set_inst_prefetch_distance 0x1
	s_branch .LBB683_189
	.p2align	6
.LBB683_187:                            ;   in Loop: Header=BB683_189 Depth=1
	global_load_u16 v63, v[61:62], off
	global_load_u16 v64, v[57:58], off
	v_add_co_u32 v57, vcc_lo, v57, 2
	v_add_co_ci_u32_e32 v58, vcc_lo, 0, v58, vcc_lo
	v_add_co_u32 v61, s0, v61, 2
	s_delay_alu instid0(VALU_DEP_1)
	v_add_co_ci_u32_e64 v62, s0, 0, v62, s0
	s_add_u32 s22, s22, 1
	s_addc_u32 s23, s23, 0
	s_and_not1_b32 s0, s21, exec_lo
	s_waitcnt vmcnt(0)
	v_cmp_ne_u16_e32 vcc_lo, v63, v64
	s_and_b32 s21, vcc_lo, exec_lo
	s_delay_alu instid0(SALU_CYCLE_1)
	s_or_b32 s21, s0, s21
.LBB683_188:                            ;   in Loop: Header=BB683_189 Depth=1
	v_dual_mov_b32 v64, s23 :: v_dual_mov_b32 v63, s22
	s_and_b32 s0, exec_lo, s21
	s_delay_alu instid0(SALU_CYCLE_1) | instskip(NEXT) | instid1(SALU_CYCLE_1)
	s_or_b32 s3, s0, s3
	s_and_not1_b32 exec_lo, exec_lo, s3
	s_cbranch_execz .LBB683_191
.LBB683_189:                            ; =>This Inner Loop Header: Depth=1
	s_or_b32 s21, s21, exec_lo
	s_cmp_eq_u64 s[14:15], s[22:23]
	s_cbranch_scc0 .LBB683_187
; %bb.190:                              ;   in Loop: Header=BB683_189 Depth=1
	s_mov_b64 s[22:23], s[8:9]
                                        ; implicit-def: $vgpr57_vgpr58
                                        ; implicit-def: $vgpr61_vgpr62
	s_branch .LBB683_188
.LBB683_191:
	s_set_inst_prefetch_distance 0x2
	s_or_b32 exec_lo, exec_lo, s3
	v_cmp_gt_i64_e32 vcc_lo, s[8:9], v[63:64]
	s_mov_b32 s0, 0
	s_delay_alu instid0(SALU_CYCLE_1)
	v_mov_b32_e32 v138, s0
	v_cndmask_b32_e64 v137, 0, 1, vcc_lo
.LBB683_192:
	s_or_b32 exec_lo, exec_lo, s1
.LBB683_193:
	v_mul_lo_u32 v61, v36, s8
	v_mul_lo_u32 v62, v35, s9
	v_mad_u64_u32 v[57:58], null, v35, s8, 0
	v_cmp_ne_u32_e32 vcc_lo, 1, v65
	s_delay_alu instid0(VALU_DEP_2) | instskip(NEXT) | instid1(VALU_DEP_1)
	v_add3_u32 v58, v58, v62, v61
	v_lshlrev_b64 v[57:58], 1, v[57:58]
	s_cbranch_vccnz .LBB683_202
; %bb.194:
	v_add_co_u32 v61, vcc_lo, s10, v59
	v_add_co_ci_u32_e32 v62, vcc_lo, s11, v60, vcc_lo
	s_delay_alu instid0(VALU_DEP_3) | instskip(NEXT) | instid1(VALU_DEP_4)
	v_add_co_u32 v59, vcc_lo, s10, v57
	v_add_co_ci_u32_e32 v60, vcc_lo, s11, v58, vcc_lo
	v_mov_b32_e32 v139, 1
	s_clause 0x1
	global_load_u16 v63, v[61:62], off
	global_load_u16 v64, v[59:60], off
	v_mov_b32_e32 v140, 0
	s_mov_b32 s1, exec_lo
	s_waitcnt vmcnt(0)
	v_cmpx_eq_u16_e64 v63, v64
	s_cbranch_execz .LBB683_201
; %bb.195:
	v_add_co_u32 v59, vcc_lo, v59, 2
	v_add_co_ci_u32_e32 v60, vcc_lo, 0, v60, vcc_lo
	v_add_co_u32 v61, vcc_lo, v61, 2
	v_add_co_ci_u32_e32 v62, vcc_lo, 0, v62, vcc_lo
	s_add_u32 s14, s8, -1
	s_addc_u32 s15, s9, -1
	s_mov_b64 s[22:23], 0
	s_mov_b32 s3, 0
                                        ; implicit-def: $sgpr21
	s_set_inst_prefetch_distance 0x1
	s_branch .LBB683_198
	.p2align	6
.LBB683_196:                            ;   in Loop: Header=BB683_198 Depth=1
	global_load_u16 v63, v[61:62], off
	global_load_u16 v64, v[59:60], off
	v_add_co_u32 v59, vcc_lo, v59, 2
	v_add_co_ci_u32_e32 v60, vcc_lo, 0, v60, vcc_lo
	v_add_co_u32 v61, s0, v61, 2
	s_delay_alu instid0(VALU_DEP_1)
	v_add_co_ci_u32_e64 v62, s0, 0, v62, s0
	s_add_u32 s22, s22, 1
	s_addc_u32 s23, s23, 0
	s_and_not1_b32 s0, s21, exec_lo
	s_waitcnt vmcnt(0)
	v_cmp_ne_u16_e32 vcc_lo, v63, v64
	s_and_b32 s21, vcc_lo, exec_lo
	s_delay_alu instid0(SALU_CYCLE_1)
	s_or_b32 s21, s0, s21
.LBB683_197:                            ;   in Loop: Header=BB683_198 Depth=1
	v_dual_mov_b32 v64, s23 :: v_dual_mov_b32 v63, s22
	s_and_b32 s0, exec_lo, s21
	s_delay_alu instid0(SALU_CYCLE_1) | instskip(NEXT) | instid1(SALU_CYCLE_1)
	s_or_b32 s3, s0, s3
	s_and_not1_b32 exec_lo, exec_lo, s3
	s_cbranch_execz .LBB683_200
.LBB683_198:                            ; =>This Inner Loop Header: Depth=1
	s_or_b32 s21, s21, exec_lo
	s_cmp_eq_u64 s[14:15], s[22:23]
	s_cbranch_scc0 .LBB683_196
; %bb.199:                              ;   in Loop: Header=BB683_198 Depth=1
	s_mov_b64 s[22:23], s[8:9]
                                        ; implicit-def: $vgpr59_vgpr60
                                        ; implicit-def: $vgpr61_vgpr62
	s_branch .LBB683_197
.LBB683_200:
	s_set_inst_prefetch_distance 0x2
	s_or_b32 exec_lo, exec_lo, s3
	v_cmp_gt_i64_e32 vcc_lo, s[8:9], v[63:64]
	s_mov_b32 s0, 0
	s_delay_alu instid0(SALU_CYCLE_1)
	v_mov_b32_e32 v140, s0
	v_cndmask_b32_e64 v139, 0, 1, vcc_lo
.LBB683_201:
	s_or_b32 exec_lo, exec_lo, s1
.LBB683_202:
	v_mul_lo_u32 v61, v34, s8
	v_mul_lo_u32 v62, v33, s9
	v_mad_u64_u32 v[59:60], null, v33, s8, 0
	v_mov_b32_e32 v143, 0
	v_mov_b32_e32 v144, 0
	v_cmp_ne_u32_e32 vcc_lo, 1, v65
	s_delay_alu instid0(VALU_DEP_2) | instskip(SKIP_1) | instid1(VALU_DEP_1)
	v_dual_mov_b32 v141, v143 :: v_dual_mov_b32 v142, v144
	v_add3_u32 v60, v60, v62, v61
	v_lshlrev_b64 v[59:60], 1, v[59:60]
	s_cbranch_vccnz .LBB683_211
; %bb.203:
	v_add_co_u32 v61, vcc_lo, s10, v57
	v_add_co_ci_u32_e32 v62, vcc_lo, s11, v58, vcc_lo
	s_delay_alu instid0(VALU_DEP_3) | instskip(NEXT) | instid1(VALU_DEP_4)
	v_add_co_u32 v57, vcc_lo, s10, v59
	v_add_co_ci_u32_e32 v58, vcc_lo, s11, v60, vcc_lo
	v_mov_b32_e32 v141, 1
	s_clause 0x1
	global_load_u16 v63, v[61:62], off
	global_load_u16 v64, v[57:58], off
	v_mov_b32_e32 v142, 0
	s_mov_b32 s1, exec_lo
	s_waitcnt vmcnt(0)
	v_cmpx_eq_u16_e64 v63, v64
	s_cbranch_execz .LBB683_210
; %bb.204:
	v_add_co_u32 v57, vcc_lo, v57, 2
	v_add_co_ci_u32_e32 v58, vcc_lo, 0, v58, vcc_lo
	v_add_co_u32 v61, vcc_lo, v61, 2
	v_add_co_ci_u32_e32 v62, vcc_lo, 0, v62, vcc_lo
	s_add_u32 s14, s8, -1
	s_addc_u32 s15, s9, -1
	s_mov_b64 s[22:23], 0
	s_mov_b32 s3, 0
                                        ; implicit-def: $sgpr21
	s_set_inst_prefetch_distance 0x1
	s_branch .LBB683_207
	.p2align	6
.LBB683_205:                            ;   in Loop: Header=BB683_207 Depth=1
	global_load_u16 v63, v[61:62], off
	global_load_u16 v64, v[57:58], off
	v_add_co_u32 v57, vcc_lo, v57, 2
	v_add_co_ci_u32_e32 v58, vcc_lo, 0, v58, vcc_lo
	v_add_co_u32 v61, s0, v61, 2
	s_delay_alu instid0(VALU_DEP_1)
	v_add_co_ci_u32_e64 v62, s0, 0, v62, s0
	s_add_u32 s22, s22, 1
	s_addc_u32 s23, s23, 0
	s_and_not1_b32 s0, s21, exec_lo
	s_waitcnt vmcnt(0)
	v_cmp_ne_u16_e32 vcc_lo, v63, v64
	s_and_b32 s21, vcc_lo, exec_lo
	s_delay_alu instid0(SALU_CYCLE_1)
	s_or_b32 s21, s0, s21
.LBB683_206:                            ;   in Loop: Header=BB683_207 Depth=1
	v_dual_mov_b32 v64, s23 :: v_dual_mov_b32 v63, s22
	s_and_b32 s0, exec_lo, s21
	s_delay_alu instid0(SALU_CYCLE_1) | instskip(NEXT) | instid1(SALU_CYCLE_1)
	s_or_b32 s3, s0, s3
	s_and_not1_b32 exec_lo, exec_lo, s3
	s_cbranch_execz .LBB683_209
.LBB683_207:                            ; =>This Inner Loop Header: Depth=1
	s_or_b32 s21, s21, exec_lo
	s_cmp_eq_u64 s[14:15], s[22:23]
	s_cbranch_scc0 .LBB683_205
; %bb.208:                              ;   in Loop: Header=BB683_207 Depth=1
	s_mov_b64 s[22:23], s[8:9]
                                        ; implicit-def: $vgpr57_vgpr58
                                        ; implicit-def: $vgpr61_vgpr62
	s_branch .LBB683_206
.LBB683_209:
	s_set_inst_prefetch_distance 0x2
	s_or_b32 exec_lo, exec_lo, s3
	v_cmp_gt_i64_e32 vcc_lo, s[8:9], v[63:64]
	s_mov_b32 s0, 0
	s_delay_alu instid0(SALU_CYCLE_1)
	v_mov_b32_e32 v142, s0
	v_cndmask_b32_e64 v141, 0, 1, vcc_lo
.LBB683_210:
	s_or_b32 exec_lo, exec_lo, s1
.LBB683_211:
	v_mul_lo_u32 v61, v32, s8
	v_mul_lo_u32 v62, v31, s9
	v_mad_u64_u32 v[57:58], null, v31, s8, 0
	v_cmp_ne_u32_e32 vcc_lo, 1, v65
	s_delay_alu instid0(VALU_DEP_2) | instskip(NEXT) | instid1(VALU_DEP_1)
	v_add3_u32 v58, v58, v62, v61
	v_lshlrev_b64 v[57:58], 1, v[57:58]
	s_cbranch_vccnz .LBB683_220
; %bb.212:
	v_add_co_u32 v61, vcc_lo, s10, v59
	v_add_co_ci_u32_e32 v62, vcc_lo, s11, v60, vcc_lo
	s_delay_alu instid0(VALU_DEP_3) | instskip(NEXT) | instid1(VALU_DEP_4)
	v_add_co_u32 v59, vcc_lo, s10, v57
	v_add_co_ci_u32_e32 v60, vcc_lo, s11, v58, vcc_lo
	v_mov_b32_e32 v143, 1
	s_clause 0x1
	global_load_u16 v63, v[61:62], off
	global_load_u16 v64, v[59:60], off
	v_mov_b32_e32 v144, 0
	s_mov_b32 s1, exec_lo
	s_waitcnt vmcnt(0)
	v_cmpx_eq_u16_e64 v63, v64
	s_cbranch_execz .LBB683_219
; %bb.213:
	v_add_co_u32 v59, vcc_lo, v59, 2
	v_add_co_ci_u32_e32 v60, vcc_lo, 0, v60, vcc_lo
	v_add_co_u32 v61, vcc_lo, v61, 2
	v_add_co_ci_u32_e32 v62, vcc_lo, 0, v62, vcc_lo
	s_add_u32 s14, s8, -1
	s_addc_u32 s15, s9, -1
	s_mov_b64 s[22:23], 0
	s_mov_b32 s3, 0
                                        ; implicit-def: $sgpr21
	s_set_inst_prefetch_distance 0x1
	s_branch .LBB683_216
	.p2align	6
.LBB683_214:                            ;   in Loop: Header=BB683_216 Depth=1
	global_load_u16 v63, v[61:62], off
	global_load_u16 v64, v[59:60], off
	v_add_co_u32 v59, vcc_lo, v59, 2
	v_add_co_ci_u32_e32 v60, vcc_lo, 0, v60, vcc_lo
	v_add_co_u32 v61, s0, v61, 2
	s_delay_alu instid0(VALU_DEP_1)
	v_add_co_ci_u32_e64 v62, s0, 0, v62, s0
	s_add_u32 s22, s22, 1
	s_addc_u32 s23, s23, 0
	s_and_not1_b32 s0, s21, exec_lo
	s_waitcnt vmcnt(0)
	v_cmp_ne_u16_e32 vcc_lo, v63, v64
	s_and_b32 s21, vcc_lo, exec_lo
	s_delay_alu instid0(SALU_CYCLE_1)
	s_or_b32 s21, s0, s21
.LBB683_215:                            ;   in Loop: Header=BB683_216 Depth=1
	v_dual_mov_b32 v64, s23 :: v_dual_mov_b32 v63, s22
	s_and_b32 s0, exec_lo, s21
	s_delay_alu instid0(SALU_CYCLE_1) | instskip(NEXT) | instid1(SALU_CYCLE_1)
	s_or_b32 s3, s0, s3
	s_and_not1_b32 exec_lo, exec_lo, s3
	s_cbranch_execz .LBB683_218
.LBB683_216:                            ; =>This Inner Loop Header: Depth=1
	s_or_b32 s21, s21, exec_lo
	s_cmp_eq_u64 s[14:15], s[22:23]
	s_cbranch_scc0 .LBB683_214
; %bb.217:                              ;   in Loop: Header=BB683_216 Depth=1
	s_mov_b64 s[22:23], s[8:9]
                                        ; implicit-def: $vgpr59_vgpr60
                                        ; implicit-def: $vgpr61_vgpr62
	s_branch .LBB683_215
.LBB683_218:
	s_set_inst_prefetch_distance 0x2
	s_or_b32 exec_lo, exec_lo, s3
	v_cmp_gt_i64_e32 vcc_lo, s[8:9], v[63:64]
	s_mov_b32 s0, 0
	s_delay_alu instid0(SALU_CYCLE_1)
	v_mov_b32_e32 v144, s0
	v_cndmask_b32_e64 v143, 0, 1, vcc_lo
.LBB683_219:
	s_or_b32 exec_lo, exec_lo, s1
.LBB683_220:
	v_mul_lo_u32 v61, v30, s8
	v_mul_lo_u32 v62, v29, s9
	v_mad_u64_u32 v[59:60], null, v29, s8, 0
	v_mov_b32_e32 v147, 0
	v_mov_b32_e32 v148, 0
	v_cmp_ne_u32_e32 vcc_lo, 1, v65
	s_delay_alu instid0(VALU_DEP_2) | instskip(SKIP_1) | instid1(VALU_DEP_1)
	v_dual_mov_b32 v145, v147 :: v_dual_mov_b32 v146, v148
	v_add3_u32 v60, v60, v62, v61
	v_lshlrev_b64 v[59:60], 1, v[59:60]
	s_cbranch_vccnz .LBB683_229
; %bb.221:
	v_add_co_u32 v61, vcc_lo, s10, v57
	v_add_co_ci_u32_e32 v62, vcc_lo, s11, v58, vcc_lo
	s_delay_alu instid0(VALU_DEP_3) | instskip(NEXT) | instid1(VALU_DEP_4)
	v_add_co_u32 v57, vcc_lo, s10, v59
	v_add_co_ci_u32_e32 v58, vcc_lo, s11, v60, vcc_lo
	v_mov_b32_e32 v145, 1
	s_clause 0x1
	global_load_u16 v63, v[61:62], off
	global_load_u16 v64, v[57:58], off
	v_mov_b32_e32 v146, 0
	s_mov_b32 s1, exec_lo
	s_waitcnt vmcnt(0)
	v_cmpx_eq_u16_e64 v63, v64
	s_cbranch_execz .LBB683_228
; %bb.222:
	v_add_co_u32 v57, vcc_lo, v57, 2
	v_add_co_ci_u32_e32 v58, vcc_lo, 0, v58, vcc_lo
	v_add_co_u32 v61, vcc_lo, v61, 2
	v_add_co_ci_u32_e32 v62, vcc_lo, 0, v62, vcc_lo
	s_add_u32 s14, s8, -1
	s_addc_u32 s15, s9, -1
	s_mov_b64 s[22:23], 0
	s_mov_b32 s3, 0
                                        ; implicit-def: $sgpr21
	s_set_inst_prefetch_distance 0x1
	s_branch .LBB683_225
	.p2align	6
.LBB683_223:                            ;   in Loop: Header=BB683_225 Depth=1
	global_load_u16 v63, v[61:62], off
	global_load_u16 v64, v[57:58], off
	v_add_co_u32 v57, vcc_lo, v57, 2
	v_add_co_ci_u32_e32 v58, vcc_lo, 0, v58, vcc_lo
	v_add_co_u32 v61, s0, v61, 2
	s_delay_alu instid0(VALU_DEP_1)
	v_add_co_ci_u32_e64 v62, s0, 0, v62, s0
	s_add_u32 s22, s22, 1
	s_addc_u32 s23, s23, 0
	s_and_not1_b32 s0, s21, exec_lo
	s_waitcnt vmcnt(0)
	v_cmp_ne_u16_e32 vcc_lo, v63, v64
	s_and_b32 s21, vcc_lo, exec_lo
	s_delay_alu instid0(SALU_CYCLE_1)
	s_or_b32 s21, s0, s21
.LBB683_224:                            ;   in Loop: Header=BB683_225 Depth=1
	v_dual_mov_b32 v64, s23 :: v_dual_mov_b32 v63, s22
	s_and_b32 s0, exec_lo, s21
	s_delay_alu instid0(SALU_CYCLE_1) | instskip(NEXT) | instid1(SALU_CYCLE_1)
	s_or_b32 s3, s0, s3
	s_and_not1_b32 exec_lo, exec_lo, s3
	s_cbranch_execz .LBB683_227
.LBB683_225:                            ; =>This Inner Loop Header: Depth=1
	s_or_b32 s21, s21, exec_lo
	s_cmp_eq_u64 s[14:15], s[22:23]
	s_cbranch_scc0 .LBB683_223
; %bb.226:                              ;   in Loop: Header=BB683_225 Depth=1
	s_mov_b64 s[22:23], s[8:9]
                                        ; implicit-def: $vgpr57_vgpr58
                                        ; implicit-def: $vgpr61_vgpr62
	s_branch .LBB683_224
.LBB683_227:
	s_set_inst_prefetch_distance 0x2
	s_or_b32 exec_lo, exec_lo, s3
	v_cmp_gt_i64_e32 vcc_lo, s[8:9], v[63:64]
	s_mov_b32 s0, 0
	s_delay_alu instid0(SALU_CYCLE_1)
	v_mov_b32_e32 v146, s0
	v_cndmask_b32_e64 v145, 0, 1, vcc_lo
.LBB683_228:
	s_or_b32 exec_lo, exec_lo, s1
.LBB683_229:
	v_mul_lo_u32 v61, v28, s8
	v_mul_lo_u32 v62, v27, s9
	v_mad_u64_u32 v[57:58], null, v27, s8, 0
	v_cmp_ne_u32_e32 vcc_lo, 1, v65
	s_delay_alu instid0(VALU_DEP_2) | instskip(NEXT) | instid1(VALU_DEP_1)
	v_add3_u32 v58, v58, v62, v61
	v_lshlrev_b64 v[57:58], 1, v[57:58]
	s_cbranch_vccnz .LBB683_238
; %bb.230:
	v_add_co_u32 v61, vcc_lo, s10, v59
	v_add_co_ci_u32_e32 v62, vcc_lo, s11, v60, vcc_lo
	s_delay_alu instid0(VALU_DEP_3) | instskip(NEXT) | instid1(VALU_DEP_4)
	v_add_co_u32 v59, vcc_lo, s10, v57
	v_add_co_ci_u32_e32 v60, vcc_lo, s11, v58, vcc_lo
	v_mov_b32_e32 v147, 1
	s_clause 0x1
	global_load_u16 v63, v[61:62], off
	global_load_u16 v64, v[59:60], off
	v_mov_b32_e32 v148, 0
	s_mov_b32 s1, exec_lo
	s_waitcnt vmcnt(0)
	v_cmpx_eq_u16_e64 v63, v64
	s_cbranch_execz .LBB683_237
; %bb.231:
	v_add_co_u32 v59, vcc_lo, v59, 2
	v_add_co_ci_u32_e32 v60, vcc_lo, 0, v60, vcc_lo
	v_add_co_u32 v61, vcc_lo, v61, 2
	v_add_co_ci_u32_e32 v62, vcc_lo, 0, v62, vcc_lo
	s_add_u32 s14, s8, -1
	s_addc_u32 s15, s9, -1
	s_mov_b64 s[22:23], 0
	s_mov_b32 s3, 0
                                        ; implicit-def: $sgpr21
	s_set_inst_prefetch_distance 0x1
	s_branch .LBB683_234
	.p2align	6
.LBB683_232:                            ;   in Loop: Header=BB683_234 Depth=1
	global_load_u16 v63, v[61:62], off
	global_load_u16 v64, v[59:60], off
	v_add_co_u32 v59, vcc_lo, v59, 2
	v_add_co_ci_u32_e32 v60, vcc_lo, 0, v60, vcc_lo
	v_add_co_u32 v61, s0, v61, 2
	s_delay_alu instid0(VALU_DEP_1)
	v_add_co_ci_u32_e64 v62, s0, 0, v62, s0
	s_add_u32 s22, s22, 1
	s_addc_u32 s23, s23, 0
	s_and_not1_b32 s0, s21, exec_lo
	s_waitcnt vmcnt(0)
	v_cmp_ne_u16_e32 vcc_lo, v63, v64
	s_and_b32 s21, vcc_lo, exec_lo
	s_delay_alu instid0(SALU_CYCLE_1)
	s_or_b32 s21, s0, s21
.LBB683_233:                            ;   in Loop: Header=BB683_234 Depth=1
	v_dual_mov_b32 v64, s23 :: v_dual_mov_b32 v63, s22
	s_and_b32 s0, exec_lo, s21
	s_delay_alu instid0(SALU_CYCLE_1) | instskip(NEXT) | instid1(SALU_CYCLE_1)
	s_or_b32 s3, s0, s3
	s_and_not1_b32 exec_lo, exec_lo, s3
	s_cbranch_execz .LBB683_236
.LBB683_234:                            ; =>This Inner Loop Header: Depth=1
	s_or_b32 s21, s21, exec_lo
	s_cmp_eq_u64 s[14:15], s[22:23]
	s_cbranch_scc0 .LBB683_232
; %bb.235:                              ;   in Loop: Header=BB683_234 Depth=1
	s_mov_b64 s[22:23], s[8:9]
                                        ; implicit-def: $vgpr59_vgpr60
                                        ; implicit-def: $vgpr61_vgpr62
	s_branch .LBB683_233
.LBB683_236:
	s_set_inst_prefetch_distance 0x2
	s_or_b32 exec_lo, exec_lo, s3
	v_cmp_gt_i64_e32 vcc_lo, s[8:9], v[63:64]
	s_mov_b32 s0, 0
	s_delay_alu instid0(SALU_CYCLE_1)
	v_mov_b32_e32 v148, s0
	v_cndmask_b32_e64 v147, 0, 1, vcc_lo
.LBB683_237:
	s_or_b32 exec_lo, exec_lo, s1
.LBB683_238:
	v_mul_lo_u32 v61, v26, s8
	v_mul_lo_u32 v62, v25, s9
	v_mad_u64_u32 v[59:60], null, v25, s8, 0
	v_mov_b32_e32 v151, 0
	v_mov_b32_e32 v152, 0
	v_cmp_ne_u32_e32 vcc_lo, 1, v65
	s_delay_alu instid0(VALU_DEP_2) | instskip(SKIP_1) | instid1(VALU_DEP_1)
	v_dual_mov_b32 v149, v151 :: v_dual_mov_b32 v150, v152
	v_add3_u32 v60, v60, v62, v61
	v_lshlrev_b64 v[59:60], 1, v[59:60]
	s_cbranch_vccnz .LBB683_247
; %bb.239:
	v_add_co_u32 v61, vcc_lo, s10, v57
	v_add_co_ci_u32_e32 v62, vcc_lo, s11, v58, vcc_lo
	s_delay_alu instid0(VALU_DEP_3) | instskip(NEXT) | instid1(VALU_DEP_4)
	v_add_co_u32 v57, vcc_lo, s10, v59
	v_add_co_ci_u32_e32 v58, vcc_lo, s11, v60, vcc_lo
	v_mov_b32_e32 v149, 1
	s_clause 0x1
	global_load_u16 v63, v[61:62], off
	global_load_u16 v64, v[57:58], off
	v_mov_b32_e32 v150, 0
	s_mov_b32 s1, exec_lo
	s_waitcnt vmcnt(0)
	v_cmpx_eq_u16_e64 v63, v64
	s_cbranch_execz .LBB683_246
; %bb.240:
	v_add_co_u32 v57, vcc_lo, v57, 2
	v_add_co_ci_u32_e32 v58, vcc_lo, 0, v58, vcc_lo
	v_add_co_u32 v61, vcc_lo, v61, 2
	v_add_co_ci_u32_e32 v62, vcc_lo, 0, v62, vcc_lo
	s_add_u32 s14, s8, -1
	s_addc_u32 s15, s9, -1
	s_mov_b64 s[22:23], 0
	s_mov_b32 s3, 0
                                        ; implicit-def: $sgpr21
	s_set_inst_prefetch_distance 0x1
	s_branch .LBB683_243
	.p2align	6
.LBB683_241:                            ;   in Loop: Header=BB683_243 Depth=1
	global_load_u16 v63, v[61:62], off
	global_load_u16 v64, v[57:58], off
	v_add_co_u32 v57, vcc_lo, v57, 2
	v_add_co_ci_u32_e32 v58, vcc_lo, 0, v58, vcc_lo
	v_add_co_u32 v61, s0, v61, 2
	s_delay_alu instid0(VALU_DEP_1)
	v_add_co_ci_u32_e64 v62, s0, 0, v62, s0
	s_add_u32 s22, s22, 1
	s_addc_u32 s23, s23, 0
	s_and_not1_b32 s0, s21, exec_lo
	s_waitcnt vmcnt(0)
	v_cmp_ne_u16_e32 vcc_lo, v63, v64
	s_and_b32 s21, vcc_lo, exec_lo
	s_delay_alu instid0(SALU_CYCLE_1)
	s_or_b32 s21, s0, s21
.LBB683_242:                            ;   in Loop: Header=BB683_243 Depth=1
	v_dual_mov_b32 v64, s23 :: v_dual_mov_b32 v63, s22
	s_and_b32 s0, exec_lo, s21
	s_delay_alu instid0(SALU_CYCLE_1) | instskip(NEXT) | instid1(SALU_CYCLE_1)
	s_or_b32 s3, s0, s3
	s_and_not1_b32 exec_lo, exec_lo, s3
	s_cbranch_execz .LBB683_245
.LBB683_243:                            ; =>This Inner Loop Header: Depth=1
	s_or_b32 s21, s21, exec_lo
	s_cmp_eq_u64 s[14:15], s[22:23]
	s_cbranch_scc0 .LBB683_241
; %bb.244:                              ;   in Loop: Header=BB683_243 Depth=1
	s_mov_b64 s[22:23], s[8:9]
                                        ; implicit-def: $vgpr57_vgpr58
                                        ; implicit-def: $vgpr61_vgpr62
	s_branch .LBB683_242
.LBB683_245:
	s_set_inst_prefetch_distance 0x2
	s_or_b32 exec_lo, exec_lo, s3
	v_cmp_gt_i64_e32 vcc_lo, s[8:9], v[63:64]
	s_mov_b32 s0, 0
	s_delay_alu instid0(SALU_CYCLE_1)
	v_mov_b32_e32 v150, s0
	v_cndmask_b32_e64 v149, 0, 1, vcc_lo
.LBB683_246:
	s_or_b32 exec_lo, exec_lo, s1
.LBB683_247:
	v_mul_lo_u32 v61, v24, s8
	v_mul_lo_u32 v62, v23, s9
	v_mad_u64_u32 v[57:58], null, v23, s8, 0
	v_cmp_ne_u32_e32 vcc_lo, 1, v65
	s_delay_alu instid0(VALU_DEP_2) | instskip(NEXT) | instid1(VALU_DEP_1)
	v_add3_u32 v58, v58, v62, v61
	v_lshlrev_b64 v[57:58], 1, v[57:58]
	s_cbranch_vccnz .LBB683_256
; %bb.248:
	v_add_co_u32 v61, vcc_lo, s10, v59
	v_add_co_ci_u32_e32 v62, vcc_lo, s11, v60, vcc_lo
	s_delay_alu instid0(VALU_DEP_3) | instskip(NEXT) | instid1(VALU_DEP_4)
	v_add_co_u32 v59, vcc_lo, s10, v57
	v_add_co_ci_u32_e32 v60, vcc_lo, s11, v58, vcc_lo
	v_mov_b32_e32 v151, 1
	s_clause 0x1
	global_load_u16 v63, v[61:62], off
	global_load_u16 v64, v[59:60], off
	v_mov_b32_e32 v152, 0
	s_mov_b32 s1, exec_lo
	s_waitcnt vmcnt(0)
	v_cmpx_eq_u16_e64 v63, v64
	s_cbranch_execz .LBB683_255
; %bb.249:
	v_add_co_u32 v59, vcc_lo, v59, 2
	v_add_co_ci_u32_e32 v60, vcc_lo, 0, v60, vcc_lo
	v_add_co_u32 v61, vcc_lo, v61, 2
	v_add_co_ci_u32_e32 v62, vcc_lo, 0, v62, vcc_lo
	s_add_u32 s14, s8, -1
	s_addc_u32 s15, s9, -1
	s_mov_b64 s[22:23], 0
	s_mov_b32 s3, 0
                                        ; implicit-def: $sgpr21
	s_set_inst_prefetch_distance 0x1
	s_branch .LBB683_252
	.p2align	6
.LBB683_250:                            ;   in Loop: Header=BB683_252 Depth=1
	global_load_u16 v63, v[61:62], off
	global_load_u16 v64, v[59:60], off
	v_add_co_u32 v59, vcc_lo, v59, 2
	v_add_co_ci_u32_e32 v60, vcc_lo, 0, v60, vcc_lo
	v_add_co_u32 v61, s0, v61, 2
	s_delay_alu instid0(VALU_DEP_1)
	v_add_co_ci_u32_e64 v62, s0, 0, v62, s0
	s_add_u32 s22, s22, 1
	s_addc_u32 s23, s23, 0
	s_and_not1_b32 s0, s21, exec_lo
	s_waitcnt vmcnt(0)
	v_cmp_ne_u16_e32 vcc_lo, v63, v64
	s_and_b32 s21, vcc_lo, exec_lo
	s_delay_alu instid0(SALU_CYCLE_1)
	s_or_b32 s21, s0, s21
.LBB683_251:                            ;   in Loop: Header=BB683_252 Depth=1
	v_dual_mov_b32 v64, s23 :: v_dual_mov_b32 v63, s22
	s_and_b32 s0, exec_lo, s21
	s_delay_alu instid0(SALU_CYCLE_1) | instskip(NEXT) | instid1(SALU_CYCLE_1)
	s_or_b32 s3, s0, s3
	s_and_not1_b32 exec_lo, exec_lo, s3
	s_cbranch_execz .LBB683_254
.LBB683_252:                            ; =>This Inner Loop Header: Depth=1
	s_or_b32 s21, s21, exec_lo
	s_cmp_eq_u64 s[14:15], s[22:23]
	s_cbranch_scc0 .LBB683_250
; %bb.253:                              ;   in Loop: Header=BB683_252 Depth=1
	s_mov_b64 s[22:23], s[8:9]
                                        ; implicit-def: $vgpr59_vgpr60
                                        ; implicit-def: $vgpr61_vgpr62
	s_branch .LBB683_251
.LBB683_254:
	s_set_inst_prefetch_distance 0x2
	s_or_b32 exec_lo, exec_lo, s3
	v_cmp_gt_i64_e32 vcc_lo, s[8:9], v[63:64]
	s_mov_b32 s0, 0
	s_delay_alu instid0(SALU_CYCLE_1)
	v_mov_b32_e32 v152, s0
	v_cndmask_b32_e64 v151, 0, 1, vcc_lo
.LBB683_255:
	s_or_b32 exec_lo, exec_lo, s1
.LBB683_256:
	v_mul_lo_u32 v61, v22, s8
	v_mul_lo_u32 v62, v21, s9
	v_mad_u64_u32 v[59:60], null, v21, s8, 0
	v_mov_b32_e32 v155, 0
	v_mov_b32_e32 v156, 0
	v_cmp_ne_u32_e32 vcc_lo, 1, v65
	s_delay_alu instid0(VALU_DEP_2) | instskip(SKIP_1) | instid1(VALU_DEP_1)
	v_dual_mov_b32 v153, v155 :: v_dual_mov_b32 v154, v156
	v_add3_u32 v60, v60, v62, v61
	v_lshlrev_b64 v[59:60], 1, v[59:60]
	s_cbranch_vccnz .LBB683_265
; %bb.257:
	v_add_co_u32 v61, vcc_lo, s10, v57
	v_add_co_ci_u32_e32 v62, vcc_lo, s11, v58, vcc_lo
	s_delay_alu instid0(VALU_DEP_3) | instskip(NEXT) | instid1(VALU_DEP_4)
	v_add_co_u32 v57, vcc_lo, s10, v59
	v_add_co_ci_u32_e32 v58, vcc_lo, s11, v60, vcc_lo
	v_mov_b32_e32 v153, 1
	s_clause 0x1
	global_load_u16 v63, v[61:62], off
	global_load_u16 v64, v[57:58], off
	v_mov_b32_e32 v154, 0
	s_mov_b32 s1, exec_lo
	s_waitcnt vmcnt(0)
	v_cmpx_eq_u16_e64 v63, v64
	s_cbranch_execz .LBB683_264
; %bb.258:
	v_add_co_u32 v57, vcc_lo, v57, 2
	v_add_co_ci_u32_e32 v58, vcc_lo, 0, v58, vcc_lo
	v_add_co_u32 v61, vcc_lo, v61, 2
	v_add_co_ci_u32_e32 v62, vcc_lo, 0, v62, vcc_lo
	s_add_u32 s14, s8, -1
	s_addc_u32 s15, s9, -1
	s_mov_b64 s[22:23], 0
	s_mov_b32 s3, 0
                                        ; implicit-def: $sgpr21
	s_set_inst_prefetch_distance 0x1
	s_branch .LBB683_261
	.p2align	6
.LBB683_259:                            ;   in Loop: Header=BB683_261 Depth=1
	global_load_u16 v63, v[61:62], off
	global_load_u16 v64, v[57:58], off
	v_add_co_u32 v57, vcc_lo, v57, 2
	v_add_co_ci_u32_e32 v58, vcc_lo, 0, v58, vcc_lo
	v_add_co_u32 v61, s0, v61, 2
	s_delay_alu instid0(VALU_DEP_1)
	v_add_co_ci_u32_e64 v62, s0, 0, v62, s0
	s_add_u32 s22, s22, 1
	s_addc_u32 s23, s23, 0
	s_and_not1_b32 s0, s21, exec_lo
	s_waitcnt vmcnt(0)
	v_cmp_ne_u16_e32 vcc_lo, v63, v64
	s_and_b32 s21, vcc_lo, exec_lo
	s_delay_alu instid0(SALU_CYCLE_1)
	s_or_b32 s21, s0, s21
.LBB683_260:                            ;   in Loop: Header=BB683_261 Depth=1
	v_dual_mov_b32 v64, s23 :: v_dual_mov_b32 v63, s22
	s_and_b32 s0, exec_lo, s21
	s_delay_alu instid0(SALU_CYCLE_1) | instskip(NEXT) | instid1(SALU_CYCLE_1)
	s_or_b32 s3, s0, s3
	s_and_not1_b32 exec_lo, exec_lo, s3
	s_cbranch_execz .LBB683_263
.LBB683_261:                            ; =>This Inner Loop Header: Depth=1
	s_or_b32 s21, s21, exec_lo
	s_cmp_eq_u64 s[14:15], s[22:23]
	s_cbranch_scc0 .LBB683_259
; %bb.262:                              ;   in Loop: Header=BB683_261 Depth=1
	s_mov_b64 s[22:23], s[8:9]
                                        ; implicit-def: $vgpr57_vgpr58
                                        ; implicit-def: $vgpr61_vgpr62
	s_branch .LBB683_260
.LBB683_263:
	s_set_inst_prefetch_distance 0x2
	s_or_b32 exec_lo, exec_lo, s3
	v_cmp_gt_i64_e32 vcc_lo, s[8:9], v[63:64]
	s_mov_b32 s0, 0
	s_delay_alu instid0(SALU_CYCLE_1)
	v_mov_b32_e32 v154, s0
	v_cndmask_b32_e64 v153, 0, 1, vcc_lo
.LBB683_264:
	s_or_b32 exec_lo, exec_lo, s1
.LBB683_265:
	v_mul_lo_u32 v61, v20, s8
	v_mul_lo_u32 v62, v19, s9
	v_mad_u64_u32 v[57:58], null, v19, s8, 0
	v_cmp_ne_u32_e32 vcc_lo, 1, v65
	s_delay_alu instid0(VALU_DEP_2) | instskip(NEXT) | instid1(VALU_DEP_1)
	v_add3_u32 v58, v58, v62, v61
	v_lshlrev_b64 v[57:58], 1, v[57:58]
	s_cbranch_vccnz .LBB683_274
; %bb.266:
	v_add_co_u32 v61, vcc_lo, s10, v59
	v_add_co_ci_u32_e32 v62, vcc_lo, s11, v60, vcc_lo
	s_delay_alu instid0(VALU_DEP_3) | instskip(NEXT) | instid1(VALU_DEP_4)
	v_add_co_u32 v59, vcc_lo, s10, v57
	v_add_co_ci_u32_e32 v60, vcc_lo, s11, v58, vcc_lo
	v_mov_b32_e32 v155, 1
	s_clause 0x1
	global_load_u16 v63, v[61:62], off
	global_load_u16 v64, v[59:60], off
	v_mov_b32_e32 v156, 0
	s_mov_b32 s1, exec_lo
	s_waitcnt vmcnt(0)
	v_cmpx_eq_u16_e64 v63, v64
	s_cbranch_execz .LBB683_273
; %bb.267:
	v_add_co_u32 v59, vcc_lo, v59, 2
	v_add_co_ci_u32_e32 v60, vcc_lo, 0, v60, vcc_lo
	v_add_co_u32 v61, vcc_lo, v61, 2
	v_add_co_ci_u32_e32 v62, vcc_lo, 0, v62, vcc_lo
	s_add_u32 s14, s8, -1
	s_addc_u32 s15, s9, -1
	s_mov_b64 s[22:23], 0
	s_mov_b32 s3, 0
                                        ; implicit-def: $sgpr21
	s_set_inst_prefetch_distance 0x1
	s_branch .LBB683_270
	.p2align	6
.LBB683_268:                            ;   in Loop: Header=BB683_270 Depth=1
	global_load_u16 v63, v[61:62], off
	global_load_u16 v64, v[59:60], off
	v_add_co_u32 v59, vcc_lo, v59, 2
	v_add_co_ci_u32_e32 v60, vcc_lo, 0, v60, vcc_lo
	v_add_co_u32 v61, s0, v61, 2
	s_delay_alu instid0(VALU_DEP_1)
	v_add_co_ci_u32_e64 v62, s0, 0, v62, s0
	s_add_u32 s22, s22, 1
	s_addc_u32 s23, s23, 0
	s_and_not1_b32 s0, s21, exec_lo
	s_waitcnt vmcnt(0)
	v_cmp_ne_u16_e32 vcc_lo, v63, v64
	s_and_b32 s21, vcc_lo, exec_lo
	s_delay_alu instid0(SALU_CYCLE_1)
	s_or_b32 s21, s0, s21
.LBB683_269:                            ;   in Loop: Header=BB683_270 Depth=1
	v_dual_mov_b32 v64, s23 :: v_dual_mov_b32 v63, s22
	s_and_b32 s0, exec_lo, s21
	s_delay_alu instid0(SALU_CYCLE_1) | instskip(NEXT) | instid1(SALU_CYCLE_1)
	s_or_b32 s3, s0, s3
	s_and_not1_b32 exec_lo, exec_lo, s3
	s_cbranch_execz .LBB683_272
.LBB683_270:                            ; =>This Inner Loop Header: Depth=1
	s_or_b32 s21, s21, exec_lo
	s_cmp_eq_u64 s[14:15], s[22:23]
	s_cbranch_scc0 .LBB683_268
; %bb.271:                              ;   in Loop: Header=BB683_270 Depth=1
	s_mov_b64 s[22:23], s[8:9]
                                        ; implicit-def: $vgpr59_vgpr60
                                        ; implicit-def: $vgpr61_vgpr62
	s_branch .LBB683_269
.LBB683_272:
	s_set_inst_prefetch_distance 0x2
	s_or_b32 exec_lo, exec_lo, s3
	v_cmp_gt_i64_e32 vcc_lo, s[8:9], v[63:64]
	s_mov_b32 s0, 0
	s_delay_alu instid0(SALU_CYCLE_1)
	v_mov_b32_e32 v156, s0
	v_cndmask_b32_e64 v155, 0, 1, vcc_lo
.LBB683_273:
	s_or_b32 exec_lo, exec_lo, s1
.LBB683_274:
	v_mul_lo_u32 v61, v18, s8
	v_mul_lo_u32 v62, v17, s9
	v_mad_u64_u32 v[59:60], null, v17, s8, 0
	v_mov_b32_e32 v159, 0
	v_mov_b32_e32 v160, 0
	v_cmp_ne_u32_e32 vcc_lo, 1, v65
	s_delay_alu instid0(VALU_DEP_2) | instskip(SKIP_1) | instid1(VALU_DEP_1)
	v_dual_mov_b32 v157, v159 :: v_dual_mov_b32 v158, v160
	v_add3_u32 v60, v60, v62, v61
	v_lshlrev_b64 v[59:60], 1, v[59:60]
	s_cbranch_vccnz .LBB683_283
; %bb.275:
	v_add_co_u32 v61, vcc_lo, s10, v57
	v_add_co_ci_u32_e32 v62, vcc_lo, s11, v58, vcc_lo
	s_delay_alu instid0(VALU_DEP_3) | instskip(NEXT) | instid1(VALU_DEP_4)
	v_add_co_u32 v57, vcc_lo, s10, v59
	v_add_co_ci_u32_e32 v58, vcc_lo, s11, v60, vcc_lo
	v_mov_b32_e32 v157, 1
	s_clause 0x1
	global_load_u16 v63, v[61:62], off
	global_load_u16 v64, v[57:58], off
	v_mov_b32_e32 v158, 0
	s_mov_b32 s1, exec_lo
	s_waitcnt vmcnt(0)
	v_cmpx_eq_u16_e64 v63, v64
	s_cbranch_execz .LBB683_282
; %bb.276:
	v_add_co_u32 v57, vcc_lo, v57, 2
	v_add_co_ci_u32_e32 v58, vcc_lo, 0, v58, vcc_lo
	v_add_co_u32 v61, vcc_lo, v61, 2
	v_add_co_ci_u32_e32 v62, vcc_lo, 0, v62, vcc_lo
	s_add_u32 s14, s8, -1
	s_addc_u32 s15, s9, -1
	s_mov_b64 s[22:23], 0
	s_mov_b32 s3, 0
                                        ; implicit-def: $sgpr21
	s_set_inst_prefetch_distance 0x1
	s_branch .LBB683_279
	.p2align	6
.LBB683_277:                            ;   in Loop: Header=BB683_279 Depth=1
	global_load_u16 v63, v[61:62], off
	global_load_u16 v64, v[57:58], off
	v_add_co_u32 v57, vcc_lo, v57, 2
	v_add_co_ci_u32_e32 v58, vcc_lo, 0, v58, vcc_lo
	v_add_co_u32 v61, s0, v61, 2
	s_delay_alu instid0(VALU_DEP_1)
	v_add_co_ci_u32_e64 v62, s0, 0, v62, s0
	s_add_u32 s22, s22, 1
	s_addc_u32 s23, s23, 0
	s_and_not1_b32 s0, s21, exec_lo
	s_waitcnt vmcnt(0)
	v_cmp_ne_u16_e32 vcc_lo, v63, v64
	s_and_b32 s21, vcc_lo, exec_lo
	s_delay_alu instid0(SALU_CYCLE_1)
	s_or_b32 s21, s0, s21
.LBB683_278:                            ;   in Loop: Header=BB683_279 Depth=1
	v_dual_mov_b32 v64, s23 :: v_dual_mov_b32 v63, s22
	s_and_b32 s0, exec_lo, s21
	s_delay_alu instid0(SALU_CYCLE_1) | instskip(NEXT) | instid1(SALU_CYCLE_1)
	s_or_b32 s3, s0, s3
	s_and_not1_b32 exec_lo, exec_lo, s3
	s_cbranch_execz .LBB683_281
.LBB683_279:                            ; =>This Inner Loop Header: Depth=1
	s_or_b32 s21, s21, exec_lo
	s_cmp_eq_u64 s[14:15], s[22:23]
	s_cbranch_scc0 .LBB683_277
; %bb.280:                              ;   in Loop: Header=BB683_279 Depth=1
	s_mov_b64 s[22:23], s[8:9]
                                        ; implicit-def: $vgpr57_vgpr58
                                        ; implicit-def: $vgpr61_vgpr62
	s_branch .LBB683_278
.LBB683_281:
	s_set_inst_prefetch_distance 0x2
	s_or_b32 exec_lo, exec_lo, s3
	v_cmp_gt_i64_e32 vcc_lo, s[8:9], v[63:64]
	s_mov_b32 s0, 0
	s_delay_alu instid0(SALU_CYCLE_1)
	v_mov_b32_e32 v158, s0
	v_cndmask_b32_e64 v157, 0, 1, vcc_lo
.LBB683_282:
	s_or_b32 exec_lo, exec_lo, s1
.LBB683_283:
	v_mul_lo_u32 v61, v16, s8
	v_mul_lo_u32 v62, v15, s9
	v_mad_u64_u32 v[57:58], null, v15, s8, 0
	v_cmp_ne_u32_e32 vcc_lo, 1, v65
	s_delay_alu instid0(VALU_DEP_2) | instskip(NEXT) | instid1(VALU_DEP_1)
	v_add3_u32 v58, v58, v62, v61
	v_lshlrev_b64 v[57:58], 1, v[57:58]
	s_cbranch_vccnz .LBB683_292
; %bb.284:
	v_add_co_u32 v61, vcc_lo, s10, v59
	v_add_co_ci_u32_e32 v62, vcc_lo, s11, v60, vcc_lo
	s_delay_alu instid0(VALU_DEP_3) | instskip(NEXT) | instid1(VALU_DEP_4)
	v_add_co_u32 v59, vcc_lo, s10, v57
	v_add_co_ci_u32_e32 v60, vcc_lo, s11, v58, vcc_lo
	v_mov_b32_e32 v159, 1
	s_clause 0x1
	global_load_u16 v63, v[61:62], off
	global_load_u16 v64, v[59:60], off
	v_mov_b32_e32 v160, 0
	s_mov_b32 s1, exec_lo
	s_waitcnt vmcnt(0)
	v_cmpx_eq_u16_e64 v63, v64
	s_cbranch_execz .LBB683_291
; %bb.285:
	v_add_co_u32 v59, vcc_lo, v59, 2
	v_add_co_ci_u32_e32 v60, vcc_lo, 0, v60, vcc_lo
	v_add_co_u32 v61, vcc_lo, v61, 2
	v_add_co_ci_u32_e32 v62, vcc_lo, 0, v62, vcc_lo
	s_add_u32 s14, s8, -1
	s_addc_u32 s15, s9, -1
	s_mov_b64 s[22:23], 0
	s_mov_b32 s3, 0
                                        ; implicit-def: $sgpr21
	s_set_inst_prefetch_distance 0x1
	s_branch .LBB683_288
	.p2align	6
.LBB683_286:                            ;   in Loop: Header=BB683_288 Depth=1
	global_load_u16 v63, v[61:62], off
	global_load_u16 v64, v[59:60], off
	v_add_co_u32 v59, vcc_lo, v59, 2
	v_add_co_ci_u32_e32 v60, vcc_lo, 0, v60, vcc_lo
	v_add_co_u32 v61, s0, v61, 2
	s_delay_alu instid0(VALU_DEP_1)
	v_add_co_ci_u32_e64 v62, s0, 0, v62, s0
	s_add_u32 s22, s22, 1
	s_addc_u32 s23, s23, 0
	s_and_not1_b32 s0, s21, exec_lo
	s_waitcnt vmcnt(0)
	v_cmp_ne_u16_e32 vcc_lo, v63, v64
	s_and_b32 s21, vcc_lo, exec_lo
	s_delay_alu instid0(SALU_CYCLE_1)
	s_or_b32 s21, s0, s21
.LBB683_287:                            ;   in Loop: Header=BB683_288 Depth=1
	v_dual_mov_b32 v64, s23 :: v_dual_mov_b32 v63, s22
	s_and_b32 s0, exec_lo, s21
	s_delay_alu instid0(SALU_CYCLE_1) | instskip(NEXT) | instid1(SALU_CYCLE_1)
	s_or_b32 s3, s0, s3
	s_and_not1_b32 exec_lo, exec_lo, s3
	s_cbranch_execz .LBB683_290
.LBB683_288:                            ; =>This Inner Loop Header: Depth=1
	s_or_b32 s21, s21, exec_lo
	s_cmp_eq_u64 s[14:15], s[22:23]
	s_cbranch_scc0 .LBB683_286
; %bb.289:                              ;   in Loop: Header=BB683_288 Depth=1
	s_mov_b64 s[22:23], s[8:9]
                                        ; implicit-def: $vgpr59_vgpr60
                                        ; implicit-def: $vgpr61_vgpr62
	s_branch .LBB683_287
.LBB683_290:
	s_set_inst_prefetch_distance 0x2
	s_or_b32 exec_lo, exec_lo, s3
	v_cmp_gt_i64_e32 vcc_lo, s[8:9], v[63:64]
	s_mov_b32 s0, 0
	s_delay_alu instid0(SALU_CYCLE_1)
	v_mov_b32_e32 v160, s0
	v_cndmask_b32_e64 v159, 0, 1, vcc_lo
.LBB683_291:
	s_or_b32 exec_lo, exec_lo, s1
.LBB683_292:
	v_mul_lo_u32 v61, v14, s8
	v_mul_lo_u32 v62, v13, s9
	v_mad_u64_u32 v[59:60], null, v13, s8, 0
	v_mov_b32_e32 v163, 0
	v_mov_b32_e32 v164, 0
	v_cmp_ne_u32_e32 vcc_lo, 1, v65
	s_delay_alu instid0(VALU_DEP_2) | instskip(SKIP_1) | instid1(VALU_DEP_1)
	v_dual_mov_b32 v161, v163 :: v_dual_mov_b32 v162, v164
	v_add3_u32 v60, v60, v62, v61
	v_lshlrev_b64 v[59:60], 1, v[59:60]
	s_cbranch_vccnz .LBB683_301
; %bb.293:
	v_add_co_u32 v61, vcc_lo, s10, v57
	v_add_co_ci_u32_e32 v62, vcc_lo, s11, v58, vcc_lo
	s_delay_alu instid0(VALU_DEP_3) | instskip(NEXT) | instid1(VALU_DEP_4)
	v_add_co_u32 v57, vcc_lo, s10, v59
	v_add_co_ci_u32_e32 v58, vcc_lo, s11, v60, vcc_lo
	v_mov_b32_e32 v161, 1
	s_clause 0x1
	global_load_u16 v63, v[61:62], off
	global_load_u16 v64, v[57:58], off
	v_mov_b32_e32 v162, 0
	s_mov_b32 s1, exec_lo
	s_waitcnt vmcnt(0)
	v_cmpx_eq_u16_e64 v63, v64
	s_cbranch_execz .LBB683_300
; %bb.294:
	v_add_co_u32 v57, vcc_lo, v57, 2
	v_add_co_ci_u32_e32 v58, vcc_lo, 0, v58, vcc_lo
	v_add_co_u32 v61, vcc_lo, v61, 2
	v_add_co_ci_u32_e32 v62, vcc_lo, 0, v62, vcc_lo
	s_add_u32 s14, s8, -1
	s_addc_u32 s15, s9, -1
	s_mov_b64 s[22:23], 0
	s_mov_b32 s3, 0
                                        ; implicit-def: $sgpr21
	s_set_inst_prefetch_distance 0x1
	s_branch .LBB683_297
	.p2align	6
.LBB683_295:                            ;   in Loop: Header=BB683_297 Depth=1
	global_load_u16 v63, v[61:62], off
	global_load_u16 v64, v[57:58], off
	v_add_co_u32 v57, vcc_lo, v57, 2
	v_add_co_ci_u32_e32 v58, vcc_lo, 0, v58, vcc_lo
	v_add_co_u32 v61, s0, v61, 2
	s_delay_alu instid0(VALU_DEP_1)
	v_add_co_ci_u32_e64 v62, s0, 0, v62, s0
	s_add_u32 s22, s22, 1
	s_addc_u32 s23, s23, 0
	s_and_not1_b32 s0, s21, exec_lo
	s_waitcnt vmcnt(0)
	v_cmp_ne_u16_e32 vcc_lo, v63, v64
	s_and_b32 s21, vcc_lo, exec_lo
	s_delay_alu instid0(SALU_CYCLE_1)
	s_or_b32 s21, s0, s21
.LBB683_296:                            ;   in Loop: Header=BB683_297 Depth=1
	v_dual_mov_b32 v64, s23 :: v_dual_mov_b32 v63, s22
	s_and_b32 s0, exec_lo, s21
	s_delay_alu instid0(SALU_CYCLE_1) | instskip(NEXT) | instid1(SALU_CYCLE_1)
	s_or_b32 s3, s0, s3
	s_and_not1_b32 exec_lo, exec_lo, s3
	s_cbranch_execz .LBB683_299
.LBB683_297:                            ; =>This Inner Loop Header: Depth=1
	s_or_b32 s21, s21, exec_lo
	s_cmp_eq_u64 s[14:15], s[22:23]
	s_cbranch_scc0 .LBB683_295
; %bb.298:                              ;   in Loop: Header=BB683_297 Depth=1
	s_mov_b64 s[22:23], s[8:9]
                                        ; implicit-def: $vgpr57_vgpr58
                                        ; implicit-def: $vgpr61_vgpr62
	s_branch .LBB683_296
.LBB683_299:
	s_set_inst_prefetch_distance 0x2
	s_or_b32 exec_lo, exec_lo, s3
	v_cmp_gt_i64_e32 vcc_lo, s[8:9], v[63:64]
	s_mov_b32 s0, 0
	s_delay_alu instid0(SALU_CYCLE_1)
	v_mov_b32_e32 v162, s0
	v_cndmask_b32_e64 v161, 0, 1, vcc_lo
.LBB683_300:
	s_or_b32 exec_lo, exec_lo, s1
.LBB683_301:
	v_mul_lo_u32 v61, v4, s8
	v_mul_lo_u32 v62, v3, s9
	v_mad_u64_u32 v[57:58], null, v3, s8, 0
	v_cmp_ne_u32_e32 vcc_lo, 1, v65
	s_delay_alu instid0(VALU_DEP_2) | instskip(NEXT) | instid1(VALU_DEP_1)
	v_add3_u32 v58, v58, v62, v61
	v_lshlrev_b64 v[57:58], 1, v[57:58]
	s_cbranch_vccnz .LBB683_310
; %bb.302:
	v_add_co_u32 v61, vcc_lo, s10, v59
	v_add_co_ci_u32_e32 v62, vcc_lo, s11, v60, vcc_lo
	s_delay_alu instid0(VALU_DEP_3) | instskip(NEXT) | instid1(VALU_DEP_4)
	v_add_co_u32 v59, vcc_lo, s10, v57
	v_add_co_ci_u32_e32 v60, vcc_lo, s11, v58, vcc_lo
	v_mov_b32_e32 v163, 1
	s_clause 0x1
	global_load_u16 v63, v[61:62], off
	global_load_u16 v64, v[59:60], off
	v_mov_b32_e32 v164, 0
	s_mov_b32 s1, exec_lo
	s_waitcnt vmcnt(0)
	v_cmpx_eq_u16_e64 v63, v64
	s_cbranch_execz .LBB683_309
; %bb.303:
	v_add_co_u32 v59, vcc_lo, v59, 2
	v_add_co_ci_u32_e32 v60, vcc_lo, 0, v60, vcc_lo
	v_add_co_u32 v61, vcc_lo, v61, 2
	v_add_co_ci_u32_e32 v62, vcc_lo, 0, v62, vcc_lo
	s_add_u32 s14, s8, -1
	s_addc_u32 s15, s9, -1
	s_mov_b64 s[22:23], 0
	s_mov_b32 s3, 0
                                        ; implicit-def: $sgpr21
	s_set_inst_prefetch_distance 0x1
	s_branch .LBB683_306
	.p2align	6
.LBB683_304:                            ;   in Loop: Header=BB683_306 Depth=1
	global_load_u16 v63, v[61:62], off
	global_load_u16 v64, v[59:60], off
	v_add_co_u32 v59, vcc_lo, v59, 2
	v_add_co_ci_u32_e32 v60, vcc_lo, 0, v60, vcc_lo
	v_add_co_u32 v61, s0, v61, 2
	s_delay_alu instid0(VALU_DEP_1)
	v_add_co_ci_u32_e64 v62, s0, 0, v62, s0
	s_add_u32 s22, s22, 1
	s_addc_u32 s23, s23, 0
	s_and_not1_b32 s0, s21, exec_lo
	s_waitcnt vmcnt(0)
	v_cmp_ne_u16_e32 vcc_lo, v63, v64
	s_and_b32 s21, vcc_lo, exec_lo
	s_delay_alu instid0(SALU_CYCLE_1)
	s_or_b32 s21, s0, s21
.LBB683_305:                            ;   in Loop: Header=BB683_306 Depth=1
	v_dual_mov_b32 v64, s23 :: v_dual_mov_b32 v63, s22
	s_and_b32 s0, exec_lo, s21
	s_delay_alu instid0(SALU_CYCLE_1) | instskip(NEXT) | instid1(SALU_CYCLE_1)
	s_or_b32 s3, s0, s3
	s_and_not1_b32 exec_lo, exec_lo, s3
	s_cbranch_execz .LBB683_308
.LBB683_306:                            ; =>This Inner Loop Header: Depth=1
	s_or_b32 s21, s21, exec_lo
	s_cmp_eq_u64 s[14:15], s[22:23]
	s_cbranch_scc0 .LBB683_304
; %bb.307:                              ;   in Loop: Header=BB683_306 Depth=1
	s_mov_b64 s[22:23], s[8:9]
                                        ; implicit-def: $vgpr59_vgpr60
                                        ; implicit-def: $vgpr61_vgpr62
	s_branch .LBB683_305
.LBB683_308:
	s_set_inst_prefetch_distance 0x2
	s_or_b32 exec_lo, exec_lo, s3
	v_cmp_gt_i64_e32 vcc_lo, s[8:9], v[63:64]
	s_mov_b32 s0, 0
	s_delay_alu instid0(SALU_CYCLE_1)
	v_mov_b32_e32 v164, s0
	v_cndmask_b32_e64 v163, 0, 1, vcc_lo
.LBB683_309:
	s_or_b32 exec_lo, exec_lo, s1
.LBB683_310:
	v_cmp_ne_u32_e32 vcc_lo, 1, v65
	s_cbranch_vccnz .LBB683_317
; %bb.311:
	v_mul_lo_u32 v61, v2, s8
	v_mul_lo_u32 v62, v1, s9
	v_mad_u64_u32 v[59:60], null, v1, s8, 0
	v_mov_b32_e32 v165, 1
	v_mov_b32_e32 v166, 0
	s_mov_b32 s1, exec_lo
	s_delay_alu instid0(VALU_DEP_3) | instskip(NEXT) | instid1(VALU_DEP_1)
	v_add3_u32 v60, v60, v62, v61
	v_lshlrev_b64 v[61:62], 1, v[59:60]
	v_add_co_u32 v59, vcc_lo, s10, v57
	v_add_co_ci_u32_e32 v60, vcc_lo, s11, v58, vcc_lo
	s_delay_alu instid0(VALU_DEP_3) | instskip(NEXT) | instid1(VALU_DEP_4)
	v_add_co_u32 v57, vcc_lo, s10, v61
	v_add_co_ci_u32_e32 v58, vcc_lo, s11, v62, vcc_lo
	s_clause 0x1
	global_load_u16 v61, v[59:60], off
	global_load_u16 v62, v[57:58], off
	s_waitcnt vmcnt(0)
	v_cmpx_eq_u16_e64 v61, v62
	s_cbranch_execz .LBB683_319
; %bb.312:
	v_add_co_u32 v57, vcc_lo, v57, 2
	v_add_co_ci_u32_e32 v58, vcc_lo, 0, v58, vcc_lo
	v_add_co_u32 v59, vcc_lo, v59, 2
	v_add_co_ci_u32_e32 v60, vcc_lo, 0, v60, vcc_lo
	s_add_u32 s14, s8, -1
	s_addc_u32 s15, s9, -1
	s_mov_b64 s[22:23], 0
	s_mov_b32 s3, 0
                                        ; implicit-def: $sgpr21
	s_set_inst_prefetch_distance 0x1
	s_branch .LBB683_315
	.p2align	6
.LBB683_313:                            ;   in Loop: Header=BB683_315 Depth=1
	global_load_u16 v61, v[59:60], off
	global_load_u16 v62, v[57:58], off
	v_add_co_u32 v57, vcc_lo, v57, 2
	v_add_co_ci_u32_e32 v58, vcc_lo, 0, v58, vcc_lo
	v_add_co_u32 v59, s0, v59, 2
	s_delay_alu instid0(VALU_DEP_1)
	v_add_co_ci_u32_e64 v60, s0, 0, v60, s0
	s_add_u32 s22, s22, 1
	s_addc_u32 s23, s23, 0
	s_and_not1_b32 s0, s21, exec_lo
	s_waitcnt vmcnt(0)
	v_cmp_ne_u16_e32 vcc_lo, v61, v62
	s_and_b32 s21, vcc_lo, exec_lo
	s_delay_alu instid0(SALU_CYCLE_1)
	s_or_b32 s21, s0, s21
.LBB683_314:                            ;   in Loop: Header=BB683_315 Depth=1
	v_dual_mov_b32 v62, s23 :: v_dual_mov_b32 v61, s22
	s_and_b32 s0, exec_lo, s21
	s_delay_alu instid0(SALU_CYCLE_1) | instskip(NEXT) | instid1(SALU_CYCLE_1)
	s_or_b32 s3, s0, s3
	s_and_not1_b32 exec_lo, exec_lo, s3
	s_cbranch_execz .LBB683_318
.LBB683_315:                            ; =>This Inner Loop Header: Depth=1
	s_or_b32 s21, s21, exec_lo
	s_cmp_eq_u64 s[14:15], s[22:23]
	s_cbranch_scc0 .LBB683_313
; %bb.316:                              ;   in Loop: Header=BB683_315 Depth=1
	s_mov_b64 s[22:23], s[8:9]
                                        ; implicit-def: $vgpr57_vgpr58
                                        ; implicit-def: $vgpr59_vgpr60
	s_branch .LBB683_314
.LBB683_317:
	v_mov_b32_e32 v165, 0
	v_mov_b32_e32 v166, 0
	s_branch .LBB683_320
.LBB683_318:
	s_set_inst_prefetch_distance 0x2
	s_or_b32 exec_lo, exec_lo, s3
	v_cmp_gt_i64_e32 vcc_lo, s[8:9], v[61:62]
	s_mov_b32 s0, 0
	s_delay_alu instid0(SALU_CYCLE_1)
	v_mov_b32_e32 v166, s0
	v_cndmask_b32_e64 v165, 0, 1, vcc_lo
.LBB683_319:
	s_or_b32 exec_lo, exec_lo, s1
.LBB683_320:
	s_waitcnt lgkmcnt(0)
	v_dual_mov_b32 v58, s13 :: v_dual_mov_b32 v57, s12
	s_mov_b32 s0, 0
	s_mov_b32 s1, exec_lo
	s_barrier
	buffer_gl0_inv
	v_cmpx_ne_u32_e32 0, v0
	s_cbranch_execz .LBB683_322
; %bb.321:
	v_add_nc_u32_e32 v57, -8, v195
	ds_load_b64 v[57:58], v57
.LBB683_322:
	s_or_b32 exec_lo, exec_lo, s1
	v_cmp_ne_u32_e32 vcc_lo, 1, v65
	s_cbranch_vccnz .LBB683_331
; %bb.323:
	v_mul_lo_u32 v63, v2, s8
	v_mul_lo_u32 v64, v1, s9
	v_mad_u64_u32 v[59:60], null, v1, s8, 0
	s_waitcnt lgkmcnt(0)
	v_mul_lo_u32 v58, v58, s8
	v_mul_lo_u32 v65, v57, s9
	v_mad_u64_u32 v[61:62], null, v57, s8, 0
	s_mov_b32 s0, -1
	s_mov_b32 s1, exec_lo
	s_delay_alu instid0(VALU_DEP_4) | instskip(NEXT) | instid1(VALU_DEP_2)
	v_add3_u32 v60, v60, v64, v63
	v_add3_u32 v62, v62, v65, v58
	s_delay_alu instid0(VALU_DEP_2) | instskip(NEXT) | instid1(VALU_DEP_2)
	v_lshlrev_b64 v[57:58], 1, v[59:60]
	v_lshlrev_b64 v[61:62], 1, v[61:62]
	s_delay_alu instid0(VALU_DEP_2) | instskip(NEXT) | instid1(VALU_DEP_3)
	v_add_co_u32 v59, vcc_lo, s10, v57
	v_add_co_ci_u32_e32 v60, vcc_lo, s11, v58, vcc_lo
	s_delay_alu instid0(VALU_DEP_3) | instskip(NEXT) | instid1(VALU_DEP_4)
	v_add_co_u32 v57, vcc_lo, s10, v61
	v_add_co_ci_u32_e32 v58, vcc_lo, s11, v62, vcc_lo
	s_clause 0x1
	global_load_u16 v61, v[59:60], off
	global_load_u16 v62, v[57:58], off
	s_waitcnt vmcnt(0)
	v_cmpx_eq_u16_e64 v61, v62
	s_cbranch_execz .LBB683_330
; %bb.324:
	v_add_co_u32 v57, vcc_lo, v57, 2
	v_add_co_ci_u32_e32 v58, vcc_lo, 0, v58, vcc_lo
	v_add_co_u32 v59, vcc_lo, v59, 2
	v_add_co_ci_u32_e32 v60, vcc_lo, 0, v60, vcc_lo
	s_add_u32 s14, s8, -1
	s_addc_u32 s15, s9, -1
	s_mov_b64 s[22:23], 0
	s_mov_b32 s3, 0
                                        ; implicit-def: $sgpr21
	s_set_inst_prefetch_distance 0x1
	s_branch .LBB683_327
	.p2align	6
.LBB683_325:                            ;   in Loop: Header=BB683_327 Depth=1
	global_load_u16 v61, v[59:60], off
	global_load_u16 v62, v[57:58], off
	v_add_co_u32 v57, vcc_lo, v57, 2
	v_add_co_ci_u32_e32 v58, vcc_lo, 0, v58, vcc_lo
	v_add_co_u32 v59, s0, v59, 2
	s_delay_alu instid0(VALU_DEP_1)
	v_add_co_ci_u32_e64 v60, s0, 0, v60, s0
	s_add_u32 s22, s22, 1
	s_addc_u32 s23, s23, 0
	s_and_not1_b32 s0, s21, exec_lo
	s_waitcnt vmcnt(0)
	v_cmp_ne_u16_e32 vcc_lo, v61, v62
	s_and_b32 s21, vcc_lo, exec_lo
	s_delay_alu instid0(SALU_CYCLE_1)
	s_or_b32 s21, s0, s21
.LBB683_326:                            ;   in Loop: Header=BB683_327 Depth=1
	v_dual_mov_b32 v62, s23 :: v_dual_mov_b32 v61, s22
	s_and_b32 s0, exec_lo, s21
	s_delay_alu instid0(SALU_CYCLE_1) | instskip(NEXT) | instid1(SALU_CYCLE_1)
	s_or_b32 s3, s0, s3
	s_and_not1_b32 exec_lo, exec_lo, s3
	s_cbranch_execz .LBB683_329
.LBB683_327:                            ; =>This Inner Loop Header: Depth=1
	s_or_b32 s21, s21, exec_lo
	s_cmp_eq_u64 s[14:15], s[22:23]
	s_cbranch_scc0 .LBB683_325
; %bb.328:                              ;   in Loop: Header=BB683_327 Depth=1
	s_mov_b64 s[22:23], s[8:9]
                                        ; implicit-def: $vgpr57_vgpr58
                                        ; implicit-def: $vgpr59_vgpr60
	s_branch .LBB683_326
.LBB683_329:
	s_set_inst_prefetch_distance 0x2
	s_or_b32 exec_lo, exec_lo, s3
	v_cmp_gt_i64_e32 vcc_lo, s[8:9], v[61:62]
	s_or_not1_b32 s0, vcc_lo, exec_lo
.LBB683_330:
	s_or_b32 exec_lo, exec_lo, s1
.LBB683_331:
	s_mov_b32 s1, -1
	s_branch .LBB683_73
.LBB683_332:
	v_cmp_gt_i64_e64 s0, s[8:9], 0
	s_waitcnt lgkmcnt(0)
	v_mad_u32_u24 v57, v0, 29, 28
	v_mul_u32_u24_e32 v64, 29, v0
	v_dual_mov_b32 v112, v110 :: v_dual_mov_b32 v111, v109
	s_mul_i32 s3, s20, 0xfffff180
	v_cndmask_b32_e64 v63, 0, 1, s0
	s_add_i32 s3, s3, s6
	s_mov_b32 s22, exec_lo
	ds_store_b64 v195, v[109:110]
	v_cmpx_gt_u32_e64 s3, v57
	s_cbranch_execz .LBB683_343
; %bb.333:
	s_and_not1_b32 vcc_lo, exec_lo, s0
	s_cbranch_vccnz .LBB683_340
; %bb.334:
	v_mul_lo_u32 v61, v110, s8
	v_mul_lo_u32 v62, v109, s9
	v_mad_u64_u32 v[57:58], null, v109, s8, 0
	v_mul_lo_u32 v65, v8, s8
	v_mul_lo_u32 v66, v7, s9
	v_mad_u64_u32 v[59:60], null, v7, s8, 0
	v_mov_b32_e32 v111, 1
	v_mov_b32_e32 v112, 0
	v_add3_u32 v58, v58, v62, v61
	s_mov_b32 s23, exec_lo
	s_delay_alu instid0(VALU_DEP_4) | instskip(NEXT) | instid1(VALU_DEP_2)
	v_add3_u32 v60, v60, v66, v65
	v_lshlrev_b64 v[57:58], 1, v[57:58]
	s_delay_alu instid0(VALU_DEP_2) | instskip(NEXT) | instid1(VALU_DEP_2)
	v_lshlrev_b64 v[61:62], 1, v[59:60]
	v_add_co_u32 v59, vcc_lo, s10, v57
	s_delay_alu instid0(VALU_DEP_3) | instskip(NEXT) | instid1(VALU_DEP_3)
	v_add_co_ci_u32_e32 v60, vcc_lo, s11, v58, vcc_lo
	v_add_co_u32 v57, vcc_lo, s10, v61
	s_delay_alu instid0(VALU_DEP_4)
	v_add_co_ci_u32_e32 v58, vcc_lo, s11, v62, vcc_lo
	s_clause 0x1
	global_load_u16 v61, v[59:60], off
	global_load_u16 v62, v[57:58], off
	s_waitcnt vmcnt(0)
	v_cmpx_eq_u16_e64 v61, v62
	s_cbranch_execz .LBB683_342
; %bb.335:
	v_add_co_u32 v57, vcc_lo, v57, 2
	v_add_co_ci_u32_e32 v58, vcc_lo, 0, v58, vcc_lo
	v_add_co_u32 v59, vcc_lo, v59, 2
	v_add_co_ci_u32_e32 v60, vcc_lo, 0, v60, vcc_lo
	s_add_u32 s14, s8, -1
	s_addc_u32 s15, s9, -1
	s_mov_b64 s[20:21], 0
	s_mov_b32 s24, 0
                                        ; implicit-def: $sgpr25
	s_set_inst_prefetch_distance 0x1
	s_branch .LBB683_338
	.p2align	6
.LBB683_336:                            ;   in Loop: Header=BB683_338 Depth=1
	global_load_u16 v61, v[59:60], off
	global_load_u16 v62, v[57:58], off
	v_add_co_u32 v57, vcc_lo, v57, 2
	v_add_co_ci_u32_e32 v58, vcc_lo, 0, v58, vcc_lo
	v_add_co_u32 v59, s0, v59, 2
	s_delay_alu instid0(VALU_DEP_1)
	v_add_co_ci_u32_e64 v60, s0, 0, v60, s0
	s_add_u32 s20, s20, 1
	s_addc_u32 s21, s21, 0
	s_and_not1_b32 s0, s25, exec_lo
	s_waitcnt vmcnt(0)
	v_cmp_ne_u16_e32 vcc_lo, v61, v62
	s_and_b32 s25, vcc_lo, exec_lo
	s_delay_alu instid0(SALU_CYCLE_1)
	s_or_b32 s25, s0, s25
.LBB683_337:                            ;   in Loop: Header=BB683_338 Depth=1
	v_dual_mov_b32 v62, s21 :: v_dual_mov_b32 v61, s20
	s_and_b32 s0, exec_lo, s25
	s_delay_alu instid0(SALU_CYCLE_1) | instskip(NEXT) | instid1(SALU_CYCLE_1)
	s_or_b32 s24, s0, s24
	s_and_not1_b32 exec_lo, exec_lo, s24
	s_cbranch_execz .LBB683_341
.LBB683_338:                            ; =>This Inner Loop Header: Depth=1
	s_or_b32 s25, s25, exec_lo
	s_cmp_eq_u64 s[14:15], s[20:21]
	s_cbranch_scc0 .LBB683_336
; %bb.339:                              ;   in Loop: Header=BB683_338 Depth=1
	s_mov_b64 s[20:21], s[8:9]
                                        ; implicit-def: $vgpr57_vgpr58
                                        ; implicit-def: $vgpr59_vgpr60
	s_branch .LBB683_337
.LBB683_340:
	v_mov_b32_e32 v111, 0
	v_mov_b32_e32 v112, 0
	s_branch .LBB683_343
.LBB683_341:
	s_set_inst_prefetch_distance 0x2
	s_or_b32 exec_lo, exec_lo, s24
	v_cmp_gt_i64_e32 vcc_lo, s[8:9], v[61:62]
	s_mov_b32 s0, 0
	s_delay_alu instid0(SALU_CYCLE_1)
	v_mov_b32_e32 v112, s0
	v_cndmask_b32_e64 v111, 0, 1, vcc_lo
.LBB683_342:
	s_or_b32 exec_lo, exec_lo, s23
.LBB683_343:
	s_delay_alu instid0(SALU_CYCLE_1) | instskip(SKIP_3) | instid1(VALU_DEP_2)
	s_or_b32 exec_lo, exec_lo, s22
	v_dual_mov_b32 v116, v8 :: v_dual_add_nc_u32 v57, 27, v64
	v_mov_b32_e32 v115, v7
	s_mov_b32 s22, exec_lo
	v_cmpx_gt_u32_e64 s3, v57
	s_cbranch_execz .LBB683_354
; %bb.344:
	v_cmp_ne_u32_e32 vcc_lo, 1, v63
	s_cbranch_vccnz .LBB683_351
; %bb.345:
	v_mul_lo_u32 v61, v8, s8
	v_mul_lo_u32 v62, v7, s9
	v_mad_u64_u32 v[57:58], null, v7, s8, 0
	v_mul_lo_u32 v65, v6, s8
	v_mul_lo_u32 v66, v5, s9
	v_mad_u64_u32 v[59:60], null, v5, s8, 0
	v_mov_b32_e32 v115, 1
	v_mov_b32_e32 v116, 0
	v_add3_u32 v58, v58, v62, v61
	s_mov_b32 s23, exec_lo
	s_delay_alu instid0(VALU_DEP_4) | instskip(NEXT) | instid1(VALU_DEP_2)
	v_add3_u32 v60, v60, v66, v65
	v_lshlrev_b64 v[57:58], 1, v[57:58]
	s_delay_alu instid0(VALU_DEP_2) | instskip(NEXT) | instid1(VALU_DEP_2)
	v_lshlrev_b64 v[61:62], 1, v[59:60]
	v_add_co_u32 v59, vcc_lo, s10, v57
	s_delay_alu instid0(VALU_DEP_3) | instskip(NEXT) | instid1(VALU_DEP_3)
	v_add_co_ci_u32_e32 v60, vcc_lo, s11, v58, vcc_lo
	v_add_co_u32 v57, vcc_lo, s10, v61
	s_delay_alu instid0(VALU_DEP_4)
	v_add_co_ci_u32_e32 v58, vcc_lo, s11, v62, vcc_lo
	s_clause 0x1
	global_load_u16 v61, v[59:60], off
	global_load_u16 v62, v[57:58], off
	s_waitcnt vmcnt(0)
	v_cmpx_eq_u16_e64 v61, v62
	s_cbranch_execz .LBB683_353
; %bb.346:
	v_add_co_u32 v57, vcc_lo, v57, 2
	v_add_co_ci_u32_e32 v58, vcc_lo, 0, v58, vcc_lo
	v_add_co_u32 v59, vcc_lo, v59, 2
	v_add_co_ci_u32_e32 v60, vcc_lo, 0, v60, vcc_lo
	s_add_u32 s14, s8, -1
	s_addc_u32 s15, s9, -1
	s_mov_b64 s[20:21], 0
	s_mov_b32 s24, 0
                                        ; implicit-def: $sgpr25
	s_set_inst_prefetch_distance 0x1
	s_branch .LBB683_349
	.p2align	6
.LBB683_347:                            ;   in Loop: Header=BB683_349 Depth=1
	global_load_u16 v61, v[59:60], off
	global_load_u16 v62, v[57:58], off
	v_add_co_u32 v57, vcc_lo, v57, 2
	v_add_co_ci_u32_e32 v58, vcc_lo, 0, v58, vcc_lo
	v_add_co_u32 v59, s0, v59, 2
	s_delay_alu instid0(VALU_DEP_1)
	v_add_co_ci_u32_e64 v60, s0, 0, v60, s0
	s_add_u32 s20, s20, 1
	s_addc_u32 s21, s21, 0
	s_and_not1_b32 s0, s25, exec_lo
	s_waitcnt vmcnt(0)
	v_cmp_ne_u16_e32 vcc_lo, v61, v62
	s_and_b32 s25, vcc_lo, exec_lo
	s_delay_alu instid0(SALU_CYCLE_1)
	s_or_b32 s25, s0, s25
.LBB683_348:                            ;   in Loop: Header=BB683_349 Depth=1
	v_dual_mov_b32 v62, s21 :: v_dual_mov_b32 v61, s20
	s_and_b32 s0, exec_lo, s25
	s_delay_alu instid0(SALU_CYCLE_1) | instskip(NEXT) | instid1(SALU_CYCLE_1)
	s_or_b32 s24, s0, s24
	s_and_not1_b32 exec_lo, exec_lo, s24
	s_cbranch_execz .LBB683_352
.LBB683_349:                            ; =>This Inner Loop Header: Depth=1
	s_or_b32 s25, s25, exec_lo
	s_cmp_eq_u64 s[14:15], s[20:21]
	s_cbranch_scc0 .LBB683_347
; %bb.350:                              ;   in Loop: Header=BB683_349 Depth=1
	s_mov_b64 s[20:21], s[8:9]
                                        ; implicit-def: $vgpr57_vgpr58
                                        ; implicit-def: $vgpr59_vgpr60
	s_branch .LBB683_348
.LBB683_351:
	v_mov_b32_e32 v115, 0
	v_mov_b32_e32 v116, 0
	s_branch .LBB683_354
.LBB683_352:
	s_set_inst_prefetch_distance 0x2
	s_or_b32 exec_lo, exec_lo, s24
	v_cmp_gt_i64_e32 vcc_lo, s[8:9], v[61:62]
	s_mov_b32 s0, 0
	s_delay_alu instid0(SALU_CYCLE_1)
	v_mov_b32_e32 v116, s0
	v_cndmask_b32_e64 v115, 0, 1, vcc_lo
.LBB683_353:
	s_or_b32 exec_lo, exec_lo, s23
.LBB683_354:
	s_delay_alu instid0(SALU_CYCLE_1) | instskip(SKIP_3) | instid1(VALU_DEP_2)
	s_or_b32 exec_lo, exec_lo, s22
	v_dual_mov_b32 v114, v6 :: v_dual_add_nc_u32 v57, 26, v64
	v_mov_b32_e32 v113, v5
	s_mov_b32 s22, exec_lo
	v_cmpx_gt_u32_e64 s3, v57
	s_cbranch_execz .LBB683_365
; %bb.355:
	v_cmp_ne_u32_e32 vcc_lo, 1, v63
	s_cbranch_vccnz .LBB683_362
; %bb.356:
	v_mul_lo_u32 v61, v6, s8
	v_mul_lo_u32 v62, v5, s9
	v_mad_u64_u32 v[57:58], null, v5, s8, 0
	v_mul_lo_u32 v65, v12, s8
	v_mul_lo_u32 v66, v11, s9
	v_mad_u64_u32 v[59:60], null, v11, s8, 0
	v_mov_b32_e32 v113, 1
	v_mov_b32_e32 v114, 0
	v_add3_u32 v58, v58, v62, v61
	s_mov_b32 s23, exec_lo
	s_delay_alu instid0(VALU_DEP_4) | instskip(NEXT) | instid1(VALU_DEP_2)
	v_add3_u32 v60, v60, v66, v65
	v_lshlrev_b64 v[57:58], 1, v[57:58]
	s_delay_alu instid0(VALU_DEP_2) | instskip(NEXT) | instid1(VALU_DEP_2)
	v_lshlrev_b64 v[61:62], 1, v[59:60]
	v_add_co_u32 v59, vcc_lo, s10, v57
	s_delay_alu instid0(VALU_DEP_3) | instskip(NEXT) | instid1(VALU_DEP_3)
	v_add_co_ci_u32_e32 v60, vcc_lo, s11, v58, vcc_lo
	v_add_co_u32 v57, vcc_lo, s10, v61
	s_delay_alu instid0(VALU_DEP_4)
	v_add_co_ci_u32_e32 v58, vcc_lo, s11, v62, vcc_lo
	s_clause 0x1
	global_load_u16 v61, v[59:60], off
	global_load_u16 v62, v[57:58], off
	s_waitcnt vmcnt(0)
	v_cmpx_eq_u16_e64 v61, v62
	s_cbranch_execz .LBB683_364
; %bb.357:
	v_add_co_u32 v57, vcc_lo, v57, 2
	v_add_co_ci_u32_e32 v58, vcc_lo, 0, v58, vcc_lo
	v_add_co_u32 v59, vcc_lo, v59, 2
	v_add_co_ci_u32_e32 v60, vcc_lo, 0, v60, vcc_lo
	s_add_u32 s14, s8, -1
	s_addc_u32 s15, s9, -1
	s_mov_b64 s[20:21], 0
	s_mov_b32 s24, 0
                                        ; implicit-def: $sgpr25
	s_set_inst_prefetch_distance 0x1
	s_branch .LBB683_360
	.p2align	6
.LBB683_358:                            ;   in Loop: Header=BB683_360 Depth=1
	global_load_u16 v61, v[59:60], off
	global_load_u16 v62, v[57:58], off
	v_add_co_u32 v57, vcc_lo, v57, 2
	v_add_co_ci_u32_e32 v58, vcc_lo, 0, v58, vcc_lo
	v_add_co_u32 v59, s0, v59, 2
	s_delay_alu instid0(VALU_DEP_1)
	v_add_co_ci_u32_e64 v60, s0, 0, v60, s0
	s_add_u32 s20, s20, 1
	s_addc_u32 s21, s21, 0
	s_and_not1_b32 s0, s25, exec_lo
	s_waitcnt vmcnt(0)
	v_cmp_ne_u16_e32 vcc_lo, v61, v62
	s_and_b32 s25, vcc_lo, exec_lo
	s_delay_alu instid0(SALU_CYCLE_1)
	s_or_b32 s25, s0, s25
.LBB683_359:                            ;   in Loop: Header=BB683_360 Depth=1
	v_dual_mov_b32 v62, s21 :: v_dual_mov_b32 v61, s20
	s_and_b32 s0, exec_lo, s25
	s_delay_alu instid0(SALU_CYCLE_1) | instskip(NEXT) | instid1(SALU_CYCLE_1)
	s_or_b32 s24, s0, s24
	s_and_not1_b32 exec_lo, exec_lo, s24
	s_cbranch_execz .LBB683_363
.LBB683_360:                            ; =>This Inner Loop Header: Depth=1
	s_or_b32 s25, s25, exec_lo
	s_cmp_eq_u64 s[14:15], s[20:21]
	s_cbranch_scc0 .LBB683_358
; %bb.361:                              ;   in Loop: Header=BB683_360 Depth=1
	s_mov_b64 s[20:21], s[8:9]
                                        ; implicit-def: $vgpr57_vgpr58
                                        ; implicit-def: $vgpr59_vgpr60
	s_branch .LBB683_359
.LBB683_362:
	v_mov_b32_e32 v113, 0
	v_mov_b32_e32 v114, 0
	s_branch .LBB683_365
.LBB683_363:
	s_set_inst_prefetch_distance 0x2
	s_or_b32 exec_lo, exec_lo, s24
	v_cmp_gt_i64_e32 vcc_lo, s[8:9], v[61:62]
	s_mov_b32 s0, 0
	s_delay_alu instid0(SALU_CYCLE_1)
	v_mov_b32_e32 v114, s0
	v_cndmask_b32_e64 v113, 0, 1, vcc_lo
.LBB683_364:
	s_or_b32 exec_lo, exec_lo, s23
.LBB683_365:
	s_delay_alu instid0(SALU_CYCLE_1) | instskip(SKIP_3) | instid1(VALU_DEP_2)
	s_or_b32 exec_lo, exec_lo, s22
	v_dual_mov_b32 v118, v12 :: v_dual_add_nc_u32 v57, 25, v64
	v_mov_b32_e32 v117, v11
	s_mov_b32 s22, exec_lo
	v_cmpx_gt_u32_e64 s3, v57
	s_cbranch_execz .LBB683_376
; %bb.366:
	v_cmp_ne_u32_e32 vcc_lo, 1, v63
	s_cbranch_vccnz .LBB683_373
; %bb.367:
	v_mul_lo_u32 v61, v12, s8
	v_mul_lo_u32 v62, v11, s9
	v_mad_u64_u32 v[57:58], null, v11, s8, 0
	v_mul_lo_u32 v65, v10, s8
	v_mul_lo_u32 v66, v9, s9
	v_mad_u64_u32 v[59:60], null, v9, s8, 0
	v_mov_b32_e32 v117, 1
	v_mov_b32_e32 v118, 0
	v_add3_u32 v58, v58, v62, v61
	s_mov_b32 s23, exec_lo
	s_delay_alu instid0(VALU_DEP_4) | instskip(NEXT) | instid1(VALU_DEP_2)
	v_add3_u32 v60, v60, v66, v65
	v_lshlrev_b64 v[57:58], 1, v[57:58]
	s_delay_alu instid0(VALU_DEP_2) | instskip(NEXT) | instid1(VALU_DEP_2)
	v_lshlrev_b64 v[61:62], 1, v[59:60]
	v_add_co_u32 v59, vcc_lo, s10, v57
	s_delay_alu instid0(VALU_DEP_3) | instskip(NEXT) | instid1(VALU_DEP_3)
	v_add_co_ci_u32_e32 v60, vcc_lo, s11, v58, vcc_lo
	v_add_co_u32 v57, vcc_lo, s10, v61
	s_delay_alu instid0(VALU_DEP_4)
	v_add_co_ci_u32_e32 v58, vcc_lo, s11, v62, vcc_lo
	s_clause 0x1
	global_load_u16 v61, v[59:60], off
	global_load_u16 v62, v[57:58], off
	s_waitcnt vmcnt(0)
	v_cmpx_eq_u16_e64 v61, v62
	s_cbranch_execz .LBB683_375
; %bb.368:
	v_add_co_u32 v57, vcc_lo, v57, 2
	v_add_co_ci_u32_e32 v58, vcc_lo, 0, v58, vcc_lo
	v_add_co_u32 v59, vcc_lo, v59, 2
	v_add_co_ci_u32_e32 v60, vcc_lo, 0, v60, vcc_lo
	s_add_u32 s14, s8, -1
	s_addc_u32 s15, s9, -1
	s_mov_b64 s[20:21], 0
	s_mov_b32 s24, 0
                                        ; implicit-def: $sgpr25
	s_set_inst_prefetch_distance 0x1
	s_branch .LBB683_371
	.p2align	6
.LBB683_369:                            ;   in Loop: Header=BB683_371 Depth=1
	global_load_u16 v61, v[59:60], off
	global_load_u16 v62, v[57:58], off
	v_add_co_u32 v57, vcc_lo, v57, 2
	v_add_co_ci_u32_e32 v58, vcc_lo, 0, v58, vcc_lo
	v_add_co_u32 v59, s0, v59, 2
	s_delay_alu instid0(VALU_DEP_1)
	v_add_co_ci_u32_e64 v60, s0, 0, v60, s0
	s_add_u32 s20, s20, 1
	s_addc_u32 s21, s21, 0
	s_and_not1_b32 s0, s25, exec_lo
	s_waitcnt vmcnt(0)
	v_cmp_ne_u16_e32 vcc_lo, v61, v62
	s_and_b32 s25, vcc_lo, exec_lo
	s_delay_alu instid0(SALU_CYCLE_1)
	s_or_b32 s25, s0, s25
.LBB683_370:                            ;   in Loop: Header=BB683_371 Depth=1
	v_dual_mov_b32 v62, s21 :: v_dual_mov_b32 v61, s20
	s_and_b32 s0, exec_lo, s25
	s_delay_alu instid0(SALU_CYCLE_1) | instskip(NEXT) | instid1(SALU_CYCLE_1)
	s_or_b32 s24, s0, s24
	s_and_not1_b32 exec_lo, exec_lo, s24
	s_cbranch_execz .LBB683_374
.LBB683_371:                            ; =>This Inner Loop Header: Depth=1
	s_or_b32 s25, s25, exec_lo
	s_cmp_eq_u64 s[14:15], s[20:21]
	s_cbranch_scc0 .LBB683_369
; %bb.372:                              ;   in Loop: Header=BB683_371 Depth=1
	s_mov_b64 s[20:21], s[8:9]
                                        ; implicit-def: $vgpr57_vgpr58
                                        ; implicit-def: $vgpr59_vgpr60
	s_branch .LBB683_370
.LBB683_373:
	v_mov_b32_e32 v117, 0
	v_mov_b32_e32 v118, 0
	s_branch .LBB683_376
.LBB683_374:
	s_set_inst_prefetch_distance 0x2
	s_or_b32 exec_lo, exec_lo, s24
	v_cmp_gt_i64_e32 vcc_lo, s[8:9], v[61:62]
	s_mov_b32 s0, 0
	s_delay_alu instid0(SALU_CYCLE_1)
	v_mov_b32_e32 v118, s0
	v_cndmask_b32_e64 v117, 0, 1, vcc_lo
.LBB683_375:
	s_or_b32 exec_lo, exec_lo, s23
.LBB683_376:
	s_delay_alu instid0(SALU_CYCLE_1) | instskip(SKIP_3) | instid1(VALU_DEP_2)
	s_or_b32 exec_lo, exec_lo, s22
	v_dual_mov_b32 v120, v10 :: v_dual_add_nc_u32 v57, 24, v64
	v_mov_b32_e32 v119, v9
	s_mov_b32 s22, exec_lo
	v_cmpx_gt_u32_e64 s3, v57
	s_cbranch_execz .LBB683_387
; %bb.377:
	v_cmp_ne_u32_e32 vcc_lo, 1, v63
	s_cbranch_vccnz .LBB683_384
; %bb.378:
	v_mul_lo_u32 v61, v10, s8
	v_mul_lo_u32 v62, v9, s9
	v_mad_u64_u32 v[57:58], null, v9, s8, 0
	v_mul_lo_u32 v65, v56, s8
	v_mul_lo_u32 v66, v55, s9
	v_mad_u64_u32 v[59:60], null, v55, s8, 0
	v_mov_b32_e32 v119, 1
	v_mov_b32_e32 v120, 0
	v_add3_u32 v58, v58, v62, v61
	s_mov_b32 s23, exec_lo
	s_delay_alu instid0(VALU_DEP_4) | instskip(NEXT) | instid1(VALU_DEP_2)
	v_add3_u32 v60, v60, v66, v65
	v_lshlrev_b64 v[57:58], 1, v[57:58]
	s_delay_alu instid0(VALU_DEP_2) | instskip(NEXT) | instid1(VALU_DEP_2)
	v_lshlrev_b64 v[61:62], 1, v[59:60]
	v_add_co_u32 v59, vcc_lo, s10, v57
	s_delay_alu instid0(VALU_DEP_3) | instskip(NEXT) | instid1(VALU_DEP_3)
	v_add_co_ci_u32_e32 v60, vcc_lo, s11, v58, vcc_lo
	v_add_co_u32 v57, vcc_lo, s10, v61
	s_delay_alu instid0(VALU_DEP_4)
	v_add_co_ci_u32_e32 v58, vcc_lo, s11, v62, vcc_lo
	s_clause 0x1
	global_load_u16 v61, v[59:60], off
	global_load_u16 v62, v[57:58], off
	s_waitcnt vmcnt(0)
	v_cmpx_eq_u16_e64 v61, v62
	s_cbranch_execz .LBB683_386
; %bb.379:
	v_add_co_u32 v57, vcc_lo, v57, 2
	v_add_co_ci_u32_e32 v58, vcc_lo, 0, v58, vcc_lo
	v_add_co_u32 v59, vcc_lo, v59, 2
	v_add_co_ci_u32_e32 v60, vcc_lo, 0, v60, vcc_lo
	s_add_u32 s14, s8, -1
	s_addc_u32 s15, s9, -1
	s_mov_b64 s[20:21], 0
	s_mov_b32 s24, 0
                                        ; implicit-def: $sgpr25
	s_set_inst_prefetch_distance 0x1
	s_branch .LBB683_382
	.p2align	6
.LBB683_380:                            ;   in Loop: Header=BB683_382 Depth=1
	global_load_u16 v61, v[59:60], off
	global_load_u16 v62, v[57:58], off
	v_add_co_u32 v57, vcc_lo, v57, 2
	v_add_co_ci_u32_e32 v58, vcc_lo, 0, v58, vcc_lo
	v_add_co_u32 v59, s0, v59, 2
	s_delay_alu instid0(VALU_DEP_1)
	v_add_co_ci_u32_e64 v60, s0, 0, v60, s0
	s_add_u32 s20, s20, 1
	s_addc_u32 s21, s21, 0
	s_and_not1_b32 s0, s25, exec_lo
	s_waitcnt vmcnt(0)
	v_cmp_ne_u16_e32 vcc_lo, v61, v62
	s_and_b32 s25, vcc_lo, exec_lo
	s_delay_alu instid0(SALU_CYCLE_1)
	s_or_b32 s25, s0, s25
.LBB683_381:                            ;   in Loop: Header=BB683_382 Depth=1
	v_dual_mov_b32 v62, s21 :: v_dual_mov_b32 v61, s20
	s_and_b32 s0, exec_lo, s25
	s_delay_alu instid0(SALU_CYCLE_1) | instskip(NEXT) | instid1(SALU_CYCLE_1)
	s_or_b32 s24, s0, s24
	s_and_not1_b32 exec_lo, exec_lo, s24
	s_cbranch_execz .LBB683_385
.LBB683_382:                            ; =>This Inner Loop Header: Depth=1
	s_or_b32 s25, s25, exec_lo
	s_cmp_eq_u64 s[14:15], s[20:21]
	s_cbranch_scc0 .LBB683_380
; %bb.383:                              ;   in Loop: Header=BB683_382 Depth=1
	s_mov_b64 s[20:21], s[8:9]
                                        ; implicit-def: $vgpr57_vgpr58
                                        ; implicit-def: $vgpr59_vgpr60
	s_branch .LBB683_381
.LBB683_384:
	v_mov_b32_e32 v119, 0
	v_mov_b32_e32 v120, 0
	s_branch .LBB683_387
.LBB683_385:
	s_set_inst_prefetch_distance 0x2
	s_or_b32 exec_lo, exec_lo, s24
	v_cmp_gt_i64_e32 vcc_lo, s[8:9], v[61:62]
	s_mov_b32 s0, 0
	s_delay_alu instid0(SALU_CYCLE_1)
	v_mov_b32_e32 v120, s0
	v_cndmask_b32_e64 v119, 0, 1, vcc_lo
.LBB683_386:
	s_or_b32 exec_lo, exec_lo, s23
.LBB683_387:
	s_delay_alu instid0(SALU_CYCLE_1) | instskip(SKIP_3) | instid1(VALU_DEP_2)
	s_or_b32 exec_lo, exec_lo, s22
	v_dual_mov_b32 v122, v56 :: v_dual_add_nc_u32 v57, 23, v64
	v_mov_b32_e32 v121, v55
	s_mov_b32 s22, exec_lo
	v_cmpx_gt_u32_e64 s3, v57
	s_cbranch_execz .LBB683_398
; %bb.388:
	v_cmp_ne_u32_e32 vcc_lo, 1, v63
	s_cbranch_vccnz .LBB683_395
; %bb.389:
	v_mul_lo_u32 v61, v56, s8
	v_mul_lo_u32 v62, v55, s9
	v_mad_u64_u32 v[57:58], null, v55, s8, 0
	v_mul_lo_u32 v65, v54, s8
	v_mul_lo_u32 v66, v53, s9
	v_mad_u64_u32 v[59:60], null, v53, s8, 0
	v_mov_b32_e32 v121, 1
	v_mov_b32_e32 v122, 0
	v_add3_u32 v58, v58, v62, v61
	s_mov_b32 s23, exec_lo
	s_delay_alu instid0(VALU_DEP_4) | instskip(NEXT) | instid1(VALU_DEP_2)
	v_add3_u32 v60, v60, v66, v65
	v_lshlrev_b64 v[57:58], 1, v[57:58]
	s_delay_alu instid0(VALU_DEP_2) | instskip(NEXT) | instid1(VALU_DEP_2)
	v_lshlrev_b64 v[61:62], 1, v[59:60]
	v_add_co_u32 v59, vcc_lo, s10, v57
	s_delay_alu instid0(VALU_DEP_3) | instskip(NEXT) | instid1(VALU_DEP_3)
	v_add_co_ci_u32_e32 v60, vcc_lo, s11, v58, vcc_lo
	v_add_co_u32 v57, vcc_lo, s10, v61
	s_delay_alu instid0(VALU_DEP_4)
	v_add_co_ci_u32_e32 v58, vcc_lo, s11, v62, vcc_lo
	s_clause 0x1
	global_load_u16 v61, v[59:60], off
	global_load_u16 v62, v[57:58], off
	s_waitcnt vmcnt(0)
	v_cmpx_eq_u16_e64 v61, v62
	s_cbranch_execz .LBB683_397
; %bb.390:
	v_add_co_u32 v57, vcc_lo, v57, 2
	v_add_co_ci_u32_e32 v58, vcc_lo, 0, v58, vcc_lo
	v_add_co_u32 v59, vcc_lo, v59, 2
	v_add_co_ci_u32_e32 v60, vcc_lo, 0, v60, vcc_lo
	s_add_u32 s14, s8, -1
	s_addc_u32 s15, s9, -1
	s_mov_b64 s[20:21], 0
	s_mov_b32 s24, 0
                                        ; implicit-def: $sgpr25
	s_set_inst_prefetch_distance 0x1
	s_branch .LBB683_393
	.p2align	6
.LBB683_391:                            ;   in Loop: Header=BB683_393 Depth=1
	global_load_u16 v61, v[59:60], off
	global_load_u16 v62, v[57:58], off
	v_add_co_u32 v57, vcc_lo, v57, 2
	v_add_co_ci_u32_e32 v58, vcc_lo, 0, v58, vcc_lo
	v_add_co_u32 v59, s0, v59, 2
	s_delay_alu instid0(VALU_DEP_1)
	v_add_co_ci_u32_e64 v60, s0, 0, v60, s0
	s_add_u32 s20, s20, 1
	s_addc_u32 s21, s21, 0
	s_and_not1_b32 s0, s25, exec_lo
	s_waitcnt vmcnt(0)
	v_cmp_ne_u16_e32 vcc_lo, v61, v62
	s_and_b32 s25, vcc_lo, exec_lo
	s_delay_alu instid0(SALU_CYCLE_1)
	s_or_b32 s25, s0, s25
.LBB683_392:                            ;   in Loop: Header=BB683_393 Depth=1
	v_dual_mov_b32 v62, s21 :: v_dual_mov_b32 v61, s20
	s_and_b32 s0, exec_lo, s25
	s_delay_alu instid0(SALU_CYCLE_1) | instskip(NEXT) | instid1(SALU_CYCLE_1)
	s_or_b32 s24, s0, s24
	s_and_not1_b32 exec_lo, exec_lo, s24
	s_cbranch_execz .LBB683_396
.LBB683_393:                            ; =>This Inner Loop Header: Depth=1
	s_or_b32 s25, s25, exec_lo
	s_cmp_eq_u64 s[14:15], s[20:21]
	s_cbranch_scc0 .LBB683_391
; %bb.394:                              ;   in Loop: Header=BB683_393 Depth=1
	s_mov_b64 s[20:21], s[8:9]
                                        ; implicit-def: $vgpr57_vgpr58
                                        ; implicit-def: $vgpr59_vgpr60
	s_branch .LBB683_392
.LBB683_395:
	v_mov_b32_e32 v121, 0
	v_mov_b32_e32 v122, 0
	s_branch .LBB683_398
.LBB683_396:
	s_set_inst_prefetch_distance 0x2
	s_or_b32 exec_lo, exec_lo, s24
	v_cmp_gt_i64_e32 vcc_lo, s[8:9], v[61:62]
	s_mov_b32 s0, 0
	s_delay_alu instid0(SALU_CYCLE_1)
	v_mov_b32_e32 v122, s0
	v_cndmask_b32_e64 v121, 0, 1, vcc_lo
.LBB683_397:
	s_or_b32 exec_lo, exec_lo, s23
.LBB683_398:
	s_delay_alu instid0(SALU_CYCLE_1) | instskip(SKIP_3) | instid1(VALU_DEP_2)
	s_or_b32 exec_lo, exec_lo, s22
	v_dual_mov_b32 v124, v54 :: v_dual_add_nc_u32 v57, 22, v64
	v_mov_b32_e32 v123, v53
	s_mov_b32 s22, exec_lo
	v_cmpx_gt_u32_e64 s3, v57
	s_cbranch_execz .LBB683_409
; %bb.399:
	v_cmp_ne_u32_e32 vcc_lo, 1, v63
	s_cbranch_vccnz .LBB683_406
; %bb.400:
	v_mul_lo_u32 v61, v54, s8
	v_mul_lo_u32 v62, v53, s9
	v_mad_u64_u32 v[57:58], null, v53, s8, 0
	v_mul_lo_u32 v65, v52, s8
	v_mul_lo_u32 v66, v51, s9
	v_mad_u64_u32 v[59:60], null, v51, s8, 0
	v_mov_b32_e32 v123, 1
	v_mov_b32_e32 v124, 0
	v_add3_u32 v58, v58, v62, v61
	s_mov_b32 s23, exec_lo
	s_delay_alu instid0(VALU_DEP_4) | instskip(NEXT) | instid1(VALU_DEP_2)
	v_add3_u32 v60, v60, v66, v65
	v_lshlrev_b64 v[57:58], 1, v[57:58]
	s_delay_alu instid0(VALU_DEP_2) | instskip(NEXT) | instid1(VALU_DEP_2)
	v_lshlrev_b64 v[61:62], 1, v[59:60]
	v_add_co_u32 v59, vcc_lo, s10, v57
	s_delay_alu instid0(VALU_DEP_3) | instskip(NEXT) | instid1(VALU_DEP_3)
	v_add_co_ci_u32_e32 v60, vcc_lo, s11, v58, vcc_lo
	v_add_co_u32 v57, vcc_lo, s10, v61
	s_delay_alu instid0(VALU_DEP_4)
	v_add_co_ci_u32_e32 v58, vcc_lo, s11, v62, vcc_lo
	s_clause 0x1
	global_load_u16 v61, v[59:60], off
	global_load_u16 v62, v[57:58], off
	s_waitcnt vmcnt(0)
	v_cmpx_eq_u16_e64 v61, v62
	s_cbranch_execz .LBB683_408
; %bb.401:
	v_add_co_u32 v57, vcc_lo, v57, 2
	v_add_co_ci_u32_e32 v58, vcc_lo, 0, v58, vcc_lo
	v_add_co_u32 v59, vcc_lo, v59, 2
	v_add_co_ci_u32_e32 v60, vcc_lo, 0, v60, vcc_lo
	s_add_u32 s14, s8, -1
	s_addc_u32 s15, s9, -1
	s_mov_b64 s[20:21], 0
	s_mov_b32 s24, 0
                                        ; implicit-def: $sgpr25
	s_set_inst_prefetch_distance 0x1
	s_branch .LBB683_404
	.p2align	6
.LBB683_402:                            ;   in Loop: Header=BB683_404 Depth=1
	global_load_u16 v61, v[59:60], off
	global_load_u16 v62, v[57:58], off
	v_add_co_u32 v57, vcc_lo, v57, 2
	v_add_co_ci_u32_e32 v58, vcc_lo, 0, v58, vcc_lo
	v_add_co_u32 v59, s0, v59, 2
	s_delay_alu instid0(VALU_DEP_1)
	v_add_co_ci_u32_e64 v60, s0, 0, v60, s0
	s_add_u32 s20, s20, 1
	s_addc_u32 s21, s21, 0
	s_and_not1_b32 s0, s25, exec_lo
	s_waitcnt vmcnt(0)
	v_cmp_ne_u16_e32 vcc_lo, v61, v62
	s_and_b32 s25, vcc_lo, exec_lo
	s_delay_alu instid0(SALU_CYCLE_1)
	s_or_b32 s25, s0, s25
.LBB683_403:                            ;   in Loop: Header=BB683_404 Depth=1
	v_dual_mov_b32 v62, s21 :: v_dual_mov_b32 v61, s20
	s_and_b32 s0, exec_lo, s25
	s_delay_alu instid0(SALU_CYCLE_1) | instskip(NEXT) | instid1(SALU_CYCLE_1)
	s_or_b32 s24, s0, s24
	s_and_not1_b32 exec_lo, exec_lo, s24
	s_cbranch_execz .LBB683_407
.LBB683_404:                            ; =>This Inner Loop Header: Depth=1
	s_or_b32 s25, s25, exec_lo
	s_cmp_eq_u64 s[14:15], s[20:21]
	s_cbranch_scc0 .LBB683_402
; %bb.405:                              ;   in Loop: Header=BB683_404 Depth=1
	s_mov_b64 s[20:21], s[8:9]
                                        ; implicit-def: $vgpr57_vgpr58
                                        ; implicit-def: $vgpr59_vgpr60
	s_branch .LBB683_403
.LBB683_406:
	v_mov_b32_e32 v123, 0
	v_mov_b32_e32 v124, 0
	s_branch .LBB683_409
.LBB683_407:
	s_set_inst_prefetch_distance 0x2
	s_or_b32 exec_lo, exec_lo, s24
	v_cmp_gt_i64_e32 vcc_lo, s[8:9], v[61:62]
	s_mov_b32 s0, 0
	s_delay_alu instid0(SALU_CYCLE_1)
	v_mov_b32_e32 v124, s0
	v_cndmask_b32_e64 v123, 0, 1, vcc_lo
.LBB683_408:
	s_or_b32 exec_lo, exec_lo, s23
.LBB683_409:
	s_delay_alu instid0(SALU_CYCLE_1) | instskip(SKIP_3) | instid1(VALU_DEP_2)
	s_or_b32 exec_lo, exec_lo, s22
	v_dual_mov_b32 v126, v52 :: v_dual_add_nc_u32 v57, 21, v64
	v_mov_b32_e32 v125, v51
	s_mov_b32 s22, exec_lo
	v_cmpx_gt_u32_e64 s3, v57
	s_cbranch_execz .LBB683_420
; %bb.410:
	v_cmp_ne_u32_e32 vcc_lo, 1, v63
	s_cbranch_vccnz .LBB683_417
; %bb.411:
	v_mul_lo_u32 v61, v52, s8
	v_mul_lo_u32 v62, v51, s9
	v_mad_u64_u32 v[57:58], null, v51, s8, 0
	v_mul_lo_u32 v65, v50, s8
	v_mul_lo_u32 v66, v49, s9
	v_mad_u64_u32 v[59:60], null, v49, s8, 0
	v_mov_b32_e32 v125, 1
	v_mov_b32_e32 v126, 0
	v_add3_u32 v58, v58, v62, v61
	s_mov_b32 s23, exec_lo
	s_delay_alu instid0(VALU_DEP_4) | instskip(NEXT) | instid1(VALU_DEP_2)
	v_add3_u32 v60, v60, v66, v65
	v_lshlrev_b64 v[57:58], 1, v[57:58]
	s_delay_alu instid0(VALU_DEP_2) | instskip(NEXT) | instid1(VALU_DEP_2)
	v_lshlrev_b64 v[61:62], 1, v[59:60]
	v_add_co_u32 v59, vcc_lo, s10, v57
	s_delay_alu instid0(VALU_DEP_3) | instskip(NEXT) | instid1(VALU_DEP_3)
	v_add_co_ci_u32_e32 v60, vcc_lo, s11, v58, vcc_lo
	v_add_co_u32 v57, vcc_lo, s10, v61
	s_delay_alu instid0(VALU_DEP_4)
	v_add_co_ci_u32_e32 v58, vcc_lo, s11, v62, vcc_lo
	s_clause 0x1
	global_load_u16 v61, v[59:60], off
	global_load_u16 v62, v[57:58], off
	s_waitcnt vmcnt(0)
	v_cmpx_eq_u16_e64 v61, v62
	s_cbranch_execz .LBB683_419
; %bb.412:
	v_add_co_u32 v57, vcc_lo, v57, 2
	v_add_co_ci_u32_e32 v58, vcc_lo, 0, v58, vcc_lo
	v_add_co_u32 v59, vcc_lo, v59, 2
	v_add_co_ci_u32_e32 v60, vcc_lo, 0, v60, vcc_lo
	s_add_u32 s14, s8, -1
	s_addc_u32 s15, s9, -1
	s_mov_b64 s[20:21], 0
	s_mov_b32 s24, 0
                                        ; implicit-def: $sgpr25
	s_set_inst_prefetch_distance 0x1
	s_branch .LBB683_415
	.p2align	6
.LBB683_413:                            ;   in Loop: Header=BB683_415 Depth=1
	global_load_u16 v61, v[59:60], off
	global_load_u16 v62, v[57:58], off
	v_add_co_u32 v57, vcc_lo, v57, 2
	v_add_co_ci_u32_e32 v58, vcc_lo, 0, v58, vcc_lo
	v_add_co_u32 v59, s0, v59, 2
	s_delay_alu instid0(VALU_DEP_1)
	v_add_co_ci_u32_e64 v60, s0, 0, v60, s0
	s_add_u32 s20, s20, 1
	s_addc_u32 s21, s21, 0
	s_and_not1_b32 s0, s25, exec_lo
	s_waitcnt vmcnt(0)
	v_cmp_ne_u16_e32 vcc_lo, v61, v62
	s_and_b32 s25, vcc_lo, exec_lo
	s_delay_alu instid0(SALU_CYCLE_1)
	s_or_b32 s25, s0, s25
.LBB683_414:                            ;   in Loop: Header=BB683_415 Depth=1
	v_dual_mov_b32 v62, s21 :: v_dual_mov_b32 v61, s20
	s_and_b32 s0, exec_lo, s25
	s_delay_alu instid0(SALU_CYCLE_1) | instskip(NEXT) | instid1(SALU_CYCLE_1)
	s_or_b32 s24, s0, s24
	s_and_not1_b32 exec_lo, exec_lo, s24
	s_cbranch_execz .LBB683_418
.LBB683_415:                            ; =>This Inner Loop Header: Depth=1
	s_or_b32 s25, s25, exec_lo
	s_cmp_eq_u64 s[14:15], s[20:21]
	s_cbranch_scc0 .LBB683_413
; %bb.416:                              ;   in Loop: Header=BB683_415 Depth=1
	s_mov_b64 s[20:21], s[8:9]
                                        ; implicit-def: $vgpr57_vgpr58
                                        ; implicit-def: $vgpr59_vgpr60
	s_branch .LBB683_414
.LBB683_417:
	v_mov_b32_e32 v125, 0
	v_mov_b32_e32 v126, 0
	s_branch .LBB683_420
.LBB683_418:
	s_set_inst_prefetch_distance 0x2
	s_or_b32 exec_lo, exec_lo, s24
	v_cmp_gt_i64_e32 vcc_lo, s[8:9], v[61:62]
	s_mov_b32 s0, 0
	s_delay_alu instid0(SALU_CYCLE_1)
	v_mov_b32_e32 v126, s0
	v_cndmask_b32_e64 v125, 0, 1, vcc_lo
.LBB683_419:
	s_or_b32 exec_lo, exec_lo, s23
.LBB683_420:
	s_delay_alu instid0(SALU_CYCLE_1) | instskip(SKIP_3) | instid1(VALU_DEP_2)
	s_or_b32 exec_lo, exec_lo, s22
	v_dual_mov_b32 v128, v50 :: v_dual_add_nc_u32 v57, 20, v64
	v_mov_b32_e32 v127, v49
	s_mov_b32 s22, exec_lo
	v_cmpx_gt_u32_e64 s3, v57
	s_cbranch_execz .LBB683_431
; %bb.421:
	v_cmp_ne_u32_e32 vcc_lo, 1, v63
	s_cbranch_vccnz .LBB683_428
; %bb.422:
	v_mul_lo_u32 v61, v50, s8
	v_mul_lo_u32 v62, v49, s9
	v_mad_u64_u32 v[57:58], null, v49, s8, 0
	v_mul_lo_u32 v65, v48, s8
	v_mul_lo_u32 v66, v47, s9
	v_mad_u64_u32 v[59:60], null, v47, s8, 0
	v_mov_b32_e32 v127, 1
	v_mov_b32_e32 v128, 0
	v_add3_u32 v58, v58, v62, v61
	s_mov_b32 s23, exec_lo
	s_delay_alu instid0(VALU_DEP_4) | instskip(NEXT) | instid1(VALU_DEP_2)
	v_add3_u32 v60, v60, v66, v65
	v_lshlrev_b64 v[57:58], 1, v[57:58]
	s_delay_alu instid0(VALU_DEP_2) | instskip(NEXT) | instid1(VALU_DEP_2)
	v_lshlrev_b64 v[61:62], 1, v[59:60]
	v_add_co_u32 v59, vcc_lo, s10, v57
	s_delay_alu instid0(VALU_DEP_3) | instskip(NEXT) | instid1(VALU_DEP_3)
	v_add_co_ci_u32_e32 v60, vcc_lo, s11, v58, vcc_lo
	v_add_co_u32 v57, vcc_lo, s10, v61
	s_delay_alu instid0(VALU_DEP_4)
	v_add_co_ci_u32_e32 v58, vcc_lo, s11, v62, vcc_lo
	s_clause 0x1
	global_load_u16 v61, v[59:60], off
	global_load_u16 v62, v[57:58], off
	s_waitcnt vmcnt(0)
	v_cmpx_eq_u16_e64 v61, v62
	s_cbranch_execz .LBB683_430
; %bb.423:
	v_add_co_u32 v57, vcc_lo, v57, 2
	v_add_co_ci_u32_e32 v58, vcc_lo, 0, v58, vcc_lo
	v_add_co_u32 v59, vcc_lo, v59, 2
	v_add_co_ci_u32_e32 v60, vcc_lo, 0, v60, vcc_lo
	s_add_u32 s14, s8, -1
	s_addc_u32 s15, s9, -1
	s_mov_b64 s[20:21], 0
	s_mov_b32 s24, 0
                                        ; implicit-def: $sgpr25
	s_set_inst_prefetch_distance 0x1
	s_branch .LBB683_426
	.p2align	6
.LBB683_424:                            ;   in Loop: Header=BB683_426 Depth=1
	global_load_u16 v61, v[59:60], off
	global_load_u16 v62, v[57:58], off
	v_add_co_u32 v57, vcc_lo, v57, 2
	v_add_co_ci_u32_e32 v58, vcc_lo, 0, v58, vcc_lo
	v_add_co_u32 v59, s0, v59, 2
	s_delay_alu instid0(VALU_DEP_1)
	v_add_co_ci_u32_e64 v60, s0, 0, v60, s0
	s_add_u32 s20, s20, 1
	s_addc_u32 s21, s21, 0
	s_and_not1_b32 s0, s25, exec_lo
	s_waitcnt vmcnt(0)
	v_cmp_ne_u16_e32 vcc_lo, v61, v62
	s_and_b32 s25, vcc_lo, exec_lo
	s_delay_alu instid0(SALU_CYCLE_1)
	s_or_b32 s25, s0, s25
.LBB683_425:                            ;   in Loop: Header=BB683_426 Depth=1
	v_dual_mov_b32 v62, s21 :: v_dual_mov_b32 v61, s20
	s_and_b32 s0, exec_lo, s25
	s_delay_alu instid0(SALU_CYCLE_1) | instskip(NEXT) | instid1(SALU_CYCLE_1)
	s_or_b32 s24, s0, s24
	s_and_not1_b32 exec_lo, exec_lo, s24
	s_cbranch_execz .LBB683_429
.LBB683_426:                            ; =>This Inner Loop Header: Depth=1
	s_or_b32 s25, s25, exec_lo
	s_cmp_eq_u64 s[14:15], s[20:21]
	s_cbranch_scc0 .LBB683_424
; %bb.427:                              ;   in Loop: Header=BB683_426 Depth=1
	s_mov_b64 s[20:21], s[8:9]
                                        ; implicit-def: $vgpr57_vgpr58
                                        ; implicit-def: $vgpr59_vgpr60
	s_branch .LBB683_425
.LBB683_428:
	v_mov_b32_e32 v127, 0
	v_mov_b32_e32 v128, 0
	s_branch .LBB683_431
.LBB683_429:
	s_set_inst_prefetch_distance 0x2
	s_or_b32 exec_lo, exec_lo, s24
	v_cmp_gt_i64_e32 vcc_lo, s[8:9], v[61:62]
	s_mov_b32 s0, 0
	s_delay_alu instid0(SALU_CYCLE_1)
	v_mov_b32_e32 v128, s0
	v_cndmask_b32_e64 v127, 0, 1, vcc_lo
.LBB683_430:
	s_or_b32 exec_lo, exec_lo, s23
.LBB683_431:
	s_delay_alu instid0(SALU_CYCLE_1) | instskip(SKIP_3) | instid1(VALU_DEP_2)
	s_or_b32 exec_lo, exec_lo, s22
	v_dual_mov_b32 v130, v48 :: v_dual_add_nc_u32 v57, 19, v64
	v_mov_b32_e32 v129, v47
	s_mov_b32 s22, exec_lo
	v_cmpx_gt_u32_e64 s3, v57
	s_cbranch_execz .LBB683_442
; %bb.432:
	v_cmp_ne_u32_e32 vcc_lo, 1, v63
	s_cbranch_vccnz .LBB683_439
; %bb.433:
	v_mul_lo_u32 v61, v48, s8
	v_mul_lo_u32 v62, v47, s9
	v_mad_u64_u32 v[57:58], null, v47, s8, 0
	v_mul_lo_u32 v65, v46, s8
	v_mul_lo_u32 v66, v45, s9
	v_mad_u64_u32 v[59:60], null, v45, s8, 0
	v_mov_b32_e32 v129, 1
	v_mov_b32_e32 v130, 0
	v_add3_u32 v58, v58, v62, v61
	s_mov_b32 s23, exec_lo
	s_delay_alu instid0(VALU_DEP_4) | instskip(NEXT) | instid1(VALU_DEP_2)
	v_add3_u32 v60, v60, v66, v65
	v_lshlrev_b64 v[57:58], 1, v[57:58]
	s_delay_alu instid0(VALU_DEP_2) | instskip(NEXT) | instid1(VALU_DEP_2)
	v_lshlrev_b64 v[61:62], 1, v[59:60]
	v_add_co_u32 v59, vcc_lo, s10, v57
	s_delay_alu instid0(VALU_DEP_3) | instskip(NEXT) | instid1(VALU_DEP_3)
	v_add_co_ci_u32_e32 v60, vcc_lo, s11, v58, vcc_lo
	v_add_co_u32 v57, vcc_lo, s10, v61
	s_delay_alu instid0(VALU_DEP_4)
	v_add_co_ci_u32_e32 v58, vcc_lo, s11, v62, vcc_lo
	s_clause 0x1
	global_load_u16 v61, v[59:60], off
	global_load_u16 v62, v[57:58], off
	s_waitcnt vmcnt(0)
	v_cmpx_eq_u16_e64 v61, v62
	s_cbranch_execz .LBB683_441
; %bb.434:
	v_add_co_u32 v57, vcc_lo, v57, 2
	v_add_co_ci_u32_e32 v58, vcc_lo, 0, v58, vcc_lo
	v_add_co_u32 v59, vcc_lo, v59, 2
	v_add_co_ci_u32_e32 v60, vcc_lo, 0, v60, vcc_lo
	s_add_u32 s14, s8, -1
	s_addc_u32 s15, s9, -1
	s_mov_b64 s[20:21], 0
	s_mov_b32 s24, 0
                                        ; implicit-def: $sgpr25
	s_set_inst_prefetch_distance 0x1
	s_branch .LBB683_437
	.p2align	6
.LBB683_435:                            ;   in Loop: Header=BB683_437 Depth=1
	global_load_u16 v61, v[59:60], off
	global_load_u16 v62, v[57:58], off
	v_add_co_u32 v57, vcc_lo, v57, 2
	v_add_co_ci_u32_e32 v58, vcc_lo, 0, v58, vcc_lo
	v_add_co_u32 v59, s0, v59, 2
	s_delay_alu instid0(VALU_DEP_1)
	v_add_co_ci_u32_e64 v60, s0, 0, v60, s0
	s_add_u32 s20, s20, 1
	s_addc_u32 s21, s21, 0
	s_and_not1_b32 s0, s25, exec_lo
	s_waitcnt vmcnt(0)
	v_cmp_ne_u16_e32 vcc_lo, v61, v62
	s_and_b32 s25, vcc_lo, exec_lo
	s_delay_alu instid0(SALU_CYCLE_1)
	s_or_b32 s25, s0, s25
.LBB683_436:                            ;   in Loop: Header=BB683_437 Depth=1
	v_dual_mov_b32 v62, s21 :: v_dual_mov_b32 v61, s20
	s_and_b32 s0, exec_lo, s25
	s_delay_alu instid0(SALU_CYCLE_1) | instskip(NEXT) | instid1(SALU_CYCLE_1)
	s_or_b32 s24, s0, s24
	s_and_not1_b32 exec_lo, exec_lo, s24
	s_cbranch_execz .LBB683_440
.LBB683_437:                            ; =>This Inner Loop Header: Depth=1
	s_or_b32 s25, s25, exec_lo
	s_cmp_eq_u64 s[14:15], s[20:21]
	s_cbranch_scc0 .LBB683_435
; %bb.438:                              ;   in Loop: Header=BB683_437 Depth=1
	s_mov_b64 s[20:21], s[8:9]
                                        ; implicit-def: $vgpr57_vgpr58
                                        ; implicit-def: $vgpr59_vgpr60
	s_branch .LBB683_436
.LBB683_439:
	v_mov_b32_e32 v129, 0
	v_mov_b32_e32 v130, 0
	s_branch .LBB683_442
.LBB683_440:
	s_set_inst_prefetch_distance 0x2
	s_or_b32 exec_lo, exec_lo, s24
	v_cmp_gt_i64_e32 vcc_lo, s[8:9], v[61:62]
	s_mov_b32 s0, 0
	s_delay_alu instid0(SALU_CYCLE_1)
	v_mov_b32_e32 v130, s0
	v_cndmask_b32_e64 v129, 0, 1, vcc_lo
.LBB683_441:
	s_or_b32 exec_lo, exec_lo, s23
.LBB683_442:
	s_delay_alu instid0(SALU_CYCLE_1) | instskip(SKIP_3) | instid1(VALU_DEP_2)
	s_or_b32 exec_lo, exec_lo, s22
	v_dual_mov_b32 v132, v46 :: v_dual_add_nc_u32 v57, 18, v64
	v_mov_b32_e32 v131, v45
	s_mov_b32 s22, exec_lo
	v_cmpx_gt_u32_e64 s3, v57
	s_cbranch_execz .LBB683_453
; %bb.443:
	v_cmp_ne_u32_e32 vcc_lo, 1, v63
	s_cbranch_vccnz .LBB683_450
; %bb.444:
	v_mul_lo_u32 v61, v46, s8
	v_mul_lo_u32 v62, v45, s9
	v_mad_u64_u32 v[57:58], null, v45, s8, 0
	v_mul_lo_u32 v65, v44, s8
	v_mul_lo_u32 v66, v43, s9
	v_mad_u64_u32 v[59:60], null, v43, s8, 0
	v_mov_b32_e32 v131, 1
	v_mov_b32_e32 v132, 0
	v_add3_u32 v58, v58, v62, v61
	s_mov_b32 s23, exec_lo
	s_delay_alu instid0(VALU_DEP_4) | instskip(NEXT) | instid1(VALU_DEP_2)
	v_add3_u32 v60, v60, v66, v65
	v_lshlrev_b64 v[57:58], 1, v[57:58]
	s_delay_alu instid0(VALU_DEP_2) | instskip(NEXT) | instid1(VALU_DEP_2)
	v_lshlrev_b64 v[61:62], 1, v[59:60]
	v_add_co_u32 v59, vcc_lo, s10, v57
	s_delay_alu instid0(VALU_DEP_3) | instskip(NEXT) | instid1(VALU_DEP_3)
	v_add_co_ci_u32_e32 v60, vcc_lo, s11, v58, vcc_lo
	v_add_co_u32 v57, vcc_lo, s10, v61
	s_delay_alu instid0(VALU_DEP_4)
	v_add_co_ci_u32_e32 v58, vcc_lo, s11, v62, vcc_lo
	s_clause 0x1
	global_load_u16 v61, v[59:60], off
	global_load_u16 v62, v[57:58], off
	s_waitcnt vmcnt(0)
	v_cmpx_eq_u16_e64 v61, v62
	s_cbranch_execz .LBB683_452
; %bb.445:
	v_add_co_u32 v57, vcc_lo, v57, 2
	v_add_co_ci_u32_e32 v58, vcc_lo, 0, v58, vcc_lo
	v_add_co_u32 v59, vcc_lo, v59, 2
	v_add_co_ci_u32_e32 v60, vcc_lo, 0, v60, vcc_lo
	s_add_u32 s14, s8, -1
	s_addc_u32 s15, s9, -1
	s_mov_b64 s[20:21], 0
	s_mov_b32 s24, 0
                                        ; implicit-def: $sgpr25
	s_set_inst_prefetch_distance 0x1
	s_branch .LBB683_448
	.p2align	6
.LBB683_446:                            ;   in Loop: Header=BB683_448 Depth=1
	global_load_u16 v61, v[59:60], off
	global_load_u16 v62, v[57:58], off
	v_add_co_u32 v57, vcc_lo, v57, 2
	v_add_co_ci_u32_e32 v58, vcc_lo, 0, v58, vcc_lo
	v_add_co_u32 v59, s0, v59, 2
	s_delay_alu instid0(VALU_DEP_1)
	v_add_co_ci_u32_e64 v60, s0, 0, v60, s0
	s_add_u32 s20, s20, 1
	s_addc_u32 s21, s21, 0
	s_and_not1_b32 s0, s25, exec_lo
	s_waitcnt vmcnt(0)
	v_cmp_ne_u16_e32 vcc_lo, v61, v62
	s_and_b32 s25, vcc_lo, exec_lo
	s_delay_alu instid0(SALU_CYCLE_1)
	s_or_b32 s25, s0, s25
.LBB683_447:                            ;   in Loop: Header=BB683_448 Depth=1
	v_dual_mov_b32 v62, s21 :: v_dual_mov_b32 v61, s20
	s_and_b32 s0, exec_lo, s25
	s_delay_alu instid0(SALU_CYCLE_1) | instskip(NEXT) | instid1(SALU_CYCLE_1)
	s_or_b32 s24, s0, s24
	s_and_not1_b32 exec_lo, exec_lo, s24
	s_cbranch_execz .LBB683_451
.LBB683_448:                            ; =>This Inner Loop Header: Depth=1
	s_or_b32 s25, s25, exec_lo
	s_cmp_eq_u64 s[14:15], s[20:21]
	s_cbranch_scc0 .LBB683_446
; %bb.449:                              ;   in Loop: Header=BB683_448 Depth=1
	s_mov_b64 s[20:21], s[8:9]
                                        ; implicit-def: $vgpr57_vgpr58
                                        ; implicit-def: $vgpr59_vgpr60
	s_branch .LBB683_447
.LBB683_450:
	v_mov_b32_e32 v131, 0
	v_mov_b32_e32 v132, 0
	s_branch .LBB683_453
.LBB683_451:
	s_set_inst_prefetch_distance 0x2
	s_or_b32 exec_lo, exec_lo, s24
	v_cmp_gt_i64_e32 vcc_lo, s[8:9], v[61:62]
	s_mov_b32 s0, 0
	s_delay_alu instid0(SALU_CYCLE_1)
	v_mov_b32_e32 v132, s0
	v_cndmask_b32_e64 v131, 0, 1, vcc_lo
.LBB683_452:
	s_or_b32 exec_lo, exec_lo, s23
.LBB683_453:
	s_delay_alu instid0(SALU_CYCLE_1) | instskip(SKIP_3) | instid1(VALU_DEP_2)
	s_or_b32 exec_lo, exec_lo, s22
	v_dual_mov_b32 v134, v44 :: v_dual_add_nc_u32 v57, 17, v64
	v_mov_b32_e32 v133, v43
	s_mov_b32 s22, exec_lo
	v_cmpx_gt_u32_e64 s3, v57
	s_cbranch_execz .LBB683_464
; %bb.454:
	v_cmp_ne_u32_e32 vcc_lo, 1, v63
	s_cbranch_vccnz .LBB683_461
; %bb.455:
	v_mul_lo_u32 v61, v44, s8
	v_mul_lo_u32 v62, v43, s9
	v_mad_u64_u32 v[57:58], null, v43, s8, 0
	v_mul_lo_u32 v65, v42, s8
	v_mul_lo_u32 v66, v41, s9
	v_mad_u64_u32 v[59:60], null, v41, s8, 0
	v_mov_b32_e32 v133, 1
	v_mov_b32_e32 v134, 0
	v_add3_u32 v58, v58, v62, v61
	s_mov_b32 s23, exec_lo
	s_delay_alu instid0(VALU_DEP_4) | instskip(NEXT) | instid1(VALU_DEP_2)
	v_add3_u32 v60, v60, v66, v65
	v_lshlrev_b64 v[57:58], 1, v[57:58]
	s_delay_alu instid0(VALU_DEP_2) | instskip(NEXT) | instid1(VALU_DEP_2)
	v_lshlrev_b64 v[61:62], 1, v[59:60]
	v_add_co_u32 v59, vcc_lo, s10, v57
	s_delay_alu instid0(VALU_DEP_3) | instskip(NEXT) | instid1(VALU_DEP_3)
	v_add_co_ci_u32_e32 v60, vcc_lo, s11, v58, vcc_lo
	v_add_co_u32 v57, vcc_lo, s10, v61
	s_delay_alu instid0(VALU_DEP_4)
	v_add_co_ci_u32_e32 v58, vcc_lo, s11, v62, vcc_lo
	s_clause 0x1
	global_load_u16 v61, v[59:60], off
	global_load_u16 v62, v[57:58], off
	s_waitcnt vmcnt(0)
	v_cmpx_eq_u16_e64 v61, v62
	s_cbranch_execz .LBB683_463
; %bb.456:
	v_add_co_u32 v57, vcc_lo, v57, 2
	v_add_co_ci_u32_e32 v58, vcc_lo, 0, v58, vcc_lo
	v_add_co_u32 v59, vcc_lo, v59, 2
	v_add_co_ci_u32_e32 v60, vcc_lo, 0, v60, vcc_lo
	s_add_u32 s14, s8, -1
	s_addc_u32 s15, s9, -1
	s_mov_b64 s[20:21], 0
	s_mov_b32 s24, 0
                                        ; implicit-def: $sgpr25
	s_set_inst_prefetch_distance 0x1
	s_branch .LBB683_459
	.p2align	6
.LBB683_457:                            ;   in Loop: Header=BB683_459 Depth=1
	global_load_u16 v61, v[59:60], off
	global_load_u16 v62, v[57:58], off
	v_add_co_u32 v57, vcc_lo, v57, 2
	v_add_co_ci_u32_e32 v58, vcc_lo, 0, v58, vcc_lo
	v_add_co_u32 v59, s0, v59, 2
	s_delay_alu instid0(VALU_DEP_1)
	v_add_co_ci_u32_e64 v60, s0, 0, v60, s0
	s_add_u32 s20, s20, 1
	s_addc_u32 s21, s21, 0
	s_and_not1_b32 s0, s25, exec_lo
	s_waitcnt vmcnt(0)
	v_cmp_ne_u16_e32 vcc_lo, v61, v62
	s_and_b32 s25, vcc_lo, exec_lo
	s_delay_alu instid0(SALU_CYCLE_1)
	s_or_b32 s25, s0, s25
.LBB683_458:                            ;   in Loop: Header=BB683_459 Depth=1
	v_dual_mov_b32 v62, s21 :: v_dual_mov_b32 v61, s20
	s_and_b32 s0, exec_lo, s25
	s_delay_alu instid0(SALU_CYCLE_1) | instskip(NEXT) | instid1(SALU_CYCLE_1)
	s_or_b32 s24, s0, s24
	s_and_not1_b32 exec_lo, exec_lo, s24
	s_cbranch_execz .LBB683_462
.LBB683_459:                            ; =>This Inner Loop Header: Depth=1
	s_or_b32 s25, s25, exec_lo
	s_cmp_eq_u64 s[14:15], s[20:21]
	s_cbranch_scc0 .LBB683_457
; %bb.460:                              ;   in Loop: Header=BB683_459 Depth=1
	s_mov_b64 s[20:21], s[8:9]
                                        ; implicit-def: $vgpr57_vgpr58
                                        ; implicit-def: $vgpr59_vgpr60
	s_branch .LBB683_458
.LBB683_461:
	v_mov_b32_e32 v133, 0
	v_mov_b32_e32 v134, 0
	s_branch .LBB683_464
.LBB683_462:
	s_set_inst_prefetch_distance 0x2
	s_or_b32 exec_lo, exec_lo, s24
	v_cmp_gt_i64_e32 vcc_lo, s[8:9], v[61:62]
	s_mov_b32 s0, 0
	s_delay_alu instid0(SALU_CYCLE_1)
	v_mov_b32_e32 v134, s0
	v_cndmask_b32_e64 v133, 0, 1, vcc_lo
.LBB683_463:
	s_or_b32 exec_lo, exec_lo, s23
.LBB683_464:
	s_delay_alu instid0(SALU_CYCLE_1) | instskip(SKIP_3) | instid1(VALU_DEP_2)
	s_or_b32 exec_lo, exec_lo, s22
	v_dual_mov_b32 v136, v42 :: v_dual_add_nc_u32 v57, 16, v64
	v_mov_b32_e32 v135, v41
	s_mov_b32 s22, exec_lo
	v_cmpx_gt_u32_e64 s3, v57
	s_cbranch_execz .LBB683_475
; %bb.465:
	v_cmp_ne_u32_e32 vcc_lo, 1, v63
	s_cbranch_vccnz .LBB683_472
; %bb.466:
	v_mul_lo_u32 v61, v42, s8
	v_mul_lo_u32 v62, v41, s9
	v_mad_u64_u32 v[57:58], null, v41, s8, 0
	v_mul_lo_u32 v65, v40, s8
	v_mul_lo_u32 v66, v39, s9
	v_mad_u64_u32 v[59:60], null, v39, s8, 0
	v_mov_b32_e32 v135, 1
	v_mov_b32_e32 v136, 0
	v_add3_u32 v58, v58, v62, v61
	s_mov_b32 s23, exec_lo
	s_delay_alu instid0(VALU_DEP_4) | instskip(NEXT) | instid1(VALU_DEP_2)
	v_add3_u32 v60, v60, v66, v65
	v_lshlrev_b64 v[57:58], 1, v[57:58]
	s_delay_alu instid0(VALU_DEP_2) | instskip(NEXT) | instid1(VALU_DEP_2)
	v_lshlrev_b64 v[61:62], 1, v[59:60]
	v_add_co_u32 v59, vcc_lo, s10, v57
	s_delay_alu instid0(VALU_DEP_3) | instskip(NEXT) | instid1(VALU_DEP_3)
	v_add_co_ci_u32_e32 v60, vcc_lo, s11, v58, vcc_lo
	v_add_co_u32 v57, vcc_lo, s10, v61
	s_delay_alu instid0(VALU_DEP_4)
	v_add_co_ci_u32_e32 v58, vcc_lo, s11, v62, vcc_lo
	s_clause 0x1
	global_load_u16 v61, v[59:60], off
	global_load_u16 v62, v[57:58], off
	s_waitcnt vmcnt(0)
	v_cmpx_eq_u16_e64 v61, v62
	s_cbranch_execz .LBB683_474
; %bb.467:
	v_add_co_u32 v57, vcc_lo, v57, 2
	v_add_co_ci_u32_e32 v58, vcc_lo, 0, v58, vcc_lo
	v_add_co_u32 v59, vcc_lo, v59, 2
	v_add_co_ci_u32_e32 v60, vcc_lo, 0, v60, vcc_lo
	s_add_u32 s14, s8, -1
	s_addc_u32 s15, s9, -1
	s_mov_b64 s[20:21], 0
	s_mov_b32 s24, 0
                                        ; implicit-def: $sgpr25
	s_set_inst_prefetch_distance 0x1
	s_branch .LBB683_470
	.p2align	6
.LBB683_468:                            ;   in Loop: Header=BB683_470 Depth=1
	global_load_u16 v61, v[59:60], off
	global_load_u16 v62, v[57:58], off
	v_add_co_u32 v57, vcc_lo, v57, 2
	v_add_co_ci_u32_e32 v58, vcc_lo, 0, v58, vcc_lo
	v_add_co_u32 v59, s0, v59, 2
	s_delay_alu instid0(VALU_DEP_1)
	v_add_co_ci_u32_e64 v60, s0, 0, v60, s0
	s_add_u32 s20, s20, 1
	s_addc_u32 s21, s21, 0
	s_and_not1_b32 s0, s25, exec_lo
	s_waitcnt vmcnt(0)
	v_cmp_ne_u16_e32 vcc_lo, v61, v62
	s_and_b32 s25, vcc_lo, exec_lo
	s_delay_alu instid0(SALU_CYCLE_1)
	s_or_b32 s25, s0, s25
.LBB683_469:                            ;   in Loop: Header=BB683_470 Depth=1
	v_dual_mov_b32 v62, s21 :: v_dual_mov_b32 v61, s20
	s_and_b32 s0, exec_lo, s25
	s_delay_alu instid0(SALU_CYCLE_1) | instskip(NEXT) | instid1(SALU_CYCLE_1)
	s_or_b32 s24, s0, s24
	s_and_not1_b32 exec_lo, exec_lo, s24
	s_cbranch_execz .LBB683_473
.LBB683_470:                            ; =>This Inner Loop Header: Depth=1
	s_or_b32 s25, s25, exec_lo
	s_cmp_eq_u64 s[14:15], s[20:21]
	s_cbranch_scc0 .LBB683_468
; %bb.471:                              ;   in Loop: Header=BB683_470 Depth=1
	s_mov_b64 s[20:21], s[8:9]
                                        ; implicit-def: $vgpr57_vgpr58
                                        ; implicit-def: $vgpr59_vgpr60
	s_branch .LBB683_469
.LBB683_472:
	v_mov_b32_e32 v135, 0
	v_mov_b32_e32 v136, 0
	s_branch .LBB683_475
.LBB683_473:
	s_set_inst_prefetch_distance 0x2
	s_or_b32 exec_lo, exec_lo, s24
	v_cmp_gt_i64_e32 vcc_lo, s[8:9], v[61:62]
	s_mov_b32 s0, 0
	s_delay_alu instid0(SALU_CYCLE_1)
	v_mov_b32_e32 v136, s0
	v_cndmask_b32_e64 v135, 0, 1, vcc_lo
.LBB683_474:
	s_or_b32 exec_lo, exec_lo, s23
.LBB683_475:
	s_delay_alu instid0(SALU_CYCLE_1) | instskip(SKIP_3) | instid1(VALU_DEP_2)
	s_or_b32 exec_lo, exec_lo, s22
	v_dual_mov_b32 v138, v40 :: v_dual_add_nc_u32 v57, 15, v64
	v_mov_b32_e32 v137, v39
	s_mov_b32 s22, exec_lo
	v_cmpx_gt_u32_e64 s3, v57
	s_cbranch_execz .LBB683_486
; %bb.476:
	v_cmp_ne_u32_e32 vcc_lo, 1, v63
	s_cbranch_vccnz .LBB683_483
; %bb.477:
	v_mul_lo_u32 v61, v40, s8
	v_mul_lo_u32 v62, v39, s9
	v_mad_u64_u32 v[57:58], null, v39, s8, 0
	v_mul_lo_u32 v65, v38, s8
	v_mul_lo_u32 v66, v37, s9
	v_mad_u64_u32 v[59:60], null, v37, s8, 0
	v_mov_b32_e32 v137, 1
	v_mov_b32_e32 v138, 0
	v_add3_u32 v58, v58, v62, v61
	s_mov_b32 s23, exec_lo
	s_delay_alu instid0(VALU_DEP_4) | instskip(NEXT) | instid1(VALU_DEP_2)
	v_add3_u32 v60, v60, v66, v65
	v_lshlrev_b64 v[57:58], 1, v[57:58]
	s_delay_alu instid0(VALU_DEP_2) | instskip(NEXT) | instid1(VALU_DEP_2)
	v_lshlrev_b64 v[61:62], 1, v[59:60]
	v_add_co_u32 v59, vcc_lo, s10, v57
	s_delay_alu instid0(VALU_DEP_3) | instskip(NEXT) | instid1(VALU_DEP_3)
	v_add_co_ci_u32_e32 v60, vcc_lo, s11, v58, vcc_lo
	v_add_co_u32 v57, vcc_lo, s10, v61
	s_delay_alu instid0(VALU_DEP_4)
	v_add_co_ci_u32_e32 v58, vcc_lo, s11, v62, vcc_lo
	s_clause 0x1
	global_load_u16 v61, v[59:60], off
	global_load_u16 v62, v[57:58], off
	s_waitcnt vmcnt(0)
	v_cmpx_eq_u16_e64 v61, v62
	s_cbranch_execz .LBB683_485
; %bb.478:
	v_add_co_u32 v57, vcc_lo, v57, 2
	v_add_co_ci_u32_e32 v58, vcc_lo, 0, v58, vcc_lo
	v_add_co_u32 v59, vcc_lo, v59, 2
	v_add_co_ci_u32_e32 v60, vcc_lo, 0, v60, vcc_lo
	s_add_u32 s14, s8, -1
	s_addc_u32 s15, s9, -1
	s_mov_b64 s[20:21], 0
	s_mov_b32 s24, 0
                                        ; implicit-def: $sgpr25
	s_set_inst_prefetch_distance 0x1
	s_branch .LBB683_481
	.p2align	6
.LBB683_479:                            ;   in Loop: Header=BB683_481 Depth=1
	global_load_u16 v61, v[59:60], off
	global_load_u16 v62, v[57:58], off
	v_add_co_u32 v57, vcc_lo, v57, 2
	v_add_co_ci_u32_e32 v58, vcc_lo, 0, v58, vcc_lo
	v_add_co_u32 v59, s0, v59, 2
	s_delay_alu instid0(VALU_DEP_1)
	v_add_co_ci_u32_e64 v60, s0, 0, v60, s0
	s_add_u32 s20, s20, 1
	s_addc_u32 s21, s21, 0
	s_and_not1_b32 s0, s25, exec_lo
	s_waitcnt vmcnt(0)
	v_cmp_ne_u16_e32 vcc_lo, v61, v62
	s_and_b32 s25, vcc_lo, exec_lo
	s_delay_alu instid0(SALU_CYCLE_1)
	s_or_b32 s25, s0, s25
.LBB683_480:                            ;   in Loop: Header=BB683_481 Depth=1
	v_dual_mov_b32 v62, s21 :: v_dual_mov_b32 v61, s20
	s_and_b32 s0, exec_lo, s25
	s_delay_alu instid0(SALU_CYCLE_1) | instskip(NEXT) | instid1(SALU_CYCLE_1)
	s_or_b32 s24, s0, s24
	s_and_not1_b32 exec_lo, exec_lo, s24
	s_cbranch_execz .LBB683_484
.LBB683_481:                            ; =>This Inner Loop Header: Depth=1
	s_or_b32 s25, s25, exec_lo
	s_cmp_eq_u64 s[14:15], s[20:21]
	s_cbranch_scc0 .LBB683_479
; %bb.482:                              ;   in Loop: Header=BB683_481 Depth=1
	s_mov_b64 s[20:21], s[8:9]
                                        ; implicit-def: $vgpr57_vgpr58
                                        ; implicit-def: $vgpr59_vgpr60
	s_branch .LBB683_480
.LBB683_483:
	v_mov_b32_e32 v137, 0
	v_mov_b32_e32 v138, 0
	s_branch .LBB683_486
.LBB683_484:
	s_set_inst_prefetch_distance 0x2
	s_or_b32 exec_lo, exec_lo, s24
	v_cmp_gt_i64_e32 vcc_lo, s[8:9], v[61:62]
	s_mov_b32 s0, 0
	s_delay_alu instid0(SALU_CYCLE_1)
	v_mov_b32_e32 v138, s0
	v_cndmask_b32_e64 v137, 0, 1, vcc_lo
.LBB683_485:
	s_or_b32 exec_lo, exec_lo, s23
.LBB683_486:
	s_delay_alu instid0(SALU_CYCLE_1) | instskip(SKIP_3) | instid1(VALU_DEP_2)
	s_or_b32 exec_lo, exec_lo, s22
	v_dual_mov_b32 v140, v38 :: v_dual_add_nc_u32 v57, 14, v64
	v_mov_b32_e32 v139, v37
	s_mov_b32 s22, exec_lo
	v_cmpx_gt_u32_e64 s3, v57
	s_cbranch_execz .LBB683_497
; %bb.487:
	v_cmp_ne_u32_e32 vcc_lo, 1, v63
	s_cbranch_vccnz .LBB683_494
; %bb.488:
	v_mul_lo_u32 v61, v38, s8
	v_mul_lo_u32 v62, v37, s9
	v_mad_u64_u32 v[57:58], null, v37, s8, 0
	v_mul_lo_u32 v65, v36, s8
	v_mul_lo_u32 v66, v35, s9
	v_mad_u64_u32 v[59:60], null, v35, s8, 0
	v_mov_b32_e32 v139, 1
	v_mov_b32_e32 v140, 0
	v_add3_u32 v58, v58, v62, v61
	s_mov_b32 s23, exec_lo
	s_delay_alu instid0(VALU_DEP_4) | instskip(NEXT) | instid1(VALU_DEP_2)
	v_add3_u32 v60, v60, v66, v65
	v_lshlrev_b64 v[57:58], 1, v[57:58]
	s_delay_alu instid0(VALU_DEP_2) | instskip(NEXT) | instid1(VALU_DEP_2)
	v_lshlrev_b64 v[61:62], 1, v[59:60]
	v_add_co_u32 v59, vcc_lo, s10, v57
	s_delay_alu instid0(VALU_DEP_3) | instskip(NEXT) | instid1(VALU_DEP_3)
	v_add_co_ci_u32_e32 v60, vcc_lo, s11, v58, vcc_lo
	v_add_co_u32 v57, vcc_lo, s10, v61
	s_delay_alu instid0(VALU_DEP_4)
	v_add_co_ci_u32_e32 v58, vcc_lo, s11, v62, vcc_lo
	s_clause 0x1
	global_load_u16 v61, v[59:60], off
	global_load_u16 v62, v[57:58], off
	s_waitcnt vmcnt(0)
	v_cmpx_eq_u16_e64 v61, v62
	s_cbranch_execz .LBB683_496
; %bb.489:
	v_add_co_u32 v57, vcc_lo, v57, 2
	v_add_co_ci_u32_e32 v58, vcc_lo, 0, v58, vcc_lo
	v_add_co_u32 v59, vcc_lo, v59, 2
	v_add_co_ci_u32_e32 v60, vcc_lo, 0, v60, vcc_lo
	s_add_u32 s14, s8, -1
	s_addc_u32 s15, s9, -1
	s_mov_b64 s[20:21], 0
	s_mov_b32 s24, 0
                                        ; implicit-def: $sgpr25
	s_set_inst_prefetch_distance 0x1
	s_branch .LBB683_492
	.p2align	6
.LBB683_490:                            ;   in Loop: Header=BB683_492 Depth=1
	global_load_u16 v61, v[59:60], off
	global_load_u16 v62, v[57:58], off
	v_add_co_u32 v57, vcc_lo, v57, 2
	v_add_co_ci_u32_e32 v58, vcc_lo, 0, v58, vcc_lo
	v_add_co_u32 v59, s0, v59, 2
	s_delay_alu instid0(VALU_DEP_1)
	v_add_co_ci_u32_e64 v60, s0, 0, v60, s0
	s_add_u32 s20, s20, 1
	s_addc_u32 s21, s21, 0
	s_and_not1_b32 s0, s25, exec_lo
	s_waitcnt vmcnt(0)
	v_cmp_ne_u16_e32 vcc_lo, v61, v62
	s_and_b32 s25, vcc_lo, exec_lo
	s_delay_alu instid0(SALU_CYCLE_1)
	s_or_b32 s25, s0, s25
.LBB683_491:                            ;   in Loop: Header=BB683_492 Depth=1
	v_dual_mov_b32 v62, s21 :: v_dual_mov_b32 v61, s20
	s_and_b32 s0, exec_lo, s25
	s_delay_alu instid0(SALU_CYCLE_1) | instskip(NEXT) | instid1(SALU_CYCLE_1)
	s_or_b32 s24, s0, s24
	s_and_not1_b32 exec_lo, exec_lo, s24
	s_cbranch_execz .LBB683_495
.LBB683_492:                            ; =>This Inner Loop Header: Depth=1
	s_or_b32 s25, s25, exec_lo
	s_cmp_eq_u64 s[14:15], s[20:21]
	s_cbranch_scc0 .LBB683_490
; %bb.493:                              ;   in Loop: Header=BB683_492 Depth=1
	s_mov_b64 s[20:21], s[8:9]
                                        ; implicit-def: $vgpr57_vgpr58
                                        ; implicit-def: $vgpr59_vgpr60
	s_branch .LBB683_491
.LBB683_494:
	v_mov_b32_e32 v139, 0
	v_mov_b32_e32 v140, 0
	s_branch .LBB683_497
.LBB683_495:
	s_set_inst_prefetch_distance 0x2
	s_or_b32 exec_lo, exec_lo, s24
	v_cmp_gt_i64_e32 vcc_lo, s[8:9], v[61:62]
	s_mov_b32 s0, 0
	s_delay_alu instid0(SALU_CYCLE_1)
	v_mov_b32_e32 v140, s0
	v_cndmask_b32_e64 v139, 0, 1, vcc_lo
.LBB683_496:
	s_or_b32 exec_lo, exec_lo, s23
.LBB683_497:
	s_delay_alu instid0(SALU_CYCLE_1) | instskip(SKIP_3) | instid1(VALU_DEP_2)
	s_or_b32 exec_lo, exec_lo, s22
	v_dual_mov_b32 v142, v36 :: v_dual_add_nc_u32 v57, 13, v64
	v_mov_b32_e32 v141, v35
	s_mov_b32 s22, exec_lo
	v_cmpx_gt_u32_e64 s3, v57
	s_cbranch_execz .LBB683_508
; %bb.498:
	v_cmp_ne_u32_e32 vcc_lo, 1, v63
	s_cbranch_vccnz .LBB683_505
; %bb.499:
	v_mul_lo_u32 v61, v36, s8
	v_mul_lo_u32 v62, v35, s9
	v_mad_u64_u32 v[57:58], null, v35, s8, 0
	v_mul_lo_u32 v65, v34, s8
	v_mul_lo_u32 v66, v33, s9
	v_mad_u64_u32 v[59:60], null, v33, s8, 0
	v_mov_b32_e32 v141, 1
	v_mov_b32_e32 v142, 0
	v_add3_u32 v58, v58, v62, v61
	s_mov_b32 s23, exec_lo
	s_delay_alu instid0(VALU_DEP_4) | instskip(NEXT) | instid1(VALU_DEP_2)
	v_add3_u32 v60, v60, v66, v65
	v_lshlrev_b64 v[57:58], 1, v[57:58]
	s_delay_alu instid0(VALU_DEP_2) | instskip(NEXT) | instid1(VALU_DEP_2)
	v_lshlrev_b64 v[61:62], 1, v[59:60]
	v_add_co_u32 v59, vcc_lo, s10, v57
	s_delay_alu instid0(VALU_DEP_3) | instskip(NEXT) | instid1(VALU_DEP_3)
	v_add_co_ci_u32_e32 v60, vcc_lo, s11, v58, vcc_lo
	v_add_co_u32 v57, vcc_lo, s10, v61
	s_delay_alu instid0(VALU_DEP_4)
	v_add_co_ci_u32_e32 v58, vcc_lo, s11, v62, vcc_lo
	s_clause 0x1
	global_load_u16 v61, v[59:60], off
	global_load_u16 v62, v[57:58], off
	s_waitcnt vmcnt(0)
	v_cmpx_eq_u16_e64 v61, v62
	s_cbranch_execz .LBB683_507
; %bb.500:
	v_add_co_u32 v57, vcc_lo, v57, 2
	v_add_co_ci_u32_e32 v58, vcc_lo, 0, v58, vcc_lo
	v_add_co_u32 v59, vcc_lo, v59, 2
	v_add_co_ci_u32_e32 v60, vcc_lo, 0, v60, vcc_lo
	s_add_u32 s14, s8, -1
	s_addc_u32 s15, s9, -1
	s_mov_b64 s[20:21], 0
	s_mov_b32 s24, 0
                                        ; implicit-def: $sgpr25
	s_set_inst_prefetch_distance 0x1
	s_branch .LBB683_503
	.p2align	6
.LBB683_501:                            ;   in Loop: Header=BB683_503 Depth=1
	global_load_u16 v61, v[59:60], off
	global_load_u16 v62, v[57:58], off
	v_add_co_u32 v57, vcc_lo, v57, 2
	v_add_co_ci_u32_e32 v58, vcc_lo, 0, v58, vcc_lo
	v_add_co_u32 v59, s0, v59, 2
	s_delay_alu instid0(VALU_DEP_1)
	v_add_co_ci_u32_e64 v60, s0, 0, v60, s0
	s_add_u32 s20, s20, 1
	s_addc_u32 s21, s21, 0
	s_and_not1_b32 s0, s25, exec_lo
	s_waitcnt vmcnt(0)
	v_cmp_ne_u16_e32 vcc_lo, v61, v62
	s_and_b32 s25, vcc_lo, exec_lo
	s_delay_alu instid0(SALU_CYCLE_1)
	s_or_b32 s25, s0, s25
.LBB683_502:                            ;   in Loop: Header=BB683_503 Depth=1
	v_dual_mov_b32 v62, s21 :: v_dual_mov_b32 v61, s20
	s_and_b32 s0, exec_lo, s25
	s_delay_alu instid0(SALU_CYCLE_1) | instskip(NEXT) | instid1(SALU_CYCLE_1)
	s_or_b32 s24, s0, s24
	s_and_not1_b32 exec_lo, exec_lo, s24
	s_cbranch_execz .LBB683_506
.LBB683_503:                            ; =>This Inner Loop Header: Depth=1
	s_or_b32 s25, s25, exec_lo
	s_cmp_eq_u64 s[14:15], s[20:21]
	s_cbranch_scc0 .LBB683_501
; %bb.504:                              ;   in Loop: Header=BB683_503 Depth=1
	s_mov_b64 s[20:21], s[8:9]
                                        ; implicit-def: $vgpr57_vgpr58
                                        ; implicit-def: $vgpr59_vgpr60
	s_branch .LBB683_502
.LBB683_505:
	v_mov_b32_e32 v141, 0
	v_mov_b32_e32 v142, 0
	s_branch .LBB683_508
.LBB683_506:
	s_set_inst_prefetch_distance 0x2
	s_or_b32 exec_lo, exec_lo, s24
	v_cmp_gt_i64_e32 vcc_lo, s[8:9], v[61:62]
	s_mov_b32 s0, 0
	s_delay_alu instid0(SALU_CYCLE_1)
	v_mov_b32_e32 v142, s0
	v_cndmask_b32_e64 v141, 0, 1, vcc_lo
.LBB683_507:
	s_or_b32 exec_lo, exec_lo, s23
.LBB683_508:
	s_delay_alu instid0(SALU_CYCLE_1) | instskip(SKIP_3) | instid1(VALU_DEP_2)
	s_or_b32 exec_lo, exec_lo, s22
	v_dual_mov_b32 v144, v34 :: v_dual_add_nc_u32 v57, 12, v64
	v_mov_b32_e32 v143, v33
	s_mov_b32 s22, exec_lo
	v_cmpx_gt_u32_e64 s3, v57
	s_cbranch_execz .LBB683_519
; %bb.509:
	v_cmp_ne_u32_e32 vcc_lo, 1, v63
	s_cbranch_vccnz .LBB683_516
; %bb.510:
	v_mul_lo_u32 v61, v34, s8
	v_mul_lo_u32 v62, v33, s9
	v_mad_u64_u32 v[57:58], null, v33, s8, 0
	v_mul_lo_u32 v65, v32, s8
	v_mul_lo_u32 v66, v31, s9
	v_mad_u64_u32 v[59:60], null, v31, s8, 0
	v_mov_b32_e32 v143, 1
	v_mov_b32_e32 v144, 0
	v_add3_u32 v58, v58, v62, v61
	s_mov_b32 s23, exec_lo
	s_delay_alu instid0(VALU_DEP_4) | instskip(NEXT) | instid1(VALU_DEP_2)
	v_add3_u32 v60, v60, v66, v65
	v_lshlrev_b64 v[57:58], 1, v[57:58]
	s_delay_alu instid0(VALU_DEP_2) | instskip(NEXT) | instid1(VALU_DEP_2)
	v_lshlrev_b64 v[61:62], 1, v[59:60]
	v_add_co_u32 v59, vcc_lo, s10, v57
	s_delay_alu instid0(VALU_DEP_3) | instskip(NEXT) | instid1(VALU_DEP_3)
	v_add_co_ci_u32_e32 v60, vcc_lo, s11, v58, vcc_lo
	v_add_co_u32 v57, vcc_lo, s10, v61
	s_delay_alu instid0(VALU_DEP_4)
	v_add_co_ci_u32_e32 v58, vcc_lo, s11, v62, vcc_lo
	s_clause 0x1
	global_load_u16 v61, v[59:60], off
	global_load_u16 v62, v[57:58], off
	s_waitcnt vmcnt(0)
	v_cmpx_eq_u16_e64 v61, v62
	s_cbranch_execz .LBB683_518
; %bb.511:
	v_add_co_u32 v57, vcc_lo, v57, 2
	v_add_co_ci_u32_e32 v58, vcc_lo, 0, v58, vcc_lo
	v_add_co_u32 v59, vcc_lo, v59, 2
	v_add_co_ci_u32_e32 v60, vcc_lo, 0, v60, vcc_lo
	s_add_u32 s14, s8, -1
	s_addc_u32 s15, s9, -1
	s_mov_b64 s[20:21], 0
	s_mov_b32 s24, 0
                                        ; implicit-def: $sgpr25
	s_set_inst_prefetch_distance 0x1
	s_branch .LBB683_514
	.p2align	6
.LBB683_512:                            ;   in Loop: Header=BB683_514 Depth=1
	global_load_u16 v61, v[59:60], off
	global_load_u16 v62, v[57:58], off
	v_add_co_u32 v57, vcc_lo, v57, 2
	v_add_co_ci_u32_e32 v58, vcc_lo, 0, v58, vcc_lo
	v_add_co_u32 v59, s0, v59, 2
	s_delay_alu instid0(VALU_DEP_1)
	v_add_co_ci_u32_e64 v60, s0, 0, v60, s0
	s_add_u32 s20, s20, 1
	s_addc_u32 s21, s21, 0
	s_and_not1_b32 s0, s25, exec_lo
	s_waitcnt vmcnt(0)
	v_cmp_ne_u16_e32 vcc_lo, v61, v62
	s_and_b32 s25, vcc_lo, exec_lo
	s_delay_alu instid0(SALU_CYCLE_1)
	s_or_b32 s25, s0, s25
.LBB683_513:                            ;   in Loop: Header=BB683_514 Depth=1
	v_dual_mov_b32 v62, s21 :: v_dual_mov_b32 v61, s20
	s_and_b32 s0, exec_lo, s25
	s_delay_alu instid0(SALU_CYCLE_1) | instskip(NEXT) | instid1(SALU_CYCLE_1)
	s_or_b32 s24, s0, s24
	s_and_not1_b32 exec_lo, exec_lo, s24
	s_cbranch_execz .LBB683_517
.LBB683_514:                            ; =>This Inner Loop Header: Depth=1
	s_or_b32 s25, s25, exec_lo
	s_cmp_eq_u64 s[14:15], s[20:21]
	s_cbranch_scc0 .LBB683_512
; %bb.515:                              ;   in Loop: Header=BB683_514 Depth=1
	s_mov_b64 s[20:21], s[8:9]
                                        ; implicit-def: $vgpr57_vgpr58
                                        ; implicit-def: $vgpr59_vgpr60
	s_branch .LBB683_513
.LBB683_516:
	v_mov_b32_e32 v143, 0
	v_mov_b32_e32 v144, 0
	s_branch .LBB683_519
.LBB683_517:
	s_set_inst_prefetch_distance 0x2
	s_or_b32 exec_lo, exec_lo, s24
	v_cmp_gt_i64_e32 vcc_lo, s[8:9], v[61:62]
	s_mov_b32 s0, 0
	s_delay_alu instid0(SALU_CYCLE_1)
	v_mov_b32_e32 v144, s0
	v_cndmask_b32_e64 v143, 0, 1, vcc_lo
.LBB683_518:
	s_or_b32 exec_lo, exec_lo, s23
.LBB683_519:
	s_delay_alu instid0(SALU_CYCLE_1) | instskip(SKIP_3) | instid1(VALU_DEP_2)
	s_or_b32 exec_lo, exec_lo, s22
	v_dual_mov_b32 v146, v32 :: v_dual_add_nc_u32 v57, 11, v64
	v_mov_b32_e32 v145, v31
	s_mov_b32 s22, exec_lo
	v_cmpx_gt_u32_e64 s3, v57
	s_cbranch_execz .LBB683_530
; %bb.520:
	v_cmp_ne_u32_e32 vcc_lo, 1, v63
	s_cbranch_vccnz .LBB683_527
; %bb.521:
	v_mul_lo_u32 v61, v32, s8
	v_mul_lo_u32 v62, v31, s9
	v_mad_u64_u32 v[57:58], null, v31, s8, 0
	v_mul_lo_u32 v65, v30, s8
	v_mul_lo_u32 v66, v29, s9
	v_mad_u64_u32 v[59:60], null, v29, s8, 0
	v_mov_b32_e32 v145, 1
	v_mov_b32_e32 v146, 0
	v_add3_u32 v58, v58, v62, v61
	s_mov_b32 s23, exec_lo
	s_delay_alu instid0(VALU_DEP_4) | instskip(NEXT) | instid1(VALU_DEP_2)
	v_add3_u32 v60, v60, v66, v65
	v_lshlrev_b64 v[57:58], 1, v[57:58]
	s_delay_alu instid0(VALU_DEP_2) | instskip(NEXT) | instid1(VALU_DEP_2)
	v_lshlrev_b64 v[61:62], 1, v[59:60]
	v_add_co_u32 v59, vcc_lo, s10, v57
	s_delay_alu instid0(VALU_DEP_3) | instskip(NEXT) | instid1(VALU_DEP_3)
	v_add_co_ci_u32_e32 v60, vcc_lo, s11, v58, vcc_lo
	v_add_co_u32 v57, vcc_lo, s10, v61
	s_delay_alu instid0(VALU_DEP_4)
	v_add_co_ci_u32_e32 v58, vcc_lo, s11, v62, vcc_lo
	s_clause 0x1
	global_load_u16 v61, v[59:60], off
	global_load_u16 v62, v[57:58], off
	s_waitcnt vmcnt(0)
	v_cmpx_eq_u16_e64 v61, v62
	s_cbranch_execz .LBB683_529
; %bb.522:
	v_add_co_u32 v57, vcc_lo, v57, 2
	v_add_co_ci_u32_e32 v58, vcc_lo, 0, v58, vcc_lo
	v_add_co_u32 v59, vcc_lo, v59, 2
	v_add_co_ci_u32_e32 v60, vcc_lo, 0, v60, vcc_lo
	s_add_u32 s14, s8, -1
	s_addc_u32 s15, s9, -1
	s_mov_b64 s[20:21], 0
	s_mov_b32 s24, 0
                                        ; implicit-def: $sgpr25
	s_set_inst_prefetch_distance 0x1
	s_branch .LBB683_525
	.p2align	6
.LBB683_523:                            ;   in Loop: Header=BB683_525 Depth=1
	global_load_u16 v61, v[59:60], off
	global_load_u16 v62, v[57:58], off
	v_add_co_u32 v57, vcc_lo, v57, 2
	v_add_co_ci_u32_e32 v58, vcc_lo, 0, v58, vcc_lo
	v_add_co_u32 v59, s0, v59, 2
	s_delay_alu instid0(VALU_DEP_1)
	v_add_co_ci_u32_e64 v60, s0, 0, v60, s0
	s_add_u32 s20, s20, 1
	s_addc_u32 s21, s21, 0
	s_and_not1_b32 s0, s25, exec_lo
	s_waitcnt vmcnt(0)
	v_cmp_ne_u16_e32 vcc_lo, v61, v62
	s_and_b32 s25, vcc_lo, exec_lo
	s_delay_alu instid0(SALU_CYCLE_1)
	s_or_b32 s25, s0, s25
.LBB683_524:                            ;   in Loop: Header=BB683_525 Depth=1
	v_dual_mov_b32 v62, s21 :: v_dual_mov_b32 v61, s20
	s_and_b32 s0, exec_lo, s25
	s_delay_alu instid0(SALU_CYCLE_1) | instskip(NEXT) | instid1(SALU_CYCLE_1)
	s_or_b32 s24, s0, s24
	s_and_not1_b32 exec_lo, exec_lo, s24
	s_cbranch_execz .LBB683_528
.LBB683_525:                            ; =>This Inner Loop Header: Depth=1
	s_or_b32 s25, s25, exec_lo
	s_cmp_eq_u64 s[14:15], s[20:21]
	s_cbranch_scc0 .LBB683_523
; %bb.526:                              ;   in Loop: Header=BB683_525 Depth=1
	s_mov_b64 s[20:21], s[8:9]
                                        ; implicit-def: $vgpr57_vgpr58
                                        ; implicit-def: $vgpr59_vgpr60
	s_branch .LBB683_524
.LBB683_527:
	v_mov_b32_e32 v145, 0
	v_mov_b32_e32 v146, 0
	s_branch .LBB683_530
.LBB683_528:
	s_set_inst_prefetch_distance 0x2
	s_or_b32 exec_lo, exec_lo, s24
	v_cmp_gt_i64_e32 vcc_lo, s[8:9], v[61:62]
	s_mov_b32 s0, 0
	s_delay_alu instid0(SALU_CYCLE_1)
	v_mov_b32_e32 v146, s0
	v_cndmask_b32_e64 v145, 0, 1, vcc_lo
.LBB683_529:
	s_or_b32 exec_lo, exec_lo, s23
.LBB683_530:
	s_delay_alu instid0(SALU_CYCLE_1) | instskip(SKIP_3) | instid1(VALU_DEP_2)
	s_or_b32 exec_lo, exec_lo, s22
	v_dual_mov_b32 v148, v30 :: v_dual_add_nc_u32 v57, 10, v64
	v_mov_b32_e32 v147, v29
	s_mov_b32 s22, exec_lo
	v_cmpx_gt_u32_e64 s3, v57
	s_cbranch_execz .LBB683_541
; %bb.531:
	v_cmp_ne_u32_e32 vcc_lo, 1, v63
	s_cbranch_vccnz .LBB683_538
; %bb.532:
	v_mul_lo_u32 v61, v30, s8
	v_mul_lo_u32 v62, v29, s9
	v_mad_u64_u32 v[57:58], null, v29, s8, 0
	v_mul_lo_u32 v65, v28, s8
	v_mul_lo_u32 v66, v27, s9
	v_mad_u64_u32 v[59:60], null, v27, s8, 0
	v_mov_b32_e32 v147, 1
	v_mov_b32_e32 v148, 0
	v_add3_u32 v58, v58, v62, v61
	s_mov_b32 s23, exec_lo
	s_delay_alu instid0(VALU_DEP_4) | instskip(NEXT) | instid1(VALU_DEP_2)
	v_add3_u32 v60, v60, v66, v65
	v_lshlrev_b64 v[57:58], 1, v[57:58]
	s_delay_alu instid0(VALU_DEP_2) | instskip(NEXT) | instid1(VALU_DEP_2)
	v_lshlrev_b64 v[61:62], 1, v[59:60]
	v_add_co_u32 v59, vcc_lo, s10, v57
	s_delay_alu instid0(VALU_DEP_3) | instskip(NEXT) | instid1(VALU_DEP_3)
	v_add_co_ci_u32_e32 v60, vcc_lo, s11, v58, vcc_lo
	v_add_co_u32 v57, vcc_lo, s10, v61
	s_delay_alu instid0(VALU_DEP_4)
	v_add_co_ci_u32_e32 v58, vcc_lo, s11, v62, vcc_lo
	s_clause 0x1
	global_load_u16 v61, v[59:60], off
	global_load_u16 v62, v[57:58], off
	s_waitcnt vmcnt(0)
	v_cmpx_eq_u16_e64 v61, v62
	s_cbranch_execz .LBB683_540
; %bb.533:
	v_add_co_u32 v57, vcc_lo, v57, 2
	v_add_co_ci_u32_e32 v58, vcc_lo, 0, v58, vcc_lo
	v_add_co_u32 v59, vcc_lo, v59, 2
	v_add_co_ci_u32_e32 v60, vcc_lo, 0, v60, vcc_lo
	s_add_u32 s14, s8, -1
	s_addc_u32 s15, s9, -1
	s_mov_b64 s[20:21], 0
	s_mov_b32 s24, 0
                                        ; implicit-def: $sgpr25
	s_set_inst_prefetch_distance 0x1
	s_branch .LBB683_536
	.p2align	6
.LBB683_534:                            ;   in Loop: Header=BB683_536 Depth=1
	global_load_u16 v61, v[59:60], off
	global_load_u16 v62, v[57:58], off
	v_add_co_u32 v57, vcc_lo, v57, 2
	v_add_co_ci_u32_e32 v58, vcc_lo, 0, v58, vcc_lo
	v_add_co_u32 v59, s0, v59, 2
	s_delay_alu instid0(VALU_DEP_1)
	v_add_co_ci_u32_e64 v60, s0, 0, v60, s0
	s_add_u32 s20, s20, 1
	s_addc_u32 s21, s21, 0
	s_and_not1_b32 s0, s25, exec_lo
	s_waitcnt vmcnt(0)
	v_cmp_ne_u16_e32 vcc_lo, v61, v62
	s_and_b32 s25, vcc_lo, exec_lo
	s_delay_alu instid0(SALU_CYCLE_1)
	s_or_b32 s25, s0, s25
.LBB683_535:                            ;   in Loop: Header=BB683_536 Depth=1
	v_dual_mov_b32 v62, s21 :: v_dual_mov_b32 v61, s20
	s_and_b32 s0, exec_lo, s25
	s_delay_alu instid0(SALU_CYCLE_1) | instskip(NEXT) | instid1(SALU_CYCLE_1)
	s_or_b32 s24, s0, s24
	s_and_not1_b32 exec_lo, exec_lo, s24
	s_cbranch_execz .LBB683_539
.LBB683_536:                            ; =>This Inner Loop Header: Depth=1
	s_or_b32 s25, s25, exec_lo
	s_cmp_eq_u64 s[14:15], s[20:21]
	s_cbranch_scc0 .LBB683_534
; %bb.537:                              ;   in Loop: Header=BB683_536 Depth=1
	s_mov_b64 s[20:21], s[8:9]
                                        ; implicit-def: $vgpr57_vgpr58
                                        ; implicit-def: $vgpr59_vgpr60
	s_branch .LBB683_535
.LBB683_538:
	v_mov_b32_e32 v147, 0
	v_mov_b32_e32 v148, 0
	s_branch .LBB683_541
.LBB683_539:
	s_set_inst_prefetch_distance 0x2
	s_or_b32 exec_lo, exec_lo, s24
	v_cmp_gt_i64_e32 vcc_lo, s[8:9], v[61:62]
	s_mov_b32 s0, 0
	s_delay_alu instid0(SALU_CYCLE_1)
	v_mov_b32_e32 v148, s0
	v_cndmask_b32_e64 v147, 0, 1, vcc_lo
.LBB683_540:
	s_or_b32 exec_lo, exec_lo, s23
.LBB683_541:
	s_delay_alu instid0(SALU_CYCLE_1) | instskip(SKIP_3) | instid1(VALU_DEP_2)
	s_or_b32 exec_lo, exec_lo, s22
	v_dual_mov_b32 v150, v28 :: v_dual_add_nc_u32 v57, 9, v64
	v_mov_b32_e32 v149, v27
	s_mov_b32 s22, exec_lo
	v_cmpx_gt_u32_e64 s3, v57
	s_cbranch_execz .LBB683_552
; %bb.542:
	v_cmp_ne_u32_e32 vcc_lo, 1, v63
	s_cbranch_vccnz .LBB683_549
; %bb.543:
	v_mul_lo_u32 v61, v28, s8
	v_mul_lo_u32 v62, v27, s9
	v_mad_u64_u32 v[57:58], null, v27, s8, 0
	v_mul_lo_u32 v65, v26, s8
	v_mul_lo_u32 v66, v25, s9
	v_mad_u64_u32 v[59:60], null, v25, s8, 0
	v_mov_b32_e32 v149, 1
	v_mov_b32_e32 v150, 0
	v_add3_u32 v58, v58, v62, v61
	s_mov_b32 s23, exec_lo
	s_delay_alu instid0(VALU_DEP_4) | instskip(NEXT) | instid1(VALU_DEP_2)
	v_add3_u32 v60, v60, v66, v65
	v_lshlrev_b64 v[57:58], 1, v[57:58]
	s_delay_alu instid0(VALU_DEP_2) | instskip(NEXT) | instid1(VALU_DEP_2)
	v_lshlrev_b64 v[61:62], 1, v[59:60]
	v_add_co_u32 v59, vcc_lo, s10, v57
	s_delay_alu instid0(VALU_DEP_3) | instskip(NEXT) | instid1(VALU_DEP_3)
	v_add_co_ci_u32_e32 v60, vcc_lo, s11, v58, vcc_lo
	v_add_co_u32 v57, vcc_lo, s10, v61
	s_delay_alu instid0(VALU_DEP_4)
	v_add_co_ci_u32_e32 v58, vcc_lo, s11, v62, vcc_lo
	s_clause 0x1
	global_load_u16 v61, v[59:60], off
	global_load_u16 v62, v[57:58], off
	s_waitcnt vmcnt(0)
	v_cmpx_eq_u16_e64 v61, v62
	s_cbranch_execz .LBB683_551
; %bb.544:
	v_add_co_u32 v57, vcc_lo, v57, 2
	v_add_co_ci_u32_e32 v58, vcc_lo, 0, v58, vcc_lo
	v_add_co_u32 v59, vcc_lo, v59, 2
	v_add_co_ci_u32_e32 v60, vcc_lo, 0, v60, vcc_lo
	s_add_u32 s14, s8, -1
	s_addc_u32 s15, s9, -1
	s_mov_b64 s[20:21], 0
	s_mov_b32 s24, 0
                                        ; implicit-def: $sgpr25
	s_set_inst_prefetch_distance 0x1
	s_branch .LBB683_547
	.p2align	6
.LBB683_545:                            ;   in Loop: Header=BB683_547 Depth=1
	global_load_u16 v61, v[59:60], off
	global_load_u16 v62, v[57:58], off
	v_add_co_u32 v57, vcc_lo, v57, 2
	v_add_co_ci_u32_e32 v58, vcc_lo, 0, v58, vcc_lo
	v_add_co_u32 v59, s0, v59, 2
	s_delay_alu instid0(VALU_DEP_1)
	v_add_co_ci_u32_e64 v60, s0, 0, v60, s0
	s_add_u32 s20, s20, 1
	s_addc_u32 s21, s21, 0
	s_and_not1_b32 s0, s25, exec_lo
	s_waitcnt vmcnt(0)
	v_cmp_ne_u16_e32 vcc_lo, v61, v62
	s_and_b32 s25, vcc_lo, exec_lo
	s_delay_alu instid0(SALU_CYCLE_1)
	s_or_b32 s25, s0, s25
.LBB683_546:                            ;   in Loop: Header=BB683_547 Depth=1
	v_dual_mov_b32 v62, s21 :: v_dual_mov_b32 v61, s20
	s_and_b32 s0, exec_lo, s25
	s_delay_alu instid0(SALU_CYCLE_1) | instskip(NEXT) | instid1(SALU_CYCLE_1)
	s_or_b32 s24, s0, s24
	s_and_not1_b32 exec_lo, exec_lo, s24
	s_cbranch_execz .LBB683_550
.LBB683_547:                            ; =>This Inner Loop Header: Depth=1
	s_or_b32 s25, s25, exec_lo
	s_cmp_eq_u64 s[14:15], s[20:21]
	s_cbranch_scc0 .LBB683_545
; %bb.548:                              ;   in Loop: Header=BB683_547 Depth=1
	s_mov_b64 s[20:21], s[8:9]
                                        ; implicit-def: $vgpr57_vgpr58
                                        ; implicit-def: $vgpr59_vgpr60
	s_branch .LBB683_546
.LBB683_549:
	v_mov_b32_e32 v149, 0
	v_mov_b32_e32 v150, 0
	s_branch .LBB683_552
.LBB683_550:
	s_set_inst_prefetch_distance 0x2
	s_or_b32 exec_lo, exec_lo, s24
	v_cmp_gt_i64_e32 vcc_lo, s[8:9], v[61:62]
	s_mov_b32 s0, 0
	s_delay_alu instid0(SALU_CYCLE_1)
	v_mov_b32_e32 v150, s0
	v_cndmask_b32_e64 v149, 0, 1, vcc_lo
.LBB683_551:
	s_or_b32 exec_lo, exec_lo, s23
.LBB683_552:
	s_delay_alu instid0(SALU_CYCLE_1) | instskip(SKIP_3) | instid1(VALU_DEP_2)
	s_or_b32 exec_lo, exec_lo, s22
	v_dual_mov_b32 v152, v26 :: v_dual_add_nc_u32 v57, 8, v64
	v_mov_b32_e32 v151, v25
	s_mov_b32 s22, exec_lo
	v_cmpx_gt_u32_e64 s3, v57
	s_cbranch_execz .LBB683_563
; %bb.553:
	v_cmp_ne_u32_e32 vcc_lo, 1, v63
	s_cbranch_vccnz .LBB683_560
; %bb.554:
	v_mul_lo_u32 v61, v26, s8
	v_mul_lo_u32 v62, v25, s9
	v_mad_u64_u32 v[57:58], null, v25, s8, 0
	v_mul_lo_u32 v65, v24, s8
	v_mul_lo_u32 v66, v23, s9
	v_mad_u64_u32 v[59:60], null, v23, s8, 0
	v_mov_b32_e32 v151, 1
	v_mov_b32_e32 v152, 0
	v_add3_u32 v58, v58, v62, v61
	s_mov_b32 s23, exec_lo
	s_delay_alu instid0(VALU_DEP_4) | instskip(NEXT) | instid1(VALU_DEP_2)
	v_add3_u32 v60, v60, v66, v65
	v_lshlrev_b64 v[57:58], 1, v[57:58]
	s_delay_alu instid0(VALU_DEP_2) | instskip(NEXT) | instid1(VALU_DEP_2)
	v_lshlrev_b64 v[61:62], 1, v[59:60]
	v_add_co_u32 v59, vcc_lo, s10, v57
	s_delay_alu instid0(VALU_DEP_3) | instskip(NEXT) | instid1(VALU_DEP_3)
	v_add_co_ci_u32_e32 v60, vcc_lo, s11, v58, vcc_lo
	v_add_co_u32 v57, vcc_lo, s10, v61
	s_delay_alu instid0(VALU_DEP_4)
	v_add_co_ci_u32_e32 v58, vcc_lo, s11, v62, vcc_lo
	s_clause 0x1
	global_load_u16 v61, v[59:60], off
	global_load_u16 v62, v[57:58], off
	s_waitcnt vmcnt(0)
	v_cmpx_eq_u16_e64 v61, v62
	s_cbranch_execz .LBB683_562
; %bb.555:
	v_add_co_u32 v57, vcc_lo, v57, 2
	v_add_co_ci_u32_e32 v58, vcc_lo, 0, v58, vcc_lo
	v_add_co_u32 v59, vcc_lo, v59, 2
	v_add_co_ci_u32_e32 v60, vcc_lo, 0, v60, vcc_lo
	s_add_u32 s14, s8, -1
	s_addc_u32 s15, s9, -1
	s_mov_b64 s[20:21], 0
	s_mov_b32 s24, 0
                                        ; implicit-def: $sgpr25
	s_set_inst_prefetch_distance 0x1
	s_branch .LBB683_558
	.p2align	6
.LBB683_556:                            ;   in Loop: Header=BB683_558 Depth=1
	global_load_u16 v61, v[59:60], off
	global_load_u16 v62, v[57:58], off
	v_add_co_u32 v57, vcc_lo, v57, 2
	v_add_co_ci_u32_e32 v58, vcc_lo, 0, v58, vcc_lo
	v_add_co_u32 v59, s0, v59, 2
	s_delay_alu instid0(VALU_DEP_1)
	v_add_co_ci_u32_e64 v60, s0, 0, v60, s0
	s_add_u32 s20, s20, 1
	s_addc_u32 s21, s21, 0
	s_and_not1_b32 s0, s25, exec_lo
	s_waitcnt vmcnt(0)
	v_cmp_ne_u16_e32 vcc_lo, v61, v62
	s_and_b32 s25, vcc_lo, exec_lo
	s_delay_alu instid0(SALU_CYCLE_1)
	s_or_b32 s25, s0, s25
.LBB683_557:                            ;   in Loop: Header=BB683_558 Depth=1
	v_dual_mov_b32 v62, s21 :: v_dual_mov_b32 v61, s20
	s_and_b32 s0, exec_lo, s25
	s_delay_alu instid0(SALU_CYCLE_1) | instskip(NEXT) | instid1(SALU_CYCLE_1)
	s_or_b32 s24, s0, s24
	s_and_not1_b32 exec_lo, exec_lo, s24
	s_cbranch_execz .LBB683_561
.LBB683_558:                            ; =>This Inner Loop Header: Depth=1
	s_or_b32 s25, s25, exec_lo
	s_cmp_eq_u64 s[14:15], s[20:21]
	s_cbranch_scc0 .LBB683_556
; %bb.559:                              ;   in Loop: Header=BB683_558 Depth=1
	s_mov_b64 s[20:21], s[8:9]
                                        ; implicit-def: $vgpr57_vgpr58
                                        ; implicit-def: $vgpr59_vgpr60
	s_branch .LBB683_557
.LBB683_560:
	v_mov_b32_e32 v151, 0
	v_mov_b32_e32 v152, 0
	s_branch .LBB683_563
.LBB683_561:
	s_set_inst_prefetch_distance 0x2
	s_or_b32 exec_lo, exec_lo, s24
	v_cmp_gt_i64_e32 vcc_lo, s[8:9], v[61:62]
	s_mov_b32 s0, 0
	s_delay_alu instid0(SALU_CYCLE_1)
	v_mov_b32_e32 v152, s0
	v_cndmask_b32_e64 v151, 0, 1, vcc_lo
.LBB683_562:
	s_or_b32 exec_lo, exec_lo, s23
.LBB683_563:
	s_delay_alu instid0(SALU_CYCLE_1) | instskip(SKIP_3) | instid1(VALU_DEP_2)
	s_or_b32 exec_lo, exec_lo, s22
	v_dual_mov_b32 v154, v24 :: v_dual_add_nc_u32 v57, 7, v64
	v_mov_b32_e32 v153, v23
	s_mov_b32 s22, exec_lo
	v_cmpx_gt_u32_e64 s3, v57
	s_cbranch_execz .LBB683_574
; %bb.564:
	v_cmp_ne_u32_e32 vcc_lo, 1, v63
	s_cbranch_vccnz .LBB683_571
; %bb.565:
	v_mul_lo_u32 v61, v24, s8
	v_mul_lo_u32 v62, v23, s9
	v_mad_u64_u32 v[57:58], null, v23, s8, 0
	v_mul_lo_u32 v65, v22, s8
	v_mul_lo_u32 v66, v21, s9
	v_mad_u64_u32 v[59:60], null, v21, s8, 0
	v_mov_b32_e32 v153, 1
	v_mov_b32_e32 v154, 0
	v_add3_u32 v58, v58, v62, v61
	s_mov_b32 s23, exec_lo
	s_delay_alu instid0(VALU_DEP_4) | instskip(NEXT) | instid1(VALU_DEP_2)
	v_add3_u32 v60, v60, v66, v65
	v_lshlrev_b64 v[57:58], 1, v[57:58]
	s_delay_alu instid0(VALU_DEP_2) | instskip(NEXT) | instid1(VALU_DEP_2)
	v_lshlrev_b64 v[61:62], 1, v[59:60]
	v_add_co_u32 v59, vcc_lo, s10, v57
	s_delay_alu instid0(VALU_DEP_3) | instskip(NEXT) | instid1(VALU_DEP_3)
	v_add_co_ci_u32_e32 v60, vcc_lo, s11, v58, vcc_lo
	v_add_co_u32 v57, vcc_lo, s10, v61
	s_delay_alu instid0(VALU_DEP_4)
	v_add_co_ci_u32_e32 v58, vcc_lo, s11, v62, vcc_lo
	s_clause 0x1
	global_load_u16 v61, v[59:60], off
	global_load_u16 v62, v[57:58], off
	s_waitcnt vmcnt(0)
	v_cmpx_eq_u16_e64 v61, v62
	s_cbranch_execz .LBB683_573
; %bb.566:
	v_add_co_u32 v57, vcc_lo, v57, 2
	v_add_co_ci_u32_e32 v58, vcc_lo, 0, v58, vcc_lo
	v_add_co_u32 v59, vcc_lo, v59, 2
	v_add_co_ci_u32_e32 v60, vcc_lo, 0, v60, vcc_lo
	s_add_u32 s14, s8, -1
	s_addc_u32 s15, s9, -1
	s_mov_b64 s[20:21], 0
	s_mov_b32 s24, 0
                                        ; implicit-def: $sgpr25
	s_set_inst_prefetch_distance 0x1
	s_branch .LBB683_569
	.p2align	6
.LBB683_567:                            ;   in Loop: Header=BB683_569 Depth=1
	global_load_u16 v61, v[59:60], off
	global_load_u16 v62, v[57:58], off
	v_add_co_u32 v57, vcc_lo, v57, 2
	v_add_co_ci_u32_e32 v58, vcc_lo, 0, v58, vcc_lo
	v_add_co_u32 v59, s0, v59, 2
	s_delay_alu instid0(VALU_DEP_1)
	v_add_co_ci_u32_e64 v60, s0, 0, v60, s0
	s_add_u32 s20, s20, 1
	s_addc_u32 s21, s21, 0
	s_and_not1_b32 s0, s25, exec_lo
	s_waitcnt vmcnt(0)
	v_cmp_ne_u16_e32 vcc_lo, v61, v62
	s_and_b32 s25, vcc_lo, exec_lo
	s_delay_alu instid0(SALU_CYCLE_1)
	s_or_b32 s25, s0, s25
.LBB683_568:                            ;   in Loop: Header=BB683_569 Depth=1
	v_dual_mov_b32 v62, s21 :: v_dual_mov_b32 v61, s20
	s_and_b32 s0, exec_lo, s25
	s_delay_alu instid0(SALU_CYCLE_1) | instskip(NEXT) | instid1(SALU_CYCLE_1)
	s_or_b32 s24, s0, s24
	s_and_not1_b32 exec_lo, exec_lo, s24
	s_cbranch_execz .LBB683_572
.LBB683_569:                            ; =>This Inner Loop Header: Depth=1
	s_or_b32 s25, s25, exec_lo
	s_cmp_eq_u64 s[14:15], s[20:21]
	s_cbranch_scc0 .LBB683_567
; %bb.570:                              ;   in Loop: Header=BB683_569 Depth=1
	s_mov_b64 s[20:21], s[8:9]
                                        ; implicit-def: $vgpr57_vgpr58
                                        ; implicit-def: $vgpr59_vgpr60
	s_branch .LBB683_568
.LBB683_571:
	v_mov_b32_e32 v153, 0
	v_mov_b32_e32 v154, 0
	s_branch .LBB683_574
.LBB683_572:
	s_set_inst_prefetch_distance 0x2
	s_or_b32 exec_lo, exec_lo, s24
	v_cmp_gt_i64_e32 vcc_lo, s[8:9], v[61:62]
	s_mov_b32 s0, 0
	s_delay_alu instid0(SALU_CYCLE_1)
	v_mov_b32_e32 v154, s0
	v_cndmask_b32_e64 v153, 0, 1, vcc_lo
.LBB683_573:
	s_or_b32 exec_lo, exec_lo, s23
.LBB683_574:
	s_delay_alu instid0(SALU_CYCLE_1) | instskip(SKIP_3) | instid1(VALU_DEP_2)
	s_or_b32 exec_lo, exec_lo, s22
	v_dual_mov_b32 v156, v22 :: v_dual_add_nc_u32 v57, 6, v64
	v_mov_b32_e32 v155, v21
	s_mov_b32 s22, exec_lo
	v_cmpx_gt_u32_e64 s3, v57
	s_cbranch_execz .LBB683_585
; %bb.575:
	v_cmp_ne_u32_e32 vcc_lo, 1, v63
	s_cbranch_vccnz .LBB683_582
; %bb.576:
	v_mul_lo_u32 v61, v22, s8
	v_mul_lo_u32 v62, v21, s9
	v_mad_u64_u32 v[57:58], null, v21, s8, 0
	v_mul_lo_u32 v65, v20, s8
	v_mul_lo_u32 v66, v19, s9
	v_mad_u64_u32 v[59:60], null, v19, s8, 0
	v_mov_b32_e32 v155, 1
	v_mov_b32_e32 v156, 0
	v_add3_u32 v58, v58, v62, v61
	s_mov_b32 s23, exec_lo
	s_delay_alu instid0(VALU_DEP_4) | instskip(NEXT) | instid1(VALU_DEP_2)
	v_add3_u32 v60, v60, v66, v65
	v_lshlrev_b64 v[57:58], 1, v[57:58]
	s_delay_alu instid0(VALU_DEP_2) | instskip(NEXT) | instid1(VALU_DEP_2)
	v_lshlrev_b64 v[61:62], 1, v[59:60]
	v_add_co_u32 v59, vcc_lo, s10, v57
	s_delay_alu instid0(VALU_DEP_3) | instskip(NEXT) | instid1(VALU_DEP_3)
	v_add_co_ci_u32_e32 v60, vcc_lo, s11, v58, vcc_lo
	v_add_co_u32 v57, vcc_lo, s10, v61
	s_delay_alu instid0(VALU_DEP_4)
	v_add_co_ci_u32_e32 v58, vcc_lo, s11, v62, vcc_lo
	s_clause 0x1
	global_load_u16 v61, v[59:60], off
	global_load_u16 v62, v[57:58], off
	s_waitcnt vmcnt(0)
	v_cmpx_eq_u16_e64 v61, v62
	s_cbranch_execz .LBB683_584
; %bb.577:
	v_add_co_u32 v57, vcc_lo, v57, 2
	v_add_co_ci_u32_e32 v58, vcc_lo, 0, v58, vcc_lo
	v_add_co_u32 v59, vcc_lo, v59, 2
	v_add_co_ci_u32_e32 v60, vcc_lo, 0, v60, vcc_lo
	s_add_u32 s14, s8, -1
	s_addc_u32 s15, s9, -1
	s_mov_b64 s[20:21], 0
	s_mov_b32 s24, 0
                                        ; implicit-def: $sgpr25
	s_set_inst_prefetch_distance 0x1
	s_branch .LBB683_580
	.p2align	6
.LBB683_578:                            ;   in Loop: Header=BB683_580 Depth=1
	global_load_u16 v61, v[59:60], off
	global_load_u16 v62, v[57:58], off
	v_add_co_u32 v57, vcc_lo, v57, 2
	v_add_co_ci_u32_e32 v58, vcc_lo, 0, v58, vcc_lo
	v_add_co_u32 v59, s0, v59, 2
	s_delay_alu instid0(VALU_DEP_1)
	v_add_co_ci_u32_e64 v60, s0, 0, v60, s0
	s_add_u32 s20, s20, 1
	s_addc_u32 s21, s21, 0
	s_and_not1_b32 s0, s25, exec_lo
	s_waitcnt vmcnt(0)
	v_cmp_ne_u16_e32 vcc_lo, v61, v62
	s_and_b32 s25, vcc_lo, exec_lo
	s_delay_alu instid0(SALU_CYCLE_1)
	s_or_b32 s25, s0, s25
.LBB683_579:                            ;   in Loop: Header=BB683_580 Depth=1
	v_dual_mov_b32 v62, s21 :: v_dual_mov_b32 v61, s20
	s_and_b32 s0, exec_lo, s25
	s_delay_alu instid0(SALU_CYCLE_1) | instskip(NEXT) | instid1(SALU_CYCLE_1)
	s_or_b32 s24, s0, s24
	s_and_not1_b32 exec_lo, exec_lo, s24
	s_cbranch_execz .LBB683_583
.LBB683_580:                            ; =>This Inner Loop Header: Depth=1
	s_or_b32 s25, s25, exec_lo
	s_cmp_eq_u64 s[14:15], s[20:21]
	s_cbranch_scc0 .LBB683_578
; %bb.581:                              ;   in Loop: Header=BB683_580 Depth=1
	s_mov_b64 s[20:21], s[8:9]
                                        ; implicit-def: $vgpr57_vgpr58
                                        ; implicit-def: $vgpr59_vgpr60
	s_branch .LBB683_579
.LBB683_582:
	v_mov_b32_e32 v155, 0
	v_mov_b32_e32 v156, 0
	s_branch .LBB683_585
.LBB683_583:
	s_set_inst_prefetch_distance 0x2
	s_or_b32 exec_lo, exec_lo, s24
	v_cmp_gt_i64_e32 vcc_lo, s[8:9], v[61:62]
	s_mov_b32 s0, 0
	s_delay_alu instid0(SALU_CYCLE_1)
	v_mov_b32_e32 v156, s0
	v_cndmask_b32_e64 v155, 0, 1, vcc_lo
.LBB683_584:
	s_or_b32 exec_lo, exec_lo, s23
.LBB683_585:
	s_delay_alu instid0(SALU_CYCLE_1) | instskip(SKIP_3) | instid1(VALU_DEP_2)
	s_or_b32 exec_lo, exec_lo, s22
	v_dual_mov_b32 v158, v20 :: v_dual_add_nc_u32 v57, 5, v64
	v_mov_b32_e32 v157, v19
	s_mov_b32 s22, exec_lo
	v_cmpx_gt_u32_e64 s3, v57
	s_cbranch_execz .LBB683_596
; %bb.586:
	v_cmp_ne_u32_e32 vcc_lo, 1, v63
	s_cbranch_vccnz .LBB683_593
; %bb.587:
	v_mul_lo_u32 v61, v20, s8
	v_mul_lo_u32 v62, v19, s9
	v_mad_u64_u32 v[57:58], null, v19, s8, 0
	v_mul_lo_u32 v65, v18, s8
	v_mul_lo_u32 v66, v17, s9
	v_mad_u64_u32 v[59:60], null, v17, s8, 0
	v_mov_b32_e32 v157, 1
	v_mov_b32_e32 v158, 0
	v_add3_u32 v58, v58, v62, v61
	s_mov_b32 s23, exec_lo
	s_delay_alu instid0(VALU_DEP_4) | instskip(NEXT) | instid1(VALU_DEP_2)
	v_add3_u32 v60, v60, v66, v65
	v_lshlrev_b64 v[57:58], 1, v[57:58]
	s_delay_alu instid0(VALU_DEP_2) | instskip(NEXT) | instid1(VALU_DEP_2)
	v_lshlrev_b64 v[61:62], 1, v[59:60]
	v_add_co_u32 v59, vcc_lo, s10, v57
	s_delay_alu instid0(VALU_DEP_3) | instskip(NEXT) | instid1(VALU_DEP_3)
	v_add_co_ci_u32_e32 v60, vcc_lo, s11, v58, vcc_lo
	v_add_co_u32 v57, vcc_lo, s10, v61
	s_delay_alu instid0(VALU_DEP_4)
	v_add_co_ci_u32_e32 v58, vcc_lo, s11, v62, vcc_lo
	s_clause 0x1
	global_load_u16 v61, v[59:60], off
	global_load_u16 v62, v[57:58], off
	s_waitcnt vmcnt(0)
	v_cmpx_eq_u16_e64 v61, v62
	s_cbranch_execz .LBB683_595
; %bb.588:
	v_add_co_u32 v57, vcc_lo, v57, 2
	v_add_co_ci_u32_e32 v58, vcc_lo, 0, v58, vcc_lo
	v_add_co_u32 v59, vcc_lo, v59, 2
	v_add_co_ci_u32_e32 v60, vcc_lo, 0, v60, vcc_lo
	s_add_u32 s14, s8, -1
	s_addc_u32 s15, s9, -1
	s_mov_b64 s[20:21], 0
	s_mov_b32 s24, 0
                                        ; implicit-def: $sgpr25
	s_set_inst_prefetch_distance 0x1
	s_branch .LBB683_591
	.p2align	6
.LBB683_589:                            ;   in Loop: Header=BB683_591 Depth=1
	global_load_u16 v61, v[59:60], off
	global_load_u16 v62, v[57:58], off
	v_add_co_u32 v57, vcc_lo, v57, 2
	v_add_co_ci_u32_e32 v58, vcc_lo, 0, v58, vcc_lo
	v_add_co_u32 v59, s0, v59, 2
	s_delay_alu instid0(VALU_DEP_1)
	v_add_co_ci_u32_e64 v60, s0, 0, v60, s0
	s_add_u32 s20, s20, 1
	s_addc_u32 s21, s21, 0
	s_and_not1_b32 s0, s25, exec_lo
	s_waitcnt vmcnt(0)
	v_cmp_ne_u16_e32 vcc_lo, v61, v62
	s_and_b32 s25, vcc_lo, exec_lo
	s_delay_alu instid0(SALU_CYCLE_1)
	s_or_b32 s25, s0, s25
.LBB683_590:                            ;   in Loop: Header=BB683_591 Depth=1
	v_dual_mov_b32 v62, s21 :: v_dual_mov_b32 v61, s20
	s_and_b32 s0, exec_lo, s25
	s_delay_alu instid0(SALU_CYCLE_1) | instskip(NEXT) | instid1(SALU_CYCLE_1)
	s_or_b32 s24, s0, s24
	s_and_not1_b32 exec_lo, exec_lo, s24
	s_cbranch_execz .LBB683_594
.LBB683_591:                            ; =>This Inner Loop Header: Depth=1
	s_or_b32 s25, s25, exec_lo
	s_cmp_eq_u64 s[14:15], s[20:21]
	s_cbranch_scc0 .LBB683_589
; %bb.592:                              ;   in Loop: Header=BB683_591 Depth=1
	s_mov_b64 s[20:21], s[8:9]
                                        ; implicit-def: $vgpr57_vgpr58
                                        ; implicit-def: $vgpr59_vgpr60
	s_branch .LBB683_590
.LBB683_593:
	v_mov_b32_e32 v157, 0
	v_mov_b32_e32 v158, 0
	s_branch .LBB683_596
.LBB683_594:
	s_set_inst_prefetch_distance 0x2
	s_or_b32 exec_lo, exec_lo, s24
	v_cmp_gt_i64_e32 vcc_lo, s[8:9], v[61:62]
	s_mov_b32 s0, 0
	s_delay_alu instid0(SALU_CYCLE_1)
	v_mov_b32_e32 v158, s0
	v_cndmask_b32_e64 v157, 0, 1, vcc_lo
.LBB683_595:
	s_or_b32 exec_lo, exec_lo, s23
.LBB683_596:
	s_delay_alu instid0(SALU_CYCLE_1) | instskip(SKIP_3) | instid1(VALU_DEP_2)
	s_or_b32 exec_lo, exec_lo, s22
	v_dual_mov_b32 v160, v18 :: v_dual_add_nc_u32 v57, 4, v64
	v_mov_b32_e32 v159, v17
	s_mov_b32 s22, exec_lo
	v_cmpx_gt_u32_e64 s3, v57
	s_cbranch_execz .LBB683_607
; %bb.597:
	v_cmp_ne_u32_e32 vcc_lo, 1, v63
	s_cbranch_vccnz .LBB683_604
; %bb.598:
	v_mul_lo_u32 v61, v18, s8
	v_mul_lo_u32 v62, v17, s9
	v_mad_u64_u32 v[57:58], null, v17, s8, 0
	v_mul_lo_u32 v65, v16, s8
	v_mul_lo_u32 v66, v15, s9
	v_mad_u64_u32 v[59:60], null, v15, s8, 0
	v_mov_b32_e32 v159, 1
	v_mov_b32_e32 v160, 0
	v_add3_u32 v58, v58, v62, v61
	s_mov_b32 s23, exec_lo
	s_delay_alu instid0(VALU_DEP_4) | instskip(NEXT) | instid1(VALU_DEP_2)
	v_add3_u32 v60, v60, v66, v65
	v_lshlrev_b64 v[57:58], 1, v[57:58]
	s_delay_alu instid0(VALU_DEP_2) | instskip(NEXT) | instid1(VALU_DEP_2)
	v_lshlrev_b64 v[61:62], 1, v[59:60]
	v_add_co_u32 v59, vcc_lo, s10, v57
	s_delay_alu instid0(VALU_DEP_3) | instskip(NEXT) | instid1(VALU_DEP_3)
	v_add_co_ci_u32_e32 v60, vcc_lo, s11, v58, vcc_lo
	v_add_co_u32 v57, vcc_lo, s10, v61
	s_delay_alu instid0(VALU_DEP_4)
	v_add_co_ci_u32_e32 v58, vcc_lo, s11, v62, vcc_lo
	s_clause 0x1
	global_load_u16 v61, v[59:60], off
	global_load_u16 v62, v[57:58], off
	s_waitcnt vmcnt(0)
	v_cmpx_eq_u16_e64 v61, v62
	s_cbranch_execz .LBB683_606
; %bb.599:
	v_add_co_u32 v57, vcc_lo, v57, 2
	v_add_co_ci_u32_e32 v58, vcc_lo, 0, v58, vcc_lo
	v_add_co_u32 v59, vcc_lo, v59, 2
	v_add_co_ci_u32_e32 v60, vcc_lo, 0, v60, vcc_lo
	s_add_u32 s14, s8, -1
	s_addc_u32 s15, s9, -1
	s_mov_b64 s[20:21], 0
	s_mov_b32 s24, 0
                                        ; implicit-def: $sgpr25
	s_set_inst_prefetch_distance 0x1
	s_branch .LBB683_602
	.p2align	6
.LBB683_600:                            ;   in Loop: Header=BB683_602 Depth=1
	global_load_u16 v61, v[59:60], off
	global_load_u16 v62, v[57:58], off
	v_add_co_u32 v57, vcc_lo, v57, 2
	v_add_co_ci_u32_e32 v58, vcc_lo, 0, v58, vcc_lo
	v_add_co_u32 v59, s0, v59, 2
	s_delay_alu instid0(VALU_DEP_1)
	v_add_co_ci_u32_e64 v60, s0, 0, v60, s0
	s_add_u32 s20, s20, 1
	s_addc_u32 s21, s21, 0
	s_and_not1_b32 s0, s25, exec_lo
	s_waitcnt vmcnt(0)
	v_cmp_ne_u16_e32 vcc_lo, v61, v62
	s_and_b32 s25, vcc_lo, exec_lo
	s_delay_alu instid0(SALU_CYCLE_1)
	s_or_b32 s25, s0, s25
.LBB683_601:                            ;   in Loop: Header=BB683_602 Depth=1
	v_dual_mov_b32 v62, s21 :: v_dual_mov_b32 v61, s20
	s_and_b32 s0, exec_lo, s25
	s_delay_alu instid0(SALU_CYCLE_1) | instskip(NEXT) | instid1(SALU_CYCLE_1)
	s_or_b32 s24, s0, s24
	s_and_not1_b32 exec_lo, exec_lo, s24
	s_cbranch_execz .LBB683_605
.LBB683_602:                            ; =>This Inner Loop Header: Depth=1
	s_or_b32 s25, s25, exec_lo
	s_cmp_eq_u64 s[14:15], s[20:21]
	s_cbranch_scc0 .LBB683_600
; %bb.603:                              ;   in Loop: Header=BB683_602 Depth=1
	s_mov_b64 s[20:21], s[8:9]
                                        ; implicit-def: $vgpr57_vgpr58
                                        ; implicit-def: $vgpr59_vgpr60
	s_branch .LBB683_601
.LBB683_604:
	v_mov_b32_e32 v159, 0
	v_mov_b32_e32 v160, 0
	s_branch .LBB683_607
.LBB683_605:
	s_set_inst_prefetch_distance 0x2
	s_or_b32 exec_lo, exec_lo, s24
	v_cmp_gt_i64_e32 vcc_lo, s[8:9], v[61:62]
	s_mov_b32 s0, 0
	s_delay_alu instid0(SALU_CYCLE_1)
	v_mov_b32_e32 v160, s0
	v_cndmask_b32_e64 v159, 0, 1, vcc_lo
.LBB683_606:
	s_or_b32 exec_lo, exec_lo, s23
.LBB683_607:
	s_delay_alu instid0(SALU_CYCLE_1) | instskip(SKIP_3) | instid1(VALU_DEP_2)
	s_or_b32 exec_lo, exec_lo, s22
	v_dual_mov_b32 v162, v16 :: v_dual_add_nc_u32 v57, 3, v64
	v_mov_b32_e32 v161, v15
	s_mov_b32 s22, exec_lo
	v_cmpx_gt_u32_e64 s3, v57
	s_cbranch_execz .LBB683_618
; %bb.608:
	v_cmp_ne_u32_e32 vcc_lo, 1, v63
	s_cbranch_vccnz .LBB683_615
; %bb.609:
	v_mul_lo_u32 v61, v16, s8
	v_mul_lo_u32 v62, v15, s9
	v_mad_u64_u32 v[57:58], null, v15, s8, 0
	v_mul_lo_u32 v65, v14, s8
	v_mul_lo_u32 v66, v13, s9
	v_mad_u64_u32 v[59:60], null, v13, s8, 0
	v_mov_b32_e32 v161, 1
	v_mov_b32_e32 v162, 0
	v_add3_u32 v58, v58, v62, v61
	s_mov_b32 s23, exec_lo
	s_delay_alu instid0(VALU_DEP_4) | instskip(NEXT) | instid1(VALU_DEP_2)
	v_add3_u32 v60, v60, v66, v65
	v_lshlrev_b64 v[57:58], 1, v[57:58]
	s_delay_alu instid0(VALU_DEP_2) | instskip(NEXT) | instid1(VALU_DEP_2)
	v_lshlrev_b64 v[61:62], 1, v[59:60]
	v_add_co_u32 v59, vcc_lo, s10, v57
	s_delay_alu instid0(VALU_DEP_3) | instskip(NEXT) | instid1(VALU_DEP_3)
	v_add_co_ci_u32_e32 v60, vcc_lo, s11, v58, vcc_lo
	v_add_co_u32 v57, vcc_lo, s10, v61
	s_delay_alu instid0(VALU_DEP_4)
	v_add_co_ci_u32_e32 v58, vcc_lo, s11, v62, vcc_lo
	s_clause 0x1
	global_load_u16 v61, v[59:60], off
	global_load_u16 v62, v[57:58], off
	s_waitcnt vmcnt(0)
	v_cmpx_eq_u16_e64 v61, v62
	s_cbranch_execz .LBB683_617
; %bb.610:
	v_add_co_u32 v57, vcc_lo, v57, 2
	v_add_co_ci_u32_e32 v58, vcc_lo, 0, v58, vcc_lo
	v_add_co_u32 v59, vcc_lo, v59, 2
	v_add_co_ci_u32_e32 v60, vcc_lo, 0, v60, vcc_lo
	s_add_u32 s14, s8, -1
	s_addc_u32 s15, s9, -1
	s_mov_b64 s[20:21], 0
	s_mov_b32 s24, 0
                                        ; implicit-def: $sgpr25
	s_set_inst_prefetch_distance 0x1
	s_branch .LBB683_613
	.p2align	6
.LBB683_611:                            ;   in Loop: Header=BB683_613 Depth=1
	global_load_u16 v61, v[59:60], off
	global_load_u16 v62, v[57:58], off
	v_add_co_u32 v57, vcc_lo, v57, 2
	v_add_co_ci_u32_e32 v58, vcc_lo, 0, v58, vcc_lo
	v_add_co_u32 v59, s0, v59, 2
	s_delay_alu instid0(VALU_DEP_1)
	v_add_co_ci_u32_e64 v60, s0, 0, v60, s0
	s_add_u32 s20, s20, 1
	s_addc_u32 s21, s21, 0
	s_and_not1_b32 s0, s25, exec_lo
	s_waitcnt vmcnt(0)
	v_cmp_ne_u16_e32 vcc_lo, v61, v62
	s_and_b32 s25, vcc_lo, exec_lo
	s_delay_alu instid0(SALU_CYCLE_1)
	s_or_b32 s25, s0, s25
.LBB683_612:                            ;   in Loop: Header=BB683_613 Depth=1
	v_dual_mov_b32 v62, s21 :: v_dual_mov_b32 v61, s20
	s_and_b32 s0, exec_lo, s25
	s_delay_alu instid0(SALU_CYCLE_1) | instskip(NEXT) | instid1(SALU_CYCLE_1)
	s_or_b32 s24, s0, s24
	s_and_not1_b32 exec_lo, exec_lo, s24
	s_cbranch_execz .LBB683_616
.LBB683_613:                            ; =>This Inner Loop Header: Depth=1
	s_or_b32 s25, s25, exec_lo
	s_cmp_eq_u64 s[14:15], s[20:21]
	s_cbranch_scc0 .LBB683_611
; %bb.614:                              ;   in Loop: Header=BB683_613 Depth=1
	s_mov_b64 s[20:21], s[8:9]
                                        ; implicit-def: $vgpr57_vgpr58
                                        ; implicit-def: $vgpr59_vgpr60
	s_branch .LBB683_612
.LBB683_615:
	v_mov_b32_e32 v161, 0
	v_mov_b32_e32 v162, 0
	s_branch .LBB683_618
.LBB683_616:
	s_set_inst_prefetch_distance 0x2
	s_or_b32 exec_lo, exec_lo, s24
	v_cmp_gt_i64_e32 vcc_lo, s[8:9], v[61:62]
	s_mov_b32 s0, 0
	s_delay_alu instid0(SALU_CYCLE_1)
	v_mov_b32_e32 v162, s0
	v_cndmask_b32_e64 v161, 0, 1, vcc_lo
.LBB683_617:
	s_or_b32 exec_lo, exec_lo, s23
.LBB683_618:
	s_delay_alu instid0(SALU_CYCLE_1) | instskip(SKIP_3) | instid1(VALU_DEP_2)
	s_or_b32 exec_lo, exec_lo, s22
	v_dual_mov_b32 v164, v14 :: v_dual_add_nc_u32 v57, 2, v64
	v_mov_b32_e32 v163, v13
	s_mov_b32 s22, exec_lo
	v_cmpx_gt_u32_e64 s3, v57
	s_cbranch_execz .LBB683_629
; %bb.619:
	v_cmp_ne_u32_e32 vcc_lo, 1, v63
	s_cbranch_vccnz .LBB683_626
; %bb.620:
	v_mul_lo_u32 v61, v14, s8
	v_mul_lo_u32 v62, v13, s9
	v_mad_u64_u32 v[57:58], null, v13, s8, 0
	v_mul_lo_u32 v65, v4, s8
	v_mul_lo_u32 v66, v3, s9
	v_mad_u64_u32 v[59:60], null, v3, s8, 0
	v_mov_b32_e32 v163, 1
	v_mov_b32_e32 v164, 0
	v_add3_u32 v58, v58, v62, v61
	s_mov_b32 s23, exec_lo
	s_delay_alu instid0(VALU_DEP_4) | instskip(NEXT) | instid1(VALU_DEP_2)
	v_add3_u32 v60, v60, v66, v65
	v_lshlrev_b64 v[57:58], 1, v[57:58]
	s_delay_alu instid0(VALU_DEP_2) | instskip(NEXT) | instid1(VALU_DEP_2)
	v_lshlrev_b64 v[61:62], 1, v[59:60]
	v_add_co_u32 v59, vcc_lo, s10, v57
	s_delay_alu instid0(VALU_DEP_3) | instskip(NEXT) | instid1(VALU_DEP_3)
	v_add_co_ci_u32_e32 v60, vcc_lo, s11, v58, vcc_lo
	v_add_co_u32 v57, vcc_lo, s10, v61
	s_delay_alu instid0(VALU_DEP_4)
	v_add_co_ci_u32_e32 v58, vcc_lo, s11, v62, vcc_lo
	s_clause 0x1
	global_load_u16 v61, v[59:60], off
	global_load_u16 v62, v[57:58], off
	s_waitcnt vmcnt(0)
	v_cmpx_eq_u16_e64 v61, v62
	s_cbranch_execz .LBB683_628
; %bb.621:
	v_add_co_u32 v57, vcc_lo, v57, 2
	v_add_co_ci_u32_e32 v58, vcc_lo, 0, v58, vcc_lo
	v_add_co_u32 v59, vcc_lo, v59, 2
	v_add_co_ci_u32_e32 v60, vcc_lo, 0, v60, vcc_lo
	s_add_u32 s14, s8, -1
	s_addc_u32 s15, s9, -1
	s_mov_b64 s[20:21], 0
	s_mov_b32 s24, 0
                                        ; implicit-def: $sgpr25
	s_set_inst_prefetch_distance 0x1
	s_branch .LBB683_624
	.p2align	6
.LBB683_622:                            ;   in Loop: Header=BB683_624 Depth=1
	global_load_u16 v61, v[59:60], off
	global_load_u16 v62, v[57:58], off
	v_add_co_u32 v57, vcc_lo, v57, 2
	v_add_co_ci_u32_e32 v58, vcc_lo, 0, v58, vcc_lo
	v_add_co_u32 v59, s0, v59, 2
	s_delay_alu instid0(VALU_DEP_1)
	v_add_co_ci_u32_e64 v60, s0, 0, v60, s0
	s_add_u32 s20, s20, 1
	s_addc_u32 s21, s21, 0
	s_and_not1_b32 s0, s25, exec_lo
	s_waitcnt vmcnt(0)
	v_cmp_ne_u16_e32 vcc_lo, v61, v62
	s_and_b32 s25, vcc_lo, exec_lo
	s_delay_alu instid0(SALU_CYCLE_1)
	s_or_b32 s25, s0, s25
.LBB683_623:                            ;   in Loop: Header=BB683_624 Depth=1
	v_dual_mov_b32 v62, s21 :: v_dual_mov_b32 v61, s20
	s_and_b32 s0, exec_lo, s25
	s_delay_alu instid0(SALU_CYCLE_1) | instskip(NEXT) | instid1(SALU_CYCLE_1)
	s_or_b32 s24, s0, s24
	s_and_not1_b32 exec_lo, exec_lo, s24
	s_cbranch_execz .LBB683_627
.LBB683_624:                            ; =>This Inner Loop Header: Depth=1
	s_or_b32 s25, s25, exec_lo
	s_cmp_eq_u64 s[14:15], s[20:21]
	s_cbranch_scc0 .LBB683_622
; %bb.625:                              ;   in Loop: Header=BB683_624 Depth=1
	s_mov_b64 s[20:21], s[8:9]
                                        ; implicit-def: $vgpr57_vgpr58
                                        ; implicit-def: $vgpr59_vgpr60
	s_branch .LBB683_623
.LBB683_626:
	v_mov_b32_e32 v163, 0
	v_mov_b32_e32 v164, 0
	s_branch .LBB683_629
.LBB683_627:
	s_set_inst_prefetch_distance 0x2
	s_or_b32 exec_lo, exec_lo, s24
	v_cmp_gt_i64_e32 vcc_lo, s[8:9], v[61:62]
	s_mov_b32 s0, 0
	s_delay_alu instid0(SALU_CYCLE_1)
	v_mov_b32_e32 v164, s0
	v_cndmask_b32_e64 v163, 0, 1, vcc_lo
.LBB683_628:
	s_or_b32 exec_lo, exec_lo, s23
.LBB683_629:
	s_delay_alu instid0(SALU_CYCLE_1) | instskip(SKIP_3) | instid1(VALU_DEP_2)
	s_or_b32 exec_lo, exec_lo, s22
	v_dual_mov_b32 v166, v4 :: v_dual_add_nc_u32 v57, 1, v64
	v_mov_b32_e32 v165, v3
	s_mov_b32 s22, exec_lo
	v_cmpx_gt_u32_e64 s3, v57
	s_cbranch_execz .LBB683_640
; %bb.630:
	v_cmp_ne_u32_e32 vcc_lo, 1, v63
	s_cbranch_vccnz .LBB683_637
; %bb.631:
	v_mul_lo_u32 v61, v4, s8
	v_mul_lo_u32 v62, v3, s9
	v_mad_u64_u32 v[57:58], null, v3, s8, 0
	v_mul_lo_u32 v65, v2, s8
	v_mul_lo_u32 v66, v1, s9
	v_mad_u64_u32 v[59:60], null, v1, s8, 0
	v_mov_b32_e32 v165, 1
	v_mov_b32_e32 v166, 0
	v_add3_u32 v58, v58, v62, v61
	s_mov_b32 s23, exec_lo
	s_delay_alu instid0(VALU_DEP_4) | instskip(NEXT) | instid1(VALU_DEP_2)
	v_add3_u32 v60, v60, v66, v65
	v_lshlrev_b64 v[57:58], 1, v[57:58]
	s_delay_alu instid0(VALU_DEP_2) | instskip(NEXT) | instid1(VALU_DEP_2)
	v_lshlrev_b64 v[61:62], 1, v[59:60]
	v_add_co_u32 v59, vcc_lo, s10, v57
	s_delay_alu instid0(VALU_DEP_3) | instskip(NEXT) | instid1(VALU_DEP_3)
	v_add_co_ci_u32_e32 v60, vcc_lo, s11, v58, vcc_lo
	v_add_co_u32 v57, vcc_lo, s10, v61
	s_delay_alu instid0(VALU_DEP_4)
	v_add_co_ci_u32_e32 v58, vcc_lo, s11, v62, vcc_lo
	s_clause 0x1
	global_load_u16 v61, v[59:60], off
	global_load_u16 v62, v[57:58], off
	s_waitcnt vmcnt(0)
	v_cmpx_eq_u16_e64 v61, v62
	s_cbranch_execz .LBB683_639
; %bb.632:
	v_add_co_u32 v57, vcc_lo, v57, 2
	v_add_co_ci_u32_e32 v58, vcc_lo, 0, v58, vcc_lo
	v_add_co_u32 v59, vcc_lo, v59, 2
	v_add_co_ci_u32_e32 v60, vcc_lo, 0, v60, vcc_lo
	s_add_u32 s14, s8, -1
	s_addc_u32 s15, s9, -1
	s_mov_b64 s[20:21], 0
	s_mov_b32 s24, 0
                                        ; implicit-def: $sgpr25
	s_set_inst_prefetch_distance 0x1
	s_branch .LBB683_635
	.p2align	6
.LBB683_633:                            ;   in Loop: Header=BB683_635 Depth=1
	global_load_u16 v61, v[59:60], off
	global_load_u16 v62, v[57:58], off
	v_add_co_u32 v57, vcc_lo, v57, 2
	v_add_co_ci_u32_e32 v58, vcc_lo, 0, v58, vcc_lo
	v_add_co_u32 v59, s0, v59, 2
	s_delay_alu instid0(VALU_DEP_1)
	v_add_co_ci_u32_e64 v60, s0, 0, v60, s0
	s_add_u32 s20, s20, 1
	s_addc_u32 s21, s21, 0
	s_and_not1_b32 s0, s25, exec_lo
	s_waitcnt vmcnt(0)
	v_cmp_ne_u16_e32 vcc_lo, v61, v62
	s_and_b32 s25, vcc_lo, exec_lo
	s_delay_alu instid0(SALU_CYCLE_1)
	s_or_b32 s25, s0, s25
.LBB683_634:                            ;   in Loop: Header=BB683_635 Depth=1
	v_dual_mov_b32 v62, s21 :: v_dual_mov_b32 v61, s20
	s_and_b32 s0, exec_lo, s25
	s_delay_alu instid0(SALU_CYCLE_1) | instskip(NEXT) | instid1(SALU_CYCLE_1)
	s_or_b32 s24, s0, s24
	s_and_not1_b32 exec_lo, exec_lo, s24
	s_cbranch_execz .LBB683_638
.LBB683_635:                            ; =>This Inner Loop Header: Depth=1
	s_or_b32 s25, s25, exec_lo
	s_cmp_eq_u64 s[14:15], s[20:21]
	s_cbranch_scc0 .LBB683_633
; %bb.636:                              ;   in Loop: Header=BB683_635 Depth=1
	s_mov_b64 s[20:21], s[8:9]
                                        ; implicit-def: $vgpr57_vgpr58
                                        ; implicit-def: $vgpr59_vgpr60
	s_branch .LBB683_634
.LBB683_637:
	v_mov_b32_e32 v165, 0
	v_mov_b32_e32 v166, 0
	s_branch .LBB683_640
.LBB683_638:
	s_set_inst_prefetch_distance 0x2
	s_or_b32 exec_lo, exec_lo, s24
	v_cmp_gt_i64_e32 vcc_lo, s[8:9], v[61:62]
	s_mov_b32 s0, 0
	s_delay_alu instid0(SALU_CYCLE_1)
	v_mov_b32_e32 v166, s0
	v_cndmask_b32_e64 v165, 0, 1, vcc_lo
.LBB683_639:
	s_or_b32 exec_lo, exec_lo, s23
.LBB683_640:
	s_delay_alu instid0(SALU_CYCLE_1)
	s_or_b32 exec_lo, exec_lo, s22
	v_dual_mov_b32 v58, s13 :: v_dual_mov_b32 v57, s12
	s_mov_b32 s0, exec_lo
	s_waitcnt lgkmcnt(0)
	s_barrier
	buffer_gl0_inv
	v_cmpx_ne_u32_e32 0, v0
	s_cbranch_execz .LBB683_642
; %bb.641:
	v_add_nc_u32_e32 v57, -8, v195
	ds_load_b64 v[57:58], v57
.LBB683_642:
	s_or_b32 exec_lo, exec_lo, s0
	v_cmp_gt_u32_e32 vcc_lo, s3, v64
                                        ; implicit-def: $sgpr0
	s_and_saveexec_b32 s3, vcc_lo
	s_cbranch_execz .LBB683_654
; %bb.643:
	v_cmp_ne_u32_e32 vcc_lo, 1, v63
	s_cbranch_vccnz .LBB683_650
; %bb.644:
	v_mul_lo_u32 v63, v2, s8
	v_mul_lo_u32 v64, v1, s9
	v_mad_u64_u32 v[59:60], null, v1, s8, 0
	s_waitcnt lgkmcnt(0)
	v_mul_lo_u32 v58, v58, s8
	v_mul_lo_u32 v65, v57, s9
	v_mad_u64_u32 v[61:62], null, v57, s8, 0
	s_mov_b32 s0, -1
	s_mov_b32 s20, exec_lo
	s_delay_alu instid0(VALU_DEP_4) | instskip(NEXT) | instid1(VALU_DEP_2)
	v_add3_u32 v60, v60, v64, v63
	v_add3_u32 v62, v62, v65, v58
	s_delay_alu instid0(VALU_DEP_2) | instskip(NEXT) | instid1(VALU_DEP_2)
	v_lshlrev_b64 v[57:58], 1, v[59:60]
	v_lshlrev_b64 v[61:62], 1, v[61:62]
	s_delay_alu instid0(VALU_DEP_2) | instskip(NEXT) | instid1(VALU_DEP_3)
	v_add_co_u32 v59, vcc_lo, s10, v57
	v_add_co_ci_u32_e32 v60, vcc_lo, s11, v58, vcc_lo
	s_delay_alu instid0(VALU_DEP_3) | instskip(NEXT) | instid1(VALU_DEP_4)
	v_add_co_u32 v57, vcc_lo, s10, v61
	v_add_co_ci_u32_e32 v58, vcc_lo, s11, v62, vcc_lo
	s_clause 0x1
	global_load_u16 v61, v[59:60], off
	global_load_u16 v62, v[57:58], off
	s_waitcnt vmcnt(0)
	v_cmpx_eq_u16_e64 v61, v62
	s_cbranch_execz .LBB683_652
; %bb.645:
	v_add_co_u32 v57, vcc_lo, v57, 2
	v_add_co_ci_u32_e32 v58, vcc_lo, 0, v58, vcc_lo
	v_add_co_u32 v59, vcc_lo, v59, 2
	v_add_co_ci_u32_e32 v60, vcc_lo, 0, v60, vcc_lo
	s_add_u32 s12, s8, -1
	s_addc_u32 s13, s9, -1
	s_mov_b64 s[14:15], 0
	s_mov_b32 s21, 0
                                        ; implicit-def: $sgpr22
	s_set_inst_prefetch_distance 0x1
	s_branch .LBB683_648
	.p2align	6
.LBB683_646:                            ;   in Loop: Header=BB683_648 Depth=1
	global_load_u16 v61, v[59:60], off
	global_load_u16 v62, v[57:58], off
	v_add_co_u32 v57, vcc_lo, v57, 2
	v_add_co_ci_u32_e32 v58, vcc_lo, 0, v58, vcc_lo
	v_add_co_u32 v59, s0, v59, 2
	s_delay_alu instid0(VALU_DEP_1)
	v_add_co_ci_u32_e64 v60, s0, 0, v60, s0
	s_add_u32 s14, s14, 1
	s_addc_u32 s15, s15, 0
	s_and_not1_b32 s0, s22, exec_lo
	s_waitcnt vmcnt(0)
	v_cmp_ne_u16_e32 vcc_lo, v61, v62
	s_and_b32 s22, vcc_lo, exec_lo
	s_delay_alu instid0(SALU_CYCLE_1)
	s_or_b32 s22, s0, s22
.LBB683_647:                            ;   in Loop: Header=BB683_648 Depth=1
	v_dual_mov_b32 v62, s15 :: v_dual_mov_b32 v61, s14
	s_and_b32 s0, exec_lo, s22
	s_delay_alu instid0(SALU_CYCLE_1) | instskip(NEXT) | instid1(SALU_CYCLE_1)
	s_or_b32 s21, s0, s21
	s_and_not1_b32 exec_lo, exec_lo, s21
	s_cbranch_execz .LBB683_651
.LBB683_648:                            ; =>This Inner Loop Header: Depth=1
	s_or_b32 s22, s22, exec_lo
	s_cmp_eq_u64 s[12:13], s[14:15]
	s_cbranch_scc0 .LBB683_646
; %bb.649:                              ;   in Loop: Header=BB683_648 Depth=1
	s_mov_b64 s[14:15], s[8:9]
                                        ; implicit-def: $vgpr57_vgpr58
                                        ; implicit-def: $vgpr59_vgpr60
	s_branch .LBB683_647
.LBB683_650:
	s_mov_b32 s0, 0
	s_branch .LBB683_653
.LBB683_651:
	s_set_inst_prefetch_distance 0x2
	s_or_b32 exec_lo, exec_lo, s21
	v_cmp_gt_i64_e32 vcc_lo, s[8:9], v[61:62]
	s_or_not1_b32 s0, vcc_lo, exec_lo
.LBB683_652:
	s_or_b32 exec_lo, exec_lo, s20
.LBB683_653:
	s_delay_alu instid0(SALU_CYCLE_1)
	s_and_b32 s0, s0, exec_lo
	s_or_b32 s1, s1, exec_lo
.LBB683_654:
	s_or_b32 exec_lo, exec_lo, s3
	v_dual_mov_b32 v182, v166 :: v_dual_mov_b32 v181, v165
	v_dual_mov_b32 v168, v164 :: v_dual_mov_b32 v167, v163
	;; [unrolled: 1-line block ×27, first 2 shown]
	s_branch .LBB683_1243
.LBB683_655:
	s_cmp_lg_u64 s[18:19], 1
	s_cbranch_scc0 .LBB683_663
; %bb.656:
	v_mul_lo_u32 v59, v8, s8
	v_mul_lo_u32 v60, v7, s9
	s_waitcnt lgkmcnt(0)
	v_mad_u64_u32 v[57:58], null, v7, s8, 0
	v_mov_b32_e32 v113, 0
	v_mov_b32_e32 v114, 0
	v_cmp_lt_i64_e64 s0, s[8:9], 1
	v_cmp_gt_i64_e64 s3, s[8:9], 0
	s_delay_alu instid0(VALU_DEP_4) | instskip(SKIP_4) | instid1(VALU_DEP_1)
	v_mov_b32_e32 v111, v113
	ds_store_b64 v195, v[109:110]
	v_mov_b32_e32 v112, v114
	v_add3_u32 v58, v58, v60, v59
	s_and_b32 vcc_lo, exec_lo, s0
	v_lshlrev_b64 v[57:58], 1, v[57:58]
	s_cbranch_vccnz .LBB683_666
; %bb.657:
	v_mul_lo_u32 v61, v110, s8
	v_mul_lo_u32 v62, v109, s9
	v_mad_u64_u32 v[59:60], null, v109, s8, 0
	v_mov_b32_e32 v111, 1
	v_mov_b32_e32 v112, 0
	s_mov_b32 s18, exec_lo
	s_delay_alu instid0(VALU_DEP_3) | instskip(NEXT) | instid1(VALU_DEP_1)
	v_add3_u32 v60, v60, v62, v61
	v_lshlrev_b64 v[59:60], 1, v[59:60]
	s_delay_alu instid0(VALU_DEP_1) | instskip(NEXT) | instid1(VALU_DEP_2)
	v_add_co_u32 v61, vcc_lo, s10, v59
	v_add_co_ci_u32_e32 v62, vcc_lo, s11, v60, vcc_lo
	v_add_co_u32 v59, vcc_lo, s10, v57
	v_add_co_ci_u32_e32 v60, vcc_lo, s11, v58, vcc_lo
	s_clause 0x1
	global_load_u16 v63, v[61:62], off
	global_load_u16 v64, v[59:60], off
	s_waitcnt vmcnt(0)
	v_cmpx_eq_u16_e64 v63, v64
	s_cbranch_execz .LBB683_665
; %bb.658:
	v_add_co_u32 v59, vcc_lo, v59, 2
	v_add_co_ci_u32_e32 v60, vcc_lo, 0, v60, vcc_lo
	v_add_co_u32 v61, vcc_lo, v61, 2
	v_add_co_ci_u32_e32 v62, vcc_lo, 0, v62, vcc_lo
	s_add_u32 s12, s8, -1
	s_addc_u32 s13, s9, -1
	s_mov_b64 s[14:15], 0
	s_mov_b32 s19, 0
                                        ; implicit-def: $sgpr20
	s_set_inst_prefetch_distance 0x1
	s_branch .LBB683_661
	.p2align	6
.LBB683_659:                            ;   in Loop: Header=BB683_661 Depth=1
	global_load_u16 v63, v[61:62], off
	global_load_u16 v64, v[59:60], off
	v_add_co_u32 v59, vcc_lo, v59, 2
	v_add_co_ci_u32_e32 v60, vcc_lo, 0, v60, vcc_lo
	v_add_co_u32 v61, s0, v61, 2
	s_delay_alu instid0(VALU_DEP_1)
	v_add_co_ci_u32_e64 v62, s0, 0, v62, s0
	s_add_u32 s14, s14, 1
	s_addc_u32 s15, s15, 0
	s_and_not1_b32 s0, s20, exec_lo
	s_waitcnt vmcnt(0)
	v_cmp_ne_u16_e32 vcc_lo, v63, v64
	s_and_b32 s20, vcc_lo, exec_lo
	s_delay_alu instid0(SALU_CYCLE_1)
	s_or_b32 s20, s0, s20
.LBB683_660:                            ;   in Loop: Header=BB683_661 Depth=1
	v_dual_mov_b32 v64, s15 :: v_dual_mov_b32 v63, s14
	s_and_b32 s0, exec_lo, s20
	s_delay_alu instid0(SALU_CYCLE_1) | instskip(NEXT) | instid1(SALU_CYCLE_1)
	s_or_b32 s19, s0, s19
	s_and_not1_b32 exec_lo, exec_lo, s19
	s_cbranch_execz .LBB683_664
.LBB683_661:                            ; =>This Inner Loop Header: Depth=1
	s_or_b32 s20, s20, exec_lo
	s_cmp_eq_u64 s[12:13], s[14:15]
	s_cbranch_scc0 .LBB683_659
; %bb.662:                              ;   in Loop: Header=BB683_661 Depth=1
	s_mov_b64 s[14:15], s[8:9]
                                        ; implicit-def: $vgpr59_vgpr60
                                        ; implicit-def: $vgpr61_vgpr62
	s_branch .LBB683_660
.LBB683_663:
                                        ; implicit-def: $sgpr0
                                        ; implicit-def: $vgpr165_vgpr166
                                        ; implicit-def: $vgpr163_vgpr164
                                        ; implicit-def: $vgpr161_vgpr162
                                        ; implicit-def: $vgpr159_vgpr160
                                        ; implicit-def: $vgpr157_vgpr158
                                        ; implicit-def: $vgpr155_vgpr156
                                        ; implicit-def: $vgpr153_vgpr154
                                        ; implicit-def: $vgpr151_vgpr152
                                        ; implicit-def: $vgpr149_vgpr150
                                        ; implicit-def: $vgpr147_vgpr148
                                        ; implicit-def: $vgpr145_vgpr146
                                        ; implicit-def: $vgpr143_vgpr144
                                        ; implicit-def: $vgpr141_vgpr142
                                        ; implicit-def: $vgpr139_vgpr140
                                        ; implicit-def: $vgpr137_vgpr138
                                        ; implicit-def: $vgpr135_vgpr136
                                        ; implicit-def: $vgpr133_vgpr134
                                        ; implicit-def: $vgpr131_vgpr132
                                        ; implicit-def: $vgpr129_vgpr130
                                        ; implicit-def: $vgpr127_vgpr128
                                        ; implicit-def: $vgpr125_vgpr126
                                        ; implicit-def: $vgpr123_vgpr124
                                        ; implicit-def: $vgpr121_vgpr122
                                        ; implicit-def: $vgpr119_vgpr120
                                        ; implicit-def: $vgpr117_vgpr118
                                        ; implicit-def: $vgpr113_vgpr114
                                        ; implicit-def: $vgpr115_vgpr116
                                        ; implicit-def: $vgpr111_vgpr112
                                        ; implicit-def: $vgpr181_vgpr182
                                        ; implicit-def: $vgpr167_vgpr168
                                        ; implicit-def: $vgpr169_vgpr170
                                        ; implicit-def: $vgpr171_vgpr172
                                        ; implicit-def: $vgpr173_vgpr174
                                        ; implicit-def: $vgpr175_vgpr176
                                        ; implicit-def: $vgpr177_vgpr178
                                        ; implicit-def: $vgpr179_vgpr180
                                        ; implicit-def: $vgpr183_vgpr184
                                        ; implicit-def: $vgpr185_vgpr186
                                        ; implicit-def: $vgpr187_vgpr188
                                        ; implicit-def: $vgpr189_vgpr190
                                        ; implicit-def: $vgpr191_vgpr192
                                        ; implicit-def: $vgpr193_vgpr194
                                        ; implicit-def: $vgpr57_vgpr58_vgpr59_vgpr60
                                        ; implicit-def: $vgpr61_vgpr62_vgpr63_vgpr64
                                        ; implicit-def: $vgpr65_vgpr66_vgpr67_vgpr68
                                        ; implicit-def: $vgpr69_vgpr70_vgpr71_vgpr72
                                        ; implicit-def: $vgpr73_vgpr74_vgpr75_vgpr76
                                        ; implicit-def: $vgpr77_vgpr78_vgpr79_vgpr80
                                        ; implicit-def: $vgpr81_vgpr82_vgpr83_vgpr84
                                        ; implicit-def: $vgpr85_vgpr86_vgpr87_vgpr88
                                        ; implicit-def: $vgpr89_vgpr90_vgpr91_vgpr92
                                        ; implicit-def: $vgpr93_vgpr94_vgpr95_vgpr96
                                        ; implicit-def: $vgpr97_vgpr98_vgpr99_vgpr100
                                        ; implicit-def: $vgpr101_vgpr102_vgpr103_vgpr104
                                        ; implicit-def: $vgpr105_vgpr106_vgpr107_vgpr108
	s_cbranch_execnz .LBB683_923
	s_branch .LBB683_1243
.LBB683_664:
	s_set_inst_prefetch_distance 0x2
	s_or_b32 exec_lo, exec_lo, s19
	v_cmp_gt_i64_e32 vcc_lo, s[8:9], v[63:64]
	s_mov_b32 s0, 0
	s_delay_alu instid0(SALU_CYCLE_1)
	v_mov_b32_e32 v112, s0
	v_cndmask_b32_e64 v111, 0, 1, vcc_lo
.LBB683_665:
	s_or_b32 exec_lo, exec_lo, s18
.LBB683_666:
	v_mul_lo_u32 v61, v6, s8
	v_mul_lo_u32 v62, v5, s9
	v_mad_u64_u32 v[59:60], null, v5, s8, 0
	v_cndmask_b32_e64 v65, 0, 1, s3
	v_dual_mov_b32 v116, v114 :: v_dual_mov_b32 v115, v113
	s_and_not1_b32 vcc_lo, exec_lo, s3
	s_delay_alu instid0(VALU_DEP_3) | instskip(NEXT) | instid1(VALU_DEP_1)
	v_add3_u32 v60, v60, v62, v61
	v_lshlrev_b64 v[59:60], 1, v[59:60]
	s_cbranch_vccnz .LBB683_675
; %bb.667:
	v_add_co_u32 v61, vcc_lo, s10, v57
	v_add_co_ci_u32_e32 v62, vcc_lo, s11, v58, vcc_lo
	s_delay_alu instid0(VALU_DEP_3) | instskip(NEXT) | instid1(VALU_DEP_4)
	v_add_co_u32 v57, vcc_lo, s10, v59
	v_add_co_ci_u32_e32 v58, vcc_lo, s11, v60, vcc_lo
	v_mov_b32_e32 v115, 1
	s_clause 0x1
	global_load_u16 v63, v[61:62], off
	global_load_u16 v64, v[57:58], off
	v_mov_b32_e32 v116, 0
	s_mov_b32 s3, exec_lo
	s_waitcnt vmcnt(0)
	v_cmpx_eq_u16_e64 v63, v64
	s_cbranch_execz .LBB683_674
; %bb.668:
	v_add_co_u32 v57, vcc_lo, v57, 2
	v_add_co_ci_u32_e32 v58, vcc_lo, 0, v58, vcc_lo
	v_add_co_u32 v61, vcc_lo, v61, 2
	v_add_co_ci_u32_e32 v62, vcc_lo, 0, v62, vcc_lo
	s_add_u32 s12, s8, -1
	s_addc_u32 s13, s9, -1
	s_mov_b64 s[14:15], 0
	s_mov_b32 s18, 0
                                        ; implicit-def: $sgpr19
	s_set_inst_prefetch_distance 0x1
	s_branch .LBB683_671
	.p2align	6
.LBB683_669:                            ;   in Loop: Header=BB683_671 Depth=1
	global_load_u16 v63, v[61:62], off
	global_load_u16 v64, v[57:58], off
	v_add_co_u32 v57, vcc_lo, v57, 2
	v_add_co_ci_u32_e32 v58, vcc_lo, 0, v58, vcc_lo
	v_add_co_u32 v61, s0, v61, 2
	s_delay_alu instid0(VALU_DEP_1)
	v_add_co_ci_u32_e64 v62, s0, 0, v62, s0
	s_add_u32 s14, s14, 1
	s_addc_u32 s15, s15, 0
	s_and_not1_b32 s0, s19, exec_lo
	s_waitcnt vmcnt(0)
	v_cmp_ne_u16_e32 vcc_lo, v63, v64
	s_and_b32 s19, vcc_lo, exec_lo
	s_delay_alu instid0(SALU_CYCLE_1)
	s_or_b32 s19, s0, s19
.LBB683_670:                            ;   in Loop: Header=BB683_671 Depth=1
	v_dual_mov_b32 v64, s15 :: v_dual_mov_b32 v63, s14
	s_and_b32 s0, exec_lo, s19
	s_delay_alu instid0(SALU_CYCLE_1) | instskip(NEXT) | instid1(SALU_CYCLE_1)
	s_or_b32 s18, s0, s18
	s_and_not1_b32 exec_lo, exec_lo, s18
	s_cbranch_execz .LBB683_673
.LBB683_671:                            ; =>This Inner Loop Header: Depth=1
	s_or_b32 s19, s19, exec_lo
	s_cmp_eq_u64 s[12:13], s[14:15]
	s_cbranch_scc0 .LBB683_669
; %bb.672:                              ;   in Loop: Header=BB683_671 Depth=1
	s_mov_b64 s[14:15], s[8:9]
                                        ; implicit-def: $vgpr57_vgpr58
                                        ; implicit-def: $vgpr61_vgpr62
	s_branch .LBB683_670
.LBB683_673:
	s_set_inst_prefetch_distance 0x2
	s_or_b32 exec_lo, exec_lo, s18
	v_cmp_gt_i64_e32 vcc_lo, s[8:9], v[63:64]
	s_mov_b32 s0, 0
	s_delay_alu instid0(SALU_CYCLE_1)
	v_mov_b32_e32 v116, s0
	v_cndmask_b32_e64 v115, 0, 1, vcc_lo
.LBB683_674:
	s_or_b32 exec_lo, exec_lo, s3
.LBB683_675:
	v_mul_lo_u32 v61, v12, s8
	v_mul_lo_u32 v62, v11, s9
	v_mad_u64_u32 v[57:58], null, v11, s8, 0
	v_cmp_ne_u32_e32 vcc_lo, 1, v65
	s_delay_alu instid0(VALU_DEP_2) | instskip(NEXT) | instid1(VALU_DEP_1)
	v_add3_u32 v58, v58, v62, v61
	v_lshlrev_b64 v[57:58], 1, v[57:58]
	s_cbranch_vccnz .LBB683_684
; %bb.676:
	v_add_co_u32 v61, vcc_lo, s10, v59
	v_add_co_ci_u32_e32 v62, vcc_lo, s11, v60, vcc_lo
	s_delay_alu instid0(VALU_DEP_3) | instskip(NEXT) | instid1(VALU_DEP_4)
	v_add_co_u32 v59, vcc_lo, s10, v57
	v_add_co_ci_u32_e32 v60, vcc_lo, s11, v58, vcc_lo
	v_mov_b32_e32 v113, 1
	s_clause 0x1
	global_load_u16 v63, v[61:62], off
	global_load_u16 v64, v[59:60], off
	v_mov_b32_e32 v114, 0
	s_mov_b32 s3, exec_lo
	s_waitcnt vmcnt(0)
	v_cmpx_eq_u16_e64 v63, v64
	s_cbranch_execz .LBB683_683
; %bb.677:
	v_add_co_u32 v59, vcc_lo, v59, 2
	v_add_co_ci_u32_e32 v60, vcc_lo, 0, v60, vcc_lo
	v_add_co_u32 v61, vcc_lo, v61, 2
	v_add_co_ci_u32_e32 v62, vcc_lo, 0, v62, vcc_lo
	s_add_u32 s12, s8, -1
	s_addc_u32 s13, s9, -1
	s_mov_b64 s[14:15], 0
	s_mov_b32 s18, 0
                                        ; implicit-def: $sgpr19
	s_set_inst_prefetch_distance 0x1
	s_branch .LBB683_680
	.p2align	6
.LBB683_678:                            ;   in Loop: Header=BB683_680 Depth=1
	global_load_u16 v63, v[61:62], off
	global_load_u16 v64, v[59:60], off
	v_add_co_u32 v59, vcc_lo, v59, 2
	v_add_co_ci_u32_e32 v60, vcc_lo, 0, v60, vcc_lo
	v_add_co_u32 v61, s0, v61, 2
	s_delay_alu instid0(VALU_DEP_1)
	v_add_co_ci_u32_e64 v62, s0, 0, v62, s0
	s_add_u32 s14, s14, 1
	s_addc_u32 s15, s15, 0
	s_and_not1_b32 s0, s19, exec_lo
	s_waitcnt vmcnt(0)
	v_cmp_ne_u16_e32 vcc_lo, v63, v64
	s_and_b32 s19, vcc_lo, exec_lo
	s_delay_alu instid0(SALU_CYCLE_1)
	s_or_b32 s19, s0, s19
.LBB683_679:                            ;   in Loop: Header=BB683_680 Depth=1
	v_dual_mov_b32 v64, s15 :: v_dual_mov_b32 v63, s14
	s_and_b32 s0, exec_lo, s19
	s_delay_alu instid0(SALU_CYCLE_1) | instskip(NEXT) | instid1(SALU_CYCLE_1)
	s_or_b32 s18, s0, s18
	s_and_not1_b32 exec_lo, exec_lo, s18
	s_cbranch_execz .LBB683_682
.LBB683_680:                            ; =>This Inner Loop Header: Depth=1
	s_or_b32 s19, s19, exec_lo
	s_cmp_eq_u64 s[12:13], s[14:15]
	s_cbranch_scc0 .LBB683_678
; %bb.681:                              ;   in Loop: Header=BB683_680 Depth=1
	s_mov_b64 s[14:15], s[8:9]
                                        ; implicit-def: $vgpr59_vgpr60
                                        ; implicit-def: $vgpr61_vgpr62
	s_branch .LBB683_679
.LBB683_682:
	s_set_inst_prefetch_distance 0x2
	s_or_b32 exec_lo, exec_lo, s18
	v_cmp_gt_i64_e32 vcc_lo, s[8:9], v[63:64]
	s_mov_b32 s0, 0
	s_delay_alu instid0(SALU_CYCLE_1)
	v_mov_b32_e32 v114, s0
	v_cndmask_b32_e64 v113, 0, 1, vcc_lo
.LBB683_683:
	s_or_b32 exec_lo, exec_lo, s3
.LBB683_684:
	v_mul_lo_u32 v61, v10, s8
	v_mul_lo_u32 v62, v9, s9
	v_mad_u64_u32 v[59:60], null, v9, s8, 0
	v_mov_b32_e32 v119, 0
	v_mov_b32_e32 v120, 0
	v_cmp_ne_u32_e32 vcc_lo, 1, v65
	s_delay_alu instid0(VALU_DEP_2) | instskip(SKIP_1) | instid1(VALU_DEP_1)
	v_dual_mov_b32 v117, v119 :: v_dual_mov_b32 v118, v120
	v_add3_u32 v60, v60, v62, v61
	v_lshlrev_b64 v[59:60], 1, v[59:60]
	s_cbranch_vccnz .LBB683_693
; %bb.685:
	v_add_co_u32 v61, vcc_lo, s10, v57
	v_add_co_ci_u32_e32 v62, vcc_lo, s11, v58, vcc_lo
	s_delay_alu instid0(VALU_DEP_3) | instskip(NEXT) | instid1(VALU_DEP_4)
	v_add_co_u32 v57, vcc_lo, s10, v59
	v_add_co_ci_u32_e32 v58, vcc_lo, s11, v60, vcc_lo
	v_mov_b32_e32 v117, 1
	s_clause 0x1
	global_load_u16 v63, v[61:62], off
	global_load_u16 v64, v[57:58], off
	v_mov_b32_e32 v118, 0
	s_mov_b32 s3, exec_lo
	s_waitcnt vmcnt(0)
	v_cmpx_eq_u16_e64 v63, v64
	s_cbranch_execz .LBB683_692
; %bb.686:
	v_add_co_u32 v57, vcc_lo, v57, 2
	v_add_co_ci_u32_e32 v58, vcc_lo, 0, v58, vcc_lo
	v_add_co_u32 v61, vcc_lo, v61, 2
	v_add_co_ci_u32_e32 v62, vcc_lo, 0, v62, vcc_lo
	s_add_u32 s12, s8, -1
	s_addc_u32 s13, s9, -1
	s_mov_b64 s[14:15], 0
	s_mov_b32 s18, 0
                                        ; implicit-def: $sgpr19
	s_set_inst_prefetch_distance 0x1
	s_branch .LBB683_689
	.p2align	6
.LBB683_687:                            ;   in Loop: Header=BB683_689 Depth=1
	global_load_u16 v63, v[61:62], off
	global_load_u16 v64, v[57:58], off
	v_add_co_u32 v57, vcc_lo, v57, 2
	v_add_co_ci_u32_e32 v58, vcc_lo, 0, v58, vcc_lo
	v_add_co_u32 v61, s0, v61, 2
	s_delay_alu instid0(VALU_DEP_1)
	v_add_co_ci_u32_e64 v62, s0, 0, v62, s0
	s_add_u32 s14, s14, 1
	s_addc_u32 s15, s15, 0
	s_and_not1_b32 s0, s19, exec_lo
	s_waitcnt vmcnt(0)
	v_cmp_ne_u16_e32 vcc_lo, v63, v64
	s_and_b32 s19, vcc_lo, exec_lo
	s_delay_alu instid0(SALU_CYCLE_1)
	s_or_b32 s19, s0, s19
.LBB683_688:                            ;   in Loop: Header=BB683_689 Depth=1
	v_dual_mov_b32 v64, s15 :: v_dual_mov_b32 v63, s14
	s_and_b32 s0, exec_lo, s19
	s_delay_alu instid0(SALU_CYCLE_1) | instskip(NEXT) | instid1(SALU_CYCLE_1)
	s_or_b32 s18, s0, s18
	s_and_not1_b32 exec_lo, exec_lo, s18
	s_cbranch_execz .LBB683_691
.LBB683_689:                            ; =>This Inner Loop Header: Depth=1
	s_or_b32 s19, s19, exec_lo
	s_cmp_eq_u64 s[12:13], s[14:15]
	s_cbranch_scc0 .LBB683_687
; %bb.690:                              ;   in Loop: Header=BB683_689 Depth=1
	s_mov_b64 s[14:15], s[8:9]
                                        ; implicit-def: $vgpr57_vgpr58
                                        ; implicit-def: $vgpr61_vgpr62
	s_branch .LBB683_688
.LBB683_691:
	s_set_inst_prefetch_distance 0x2
	s_or_b32 exec_lo, exec_lo, s18
	v_cmp_gt_i64_e32 vcc_lo, s[8:9], v[63:64]
	s_mov_b32 s0, 0
	s_delay_alu instid0(SALU_CYCLE_1)
	v_mov_b32_e32 v118, s0
	v_cndmask_b32_e64 v117, 0, 1, vcc_lo
.LBB683_692:
	s_or_b32 exec_lo, exec_lo, s3
.LBB683_693:
	v_mul_lo_u32 v61, v56, s8
	v_mul_lo_u32 v62, v55, s9
	v_mad_u64_u32 v[57:58], null, v55, s8, 0
	v_cmp_ne_u32_e32 vcc_lo, 1, v65
	s_delay_alu instid0(VALU_DEP_2) | instskip(NEXT) | instid1(VALU_DEP_1)
	v_add3_u32 v58, v58, v62, v61
	v_lshlrev_b64 v[57:58], 1, v[57:58]
	s_cbranch_vccnz .LBB683_702
; %bb.694:
	v_add_co_u32 v61, vcc_lo, s10, v59
	v_add_co_ci_u32_e32 v62, vcc_lo, s11, v60, vcc_lo
	s_delay_alu instid0(VALU_DEP_3) | instskip(NEXT) | instid1(VALU_DEP_4)
	v_add_co_u32 v59, vcc_lo, s10, v57
	v_add_co_ci_u32_e32 v60, vcc_lo, s11, v58, vcc_lo
	v_mov_b32_e32 v119, 1
	s_clause 0x1
	global_load_u16 v63, v[61:62], off
	global_load_u16 v64, v[59:60], off
	v_mov_b32_e32 v120, 0
	s_mov_b32 s3, exec_lo
	s_waitcnt vmcnt(0)
	v_cmpx_eq_u16_e64 v63, v64
	s_cbranch_execz .LBB683_701
; %bb.695:
	v_add_co_u32 v59, vcc_lo, v59, 2
	v_add_co_ci_u32_e32 v60, vcc_lo, 0, v60, vcc_lo
	v_add_co_u32 v61, vcc_lo, v61, 2
	v_add_co_ci_u32_e32 v62, vcc_lo, 0, v62, vcc_lo
	s_add_u32 s12, s8, -1
	s_addc_u32 s13, s9, -1
	s_mov_b64 s[14:15], 0
	s_mov_b32 s18, 0
                                        ; implicit-def: $sgpr19
	s_set_inst_prefetch_distance 0x1
	s_branch .LBB683_698
	.p2align	6
.LBB683_696:                            ;   in Loop: Header=BB683_698 Depth=1
	global_load_u16 v63, v[61:62], off
	global_load_u16 v64, v[59:60], off
	v_add_co_u32 v59, vcc_lo, v59, 2
	v_add_co_ci_u32_e32 v60, vcc_lo, 0, v60, vcc_lo
	v_add_co_u32 v61, s0, v61, 2
	s_delay_alu instid0(VALU_DEP_1)
	v_add_co_ci_u32_e64 v62, s0, 0, v62, s0
	s_add_u32 s14, s14, 1
	s_addc_u32 s15, s15, 0
	s_and_not1_b32 s0, s19, exec_lo
	s_waitcnt vmcnt(0)
	v_cmp_ne_u16_e32 vcc_lo, v63, v64
	s_and_b32 s19, vcc_lo, exec_lo
	s_delay_alu instid0(SALU_CYCLE_1)
	s_or_b32 s19, s0, s19
.LBB683_697:                            ;   in Loop: Header=BB683_698 Depth=1
	v_dual_mov_b32 v64, s15 :: v_dual_mov_b32 v63, s14
	s_and_b32 s0, exec_lo, s19
	s_delay_alu instid0(SALU_CYCLE_1) | instskip(NEXT) | instid1(SALU_CYCLE_1)
	s_or_b32 s18, s0, s18
	s_and_not1_b32 exec_lo, exec_lo, s18
	s_cbranch_execz .LBB683_700
.LBB683_698:                            ; =>This Inner Loop Header: Depth=1
	s_or_b32 s19, s19, exec_lo
	s_cmp_eq_u64 s[12:13], s[14:15]
	s_cbranch_scc0 .LBB683_696
; %bb.699:                              ;   in Loop: Header=BB683_698 Depth=1
	s_mov_b64 s[14:15], s[8:9]
                                        ; implicit-def: $vgpr59_vgpr60
                                        ; implicit-def: $vgpr61_vgpr62
	s_branch .LBB683_697
.LBB683_700:
	s_set_inst_prefetch_distance 0x2
	s_or_b32 exec_lo, exec_lo, s18
	v_cmp_gt_i64_e32 vcc_lo, s[8:9], v[63:64]
	s_mov_b32 s0, 0
	s_delay_alu instid0(SALU_CYCLE_1)
	v_mov_b32_e32 v120, s0
	v_cndmask_b32_e64 v119, 0, 1, vcc_lo
.LBB683_701:
	s_or_b32 exec_lo, exec_lo, s3
.LBB683_702:
	v_mul_lo_u32 v61, v54, s8
	v_mul_lo_u32 v62, v53, s9
	v_mad_u64_u32 v[59:60], null, v53, s8, 0
	v_mov_b32_e32 v123, 0
	v_mov_b32_e32 v124, 0
	v_cmp_ne_u32_e32 vcc_lo, 1, v65
	s_delay_alu instid0(VALU_DEP_2) | instskip(SKIP_1) | instid1(VALU_DEP_1)
	v_dual_mov_b32 v121, v123 :: v_dual_mov_b32 v122, v124
	v_add3_u32 v60, v60, v62, v61
	v_lshlrev_b64 v[59:60], 1, v[59:60]
	s_cbranch_vccnz .LBB683_711
; %bb.703:
	v_add_co_u32 v61, vcc_lo, s10, v57
	v_add_co_ci_u32_e32 v62, vcc_lo, s11, v58, vcc_lo
	s_delay_alu instid0(VALU_DEP_3) | instskip(NEXT) | instid1(VALU_DEP_4)
	v_add_co_u32 v57, vcc_lo, s10, v59
	v_add_co_ci_u32_e32 v58, vcc_lo, s11, v60, vcc_lo
	v_mov_b32_e32 v121, 1
	s_clause 0x1
	global_load_u16 v63, v[61:62], off
	global_load_u16 v64, v[57:58], off
	v_mov_b32_e32 v122, 0
	s_mov_b32 s3, exec_lo
	s_waitcnt vmcnt(0)
	v_cmpx_eq_u16_e64 v63, v64
	s_cbranch_execz .LBB683_710
; %bb.704:
	v_add_co_u32 v57, vcc_lo, v57, 2
	v_add_co_ci_u32_e32 v58, vcc_lo, 0, v58, vcc_lo
	v_add_co_u32 v61, vcc_lo, v61, 2
	v_add_co_ci_u32_e32 v62, vcc_lo, 0, v62, vcc_lo
	s_add_u32 s12, s8, -1
	s_addc_u32 s13, s9, -1
	s_mov_b64 s[14:15], 0
	s_mov_b32 s18, 0
                                        ; implicit-def: $sgpr19
	s_set_inst_prefetch_distance 0x1
	s_branch .LBB683_707
	.p2align	6
.LBB683_705:                            ;   in Loop: Header=BB683_707 Depth=1
	global_load_u16 v63, v[61:62], off
	global_load_u16 v64, v[57:58], off
	v_add_co_u32 v57, vcc_lo, v57, 2
	v_add_co_ci_u32_e32 v58, vcc_lo, 0, v58, vcc_lo
	v_add_co_u32 v61, s0, v61, 2
	s_delay_alu instid0(VALU_DEP_1)
	v_add_co_ci_u32_e64 v62, s0, 0, v62, s0
	s_add_u32 s14, s14, 1
	s_addc_u32 s15, s15, 0
	s_and_not1_b32 s0, s19, exec_lo
	s_waitcnt vmcnt(0)
	v_cmp_ne_u16_e32 vcc_lo, v63, v64
	s_and_b32 s19, vcc_lo, exec_lo
	s_delay_alu instid0(SALU_CYCLE_1)
	s_or_b32 s19, s0, s19
.LBB683_706:                            ;   in Loop: Header=BB683_707 Depth=1
	v_dual_mov_b32 v64, s15 :: v_dual_mov_b32 v63, s14
	s_and_b32 s0, exec_lo, s19
	s_delay_alu instid0(SALU_CYCLE_1) | instskip(NEXT) | instid1(SALU_CYCLE_1)
	s_or_b32 s18, s0, s18
	s_and_not1_b32 exec_lo, exec_lo, s18
	s_cbranch_execz .LBB683_709
.LBB683_707:                            ; =>This Inner Loop Header: Depth=1
	s_or_b32 s19, s19, exec_lo
	s_cmp_eq_u64 s[12:13], s[14:15]
	s_cbranch_scc0 .LBB683_705
; %bb.708:                              ;   in Loop: Header=BB683_707 Depth=1
	s_mov_b64 s[14:15], s[8:9]
                                        ; implicit-def: $vgpr57_vgpr58
                                        ; implicit-def: $vgpr61_vgpr62
	s_branch .LBB683_706
.LBB683_709:
	s_set_inst_prefetch_distance 0x2
	s_or_b32 exec_lo, exec_lo, s18
	v_cmp_gt_i64_e32 vcc_lo, s[8:9], v[63:64]
	s_mov_b32 s0, 0
	s_delay_alu instid0(SALU_CYCLE_1)
	v_mov_b32_e32 v122, s0
	v_cndmask_b32_e64 v121, 0, 1, vcc_lo
.LBB683_710:
	s_or_b32 exec_lo, exec_lo, s3
.LBB683_711:
	v_mul_lo_u32 v61, v52, s8
	v_mul_lo_u32 v62, v51, s9
	v_mad_u64_u32 v[57:58], null, v51, s8, 0
	v_cmp_ne_u32_e32 vcc_lo, 1, v65
	s_delay_alu instid0(VALU_DEP_2) | instskip(NEXT) | instid1(VALU_DEP_1)
	v_add3_u32 v58, v58, v62, v61
	v_lshlrev_b64 v[57:58], 1, v[57:58]
	s_cbranch_vccnz .LBB683_720
; %bb.712:
	v_add_co_u32 v61, vcc_lo, s10, v59
	v_add_co_ci_u32_e32 v62, vcc_lo, s11, v60, vcc_lo
	s_delay_alu instid0(VALU_DEP_3) | instskip(NEXT) | instid1(VALU_DEP_4)
	v_add_co_u32 v59, vcc_lo, s10, v57
	v_add_co_ci_u32_e32 v60, vcc_lo, s11, v58, vcc_lo
	v_mov_b32_e32 v123, 1
	s_clause 0x1
	global_load_u16 v63, v[61:62], off
	global_load_u16 v64, v[59:60], off
	v_mov_b32_e32 v124, 0
	s_mov_b32 s3, exec_lo
	s_waitcnt vmcnt(0)
	v_cmpx_eq_u16_e64 v63, v64
	s_cbranch_execz .LBB683_719
; %bb.713:
	v_add_co_u32 v59, vcc_lo, v59, 2
	v_add_co_ci_u32_e32 v60, vcc_lo, 0, v60, vcc_lo
	v_add_co_u32 v61, vcc_lo, v61, 2
	v_add_co_ci_u32_e32 v62, vcc_lo, 0, v62, vcc_lo
	s_add_u32 s12, s8, -1
	s_addc_u32 s13, s9, -1
	s_mov_b64 s[14:15], 0
	s_mov_b32 s18, 0
                                        ; implicit-def: $sgpr19
	s_set_inst_prefetch_distance 0x1
	s_branch .LBB683_716
	.p2align	6
.LBB683_714:                            ;   in Loop: Header=BB683_716 Depth=1
	global_load_u16 v63, v[61:62], off
	global_load_u16 v64, v[59:60], off
	v_add_co_u32 v59, vcc_lo, v59, 2
	v_add_co_ci_u32_e32 v60, vcc_lo, 0, v60, vcc_lo
	v_add_co_u32 v61, s0, v61, 2
	s_delay_alu instid0(VALU_DEP_1)
	v_add_co_ci_u32_e64 v62, s0, 0, v62, s0
	s_add_u32 s14, s14, 1
	s_addc_u32 s15, s15, 0
	s_and_not1_b32 s0, s19, exec_lo
	s_waitcnt vmcnt(0)
	v_cmp_ne_u16_e32 vcc_lo, v63, v64
	s_and_b32 s19, vcc_lo, exec_lo
	s_delay_alu instid0(SALU_CYCLE_1)
	s_or_b32 s19, s0, s19
.LBB683_715:                            ;   in Loop: Header=BB683_716 Depth=1
	v_dual_mov_b32 v64, s15 :: v_dual_mov_b32 v63, s14
	s_and_b32 s0, exec_lo, s19
	s_delay_alu instid0(SALU_CYCLE_1) | instskip(NEXT) | instid1(SALU_CYCLE_1)
	s_or_b32 s18, s0, s18
	s_and_not1_b32 exec_lo, exec_lo, s18
	s_cbranch_execz .LBB683_718
.LBB683_716:                            ; =>This Inner Loop Header: Depth=1
	s_or_b32 s19, s19, exec_lo
	s_cmp_eq_u64 s[12:13], s[14:15]
	s_cbranch_scc0 .LBB683_714
; %bb.717:                              ;   in Loop: Header=BB683_716 Depth=1
	s_mov_b64 s[14:15], s[8:9]
                                        ; implicit-def: $vgpr59_vgpr60
                                        ; implicit-def: $vgpr61_vgpr62
	s_branch .LBB683_715
.LBB683_718:
	s_set_inst_prefetch_distance 0x2
	s_or_b32 exec_lo, exec_lo, s18
	v_cmp_gt_i64_e32 vcc_lo, s[8:9], v[63:64]
	s_mov_b32 s0, 0
	s_delay_alu instid0(SALU_CYCLE_1)
	v_mov_b32_e32 v124, s0
	v_cndmask_b32_e64 v123, 0, 1, vcc_lo
.LBB683_719:
	s_or_b32 exec_lo, exec_lo, s3
.LBB683_720:
	v_mul_lo_u32 v61, v50, s8
	v_mul_lo_u32 v62, v49, s9
	v_mad_u64_u32 v[59:60], null, v49, s8, 0
	v_mov_b32_e32 v127, 0
	v_mov_b32_e32 v128, 0
	v_cmp_ne_u32_e32 vcc_lo, 1, v65
	s_delay_alu instid0(VALU_DEP_2) | instskip(SKIP_1) | instid1(VALU_DEP_1)
	v_dual_mov_b32 v125, v127 :: v_dual_mov_b32 v126, v128
	v_add3_u32 v60, v60, v62, v61
	v_lshlrev_b64 v[59:60], 1, v[59:60]
	s_cbranch_vccnz .LBB683_729
; %bb.721:
	v_add_co_u32 v61, vcc_lo, s10, v57
	v_add_co_ci_u32_e32 v62, vcc_lo, s11, v58, vcc_lo
	s_delay_alu instid0(VALU_DEP_3) | instskip(NEXT) | instid1(VALU_DEP_4)
	v_add_co_u32 v57, vcc_lo, s10, v59
	v_add_co_ci_u32_e32 v58, vcc_lo, s11, v60, vcc_lo
	v_mov_b32_e32 v125, 1
	s_clause 0x1
	global_load_u16 v63, v[61:62], off
	global_load_u16 v64, v[57:58], off
	v_mov_b32_e32 v126, 0
	s_mov_b32 s3, exec_lo
	s_waitcnt vmcnt(0)
	v_cmpx_eq_u16_e64 v63, v64
	s_cbranch_execz .LBB683_728
; %bb.722:
	v_add_co_u32 v57, vcc_lo, v57, 2
	v_add_co_ci_u32_e32 v58, vcc_lo, 0, v58, vcc_lo
	v_add_co_u32 v61, vcc_lo, v61, 2
	v_add_co_ci_u32_e32 v62, vcc_lo, 0, v62, vcc_lo
	s_add_u32 s12, s8, -1
	s_addc_u32 s13, s9, -1
	s_mov_b64 s[14:15], 0
	s_mov_b32 s18, 0
                                        ; implicit-def: $sgpr19
	s_set_inst_prefetch_distance 0x1
	s_branch .LBB683_725
	.p2align	6
.LBB683_723:                            ;   in Loop: Header=BB683_725 Depth=1
	global_load_u16 v63, v[61:62], off
	global_load_u16 v64, v[57:58], off
	v_add_co_u32 v57, vcc_lo, v57, 2
	v_add_co_ci_u32_e32 v58, vcc_lo, 0, v58, vcc_lo
	v_add_co_u32 v61, s0, v61, 2
	s_delay_alu instid0(VALU_DEP_1)
	v_add_co_ci_u32_e64 v62, s0, 0, v62, s0
	s_add_u32 s14, s14, 1
	s_addc_u32 s15, s15, 0
	s_and_not1_b32 s0, s19, exec_lo
	s_waitcnt vmcnt(0)
	v_cmp_ne_u16_e32 vcc_lo, v63, v64
	s_and_b32 s19, vcc_lo, exec_lo
	s_delay_alu instid0(SALU_CYCLE_1)
	s_or_b32 s19, s0, s19
.LBB683_724:                            ;   in Loop: Header=BB683_725 Depth=1
	v_dual_mov_b32 v64, s15 :: v_dual_mov_b32 v63, s14
	s_and_b32 s0, exec_lo, s19
	s_delay_alu instid0(SALU_CYCLE_1) | instskip(NEXT) | instid1(SALU_CYCLE_1)
	s_or_b32 s18, s0, s18
	s_and_not1_b32 exec_lo, exec_lo, s18
	s_cbranch_execz .LBB683_727
.LBB683_725:                            ; =>This Inner Loop Header: Depth=1
	s_or_b32 s19, s19, exec_lo
	s_cmp_eq_u64 s[12:13], s[14:15]
	s_cbranch_scc0 .LBB683_723
; %bb.726:                              ;   in Loop: Header=BB683_725 Depth=1
	s_mov_b64 s[14:15], s[8:9]
                                        ; implicit-def: $vgpr57_vgpr58
                                        ; implicit-def: $vgpr61_vgpr62
	s_branch .LBB683_724
.LBB683_727:
	s_set_inst_prefetch_distance 0x2
	s_or_b32 exec_lo, exec_lo, s18
	v_cmp_gt_i64_e32 vcc_lo, s[8:9], v[63:64]
	s_mov_b32 s0, 0
	s_delay_alu instid0(SALU_CYCLE_1)
	v_mov_b32_e32 v126, s0
	v_cndmask_b32_e64 v125, 0, 1, vcc_lo
.LBB683_728:
	s_or_b32 exec_lo, exec_lo, s3
.LBB683_729:
	v_mul_lo_u32 v61, v48, s8
	v_mul_lo_u32 v62, v47, s9
	v_mad_u64_u32 v[57:58], null, v47, s8, 0
	v_cmp_ne_u32_e32 vcc_lo, 1, v65
	s_delay_alu instid0(VALU_DEP_2) | instskip(NEXT) | instid1(VALU_DEP_1)
	v_add3_u32 v58, v58, v62, v61
	v_lshlrev_b64 v[57:58], 1, v[57:58]
	s_cbranch_vccnz .LBB683_738
; %bb.730:
	v_add_co_u32 v61, vcc_lo, s10, v59
	v_add_co_ci_u32_e32 v62, vcc_lo, s11, v60, vcc_lo
	s_delay_alu instid0(VALU_DEP_3) | instskip(NEXT) | instid1(VALU_DEP_4)
	v_add_co_u32 v59, vcc_lo, s10, v57
	v_add_co_ci_u32_e32 v60, vcc_lo, s11, v58, vcc_lo
	v_mov_b32_e32 v127, 1
	s_clause 0x1
	global_load_u16 v63, v[61:62], off
	global_load_u16 v64, v[59:60], off
	v_mov_b32_e32 v128, 0
	s_mov_b32 s3, exec_lo
	s_waitcnt vmcnt(0)
	v_cmpx_eq_u16_e64 v63, v64
	s_cbranch_execz .LBB683_737
; %bb.731:
	v_add_co_u32 v59, vcc_lo, v59, 2
	v_add_co_ci_u32_e32 v60, vcc_lo, 0, v60, vcc_lo
	v_add_co_u32 v61, vcc_lo, v61, 2
	v_add_co_ci_u32_e32 v62, vcc_lo, 0, v62, vcc_lo
	s_add_u32 s12, s8, -1
	s_addc_u32 s13, s9, -1
	s_mov_b64 s[14:15], 0
	s_mov_b32 s18, 0
                                        ; implicit-def: $sgpr19
	s_set_inst_prefetch_distance 0x1
	s_branch .LBB683_734
	.p2align	6
.LBB683_732:                            ;   in Loop: Header=BB683_734 Depth=1
	global_load_u16 v63, v[61:62], off
	global_load_u16 v64, v[59:60], off
	v_add_co_u32 v59, vcc_lo, v59, 2
	v_add_co_ci_u32_e32 v60, vcc_lo, 0, v60, vcc_lo
	v_add_co_u32 v61, s0, v61, 2
	s_delay_alu instid0(VALU_DEP_1)
	v_add_co_ci_u32_e64 v62, s0, 0, v62, s0
	s_add_u32 s14, s14, 1
	s_addc_u32 s15, s15, 0
	s_and_not1_b32 s0, s19, exec_lo
	s_waitcnt vmcnt(0)
	v_cmp_ne_u16_e32 vcc_lo, v63, v64
	s_and_b32 s19, vcc_lo, exec_lo
	s_delay_alu instid0(SALU_CYCLE_1)
	s_or_b32 s19, s0, s19
.LBB683_733:                            ;   in Loop: Header=BB683_734 Depth=1
	v_dual_mov_b32 v64, s15 :: v_dual_mov_b32 v63, s14
	s_and_b32 s0, exec_lo, s19
	s_delay_alu instid0(SALU_CYCLE_1) | instskip(NEXT) | instid1(SALU_CYCLE_1)
	s_or_b32 s18, s0, s18
	s_and_not1_b32 exec_lo, exec_lo, s18
	s_cbranch_execz .LBB683_736
.LBB683_734:                            ; =>This Inner Loop Header: Depth=1
	s_or_b32 s19, s19, exec_lo
	s_cmp_eq_u64 s[12:13], s[14:15]
	s_cbranch_scc0 .LBB683_732
; %bb.735:                              ;   in Loop: Header=BB683_734 Depth=1
	s_mov_b64 s[14:15], s[8:9]
                                        ; implicit-def: $vgpr59_vgpr60
                                        ; implicit-def: $vgpr61_vgpr62
	s_branch .LBB683_733
.LBB683_736:
	s_set_inst_prefetch_distance 0x2
	s_or_b32 exec_lo, exec_lo, s18
	v_cmp_gt_i64_e32 vcc_lo, s[8:9], v[63:64]
	s_mov_b32 s0, 0
	s_delay_alu instid0(SALU_CYCLE_1)
	v_mov_b32_e32 v128, s0
	v_cndmask_b32_e64 v127, 0, 1, vcc_lo
.LBB683_737:
	s_or_b32 exec_lo, exec_lo, s3
.LBB683_738:
	v_mul_lo_u32 v61, v46, s8
	v_mul_lo_u32 v62, v45, s9
	v_mad_u64_u32 v[59:60], null, v45, s8, 0
	v_mov_b32_e32 v131, 0
	v_mov_b32_e32 v132, 0
	v_cmp_ne_u32_e32 vcc_lo, 1, v65
	s_delay_alu instid0(VALU_DEP_2) | instskip(SKIP_1) | instid1(VALU_DEP_1)
	v_dual_mov_b32 v129, v131 :: v_dual_mov_b32 v130, v132
	v_add3_u32 v60, v60, v62, v61
	v_lshlrev_b64 v[59:60], 1, v[59:60]
	s_cbranch_vccnz .LBB683_747
; %bb.739:
	v_add_co_u32 v61, vcc_lo, s10, v57
	v_add_co_ci_u32_e32 v62, vcc_lo, s11, v58, vcc_lo
	s_delay_alu instid0(VALU_DEP_3) | instskip(NEXT) | instid1(VALU_DEP_4)
	v_add_co_u32 v57, vcc_lo, s10, v59
	v_add_co_ci_u32_e32 v58, vcc_lo, s11, v60, vcc_lo
	v_mov_b32_e32 v129, 1
	s_clause 0x1
	global_load_u16 v63, v[61:62], off
	global_load_u16 v64, v[57:58], off
	v_mov_b32_e32 v130, 0
	s_mov_b32 s3, exec_lo
	s_waitcnt vmcnt(0)
	v_cmpx_eq_u16_e64 v63, v64
	s_cbranch_execz .LBB683_746
; %bb.740:
	v_add_co_u32 v57, vcc_lo, v57, 2
	v_add_co_ci_u32_e32 v58, vcc_lo, 0, v58, vcc_lo
	v_add_co_u32 v61, vcc_lo, v61, 2
	v_add_co_ci_u32_e32 v62, vcc_lo, 0, v62, vcc_lo
	s_add_u32 s12, s8, -1
	s_addc_u32 s13, s9, -1
	s_mov_b64 s[14:15], 0
	s_mov_b32 s18, 0
                                        ; implicit-def: $sgpr19
	s_set_inst_prefetch_distance 0x1
	s_branch .LBB683_743
	.p2align	6
.LBB683_741:                            ;   in Loop: Header=BB683_743 Depth=1
	global_load_u16 v63, v[61:62], off
	global_load_u16 v64, v[57:58], off
	v_add_co_u32 v57, vcc_lo, v57, 2
	v_add_co_ci_u32_e32 v58, vcc_lo, 0, v58, vcc_lo
	v_add_co_u32 v61, s0, v61, 2
	s_delay_alu instid0(VALU_DEP_1)
	v_add_co_ci_u32_e64 v62, s0, 0, v62, s0
	s_add_u32 s14, s14, 1
	s_addc_u32 s15, s15, 0
	s_and_not1_b32 s0, s19, exec_lo
	s_waitcnt vmcnt(0)
	v_cmp_ne_u16_e32 vcc_lo, v63, v64
	s_and_b32 s19, vcc_lo, exec_lo
	s_delay_alu instid0(SALU_CYCLE_1)
	s_or_b32 s19, s0, s19
.LBB683_742:                            ;   in Loop: Header=BB683_743 Depth=1
	v_dual_mov_b32 v64, s15 :: v_dual_mov_b32 v63, s14
	s_and_b32 s0, exec_lo, s19
	s_delay_alu instid0(SALU_CYCLE_1) | instskip(NEXT) | instid1(SALU_CYCLE_1)
	s_or_b32 s18, s0, s18
	s_and_not1_b32 exec_lo, exec_lo, s18
	s_cbranch_execz .LBB683_745
.LBB683_743:                            ; =>This Inner Loop Header: Depth=1
	s_or_b32 s19, s19, exec_lo
	s_cmp_eq_u64 s[12:13], s[14:15]
	s_cbranch_scc0 .LBB683_741
; %bb.744:                              ;   in Loop: Header=BB683_743 Depth=1
	s_mov_b64 s[14:15], s[8:9]
                                        ; implicit-def: $vgpr57_vgpr58
                                        ; implicit-def: $vgpr61_vgpr62
	s_branch .LBB683_742
.LBB683_745:
	s_set_inst_prefetch_distance 0x2
	s_or_b32 exec_lo, exec_lo, s18
	v_cmp_gt_i64_e32 vcc_lo, s[8:9], v[63:64]
	s_mov_b32 s0, 0
	s_delay_alu instid0(SALU_CYCLE_1)
	v_mov_b32_e32 v130, s0
	v_cndmask_b32_e64 v129, 0, 1, vcc_lo
.LBB683_746:
	s_or_b32 exec_lo, exec_lo, s3
.LBB683_747:
	v_mul_lo_u32 v61, v44, s8
	v_mul_lo_u32 v62, v43, s9
	v_mad_u64_u32 v[57:58], null, v43, s8, 0
	v_cmp_ne_u32_e32 vcc_lo, 1, v65
	s_delay_alu instid0(VALU_DEP_2) | instskip(NEXT) | instid1(VALU_DEP_1)
	v_add3_u32 v58, v58, v62, v61
	v_lshlrev_b64 v[57:58], 1, v[57:58]
	s_cbranch_vccnz .LBB683_756
; %bb.748:
	v_add_co_u32 v61, vcc_lo, s10, v59
	v_add_co_ci_u32_e32 v62, vcc_lo, s11, v60, vcc_lo
	s_delay_alu instid0(VALU_DEP_3) | instskip(NEXT) | instid1(VALU_DEP_4)
	v_add_co_u32 v59, vcc_lo, s10, v57
	v_add_co_ci_u32_e32 v60, vcc_lo, s11, v58, vcc_lo
	v_mov_b32_e32 v131, 1
	s_clause 0x1
	global_load_u16 v63, v[61:62], off
	global_load_u16 v64, v[59:60], off
	v_mov_b32_e32 v132, 0
	s_mov_b32 s3, exec_lo
	s_waitcnt vmcnt(0)
	v_cmpx_eq_u16_e64 v63, v64
	s_cbranch_execz .LBB683_755
; %bb.749:
	v_add_co_u32 v59, vcc_lo, v59, 2
	v_add_co_ci_u32_e32 v60, vcc_lo, 0, v60, vcc_lo
	v_add_co_u32 v61, vcc_lo, v61, 2
	v_add_co_ci_u32_e32 v62, vcc_lo, 0, v62, vcc_lo
	s_add_u32 s12, s8, -1
	s_addc_u32 s13, s9, -1
	s_mov_b64 s[14:15], 0
	s_mov_b32 s18, 0
                                        ; implicit-def: $sgpr19
	s_set_inst_prefetch_distance 0x1
	s_branch .LBB683_752
	.p2align	6
.LBB683_750:                            ;   in Loop: Header=BB683_752 Depth=1
	global_load_u16 v63, v[61:62], off
	global_load_u16 v64, v[59:60], off
	v_add_co_u32 v59, vcc_lo, v59, 2
	v_add_co_ci_u32_e32 v60, vcc_lo, 0, v60, vcc_lo
	v_add_co_u32 v61, s0, v61, 2
	s_delay_alu instid0(VALU_DEP_1)
	v_add_co_ci_u32_e64 v62, s0, 0, v62, s0
	s_add_u32 s14, s14, 1
	s_addc_u32 s15, s15, 0
	s_and_not1_b32 s0, s19, exec_lo
	s_waitcnt vmcnt(0)
	v_cmp_ne_u16_e32 vcc_lo, v63, v64
	s_and_b32 s19, vcc_lo, exec_lo
	s_delay_alu instid0(SALU_CYCLE_1)
	s_or_b32 s19, s0, s19
.LBB683_751:                            ;   in Loop: Header=BB683_752 Depth=1
	v_dual_mov_b32 v64, s15 :: v_dual_mov_b32 v63, s14
	s_and_b32 s0, exec_lo, s19
	s_delay_alu instid0(SALU_CYCLE_1) | instskip(NEXT) | instid1(SALU_CYCLE_1)
	s_or_b32 s18, s0, s18
	s_and_not1_b32 exec_lo, exec_lo, s18
	s_cbranch_execz .LBB683_754
.LBB683_752:                            ; =>This Inner Loop Header: Depth=1
	s_or_b32 s19, s19, exec_lo
	s_cmp_eq_u64 s[12:13], s[14:15]
	s_cbranch_scc0 .LBB683_750
; %bb.753:                              ;   in Loop: Header=BB683_752 Depth=1
	s_mov_b64 s[14:15], s[8:9]
                                        ; implicit-def: $vgpr59_vgpr60
                                        ; implicit-def: $vgpr61_vgpr62
	s_branch .LBB683_751
.LBB683_754:
	s_set_inst_prefetch_distance 0x2
	s_or_b32 exec_lo, exec_lo, s18
	v_cmp_gt_i64_e32 vcc_lo, s[8:9], v[63:64]
	s_mov_b32 s0, 0
	s_delay_alu instid0(SALU_CYCLE_1)
	v_mov_b32_e32 v132, s0
	v_cndmask_b32_e64 v131, 0, 1, vcc_lo
.LBB683_755:
	s_or_b32 exec_lo, exec_lo, s3
.LBB683_756:
	v_mul_lo_u32 v61, v42, s8
	v_mul_lo_u32 v62, v41, s9
	v_mad_u64_u32 v[59:60], null, v41, s8, 0
	v_mov_b32_e32 v135, 0
	v_mov_b32_e32 v136, 0
	v_cmp_ne_u32_e32 vcc_lo, 1, v65
	s_delay_alu instid0(VALU_DEP_2) | instskip(SKIP_1) | instid1(VALU_DEP_1)
	v_dual_mov_b32 v133, v135 :: v_dual_mov_b32 v134, v136
	v_add3_u32 v60, v60, v62, v61
	v_lshlrev_b64 v[59:60], 1, v[59:60]
	s_cbranch_vccnz .LBB683_765
; %bb.757:
	v_add_co_u32 v61, vcc_lo, s10, v57
	v_add_co_ci_u32_e32 v62, vcc_lo, s11, v58, vcc_lo
	s_delay_alu instid0(VALU_DEP_3) | instskip(NEXT) | instid1(VALU_DEP_4)
	v_add_co_u32 v57, vcc_lo, s10, v59
	v_add_co_ci_u32_e32 v58, vcc_lo, s11, v60, vcc_lo
	v_mov_b32_e32 v133, 1
	s_clause 0x1
	global_load_u16 v63, v[61:62], off
	global_load_u16 v64, v[57:58], off
	v_mov_b32_e32 v134, 0
	s_mov_b32 s3, exec_lo
	s_waitcnt vmcnt(0)
	v_cmpx_eq_u16_e64 v63, v64
	s_cbranch_execz .LBB683_764
; %bb.758:
	v_add_co_u32 v57, vcc_lo, v57, 2
	v_add_co_ci_u32_e32 v58, vcc_lo, 0, v58, vcc_lo
	v_add_co_u32 v61, vcc_lo, v61, 2
	v_add_co_ci_u32_e32 v62, vcc_lo, 0, v62, vcc_lo
	s_add_u32 s12, s8, -1
	s_addc_u32 s13, s9, -1
	s_mov_b64 s[14:15], 0
	s_mov_b32 s18, 0
                                        ; implicit-def: $sgpr19
	s_set_inst_prefetch_distance 0x1
	s_branch .LBB683_761
	.p2align	6
.LBB683_759:                            ;   in Loop: Header=BB683_761 Depth=1
	global_load_u16 v63, v[61:62], off
	global_load_u16 v64, v[57:58], off
	v_add_co_u32 v57, vcc_lo, v57, 2
	v_add_co_ci_u32_e32 v58, vcc_lo, 0, v58, vcc_lo
	v_add_co_u32 v61, s0, v61, 2
	s_delay_alu instid0(VALU_DEP_1)
	v_add_co_ci_u32_e64 v62, s0, 0, v62, s0
	s_add_u32 s14, s14, 1
	s_addc_u32 s15, s15, 0
	s_and_not1_b32 s0, s19, exec_lo
	s_waitcnt vmcnt(0)
	v_cmp_ne_u16_e32 vcc_lo, v63, v64
	s_and_b32 s19, vcc_lo, exec_lo
	s_delay_alu instid0(SALU_CYCLE_1)
	s_or_b32 s19, s0, s19
.LBB683_760:                            ;   in Loop: Header=BB683_761 Depth=1
	v_dual_mov_b32 v64, s15 :: v_dual_mov_b32 v63, s14
	s_and_b32 s0, exec_lo, s19
	s_delay_alu instid0(SALU_CYCLE_1) | instskip(NEXT) | instid1(SALU_CYCLE_1)
	s_or_b32 s18, s0, s18
	s_and_not1_b32 exec_lo, exec_lo, s18
	s_cbranch_execz .LBB683_763
.LBB683_761:                            ; =>This Inner Loop Header: Depth=1
	s_or_b32 s19, s19, exec_lo
	s_cmp_eq_u64 s[12:13], s[14:15]
	s_cbranch_scc0 .LBB683_759
; %bb.762:                              ;   in Loop: Header=BB683_761 Depth=1
	s_mov_b64 s[14:15], s[8:9]
                                        ; implicit-def: $vgpr57_vgpr58
                                        ; implicit-def: $vgpr61_vgpr62
	s_branch .LBB683_760
.LBB683_763:
	s_set_inst_prefetch_distance 0x2
	s_or_b32 exec_lo, exec_lo, s18
	v_cmp_gt_i64_e32 vcc_lo, s[8:9], v[63:64]
	s_mov_b32 s0, 0
	s_delay_alu instid0(SALU_CYCLE_1)
	v_mov_b32_e32 v134, s0
	v_cndmask_b32_e64 v133, 0, 1, vcc_lo
.LBB683_764:
	s_or_b32 exec_lo, exec_lo, s3
.LBB683_765:
	v_mul_lo_u32 v61, v40, s8
	v_mul_lo_u32 v62, v39, s9
	v_mad_u64_u32 v[57:58], null, v39, s8, 0
	v_cmp_ne_u32_e32 vcc_lo, 1, v65
	s_delay_alu instid0(VALU_DEP_2) | instskip(NEXT) | instid1(VALU_DEP_1)
	v_add3_u32 v58, v58, v62, v61
	v_lshlrev_b64 v[57:58], 1, v[57:58]
	s_cbranch_vccnz .LBB683_774
; %bb.766:
	v_add_co_u32 v61, vcc_lo, s10, v59
	v_add_co_ci_u32_e32 v62, vcc_lo, s11, v60, vcc_lo
	s_delay_alu instid0(VALU_DEP_3) | instskip(NEXT) | instid1(VALU_DEP_4)
	v_add_co_u32 v59, vcc_lo, s10, v57
	v_add_co_ci_u32_e32 v60, vcc_lo, s11, v58, vcc_lo
	v_mov_b32_e32 v135, 1
	s_clause 0x1
	global_load_u16 v63, v[61:62], off
	global_load_u16 v64, v[59:60], off
	v_mov_b32_e32 v136, 0
	s_mov_b32 s3, exec_lo
	s_waitcnt vmcnt(0)
	v_cmpx_eq_u16_e64 v63, v64
	s_cbranch_execz .LBB683_773
; %bb.767:
	v_add_co_u32 v59, vcc_lo, v59, 2
	v_add_co_ci_u32_e32 v60, vcc_lo, 0, v60, vcc_lo
	v_add_co_u32 v61, vcc_lo, v61, 2
	v_add_co_ci_u32_e32 v62, vcc_lo, 0, v62, vcc_lo
	s_add_u32 s12, s8, -1
	s_addc_u32 s13, s9, -1
	s_mov_b64 s[14:15], 0
	s_mov_b32 s18, 0
                                        ; implicit-def: $sgpr19
	s_set_inst_prefetch_distance 0x1
	s_branch .LBB683_770
	.p2align	6
.LBB683_768:                            ;   in Loop: Header=BB683_770 Depth=1
	global_load_u16 v63, v[61:62], off
	global_load_u16 v64, v[59:60], off
	v_add_co_u32 v59, vcc_lo, v59, 2
	v_add_co_ci_u32_e32 v60, vcc_lo, 0, v60, vcc_lo
	v_add_co_u32 v61, s0, v61, 2
	s_delay_alu instid0(VALU_DEP_1)
	v_add_co_ci_u32_e64 v62, s0, 0, v62, s0
	s_add_u32 s14, s14, 1
	s_addc_u32 s15, s15, 0
	s_and_not1_b32 s0, s19, exec_lo
	s_waitcnt vmcnt(0)
	v_cmp_ne_u16_e32 vcc_lo, v63, v64
	s_and_b32 s19, vcc_lo, exec_lo
	s_delay_alu instid0(SALU_CYCLE_1)
	s_or_b32 s19, s0, s19
.LBB683_769:                            ;   in Loop: Header=BB683_770 Depth=1
	v_dual_mov_b32 v64, s15 :: v_dual_mov_b32 v63, s14
	s_and_b32 s0, exec_lo, s19
	s_delay_alu instid0(SALU_CYCLE_1) | instskip(NEXT) | instid1(SALU_CYCLE_1)
	s_or_b32 s18, s0, s18
	s_and_not1_b32 exec_lo, exec_lo, s18
	s_cbranch_execz .LBB683_772
.LBB683_770:                            ; =>This Inner Loop Header: Depth=1
	s_or_b32 s19, s19, exec_lo
	s_cmp_eq_u64 s[12:13], s[14:15]
	s_cbranch_scc0 .LBB683_768
; %bb.771:                              ;   in Loop: Header=BB683_770 Depth=1
	s_mov_b64 s[14:15], s[8:9]
                                        ; implicit-def: $vgpr59_vgpr60
                                        ; implicit-def: $vgpr61_vgpr62
	s_branch .LBB683_769
.LBB683_772:
	s_set_inst_prefetch_distance 0x2
	s_or_b32 exec_lo, exec_lo, s18
	v_cmp_gt_i64_e32 vcc_lo, s[8:9], v[63:64]
	s_mov_b32 s0, 0
	s_delay_alu instid0(SALU_CYCLE_1)
	v_mov_b32_e32 v136, s0
	v_cndmask_b32_e64 v135, 0, 1, vcc_lo
.LBB683_773:
	s_or_b32 exec_lo, exec_lo, s3
.LBB683_774:
	v_mul_lo_u32 v61, v38, s8
	v_mul_lo_u32 v62, v37, s9
	v_mad_u64_u32 v[59:60], null, v37, s8, 0
	v_mov_b32_e32 v139, 0
	v_mov_b32_e32 v140, 0
	v_cmp_ne_u32_e32 vcc_lo, 1, v65
	s_delay_alu instid0(VALU_DEP_2) | instskip(SKIP_1) | instid1(VALU_DEP_1)
	v_dual_mov_b32 v137, v139 :: v_dual_mov_b32 v138, v140
	v_add3_u32 v60, v60, v62, v61
	v_lshlrev_b64 v[59:60], 1, v[59:60]
	s_cbranch_vccnz .LBB683_783
; %bb.775:
	v_add_co_u32 v61, vcc_lo, s10, v57
	v_add_co_ci_u32_e32 v62, vcc_lo, s11, v58, vcc_lo
	s_delay_alu instid0(VALU_DEP_3) | instskip(NEXT) | instid1(VALU_DEP_4)
	v_add_co_u32 v57, vcc_lo, s10, v59
	v_add_co_ci_u32_e32 v58, vcc_lo, s11, v60, vcc_lo
	v_mov_b32_e32 v137, 1
	s_clause 0x1
	global_load_u16 v63, v[61:62], off
	global_load_u16 v64, v[57:58], off
	v_mov_b32_e32 v138, 0
	s_mov_b32 s3, exec_lo
	s_waitcnt vmcnt(0)
	v_cmpx_eq_u16_e64 v63, v64
	s_cbranch_execz .LBB683_782
; %bb.776:
	v_add_co_u32 v57, vcc_lo, v57, 2
	v_add_co_ci_u32_e32 v58, vcc_lo, 0, v58, vcc_lo
	v_add_co_u32 v61, vcc_lo, v61, 2
	v_add_co_ci_u32_e32 v62, vcc_lo, 0, v62, vcc_lo
	s_add_u32 s12, s8, -1
	s_addc_u32 s13, s9, -1
	s_mov_b64 s[14:15], 0
	s_mov_b32 s18, 0
                                        ; implicit-def: $sgpr19
	s_set_inst_prefetch_distance 0x1
	s_branch .LBB683_779
	.p2align	6
.LBB683_777:                            ;   in Loop: Header=BB683_779 Depth=1
	global_load_u16 v63, v[61:62], off
	global_load_u16 v64, v[57:58], off
	v_add_co_u32 v57, vcc_lo, v57, 2
	v_add_co_ci_u32_e32 v58, vcc_lo, 0, v58, vcc_lo
	v_add_co_u32 v61, s0, v61, 2
	s_delay_alu instid0(VALU_DEP_1)
	v_add_co_ci_u32_e64 v62, s0, 0, v62, s0
	s_add_u32 s14, s14, 1
	s_addc_u32 s15, s15, 0
	s_and_not1_b32 s0, s19, exec_lo
	s_waitcnt vmcnt(0)
	v_cmp_ne_u16_e32 vcc_lo, v63, v64
	s_and_b32 s19, vcc_lo, exec_lo
	s_delay_alu instid0(SALU_CYCLE_1)
	s_or_b32 s19, s0, s19
.LBB683_778:                            ;   in Loop: Header=BB683_779 Depth=1
	v_dual_mov_b32 v64, s15 :: v_dual_mov_b32 v63, s14
	s_and_b32 s0, exec_lo, s19
	s_delay_alu instid0(SALU_CYCLE_1) | instskip(NEXT) | instid1(SALU_CYCLE_1)
	s_or_b32 s18, s0, s18
	s_and_not1_b32 exec_lo, exec_lo, s18
	s_cbranch_execz .LBB683_781
.LBB683_779:                            ; =>This Inner Loop Header: Depth=1
	s_or_b32 s19, s19, exec_lo
	s_cmp_eq_u64 s[12:13], s[14:15]
	s_cbranch_scc0 .LBB683_777
; %bb.780:                              ;   in Loop: Header=BB683_779 Depth=1
	s_mov_b64 s[14:15], s[8:9]
                                        ; implicit-def: $vgpr57_vgpr58
                                        ; implicit-def: $vgpr61_vgpr62
	s_branch .LBB683_778
.LBB683_781:
	s_set_inst_prefetch_distance 0x2
	s_or_b32 exec_lo, exec_lo, s18
	v_cmp_gt_i64_e32 vcc_lo, s[8:9], v[63:64]
	s_mov_b32 s0, 0
	s_delay_alu instid0(SALU_CYCLE_1)
	v_mov_b32_e32 v138, s0
	v_cndmask_b32_e64 v137, 0, 1, vcc_lo
.LBB683_782:
	s_or_b32 exec_lo, exec_lo, s3
.LBB683_783:
	v_mul_lo_u32 v61, v36, s8
	v_mul_lo_u32 v62, v35, s9
	v_mad_u64_u32 v[57:58], null, v35, s8, 0
	v_cmp_ne_u32_e32 vcc_lo, 1, v65
	s_delay_alu instid0(VALU_DEP_2) | instskip(NEXT) | instid1(VALU_DEP_1)
	v_add3_u32 v58, v58, v62, v61
	v_lshlrev_b64 v[57:58], 1, v[57:58]
	s_cbranch_vccnz .LBB683_792
; %bb.784:
	v_add_co_u32 v61, vcc_lo, s10, v59
	v_add_co_ci_u32_e32 v62, vcc_lo, s11, v60, vcc_lo
	s_delay_alu instid0(VALU_DEP_3) | instskip(NEXT) | instid1(VALU_DEP_4)
	v_add_co_u32 v59, vcc_lo, s10, v57
	v_add_co_ci_u32_e32 v60, vcc_lo, s11, v58, vcc_lo
	v_mov_b32_e32 v139, 1
	s_clause 0x1
	global_load_u16 v63, v[61:62], off
	global_load_u16 v64, v[59:60], off
	v_mov_b32_e32 v140, 0
	s_mov_b32 s3, exec_lo
	s_waitcnt vmcnt(0)
	v_cmpx_eq_u16_e64 v63, v64
	s_cbranch_execz .LBB683_791
; %bb.785:
	v_add_co_u32 v59, vcc_lo, v59, 2
	v_add_co_ci_u32_e32 v60, vcc_lo, 0, v60, vcc_lo
	v_add_co_u32 v61, vcc_lo, v61, 2
	v_add_co_ci_u32_e32 v62, vcc_lo, 0, v62, vcc_lo
	s_add_u32 s12, s8, -1
	s_addc_u32 s13, s9, -1
	s_mov_b64 s[14:15], 0
	s_mov_b32 s18, 0
                                        ; implicit-def: $sgpr19
	s_set_inst_prefetch_distance 0x1
	s_branch .LBB683_788
	.p2align	6
.LBB683_786:                            ;   in Loop: Header=BB683_788 Depth=1
	global_load_u16 v63, v[61:62], off
	global_load_u16 v64, v[59:60], off
	v_add_co_u32 v59, vcc_lo, v59, 2
	v_add_co_ci_u32_e32 v60, vcc_lo, 0, v60, vcc_lo
	v_add_co_u32 v61, s0, v61, 2
	s_delay_alu instid0(VALU_DEP_1)
	v_add_co_ci_u32_e64 v62, s0, 0, v62, s0
	s_add_u32 s14, s14, 1
	s_addc_u32 s15, s15, 0
	s_and_not1_b32 s0, s19, exec_lo
	s_waitcnt vmcnt(0)
	v_cmp_ne_u16_e32 vcc_lo, v63, v64
	s_and_b32 s19, vcc_lo, exec_lo
	s_delay_alu instid0(SALU_CYCLE_1)
	s_or_b32 s19, s0, s19
.LBB683_787:                            ;   in Loop: Header=BB683_788 Depth=1
	v_dual_mov_b32 v64, s15 :: v_dual_mov_b32 v63, s14
	s_and_b32 s0, exec_lo, s19
	s_delay_alu instid0(SALU_CYCLE_1) | instskip(NEXT) | instid1(SALU_CYCLE_1)
	s_or_b32 s18, s0, s18
	s_and_not1_b32 exec_lo, exec_lo, s18
	s_cbranch_execz .LBB683_790
.LBB683_788:                            ; =>This Inner Loop Header: Depth=1
	s_or_b32 s19, s19, exec_lo
	s_cmp_eq_u64 s[12:13], s[14:15]
	s_cbranch_scc0 .LBB683_786
; %bb.789:                              ;   in Loop: Header=BB683_788 Depth=1
	s_mov_b64 s[14:15], s[8:9]
                                        ; implicit-def: $vgpr59_vgpr60
                                        ; implicit-def: $vgpr61_vgpr62
	s_branch .LBB683_787
.LBB683_790:
	s_set_inst_prefetch_distance 0x2
	s_or_b32 exec_lo, exec_lo, s18
	v_cmp_gt_i64_e32 vcc_lo, s[8:9], v[63:64]
	s_mov_b32 s0, 0
	s_delay_alu instid0(SALU_CYCLE_1)
	v_mov_b32_e32 v140, s0
	v_cndmask_b32_e64 v139, 0, 1, vcc_lo
.LBB683_791:
	s_or_b32 exec_lo, exec_lo, s3
.LBB683_792:
	v_mul_lo_u32 v61, v34, s8
	v_mul_lo_u32 v62, v33, s9
	v_mad_u64_u32 v[59:60], null, v33, s8, 0
	v_mov_b32_e32 v143, 0
	v_mov_b32_e32 v144, 0
	v_cmp_ne_u32_e32 vcc_lo, 1, v65
	s_delay_alu instid0(VALU_DEP_2) | instskip(SKIP_1) | instid1(VALU_DEP_1)
	v_dual_mov_b32 v141, v143 :: v_dual_mov_b32 v142, v144
	v_add3_u32 v60, v60, v62, v61
	v_lshlrev_b64 v[59:60], 1, v[59:60]
	s_cbranch_vccnz .LBB683_801
; %bb.793:
	v_add_co_u32 v61, vcc_lo, s10, v57
	v_add_co_ci_u32_e32 v62, vcc_lo, s11, v58, vcc_lo
	s_delay_alu instid0(VALU_DEP_3) | instskip(NEXT) | instid1(VALU_DEP_4)
	v_add_co_u32 v57, vcc_lo, s10, v59
	v_add_co_ci_u32_e32 v58, vcc_lo, s11, v60, vcc_lo
	v_mov_b32_e32 v141, 1
	s_clause 0x1
	global_load_u16 v63, v[61:62], off
	global_load_u16 v64, v[57:58], off
	v_mov_b32_e32 v142, 0
	s_mov_b32 s3, exec_lo
	s_waitcnt vmcnt(0)
	v_cmpx_eq_u16_e64 v63, v64
	s_cbranch_execz .LBB683_800
; %bb.794:
	v_add_co_u32 v57, vcc_lo, v57, 2
	v_add_co_ci_u32_e32 v58, vcc_lo, 0, v58, vcc_lo
	v_add_co_u32 v61, vcc_lo, v61, 2
	v_add_co_ci_u32_e32 v62, vcc_lo, 0, v62, vcc_lo
	s_add_u32 s12, s8, -1
	s_addc_u32 s13, s9, -1
	s_mov_b64 s[14:15], 0
	s_mov_b32 s18, 0
                                        ; implicit-def: $sgpr19
	s_set_inst_prefetch_distance 0x1
	s_branch .LBB683_797
	.p2align	6
.LBB683_795:                            ;   in Loop: Header=BB683_797 Depth=1
	global_load_u16 v63, v[61:62], off
	global_load_u16 v64, v[57:58], off
	v_add_co_u32 v57, vcc_lo, v57, 2
	v_add_co_ci_u32_e32 v58, vcc_lo, 0, v58, vcc_lo
	v_add_co_u32 v61, s0, v61, 2
	s_delay_alu instid0(VALU_DEP_1)
	v_add_co_ci_u32_e64 v62, s0, 0, v62, s0
	s_add_u32 s14, s14, 1
	s_addc_u32 s15, s15, 0
	s_and_not1_b32 s0, s19, exec_lo
	s_waitcnt vmcnt(0)
	v_cmp_ne_u16_e32 vcc_lo, v63, v64
	s_and_b32 s19, vcc_lo, exec_lo
	s_delay_alu instid0(SALU_CYCLE_1)
	s_or_b32 s19, s0, s19
.LBB683_796:                            ;   in Loop: Header=BB683_797 Depth=1
	v_dual_mov_b32 v64, s15 :: v_dual_mov_b32 v63, s14
	s_and_b32 s0, exec_lo, s19
	s_delay_alu instid0(SALU_CYCLE_1) | instskip(NEXT) | instid1(SALU_CYCLE_1)
	s_or_b32 s18, s0, s18
	s_and_not1_b32 exec_lo, exec_lo, s18
	s_cbranch_execz .LBB683_799
.LBB683_797:                            ; =>This Inner Loop Header: Depth=1
	s_or_b32 s19, s19, exec_lo
	s_cmp_eq_u64 s[12:13], s[14:15]
	s_cbranch_scc0 .LBB683_795
; %bb.798:                              ;   in Loop: Header=BB683_797 Depth=1
	s_mov_b64 s[14:15], s[8:9]
                                        ; implicit-def: $vgpr57_vgpr58
                                        ; implicit-def: $vgpr61_vgpr62
	s_branch .LBB683_796
.LBB683_799:
	s_set_inst_prefetch_distance 0x2
	s_or_b32 exec_lo, exec_lo, s18
	v_cmp_gt_i64_e32 vcc_lo, s[8:9], v[63:64]
	s_mov_b32 s0, 0
	s_delay_alu instid0(SALU_CYCLE_1)
	v_mov_b32_e32 v142, s0
	v_cndmask_b32_e64 v141, 0, 1, vcc_lo
.LBB683_800:
	s_or_b32 exec_lo, exec_lo, s3
.LBB683_801:
	v_mul_lo_u32 v61, v32, s8
	v_mul_lo_u32 v62, v31, s9
	v_mad_u64_u32 v[57:58], null, v31, s8, 0
	v_cmp_ne_u32_e32 vcc_lo, 1, v65
	s_delay_alu instid0(VALU_DEP_2) | instskip(NEXT) | instid1(VALU_DEP_1)
	v_add3_u32 v58, v58, v62, v61
	v_lshlrev_b64 v[57:58], 1, v[57:58]
	s_cbranch_vccnz .LBB683_810
; %bb.802:
	v_add_co_u32 v61, vcc_lo, s10, v59
	v_add_co_ci_u32_e32 v62, vcc_lo, s11, v60, vcc_lo
	s_delay_alu instid0(VALU_DEP_3) | instskip(NEXT) | instid1(VALU_DEP_4)
	v_add_co_u32 v59, vcc_lo, s10, v57
	v_add_co_ci_u32_e32 v60, vcc_lo, s11, v58, vcc_lo
	v_mov_b32_e32 v143, 1
	s_clause 0x1
	global_load_u16 v63, v[61:62], off
	global_load_u16 v64, v[59:60], off
	v_mov_b32_e32 v144, 0
	s_mov_b32 s3, exec_lo
	s_waitcnt vmcnt(0)
	v_cmpx_eq_u16_e64 v63, v64
	s_cbranch_execz .LBB683_809
; %bb.803:
	v_add_co_u32 v59, vcc_lo, v59, 2
	v_add_co_ci_u32_e32 v60, vcc_lo, 0, v60, vcc_lo
	v_add_co_u32 v61, vcc_lo, v61, 2
	v_add_co_ci_u32_e32 v62, vcc_lo, 0, v62, vcc_lo
	s_add_u32 s12, s8, -1
	s_addc_u32 s13, s9, -1
	s_mov_b64 s[14:15], 0
	s_mov_b32 s18, 0
                                        ; implicit-def: $sgpr19
	s_set_inst_prefetch_distance 0x1
	s_branch .LBB683_806
	.p2align	6
.LBB683_804:                            ;   in Loop: Header=BB683_806 Depth=1
	global_load_u16 v63, v[61:62], off
	global_load_u16 v64, v[59:60], off
	v_add_co_u32 v59, vcc_lo, v59, 2
	v_add_co_ci_u32_e32 v60, vcc_lo, 0, v60, vcc_lo
	v_add_co_u32 v61, s0, v61, 2
	s_delay_alu instid0(VALU_DEP_1)
	v_add_co_ci_u32_e64 v62, s0, 0, v62, s0
	s_add_u32 s14, s14, 1
	s_addc_u32 s15, s15, 0
	s_and_not1_b32 s0, s19, exec_lo
	s_waitcnt vmcnt(0)
	v_cmp_ne_u16_e32 vcc_lo, v63, v64
	s_and_b32 s19, vcc_lo, exec_lo
	s_delay_alu instid0(SALU_CYCLE_1)
	s_or_b32 s19, s0, s19
.LBB683_805:                            ;   in Loop: Header=BB683_806 Depth=1
	v_dual_mov_b32 v64, s15 :: v_dual_mov_b32 v63, s14
	s_and_b32 s0, exec_lo, s19
	s_delay_alu instid0(SALU_CYCLE_1) | instskip(NEXT) | instid1(SALU_CYCLE_1)
	s_or_b32 s18, s0, s18
	s_and_not1_b32 exec_lo, exec_lo, s18
	s_cbranch_execz .LBB683_808
.LBB683_806:                            ; =>This Inner Loop Header: Depth=1
	s_or_b32 s19, s19, exec_lo
	s_cmp_eq_u64 s[12:13], s[14:15]
	s_cbranch_scc0 .LBB683_804
; %bb.807:                              ;   in Loop: Header=BB683_806 Depth=1
	s_mov_b64 s[14:15], s[8:9]
                                        ; implicit-def: $vgpr59_vgpr60
                                        ; implicit-def: $vgpr61_vgpr62
	s_branch .LBB683_805
.LBB683_808:
	s_set_inst_prefetch_distance 0x2
	s_or_b32 exec_lo, exec_lo, s18
	v_cmp_gt_i64_e32 vcc_lo, s[8:9], v[63:64]
	s_mov_b32 s0, 0
	s_delay_alu instid0(SALU_CYCLE_1)
	v_mov_b32_e32 v144, s0
	v_cndmask_b32_e64 v143, 0, 1, vcc_lo
.LBB683_809:
	s_or_b32 exec_lo, exec_lo, s3
.LBB683_810:
	v_mul_lo_u32 v61, v30, s8
	v_mul_lo_u32 v62, v29, s9
	v_mad_u64_u32 v[59:60], null, v29, s8, 0
	v_mov_b32_e32 v147, 0
	v_mov_b32_e32 v148, 0
	v_cmp_ne_u32_e32 vcc_lo, 1, v65
	s_delay_alu instid0(VALU_DEP_2) | instskip(SKIP_1) | instid1(VALU_DEP_1)
	v_dual_mov_b32 v145, v147 :: v_dual_mov_b32 v146, v148
	v_add3_u32 v60, v60, v62, v61
	v_lshlrev_b64 v[59:60], 1, v[59:60]
	s_cbranch_vccnz .LBB683_819
; %bb.811:
	v_add_co_u32 v61, vcc_lo, s10, v57
	v_add_co_ci_u32_e32 v62, vcc_lo, s11, v58, vcc_lo
	s_delay_alu instid0(VALU_DEP_3) | instskip(NEXT) | instid1(VALU_DEP_4)
	v_add_co_u32 v57, vcc_lo, s10, v59
	v_add_co_ci_u32_e32 v58, vcc_lo, s11, v60, vcc_lo
	v_mov_b32_e32 v145, 1
	s_clause 0x1
	global_load_u16 v63, v[61:62], off
	global_load_u16 v64, v[57:58], off
	v_mov_b32_e32 v146, 0
	s_mov_b32 s3, exec_lo
	s_waitcnt vmcnt(0)
	v_cmpx_eq_u16_e64 v63, v64
	s_cbranch_execz .LBB683_818
; %bb.812:
	v_add_co_u32 v57, vcc_lo, v57, 2
	v_add_co_ci_u32_e32 v58, vcc_lo, 0, v58, vcc_lo
	v_add_co_u32 v61, vcc_lo, v61, 2
	v_add_co_ci_u32_e32 v62, vcc_lo, 0, v62, vcc_lo
	s_add_u32 s12, s8, -1
	s_addc_u32 s13, s9, -1
	s_mov_b64 s[14:15], 0
	s_mov_b32 s18, 0
                                        ; implicit-def: $sgpr19
	s_set_inst_prefetch_distance 0x1
	s_branch .LBB683_815
	.p2align	6
.LBB683_813:                            ;   in Loop: Header=BB683_815 Depth=1
	global_load_u16 v63, v[61:62], off
	global_load_u16 v64, v[57:58], off
	v_add_co_u32 v57, vcc_lo, v57, 2
	v_add_co_ci_u32_e32 v58, vcc_lo, 0, v58, vcc_lo
	v_add_co_u32 v61, s0, v61, 2
	s_delay_alu instid0(VALU_DEP_1)
	v_add_co_ci_u32_e64 v62, s0, 0, v62, s0
	s_add_u32 s14, s14, 1
	s_addc_u32 s15, s15, 0
	s_and_not1_b32 s0, s19, exec_lo
	s_waitcnt vmcnt(0)
	v_cmp_ne_u16_e32 vcc_lo, v63, v64
	s_and_b32 s19, vcc_lo, exec_lo
	s_delay_alu instid0(SALU_CYCLE_1)
	s_or_b32 s19, s0, s19
.LBB683_814:                            ;   in Loop: Header=BB683_815 Depth=1
	v_dual_mov_b32 v64, s15 :: v_dual_mov_b32 v63, s14
	s_and_b32 s0, exec_lo, s19
	s_delay_alu instid0(SALU_CYCLE_1) | instskip(NEXT) | instid1(SALU_CYCLE_1)
	s_or_b32 s18, s0, s18
	s_and_not1_b32 exec_lo, exec_lo, s18
	s_cbranch_execz .LBB683_817
.LBB683_815:                            ; =>This Inner Loop Header: Depth=1
	s_or_b32 s19, s19, exec_lo
	s_cmp_eq_u64 s[12:13], s[14:15]
	s_cbranch_scc0 .LBB683_813
; %bb.816:                              ;   in Loop: Header=BB683_815 Depth=1
	s_mov_b64 s[14:15], s[8:9]
                                        ; implicit-def: $vgpr57_vgpr58
                                        ; implicit-def: $vgpr61_vgpr62
	s_branch .LBB683_814
.LBB683_817:
	s_set_inst_prefetch_distance 0x2
	s_or_b32 exec_lo, exec_lo, s18
	v_cmp_gt_i64_e32 vcc_lo, s[8:9], v[63:64]
	s_mov_b32 s0, 0
	s_delay_alu instid0(SALU_CYCLE_1)
	v_mov_b32_e32 v146, s0
	v_cndmask_b32_e64 v145, 0, 1, vcc_lo
.LBB683_818:
	s_or_b32 exec_lo, exec_lo, s3
.LBB683_819:
	v_mul_lo_u32 v61, v28, s8
	v_mul_lo_u32 v62, v27, s9
	v_mad_u64_u32 v[57:58], null, v27, s8, 0
	v_cmp_ne_u32_e32 vcc_lo, 1, v65
	s_delay_alu instid0(VALU_DEP_2) | instskip(NEXT) | instid1(VALU_DEP_1)
	v_add3_u32 v58, v58, v62, v61
	v_lshlrev_b64 v[57:58], 1, v[57:58]
	s_cbranch_vccnz .LBB683_828
; %bb.820:
	v_add_co_u32 v61, vcc_lo, s10, v59
	v_add_co_ci_u32_e32 v62, vcc_lo, s11, v60, vcc_lo
	s_delay_alu instid0(VALU_DEP_3) | instskip(NEXT) | instid1(VALU_DEP_4)
	v_add_co_u32 v59, vcc_lo, s10, v57
	v_add_co_ci_u32_e32 v60, vcc_lo, s11, v58, vcc_lo
	v_mov_b32_e32 v147, 1
	s_clause 0x1
	global_load_u16 v63, v[61:62], off
	global_load_u16 v64, v[59:60], off
	v_mov_b32_e32 v148, 0
	s_mov_b32 s3, exec_lo
	s_waitcnt vmcnt(0)
	v_cmpx_eq_u16_e64 v63, v64
	s_cbranch_execz .LBB683_827
; %bb.821:
	v_add_co_u32 v59, vcc_lo, v59, 2
	v_add_co_ci_u32_e32 v60, vcc_lo, 0, v60, vcc_lo
	v_add_co_u32 v61, vcc_lo, v61, 2
	v_add_co_ci_u32_e32 v62, vcc_lo, 0, v62, vcc_lo
	s_add_u32 s12, s8, -1
	s_addc_u32 s13, s9, -1
	s_mov_b64 s[14:15], 0
	s_mov_b32 s18, 0
                                        ; implicit-def: $sgpr19
	s_set_inst_prefetch_distance 0x1
	s_branch .LBB683_824
	.p2align	6
.LBB683_822:                            ;   in Loop: Header=BB683_824 Depth=1
	global_load_u16 v63, v[61:62], off
	global_load_u16 v64, v[59:60], off
	v_add_co_u32 v59, vcc_lo, v59, 2
	v_add_co_ci_u32_e32 v60, vcc_lo, 0, v60, vcc_lo
	v_add_co_u32 v61, s0, v61, 2
	s_delay_alu instid0(VALU_DEP_1)
	v_add_co_ci_u32_e64 v62, s0, 0, v62, s0
	s_add_u32 s14, s14, 1
	s_addc_u32 s15, s15, 0
	s_and_not1_b32 s0, s19, exec_lo
	s_waitcnt vmcnt(0)
	v_cmp_ne_u16_e32 vcc_lo, v63, v64
	s_and_b32 s19, vcc_lo, exec_lo
	s_delay_alu instid0(SALU_CYCLE_1)
	s_or_b32 s19, s0, s19
.LBB683_823:                            ;   in Loop: Header=BB683_824 Depth=1
	v_dual_mov_b32 v64, s15 :: v_dual_mov_b32 v63, s14
	s_and_b32 s0, exec_lo, s19
	s_delay_alu instid0(SALU_CYCLE_1) | instskip(NEXT) | instid1(SALU_CYCLE_1)
	s_or_b32 s18, s0, s18
	s_and_not1_b32 exec_lo, exec_lo, s18
	s_cbranch_execz .LBB683_826
.LBB683_824:                            ; =>This Inner Loop Header: Depth=1
	s_or_b32 s19, s19, exec_lo
	s_cmp_eq_u64 s[12:13], s[14:15]
	s_cbranch_scc0 .LBB683_822
; %bb.825:                              ;   in Loop: Header=BB683_824 Depth=1
	s_mov_b64 s[14:15], s[8:9]
                                        ; implicit-def: $vgpr59_vgpr60
                                        ; implicit-def: $vgpr61_vgpr62
	s_branch .LBB683_823
.LBB683_826:
	s_set_inst_prefetch_distance 0x2
	s_or_b32 exec_lo, exec_lo, s18
	v_cmp_gt_i64_e32 vcc_lo, s[8:9], v[63:64]
	s_mov_b32 s0, 0
	s_delay_alu instid0(SALU_CYCLE_1)
	v_mov_b32_e32 v148, s0
	v_cndmask_b32_e64 v147, 0, 1, vcc_lo
.LBB683_827:
	s_or_b32 exec_lo, exec_lo, s3
.LBB683_828:
	v_mul_lo_u32 v61, v26, s8
	v_mul_lo_u32 v62, v25, s9
	v_mad_u64_u32 v[59:60], null, v25, s8, 0
	v_mov_b32_e32 v151, 0
	v_mov_b32_e32 v152, 0
	v_cmp_ne_u32_e32 vcc_lo, 1, v65
	s_delay_alu instid0(VALU_DEP_2) | instskip(SKIP_1) | instid1(VALU_DEP_1)
	v_dual_mov_b32 v149, v151 :: v_dual_mov_b32 v150, v152
	v_add3_u32 v60, v60, v62, v61
	v_lshlrev_b64 v[59:60], 1, v[59:60]
	s_cbranch_vccnz .LBB683_837
; %bb.829:
	v_add_co_u32 v61, vcc_lo, s10, v57
	v_add_co_ci_u32_e32 v62, vcc_lo, s11, v58, vcc_lo
	s_delay_alu instid0(VALU_DEP_3) | instskip(NEXT) | instid1(VALU_DEP_4)
	v_add_co_u32 v57, vcc_lo, s10, v59
	v_add_co_ci_u32_e32 v58, vcc_lo, s11, v60, vcc_lo
	v_mov_b32_e32 v149, 1
	s_clause 0x1
	global_load_u16 v63, v[61:62], off
	global_load_u16 v64, v[57:58], off
	v_mov_b32_e32 v150, 0
	s_mov_b32 s3, exec_lo
	s_waitcnt vmcnt(0)
	v_cmpx_eq_u16_e64 v63, v64
	s_cbranch_execz .LBB683_836
; %bb.830:
	v_add_co_u32 v57, vcc_lo, v57, 2
	v_add_co_ci_u32_e32 v58, vcc_lo, 0, v58, vcc_lo
	v_add_co_u32 v61, vcc_lo, v61, 2
	v_add_co_ci_u32_e32 v62, vcc_lo, 0, v62, vcc_lo
	s_add_u32 s12, s8, -1
	s_addc_u32 s13, s9, -1
	s_mov_b64 s[14:15], 0
	s_mov_b32 s18, 0
                                        ; implicit-def: $sgpr19
	s_set_inst_prefetch_distance 0x1
	s_branch .LBB683_833
	.p2align	6
.LBB683_831:                            ;   in Loop: Header=BB683_833 Depth=1
	global_load_u16 v63, v[61:62], off
	global_load_u16 v64, v[57:58], off
	v_add_co_u32 v57, vcc_lo, v57, 2
	v_add_co_ci_u32_e32 v58, vcc_lo, 0, v58, vcc_lo
	v_add_co_u32 v61, s0, v61, 2
	s_delay_alu instid0(VALU_DEP_1)
	v_add_co_ci_u32_e64 v62, s0, 0, v62, s0
	s_add_u32 s14, s14, 1
	s_addc_u32 s15, s15, 0
	s_and_not1_b32 s0, s19, exec_lo
	s_waitcnt vmcnt(0)
	v_cmp_ne_u16_e32 vcc_lo, v63, v64
	s_and_b32 s19, vcc_lo, exec_lo
	s_delay_alu instid0(SALU_CYCLE_1)
	s_or_b32 s19, s0, s19
.LBB683_832:                            ;   in Loop: Header=BB683_833 Depth=1
	v_dual_mov_b32 v64, s15 :: v_dual_mov_b32 v63, s14
	s_and_b32 s0, exec_lo, s19
	s_delay_alu instid0(SALU_CYCLE_1) | instskip(NEXT) | instid1(SALU_CYCLE_1)
	s_or_b32 s18, s0, s18
	s_and_not1_b32 exec_lo, exec_lo, s18
	s_cbranch_execz .LBB683_835
.LBB683_833:                            ; =>This Inner Loop Header: Depth=1
	s_or_b32 s19, s19, exec_lo
	s_cmp_eq_u64 s[12:13], s[14:15]
	s_cbranch_scc0 .LBB683_831
; %bb.834:                              ;   in Loop: Header=BB683_833 Depth=1
	s_mov_b64 s[14:15], s[8:9]
                                        ; implicit-def: $vgpr57_vgpr58
                                        ; implicit-def: $vgpr61_vgpr62
	s_branch .LBB683_832
.LBB683_835:
	s_set_inst_prefetch_distance 0x2
	s_or_b32 exec_lo, exec_lo, s18
	v_cmp_gt_i64_e32 vcc_lo, s[8:9], v[63:64]
	s_mov_b32 s0, 0
	s_delay_alu instid0(SALU_CYCLE_1)
	v_mov_b32_e32 v150, s0
	v_cndmask_b32_e64 v149, 0, 1, vcc_lo
.LBB683_836:
	s_or_b32 exec_lo, exec_lo, s3
.LBB683_837:
	v_mul_lo_u32 v61, v24, s8
	v_mul_lo_u32 v62, v23, s9
	v_mad_u64_u32 v[57:58], null, v23, s8, 0
	v_cmp_ne_u32_e32 vcc_lo, 1, v65
	s_delay_alu instid0(VALU_DEP_2) | instskip(NEXT) | instid1(VALU_DEP_1)
	v_add3_u32 v58, v58, v62, v61
	v_lshlrev_b64 v[57:58], 1, v[57:58]
	s_cbranch_vccnz .LBB683_846
; %bb.838:
	v_add_co_u32 v61, vcc_lo, s10, v59
	v_add_co_ci_u32_e32 v62, vcc_lo, s11, v60, vcc_lo
	s_delay_alu instid0(VALU_DEP_3) | instskip(NEXT) | instid1(VALU_DEP_4)
	v_add_co_u32 v59, vcc_lo, s10, v57
	v_add_co_ci_u32_e32 v60, vcc_lo, s11, v58, vcc_lo
	v_mov_b32_e32 v151, 1
	s_clause 0x1
	global_load_u16 v63, v[61:62], off
	global_load_u16 v64, v[59:60], off
	v_mov_b32_e32 v152, 0
	s_mov_b32 s3, exec_lo
	s_waitcnt vmcnt(0)
	v_cmpx_eq_u16_e64 v63, v64
	s_cbranch_execz .LBB683_845
; %bb.839:
	v_add_co_u32 v59, vcc_lo, v59, 2
	v_add_co_ci_u32_e32 v60, vcc_lo, 0, v60, vcc_lo
	v_add_co_u32 v61, vcc_lo, v61, 2
	v_add_co_ci_u32_e32 v62, vcc_lo, 0, v62, vcc_lo
	s_add_u32 s12, s8, -1
	s_addc_u32 s13, s9, -1
	s_mov_b64 s[14:15], 0
	s_mov_b32 s18, 0
                                        ; implicit-def: $sgpr19
	s_set_inst_prefetch_distance 0x1
	s_branch .LBB683_842
	.p2align	6
.LBB683_840:                            ;   in Loop: Header=BB683_842 Depth=1
	global_load_u16 v63, v[61:62], off
	global_load_u16 v64, v[59:60], off
	v_add_co_u32 v59, vcc_lo, v59, 2
	v_add_co_ci_u32_e32 v60, vcc_lo, 0, v60, vcc_lo
	v_add_co_u32 v61, s0, v61, 2
	s_delay_alu instid0(VALU_DEP_1)
	v_add_co_ci_u32_e64 v62, s0, 0, v62, s0
	s_add_u32 s14, s14, 1
	s_addc_u32 s15, s15, 0
	s_and_not1_b32 s0, s19, exec_lo
	s_waitcnt vmcnt(0)
	v_cmp_ne_u16_e32 vcc_lo, v63, v64
	s_and_b32 s19, vcc_lo, exec_lo
	s_delay_alu instid0(SALU_CYCLE_1)
	s_or_b32 s19, s0, s19
.LBB683_841:                            ;   in Loop: Header=BB683_842 Depth=1
	v_dual_mov_b32 v64, s15 :: v_dual_mov_b32 v63, s14
	s_and_b32 s0, exec_lo, s19
	s_delay_alu instid0(SALU_CYCLE_1) | instskip(NEXT) | instid1(SALU_CYCLE_1)
	s_or_b32 s18, s0, s18
	s_and_not1_b32 exec_lo, exec_lo, s18
	s_cbranch_execz .LBB683_844
.LBB683_842:                            ; =>This Inner Loop Header: Depth=1
	s_or_b32 s19, s19, exec_lo
	s_cmp_eq_u64 s[12:13], s[14:15]
	s_cbranch_scc0 .LBB683_840
; %bb.843:                              ;   in Loop: Header=BB683_842 Depth=1
	s_mov_b64 s[14:15], s[8:9]
                                        ; implicit-def: $vgpr59_vgpr60
                                        ; implicit-def: $vgpr61_vgpr62
	s_branch .LBB683_841
.LBB683_844:
	s_set_inst_prefetch_distance 0x2
	s_or_b32 exec_lo, exec_lo, s18
	v_cmp_gt_i64_e32 vcc_lo, s[8:9], v[63:64]
	s_mov_b32 s0, 0
	s_delay_alu instid0(SALU_CYCLE_1)
	v_mov_b32_e32 v152, s0
	v_cndmask_b32_e64 v151, 0, 1, vcc_lo
.LBB683_845:
	s_or_b32 exec_lo, exec_lo, s3
.LBB683_846:
	v_mul_lo_u32 v61, v22, s8
	v_mul_lo_u32 v62, v21, s9
	v_mad_u64_u32 v[59:60], null, v21, s8, 0
	v_mov_b32_e32 v155, 0
	v_mov_b32_e32 v156, 0
	v_cmp_ne_u32_e32 vcc_lo, 1, v65
	s_delay_alu instid0(VALU_DEP_2) | instskip(SKIP_1) | instid1(VALU_DEP_1)
	v_dual_mov_b32 v153, v155 :: v_dual_mov_b32 v154, v156
	v_add3_u32 v60, v60, v62, v61
	v_lshlrev_b64 v[59:60], 1, v[59:60]
	s_cbranch_vccnz .LBB683_855
; %bb.847:
	v_add_co_u32 v61, vcc_lo, s10, v57
	v_add_co_ci_u32_e32 v62, vcc_lo, s11, v58, vcc_lo
	s_delay_alu instid0(VALU_DEP_3) | instskip(NEXT) | instid1(VALU_DEP_4)
	v_add_co_u32 v57, vcc_lo, s10, v59
	v_add_co_ci_u32_e32 v58, vcc_lo, s11, v60, vcc_lo
	v_mov_b32_e32 v153, 1
	s_clause 0x1
	global_load_u16 v63, v[61:62], off
	global_load_u16 v64, v[57:58], off
	v_mov_b32_e32 v154, 0
	s_mov_b32 s3, exec_lo
	s_waitcnt vmcnt(0)
	v_cmpx_eq_u16_e64 v63, v64
	s_cbranch_execz .LBB683_854
; %bb.848:
	v_add_co_u32 v57, vcc_lo, v57, 2
	v_add_co_ci_u32_e32 v58, vcc_lo, 0, v58, vcc_lo
	v_add_co_u32 v61, vcc_lo, v61, 2
	v_add_co_ci_u32_e32 v62, vcc_lo, 0, v62, vcc_lo
	s_add_u32 s12, s8, -1
	s_addc_u32 s13, s9, -1
	s_mov_b64 s[14:15], 0
	s_mov_b32 s18, 0
                                        ; implicit-def: $sgpr19
	s_set_inst_prefetch_distance 0x1
	s_branch .LBB683_851
	.p2align	6
.LBB683_849:                            ;   in Loop: Header=BB683_851 Depth=1
	global_load_u16 v63, v[61:62], off
	global_load_u16 v64, v[57:58], off
	v_add_co_u32 v57, vcc_lo, v57, 2
	v_add_co_ci_u32_e32 v58, vcc_lo, 0, v58, vcc_lo
	v_add_co_u32 v61, s0, v61, 2
	s_delay_alu instid0(VALU_DEP_1)
	v_add_co_ci_u32_e64 v62, s0, 0, v62, s0
	s_add_u32 s14, s14, 1
	s_addc_u32 s15, s15, 0
	s_and_not1_b32 s0, s19, exec_lo
	s_waitcnt vmcnt(0)
	v_cmp_ne_u16_e32 vcc_lo, v63, v64
	s_and_b32 s19, vcc_lo, exec_lo
	s_delay_alu instid0(SALU_CYCLE_1)
	s_or_b32 s19, s0, s19
.LBB683_850:                            ;   in Loop: Header=BB683_851 Depth=1
	v_dual_mov_b32 v64, s15 :: v_dual_mov_b32 v63, s14
	s_and_b32 s0, exec_lo, s19
	s_delay_alu instid0(SALU_CYCLE_1) | instskip(NEXT) | instid1(SALU_CYCLE_1)
	s_or_b32 s18, s0, s18
	s_and_not1_b32 exec_lo, exec_lo, s18
	s_cbranch_execz .LBB683_853
.LBB683_851:                            ; =>This Inner Loop Header: Depth=1
	s_or_b32 s19, s19, exec_lo
	s_cmp_eq_u64 s[12:13], s[14:15]
	s_cbranch_scc0 .LBB683_849
; %bb.852:                              ;   in Loop: Header=BB683_851 Depth=1
	s_mov_b64 s[14:15], s[8:9]
                                        ; implicit-def: $vgpr57_vgpr58
                                        ; implicit-def: $vgpr61_vgpr62
	s_branch .LBB683_850
.LBB683_853:
	s_set_inst_prefetch_distance 0x2
	s_or_b32 exec_lo, exec_lo, s18
	v_cmp_gt_i64_e32 vcc_lo, s[8:9], v[63:64]
	s_mov_b32 s0, 0
	s_delay_alu instid0(SALU_CYCLE_1)
	v_mov_b32_e32 v154, s0
	v_cndmask_b32_e64 v153, 0, 1, vcc_lo
.LBB683_854:
	s_or_b32 exec_lo, exec_lo, s3
.LBB683_855:
	v_mul_lo_u32 v61, v20, s8
	v_mul_lo_u32 v62, v19, s9
	v_mad_u64_u32 v[57:58], null, v19, s8, 0
	v_cmp_ne_u32_e32 vcc_lo, 1, v65
	s_delay_alu instid0(VALU_DEP_2) | instskip(NEXT) | instid1(VALU_DEP_1)
	v_add3_u32 v58, v58, v62, v61
	v_lshlrev_b64 v[57:58], 1, v[57:58]
	s_cbranch_vccnz .LBB683_864
; %bb.856:
	v_add_co_u32 v61, vcc_lo, s10, v59
	v_add_co_ci_u32_e32 v62, vcc_lo, s11, v60, vcc_lo
	s_delay_alu instid0(VALU_DEP_3) | instskip(NEXT) | instid1(VALU_DEP_4)
	v_add_co_u32 v59, vcc_lo, s10, v57
	v_add_co_ci_u32_e32 v60, vcc_lo, s11, v58, vcc_lo
	v_mov_b32_e32 v155, 1
	s_clause 0x1
	global_load_u16 v63, v[61:62], off
	global_load_u16 v64, v[59:60], off
	v_mov_b32_e32 v156, 0
	s_mov_b32 s3, exec_lo
	s_waitcnt vmcnt(0)
	v_cmpx_eq_u16_e64 v63, v64
	s_cbranch_execz .LBB683_863
; %bb.857:
	v_add_co_u32 v59, vcc_lo, v59, 2
	v_add_co_ci_u32_e32 v60, vcc_lo, 0, v60, vcc_lo
	v_add_co_u32 v61, vcc_lo, v61, 2
	v_add_co_ci_u32_e32 v62, vcc_lo, 0, v62, vcc_lo
	s_add_u32 s12, s8, -1
	s_addc_u32 s13, s9, -1
	s_mov_b64 s[14:15], 0
	s_mov_b32 s18, 0
                                        ; implicit-def: $sgpr19
	s_set_inst_prefetch_distance 0x1
	s_branch .LBB683_860
	.p2align	6
.LBB683_858:                            ;   in Loop: Header=BB683_860 Depth=1
	global_load_u16 v63, v[61:62], off
	global_load_u16 v64, v[59:60], off
	v_add_co_u32 v59, vcc_lo, v59, 2
	v_add_co_ci_u32_e32 v60, vcc_lo, 0, v60, vcc_lo
	v_add_co_u32 v61, s0, v61, 2
	s_delay_alu instid0(VALU_DEP_1)
	v_add_co_ci_u32_e64 v62, s0, 0, v62, s0
	s_add_u32 s14, s14, 1
	s_addc_u32 s15, s15, 0
	s_and_not1_b32 s0, s19, exec_lo
	s_waitcnt vmcnt(0)
	v_cmp_ne_u16_e32 vcc_lo, v63, v64
	s_and_b32 s19, vcc_lo, exec_lo
	s_delay_alu instid0(SALU_CYCLE_1)
	s_or_b32 s19, s0, s19
.LBB683_859:                            ;   in Loop: Header=BB683_860 Depth=1
	v_dual_mov_b32 v64, s15 :: v_dual_mov_b32 v63, s14
	s_and_b32 s0, exec_lo, s19
	s_delay_alu instid0(SALU_CYCLE_1) | instskip(NEXT) | instid1(SALU_CYCLE_1)
	s_or_b32 s18, s0, s18
	s_and_not1_b32 exec_lo, exec_lo, s18
	s_cbranch_execz .LBB683_862
.LBB683_860:                            ; =>This Inner Loop Header: Depth=1
	s_or_b32 s19, s19, exec_lo
	s_cmp_eq_u64 s[12:13], s[14:15]
	s_cbranch_scc0 .LBB683_858
; %bb.861:                              ;   in Loop: Header=BB683_860 Depth=1
	s_mov_b64 s[14:15], s[8:9]
                                        ; implicit-def: $vgpr59_vgpr60
                                        ; implicit-def: $vgpr61_vgpr62
	s_branch .LBB683_859
.LBB683_862:
	s_set_inst_prefetch_distance 0x2
	s_or_b32 exec_lo, exec_lo, s18
	v_cmp_gt_i64_e32 vcc_lo, s[8:9], v[63:64]
	s_mov_b32 s0, 0
	s_delay_alu instid0(SALU_CYCLE_1)
	v_mov_b32_e32 v156, s0
	v_cndmask_b32_e64 v155, 0, 1, vcc_lo
.LBB683_863:
	s_or_b32 exec_lo, exec_lo, s3
.LBB683_864:
	v_mul_lo_u32 v61, v18, s8
	v_mul_lo_u32 v62, v17, s9
	v_mad_u64_u32 v[59:60], null, v17, s8, 0
	v_mov_b32_e32 v159, 0
	v_mov_b32_e32 v160, 0
	v_cmp_ne_u32_e32 vcc_lo, 1, v65
	s_delay_alu instid0(VALU_DEP_2) | instskip(SKIP_1) | instid1(VALU_DEP_1)
	v_dual_mov_b32 v157, v159 :: v_dual_mov_b32 v158, v160
	v_add3_u32 v60, v60, v62, v61
	v_lshlrev_b64 v[59:60], 1, v[59:60]
	s_cbranch_vccnz .LBB683_873
; %bb.865:
	v_add_co_u32 v61, vcc_lo, s10, v57
	v_add_co_ci_u32_e32 v62, vcc_lo, s11, v58, vcc_lo
	s_delay_alu instid0(VALU_DEP_3) | instskip(NEXT) | instid1(VALU_DEP_4)
	v_add_co_u32 v57, vcc_lo, s10, v59
	v_add_co_ci_u32_e32 v58, vcc_lo, s11, v60, vcc_lo
	v_mov_b32_e32 v157, 1
	s_clause 0x1
	global_load_u16 v63, v[61:62], off
	global_load_u16 v64, v[57:58], off
	v_mov_b32_e32 v158, 0
	s_mov_b32 s3, exec_lo
	s_waitcnt vmcnt(0)
	v_cmpx_eq_u16_e64 v63, v64
	s_cbranch_execz .LBB683_872
; %bb.866:
	v_add_co_u32 v57, vcc_lo, v57, 2
	v_add_co_ci_u32_e32 v58, vcc_lo, 0, v58, vcc_lo
	v_add_co_u32 v61, vcc_lo, v61, 2
	v_add_co_ci_u32_e32 v62, vcc_lo, 0, v62, vcc_lo
	s_add_u32 s12, s8, -1
	s_addc_u32 s13, s9, -1
	s_mov_b64 s[14:15], 0
	s_mov_b32 s18, 0
                                        ; implicit-def: $sgpr19
	s_set_inst_prefetch_distance 0x1
	s_branch .LBB683_869
	.p2align	6
.LBB683_867:                            ;   in Loop: Header=BB683_869 Depth=1
	global_load_u16 v63, v[61:62], off
	global_load_u16 v64, v[57:58], off
	v_add_co_u32 v57, vcc_lo, v57, 2
	v_add_co_ci_u32_e32 v58, vcc_lo, 0, v58, vcc_lo
	v_add_co_u32 v61, s0, v61, 2
	s_delay_alu instid0(VALU_DEP_1)
	v_add_co_ci_u32_e64 v62, s0, 0, v62, s0
	s_add_u32 s14, s14, 1
	s_addc_u32 s15, s15, 0
	s_and_not1_b32 s0, s19, exec_lo
	s_waitcnt vmcnt(0)
	v_cmp_ne_u16_e32 vcc_lo, v63, v64
	s_and_b32 s19, vcc_lo, exec_lo
	s_delay_alu instid0(SALU_CYCLE_1)
	s_or_b32 s19, s0, s19
.LBB683_868:                            ;   in Loop: Header=BB683_869 Depth=1
	v_dual_mov_b32 v64, s15 :: v_dual_mov_b32 v63, s14
	s_and_b32 s0, exec_lo, s19
	s_delay_alu instid0(SALU_CYCLE_1) | instskip(NEXT) | instid1(SALU_CYCLE_1)
	s_or_b32 s18, s0, s18
	s_and_not1_b32 exec_lo, exec_lo, s18
	s_cbranch_execz .LBB683_871
.LBB683_869:                            ; =>This Inner Loop Header: Depth=1
	s_or_b32 s19, s19, exec_lo
	s_cmp_eq_u64 s[12:13], s[14:15]
	s_cbranch_scc0 .LBB683_867
; %bb.870:                              ;   in Loop: Header=BB683_869 Depth=1
	s_mov_b64 s[14:15], s[8:9]
                                        ; implicit-def: $vgpr57_vgpr58
                                        ; implicit-def: $vgpr61_vgpr62
	s_branch .LBB683_868
.LBB683_871:
	s_set_inst_prefetch_distance 0x2
	s_or_b32 exec_lo, exec_lo, s18
	v_cmp_gt_i64_e32 vcc_lo, s[8:9], v[63:64]
	s_mov_b32 s0, 0
	s_delay_alu instid0(SALU_CYCLE_1)
	v_mov_b32_e32 v158, s0
	v_cndmask_b32_e64 v157, 0, 1, vcc_lo
.LBB683_872:
	s_or_b32 exec_lo, exec_lo, s3
.LBB683_873:
	v_mul_lo_u32 v61, v16, s8
	v_mul_lo_u32 v62, v15, s9
	v_mad_u64_u32 v[57:58], null, v15, s8, 0
	v_cmp_ne_u32_e32 vcc_lo, 1, v65
	s_delay_alu instid0(VALU_DEP_2) | instskip(NEXT) | instid1(VALU_DEP_1)
	v_add3_u32 v58, v58, v62, v61
	v_lshlrev_b64 v[57:58], 1, v[57:58]
	s_cbranch_vccnz .LBB683_882
; %bb.874:
	v_add_co_u32 v61, vcc_lo, s10, v59
	v_add_co_ci_u32_e32 v62, vcc_lo, s11, v60, vcc_lo
	s_delay_alu instid0(VALU_DEP_3) | instskip(NEXT) | instid1(VALU_DEP_4)
	v_add_co_u32 v59, vcc_lo, s10, v57
	v_add_co_ci_u32_e32 v60, vcc_lo, s11, v58, vcc_lo
	v_mov_b32_e32 v159, 1
	s_clause 0x1
	global_load_u16 v63, v[61:62], off
	global_load_u16 v64, v[59:60], off
	v_mov_b32_e32 v160, 0
	s_mov_b32 s3, exec_lo
	s_waitcnt vmcnt(0)
	v_cmpx_eq_u16_e64 v63, v64
	s_cbranch_execz .LBB683_881
; %bb.875:
	v_add_co_u32 v59, vcc_lo, v59, 2
	v_add_co_ci_u32_e32 v60, vcc_lo, 0, v60, vcc_lo
	v_add_co_u32 v61, vcc_lo, v61, 2
	v_add_co_ci_u32_e32 v62, vcc_lo, 0, v62, vcc_lo
	s_add_u32 s12, s8, -1
	s_addc_u32 s13, s9, -1
	s_mov_b64 s[14:15], 0
	s_mov_b32 s18, 0
                                        ; implicit-def: $sgpr19
	s_set_inst_prefetch_distance 0x1
	s_branch .LBB683_878
	.p2align	6
.LBB683_876:                            ;   in Loop: Header=BB683_878 Depth=1
	global_load_u16 v63, v[61:62], off
	global_load_u16 v64, v[59:60], off
	v_add_co_u32 v59, vcc_lo, v59, 2
	v_add_co_ci_u32_e32 v60, vcc_lo, 0, v60, vcc_lo
	v_add_co_u32 v61, s0, v61, 2
	s_delay_alu instid0(VALU_DEP_1)
	v_add_co_ci_u32_e64 v62, s0, 0, v62, s0
	s_add_u32 s14, s14, 1
	s_addc_u32 s15, s15, 0
	s_and_not1_b32 s0, s19, exec_lo
	s_waitcnt vmcnt(0)
	v_cmp_ne_u16_e32 vcc_lo, v63, v64
	s_and_b32 s19, vcc_lo, exec_lo
	s_delay_alu instid0(SALU_CYCLE_1)
	s_or_b32 s19, s0, s19
.LBB683_877:                            ;   in Loop: Header=BB683_878 Depth=1
	v_dual_mov_b32 v64, s15 :: v_dual_mov_b32 v63, s14
	s_and_b32 s0, exec_lo, s19
	s_delay_alu instid0(SALU_CYCLE_1) | instskip(NEXT) | instid1(SALU_CYCLE_1)
	s_or_b32 s18, s0, s18
	s_and_not1_b32 exec_lo, exec_lo, s18
	s_cbranch_execz .LBB683_880
.LBB683_878:                            ; =>This Inner Loop Header: Depth=1
	s_or_b32 s19, s19, exec_lo
	s_cmp_eq_u64 s[12:13], s[14:15]
	s_cbranch_scc0 .LBB683_876
; %bb.879:                              ;   in Loop: Header=BB683_878 Depth=1
	s_mov_b64 s[14:15], s[8:9]
                                        ; implicit-def: $vgpr59_vgpr60
                                        ; implicit-def: $vgpr61_vgpr62
	s_branch .LBB683_877
.LBB683_880:
	s_set_inst_prefetch_distance 0x2
	s_or_b32 exec_lo, exec_lo, s18
	v_cmp_gt_i64_e32 vcc_lo, s[8:9], v[63:64]
	s_mov_b32 s0, 0
	s_delay_alu instid0(SALU_CYCLE_1)
	v_mov_b32_e32 v160, s0
	v_cndmask_b32_e64 v159, 0, 1, vcc_lo
.LBB683_881:
	s_or_b32 exec_lo, exec_lo, s3
.LBB683_882:
	v_mul_lo_u32 v61, v14, s8
	v_mul_lo_u32 v62, v13, s9
	v_mad_u64_u32 v[59:60], null, v13, s8, 0
	v_mov_b32_e32 v163, 0
	v_mov_b32_e32 v164, 0
	v_cmp_ne_u32_e32 vcc_lo, 1, v65
	s_delay_alu instid0(VALU_DEP_2) | instskip(SKIP_1) | instid1(VALU_DEP_1)
	v_dual_mov_b32 v161, v163 :: v_dual_mov_b32 v162, v164
	v_add3_u32 v60, v60, v62, v61
	v_lshlrev_b64 v[59:60], 1, v[59:60]
	s_cbranch_vccnz .LBB683_891
; %bb.883:
	v_add_co_u32 v61, vcc_lo, s10, v57
	v_add_co_ci_u32_e32 v62, vcc_lo, s11, v58, vcc_lo
	s_delay_alu instid0(VALU_DEP_3) | instskip(NEXT) | instid1(VALU_DEP_4)
	v_add_co_u32 v57, vcc_lo, s10, v59
	v_add_co_ci_u32_e32 v58, vcc_lo, s11, v60, vcc_lo
	v_mov_b32_e32 v161, 1
	s_clause 0x1
	global_load_u16 v63, v[61:62], off
	global_load_u16 v64, v[57:58], off
	v_mov_b32_e32 v162, 0
	s_mov_b32 s3, exec_lo
	s_waitcnt vmcnt(0)
	v_cmpx_eq_u16_e64 v63, v64
	s_cbranch_execz .LBB683_890
; %bb.884:
	v_add_co_u32 v57, vcc_lo, v57, 2
	v_add_co_ci_u32_e32 v58, vcc_lo, 0, v58, vcc_lo
	v_add_co_u32 v61, vcc_lo, v61, 2
	v_add_co_ci_u32_e32 v62, vcc_lo, 0, v62, vcc_lo
	s_add_u32 s12, s8, -1
	s_addc_u32 s13, s9, -1
	s_mov_b64 s[14:15], 0
	s_mov_b32 s18, 0
                                        ; implicit-def: $sgpr19
	s_set_inst_prefetch_distance 0x1
	s_branch .LBB683_887
	.p2align	6
.LBB683_885:                            ;   in Loop: Header=BB683_887 Depth=1
	global_load_u16 v63, v[61:62], off
	global_load_u16 v64, v[57:58], off
	v_add_co_u32 v57, vcc_lo, v57, 2
	v_add_co_ci_u32_e32 v58, vcc_lo, 0, v58, vcc_lo
	v_add_co_u32 v61, s0, v61, 2
	s_delay_alu instid0(VALU_DEP_1)
	v_add_co_ci_u32_e64 v62, s0, 0, v62, s0
	s_add_u32 s14, s14, 1
	s_addc_u32 s15, s15, 0
	s_and_not1_b32 s0, s19, exec_lo
	s_waitcnt vmcnt(0)
	v_cmp_ne_u16_e32 vcc_lo, v63, v64
	s_and_b32 s19, vcc_lo, exec_lo
	s_delay_alu instid0(SALU_CYCLE_1)
	s_or_b32 s19, s0, s19
.LBB683_886:                            ;   in Loop: Header=BB683_887 Depth=1
	v_dual_mov_b32 v64, s15 :: v_dual_mov_b32 v63, s14
	s_and_b32 s0, exec_lo, s19
	s_delay_alu instid0(SALU_CYCLE_1) | instskip(NEXT) | instid1(SALU_CYCLE_1)
	s_or_b32 s18, s0, s18
	s_and_not1_b32 exec_lo, exec_lo, s18
	s_cbranch_execz .LBB683_889
.LBB683_887:                            ; =>This Inner Loop Header: Depth=1
	s_or_b32 s19, s19, exec_lo
	s_cmp_eq_u64 s[12:13], s[14:15]
	s_cbranch_scc0 .LBB683_885
; %bb.888:                              ;   in Loop: Header=BB683_887 Depth=1
	s_mov_b64 s[14:15], s[8:9]
                                        ; implicit-def: $vgpr57_vgpr58
                                        ; implicit-def: $vgpr61_vgpr62
	s_branch .LBB683_886
.LBB683_889:
	s_set_inst_prefetch_distance 0x2
	s_or_b32 exec_lo, exec_lo, s18
	v_cmp_gt_i64_e32 vcc_lo, s[8:9], v[63:64]
	s_mov_b32 s0, 0
	s_delay_alu instid0(SALU_CYCLE_1)
	v_mov_b32_e32 v162, s0
	v_cndmask_b32_e64 v161, 0, 1, vcc_lo
.LBB683_890:
	s_or_b32 exec_lo, exec_lo, s3
.LBB683_891:
	v_mul_lo_u32 v61, v4, s8
	v_mul_lo_u32 v62, v3, s9
	v_mad_u64_u32 v[57:58], null, v3, s8, 0
	v_cmp_ne_u32_e32 vcc_lo, 1, v65
	s_delay_alu instid0(VALU_DEP_2) | instskip(NEXT) | instid1(VALU_DEP_1)
	v_add3_u32 v58, v58, v62, v61
	v_lshlrev_b64 v[57:58], 1, v[57:58]
	s_cbranch_vccnz .LBB683_900
; %bb.892:
	v_add_co_u32 v61, vcc_lo, s10, v59
	v_add_co_ci_u32_e32 v62, vcc_lo, s11, v60, vcc_lo
	s_delay_alu instid0(VALU_DEP_3) | instskip(NEXT) | instid1(VALU_DEP_4)
	v_add_co_u32 v59, vcc_lo, s10, v57
	v_add_co_ci_u32_e32 v60, vcc_lo, s11, v58, vcc_lo
	v_mov_b32_e32 v163, 1
	s_clause 0x1
	global_load_u16 v63, v[61:62], off
	global_load_u16 v64, v[59:60], off
	v_mov_b32_e32 v164, 0
	s_mov_b32 s3, exec_lo
	s_waitcnt vmcnt(0)
	v_cmpx_eq_u16_e64 v63, v64
	s_cbranch_execz .LBB683_899
; %bb.893:
	v_add_co_u32 v59, vcc_lo, v59, 2
	v_add_co_ci_u32_e32 v60, vcc_lo, 0, v60, vcc_lo
	v_add_co_u32 v61, vcc_lo, v61, 2
	v_add_co_ci_u32_e32 v62, vcc_lo, 0, v62, vcc_lo
	s_add_u32 s12, s8, -1
	s_addc_u32 s13, s9, -1
	s_mov_b64 s[14:15], 0
	s_mov_b32 s18, 0
                                        ; implicit-def: $sgpr19
	s_set_inst_prefetch_distance 0x1
	s_branch .LBB683_896
	.p2align	6
.LBB683_894:                            ;   in Loop: Header=BB683_896 Depth=1
	global_load_u16 v63, v[61:62], off
	global_load_u16 v64, v[59:60], off
	v_add_co_u32 v59, vcc_lo, v59, 2
	v_add_co_ci_u32_e32 v60, vcc_lo, 0, v60, vcc_lo
	v_add_co_u32 v61, s0, v61, 2
	s_delay_alu instid0(VALU_DEP_1)
	v_add_co_ci_u32_e64 v62, s0, 0, v62, s0
	s_add_u32 s14, s14, 1
	s_addc_u32 s15, s15, 0
	s_and_not1_b32 s0, s19, exec_lo
	s_waitcnt vmcnt(0)
	v_cmp_ne_u16_e32 vcc_lo, v63, v64
	s_and_b32 s19, vcc_lo, exec_lo
	s_delay_alu instid0(SALU_CYCLE_1)
	s_or_b32 s19, s0, s19
.LBB683_895:                            ;   in Loop: Header=BB683_896 Depth=1
	v_dual_mov_b32 v64, s15 :: v_dual_mov_b32 v63, s14
	s_and_b32 s0, exec_lo, s19
	s_delay_alu instid0(SALU_CYCLE_1) | instskip(NEXT) | instid1(SALU_CYCLE_1)
	s_or_b32 s18, s0, s18
	s_and_not1_b32 exec_lo, exec_lo, s18
	s_cbranch_execz .LBB683_898
.LBB683_896:                            ; =>This Inner Loop Header: Depth=1
	s_or_b32 s19, s19, exec_lo
	s_cmp_eq_u64 s[12:13], s[14:15]
	s_cbranch_scc0 .LBB683_894
; %bb.897:                              ;   in Loop: Header=BB683_896 Depth=1
	s_mov_b64 s[14:15], s[8:9]
                                        ; implicit-def: $vgpr59_vgpr60
                                        ; implicit-def: $vgpr61_vgpr62
	s_branch .LBB683_895
.LBB683_898:
	s_set_inst_prefetch_distance 0x2
	s_or_b32 exec_lo, exec_lo, s18
	v_cmp_gt_i64_e32 vcc_lo, s[8:9], v[63:64]
	s_mov_b32 s0, 0
	s_delay_alu instid0(SALU_CYCLE_1)
	v_mov_b32_e32 v164, s0
	v_cndmask_b32_e64 v163, 0, 1, vcc_lo
.LBB683_899:
	s_or_b32 exec_lo, exec_lo, s3
.LBB683_900:
	v_cmp_ne_u32_e32 vcc_lo, 1, v65
	s_cbranch_vccnz .LBB683_907
; %bb.901:
	v_mul_lo_u32 v61, v2, s8
	v_mul_lo_u32 v62, v1, s9
	v_mad_u64_u32 v[59:60], null, v1, s8, 0
	v_mov_b32_e32 v165, 1
	v_mov_b32_e32 v166, 0
	s_mov_b32 s3, exec_lo
	s_delay_alu instid0(VALU_DEP_3) | instskip(NEXT) | instid1(VALU_DEP_1)
	v_add3_u32 v60, v60, v62, v61
	v_lshlrev_b64 v[61:62], 1, v[59:60]
	v_add_co_u32 v59, vcc_lo, s10, v57
	v_add_co_ci_u32_e32 v60, vcc_lo, s11, v58, vcc_lo
	s_delay_alu instid0(VALU_DEP_3) | instskip(NEXT) | instid1(VALU_DEP_4)
	v_add_co_u32 v57, vcc_lo, s10, v61
	v_add_co_ci_u32_e32 v58, vcc_lo, s11, v62, vcc_lo
	s_clause 0x1
	global_load_u16 v61, v[59:60], off
	global_load_u16 v62, v[57:58], off
	s_waitcnt vmcnt(0)
	v_cmpx_eq_u16_e64 v61, v62
	s_cbranch_execz .LBB683_909
; %bb.902:
	v_add_co_u32 v57, vcc_lo, v57, 2
	v_add_co_ci_u32_e32 v58, vcc_lo, 0, v58, vcc_lo
	v_add_co_u32 v59, vcc_lo, v59, 2
	v_add_co_ci_u32_e32 v60, vcc_lo, 0, v60, vcc_lo
	s_add_u32 s12, s8, -1
	s_addc_u32 s13, s9, -1
	s_mov_b64 s[14:15], 0
	s_mov_b32 s18, 0
                                        ; implicit-def: $sgpr19
	s_set_inst_prefetch_distance 0x1
	s_branch .LBB683_905
	.p2align	6
.LBB683_903:                            ;   in Loop: Header=BB683_905 Depth=1
	global_load_u16 v61, v[59:60], off
	global_load_u16 v62, v[57:58], off
	v_add_co_u32 v57, vcc_lo, v57, 2
	v_add_co_ci_u32_e32 v58, vcc_lo, 0, v58, vcc_lo
	v_add_co_u32 v59, s0, v59, 2
	s_delay_alu instid0(VALU_DEP_1)
	v_add_co_ci_u32_e64 v60, s0, 0, v60, s0
	s_add_u32 s14, s14, 1
	s_addc_u32 s15, s15, 0
	s_and_not1_b32 s0, s19, exec_lo
	s_waitcnt vmcnt(0)
	v_cmp_ne_u16_e32 vcc_lo, v61, v62
	s_and_b32 s19, vcc_lo, exec_lo
	s_delay_alu instid0(SALU_CYCLE_1)
	s_or_b32 s19, s0, s19
.LBB683_904:                            ;   in Loop: Header=BB683_905 Depth=1
	v_dual_mov_b32 v62, s15 :: v_dual_mov_b32 v61, s14
	s_and_b32 s0, exec_lo, s19
	s_delay_alu instid0(SALU_CYCLE_1) | instskip(NEXT) | instid1(SALU_CYCLE_1)
	s_or_b32 s18, s0, s18
	s_and_not1_b32 exec_lo, exec_lo, s18
	s_cbranch_execz .LBB683_908
.LBB683_905:                            ; =>This Inner Loop Header: Depth=1
	s_or_b32 s19, s19, exec_lo
	s_cmp_eq_u64 s[12:13], s[14:15]
	s_cbranch_scc0 .LBB683_903
; %bb.906:                              ;   in Loop: Header=BB683_905 Depth=1
	s_mov_b64 s[14:15], s[8:9]
                                        ; implicit-def: $vgpr57_vgpr58
                                        ; implicit-def: $vgpr59_vgpr60
	s_branch .LBB683_904
.LBB683_907:
	v_mov_b32_e32 v165, 0
	v_mov_b32_e32 v166, 0
	s_branch .LBB683_910
.LBB683_908:
	s_set_inst_prefetch_distance 0x2
	s_or_b32 exec_lo, exec_lo, s18
	v_cmp_gt_i64_e32 vcc_lo, s[8:9], v[61:62]
	s_mov_b32 s0, 0
	s_delay_alu instid0(SALU_CYCLE_1)
	v_mov_b32_e32 v166, s0
	v_cndmask_b32_e64 v165, 0, 1, vcc_lo
.LBB683_909:
	s_or_b32 exec_lo, exec_lo, s3
.LBB683_910:
	s_mov_b32 s3, 0
	s_mov_b32 s18, exec_lo
	s_waitcnt lgkmcnt(0)
	s_barrier
	buffer_gl0_inv
                                        ; implicit-def: $sgpr0
	v_cmpx_ne_u32_e32 0, v0
	s_cbranch_execz .LBB683_922
; %bb.911:
	v_cmp_ne_u32_e32 vcc_lo, 1, v65
	s_cbranch_vccnz .LBB683_918
; %bb.912:
	v_add_nc_u32_e32 v57, -8, v195
	v_mul_lo_u32 v63, v2, s8
	v_mul_lo_u32 v64, v1, s9
	v_mad_u64_u32 v[59:60], null, v1, s8, 0
	ds_load_b64 v[57:58], v57
	s_mov_b32 s0, -1
	s_mov_b32 s19, exec_lo
	v_add3_u32 v60, v60, v64, v63
	s_waitcnt lgkmcnt(0)
	v_mul_lo_u32 v58, v58, s8
	v_mul_lo_u32 v65, v57, s9
	v_mad_u64_u32 v[61:62], null, v57, s8, 0
	s_delay_alu instid0(VALU_DEP_1) | instskip(SKIP_1) | instid1(VALU_DEP_2)
	v_add3_u32 v62, v62, v65, v58
	v_lshlrev_b64 v[57:58], 1, v[59:60]
	v_lshlrev_b64 v[61:62], 1, v[61:62]
	s_delay_alu instid0(VALU_DEP_2) | instskip(NEXT) | instid1(VALU_DEP_3)
	v_add_co_u32 v59, vcc_lo, s10, v57
	v_add_co_ci_u32_e32 v60, vcc_lo, s11, v58, vcc_lo
	s_delay_alu instid0(VALU_DEP_3) | instskip(NEXT) | instid1(VALU_DEP_4)
	v_add_co_u32 v57, vcc_lo, s10, v61
	v_add_co_ci_u32_e32 v58, vcc_lo, s11, v62, vcc_lo
	s_clause 0x1
	global_load_u16 v61, v[59:60], off
	global_load_u16 v62, v[57:58], off
	s_waitcnt vmcnt(0)
	v_cmpx_eq_u16_e64 v61, v62
	s_cbranch_execz .LBB683_920
; %bb.913:
	v_add_co_u32 v57, vcc_lo, v57, 2
	v_add_co_ci_u32_e32 v58, vcc_lo, 0, v58, vcc_lo
	v_add_co_u32 v59, vcc_lo, v59, 2
	v_add_co_ci_u32_e32 v60, vcc_lo, 0, v60, vcc_lo
	s_add_u32 s12, s8, -1
	s_addc_u32 s13, s9, -1
	s_mov_b64 s[14:15], 0
	s_mov_b32 s20, 0
                                        ; implicit-def: $sgpr21
	s_set_inst_prefetch_distance 0x1
	s_branch .LBB683_916
	.p2align	6
.LBB683_914:                            ;   in Loop: Header=BB683_916 Depth=1
	global_load_u16 v61, v[59:60], off
	global_load_u16 v62, v[57:58], off
	v_add_co_u32 v57, vcc_lo, v57, 2
	v_add_co_ci_u32_e32 v58, vcc_lo, 0, v58, vcc_lo
	v_add_co_u32 v59, s0, v59, 2
	s_delay_alu instid0(VALU_DEP_1)
	v_add_co_ci_u32_e64 v60, s0, 0, v60, s0
	s_add_u32 s14, s14, 1
	s_addc_u32 s15, s15, 0
	s_and_not1_b32 s0, s21, exec_lo
	s_waitcnt vmcnt(0)
	v_cmp_ne_u16_e32 vcc_lo, v61, v62
	s_and_b32 s21, vcc_lo, exec_lo
	s_delay_alu instid0(SALU_CYCLE_1)
	s_or_b32 s21, s0, s21
.LBB683_915:                            ;   in Loop: Header=BB683_916 Depth=1
	v_dual_mov_b32 v62, s15 :: v_dual_mov_b32 v61, s14
	s_and_b32 s0, exec_lo, s21
	s_delay_alu instid0(SALU_CYCLE_1) | instskip(NEXT) | instid1(SALU_CYCLE_1)
	s_or_b32 s20, s0, s20
	s_and_not1_b32 exec_lo, exec_lo, s20
	s_cbranch_execz .LBB683_919
.LBB683_916:                            ; =>This Inner Loop Header: Depth=1
	s_or_b32 s21, s21, exec_lo
	s_cmp_eq_u64 s[12:13], s[14:15]
	s_cbranch_scc0 .LBB683_914
; %bb.917:                              ;   in Loop: Header=BB683_916 Depth=1
	s_mov_b64 s[14:15], s[8:9]
                                        ; implicit-def: $vgpr57_vgpr58
                                        ; implicit-def: $vgpr59_vgpr60
	s_branch .LBB683_915
.LBB683_918:
	s_mov_b32 s0, 0
	s_branch .LBB683_921
.LBB683_919:
	s_set_inst_prefetch_distance 0x2
	s_or_b32 exec_lo, exec_lo, s20
	v_cmp_gt_i64_e32 vcc_lo, s[8:9], v[61:62]
	s_or_not1_b32 s0, vcc_lo, exec_lo
.LBB683_920:
	s_or_b32 exec_lo, exec_lo, s19
.LBB683_921:
	s_delay_alu instid0(SALU_CYCLE_1)
	s_and_b32 s0, s0, exec_lo
	s_or_b32 s1, s1, exec_lo
.LBB683_922:
	s_or_b32 exec_lo, exec_lo, s18
	v_dual_mov_b32 v182, v166 :: v_dual_mov_b32 v181, v165
	v_dual_mov_b32 v168, v164 :: v_dual_mov_b32 v167, v163
	;; [unrolled: 1-line block ×27, first 2 shown]
	s_and_b32 vcc_lo, exec_lo, s3
	s_cbranch_vccz .LBB683_1243
.LBB683_923:
	v_cmp_gt_i64_e64 s0, s[8:9], 0
	s_waitcnt lgkmcnt(0)
	v_mad_u32_u24 v57, v0, 29, 28
	v_mul_u32_u24_e32 v64, 29, v0
	s_mov_b32 s3, exec_lo
	ds_store_b64 v195, v[109:110]
	v_cndmask_b32_e64 v63, 0, 1, s0
	v_cmpx_gt_u32_e64 s6, v57
	s_cbranch_execz .LBB683_934
; %bb.924:
	s_and_not1_b32 vcc_lo, exec_lo, s0
	s_cbranch_vccnz .LBB683_931
; %bb.925:
	v_mul_lo_u32 v61, v110, s8
	v_mul_lo_u32 v62, v109, s9
	v_mad_u64_u32 v[57:58], null, v109, s8, 0
	v_mul_lo_u32 v65, v8, s8
	v_mul_lo_u32 v66, v7, s9
	v_mad_u64_u32 v[59:60], null, v7, s8, 0
	v_mov_b32_e32 v109, 1
	v_mov_b32_e32 v110, 0
	v_add3_u32 v58, v58, v62, v61
	s_mov_b32 s18, exec_lo
	s_delay_alu instid0(VALU_DEP_4) | instskip(NEXT) | instid1(VALU_DEP_2)
	v_add3_u32 v60, v60, v66, v65
	v_lshlrev_b64 v[57:58], 1, v[57:58]
	s_delay_alu instid0(VALU_DEP_2) | instskip(NEXT) | instid1(VALU_DEP_2)
	v_lshlrev_b64 v[61:62], 1, v[59:60]
	v_add_co_u32 v59, vcc_lo, s10, v57
	s_delay_alu instid0(VALU_DEP_3) | instskip(NEXT) | instid1(VALU_DEP_3)
	v_add_co_ci_u32_e32 v60, vcc_lo, s11, v58, vcc_lo
	v_add_co_u32 v57, vcc_lo, s10, v61
	s_delay_alu instid0(VALU_DEP_4)
	v_add_co_ci_u32_e32 v58, vcc_lo, s11, v62, vcc_lo
	s_clause 0x1
	global_load_u16 v61, v[59:60], off
	global_load_u16 v62, v[57:58], off
	s_waitcnt vmcnt(0)
	v_cmpx_eq_u16_e64 v61, v62
	s_cbranch_execz .LBB683_933
; %bb.926:
	v_add_co_u32 v57, vcc_lo, v57, 2
	v_add_co_ci_u32_e32 v58, vcc_lo, 0, v58, vcc_lo
	v_add_co_u32 v59, vcc_lo, v59, 2
	v_add_co_ci_u32_e32 v60, vcc_lo, 0, v60, vcc_lo
	s_add_u32 s12, s8, -1
	s_addc_u32 s13, s9, -1
	s_mov_b64 s[14:15], 0
	s_mov_b32 s19, 0
                                        ; implicit-def: $sgpr20
	s_set_inst_prefetch_distance 0x1
	s_branch .LBB683_929
	.p2align	6
.LBB683_927:                            ;   in Loop: Header=BB683_929 Depth=1
	global_load_u16 v61, v[59:60], off
	global_load_u16 v62, v[57:58], off
	v_add_co_u32 v57, vcc_lo, v57, 2
	v_add_co_ci_u32_e32 v58, vcc_lo, 0, v58, vcc_lo
	v_add_co_u32 v59, s0, v59, 2
	s_delay_alu instid0(VALU_DEP_1)
	v_add_co_ci_u32_e64 v60, s0, 0, v60, s0
	s_add_u32 s14, s14, 1
	s_addc_u32 s15, s15, 0
	s_and_not1_b32 s0, s20, exec_lo
	s_waitcnt vmcnt(0)
	v_cmp_ne_u16_e32 vcc_lo, v61, v62
	s_and_b32 s20, vcc_lo, exec_lo
	s_delay_alu instid0(SALU_CYCLE_1)
	s_or_b32 s20, s0, s20
.LBB683_928:                            ;   in Loop: Header=BB683_929 Depth=1
	v_dual_mov_b32 v62, s15 :: v_dual_mov_b32 v61, s14
	s_and_b32 s0, exec_lo, s20
	s_delay_alu instid0(SALU_CYCLE_1) | instskip(NEXT) | instid1(SALU_CYCLE_1)
	s_or_b32 s19, s0, s19
	s_and_not1_b32 exec_lo, exec_lo, s19
	s_cbranch_execz .LBB683_932
.LBB683_929:                            ; =>This Inner Loop Header: Depth=1
	s_or_b32 s20, s20, exec_lo
	s_cmp_eq_u64 s[12:13], s[14:15]
	s_cbranch_scc0 .LBB683_927
; %bb.930:                              ;   in Loop: Header=BB683_929 Depth=1
	s_mov_b64 s[14:15], s[8:9]
                                        ; implicit-def: $vgpr57_vgpr58
                                        ; implicit-def: $vgpr59_vgpr60
	s_branch .LBB683_928
.LBB683_931:
	v_mov_b32_e32 v109, 0
	v_mov_b32_e32 v110, 0
	s_branch .LBB683_934
.LBB683_932:
	s_set_inst_prefetch_distance 0x2
	s_or_b32 exec_lo, exec_lo, s19
	v_cmp_gt_i64_e32 vcc_lo, s[8:9], v[61:62]
	s_mov_b32 s0, 0
	s_delay_alu instid0(SALU_CYCLE_1)
	v_mov_b32_e32 v110, s0
	v_cndmask_b32_e64 v109, 0, 1, vcc_lo
.LBB683_933:
	s_or_b32 exec_lo, exec_lo, s18
.LBB683_934:
	s_delay_alu instid0(SALU_CYCLE_1) | instskip(SKIP_2) | instid1(VALU_DEP_1)
	s_or_b32 exec_lo, exec_lo, s3
	v_add_nc_u32_e32 v57, 27, v64
	s_mov_b32 s3, exec_lo
	v_cmpx_gt_u32_e64 s6, v57
	s_cbranch_execz .LBB683_945
; %bb.935:
	v_cmp_ne_u32_e32 vcc_lo, 1, v63
	s_cbranch_vccnz .LBB683_942
; %bb.936:
	v_mul_lo_u32 v59, v8, s8
	v_mul_lo_u32 v60, v7, s9
	v_mad_u64_u32 v[57:58], null, v7, s8, 0
	v_mul_lo_u32 v61, v6, s8
	v_mul_lo_u32 v62, v5, s9
	v_mad_u64_u32 v[7:8], null, v5, s8, 0
	s_mov_b32 s18, exec_lo
	s_delay_alu instid0(VALU_DEP_4) | instskip(NEXT) | instid1(VALU_DEP_2)
	v_add3_u32 v58, v58, v60, v59
	v_add3_u32 v8, v8, v62, v61
	s_delay_alu instid0(VALU_DEP_2) | instskip(NEXT) | instid1(VALU_DEP_2)
	v_lshlrev_b64 v[57:58], 1, v[57:58]
	v_lshlrev_b64 v[7:8], 1, v[7:8]
	s_delay_alu instid0(VALU_DEP_2) | instskip(NEXT) | instid1(VALU_DEP_3)
	v_add_co_u32 v57, vcc_lo, s10, v57
	v_add_co_ci_u32_e32 v58, vcc_lo, s11, v58, vcc_lo
	s_delay_alu instid0(VALU_DEP_3) | instskip(NEXT) | instid1(VALU_DEP_4)
	v_add_co_u32 v59, vcc_lo, s10, v7
	v_add_co_ci_u32_e32 v60, vcc_lo, s11, v8, vcc_lo
	s_clause 0x1
	global_load_u16 v61, v[57:58], off
	global_load_u16 v62, v[59:60], off
	v_mov_b32_e32 v7, 1
	v_mov_b32_e32 v8, 0
	s_waitcnt vmcnt(0)
	v_cmpx_eq_u16_e64 v61, v62
	s_cbranch_execz .LBB683_944
; %bb.937:
	v_add_co_u32 v7, vcc_lo, v59, 2
	v_add_co_ci_u32_e32 v8, vcc_lo, 0, v60, vcc_lo
	v_add_co_u32 v57, vcc_lo, v57, 2
	v_add_co_ci_u32_e32 v58, vcc_lo, 0, v58, vcc_lo
	s_add_u32 s12, s8, -1
	s_addc_u32 s13, s9, -1
	s_mov_b64 s[14:15], 0
	s_mov_b32 s19, 0
                                        ; implicit-def: $sgpr20
	s_set_inst_prefetch_distance 0x1
	s_branch .LBB683_940
	.p2align	6
.LBB683_938:                            ;   in Loop: Header=BB683_940 Depth=1
	global_load_u16 v59, v[57:58], off
	global_load_u16 v60, v[7:8], off
	v_add_co_u32 v7, vcc_lo, v7, 2
	v_add_co_ci_u32_e32 v8, vcc_lo, 0, v8, vcc_lo
	v_add_co_u32 v57, s0, v57, 2
	s_delay_alu instid0(VALU_DEP_1)
	v_add_co_ci_u32_e64 v58, s0, 0, v58, s0
	s_add_u32 s14, s14, 1
	s_addc_u32 s15, s15, 0
	s_and_not1_b32 s0, s20, exec_lo
	s_waitcnt vmcnt(0)
	v_cmp_ne_u16_e32 vcc_lo, v59, v60
	s_and_b32 s20, vcc_lo, exec_lo
	s_delay_alu instid0(SALU_CYCLE_1)
	s_or_b32 s20, s0, s20
.LBB683_939:                            ;   in Loop: Header=BB683_940 Depth=1
	v_dual_mov_b32 v60, s15 :: v_dual_mov_b32 v59, s14
	s_and_b32 s0, exec_lo, s20
	s_delay_alu instid0(SALU_CYCLE_1) | instskip(NEXT) | instid1(SALU_CYCLE_1)
	s_or_b32 s19, s0, s19
	s_and_not1_b32 exec_lo, exec_lo, s19
	s_cbranch_execz .LBB683_943
.LBB683_940:                            ; =>This Inner Loop Header: Depth=1
	s_or_b32 s20, s20, exec_lo
	s_cmp_eq_u64 s[12:13], s[14:15]
	s_cbranch_scc0 .LBB683_938
; %bb.941:                              ;   in Loop: Header=BB683_940 Depth=1
	s_mov_b64 s[14:15], s[8:9]
                                        ; implicit-def: $vgpr7_vgpr8
                                        ; implicit-def: $vgpr57_vgpr58
	s_branch .LBB683_939
.LBB683_942:
	v_mov_b32_e32 v7, 0
	v_mov_b32_e32 v8, 0
	s_branch .LBB683_945
.LBB683_943:
	s_set_inst_prefetch_distance 0x2
	s_or_b32 exec_lo, exec_lo, s19
	v_cmp_gt_i64_e32 vcc_lo, s[8:9], v[59:60]
	s_mov_b32 s0, 0
	s_delay_alu instid0(SALU_CYCLE_1)
	v_mov_b32_e32 v8, s0
	v_cndmask_b32_e64 v7, 0, 1, vcc_lo
.LBB683_944:
	s_or_b32 exec_lo, exec_lo, s18
.LBB683_945:
	s_delay_alu instid0(SALU_CYCLE_1) | instskip(SKIP_2) | instid1(VALU_DEP_1)
	s_or_b32 exec_lo, exec_lo, s3
	v_add_nc_u32_e32 v57, 26, v64
	s_mov_b32 s3, exec_lo
	v_cmpx_gt_u32_e64 s6, v57
	s_cbranch_execz .LBB683_956
; %bb.946:
	v_cmp_ne_u32_e32 vcc_lo, 1, v63
	s_cbranch_vccnz .LBB683_953
; %bb.947:
	v_mul_lo_u32 v59, v6, s8
	v_mul_lo_u32 v60, v5, s9
	v_mad_u64_u32 v[57:58], null, v5, s8, 0
	v_mul_lo_u32 v61, v12, s8
	v_mul_lo_u32 v62, v11, s9
	v_mad_u64_u32 v[5:6], null, v11, s8, 0
	s_mov_b32 s18, exec_lo
	s_delay_alu instid0(VALU_DEP_4) | instskip(NEXT) | instid1(VALU_DEP_2)
	v_add3_u32 v58, v58, v60, v59
	v_add3_u32 v6, v6, v62, v61
	s_delay_alu instid0(VALU_DEP_2) | instskip(NEXT) | instid1(VALU_DEP_2)
	v_lshlrev_b64 v[57:58], 1, v[57:58]
	v_lshlrev_b64 v[5:6], 1, v[5:6]
	s_delay_alu instid0(VALU_DEP_2) | instskip(NEXT) | instid1(VALU_DEP_3)
	v_add_co_u32 v57, vcc_lo, s10, v57
	v_add_co_ci_u32_e32 v58, vcc_lo, s11, v58, vcc_lo
	s_delay_alu instid0(VALU_DEP_3) | instskip(NEXT) | instid1(VALU_DEP_4)
	v_add_co_u32 v59, vcc_lo, s10, v5
	v_add_co_ci_u32_e32 v60, vcc_lo, s11, v6, vcc_lo
	s_clause 0x1
	global_load_u16 v61, v[57:58], off
	global_load_u16 v62, v[59:60], off
	v_mov_b32_e32 v5, 1
	v_mov_b32_e32 v6, 0
	s_waitcnt vmcnt(0)
	v_cmpx_eq_u16_e64 v61, v62
	s_cbranch_execz .LBB683_955
; %bb.948:
	v_add_co_u32 v5, vcc_lo, v59, 2
	v_add_co_ci_u32_e32 v6, vcc_lo, 0, v60, vcc_lo
	v_add_co_u32 v57, vcc_lo, v57, 2
	v_add_co_ci_u32_e32 v58, vcc_lo, 0, v58, vcc_lo
	s_add_u32 s12, s8, -1
	s_addc_u32 s13, s9, -1
	s_mov_b64 s[14:15], 0
	s_mov_b32 s19, 0
                                        ; implicit-def: $sgpr20
	s_set_inst_prefetch_distance 0x1
	s_branch .LBB683_951
	.p2align	6
.LBB683_949:                            ;   in Loop: Header=BB683_951 Depth=1
	global_load_u16 v59, v[57:58], off
	global_load_u16 v60, v[5:6], off
	v_add_co_u32 v5, vcc_lo, v5, 2
	v_add_co_ci_u32_e32 v6, vcc_lo, 0, v6, vcc_lo
	v_add_co_u32 v57, s0, v57, 2
	s_delay_alu instid0(VALU_DEP_1)
	v_add_co_ci_u32_e64 v58, s0, 0, v58, s0
	s_add_u32 s14, s14, 1
	s_addc_u32 s15, s15, 0
	s_and_not1_b32 s0, s20, exec_lo
	s_waitcnt vmcnt(0)
	v_cmp_ne_u16_e32 vcc_lo, v59, v60
	s_and_b32 s20, vcc_lo, exec_lo
	s_delay_alu instid0(SALU_CYCLE_1)
	s_or_b32 s20, s0, s20
.LBB683_950:                            ;   in Loop: Header=BB683_951 Depth=1
	v_dual_mov_b32 v60, s15 :: v_dual_mov_b32 v59, s14
	s_and_b32 s0, exec_lo, s20
	s_delay_alu instid0(SALU_CYCLE_1) | instskip(NEXT) | instid1(SALU_CYCLE_1)
	s_or_b32 s19, s0, s19
	s_and_not1_b32 exec_lo, exec_lo, s19
	s_cbranch_execz .LBB683_954
.LBB683_951:                            ; =>This Inner Loop Header: Depth=1
	s_or_b32 s20, s20, exec_lo
	s_cmp_eq_u64 s[12:13], s[14:15]
	s_cbranch_scc0 .LBB683_949
; %bb.952:                              ;   in Loop: Header=BB683_951 Depth=1
	s_mov_b64 s[14:15], s[8:9]
                                        ; implicit-def: $vgpr5_vgpr6
                                        ; implicit-def: $vgpr57_vgpr58
	s_branch .LBB683_950
.LBB683_953:
	v_mov_b32_e32 v5, 0
	v_mov_b32_e32 v6, 0
	s_branch .LBB683_956
.LBB683_954:
	s_set_inst_prefetch_distance 0x2
	s_or_b32 exec_lo, exec_lo, s19
	v_cmp_gt_i64_e32 vcc_lo, s[8:9], v[59:60]
	s_mov_b32 s0, 0
	s_delay_alu instid0(SALU_CYCLE_1)
	v_mov_b32_e32 v6, s0
	v_cndmask_b32_e64 v5, 0, 1, vcc_lo
.LBB683_955:
	s_or_b32 exec_lo, exec_lo, s18
.LBB683_956:
	s_delay_alu instid0(SALU_CYCLE_1) | instskip(SKIP_2) | instid1(VALU_DEP_1)
	s_or_b32 exec_lo, exec_lo, s3
	v_add_nc_u32_e32 v57, 25, v64
	s_mov_b32 s3, exec_lo
	v_cmpx_gt_u32_e64 s6, v57
	s_cbranch_execz .LBB683_967
; %bb.957:
	v_cmp_ne_u32_e32 vcc_lo, 1, v63
	s_cbranch_vccnz .LBB683_964
; %bb.958:
	v_mul_lo_u32 v59, v12, s8
	v_mul_lo_u32 v60, v11, s9
	v_mad_u64_u32 v[57:58], null, v11, s8, 0
	v_mul_lo_u32 v61, v10, s8
	v_mul_lo_u32 v62, v9, s9
	v_mad_u64_u32 v[11:12], null, v9, s8, 0
	s_mov_b32 s18, exec_lo
	s_delay_alu instid0(VALU_DEP_4) | instskip(NEXT) | instid1(VALU_DEP_2)
	v_add3_u32 v58, v58, v60, v59
	v_add3_u32 v12, v12, v62, v61
	s_delay_alu instid0(VALU_DEP_2) | instskip(NEXT) | instid1(VALU_DEP_2)
	v_lshlrev_b64 v[57:58], 1, v[57:58]
	v_lshlrev_b64 v[11:12], 1, v[11:12]
	s_delay_alu instid0(VALU_DEP_2) | instskip(NEXT) | instid1(VALU_DEP_3)
	v_add_co_u32 v57, vcc_lo, s10, v57
	v_add_co_ci_u32_e32 v58, vcc_lo, s11, v58, vcc_lo
	s_delay_alu instid0(VALU_DEP_3) | instskip(NEXT) | instid1(VALU_DEP_4)
	v_add_co_u32 v59, vcc_lo, s10, v11
	v_add_co_ci_u32_e32 v60, vcc_lo, s11, v12, vcc_lo
	s_clause 0x1
	global_load_u16 v61, v[57:58], off
	global_load_u16 v62, v[59:60], off
	v_mov_b32_e32 v11, 1
	v_mov_b32_e32 v12, 0
	s_waitcnt vmcnt(0)
	v_cmpx_eq_u16_e64 v61, v62
	s_cbranch_execz .LBB683_966
; %bb.959:
	v_add_co_u32 v11, vcc_lo, v59, 2
	v_add_co_ci_u32_e32 v12, vcc_lo, 0, v60, vcc_lo
	v_add_co_u32 v57, vcc_lo, v57, 2
	v_add_co_ci_u32_e32 v58, vcc_lo, 0, v58, vcc_lo
	s_add_u32 s12, s8, -1
	s_addc_u32 s13, s9, -1
	s_mov_b64 s[14:15], 0
	s_mov_b32 s19, 0
                                        ; implicit-def: $sgpr20
	s_set_inst_prefetch_distance 0x1
	s_branch .LBB683_962
	.p2align	6
.LBB683_960:                            ;   in Loop: Header=BB683_962 Depth=1
	global_load_u16 v59, v[57:58], off
	global_load_u16 v60, v[11:12], off
	v_add_co_u32 v11, vcc_lo, v11, 2
	v_add_co_ci_u32_e32 v12, vcc_lo, 0, v12, vcc_lo
	v_add_co_u32 v57, s0, v57, 2
	s_delay_alu instid0(VALU_DEP_1)
	v_add_co_ci_u32_e64 v58, s0, 0, v58, s0
	s_add_u32 s14, s14, 1
	s_addc_u32 s15, s15, 0
	s_and_not1_b32 s0, s20, exec_lo
	s_waitcnt vmcnt(0)
	v_cmp_ne_u16_e32 vcc_lo, v59, v60
	s_and_b32 s20, vcc_lo, exec_lo
	s_delay_alu instid0(SALU_CYCLE_1)
	s_or_b32 s20, s0, s20
.LBB683_961:                            ;   in Loop: Header=BB683_962 Depth=1
	v_dual_mov_b32 v60, s15 :: v_dual_mov_b32 v59, s14
	s_and_b32 s0, exec_lo, s20
	s_delay_alu instid0(SALU_CYCLE_1) | instskip(NEXT) | instid1(SALU_CYCLE_1)
	s_or_b32 s19, s0, s19
	s_and_not1_b32 exec_lo, exec_lo, s19
	s_cbranch_execz .LBB683_965
.LBB683_962:                            ; =>This Inner Loop Header: Depth=1
	s_or_b32 s20, s20, exec_lo
	s_cmp_eq_u64 s[12:13], s[14:15]
	s_cbranch_scc0 .LBB683_960
; %bb.963:                              ;   in Loop: Header=BB683_962 Depth=1
	s_mov_b64 s[14:15], s[8:9]
                                        ; implicit-def: $vgpr11_vgpr12
                                        ; implicit-def: $vgpr57_vgpr58
	s_branch .LBB683_961
.LBB683_964:
	v_mov_b32_e32 v11, 0
	v_mov_b32_e32 v12, 0
	s_branch .LBB683_967
.LBB683_965:
	s_set_inst_prefetch_distance 0x2
	s_or_b32 exec_lo, exec_lo, s19
	v_cmp_gt_i64_e32 vcc_lo, s[8:9], v[59:60]
	s_mov_b32 s0, 0
	s_delay_alu instid0(SALU_CYCLE_1)
	v_mov_b32_e32 v12, s0
	v_cndmask_b32_e64 v11, 0, 1, vcc_lo
.LBB683_966:
	s_or_b32 exec_lo, exec_lo, s18
.LBB683_967:
	s_delay_alu instid0(SALU_CYCLE_1) | instskip(SKIP_2) | instid1(VALU_DEP_1)
	s_or_b32 exec_lo, exec_lo, s3
	v_add_nc_u32_e32 v57, 24, v64
	s_mov_b32 s3, exec_lo
	v_cmpx_gt_u32_e64 s6, v57
	s_cbranch_execz .LBB683_978
; %bb.968:
	v_cmp_ne_u32_e32 vcc_lo, 1, v63
	s_cbranch_vccnz .LBB683_975
; %bb.969:
	v_mul_lo_u32 v59, v10, s8
	v_mul_lo_u32 v60, v9, s9
	v_mad_u64_u32 v[57:58], null, v9, s8, 0
	v_mul_lo_u32 v61, v56, s8
	v_mul_lo_u32 v62, v55, s9
	v_mad_u64_u32 v[9:10], null, v55, s8, 0
	s_mov_b32 s18, exec_lo
	s_delay_alu instid0(VALU_DEP_4) | instskip(NEXT) | instid1(VALU_DEP_2)
	v_add3_u32 v58, v58, v60, v59
	v_add3_u32 v10, v10, v62, v61
	s_delay_alu instid0(VALU_DEP_2) | instskip(NEXT) | instid1(VALU_DEP_2)
	v_lshlrev_b64 v[57:58], 1, v[57:58]
	v_lshlrev_b64 v[9:10], 1, v[9:10]
	s_delay_alu instid0(VALU_DEP_2) | instskip(NEXT) | instid1(VALU_DEP_3)
	v_add_co_u32 v57, vcc_lo, s10, v57
	v_add_co_ci_u32_e32 v58, vcc_lo, s11, v58, vcc_lo
	s_delay_alu instid0(VALU_DEP_3) | instskip(NEXT) | instid1(VALU_DEP_4)
	v_add_co_u32 v59, vcc_lo, s10, v9
	v_add_co_ci_u32_e32 v60, vcc_lo, s11, v10, vcc_lo
	s_clause 0x1
	global_load_u16 v61, v[57:58], off
	global_load_u16 v62, v[59:60], off
	v_mov_b32_e32 v9, 1
	v_mov_b32_e32 v10, 0
	s_waitcnt vmcnt(0)
	v_cmpx_eq_u16_e64 v61, v62
	s_cbranch_execz .LBB683_977
; %bb.970:
	v_add_co_u32 v9, vcc_lo, v59, 2
	v_add_co_ci_u32_e32 v10, vcc_lo, 0, v60, vcc_lo
	v_add_co_u32 v57, vcc_lo, v57, 2
	v_add_co_ci_u32_e32 v58, vcc_lo, 0, v58, vcc_lo
	s_add_u32 s12, s8, -1
	s_addc_u32 s13, s9, -1
	s_mov_b64 s[14:15], 0
	s_mov_b32 s19, 0
                                        ; implicit-def: $sgpr20
	s_set_inst_prefetch_distance 0x1
	s_branch .LBB683_973
	.p2align	6
.LBB683_971:                            ;   in Loop: Header=BB683_973 Depth=1
	global_load_u16 v59, v[57:58], off
	global_load_u16 v60, v[9:10], off
	v_add_co_u32 v9, vcc_lo, v9, 2
	v_add_co_ci_u32_e32 v10, vcc_lo, 0, v10, vcc_lo
	v_add_co_u32 v57, s0, v57, 2
	s_delay_alu instid0(VALU_DEP_1)
	v_add_co_ci_u32_e64 v58, s0, 0, v58, s0
	s_add_u32 s14, s14, 1
	s_addc_u32 s15, s15, 0
	s_and_not1_b32 s0, s20, exec_lo
	s_waitcnt vmcnt(0)
	v_cmp_ne_u16_e32 vcc_lo, v59, v60
	s_and_b32 s20, vcc_lo, exec_lo
	s_delay_alu instid0(SALU_CYCLE_1)
	s_or_b32 s20, s0, s20
.LBB683_972:                            ;   in Loop: Header=BB683_973 Depth=1
	v_dual_mov_b32 v60, s15 :: v_dual_mov_b32 v59, s14
	s_and_b32 s0, exec_lo, s20
	s_delay_alu instid0(SALU_CYCLE_1) | instskip(NEXT) | instid1(SALU_CYCLE_1)
	s_or_b32 s19, s0, s19
	s_and_not1_b32 exec_lo, exec_lo, s19
	s_cbranch_execz .LBB683_976
.LBB683_973:                            ; =>This Inner Loop Header: Depth=1
	s_or_b32 s20, s20, exec_lo
	s_cmp_eq_u64 s[12:13], s[14:15]
	s_cbranch_scc0 .LBB683_971
; %bb.974:                              ;   in Loop: Header=BB683_973 Depth=1
	s_mov_b64 s[14:15], s[8:9]
                                        ; implicit-def: $vgpr9_vgpr10
                                        ; implicit-def: $vgpr57_vgpr58
	s_branch .LBB683_972
.LBB683_975:
	v_mov_b32_e32 v9, 0
	v_mov_b32_e32 v10, 0
	s_branch .LBB683_978
.LBB683_976:
	s_set_inst_prefetch_distance 0x2
	s_or_b32 exec_lo, exec_lo, s19
	v_cmp_gt_i64_e32 vcc_lo, s[8:9], v[59:60]
	s_mov_b32 s0, 0
	s_delay_alu instid0(SALU_CYCLE_1)
	v_mov_b32_e32 v10, s0
	v_cndmask_b32_e64 v9, 0, 1, vcc_lo
.LBB683_977:
	s_or_b32 exec_lo, exec_lo, s18
.LBB683_978:
	s_delay_alu instid0(SALU_CYCLE_1) | instskip(SKIP_2) | instid1(VALU_DEP_1)
	s_or_b32 exec_lo, exec_lo, s3
	v_add_nc_u32_e32 v57, 23, v64
	s_mov_b32 s3, exec_lo
	v_cmpx_gt_u32_e64 s6, v57
	s_cbranch_execz .LBB683_989
; %bb.979:
	v_cmp_ne_u32_e32 vcc_lo, 1, v63
	s_cbranch_vccnz .LBB683_986
; %bb.980:
	v_mul_lo_u32 v60, v56, s8
	v_mul_lo_u32 v61, v55, s9
	v_mad_u64_u32 v[56:57], null, v55, s8, 0
	v_mul_lo_u32 v55, v54, s8
	v_mul_lo_u32 v62, v53, s9
	v_mad_u64_u32 v[58:59], null, v53, s8, 0
	s_mov_b32 s18, exec_lo
	s_delay_alu instid0(VALU_DEP_4) | instskip(NEXT) | instid1(VALU_DEP_2)
	v_add3_u32 v57, v57, v61, v60
	v_add3_u32 v59, v59, v62, v55
	s_delay_alu instid0(VALU_DEP_2) | instskip(NEXT) | instid1(VALU_DEP_2)
	v_lshlrev_b64 v[55:56], 1, v[56:57]
	v_lshlrev_b64 v[59:60], 1, v[58:59]
	s_delay_alu instid0(VALU_DEP_2) | instskip(NEXT) | instid1(VALU_DEP_3)
	v_add_co_u32 v57, vcc_lo, s10, v55
	v_add_co_ci_u32_e32 v58, vcc_lo, s11, v56, vcc_lo
	s_delay_alu instid0(VALU_DEP_3) | instskip(NEXT) | instid1(VALU_DEP_4)
	v_add_co_u32 v59, vcc_lo, s10, v59
	v_add_co_ci_u32_e32 v60, vcc_lo, s11, v60, vcc_lo
	s_clause 0x1
	global_load_u16 v61, v[57:58], off
	global_load_u16 v62, v[59:60], off
	v_mov_b32_e32 v55, 1
	v_mov_b32_e32 v56, 0
	s_waitcnt vmcnt(0)
	v_cmpx_eq_u16_e64 v61, v62
	s_cbranch_execz .LBB683_988
; %bb.981:
	v_add_co_u32 v55, vcc_lo, v59, 2
	v_add_co_ci_u32_e32 v56, vcc_lo, 0, v60, vcc_lo
	v_add_co_u32 v57, vcc_lo, v57, 2
	v_add_co_ci_u32_e32 v58, vcc_lo, 0, v58, vcc_lo
	s_add_u32 s12, s8, -1
	s_addc_u32 s13, s9, -1
	s_mov_b64 s[14:15], 0
	s_mov_b32 s19, 0
                                        ; implicit-def: $sgpr20
	s_set_inst_prefetch_distance 0x1
	s_branch .LBB683_984
	.p2align	6
.LBB683_982:                            ;   in Loop: Header=BB683_984 Depth=1
	global_load_u16 v59, v[57:58], off
	global_load_u16 v60, v[55:56], off
	v_add_co_u32 v55, vcc_lo, v55, 2
	v_add_co_ci_u32_e32 v56, vcc_lo, 0, v56, vcc_lo
	v_add_co_u32 v57, s0, v57, 2
	s_delay_alu instid0(VALU_DEP_1)
	v_add_co_ci_u32_e64 v58, s0, 0, v58, s0
	s_add_u32 s14, s14, 1
	s_addc_u32 s15, s15, 0
	s_and_not1_b32 s0, s20, exec_lo
	s_waitcnt vmcnt(0)
	v_cmp_ne_u16_e32 vcc_lo, v59, v60
	s_and_b32 s20, vcc_lo, exec_lo
	s_delay_alu instid0(SALU_CYCLE_1)
	s_or_b32 s20, s0, s20
.LBB683_983:                            ;   in Loop: Header=BB683_984 Depth=1
	v_dual_mov_b32 v60, s15 :: v_dual_mov_b32 v59, s14
	s_and_b32 s0, exec_lo, s20
	s_delay_alu instid0(SALU_CYCLE_1) | instskip(NEXT) | instid1(SALU_CYCLE_1)
	s_or_b32 s19, s0, s19
	s_and_not1_b32 exec_lo, exec_lo, s19
	s_cbranch_execz .LBB683_987
.LBB683_984:                            ; =>This Inner Loop Header: Depth=1
	s_or_b32 s20, s20, exec_lo
	s_cmp_eq_u64 s[12:13], s[14:15]
	s_cbranch_scc0 .LBB683_982
; %bb.985:                              ;   in Loop: Header=BB683_984 Depth=1
	s_mov_b64 s[14:15], s[8:9]
                                        ; implicit-def: $vgpr55_vgpr56
                                        ; implicit-def: $vgpr57_vgpr58
	s_branch .LBB683_983
.LBB683_986:
	v_mov_b32_e32 v55, 0
	v_mov_b32_e32 v56, 0
	s_branch .LBB683_989
.LBB683_987:
	s_set_inst_prefetch_distance 0x2
	s_or_b32 exec_lo, exec_lo, s19
	v_cmp_gt_i64_e32 vcc_lo, s[8:9], v[59:60]
	s_mov_b32 s0, 0
	s_delay_alu instid0(SALU_CYCLE_1)
	v_mov_b32_e32 v56, s0
	v_cndmask_b32_e64 v55, 0, 1, vcc_lo
.LBB683_988:
	s_or_b32 exec_lo, exec_lo, s18
.LBB683_989:
	s_delay_alu instid0(SALU_CYCLE_1) | instskip(SKIP_2) | instid1(VALU_DEP_1)
	s_or_b32 exec_lo, exec_lo, s3
	v_add_nc_u32_e32 v57, 22, v64
	s_mov_b32 s3, exec_lo
	v_cmpx_gt_u32_e64 s6, v57
	s_cbranch_execz .LBB683_1000
; %bb.990:
	v_cmp_ne_u32_e32 vcc_lo, 1, v63
	s_cbranch_vccnz .LBB683_997
; %bb.991:
	v_mul_lo_u32 v59, v54, s8
	v_mul_lo_u32 v60, v53, s9
	v_mad_u64_u32 v[57:58], null, v53, s8, 0
	v_mul_lo_u32 v61, v52, s8
	v_mul_lo_u32 v62, v51, s9
	v_mad_u64_u32 v[53:54], null, v51, s8, 0
	s_mov_b32 s18, exec_lo
	s_delay_alu instid0(VALU_DEP_4) | instskip(NEXT) | instid1(VALU_DEP_2)
	v_add3_u32 v58, v58, v60, v59
	v_add3_u32 v54, v54, v62, v61
	s_delay_alu instid0(VALU_DEP_2) | instskip(NEXT) | instid1(VALU_DEP_2)
	v_lshlrev_b64 v[57:58], 1, v[57:58]
	v_lshlrev_b64 v[53:54], 1, v[53:54]
	s_delay_alu instid0(VALU_DEP_2) | instskip(NEXT) | instid1(VALU_DEP_3)
	v_add_co_u32 v57, vcc_lo, s10, v57
	v_add_co_ci_u32_e32 v58, vcc_lo, s11, v58, vcc_lo
	s_delay_alu instid0(VALU_DEP_3) | instskip(NEXT) | instid1(VALU_DEP_4)
	v_add_co_u32 v59, vcc_lo, s10, v53
	v_add_co_ci_u32_e32 v60, vcc_lo, s11, v54, vcc_lo
	s_clause 0x1
	global_load_u16 v61, v[57:58], off
	global_load_u16 v62, v[59:60], off
	v_mov_b32_e32 v53, 1
	v_mov_b32_e32 v54, 0
	s_waitcnt vmcnt(0)
	v_cmpx_eq_u16_e64 v61, v62
	s_cbranch_execz .LBB683_999
; %bb.992:
	v_add_co_u32 v53, vcc_lo, v59, 2
	v_add_co_ci_u32_e32 v54, vcc_lo, 0, v60, vcc_lo
	v_add_co_u32 v57, vcc_lo, v57, 2
	v_add_co_ci_u32_e32 v58, vcc_lo, 0, v58, vcc_lo
	s_add_u32 s12, s8, -1
	s_addc_u32 s13, s9, -1
	s_mov_b64 s[14:15], 0
	s_mov_b32 s19, 0
                                        ; implicit-def: $sgpr20
	s_set_inst_prefetch_distance 0x1
	s_branch .LBB683_995
	.p2align	6
.LBB683_993:                            ;   in Loop: Header=BB683_995 Depth=1
	global_load_u16 v59, v[57:58], off
	global_load_u16 v60, v[53:54], off
	v_add_co_u32 v53, vcc_lo, v53, 2
	v_add_co_ci_u32_e32 v54, vcc_lo, 0, v54, vcc_lo
	v_add_co_u32 v57, s0, v57, 2
	s_delay_alu instid0(VALU_DEP_1)
	v_add_co_ci_u32_e64 v58, s0, 0, v58, s0
	s_add_u32 s14, s14, 1
	s_addc_u32 s15, s15, 0
	s_and_not1_b32 s0, s20, exec_lo
	s_waitcnt vmcnt(0)
	v_cmp_ne_u16_e32 vcc_lo, v59, v60
	s_and_b32 s20, vcc_lo, exec_lo
	s_delay_alu instid0(SALU_CYCLE_1)
	s_or_b32 s20, s0, s20
.LBB683_994:                            ;   in Loop: Header=BB683_995 Depth=1
	v_dual_mov_b32 v60, s15 :: v_dual_mov_b32 v59, s14
	s_and_b32 s0, exec_lo, s20
	s_delay_alu instid0(SALU_CYCLE_1) | instskip(NEXT) | instid1(SALU_CYCLE_1)
	s_or_b32 s19, s0, s19
	s_and_not1_b32 exec_lo, exec_lo, s19
	s_cbranch_execz .LBB683_998
.LBB683_995:                            ; =>This Inner Loop Header: Depth=1
	s_or_b32 s20, s20, exec_lo
	s_cmp_eq_u64 s[12:13], s[14:15]
	s_cbranch_scc0 .LBB683_993
; %bb.996:                              ;   in Loop: Header=BB683_995 Depth=1
	s_mov_b64 s[14:15], s[8:9]
                                        ; implicit-def: $vgpr53_vgpr54
                                        ; implicit-def: $vgpr57_vgpr58
	s_branch .LBB683_994
.LBB683_997:
	v_mov_b32_e32 v53, 0
	v_mov_b32_e32 v54, 0
	s_branch .LBB683_1000
.LBB683_998:
	s_set_inst_prefetch_distance 0x2
	s_or_b32 exec_lo, exec_lo, s19
	v_cmp_gt_i64_e32 vcc_lo, s[8:9], v[59:60]
	s_mov_b32 s0, 0
	s_delay_alu instid0(SALU_CYCLE_1)
	v_mov_b32_e32 v54, s0
	v_cndmask_b32_e64 v53, 0, 1, vcc_lo
.LBB683_999:
	s_or_b32 exec_lo, exec_lo, s18
.LBB683_1000:
	s_delay_alu instid0(SALU_CYCLE_1) | instskip(SKIP_2) | instid1(VALU_DEP_1)
	s_or_b32 exec_lo, exec_lo, s3
	v_add_nc_u32_e32 v57, 21, v64
	s_mov_b32 s3, exec_lo
	v_cmpx_gt_u32_e64 s6, v57
	s_cbranch_execz .LBB683_1011
; %bb.1001:
	v_cmp_ne_u32_e32 vcc_lo, 1, v63
	s_cbranch_vccnz .LBB683_1008
; %bb.1002:
	v_mul_lo_u32 v59, v52, s8
	v_mul_lo_u32 v60, v51, s9
	v_mad_u64_u32 v[57:58], null, v51, s8, 0
	v_mul_lo_u32 v61, v50, s8
	v_mul_lo_u32 v62, v49, s9
	v_mad_u64_u32 v[51:52], null, v49, s8, 0
	s_mov_b32 s18, exec_lo
	s_delay_alu instid0(VALU_DEP_4) | instskip(NEXT) | instid1(VALU_DEP_2)
	v_add3_u32 v58, v58, v60, v59
	v_add3_u32 v52, v52, v62, v61
	s_delay_alu instid0(VALU_DEP_2) | instskip(NEXT) | instid1(VALU_DEP_2)
	v_lshlrev_b64 v[57:58], 1, v[57:58]
	v_lshlrev_b64 v[51:52], 1, v[51:52]
	s_delay_alu instid0(VALU_DEP_2) | instskip(NEXT) | instid1(VALU_DEP_3)
	v_add_co_u32 v57, vcc_lo, s10, v57
	v_add_co_ci_u32_e32 v58, vcc_lo, s11, v58, vcc_lo
	s_delay_alu instid0(VALU_DEP_3) | instskip(NEXT) | instid1(VALU_DEP_4)
	v_add_co_u32 v59, vcc_lo, s10, v51
	v_add_co_ci_u32_e32 v60, vcc_lo, s11, v52, vcc_lo
	s_clause 0x1
	global_load_u16 v61, v[57:58], off
	global_load_u16 v62, v[59:60], off
	v_mov_b32_e32 v51, 1
	v_mov_b32_e32 v52, 0
	s_waitcnt vmcnt(0)
	v_cmpx_eq_u16_e64 v61, v62
	s_cbranch_execz .LBB683_1010
; %bb.1003:
	v_add_co_u32 v51, vcc_lo, v59, 2
	v_add_co_ci_u32_e32 v52, vcc_lo, 0, v60, vcc_lo
	v_add_co_u32 v57, vcc_lo, v57, 2
	v_add_co_ci_u32_e32 v58, vcc_lo, 0, v58, vcc_lo
	s_add_u32 s12, s8, -1
	s_addc_u32 s13, s9, -1
	s_mov_b64 s[14:15], 0
	s_mov_b32 s19, 0
                                        ; implicit-def: $sgpr20
	s_set_inst_prefetch_distance 0x1
	s_branch .LBB683_1006
	.p2align	6
.LBB683_1004:                           ;   in Loop: Header=BB683_1006 Depth=1
	global_load_u16 v59, v[57:58], off
	global_load_u16 v60, v[51:52], off
	v_add_co_u32 v51, vcc_lo, v51, 2
	v_add_co_ci_u32_e32 v52, vcc_lo, 0, v52, vcc_lo
	v_add_co_u32 v57, s0, v57, 2
	s_delay_alu instid0(VALU_DEP_1)
	v_add_co_ci_u32_e64 v58, s0, 0, v58, s0
	s_add_u32 s14, s14, 1
	s_addc_u32 s15, s15, 0
	s_and_not1_b32 s0, s20, exec_lo
	s_waitcnt vmcnt(0)
	v_cmp_ne_u16_e32 vcc_lo, v59, v60
	s_and_b32 s20, vcc_lo, exec_lo
	s_delay_alu instid0(SALU_CYCLE_1)
	s_or_b32 s20, s0, s20
.LBB683_1005:                           ;   in Loop: Header=BB683_1006 Depth=1
	v_dual_mov_b32 v60, s15 :: v_dual_mov_b32 v59, s14
	s_and_b32 s0, exec_lo, s20
	s_delay_alu instid0(SALU_CYCLE_1) | instskip(NEXT) | instid1(SALU_CYCLE_1)
	s_or_b32 s19, s0, s19
	s_and_not1_b32 exec_lo, exec_lo, s19
	s_cbranch_execz .LBB683_1009
.LBB683_1006:                           ; =>This Inner Loop Header: Depth=1
	s_or_b32 s20, s20, exec_lo
	s_cmp_eq_u64 s[12:13], s[14:15]
	s_cbranch_scc0 .LBB683_1004
; %bb.1007:                             ;   in Loop: Header=BB683_1006 Depth=1
	s_mov_b64 s[14:15], s[8:9]
                                        ; implicit-def: $vgpr51_vgpr52
                                        ; implicit-def: $vgpr57_vgpr58
	s_branch .LBB683_1005
.LBB683_1008:
	v_mov_b32_e32 v51, 0
	v_mov_b32_e32 v52, 0
	s_branch .LBB683_1011
.LBB683_1009:
	s_set_inst_prefetch_distance 0x2
	s_or_b32 exec_lo, exec_lo, s19
	v_cmp_gt_i64_e32 vcc_lo, s[8:9], v[59:60]
	s_mov_b32 s0, 0
	s_delay_alu instid0(SALU_CYCLE_1)
	v_mov_b32_e32 v52, s0
	v_cndmask_b32_e64 v51, 0, 1, vcc_lo
.LBB683_1010:
	s_or_b32 exec_lo, exec_lo, s18
.LBB683_1011:
	s_delay_alu instid0(SALU_CYCLE_1) | instskip(SKIP_2) | instid1(VALU_DEP_1)
	s_or_b32 exec_lo, exec_lo, s3
	v_add_nc_u32_e32 v57, 20, v64
	s_mov_b32 s3, exec_lo
	v_cmpx_gt_u32_e64 s6, v57
	s_cbranch_execz .LBB683_1022
; %bb.1012:
	v_cmp_ne_u32_e32 vcc_lo, 1, v63
	s_cbranch_vccnz .LBB683_1019
; %bb.1013:
	v_mul_lo_u32 v59, v50, s8
	v_mul_lo_u32 v60, v49, s9
	v_mad_u64_u32 v[57:58], null, v49, s8, 0
	v_mul_lo_u32 v61, v48, s8
	v_mul_lo_u32 v62, v47, s9
	v_mad_u64_u32 v[49:50], null, v47, s8, 0
	s_mov_b32 s18, exec_lo
	s_delay_alu instid0(VALU_DEP_4) | instskip(NEXT) | instid1(VALU_DEP_2)
	v_add3_u32 v58, v58, v60, v59
	v_add3_u32 v50, v50, v62, v61
	s_delay_alu instid0(VALU_DEP_2) | instskip(NEXT) | instid1(VALU_DEP_2)
	v_lshlrev_b64 v[57:58], 1, v[57:58]
	v_lshlrev_b64 v[49:50], 1, v[49:50]
	s_delay_alu instid0(VALU_DEP_2) | instskip(NEXT) | instid1(VALU_DEP_3)
	v_add_co_u32 v57, vcc_lo, s10, v57
	v_add_co_ci_u32_e32 v58, vcc_lo, s11, v58, vcc_lo
	s_delay_alu instid0(VALU_DEP_3) | instskip(NEXT) | instid1(VALU_DEP_4)
	v_add_co_u32 v59, vcc_lo, s10, v49
	v_add_co_ci_u32_e32 v60, vcc_lo, s11, v50, vcc_lo
	s_clause 0x1
	global_load_u16 v61, v[57:58], off
	global_load_u16 v62, v[59:60], off
	v_mov_b32_e32 v49, 1
	v_mov_b32_e32 v50, 0
	s_waitcnt vmcnt(0)
	v_cmpx_eq_u16_e64 v61, v62
	s_cbranch_execz .LBB683_1021
; %bb.1014:
	v_add_co_u32 v49, vcc_lo, v59, 2
	v_add_co_ci_u32_e32 v50, vcc_lo, 0, v60, vcc_lo
	v_add_co_u32 v57, vcc_lo, v57, 2
	v_add_co_ci_u32_e32 v58, vcc_lo, 0, v58, vcc_lo
	s_add_u32 s12, s8, -1
	s_addc_u32 s13, s9, -1
	s_mov_b64 s[14:15], 0
	s_mov_b32 s19, 0
                                        ; implicit-def: $sgpr20
	s_set_inst_prefetch_distance 0x1
	s_branch .LBB683_1017
	.p2align	6
.LBB683_1015:                           ;   in Loop: Header=BB683_1017 Depth=1
	global_load_u16 v59, v[57:58], off
	global_load_u16 v60, v[49:50], off
	v_add_co_u32 v49, vcc_lo, v49, 2
	v_add_co_ci_u32_e32 v50, vcc_lo, 0, v50, vcc_lo
	v_add_co_u32 v57, s0, v57, 2
	s_delay_alu instid0(VALU_DEP_1)
	v_add_co_ci_u32_e64 v58, s0, 0, v58, s0
	s_add_u32 s14, s14, 1
	s_addc_u32 s15, s15, 0
	s_and_not1_b32 s0, s20, exec_lo
	s_waitcnt vmcnt(0)
	v_cmp_ne_u16_e32 vcc_lo, v59, v60
	s_and_b32 s20, vcc_lo, exec_lo
	s_delay_alu instid0(SALU_CYCLE_1)
	s_or_b32 s20, s0, s20
.LBB683_1016:                           ;   in Loop: Header=BB683_1017 Depth=1
	v_dual_mov_b32 v60, s15 :: v_dual_mov_b32 v59, s14
	s_and_b32 s0, exec_lo, s20
	s_delay_alu instid0(SALU_CYCLE_1) | instskip(NEXT) | instid1(SALU_CYCLE_1)
	s_or_b32 s19, s0, s19
	s_and_not1_b32 exec_lo, exec_lo, s19
	s_cbranch_execz .LBB683_1020
.LBB683_1017:                           ; =>This Inner Loop Header: Depth=1
	s_or_b32 s20, s20, exec_lo
	s_cmp_eq_u64 s[12:13], s[14:15]
	s_cbranch_scc0 .LBB683_1015
; %bb.1018:                             ;   in Loop: Header=BB683_1017 Depth=1
	s_mov_b64 s[14:15], s[8:9]
                                        ; implicit-def: $vgpr49_vgpr50
                                        ; implicit-def: $vgpr57_vgpr58
	s_branch .LBB683_1016
.LBB683_1019:
	v_mov_b32_e32 v49, 0
	v_mov_b32_e32 v50, 0
	s_branch .LBB683_1022
.LBB683_1020:
	s_set_inst_prefetch_distance 0x2
	s_or_b32 exec_lo, exec_lo, s19
	v_cmp_gt_i64_e32 vcc_lo, s[8:9], v[59:60]
	s_mov_b32 s0, 0
	s_delay_alu instid0(SALU_CYCLE_1)
	v_mov_b32_e32 v50, s0
	v_cndmask_b32_e64 v49, 0, 1, vcc_lo
.LBB683_1021:
	s_or_b32 exec_lo, exec_lo, s18
.LBB683_1022:
	s_delay_alu instid0(SALU_CYCLE_1) | instskip(SKIP_2) | instid1(VALU_DEP_1)
	s_or_b32 exec_lo, exec_lo, s3
	v_add_nc_u32_e32 v57, 19, v64
	s_mov_b32 s3, exec_lo
	v_cmpx_gt_u32_e64 s6, v57
	s_cbranch_execz .LBB683_1033
; %bb.1023:
	v_cmp_ne_u32_e32 vcc_lo, 1, v63
	s_cbranch_vccnz .LBB683_1030
; %bb.1024:
	v_mul_lo_u32 v59, v48, s8
	v_mul_lo_u32 v60, v47, s9
	v_mad_u64_u32 v[57:58], null, v47, s8, 0
	v_mul_lo_u32 v61, v46, s8
	v_mul_lo_u32 v62, v45, s9
	v_mad_u64_u32 v[47:48], null, v45, s8, 0
	s_mov_b32 s18, exec_lo
	s_delay_alu instid0(VALU_DEP_4) | instskip(NEXT) | instid1(VALU_DEP_2)
	v_add3_u32 v58, v58, v60, v59
	v_add3_u32 v48, v48, v62, v61
	s_delay_alu instid0(VALU_DEP_2) | instskip(NEXT) | instid1(VALU_DEP_2)
	v_lshlrev_b64 v[57:58], 1, v[57:58]
	v_lshlrev_b64 v[47:48], 1, v[47:48]
	s_delay_alu instid0(VALU_DEP_2) | instskip(NEXT) | instid1(VALU_DEP_3)
	v_add_co_u32 v57, vcc_lo, s10, v57
	v_add_co_ci_u32_e32 v58, vcc_lo, s11, v58, vcc_lo
	s_delay_alu instid0(VALU_DEP_3) | instskip(NEXT) | instid1(VALU_DEP_4)
	v_add_co_u32 v59, vcc_lo, s10, v47
	v_add_co_ci_u32_e32 v60, vcc_lo, s11, v48, vcc_lo
	s_clause 0x1
	global_load_u16 v61, v[57:58], off
	global_load_u16 v62, v[59:60], off
	v_mov_b32_e32 v47, 1
	v_mov_b32_e32 v48, 0
	s_waitcnt vmcnt(0)
	v_cmpx_eq_u16_e64 v61, v62
	s_cbranch_execz .LBB683_1032
; %bb.1025:
	v_add_co_u32 v47, vcc_lo, v59, 2
	v_add_co_ci_u32_e32 v48, vcc_lo, 0, v60, vcc_lo
	v_add_co_u32 v57, vcc_lo, v57, 2
	v_add_co_ci_u32_e32 v58, vcc_lo, 0, v58, vcc_lo
	s_add_u32 s12, s8, -1
	s_addc_u32 s13, s9, -1
	s_mov_b64 s[14:15], 0
	s_mov_b32 s19, 0
                                        ; implicit-def: $sgpr20
	s_set_inst_prefetch_distance 0x1
	s_branch .LBB683_1028
	.p2align	6
.LBB683_1026:                           ;   in Loop: Header=BB683_1028 Depth=1
	global_load_u16 v59, v[57:58], off
	global_load_u16 v60, v[47:48], off
	v_add_co_u32 v47, vcc_lo, v47, 2
	v_add_co_ci_u32_e32 v48, vcc_lo, 0, v48, vcc_lo
	v_add_co_u32 v57, s0, v57, 2
	s_delay_alu instid0(VALU_DEP_1)
	v_add_co_ci_u32_e64 v58, s0, 0, v58, s0
	s_add_u32 s14, s14, 1
	s_addc_u32 s15, s15, 0
	s_and_not1_b32 s0, s20, exec_lo
	s_waitcnt vmcnt(0)
	v_cmp_ne_u16_e32 vcc_lo, v59, v60
	s_and_b32 s20, vcc_lo, exec_lo
	s_delay_alu instid0(SALU_CYCLE_1)
	s_or_b32 s20, s0, s20
.LBB683_1027:                           ;   in Loop: Header=BB683_1028 Depth=1
	v_dual_mov_b32 v60, s15 :: v_dual_mov_b32 v59, s14
	s_and_b32 s0, exec_lo, s20
	s_delay_alu instid0(SALU_CYCLE_1) | instskip(NEXT) | instid1(SALU_CYCLE_1)
	s_or_b32 s19, s0, s19
	s_and_not1_b32 exec_lo, exec_lo, s19
	s_cbranch_execz .LBB683_1031
.LBB683_1028:                           ; =>This Inner Loop Header: Depth=1
	s_or_b32 s20, s20, exec_lo
	s_cmp_eq_u64 s[12:13], s[14:15]
	s_cbranch_scc0 .LBB683_1026
; %bb.1029:                             ;   in Loop: Header=BB683_1028 Depth=1
	s_mov_b64 s[14:15], s[8:9]
                                        ; implicit-def: $vgpr47_vgpr48
                                        ; implicit-def: $vgpr57_vgpr58
	s_branch .LBB683_1027
.LBB683_1030:
	v_mov_b32_e32 v47, 0
	v_mov_b32_e32 v48, 0
	s_branch .LBB683_1033
.LBB683_1031:
	s_set_inst_prefetch_distance 0x2
	s_or_b32 exec_lo, exec_lo, s19
	v_cmp_gt_i64_e32 vcc_lo, s[8:9], v[59:60]
	s_mov_b32 s0, 0
	s_delay_alu instid0(SALU_CYCLE_1)
	v_mov_b32_e32 v48, s0
	v_cndmask_b32_e64 v47, 0, 1, vcc_lo
.LBB683_1032:
	s_or_b32 exec_lo, exec_lo, s18
.LBB683_1033:
	s_delay_alu instid0(SALU_CYCLE_1) | instskip(SKIP_2) | instid1(VALU_DEP_1)
	s_or_b32 exec_lo, exec_lo, s3
	v_add_nc_u32_e32 v57, 18, v64
	s_mov_b32 s3, exec_lo
	v_cmpx_gt_u32_e64 s6, v57
	s_cbranch_execz .LBB683_1044
; %bb.1034:
	v_cmp_ne_u32_e32 vcc_lo, 1, v63
	s_cbranch_vccnz .LBB683_1041
; %bb.1035:
	v_mul_lo_u32 v59, v46, s8
	v_mul_lo_u32 v60, v45, s9
	v_mad_u64_u32 v[57:58], null, v45, s8, 0
	v_mul_lo_u32 v61, v44, s8
	v_mul_lo_u32 v62, v43, s9
	v_mad_u64_u32 v[45:46], null, v43, s8, 0
	s_mov_b32 s18, exec_lo
	s_delay_alu instid0(VALU_DEP_4) | instskip(NEXT) | instid1(VALU_DEP_2)
	v_add3_u32 v58, v58, v60, v59
	v_add3_u32 v46, v46, v62, v61
	s_delay_alu instid0(VALU_DEP_2) | instskip(NEXT) | instid1(VALU_DEP_2)
	v_lshlrev_b64 v[57:58], 1, v[57:58]
	v_lshlrev_b64 v[45:46], 1, v[45:46]
	s_delay_alu instid0(VALU_DEP_2) | instskip(NEXT) | instid1(VALU_DEP_3)
	v_add_co_u32 v57, vcc_lo, s10, v57
	v_add_co_ci_u32_e32 v58, vcc_lo, s11, v58, vcc_lo
	s_delay_alu instid0(VALU_DEP_3) | instskip(NEXT) | instid1(VALU_DEP_4)
	v_add_co_u32 v59, vcc_lo, s10, v45
	v_add_co_ci_u32_e32 v60, vcc_lo, s11, v46, vcc_lo
	s_clause 0x1
	global_load_u16 v61, v[57:58], off
	global_load_u16 v62, v[59:60], off
	v_mov_b32_e32 v45, 1
	v_mov_b32_e32 v46, 0
	s_waitcnt vmcnt(0)
	v_cmpx_eq_u16_e64 v61, v62
	s_cbranch_execz .LBB683_1043
; %bb.1036:
	v_add_co_u32 v45, vcc_lo, v59, 2
	v_add_co_ci_u32_e32 v46, vcc_lo, 0, v60, vcc_lo
	v_add_co_u32 v57, vcc_lo, v57, 2
	v_add_co_ci_u32_e32 v58, vcc_lo, 0, v58, vcc_lo
	s_add_u32 s12, s8, -1
	s_addc_u32 s13, s9, -1
	s_mov_b64 s[14:15], 0
	s_mov_b32 s19, 0
                                        ; implicit-def: $sgpr20
	s_set_inst_prefetch_distance 0x1
	s_branch .LBB683_1039
	.p2align	6
.LBB683_1037:                           ;   in Loop: Header=BB683_1039 Depth=1
	global_load_u16 v59, v[57:58], off
	global_load_u16 v60, v[45:46], off
	v_add_co_u32 v45, vcc_lo, v45, 2
	v_add_co_ci_u32_e32 v46, vcc_lo, 0, v46, vcc_lo
	v_add_co_u32 v57, s0, v57, 2
	s_delay_alu instid0(VALU_DEP_1)
	v_add_co_ci_u32_e64 v58, s0, 0, v58, s0
	s_add_u32 s14, s14, 1
	s_addc_u32 s15, s15, 0
	s_and_not1_b32 s0, s20, exec_lo
	s_waitcnt vmcnt(0)
	v_cmp_ne_u16_e32 vcc_lo, v59, v60
	s_and_b32 s20, vcc_lo, exec_lo
	s_delay_alu instid0(SALU_CYCLE_1)
	s_or_b32 s20, s0, s20
.LBB683_1038:                           ;   in Loop: Header=BB683_1039 Depth=1
	v_dual_mov_b32 v60, s15 :: v_dual_mov_b32 v59, s14
	s_and_b32 s0, exec_lo, s20
	s_delay_alu instid0(SALU_CYCLE_1) | instskip(NEXT) | instid1(SALU_CYCLE_1)
	s_or_b32 s19, s0, s19
	s_and_not1_b32 exec_lo, exec_lo, s19
	s_cbranch_execz .LBB683_1042
.LBB683_1039:                           ; =>This Inner Loop Header: Depth=1
	s_or_b32 s20, s20, exec_lo
	s_cmp_eq_u64 s[12:13], s[14:15]
	s_cbranch_scc0 .LBB683_1037
; %bb.1040:                             ;   in Loop: Header=BB683_1039 Depth=1
	s_mov_b64 s[14:15], s[8:9]
                                        ; implicit-def: $vgpr45_vgpr46
                                        ; implicit-def: $vgpr57_vgpr58
	s_branch .LBB683_1038
.LBB683_1041:
	v_mov_b32_e32 v45, 0
	v_mov_b32_e32 v46, 0
	s_branch .LBB683_1044
.LBB683_1042:
	s_set_inst_prefetch_distance 0x2
	s_or_b32 exec_lo, exec_lo, s19
	v_cmp_gt_i64_e32 vcc_lo, s[8:9], v[59:60]
	s_mov_b32 s0, 0
	s_delay_alu instid0(SALU_CYCLE_1)
	v_mov_b32_e32 v46, s0
	v_cndmask_b32_e64 v45, 0, 1, vcc_lo
.LBB683_1043:
	s_or_b32 exec_lo, exec_lo, s18
.LBB683_1044:
	s_delay_alu instid0(SALU_CYCLE_1) | instskip(SKIP_2) | instid1(VALU_DEP_1)
	s_or_b32 exec_lo, exec_lo, s3
	v_add_nc_u32_e32 v57, 17, v64
	s_mov_b32 s3, exec_lo
	v_cmpx_gt_u32_e64 s6, v57
	s_cbranch_execz .LBB683_1055
; %bb.1045:
	v_cmp_ne_u32_e32 vcc_lo, 1, v63
	s_cbranch_vccnz .LBB683_1052
; %bb.1046:
	v_mul_lo_u32 v59, v44, s8
	v_mul_lo_u32 v60, v43, s9
	v_mad_u64_u32 v[57:58], null, v43, s8, 0
	v_mul_lo_u32 v61, v42, s8
	v_mul_lo_u32 v62, v41, s9
	v_mad_u64_u32 v[43:44], null, v41, s8, 0
	s_mov_b32 s18, exec_lo
	s_delay_alu instid0(VALU_DEP_4) | instskip(NEXT) | instid1(VALU_DEP_2)
	v_add3_u32 v58, v58, v60, v59
	v_add3_u32 v44, v44, v62, v61
	s_delay_alu instid0(VALU_DEP_2) | instskip(NEXT) | instid1(VALU_DEP_2)
	v_lshlrev_b64 v[57:58], 1, v[57:58]
	v_lshlrev_b64 v[43:44], 1, v[43:44]
	s_delay_alu instid0(VALU_DEP_2) | instskip(NEXT) | instid1(VALU_DEP_3)
	v_add_co_u32 v57, vcc_lo, s10, v57
	v_add_co_ci_u32_e32 v58, vcc_lo, s11, v58, vcc_lo
	s_delay_alu instid0(VALU_DEP_3) | instskip(NEXT) | instid1(VALU_DEP_4)
	v_add_co_u32 v59, vcc_lo, s10, v43
	v_add_co_ci_u32_e32 v60, vcc_lo, s11, v44, vcc_lo
	s_clause 0x1
	global_load_u16 v61, v[57:58], off
	global_load_u16 v62, v[59:60], off
	v_mov_b32_e32 v43, 1
	v_mov_b32_e32 v44, 0
	s_waitcnt vmcnt(0)
	v_cmpx_eq_u16_e64 v61, v62
	s_cbranch_execz .LBB683_1054
; %bb.1047:
	v_add_co_u32 v43, vcc_lo, v59, 2
	v_add_co_ci_u32_e32 v44, vcc_lo, 0, v60, vcc_lo
	v_add_co_u32 v57, vcc_lo, v57, 2
	v_add_co_ci_u32_e32 v58, vcc_lo, 0, v58, vcc_lo
	s_add_u32 s12, s8, -1
	s_addc_u32 s13, s9, -1
	s_mov_b64 s[14:15], 0
	s_mov_b32 s19, 0
                                        ; implicit-def: $sgpr20
	s_set_inst_prefetch_distance 0x1
	s_branch .LBB683_1050
	.p2align	6
.LBB683_1048:                           ;   in Loop: Header=BB683_1050 Depth=1
	global_load_u16 v59, v[57:58], off
	global_load_u16 v60, v[43:44], off
	v_add_co_u32 v43, vcc_lo, v43, 2
	v_add_co_ci_u32_e32 v44, vcc_lo, 0, v44, vcc_lo
	v_add_co_u32 v57, s0, v57, 2
	s_delay_alu instid0(VALU_DEP_1)
	v_add_co_ci_u32_e64 v58, s0, 0, v58, s0
	s_add_u32 s14, s14, 1
	s_addc_u32 s15, s15, 0
	s_and_not1_b32 s0, s20, exec_lo
	s_waitcnt vmcnt(0)
	v_cmp_ne_u16_e32 vcc_lo, v59, v60
	s_and_b32 s20, vcc_lo, exec_lo
	s_delay_alu instid0(SALU_CYCLE_1)
	s_or_b32 s20, s0, s20
.LBB683_1049:                           ;   in Loop: Header=BB683_1050 Depth=1
	v_dual_mov_b32 v60, s15 :: v_dual_mov_b32 v59, s14
	s_and_b32 s0, exec_lo, s20
	s_delay_alu instid0(SALU_CYCLE_1) | instskip(NEXT) | instid1(SALU_CYCLE_1)
	s_or_b32 s19, s0, s19
	s_and_not1_b32 exec_lo, exec_lo, s19
	s_cbranch_execz .LBB683_1053
.LBB683_1050:                           ; =>This Inner Loop Header: Depth=1
	s_or_b32 s20, s20, exec_lo
	s_cmp_eq_u64 s[12:13], s[14:15]
	s_cbranch_scc0 .LBB683_1048
; %bb.1051:                             ;   in Loop: Header=BB683_1050 Depth=1
	s_mov_b64 s[14:15], s[8:9]
                                        ; implicit-def: $vgpr43_vgpr44
                                        ; implicit-def: $vgpr57_vgpr58
	s_branch .LBB683_1049
.LBB683_1052:
	v_mov_b32_e32 v43, 0
	v_mov_b32_e32 v44, 0
	s_branch .LBB683_1055
.LBB683_1053:
	s_set_inst_prefetch_distance 0x2
	s_or_b32 exec_lo, exec_lo, s19
	v_cmp_gt_i64_e32 vcc_lo, s[8:9], v[59:60]
	s_mov_b32 s0, 0
	s_delay_alu instid0(SALU_CYCLE_1)
	v_mov_b32_e32 v44, s0
	v_cndmask_b32_e64 v43, 0, 1, vcc_lo
.LBB683_1054:
	s_or_b32 exec_lo, exec_lo, s18
.LBB683_1055:
	s_delay_alu instid0(SALU_CYCLE_1) | instskip(SKIP_2) | instid1(VALU_DEP_1)
	s_or_b32 exec_lo, exec_lo, s3
	v_add_nc_u32_e32 v57, 16, v64
	s_mov_b32 s3, exec_lo
	v_cmpx_gt_u32_e64 s6, v57
	s_cbranch_execz .LBB683_1066
; %bb.1056:
	v_cmp_ne_u32_e32 vcc_lo, 1, v63
	s_cbranch_vccnz .LBB683_1063
; %bb.1057:
	v_mul_lo_u32 v59, v42, s8
	v_mul_lo_u32 v60, v41, s9
	v_mad_u64_u32 v[57:58], null, v41, s8, 0
	v_mul_lo_u32 v61, v40, s8
	v_mul_lo_u32 v62, v39, s9
	v_mad_u64_u32 v[41:42], null, v39, s8, 0
	s_mov_b32 s18, exec_lo
	s_delay_alu instid0(VALU_DEP_4) | instskip(NEXT) | instid1(VALU_DEP_2)
	v_add3_u32 v58, v58, v60, v59
	v_add3_u32 v42, v42, v62, v61
	s_delay_alu instid0(VALU_DEP_2) | instskip(NEXT) | instid1(VALU_DEP_2)
	v_lshlrev_b64 v[57:58], 1, v[57:58]
	v_lshlrev_b64 v[41:42], 1, v[41:42]
	s_delay_alu instid0(VALU_DEP_2) | instskip(NEXT) | instid1(VALU_DEP_3)
	v_add_co_u32 v57, vcc_lo, s10, v57
	v_add_co_ci_u32_e32 v58, vcc_lo, s11, v58, vcc_lo
	s_delay_alu instid0(VALU_DEP_3) | instskip(NEXT) | instid1(VALU_DEP_4)
	v_add_co_u32 v59, vcc_lo, s10, v41
	v_add_co_ci_u32_e32 v60, vcc_lo, s11, v42, vcc_lo
	s_clause 0x1
	global_load_u16 v61, v[57:58], off
	global_load_u16 v62, v[59:60], off
	v_mov_b32_e32 v41, 1
	v_mov_b32_e32 v42, 0
	s_waitcnt vmcnt(0)
	v_cmpx_eq_u16_e64 v61, v62
	s_cbranch_execz .LBB683_1065
; %bb.1058:
	v_add_co_u32 v41, vcc_lo, v59, 2
	v_add_co_ci_u32_e32 v42, vcc_lo, 0, v60, vcc_lo
	v_add_co_u32 v57, vcc_lo, v57, 2
	v_add_co_ci_u32_e32 v58, vcc_lo, 0, v58, vcc_lo
	s_add_u32 s12, s8, -1
	s_addc_u32 s13, s9, -1
	s_mov_b64 s[14:15], 0
	s_mov_b32 s19, 0
                                        ; implicit-def: $sgpr20
	s_set_inst_prefetch_distance 0x1
	s_branch .LBB683_1061
	.p2align	6
.LBB683_1059:                           ;   in Loop: Header=BB683_1061 Depth=1
	global_load_u16 v59, v[57:58], off
	global_load_u16 v60, v[41:42], off
	v_add_co_u32 v41, vcc_lo, v41, 2
	v_add_co_ci_u32_e32 v42, vcc_lo, 0, v42, vcc_lo
	v_add_co_u32 v57, s0, v57, 2
	s_delay_alu instid0(VALU_DEP_1)
	v_add_co_ci_u32_e64 v58, s0, 0, v58, s0
	s_add_u32 s14, s14, 1
	s_addc_u32 s15, s15, 0
	s_and_not1_b32 s0, s20, exec_lo
	s_waitcnt vmcnt(0)
	v_cmp_ne_u16_e32 vcc_lo, v59, v60
	s_and_b32 s20, vcc_lo, exec_lo
	s_delay_alu instid0(SALU_CYCLE_1)
	s_or_b32 s20, s0, s20
.LBB683_1060:                           ;   in Loop: Header=BB683_1061 Depth=1
	v_dual_mov_b32 v60, s15 :: v_dual_mov_b32 v59, s14
	s_and_b32 s0, exec_lo, s20
	s_delay_alu instid0(SALU_CYCLE_1) | instskip(NEXT) | instid1(SALU_CYCLE_1)
	s_or_b32 s19, s0, s19
	s_and_not1_b32 exec_lo, exec_lo, s19
	s_cbranch_execz .LBB683_1064
.LBB683_1061:                           ; =>This Inner Loop Header: Depth=1
	s_or_b32 s20, s20, exec_lo
	s_cmp_eq_u64 s[12:13], s[14:15]
	s_cbranch_scc0 .LBB683_1059
; %bb.1062:                             ;   in Loop: Header=BB683_1061 Depth=1
	s_mov_b64 s[14:15], s[8:9]
                                        ; implicit-def: $vgpr41_vgpr42
                                        ; implicit-def: $vgpr57_vgpr58
	s_branch .LBB683_1060
.LBB683_1063:
	v_mov_b32_e32 v41, 0
	v_mov_b32_e32 v42, 0
	s_branch .LBB683_1066
.LBB683_1064:
	s_set_inst_prefetch_distance 0x2
	s_or_b32 exec_lo, exec_lo, s19
	v_cmp_gt_i64_e32 vcc_lo, s[8:9], v[59:60]
	s_mov_b32 s0, 0
	s_delay_alu instid0(SALU_CYCLE_1)
	v_mov_b32_e32 v42, s0
	v_cndmask_b32_e64 v41, 0, 1, vcc_lo
.LBB683_1065:
	s_or_b32 exec_lo, exec_lo, s18
.LBB683_1066:
	s_delay_alu instid0(SALU_CYCLE_1) | instskip(SKIP_2) | instid1(VALU_DEP_1)
	s_or_b32 exec_lo, exec_lo, s3
	v_add_nc_u32_e32 v57, 15, v64
	s_mov_b32 s3, exec_lo
	v_cmpx_gt_u32_e64 s6, v57
	s_cbranch_execz .LBB683_1077
; %bb.1067:
	v_cmp_ne_u32_e32 vcc_lo, 1, v63
	s_cbranch_vccnz .LBB683_1074
; %bb.1068:
	v_mul_lo_u32 v59, v40, s8
	v_mul_lo_u32 v60, v39, s9
	v_mad_u64_u32 v[57:58], null, v39, s8, 0
	v_mul_lo_u32 v61, v38, s8
	v_mul_lo_u32 v62, v37, s9
	v_mad_u64_u32 v[39:40], null, v37, s8, 0
	s_mov_b32 s18, exec_lo
	s_delay_alu instid0(VALU_DEP_4) | instskip(NEXT) | instid1(VALU_DEP_2)
	v_add3_u32 v58, v58, v60, v59
	v_add3_u32 v40, v40, v62, v61
	s_delay_alu instid0(VALU_DEP_2) | instskip(NEXT) | instid1(VALU_DEP_2)
	v_lshlrev_b64 v[57:58], 1, v[57:58]
	v_lshlrev_b64 v[39:40], 1, v[39:40]
	s_delay_alu instid0(VALU_DEP_2) | instskip(NEXT) | instid1(VALU_DEP_3)
	v_add_co_u32 v57, vcc_lo, s10, v57
	v_add_co_ci_u32_e32 v58, vcc_lo, s11, v58, vcc_lo
	s_delay_alu instid0(VALU_DEP_3) | instskip(NEXT) | instid1(VALU_DEP_4)
	v_add_co_u32 v59, vcc_lo, s10, v39
	v_add_co_ci_u32_e32 v60, vcc_lo, s11, v40, vcc_lo
	s_clause 0x1
	global_load_u16 v61, v[57:58], off
	global_load_u16 v62, v[59:60], off
	v_mov_b32_e32 v39, 1
	v_mov_b32_e32 v40, 0
	s_waitcnt vmcnt(0)
	v_cmpx_eq_u16_e64 v61, v62
	s_cbranch_execz .LBB683_1076
; %bb.1069:
	v_add_co_u32 v39, vcc_lo, v59, 2
	v_add_co_ci_u32_e32 v40, vcc_lo, 0, v60, vcc_lo
	v_add_co_u32 v57, vcc_lo, v57, 2
	v_add_co_ci_u32_e32 v58, vcc_lo, 0, v58, vcc_lo
	s_add_u32 s12, s8, -1
	s_addc_u32 s13, s9, -1
	s_mov_b64 s[14:15], 0
	s_mov_b32 s19, 0
                                        ; implicit-def: $sgpr20
	s_set_inst_prefetch_distance 0x1
	s_branch .LBB683_1072
	.p2align	6
.LBB683_1070:                           ;   in Loop: Header=BB683_1072 Depth=1
	global_load_u16 v59, v[57:58], off
	global_load_u16 v60, v[39:40], off
	v_add_co_u32 v39, vcc_lo, v39, 2
	v_add_co_ci_u32_e32 v40, vcc_lo, 0, v40, vcc_lo
	v_add_co_u32 v57, s0, v57, 2
	s_delay_alu instid0(VALU_DEP_1)
	v_add_co_ci_u32_e64 v58, s0, 0, v58, s0
	s_add_u32 s14, s14, 1
	s_addc_u32 s15, s15, 0
	s_and_not1_b32 s0, s20, exec_lo
	s_waitcnt vmcnt(0)
	v_cmp_ne_u16_e32 vcc_lo, v59, v60
	s_and_b32 s20, vcc_lo, exec_lo
	s_delay_alu instid0(SALU_CYCLE_1)
	s_or_b32 s20, s0, s20
.LBB683_1071:                           ;   in Loop: Header=BB683_1072 Depth=1
	v_dual_mov_b32 v60, s15 :: v_dual_mov_b32 v59, s14
	s_and_b32 s0, exec_lo, s20
	s_delay_alu instid0(SALU_CYCLE_1) | instskip(NEXT) | instid1(SALU_CYCLE_1)
	s_or_b32 s19, s0, s19
	s_and_not1_b32 exec_lo, exec_lo, s19
	s_cbranch_execz .LBB683_1075
.LBB683_1072:                           ; =>This Inner Loop Header: Depth=1
	s_or_b32 s20, s20, exec_lo
	s_cmp_eq_u64 s[12:13], s[14:15]
	s_cbranch_scc0 .LBB683_1070
; %bb.1073:                             ;   in Loop: Header=BB683_1072 Depth=1
	s_mov_b64 s[14:15], s[8:9]
                                        ; implicit-def: $vgpr39_vgpr40
                                        ; implicit-def: $vgpr57_vgpr58
	s_branch .LBB683_1071
.LBB683_1074:
	v_mov_b32_e32 v39, 0
	v_mov_b32_e32 v40, 0
	s_branch .LBB683_1077
.LBB683_1075:
	s_set_inst_prefetch_distance 0x2
	s_or_b32 exec_lo, exec_lo, s19
	v_cmp_gt_i64_e32 vcc_lo, s[8:9], v[59:60]
	s_mov_b32 s0, 0
	s_delay_alu instid0(SALU_CYCLE_1)
	v_mov_b32_e32 v40, s0
	v_cndmask_b32_e64 v39, 0, 1, vcc_lo
.LBB683_1076:
	s_or_b32 exec_lo, exec_lo, s18
.LBB683_1077:
	s_delay_alu instid0(SALU_CYCLE_1) | instskip(SKIP_2) | instid1(VALU_DEP_1)
	s_or_b32 exec_lo, exec_lo, s3
	v_add_nc_u32_e32 v57, 14, v64
	s_mov_b32 s3, exec_lo
	v_cmpx_gt_u32_e64 s6, v57
	s_cbranch_execz .LBB683_1088
; %bb.1078:
	v_cmp_ne_u32_e32 vcc_lo, 1, v63
	s_cbranch_vccnz .LBB683_1085
; %bb.1079:
	v_mul_lo_u32 v59, v38, s8
	v_mul_lo_u32 v60, v37, s9
	v_mad_u64_u32 v[57:58], null, v37, s8, 0
	v_mul_lo_u32 v61, v36, s8
	v_mul_lo_u32 v62, v35, s9
	v_mad_u64_u32 v[37:38], null, v35, s8, 0
	s_mov_b32 s18, exec_lo
	s_delay_alu instid0(VALU_DEP_4) | instskip(NEXT) | instid1(VALU_DEP_2)
	v_add3_u32 v58, v58, v60, v59
	v_add3_u32 v38, v38, v62, v61
	s_delay_alu instid0(VALU_DEP_2) | instskip(NEXT) | instid1(VALU_DEP_2)
	v_lshlrev_b64 v[57:58], 1, v[57:58]
	v_lshlrev_b64 v[37:38], 1, v[37:38]
	s_delay_alu instid0(VALU_DEP_2) | instskip(NEXT) | instid1(VALU_DEP_3)
	v_add_co_u32 v57, vcc_lo, s10, v57
	v_add_co_ci_u32_e32 v58, vcc_lo, s11, v58, vcc_lo
	s_delay_alu instid0(VALU_DEP_3) | instskip(NEXT) | instid1(VALU_DEP_4)
	v_add_co_u32 v59, vcc_lo, s10, v37
	v_add_co_ci_u32_e32 v60, vcc_lo, s11, v38, vcc_lo
	s_clause 0x1
	global_load_u16 v61, v[57:58], off
	global_load_u16 v62, v[59:60], off
	v_mov_b32_e32 v37, 1
	v_mov_b32_e32 v38, 0
	s_waitcnt vmcnt(0)
	v_cmpx_eq_u16_e64 v61, v62
	s_cbranch_execz .LBB683_1087
; %bb.1080:
	v_add_co_u32 v37, vcc_lo, v59, 2
	v_add_co_ci_u32_e32 v38, vcc_lo, 0, v60, vcc_lo
	v_add_co_u32 v57, vcc_lo, v57, 2
	v_add_co_ci_u32_e32 v58, vcc_lo, 0, v58, vcc_lo
	s_add_u32 s12, s8, -1
	s_addc_u32 s13, s9, -1
	s_mov_b64 s[14:15], 0
	s_mov_b32 s19, 0
                                        ; implicit-def: $sgpr20
	s_set_inst_prefetch_distance 0x1
	s_branch .LBB683_1083
	.p2align	6
.LBB683_1081:                           ;   in Loop: Header=BB683_1083 Depth=1
	global_load_u16 v59, v[57:58], off
	global_load_u16 v60, v[37:38], off
	v_add_co_u32 v37, vcc_lo, v37, 2
	v_add_co_ci_u32_e32 v38, vcc_lo, 0, v38, vcc_lo
	v_add_co_u32 v57, s0, v57, 2
	s_delay_alu instid0(VALU_DEP_1)
	v_add_co_ci_u32_e64 v58, s0, 0, v58, s0
	s_add_u32 s14, s14, 1
	s_addc_u32 s15, s15, 0
	s_and_not1_b32 s0, s20, exec_lo
	s_waitcnt vmcnt(0)
	v_cmp_ne_u16_e32 vcc_lo, v59, v60
	s_and_b32 s20, vcc_lo, exec_lo
	s_delay_alu instid0(SALU_CYCLE_1)
	s_or_b32 s20, s0, s20
.LBB683_1082:                           ;   in Loop: Header=BB683_1083 Depth=1
	v_dual_mov_b32 v60, s15 :: v_dual_mov_b32 v59, s14
	s_and_b32 s0, exec_lo, s20
	s_delay_alu instid0(SALU_CYCLE_1) | instskip(NEXT) | instid1(SALU_CYCLE_1)
	s_or_b32 s19, s0, s19
	s_and_not1_b32 exec_lo, exec_lo, s19
	s_cbranch_execz .LBB683_1086
.LBB683_1083:                           ; =>This Inner Loop Header: Depth=1
	s_or_b32 s20, s20, exec_lo
	s_cmp_eq_u64 s[12:13], s[14:15]
	s_cbranch_scc0 .LBB683_1081
; %bb.1084:                             ;   in Loop: Header=BB683_1083 Depth=1
	s_mov_b64 s[14:15], s[8:9]
                                        ; implicit-def: $vgpr37_vgpr38
                                        ; implicit-def: $vgpr57_vgpr58
	s_branch .LBB683_1082
.LBB683_1085:
	v_mov_b32_e32 v37, 0
	v_mov_b32_e32 v38, 0
	s_branch .LBB683_1088
.LBB683_1086:
	s_set_inst_prefetch_distance 0x2
	s_or_b32 exec_lo, exec_lo, s19
	v_cmp_gt_i64_e32 vcc_lo, s[8:9], v[59:60]
	s_mov_b32 s0, 0
	s_delay_alu instid0(SALU_CYCLE_1)
	v_mov_b32_e32 v38, s0
	v_cndmask_b32_e64 v37, 0, 1, vcc_lo
.LBB683_1087:
	s_or_b32 exec_lo, exec_lo, s18
.LBB683_1088:
	s_delay_alu instid0(SALU_CYCLE_1) | instskip(SKIP_2) | instid1(VALU_DEP_1)
	s_or_b32 exec_lo, exec_lo, s3
	v_add_nc_u32_e32 v57, 13, v64
	s_mov_b32 s3, exec_lo
	v_cmpx_gt_u32_e64 s6, v57
	s_cbranch_execz .LBB683_1099
; %bb.1089:
	v_cmp_ne_u32_e32 vcc_lo, 1, v63
	s_cbranch_vccnz .LBB683_1096
; %bb.1090:
	v_mul_lo_u32 v59, v36, s8
	v_mul_lo_u32 v60, v35, s9
	v_mad_u64_u32 v[57:58], null, v35, s8, 0
	v_mul_lo_u32 v61, v34, s8
	v_mul_lo_u32 v62, v33, s9
	v_mad_u64_u32 v[35:36], null, v33, s8, 0
	s_mov_b32 s18, exec_lo
	s_delay_alu instid0(VALU_DEP_4) | instskip(NEXT) | instid1(VALU_DEP_2)
	v_add3_u32 v58, v58, v60, v59
	v_add3_u32 v36, v36, v62, v61
	s_delay_alu instid0(VALU_DEP_2) | instskip(NEXT) | instid1(VALU_DEP_2)
	v_lshlrev_b64 v[57:58], 1, v[57:58]
	v_lshlrev_b64 v[35:36], 1, v[35:36]
	s_delay_alu instid0(VALU_DEP_2) | instskip(NEXT) | instid1(VALU_DEP_3)
	v_add_co_u32 v57, vcc_lo, s10, v57
	v_add_co_ci_u32_e32 v58, vcc_lo, s11, v58, vcc_lo
	s_delay_alu instid0(VALU_DEP_3) | instskip(NEXT) | instid1(VALU_DEP_4)
	v_add_co_u32 v59, vcc_lo, s10, v35
	v_add_co_ci_u32_e32 v60, vcc_lo, s11, v36, vcc_lo
	s_clause 0x1
	global_load_u16 v61, v[57:58], off
	global_load_u16 v62, v[59:60], off
	v_mov_b32_e32 v35, 1
	v_mov_b32_e32 v36, 0
	s_waitcnt vmcnt(0)
	v_cmpx_eq_u16_e64 v61, v62
	s_cbranch_execz .LBB683_1098
; %bb.1091:
	v_add_co_u32 v35, vcc_lo, v59, 2
	v_add_co_ci_u32_e32 v36, vcc_lo, 0, v60, vcc_lo
	v_add_co_u32 v57, vcc_lo, v57, 2
	v_add_co_ci_u32_e32 v58, vcc_lo, 0, v58, vcc_lo
	s_add_u32 s12, s8, -1
	s_addc_u32 s13, s9, -1
	s_mov_b64 s[14:15], 0
	s_mov_b32 s19, 0
                                        ; implicit-def: $sgpr20
	s_set_inst_prefetch_distance 0x1
	s_branch .LBB683_1094
	.p2align	6
.LBB683_1092:                           ;   in Loop: Header=BB683_1094 Depth=1
	global_load_u16 v59, v[57:58], off
	global_load_u16 v60, v[35:36], off
	v_add_co_u32 v35, vcc_lo, v35, 2
	v_add_co_ci_u32_e32 v36, vcc_lo, 0, v36, vcc_lo
	v_add_co_u32 v57, s0, v57, 2
	s_delay_alu instid0(VALU_DEP_1)
	v_add_co_ci_u32_e64 v58, s0, 0, v58, s0
	s_add_u32 s14, s14, 1
	s_addc_u32 s15, s15, 0
	s_and_not1_b32 s0, s20, exec_lo
	s_waitcnt vmcnt(0)
	v_cmp_ne_u16_e32 vcc_lo, v59, v60
	s_and_b32 s20, vcc_lo, exec_lo
	s_delay_alu instid0(SALU_CYCLE_1)
	s_or_b32 s20, s0, s20
.LBB683_1093:                           ;   in Loop: Header=BB683_1094 Depth=1
	v_dual_mov_b32 v60, s15 :: v_dual_mov_b32 v59, s14
	s_and_b32 s0, exec_lo, s20
	s_delay_alu instid0(SALU_CYCLE_1) | instskip(NEXT) | instid1(SALU_CYCLE_1)
	s_or_b32 s19, s0, s19
	s_and_not1_b32 exec_lo, exec_lo, s19
	s_cbranch_execz .LBB683_1097
.LBB683_1094:                           ; =>This Inner Loop Header: Depth=1
	s_or_b32 s20, s20, exec_lo
	s_cmp_eq_u64 s[12:13], s[14:15]
	s_cbranch_scc0 .LBB683_1092
; %bb.1095:                             ;   in Loop: Header=BB683_1094 Depth=1
	s_mov_b64 s[14:15], s[8:9]
                                        ; implicit-def: $vgpr35_vgpr36
                                        ; implicit-def: $vgpr57_vgpr58
	s_branch .LBB683_1093
.LBB683_1096:
	v_mov_b32_e32 v35, 0
	v_mov_b32_e32 v36, 0
	s_branch .LBB683_1099
.LBB683_1097:
	s_set_inst_prefetch_distance 0x2
	s_or_b32 exec_lo, exec_lo, s19
	v_cmp_gt_i64_e32 vcc_lo, s[8:9], v[59:60]
	s_mov_b32 s0, 0
	s_delay_alu instid0(SALU_CYCLE_1)
	v_mov_b32_e32 v36, s0
	v_cndmask_b32_e64 v35, 0, 1, vcc_lo
.LBB683_1098:
	s_or_b32 exec_lo, exec_lo, s18
.LBB683_1099:
	s_delay_alu instid0(SALU_CYCLE_1) | instskip(SKIP_2) | instid1(VALU_DEP_1)
	s_or_b32 exec_lo, exec_lo, s3
	v_add_nc_u32_e32 v57, 12, v64
	s_mov_b32 s3, exec_lo
	v_cmpx_gt_u32_e64 s6, v57
	s_cbranch_execz .LBB683_1110
; %bb.1100:
	v_cmp_ne_u32_e32 vcc_lo, 1, v63
	s_cbranch_vccnz .LBB683_1107
; %bb.1101:
	v_mul_lo_u32 v59, v34, s8
	v_mul_lo_u32 v60, v33, s9
	v_mad_u64_u32 v[57:58], null, v33, s8, 0
	v_mul_lo_u32 v61, v32, s8
	v_mul_lo_u32 v62, v31, s9
	v_mad_u64_u32 v[33:34], null, v31, s8, 0
	s_mov_b32 s18, exec_lo
	s_delay_alu instid0(VALU_DEP_4) | instskip(NEXT) | instid1(VALU_DEP_2)
	v_add3_u32 v58, v58, v60, v59
	v_add3_u32 v34, v34, v62, v61
	s_delay_alu instid0(VALU_DEP_2) | instskip(NEXT) | instid1(VALU_DEP_2)
	v_lshlrev_b64 v[57:58], 1, v[57:58]
	v_lshlrev_b64 v[33:34], 1, v[33:34]
	s_delay_alu instid0(VALU_DEP_2) | instskip(NEXT) | instid1(VALU_DEP_3)
	v_add_co_u32 v57, vcc_lo, s10, v57
	v_add_co_ci_u32_e32 v58, vcc_lo, s11, v58, vcc_lo
	s_delay_alu instid0(VALU_DEP_3) | instskip(NEXT) | instid1(VALU_DEP_4)
	v_add_co_u32 v59, vcc_lo, s10, v33
	v_add_co_ci_u32_e32 v60, vcc_lo, s11, v34, vcc_lo
	s_clause 0x1
	global_load_u16 v61, v[57:58], off
	global_load_u16 v62, v[59:60], off
	v_mov_b32_e32 v33, 1
	v_mov_b32_e32 v34, 0
	s_waitcnt vmcnt(0)
	v_cmpx_eq_u16_e64 v61, v62
	s_cbranch_execz .LBB683_1109
; %bb.1102:
	v_add_co_u32 v33, vcc_lo, v59, 2
	v_add_co_ci_u32_e32 v34, vcc_lo, 0, v60, vcc_lo
	v_add_co_u32 v57, vcc_lo, v57, 2
	v_add_co_ci_u32_e32 v58, vcc_lo, 0, v58, vcc_lo
	s_add_u32 s12, s8, -1
	s_addc_u32 s13, s9, -1
	s_mov_b64 s[14:15], 0
	s_mov_b32 s19, 0
                                        ; implicit-def: $sgpr20
	s_set_inst_prefetch_distance 0x1
	s_branch .LBB683_1105
	.p2align	6
.LBB683_1103:                           ;   in Loop: Header=BB683_1105 Depth=1
	global_load_u16 v59, v[57:58], off
	global_load_u16 v60, v[33:34], off
	v_add_co_u32 v33, vcc_lo, v33, 2
	v_add_co_ci_u32_e32 v34, vcc_lo, 0, v34, vcc_lo
	v_add_co_u32 v57, s0, v57, 2
	s_delay_alu instid0(VALU_DEP_1)
	v_add_co_ci_u32_e64 v58, s0, 0, v58, s0
	s_add_u32 s14, s14, 1
	s_addc_u32 s15, s15, 0
	s_and_not1_b32 s0, s20, exec_lo
	s_waitcnt vmcnt(0)
	v_cmp_ne_u16_e32 vcc_lo, v59, v60
	s_and_b32 s20, vcc_lo, exec_lo
	s_delay_alu instid0(SALU_CYCLE_1)
	s_or_b32 s20, s0, s20
.LBB683_1104:                           ;   in Loop: Header=BB683_1105 Depth=1
	v_dual_mov_b32 v60, s15 :: v_dual_mov_b32 v59, s14
	s_and_b32 s0, exec_lo, s20
	s_delay_alu instid0(SALU_CYCLE_1) | instskip(NEXT) | instid1(SALU_CYCLE_1)
	s_or_b32 s19, s0, s19
	s_and_not1_b32 exec_lo, exec_lo, s19
	s_cbranch_execz .LBB683_1108
.LBB683_1105:                           ; =>This Inner Loop Header: Depth=1
	s_or_b32 s20, s20, exec_lo
	s_cmp_eq_u64 s[12:13], s[14:15]
	s_cbranch_scc0 .LBB683_1103
; %bb.1106:                             ;   in Loop: Header=BB683_1105 Depth=1
	s_mov_b64 s[14:15], s[8:9]
                                        ; implicit-def: $vgpr33_vgpr34
                                        ; implicit-def: $vgpr57_vgpr58
	s_branch .LBB683_1104
.LBB683_1107:
	v_mov_b32_e32 v33, 0
	v_mov_b32_e32 v34, 0
	s_branch .LBB683_1110
.LBB683_1108:
	s_set_inst_prefetch_distance 0x2
	s_or_b32 exec_lo, exec_lo, s19
	v_cmp_gt_i64_e32 vcc_lo, s[8:9], v[59:60]
	s_mov_b32 s0, 0
	s_delay_alu instid0(SALU_CYCLE_1)
	v_mov_b32_e32 v34, s0
	v_cndmask_b32_e64 v33, 0, 1, vcc_lo
.LBB683_1109:
	s_or_b32 exec_lo, exec_lo, s18
.LBB683_1110:
	s_delay_alu instid0(SALU_CYCLE_1) | instskip(SKIP_2) | instid1(VALU_DEP_1)
	s_or_b32 exec_lo, exec_lo, s3
	v_add_nc_u32_e32 v57, 11, v64
	s_mov_b32 s3, exec_lo
	v_cmpx_gt_u32_e64 s6, v57
	s_cbranch_execz .LBB683_1121
; %bb.1111:
	v_cmp_ne_u32_e32 vcc_lo, 1, v63
	s_cbranch_vccnz .LBB683_1118
; %bb.1112:
	v_mul_lo_u32 v59, v32, s8
	v_mul_lo_u32 v60, v31, s9
	v_mad_u64_u32 v[57:58], null, v31, s8, 0
	v_mul_lo_u32 v61, v30, s8
	v_mul_lo_u32 v62, v29, s9
	v_mad_u64_u32 v[31:32], null, v29, s8, 0
	s_mov_b32 s18, exec_lo
	s_delay_alu instid0(VALU_DEP_4) | instskip(NEXT) | instid1(VALU_DEP_2)
	v_add3_u32 v58, v58, v60, v59
	v_add3_u32 v32, v32, v62, v61
	s_delay_alu instid0(VALU_DEP_2) | instskip(NEXT) | instid1(VALU_DEP_2)
	v_lshlrev_b64 v[57:58], 1, v[57:58]
	v_lshlrev_b64 v[31:32], 1, v[31:32]
	s_delay_alu instid0(VALU_DEP_2) | instskip(NEXT) | instid1(VALU_DEP_3)
	v_add_co_u32 v57, vcc_lo, s10, v57
	v_add_co_ci_u32_e32 v58, vcc_lo, s11, v58, vcc_lo
	s_delay_alu instid0(VALU_DEP_3) | instskip(NEXT) | instid1(VALU_DEP_4)
	v_add_co_u32 v59, vcc_lo, s10, v31
	v_add_co_ci_u32_e32 v60, vcc_lo, s11, v32, vcc_lo
	s_clause 0x1
	global_load_u16 v61, v[57:58], off
	global_load_u16 v62, v[59:60], off
	v_mov_b32_e32 v31, 1
	v_mov_b32_e32 v32, 0
	s_waitcnt vmcnt(0)
	v_cmpx_eq_u16_e64 v61, v62
	s_cbranch_execz .LBB683_1120
; %bb.1113:
	v_add_co_u32 v31, vcc_lo, v59, 2
	v_add_co_ci_u32_e32 v32, vcc_lo, 0, v60, vcc_lo
	v_add_co_u32 v57, vcc_lo, v57, 2
	v_add_co_ci_u32_e32 v58, vcc_lo, 0, v58, vcc_lo
	s_add_u32 s12, s8, -1
	s_addc_u32 s13, s9, -1
	s_mov_b64 s[14:15], 0
	s_mov_b32 s19, 0
                                        ; implicit-def: $sgpr20
	s_set_inst_prefetch_distance 0x1
	s_branch .LBB683_1116
	.p2align	6
.LBB683_1114:                           ;   in Loop: Header=BB683_1116 Depth=1
	global_load_u16 v59, v[57:58], off
	global_load_u16 v60, v[31:32], off
	v_add_co_u32 v31, vcc_lo, v31, 2
	v_add_co_ci_u32_e32 v32, vcc_lo, 0, v32, vcc_lo
	v_add_co_u32 v57, s0, v57, 2
	s_delay_alu instid0(VALU_DEP_1)
	v_add_co_ci_u32_e64 v58, s0, 0, v58, s0
	s_add_u32 s14, s14, 1
	s_addc_u32 s15, s15, 0
	s_and_not1_b32 s0, s20, exec_lo
	s_waitcnt vmcnt(0)
	v_cmp_ne_u16_e32 vcc_lo, v59, v60
	s_and_b32 s20, vcc_lo, exec_lo
	s_delay_alu instid0(SALU_CYCLE_1)
	s_or_b32 s20, s0, s20
.LBB683_1115:                           ;   in Loop: Header=BB683_1116 Depth=1
	v_dual_mov_b32 v60, s15 :: v_dual_mov_b32 v59, s14
	s_and_b32 s0, exec_lo, s20
	s_delay_alu instid0(SALU_CYCLE_1) | instskip(NEXT) | instid1(SALU_CYCLE_1)
	s_or_b32 s19, s0, s19
	s_and_not1_b32 exec_lo, exec_lo, s19
	s_cbranch_execz .LBB683_1119
.LBB683_1116:                           ; =>This Inner Loop Header: Depth=1
	s_or_b32 s20, s20, exec_lo
	s_cmp_eq_u64 s[12:13], s[14:15]
	s_cbranch_scc0 .LBB683_1114
; %bb.1117:                             ;   in Loop: Header=BB683_1116 Depth=1
	s_mov_b64 s[14:15], s[8:9]
                                        ; implicit-def: $vgpr31_vgpr32
                                        ; implicit-def: $vgpr57_vgpr58
	s_branch .LBB683_1115
.LBB683_1118:
	v_mov_b32_e32 v31, 0
	v_mov_b32_e32 v32, 0
	s_branch .LBB683_1121
.LBB683_1119:
	s_set_inst_prefetch_distance 0x2
	s_or_b32 exec_lo, exec_lo, s19
	v_cmp_gt_i64_e32 vcc_lo, s[8:9], v[59:60]
	s_mov_b32 s0, 0
	s_delay_alu instid0(SALU_CYCLE_1)
	v_mov_b32_e32 v32, s0
	v_cndmask_b32_e64 v31, 0, 1, vcc_lo
.LBB683_1120:
	s_or_b32 exec_lo, exec_lo, s18
.LBB683_1121:
	s_delay_alu instid0(SALU_CYCLE_1) | instskip(SKIP_2) | instid1(VALU_DEP_1)
	s_or_b32 exec_lo, exec_lo, s3
	v_add_nc_u32_e32 v57, 10, v64
	s_mov_b32 s3, exec_lo
	v_cmpx_gt_u32_e64 s6, v57
	s_cbranch_execz .LBB683_1132
; %bb.1122:
	v_cmp_ne_u32_e32 vcc_lo, 1, v63
	s_cbranch_vccnz .LBB683_1129
; %bb.1123:
	v_mul_lo_u32 v59, v30, s8
	v_mul_lo_u32 v60, v29, s9
	v_mad_u64_u32 v[57:58], null, v29, s8, 0
	v_mul_lo_u32 v61, v28, s8
	v_mul_lo_u32 v62, v27, s9
	v_mad_u64_u32 v[29:30], null, v27, s8, 0
	s_mov_b32 s18, exec_lo
	s_delay_alu instid0(VALU_DEP_4) | instskip(NEXT) | instid1(VALU_DEP_2)
	v_add3_u32 v58, v58, v60, v59
	v_add3_u32 v30, v30, v62, v61
	s_delay_alu instid0(VALU_DEP_2) | instskip(NEXT) | instid1(VALU_DEP_2)
	v_lshlrev_b64 v[57:58], 1, v[57:58]
	v_lshlrev_b64 v[29:30], 1, v[29:30]
	s_delay_alu instid0(VALU_DEP_2) | instskip(NEXT) | instid1(VALU_DEP_3)
	v_add_co_u32 v57, vcc_lo, s10, v57
	v_add_co_ci_u32_e32 v58, vcc_lo, s11, v58, vcc_lo
	s_delay_alu instid0(VALU_DEP_3) | instskip(NEXT) | instid1(VALU_DEP_4)
	v_add_co_u32 v59, vcc_lo, s10, v29
	v_add_co_ci_u32_e32 v60, vcc_lo, s11, v30, vcc_lo
	s_clause 0x1
	global_load_u16 v61, v[57:58], off
	global_load_u16 v62, v[59:60], off
	v_mov_b32_e32 v29, 1
	v_mov_b32_e32 v30, 0
	s_waitcnt vmcnt(0)
	v_cmpx_eq_u16_e64 v61, v62
	s_cbranch_execz .LBB683_1131
; %bb.1124:
	v_add_co_u32 v29, vcc_lo, v59, 2
	v_add_co_ci_u32_e32 v30, vcc_lo, 0, v60, vcc_lo
	v_add_co_u32 v57, vcc_lo, v57, 2
	v_add_co_ci_u32_e32 v58, vcc_lo, 0, v58, vcc_lo
	s_add_u32 s12, s8, -1
	s_addc_u32 s13, s9, -1
	s_mov_b64 s[14:15], 0
	s_mov_b32 s19, 0
                                        ; implicit-def: $sgpr20
	s_set_inst_prefetch_distance 0x1
	s_branch .LBB683_1127
	.p2align	6
.LBB683_1125:                           ;   in Loop: Header=BB683_1127 Depth=1
	global_load_u16 v59, v[57:58], off
	global_load_u16 v60, v[29:30], off
	v_add_co_u32 v29, vcc_lo, v29, 2
	v_add_co_ci_u32_e32 v30, vcc_lo, 0, v30, vcc_lo
	v_add_co_u32 v57, s0, v57, 2
	s_delay_alu instid0(VALU_DEP_1)
	v_add_co_ci_u32_e64 v58, s0, 0, v58, s0
	s_add_u32 s14, s14, 1
	s_addc_u32 s15, s15, 0
	s_and_not1_b32 s0, s20, exec_lo
	s_waitcnt vmcnt(0)
	v_cmp_ne_u16_e32 vcc_lo, v59, v60
	s_and_b32 s20, vcc_lo, exec_lo
	s_delay_alu instid0(SALU_CYCLE_1)
	s_or_b32 s20, s0, s20
.LBB683_1126:                           ;   in Loop: Header=BB683_1127 Depth=1
	v_dual_mov_b32 v60, s15 :: v_dual_mov_b32 v59, s14
	s_and_b32 s0, exec_lo, s20
	s_delay_alu instid0(SALU_CYCLE_1) | instskip(NEXT) | instid1(SALU_CYCLE_1)
	s_or_b32 s19, s0, s19
	s_and_not1_b32 exec_lo, exec_lo, s19
	s_cbranch_execz .LBB683_1130
.LBB683_1127:                           ; =>This Inner Loop Header: Depth=1
	s_or_b32 s20, s20, exec_lo
	s_cmp_eq_u64 s[12:13], s[14:15]
	s_cbranch_scc0 .LBB683_1125
; %bb.1128:                             ;   in Loop: Header=BB683_1127 Depth=1
	s_mov_b64 s[14:15], s[8:9]
                                        ; implicit-def: $vgpr29_vgpr30
                                        ; implicit-def: $vgpr57_vgpr58
	s_branch .LBB683_1126
.LBB683_1129:
	v_mov_b32_e32 v29, 0
	v_mov_b32_e32 v30, 0
	s_branch .LBB683_1132
.LBB683_1130:
	s_set_inst_prefetch_distance 0x2
	s_or_b32 exec_lo, exec_lo, s19
	v_cmp_gt_i64_e32 vcc_lo, s[8:9], v[59:60]
	s_mov_b32 s0, 0
	s_delay_alu instid0(SALU_CYCLE_1)
	v_mov_b32_e32 v30, s0
	v_cndmask_b32_e64 v29, 0, 1, vcc_lo
.LBB683_1131:
	s_or_b32 exec_lo, exec_lo, s18
.LBB683_1132:
	s_delay_alu instid0(SALU_CYCLE_1) | instskip(SKIP_2) | instid1(VALU_DEP_1)
	s_or_b32 exec_lo, exec_lo, s3
	v_add_nc_u32_e32 v57, 9, v64
	s_mov_b32 s3, exec_lo
	v_cmpx_gt_u32_e64 s6, v57
	s_cbranch_execz .LBB683_1143
; %bb.1133:
	v_cmp_ne_u32_e32 vcc_lo, 1, v63
	s_cbranch_vccnz .LBB683_1140
; %bb.1134:
	v_mul_lo_u32 v59, v28, s8
	v_mul_lo_u32 v60, v27, s9
	v_mad_u64_u32 v[57:58], null, v27, s8, 0
	v_mul_lo_u32 v61, v26, s8
	v_mul_lo_u32 v62, v25, s9
	v_mad_u64_u32 v[27:28], null, v25, s8, 0
	s_mov_b32 s18, exec_lo
	s_delay_alu instid0(VALU_DEP_4) | instskip(NEXT) | instid1(VALU_DEP_2)
	v_add3_u32 v58, v58, v60, v59
	v_add3_u32 v28, v28, v62, v61
	s_delay_alu instid0(VALU_DEP_2) | instskip(NEXT) | instid1(VALU_DEP_2)
	v_lshlrev_b64 v[57:58], 1, v[57:58]
	v_lshlrev_b64 v[27:28], 1, v[27:28]
	s_delay_alu instid0(VALU_DEP_2) | instskip(NEXT) | instid1(VALU_DEP_3)
	v_add_co_u32 v57, vcc_lo, s10, v57
	v_add_co_ci_u32_e32 v58, vcc_lo, s11, v58, vcc_lo
	s_delay_alu instid0(VALU_DEP_3) | instskip(NEXT) | instid1(VALU_DEP_4)
	v_add_co_u32 v59, vcc_lo, s10, v27
	v_add_co_ci_u32_e32 v60, vcc_lo, s11, v28, vcc_lo
	s_clause 0x1
	global_load_u16 v61, v[57:58], off
	global_load_u16 v62, v[59:60], off
	v_mov_b32_e32 v27, 1
	v_mov_b32_e32 v28, 0
	s_waitcnt vmcnt(0)
	v_cmpx_eq_u16_e64 v61, v62
	s_cbranch_execz .LBB683_1142
; %bb.1135:
	v_add_co_u32 v27, vcc_lo, v59, 2
	v_add_co_ci_u32_e32 v28, vcc_lo, 0, v60, vcc_lo
	v_add_co_u32 v57, vcc_lo, v57, 2
	v_add_co_ci_u32_e32 v58, vcc_lo, 0, v58, vcc_lo
	s_add_u32 s12, s8, -1
	s_addc_u32 s13, s9, -1
	s_mov_b64 s[14:15], 0
	s_mov_b32 s19, 0
                                        ; implicit-def: $sgpr20
	s_set_inst_prefetch_distance 0x1
	s_branch .LBB683_1138
	.p2align	6
.LBB683_1136:                           ;   in Loop: Header=BB683_1138 Depth=1
	global_load_u16 v59, v[57:58], off
	global_load_u16 v60, v[27:28], off
	v_add_co_u32 v27, vcc_lo, v27, 2
	v_add_co_ci_u32_e32 v28, vcc_lo, 0, v28, vcc_lo
	v_add_co_u32 v57, s0, v57, 2
	s_delay_alu instid0(VALU_DEP_1)
	v_add_co_ci_u32_e64 v58, s0, 0, v58, s0
	s_add_u32 s14, s14, 1
	s_addc_u32 s15, s15, 0
	s_and_not1_b32 s0, s20, exec_lo
	s_waitcnt vmcnt(0)
	v_cmp_ne_u16_e32 vcc_lo, v59, v60
	s_and_b32 s20, vcc_lo, exec_lo
	s_delay_alu instid0(SALU_CYCLE_1)
	s_or_b32 s20, s0, s20
.LBB683_1137:                           ;   in Loop: Header=BB683_1138 Depth=1
	v_dual_mov_b32 v60, s15 :: v_dual_mov_b32 v59, s14
	s_and_b32 s0, exec_lo, s20
	s_delay_alu instid0(SALU_CYCLE_1) | instskip(NEXT) | instid1(SALU_CYCLE_1)
	s_or_b32 s19, s0, s19
	s_and_not1_b32 exec_lo, exec_lo, s19
	s_cbranch_execz .LBB683_1141
.LBB683_1138:                           ; =>This Inner Loop Header: Depth=1
	s_or_b32 s20, s20, exec_lo
	s_cmp_eq_u64 s[12:13], s[14:15]
	s_cbranch_scc0 .LBB683_1136
; %bb.1139:                             ;   in Loop: Header=BB683_1138 Depth=1
	s_mov_b64 s[14:15], s[8:9]
                                        ; implicit-def: $vgpr27_vgpr28
                                        ; implicit-def: $vgpr57_vgpr58
	s_branch .LBB683_1137
.LBB683_1140:
	v_mov_b32_e32 v27, 0
	v_mov_b32_e32 v28, 0
	s_branch .LBB683_1143
.LBB683_1141:
	s_set_inst_prefetch_distance 0x2
	s_or_b32 exec_lo, exec_lo, s19
	v_cmp_gt_i64_e32 vcc_lo, s[8:9], v[59:60]
	s_mov_b32 s0, 0
	s_delay_alu instid0(SALU_CYCLE_1)
	v_mov_b32_e32 v28, s0
	v_cndmask_b32_e64 v27, 0, 1, vcc_lo
.LBB683_1142:
	s_or_b32 exec_lo, exec_lo, s18
.LBB683_1143:
	s_delay_alu instid0(SALU_CYCLE_1) | instskip(SKIP_2) | instid1(VALU_DEP_1)
	s_or_b32 exec_lo, exec_lo, s3
	v_add_nc_u32_e32 v57, 8, v64
	s_mov_b32 s3, exec_lo
	v_cmpx_gt_u32_e64 s6, v57
	s_cbranch_execz .LBB683_1154
; %bb.1144:
	v_cmp_ne_u32_e32 vcc_lo, 1, v63
	s_cbranch_vccnz .LBB683_1151
; %bb.1145:
	v_mul_lo_u32 v59, v26, s8
	v_mul_lo_u32 v60, v25, s9
	v_mad_u64_u32 v[57:58], null, v25, s8, 0
	v_mul_lo_u32 v61, v24, s8
	v_mul_lo_u32 v62, v23, s9
	v_mad_u64_u32 v[25:26], null, v23, s8, 0
	s_mov_b32 s18, exec_lo
	s_delay_alu instid0(VALU_DEP_4) | instskip(NEXT) | instid1(VALU_DEP_2)
	v_add3_u32 v58, v58, v60, v59
	v_add3_u32 v26, v26, v62, v61
	s_delay_alu instid0(VALU_DEP_2) | instskip(NEXT) | instid1(VALU_DEP_2)
	v_lshlrev_b64 v[57:58], 1, v[57:58]
	v_lshlrev_b64 v[25:26], 1, v[25:26]
	s_delay_alu instid0(VALU_DEP_2) | instskip(NEXT) | instid1(VALU_DEP_3)
	v_add_co_u32 v57, vcc_lo, s10, v57
	v_add_co_ci_u32_e32 v58, vcc_lo, s11, v58, vcc_lo
	s_delay_alu instid0(VALU_DEP_3) | instskip(NEXT) | instid1(VALU_DEP_4)
	v_add_co_u32 v59, vcc_lo, s10, v25
	v_add_co_ci_u32_e32 v60, vcc_lo, s11, v26, vcc_lo
	s_clause 0x1
	global_load_u16 v61, v[57:58], off
	global_load_u16 v62, v[59:60], off
	v_mov_b32_e32 v25, 1
	v_mov_b32_e32 v26, 0
	s_waitcnt vmcnt(0)
	v_cmpx_eq_u16_e64 v61, v62
	s_cbranch_execz .LBB683_1153
; %bb.1146:
	v_add_co_u32 v25, vcc_lo, v59, 2
	v_add_co_ci_u32_e32 v26, vcc_lo, 0, v60, vcc_lo
	v_add_co_u32 v57, vcc_lo, v57, 2
	v_add_co_ci_u32_e32 v58, vcc_lo, 0, v58, vcc_lo
	s_add_u32 s12, s8, -1
	s_addc_u32 s13, s9, -1
	s_mov_b64 s[14:15], 0
	s_mov_b32 s19, 0
                                        ; implicit-def: $sgpr20
	s_set_inst_prefetch_distance 0x1
	s_branch .LBB683_1149
	.p2align	6
.LBB683_1147:                           ;   in Loop: Header=BB683_1149 Depth=1
	global_load_u16 v59, v[57:58], off
	global_load_u16 v60, v[25:26], off
	v_add_co_u32 v25, vcc_lo, v25, 2
	v_add_co_ci_u32_e32 v26, vcc_lo, 0, v26, vcc_lo
	v_add_co_u32 v57, s0, v57, 2
	s_delay_alu instid0(VALU_DEP_1)
	v_add_co_ci_u32_e64 v58, s0, 0, v58, s0
	s_add_u32 s14, s14, 1
	s_addc_u32 s15, s15, 0
	s_and_not1_b32 s0, s20, exec_lo
	s_waitcnt vmcnt(0)
	v_cmp_ne_u16_e32 vcc_lo, v59, v60
	s_and_b32 s20, vcc_lo, exec_lo
	s_delay_alu instid0(SALU_CYCLE_1)
	s_or_b32 s20, s0, s20
.LBB683_1148:                           ;   in Loop: Header=BB683_1149 Depth=1
	v_dual_mov_b32 v60, s15 :: v_dual_mov_b32 v59, s14
	s_and_b32 s0, exec_lo, s20
	s_delay_alu instid0(SALU_CYCLE_1) | instskip(NEXT) | instid1(SALU_CYCLE_1)
	s_or_b32 s19, s0, s19
	s_and_not1_b32 exec_lo, exec_lo, s19
	s_cbranch_execz .LBB683_1152
.LBB683_1149:                           ; =>This Inner Loop Header: Depth=1
	s_or_b32 s20, s20, exec_lo
	s_cmp_eq_u64 s[12:13], s[14:15]
	s_cbranch_scc0 .LBB683_1147
; %bb.1150:                             ;   in Loop: Header=BB683_1149 Depth=1
	s_mov_b64 s[14:15], s[8:9]
                                        ; implicit-def: $vgpr25_vgpr26
                                        ; implicit-def: $vgpr57_vgpr58
	s_branch .LBB683_1148
.LBB683_1151:
	v_mov_b32_e32 v25, 0
	v_mov_b32_e32 v26, 0
	s_branch .LBB683_1154
.LBB683_1152:
	s_set_inst_prefetch_distance 0x2
	s_or_b32 exec_lo, exec_lo, s19
	v_cmp_gt_i64_e32 vcc_lo, s[8:9], v[59:60]
	s_mov_b32 s0, 0
	s_delay_alu instid0(SALU_CYCLE_1)
	v_mov_b32_e32 v26, s0
	v_cndmask_b32_e64 v25, 0, 1, vcc_lo
.LBB683_1153:
	s_or_b32 exec_lo, exec_lo, s18
.LBB683_1154:
	s_delay_alu instid0(SALU_CYCLE_1) | instskip(SKIP_2) | instid1(VALU_DEP_1)
	s_or_b32 exec_lo, exec_lo, s3
	v_add_nc_u32_e32 v57, 7, v64
	s_mov_b32 s3, exec_lo
	v_cmpx_gt_u32_e64 s6, v57
	s_cbranch_execz .LBB683_1165
; %bb.1155:
	v_cmp_ne_u32_e32 vcc_lo, 1, v63
	s_cbranch_vccnz .LBB683_1162
; %bb.1156:
	v_mul_lo_u32 v59, v24, s8
	v_mul_lo_u32 v60, v23, s9
	v_mad_u64_u32 v[57:58], null, v23, s8, 0
	v_mul_lo_u32 v61, v22, s8
	v_mul_lo_u32 v62, v21, s9
	v_mad_u64_u32 v[23:24], null, v21, s8, 0
	s_mov_b32 s18, exec_lo
	s_delay_alu instid0(VALU_DEP_4) | instskip(NEXT) | instid1(VALU_DEP_2)
	v_add3_u32 v58, v58, v60, v59
	v_add3_u32 v24, v24, v62, v61
	s_delay_alu instid0(VALU_DEP_2) | instskip(NEXT) | instid1(VALU_DEP_2)
	v_lshlrev_b64 v[57:58], 1, v[57:58]
	v_lshlrev_b64 v[23:24], 1, v[23:24]
	s_delay_alu instid0(VALU_DEP_2) | instskip(NEXT) | instid1(VALU_DEP_3)
	v_add_co_u32 v57, vcc_lo, s10, v57
	v_add_co_ci_u32_e32 v58, vcc_lo, s11, v58, vcc_lo
	s_delay_alu instid0(VALU_DEP_3) | instskip(NEXT) | instid1(VALU_DEP_4)
	v_add_co_u32 v59, vcc_lo, s10, v23
	v_add_co_ci_u32_e32 v60, vcc_lo, s11, v24, vcc_lo
	s_clause 0x1
	global_load_u16 v61, v[57:58], off
	global_load_u16 v62, v[59:60], off
	v_mov_b32_e32 v23, 1
	v_mov_b32_e32 v24, 0
	s_waitcnt vmcnt(0)
	v_cmpx_eq_u16_e64 v61, v62
	s_cbranch_execz .LBB683_1164
; %bb.1157:
	v_add_co_u32 v23, vcc_lo, v59, 2
	v_add_co_ci_u32_e32 v24, vcc_lo, 0, v60, vcc_lo
	v_add_co_u32 v57, vcc_lo, v57, 2
	v_add_co_ci_u32_e32 v58, vcc_lo, 0, v58, vcc_lo
	s_add_u32 s12, s8, -1
	s_addc_u32 s13, s9, -1
	s_mov_b64 s[14:15], 0
	s_mov_b32 s19, 0
                                        ; implicit-def: $sgpr20
	s_set_inst_prefetch_distance 0x1
	s_branch .LBB683_1160
	.p2align	6
.LBB683_1158:                           ;   in Loop: Header=BB683_1160 Depth=1
	global_load_u16 v59, v[57:58], off
	global_load_u16 v60, v[23:24], off
	v_add_co_u32 v23, vcc_lo, v23, 2
	v_add_co_ci_u32_e32 v24, vcc_lo, 0, v24, vcc_lo
	v_add_co_u32 v57, s0, v57, 2
	s_delay_alu instid0(VALU_DEP_1)
	v_add_co_ci_u32_e64 v58, s0, 0, v58, s0
	s_add_u32 s14, s14, 1
	s_addc_u32 s15, s15, 0
	s_and_not1_b32 s0, s20, exec_lo
	s_waitcnt vmcnt(0)
	v_cmp_ne_u16_e32 vcc_lo, v59, v60
	s_and_b32 s20, vcc_lo, exec_lo
	s_delay_alu instid0(SALU_CYCLE_1)
	s_or_b32 s20, s0, s20
.LBB683_1159:                           ;   in Loop: Header=BB683_1160 Depth=1
	v_dual_mov_b32 v60, s15 :: v_dual_mov_b32 v59, s14
	s_and_b32 s0, exec_lo, s20
	s_delay_alu instid0(SALU_CYCLE_1) | instskip(NEXT) | instid1(SALU_CYCLE_1)
	s_or_b32 s19, s0, s19
	s_and_not1_b32 exec_lo, exec_lo, s19
	s_cbranch_execz .LBB683_1163
.LBB683_1160:                           ; =>This Inner Loop Header: Depth=1
	s_or_b32 s20, s20, exec_lo
	s_cmp_eq_u64 s[12:13], s[14:15]
	s_cbranch_scc0 .LBB683_1158
; %bb.1161:                             ;   in Loop: Header=BB683_1160 Depth=1
	s_mov_b64 s[14:15], s[8:9]
                                        ; implicit-def: $vgpr23_vgpr24
                                        ; implicit-def: $vgpr57_vgpr58
	s_branch .LBB683_1159
.LBB683_1162:
	v_mov_b32_e32 v23, 0
	v_mov_b32_e32 v24, 0
	s_branch .LBB683_1165
.LBB683_1163:
	s_set_inst_prefetch_distance 0x2
	s_or_b32 exec_lo, exec_lo, s19
	v_cmp_gt_i64_e32 vcc_lo, s[8:9], v[59:60]
	s_mov_b32 s0, 0
	s_delay_alu instid0(SALU_CYCLE_1)
	v_mov_b32_e32 v24, s0
	v_cndmask_b32_e64 v23, 0, 1, vcc_lo
.LBB683_1164:
	s_or_b32 exec_lo, exec_lo, s18
.LBB683_1165:
	s_delay_alu instid0(SALU_CYCLE_1) | instskip(SKIP_2) | instid1(VALU_DEP_1)
	s_or_b32 exec_lo, exec_lo, s3
	v_add_nc_u32_e32 v57, 6, v64
	s_mov_b32 s3, exec_lo
	v_cmpx_gt_u32_e64 s6, v57
	s_cbranch_execz .LBB683_1176
; %bb.1166:
	v_cmp_ne_u32_e32 vcc_lo, 1, v63
	s_cbranch_vccnz .LBB683_1173
; %bb.1167:
	v_mul_lo_u32 v59, v22, s8
	v_mul_lo_u32 v60, v21, s9
	v_mad_u64_u32 v[57:58], null, v21, s8, 0
	v_mul_lo_u32 v61, v20, s8
	v_mul_lo_u32 v62, v19, s9
	v_mad_u64_u32 v[21:22], null, v19, s8, 0
	s_mov_b32 s18, exec_lo
	s_delay_alu instid0(VALU_DEP_4) | instskip(NEXT) | instid1(VALU_DEP_2)
	v_add3_u32 v58, v58, v60, v59
	v_add3_u32 v22, v22, v62, v61
	s_delay_alu instid0(VALU_DEP_2) | instskip(NEXT) | instid1(VALU_DEP_2)
	v_lshlrev_b64 v[57:58], 1, v[57:58]
	v_lshlrev_b64 v[21:22], 1, v[21:22]
	s_delay_alu instid0(VALU_DEP_2) | instskip(NEXT) | instid1(VALU_DEP_3)
	v_add_co_u32 v57, vcc_lo, s10, v57
	v_add_co_ci_u32_e32 v58, vcc_lo, s11, v58, vcc_lo
	s_delay_alu instid0(VALU_DEP_3) | instskip(NEXT) | instid1(VALU_DEP_4)
	v_add_co_u32 v59, vcc_lo, s10, v21
	v_add_co_ci_u32_e32 v60, vcc_lo, s11, v22, vcc_lo
	s_clause 0x1
	global_load_u16 v61, v[57:58], off
	global_load_u16 v62, v[59:60], off
	v_mov_b32_e32 v21, 1
	v_mov_b32_e32 v22, 0
	s_waitcnt vmcnt(0)
	v_cmpx_eq_u16_e64 v61, v62
	s_cbranch_execz .LBB683_1175
; %bb.1168:
	v_add_co_u32 v21, vcc_lo, v59, 2
	v_add_co_ci_u32_e32 v22, vcc_lo, 0, v60, vcc_lo
	v_add_co_u32 v57, vcc_lo, v57, 2
	v_add_co_ci_u32_e32 v58, vcc_lo, 0, v58, vcc_lo
	s_add_u32 s12, s8, -1
	s_addc_u32 s13, s9, -1
	s_mov_b64 s[14:15], 0
	s_mov_b32 s19, 0
                                        ; implicit-def: $sgpr20
	s_set_inst_prefetch_distance 0x1
	s_branch .LBB683_1171
	.p2align	6
.LBB683_1169:                           ;   in Loop: Header=BB683_1171 Depth=1
	global_load_u16 v59, v[57:58], off
	global_load_u16 v60, v[21:22], off
	v_add_co_u32 v21, vcc_lo, v21, 2
	v_add_co_ci_u32_e32 v22, vcc_lo, 0, v22, vcc_lo
	v_add_co_u32 v57, s0, v57, 2
	s_delay_alu instid0(VALU_DEP_1)
	v_add_co_ci_u32_e64 v58, s0, 0, v58, s0
	s_add_u32 s14, s14, 1
	s_addc_u32 s15, s15, 0
	s_and_not1_b32 s0, s20, exec_lo
	s_waitcnt vmcnt(0)
	v_cmp_ne_u16_e32 vcc_lo, v59, v60
	s_and_b32 s20, vcc_lo, exec_lo
	s_delay_alu instid0(SALU_CYCLE_1)
	s_or_b32 s20, s0, s20
.LBB683_1170:                           ;   in Loop: Header=BB683_1171 Depth=1
	v_dual_mov_b32 v60, s15 :: v_dual_mov_b32 v59, s14
	s_and_b32 s0, exec_lo, s20
	s_delay_alu instid0(SALU_CYCLE_1) | instskip(NEXT) | instid1(SALU_CYCLE_1)
	s_or_b32 s19, s0, s19
	s_and_not1_b32 exec_lo, exec_lo, s19
	s_cbranch_execz .LBB683_1174
.LBB683_1171:                           ; =>This Inner Loop Header: Depth=1
	s_or_b32 s20, s20, exec_lo
	s_cmp_eq_u64 s[12:13], s[14:15]
	s_cbranch_scc0 .LBB683_1169
; %bb.1172:                             ;   in Loop: Header=BB683_1171 Depth=1
	s_mov_b64 s[14:15], s[8:9]
                                        ; implicit-def: $vgpr21_vgpr22
                                        ; implicit-def: $vgpr57_vgpr58
	s_branch .LBB683_1170
.LBB683_1173:
	v_mov_b32_e32 v21, 0
	v_mov_b32_e32 v22, 0
	s_branch .LBB683_1176
.LBB683_1174:
	s_set_inst_prefetch_distance 0x2
	s_or_b32 exec_lo, exec_lo, s19
	v_cmp_gt_i64_e32 vcc_lo, s[8:9], v[59:60]
	s_mov_b32 s0, 0
	s_delay_alu instid0(SALU_CYCLE_1)
	v_mov_b32_e32 v22, s0
	v_cndmask_b32_e64 v21, 0, 1, vcc_lo
.LBB683_1175:
	s_or_b32 exec_lo, exec_lo, s18
.LBB683_1176:
	s_delay_alu instid0(SALU_CYCLE_1) | instskip(SKIP_2) | instid1(VALU_DEP_1)
	s_or_b32 exec_lo, exec_lo, s3
	v_add_nc_u32_e32 v57, 5, v64
	s_mov_b32 s3, exec_lo
	v_cmpx_gt_u32_e64 s6, v57
	s_cbranch_execz .LBB683_1187
; %bb.1177:
	v_cmp_ne_u32_e32 vcc_lo, 1, v63
	s_cbranch_vccnz .LBB683_1184
; %bb.1178:
	v_mul_lo_u32 v59, v20, s8
	v_mul_lo_u32 v60, v19, s9
	v_mad_u64_u32 v[57:58], null, v19, s8, 0
	v_mul_lo_u32 v61, v18, s8
	v_mul_lo_u32 v62, v17, s9
	v_mad_u64_u32 v[19:20], null, v17, s8, 0
	s_mov_b32 s18, exec_lo
	s_delay_alu instid0(VALU_DEP_4) | instskip(NEXT) | instid1(VALU_DEP_2)
	v_add3_u32 v58, v58, v60, v59
	v_add3_u32 v20, v20, v62, v61
	s_delay_alu instid0(VALU_DEP_2) | instskip(NEXT) | instid1(VALU_DEP_2)
	v_lshlrev_b64 v[57:58], 1, v[57:58]
	v_lshlrev_b64 v[19:20], 1, v[19:20]
	s_delay_alu instid0(VALU_DEP_2) | instskip(NEXT) | instid1(VALU_DEP_3)
	v_add_co_u32 v57, vcc_lo, s10, v57
	v_add_co_ci_u32_e32 v58, vcc_lo, s11, v58, vcc_lo
	s_delay_alu instid0(VALU_DEP_3) | instskip(NEXT) | instid1(VALU_DEP_4)
	v_add_co_u32 v59, vcc_lo, s10, v19
	v_add_co_ci_u32_e32 v60, vcc_lo, s11, v20, vcc_lo
	s_clause 0x1
	global_load_u16 v61, v[57:58], off
	global_load_u16 v62, v[59:60], off
	v_mov_b32_e32 v19, 1
	v_mov_b32_e32 v20, 0
	s_waitcnt vmcnt(0)
	v_cmpx_eq_u16_e64 v61, v62
	s_cbranch_execz .LBB683_1186
; %bb.1179:
	v_add_co_u32 v19, vcc_lo, v59, 2
	v_add_co_ci_u32_e32 v20, vcc_lo, 0, v60, vcc_lo
	v_add_co_u32 v57, vcc_lo, v57, 2
	v_add_co_ci_u32_e32 v58, vcc_lo, 0, v58, vcc_lo
	s_add_u32 s12, s8, -1
	s_addc_u32 s13, s9, -1
	s_mov_b64 s[14:15], 0
	s_mov_b32 s19, 0
                                        ; implicit-def: $sgpr20
	s_set_inst_prefetch_distance 0x1
	s_branch .LBB683_1182
	.p2align	6
.LBB683_1180:                           ;   in Loop: Header=BB683_1182 Depth=1
	global_load_u16 v59, v[57:58], off
	global_load_u16 v60, v[19:20], off
	v_add_co_u32 v19, vcc_lo, v19, 2
	v_add_co_ci_u32_e32 v20, vcc_lo, 0, v20, vcc_lo
	v_add_co_u32 v57, s0, v57, 2
	s_delay_alu instid0(VALU_DEP_1)
	v_add_co_ci_u32_e64 v58, s0, 0, v58, s0
	s_add_u32 s14, s14, 1
	s_addc_u32 s15, s15, 0
	s_and_not1_b32 s0, s20, exec_lo
	s_waitcnt vmcnt(0)
	v_cmp_ne_u16_e32 vcc_lo, v59, v60
	s_and_b32 s20, vcc_lo, exec_lo
	s_delay_alu instid0(SALU_CYCLE_1)
	s_or_b32 s20, s0, s20
.LBB683_1181:                           ;   in Loop: Header=BB683_1182 Depth=1
	v_dual_mov_b32 v60, s15 :: v_dual_mov_b32 v59, s14
	s_and_b32 s0, exec_lo, s20
	s_delay_alu instid0(SALU_CYCLE_1) | instskip(NEXT) | instid1(SALU_CYCLE_1)
	s_or_b32 s19, s0, s19
	s_and_not1_b32 exec_lo, exec_lo, s19
	s_cbranch_execz .LBB683_1185
.LBB683_1182:                           ; =>This Inner Loop Header: Depth=1
	s_or_b32 s20, s20, exec_lo
	s_cmp_eq_u64 s[12:13], s[14:15]
	s_cbranch_scc0 .LBB683_1180
; %bb.1183:                             ;   in Loop: Header=BB683_1182 Depth=1
	s_mov_b64 s[14:15], s[8:9]
                                        ; implicit-def: $vgpr19_vgpr20
                                        ; implicit-def: $vgpr57_vgpr58
	s_branch .LBB683_1181
.LBB683_1184:
	v_mov_b32_e32 v19, 0
	v_mov_b32_e32 v20, 0
	s_branch .LBB683_1187
.LBB683_1185:
	s_set_inst_prefetch_distance 0x2
	s_or_b32 exec_lo, exec_lo, s19
	v_cmp_gt_i64_e32 vcc_lo, s[8:9], v[59:60]
	s_mov_b32 s0, 0
	s_delay_alu instid0(SALU_CYCLE_1)
	v_mov_b32_e32 v20, s0
	v_cndmask_b32_e64 v19, 0, 1, vcc_lo
.LBB683_1186:
	s_or_b32 exec_lo, exec_lo, s18
.LBB683_1187:
	s_delay_alu instid0(SALU_CYCLE_1) | instskip(SKIP_2) | instid1(VALU_DEP_1)
	s_or_b32 exec_lo, exec_lo, s3
	v_add_nc_u32_e32 v57, 4, v64
	s_mov_b32 s3, exec_lo
	v_cmpx_gt_u32_e64 s6, v57
	s_cbranch_execz .LBB683_1198
; %bb.1188:
	v_cmp_ne_u32_e32 vcc_lo, 1, v63
	s_cbranch_vccnz .LBB683_1195
; %bb.1189:
	v_mul_lo_u32 v59, v18, s8
	v_mul_lo_u32 v60, v17, s9
	v_mad_u64_u32 v[57:58], null, v17, s8, 0
	v_mul_lo_u32 v61, v16, s8
	v_mul_lo_u32 v62, v15, s9
	v_mad_u64_u32 v[17:18], null, v15, s8, 0
	s_mov_b32 s18, exec_lo
	s_delay_alu instid0(VALU_DEP_4) | instskip(NEXT) | instid1(VALU_DEP_2)
	v_add3_u32 v58, v58, v60, v59
	v_add3_u32 v18, v18, v62, v61
	s_delay_alu instid0(VALU_DEP_2) | instskip(NEXT) | instid1(VALU_DEP_2)
	v_lshlrev_b64 v[57:58], 1, v[57:58]
	v_lshlrev_b64 v[17:18], 1, v[17:18]
	s_delay_alu instid0(VALU_DEP_2) | instskip(NEXT) | instid1(VALU_DEP_3)
	v_add_co_u32 v57, vcc_lo, s10, v57
	v_add_co_ci_u32_e32 v58, vcc_lo, s11, v58, vcc_lo
	s_delay_alu instid0(VALU_DEP_3) | instskip(NEXT) | instid1(VALU_DEP_4)
	v_add_co_u32 v59, vcc_lo, s10, v17
	v_add_co_ci_u32_e32 v60, vcc_lo, s11, v18, vcc_lo
	s_clause 0x1
	global_load_u16 v61, v[57:58], off
	global_load_u16 v62, v[59:60], off
	v_mov_b32_e32 v17, 1
	v_mov_b32_e32 v18, 0
	s_waitcnt vmcnt(0)
	v_cmpx_eq_u16_e64 v61, v62
	s_cbranch_execz .LBB683_1197
; %bb.1190:
	v_add_co_u32 v17, vcc_lo, v59, 2
	v_add_co_ci_u32_e32 v18, vcc_lo, 0, v60, vcc_lo
	v_add_co_u32 v57, vcc_lo, v57, 2
	v_add_co_ci_u32_e32 v58, vcc_lo, 0, v58, vcc_lo
	s_add_u32 s12, s8, -1
	s_addc_u32 s13, s9, -1
	s_mov_b64 s[14:15], 0
	s_mov_b32 s19, 0
                                        ; implicit-def: $sgpr20
	s_set_inst_prefetch_distance 0x1
	s_branch .LBB683_1193
	.p2align	6
.LBB683_1191:                           ;   in Loop: Header=BB683_1193 Depth=1
	global_load_u16 v59, v[57:58], off
	global_load_u16 v60, v[17:18], off
	v_add_co_u32 v17, vcc_lo, v17, 2
	v_add_co_ci_u32_e32 v18, vcc_lo, 0, v18, vcc_lo
	v_add_co_u32 v57, s0, v57, 2
	s_delay_alu instid0(VALU_DEP_1)
	v_add_co_ci_u32_e64 v58, s0, 0, v58, s0
	s_add_u32 s14, s14, 1
	s_addc_u32 s15, s15, 0
	s_and_not1_b32 s0, s20, exec_lo
	s_waitcnt vmcnt(0)
	v_cmp_ne_u16_e32 vcc_lo, v59, v60
	s_and_b32 s20, vcc_lo, exec_lo
	s_delay_alu instid0(SALU_CYCLE_1)
	s_or_b32 s20, s0, s20
.LBB683_1192:                           ;   in Loop: Header=BB683_1193 Depth=1
	v_dual_mov_b32 v60, s15 :: v_dual_mov_b32 v59, s14
	s_and_b32 s0, exec_lo, s20
	s_delay_alu instid0(SALU_CYCLE_1) | instskip(NEXT) | instid1(SALU_CYCLE_1)
	s_or_b32 s19, s0, s19
	s_and_not1_b32 exec_lo, exec_lo, s19
	s_cbranch_execz .LBB683_1196
.LBB683_1193:                           ; =>This Inner Loop Header: Depth=1
	s_or_b32 s20, s20, exec_lo
	s_cmp_eq_u64 s[12:13], s[14:15]
	s_cbranch_scc0 .LBB683_1191
; %bb.1194:                             ;   in Loop: Header=BB683_1193 Depth=1
	s_mov_b64 s[14:15], s[8:9]
                                        ; implicit-def: $vgpr17_vgpr18
                                        ; implicit-def: $vgpr57_vgpr58
	s_branch .LBB683_1192
.LBB683_1195:
	v_mov_b32_e32 v17, 0
	v_mov_b32_e32 v18, 0
	s_branch .LBB683_1198
.LBB683_1196:
	s_set_inst_prefetch_distance 0x2
	s_or_b32 exec_lo, exec_lo, s19
	v_cmp_gt_i64_e32 vcc_lo, s[8:9], v[59:60]
	s_mov_b32 s0, 0
	s_delay_alu instid0(SALU_CYCLE_1)
	v_mov_b32_e32 v18, s0
	v_cndmask_b32_e64 v17, 0, 1, vcc_lo
.LBB683_1197:
	s_or_b32 exec_lo, exec_lo, s18
.LBB683_1198:
	s_delay_alu instid0(SALU_CYCLE_1) | instskip(SKIP_2) | instid1(VALU_DEP_1)
	s_or_b32 exec_lo, exec_lo, s3
	v_add_nc_u32_e32 v57, 3, v64
	s_mov_b32 s3, exec_lo
	v_cmpx_gt_u32_e64 s6, v57
	s_cbranch_execz .LBB683_1209
; %bb.1199:
	v_cmp_ne_u32_e32 vcc_lo, 1, v63
	s_cbranch_vccnz .LBB683_1206
; %bb.1200:
	v_mul_lo_u32 v59, v16, s8
	v_mul_lo_u32 v60, v15, s9
	v_mad_u64_u32 v[57:58], null, v15, s8, 0
	v_mul_lo_u32 v61, v14, s8
	v_mul_lo_u32 v62, v13, s9
	v_mad_u64_u32 v[15:16], null, v13, s8, 0
	s_mov_b32 s18, exec_lo
	s_delay_alu instid0(VALU_DEP_4) | instskip(NEXT) | instid1(VALU_DEP_2)
	v_add3_u32 v58, v58, v60, v59
	v_add3_u32 v16, v16, v62, v61
	s_delay_alu instid0(VALU_DEP_2) | instskip(NEXT) | instid1(VALU_DEP_2)
	v_lshlrev_b64 v[57:58], 1, v[57:58]
	v_lshlrev_b64 v[15:16], 1, v[15:16]
	s_delay_alu instid0(VALU_DEP_2) | instskip(NEXT) | instid1(VALU_DEP_3)
	v_add_co_u32 v57, vcc_lo, s10, v57
	v_add_co_ci_u32_e32 v58, vcc_lo, s11, v58, vcc_lo
	s_delay_alu instid0(VALU_DEP_3) | instskip(NEXT) | instid1(VALU_DEP_4)
	v_add_co_u32 v59, vcc_lo, s10, v15
	v_add_co_ci_u32_e32 v60, vcc_lo, s11, v16, vcc_lo
	s_clause 0x1
	global_load_u16 v61, v[57:58], off
	global_load_u16 v62, v[59:60], off
	v_mov_b32_e32 v15, 1
	v_mov_b32_e32 v16, 0
	s_waitcnt vmcnt(0)
	v_cmpx_eq_u16_e64 v61, v62
	s_cbranch_execz .LBB683_1208
; %bb.1201:
	v_add_co_u32 v15, vcc_lo, v59, 2
	v_add_co_ci_u32_e32 v16, vcc_lo, 0, v60, vcc_lo
	v_add_co_u32 v57, vcc_lo, v57, 2
	v_add_co_ci_u32_e32 v58, vcc_lo, 0, v58, vcc_lo
	s_add_u32 s12, s8, -1
	s_addc_u32 s13, s9, -1
	s_mov_b64 s[14:15], 0
	s_mov_b32 s19, 0
                                        ; implicit-def: $sgpr20
	s_set_inst_prefetch_distance 0x1
	s_branch .LBB683_1204
	.p2align	6
.LBB683_1202:                           ;   in Loop: Header=BB683_1204 Depth=1
	global_load_u16 v59, v[57:58], off
	global_load_u16 v60, v[15:16], off
	v_add_co_u32 v15, vcc_lo, v15, 2
	v_add_co_ci_u32_e32 v16, vcc_lo, 0, v16, vcc_lo
	v_add_co_u32 v57, s0, v57, 2
	s_delay_alu instid0(VALU_DEP_1)
	v_add_co_ci_u32_e64 v58, s0, 0, v58, s0
	s_add_u32 s14, s14, 1
	s_addc_u32 s15, s15, 0
	s_and_not1_b32 s0, s20, exec_lo
	s_waitcnt vmcnt(0)
	v_cmp_ne_u16_e32 vcc_lo, v59, v60
	s_and_b32 s20, vcc_lo, exec_lo
	s_delay_alu instid0(SALU_CYCLE_1)
	s_or_b32 s20, s0, s20
.LBB683_1203:                           ;   in Loop: Header=BB683_1204 Depth=1
	v_dual_mov_b32 v60, s15 :: v_dual_mov_b32 v59, s14
	s_and_b32 s0, exec_lo, s20
	s_delay_alu instid0(SALU_CYCLE_1) | instskip(NEXT) | instid1(SALU_CYCLE_1)
	s_or_b32 s19, s0, s19
	s_and_not1_b32 exec_lo, exec_lo, s19
	s_cbranch_execz .LBB683_1207
.LBB683_1204:                           ; =>This Inner Loop Header: Depth=1
	s_or_b32 s20, s20, exec_lo
	s_cmp_eq_u64 s[12:13], s[14:15]
	s_cbranch_scc0 .LBB683_1202
; %bb.1205:                             ;   in Loop: Header=BB683_1204 Depth=1
	s_mov_b64 s[14:15], s[8:9]
                                        ; implicit-def: $vgpr15_vgpr16
                                        ; implicit-def: $vgpr57_vgpr58
	s_branch .LBB683_1203
.LBB683_1206:
	v_mov_b32_e32 v15, 0
	v_mov_b32_e32 v16, 0
	s_branch .LBB683_1209
.LBB683_1207:
	s_set_inst_prefetch_distance 0x2
	s_or_b32 exec_lo, exec_lo, s19
	v_cmp_gt_i64_e32 vcc_lo, s[8:9], v[59:60]
	s_mov_b32 s0, 0
	s_delay_alu instid0(SALU_CYCLE_1)
	v_mov_b32_e32 v16, s0
	v_cndmask_b32_e64 v15, 0, 1, vcc_lo
.LBB683_1208:
	s_or_b32 exec_lo, exec_lo, s18
.LBB683_1209:
	s_delay_alu instid0(SALU_CYCLE_1) | instskip(SKIP_2) | instid1(VALU_DEP_1)
	s_or_b32 exec_lo, exec_lo, s3
	v_add_nc_u32_e32 v57, 2, v64
	s_mov_b32 s3, exec_lo
	v_cmpx_gt_u32_e64 s6, v57
	s_cbranch_execz .LBB683_1220
; %bb.1210:
	v_cmp_ne_u32_e32 vcc_lo, 1, v63
	s_cbranch_vccnz .LBB683_1217
; %bb.1211:
	v_mul_lo_u32 v59, v14, s8
	v_mul_lo_u32 v60, v13, s9
	v_mad_u64_u32 v[57:58], null, v13, s8, 0
	v_mul_lo_u32 v61, v4, s8
	v_mul_lo_u32 v62, v3, s9
	v_mad_u64_u32 v[13:14], null, v3, s8, 0
	s_mov_b32 s18, exec_lo
	s_delay_alu instid0(VALU_DEP_4) | instskip(NEXT) | instid1(VALU_DEP_2)
	v_add3_u32 v58, v58, v60, v59
	v_add3_u32 v14, v14, v62, v61
	s_delay_alu instid0(VALU_DEP_2) | instskip(NEXT) | instid1(VALU_DEP_2)
	v_lshlrev_b64 v[57:58], 1, v[57:58]
	v_lshlrev_b64 v[13:14], 1, v[13:14]
	s_delay_alu instid0(VALU_DEP_2) | instskip(NEXT) | instid1(VALU_DEP_3)
	v_add_co_u32 v57, vcc_lo, s10, v57
	v_add_co_ci_u32_e32 v58, vcc_lo, s11, v58, vcc_lo
	s_delay_alu instid0(VALU_DEP_3) | instskip(NEXT) | instid1(VALU_DEP_4)
	v_add_co_u32 v59, vcc_lo, s10, v13
	v_add_co_ci_u32_e32 v60, vcc_lo, s11, v14, vcc_lo
	s_clause 0x1
	global_load_u16 v61, v[57:58], off
	global_load_u16 v62, v[59:60], off
	v_mov_b32_e32 v13, 1
	v_mov_b32_e32 v14, 0
	s_waitcnt vmcnt(0)
	v_cmpx_eq_u16_e64 v61, v62
	s_cbranch_execz .LBB683_1219
; %bb.1212:
	v_add_co_u32 v13, vcc_lo, v59, 2
	v_add_co_ci_u32_e32 v14, vcc_lo, 0, v60, vcc_lo
	v_add_co_u32 v57, vcc_lo, v57, 2
	v_add_co_ci_u32_e32 v58, vcc_lo, 0, v58, vcc_lo
	s_add_u32 s12, s8, -1
	s_addc_u32 s13, s9, -1
	s_mov_b64 s[14:15], 0
	s_mov_b32 s19, 0
                                        ; implicit-def: $sgpr20
	s_set_inst_prefetch_distance 0x1
	s_branch .LBB683_1215
	.p2align	6
.LBB683_1213:                           ;   in Loop: Header=BB683_1215 Depth=1
	global_load_u16 v59, v[57:58], off
	global_load_u16 v60, v[13:14], off
	v_add_co_u32 v13, vcc_lo, v13, 2
	v_add_co_ci_u32_e32 v14, vcc_lo, 0, v14, vcc_lo
	v_add_co_u32 v57, s0, v57, 2
	s_delay_alu instid0(VALU_DEP_1)
	v_add_co_ci_u32_e64 v58, s0, 0, v58, s0
	s_add_u32 s14, s14, 1
	s_addc_u32 s15, s15, 0
	s_and_not1_b32 s0, s20, exec_lo
	s_waitcnt vmcnt(0)
	v_cmp_ne_u16_e32 vcc_lo, v59, v60
	s_and_b32 s20, vcc_lo, exec_lo
	s_delay_alu instid0(SALU_CYCLE_1)
	s_or_b32 s20, s0, s20
.LBB683_1214:                           ;   in Loop: Header=BB683_1215 Depth=1
	v_dual_mov_b32 v60, s15 :: v_dual_mov_b32 v59, s14
	s_and_b32 s0, exec_lo, s20
	s_delay_alu instid0(SALU_CYCLE_1) | instskip(NEXT) | instid1(SALU_CYCLE_1)
	s_or_b32 s19, s0, s19
	s_and_not1_b32 exec_lo, exec_lo, s19
	s_cbranch_execz .LBB683_1218
.LBB683_1215:                           ; =>This Inner Loop Header: Depth=1
	s_or_b32 s20, s20, exec_lo
	s_cmp_eq_u64 s[12:13], s[14:15]
	s_cbranch_scc0 .LBB683_1213
; %bb.1216:                             ;   in Loop: Header=BB683_1215 Depth=1
	s_mov_b64 s[14:15], s[8:9]
                                        ; implicit-def: $vgpr13_vgpr14
                                        ; implicit-def: $vgpr57_vgpr58
	s_branch .LBB683_1214
.LBB683_1217:
	v_mov_b32_e32 v13, 0
	v_mov_b32_e32 v14, 0
	s_branch .LBB683_1220
.LBB683_1218:
	s_set_inst_prefetch_distance 0x2
	s_or_b32 exec_lo, exec_lo, s19
	v_cmp_gt_i64_e32 vcc_lo, s[8:9], v[59:60]
	s_mov_b32 s0, 0
	s_delay_alu instid0(SALU_CYCLE_1)
	v_mov_b32_e32 v14, s0
	v_cndmask_b32_e64 v13, 0, 1, vcc_lo
.LBB683_1219:
	s_or_b32 exec_lo, exec_lo, s18
.LBB683_1220:
	s_delay_alu instid0(SALU_CYCLE_1) | instskip(SKIP_2) | instid1(VALU_DEP_1)
	s_or_b32 exec_lo, exec_lo, s3
	v_add_nc_u32_e32 v57, 1, v64
	s_mov_b32 s3, exec_lo
	v_cmpx_gt_u32_e64 s6, v57
	s_cbranch_execz .LBB683_1231
; %bb.1221:
	v_cmp_ne_u32_e32 vcc_lo, 1, v63
	s_cbranch_vccnz .LBB683_1228
; %bb.1222:
	v_mul_lo_u32 v59, v4, s8
	v_mul_lo_u32 v60, v3, s9
	v_mad_u64_u32 v[57:58], null, v3, s8, 0
	v_mul_lo_u32 v61, v2, s8
	v_mul_lo_u32 v62, v1, s9
	v_mad_u64_u32 v[3:4], null, v1, s8, 0
	s_mov_b32 s18, exec_lo
	s_delay_alu instid0(VALU_DEP_4) | instskip(NEXT) | instid1(VALU_DEP_2)
	v_add3_u32 v58, v58, v60, v59
	v_add3_u32 v4, v4, v62, v61
	s_delay_alu instid0(VALU_DEP_2) | instskip(NEXT) | instid1(VALU_DEP_2)
	v_lshlrev_b64 v[57:58], 1, v[57:58]
	v_lshlrev_b64 v[3:4], 1, v[3:4]
	s_delay_alu instid0(VALU_DEP_2) | instskip(NEXT) | instid1(VALU_DEP_3)
	v_add_co_u32 v57, vcc_lo, s10, v57
	v_add_co_ci_u32_e32 v58, vcc_lo, s11, v58, vcc_lo
	s_delay_alu instid0(VALU_DEP_3) | instskip(NEXT) | instid1(VALU_DEP_4)
	v_add_co_u32 v59, vcc_lo, s10, v3
	v_add_co_ci_u32_e32 v60, vcc_lo, s11, v4, vcc_lo
	s_clause 0x1
	global_load_u16 v61, v[57:58], off
	global_load_u16 v62, v[59:60], off
	v_mov_b32_e32 v3, 1
	v_mov_b32_e32 v4, 0
	s_waitcnt vmcnt(0)
	v_cmpx_eq_u16_e64 v61, v62
	s_cbranch_execz .LBB683_1230
; %bb.1223:
	v_add_co_u32 v3, vcc_lo, v59, 2
	v_add_co_ci_u32_e32 v4, vcc_lo, 0, v60, vcc_lo
	v_add_co_u32 v57, vcc_lo, v57, 2
	v_add_co_ci_u32_e32 v58, vcc_lo, 0, v58, vcc_lo
	s_add_u32 s12, s8, -1
	s_addc_u32 s13, s9, -1
	s_mov_b64 s[14:15], 0
	s_mov_b32 s19, 0
                                        ; implicit-def: $sgpr20
	s_set_inst_prefetch_distance 0x1
	s_branch .LBB683_1226
	.p2align	6
.LBB683_1224:                           ;   in Loop: Header=BB683_1226 Depth=1
	global_load_u16 v59, v[57:58], off
	global_load_u16 v60, v[3:4], off
	v_add_co_u32 v3, vcc_lo, v3, 2
	v_add_co_ci_u32_e32 v4, vcc_lo, 0, v4, vcc_lo
	v_add_co_u32 v57, s0, v57, 2
	s_delay_alu instid0(VALU_DEP_1)
	v_add_co_ci_u32_e64 v58, s0, 0, v58, s0
	s_add_u32 s14, s14, 1
	s_addc_u32 s15, s15, 0
	s_and_not1_b32 s0, s20, exec_lo
	s_waitcnt vmcnt(0)
	v_cmp_ne_u16_e32 vcc_lo, v59, v60
	s_and_b32 s20, vcc_lo, exec_lo
	s_delay_alu instid0(SALU_CYCLE_1)
	s_or_b32 s20, s0, s20
.LBB683_1225:                           ;   in Loop: Header=BB683_1226 Depth=1
	v_dual_mov_b32 v60, s15 :: v_dual_mov_b32 v59, s14
	s_and_b32 s0, exec_lo, s20
	s_delay_alu instid0(SALU_CYCLE_1) | instskip(NEXT) | instid1(SALU_CYCLE_1)
	s_or_b32 s19, s0, s19
	s_and_not1_b32 exec_lo, exec_lo, s19
	s_cbranch_execz .LBB683_1229
.LBB683_1226:                           ; =>This Inner Loop Header: Depth=1
	s_or_b32 s20, s20, exec_lo
	s_cmp_eq_u64 s[12:13], s[14:15]
	s_cbranch_scc0 .LBB683_1224
; %bb.1227:                             ;   in Loop: Header=BB683_1226 Depth=1
	s_mov_b64 s[14:15], s[8:9]
                                        ; implicit-def: $vgpr3_vgpr4
                                        ; implicit-def: $vgpr57_vgpr58
	s_branch .LBB683_1225
.LBB683_1228:
	v_mov_b32_e32 v3, 0
	v_mov_b32_e32 v4, 0
	s_branch .LBB683_1231
.LBB683_1229:
	s_set_inst_prefetch_distance 0x2
	s_or_b32 exec_lo, exec_lo, s19
	v_cmp_gt_i64_e32 vcc_lo, s[8:9], v[59:60]
	s_mov_b32 s0, 0
	s_delay_alu instid0(SALU_CYCLE_1)
	v_mov_b32_e32 v4, s0
	v_cndmask_b32_e64 v3, 0, 1, vcc_lo
.LBB683_1230:
	s_or_b32 exec_lo, exec_lo, s18
.LBB683_1231:
	s_delay_alu instid0(SALU_CYCLE_1)
	s_or_b32 exec_lo, exec_lo, s3
	v_cmp_ne_u32_e32 vcc_lo, 0, v0
	v_cmp_gt_u32_e64 s0, s6, v64
	s_mov_b32 s12, 0
	s_waitcnt lgkmcnt(0)
	s_barrier
	buffer_gl0_inv
	s_and_b32 s13, vcc_lo, s0
                                        ; implicit-def: $sgpr0
	s_delay_alu instid0(SALU_CYCLE_1)
	s_and_saveexec_b32 s3, s13
	s_cbranch_execz .LBB683_1242
; %bb.1232:
	v_cmp_ne_u32_e32 vcc_lo, 1, v63
	s_cbranch_vccnz .LBB683_1241
; %bb.1233:
	v_add_nc_u32_e32 v57, -8, v195
	v_mul_lo_u32 v61, v2, s8
	v_mul_lo_u32 v62, v1, s9
	v_mad_u64_u32 v[59:60], null, v1, s8, 0
	ds_load_b64 v[57:58], v57
	s_mov_b32 s12, -1
	s_mov_b32 s14, exec_lo
	v_add3_u32 v60, v60, v62, v61
	s_waitcnt lgkmcnt(0)
	v_mul_lo_u32 v58, v58, s8
	v_mul_lo_u32 v63, v57, s9
	v_mad_u64_u32 v[1:2], null, v57, s8, 0
	s_delay_alu instid0(VALU_DEP_1) | instskip(SKIP_1) | instid1(VALU_DEP_2)
	v_add3_u32 v2, v2, v63, v58
	v_lshlrev_b64 v[57:58], 1, v[59:60]
	v_lshlrev_b64 v[1:2], 1, v[1:2]
	s_delay_alu instid0(VALU_DEP_2) | instskip(NEXT) | instid1(VALU_DEP_3)
	v_add_co_u32 v57, vcc_lo, s10, v57
	v_add_co_ci_u32_e32 v58, vcc_lo, s11, v58, vcc_lo
	s_delay_alu instid0(VALU_DEP_3) | instskip(NEXT) | instid1(VALU_DEP_4)
	v_add_co_u32 v1, vcc_lo, s10, v1
	v_add_co_ci_u32_e32 v2, vcc_lo, s11, v2, vcc_lo
	s_clause 0x1
	global_load_u16 v59, v[57:58], off
	global_load_u16 v60, v[1:2], off
	s_waitcnt vmcnt(0)
	v_cmpx_eq_u16_e64 v59, v60
	s_cbranch_execz .LBB683_1240
; %bb.1234:
	v_add_co_u32 v1, vcc_lo, v1, 2
	v_add_co_ci_u32_e32 v2, vcc_lo, 0, v2, vcc_lo
	v_add_co_u32 v57, vcc_lo, v57, 2
	v_add_co_ci_u32_e32 v58, vcc_lo, 0, v58, vcc_lo
	s_add_u32 s10, s8, -1
	s_addc_u32 s11, s9, -1
	s_mov_b64 s[12:13], 0
	s_mov_b32 s15, 0
                                        ; implicit-def: $sgpr18
	s_set_inst_prefetch_distance 0x1
	s_branch .LBB683_1237
	.p2align	6
.LBB683_1235:                           ;   in Loop: Header=BB683_1237 Depth=1
	global_load_u16 v59, v[57:58], off
	global_load_u16 v60, v[1:2], off
	v_add_co_u32 v1, vcc_lo, v1, 2
	v_add_co_ci_u32_e32 v2, vcc_lo, 0, v2, vcc_lo
	v_add_co_u32 v57, s0, v57, 2
	s_delay_alu instid0(VALU_DEP_1)
	v_add_co_ci_u32_e64 v58, s0, 0, v58, s0
	s_add_u32 s12, s12, 1
	s_addc_u32 s13, s13, 0
	s_and_not1_b32 s0, s18, exec_lo
	s_waitcnt vmcnt(0)
	v_cmp_ne_u16_e32 vcc_lo, v59, v60
	s_and_b32 s18, vcc_lo, exec_lo
	s_delay_alu instid0(SALU_CYCLE_1)
	s_or_b32 s18, s0, s18
.LBB683_1236:                           ;   in Loop: Header=BB683_1237 Depth=1
	v_dual_mov_b32 v60, s13 :: v_dual_mov_b32 v59, s12
	s_and_b32 s0, exec_lo, s18
	s_delay_alu instid0(SALU_CYCLE_1) | instskip(NEXT) | instid1(SALU_CYCLE_1)
	s_or_b32 s15, s0, s15
	s_and_not1_b32 exec_lo, exec_lo, s15
	s_cbranch_execz .LBB683_1239
.LBB683_1237:                           ; =>This Inner Loop Header: Depth=1
	s_or_b32 s18, s18, exec_lo
	s_cmp_eq_u64 s[10:11], s[12:13]
	s_cbranch_scc0 .LBB683_1235
; %bb.1238:                             ;   in Loop: Header=BB683_1237 Depth=1
	s_mov_b64 s[12:13], s[8:9]
                                        ; implicit-def: $vgpr1_vgpr2
                                        ; implicit-def: $vgpr57_vgpr58
	s_branch .LBB683_1236
.LBB683_1239:
	s_set_inst_prefetch_distance 0x2
	s_or_b32 exec_lo, exec_lo, s15
	v_cmp_gt_i64_e32 vcc_lo, s[8:9], v[59:60]
	s_or_not1_b32 s12, vcc_lo, exec_lo
.LBB683_1240:
	s_or_b32 exec_lo, exec_lo, s14
.LBB683_1241:
	s_delay_alu instid0(SALU_CYCLE_1)
	s_and_b32 s0, s12, exec_lo
	s_or_b32 s1, s1, exec_lo
.LBB683_1242:
	s_or_b32 exec_lo, exec_lo, s3
	v_dual_mov_b32 v166, v4 :: v_dual_mov_b32 v165, v3
	v_dual_mov_b32 v164, v14 :: v_dual_mov_b32 v163, v13
	;; [unrolled: 1-line block ×55, first 2 shown]
.LBB683_1243:
	s_and_saveexec_b32 s3, s1
	s_cbranch_execz .LBB683_1245
; %bb.1244:
	s_mov_b32 s1, 0
	v_dual_mov_b32 v194, v114 :: v_dual_mov_b32 v63, v117
	v_dual_mov_b32 v2, s1 :: v_dual_mov_b32 v59, v115
	v_dual_mov_b32 v192, v120 :: v_dual_mov_b32 v67, v121
	v_dual_mov_b32 v190, v124 :: v_dual_mov_b32 v71, v125
	v_dual_mov_b32 v188, v128 :: v_dual_mov_b32 v75, v129
	v_dual_mov_b32 v186, v132 :: v_dual_mov_b32 v79, v133
	v_dual_mov_b32 v184, v136 :: v_dual_mov_b32 v83, v137
	v_dual_mov_b32 v180, v140 :: v_dual_mov_b32 v87, v141
	v_dual_mov_b32 v178, v144 :: v_dual_mov_b32 v91, v145
	v_dual_mov_b32 v176, v148 :: v_dual_mov_b32 v95, v149
	v_dual_mov_b32 v174, v152 :: v_dual_mov_b32 v99, v153
	v_dual_mov_b32 v172, v156 :: v_dual_mov_b32 v103, v157
	v_dual_mov_b32 v170, v160 :: v_dual_mov_b32 v107, v161
	v_mov_b32_e32 v168, v164
	v_dual_mov_b32 v182, v166 :: v_dual_mov_b32 v181, v165
	v_cndmask_b32_e64 v1, 0, 1, s0
	v_dual_mov_b32 v60, v116 :: v_dual_mov_b32 v193, v113
	v_dual_mov_b32 v64, v118 :: v_dual_mov_b32 v191, v119
	;; [unrolled: 1-line block ×13, first 2 shown]
.LBB683_1245:
	s_or_b32 exec_lo, exec_lo, s3
	v_mul_u32_u24_e32 v65, 0xe8, v0
	v_mul_i32_i24_e32 v66, 0xffffff20, v0
	s_add_u32 s8, s4, s16
	s_addc_u32 s4, s5, s17
	s_and_b32 vcc_lo, exec_lo, s26
	s_waitcnt lgkmcnt(0)
	s_barrier
	buffer_gl0_inv
	s_cbranch_vccz .LBB683_1303
; %bb.1246:
	v_dual_mov_b32 v3, v181 :: v_dual_mov_b32 v4, v182
	s_mov_b32 s3, 0
	ds_store_2addr_b64 v65, v[169:170], v[103:104] offset0:4 offset1:5
	ds_store_2addr_b64 v65, v[171:172], v[99:100] offset0:6 offset1:7
	ds_store_2addr_b64 v65, v[1:2], v[3:4] offset1:1
	ds_store_2addr_b64 v65, v[167:168], v[107:108] offset0:2 offset1:3
	ds_store_2addr_b64 v65, v[173:174], v[95:96] offset0:8 offset1:9
	;; [unrolled: 1-line block ×11, first 2 shown]
	v_mad_u32_u24 v3, 0xe8, v0, v66
	ds_store_b64 v65, v[111:112] offset:224
	s_waitcnt lgkmcnt(0)
	s_barrier
	buffer_gl0_inv
	ds_load_2addr_stride64_b64 v[55:58], v3 offset0:2 offset1:4
	ds_load_2addr_stride64_b64 v[51:54], v3 offset0:6 offset1:8
	;; [unrolled: 1-line block ×14, first 2 shown]
	s_lshl_b64 s[0:1], s[2:3], 3
	s_add_i32 s7, s7, s6
	s_add_u32 s0, s8, s0
	s_addc_u32 s1, s4, s1
	v_add_co_u32 v61, s0, s0, v195
	s_delay_alu instid0(VALU_DEP_1)
	v_add_co_ci_u32_e64 v62, null, s1, 0, s0
	s_mov_b32 s0, exec_lo
	v_cmpx_gt_u32_e64 s7, v0
	s_cbranch_execz .LBB683_1248
; %bb.1247:
	v_add_nc_u32_e32 v69, v65, v66
	ds_load_b64 v[69:70], v69
	s_waitcnt lgkmcnt(0)
	global_store_b64 v[61:62], v[69:70], off
.LBB683_1248:
	s_or_b32 exec_lo, exec_lo, s0
	v_or_b32_e32 v69, 0x80, v0
	s_mov_b32 s0, exec_lo
	s_delay_alu instid0(VALU_DEP_1)
	v_cmpx_gt_u32_e64 s7, v69
	s_cbranch_execz .LBB683_1250
; %bb.1249:
	s_waitcnt lgkmcnt(13)
	global_store_b64 v[61:62], v[55:56], off offset:1024
.LBB683_1250:
	s_or_b32 exec_lo, exec_lo, s0
	s_waitcnt lgkmcnt(13)
	v_or_b32_e32 v55, 0x100, v0
	s_mov_b32 s0, exec_lo
	s_delay_alu instid0(VALU_DEP_1)
	v_cmpx_gt_u32_e64 s7, v55
	s_cbranch_execz .LBB683_1252
; %bb.1251:
	global_store_b64 v[61:62], v[57:58], off offset:2048
.LBB683_1252:
	s_or_b32 exec_lo, exec_lo, s0
	v_or_b32_e32 v55, 0x180, v0
	s_mov_b32 s0, exec_lo
	s_delay_alu instid0(VALU_DEP_1)
	v_cmpx_gt_u32_e64 s7, v55
	s_cbranch_execz .LBB683_1254
; %bb.1253:
	s_waitcnt lgkmcnt(12)
	global_store_b64 v[61:62], v[51:52], off offset:3072
.LBB683_1254:
	s_or_b32 exec_lo, exec_lo, s0
	s_waitcnt lgkmcnt(12)
	v_or_b32_e32 v51, 0x200, v0
	s_mov_b32 s0, exec_lo
	s_delay_alu instid0(VALU_DEP_1)
	v_cmpx_gt_u32_e64 s7, v51
	s_cbranch_execz .LBB683_1256
; %bb.1255:
	v_add_co_u32 v51, vcc_lo, 0x1000, v61
	v_add_co_ci_u32_e32 v52, vcc_lo, 0, v62, vcc_lo
	global_store_b64 v[51:52], v[53:54], off
.LBB683_1256:
	s_or_b32 exec_lo, exec_lo, s0
	v_or_b32_e32 v51, 0x280, v0
	s_mov_b32 s0, exec_lo
	s_delay_alu instid0(VALU_DEP_1)
	v_cmpx_gt_u32_e64 s7, v51
	s_cbranch_execz .LBB683_1258
; %bb.1257:
	v_add_co_u32 v51, vcc_lo, 0x1000, v61
	v_add_co_ci_u32_e32 v52, vcc_lo, 0, v62, vcc_lo
	s_waitcnt lgkmcnt(11)
	global_store_b64 v[51:52], v[47:48], off offset:1024
.LBB683_1258:
	s_or_b32 exec_lo, exec_lo, s0
	s_waitcnt lgkmcnt(11)
	v_or_b32_e32 v47, 0x300, v0
	s_mov_b32 s0, exec_lo
	s_delay_alu instid0(VALU_DEP_1)
	v_cmpx_gt_u32_e64 s7, v47
	s_cbranch_execz .LBB683_1260
; %bb.1259:
	v_add_co_u32 v47, vcc_lo, 0x1000, v61
	v_add_co_ci_u32_e32 v48, vcc_lo, 0, v62, vcc_lo
	global_store_b64 v[47:48], v[49:50], off offset:2048
.LBB683_1260:
	s_or_b32 exec_lo, exec_lo, s0
	v_or_b32_e32 v47, 0x380, v0
	s_mov_b32 s0, exec_lo
	s_delay_alu instid0(VALU_DEP_1)
	v_cmpx_gt_u32_e64 s7, v47
	s_cbranch_execz .LBB683_1262
; %bb.1261:
	v_add_co_u32 v47, vcc_lo, 0x1000, v61
	v_add_co_ci_u32_e32 v48, vcc_lo, 0, v62, vcc_lo
	s_waitcnt lgkmcnt(10)
	global_store_b64 v[47:48], v[43:44], off offset:3072
.LBB683_1262:
	s_or_b32 exec_lo, exec_lo, s0
	s_waitcnt lgkmcnt(10)
	v_or_b32_e32 v43, 0x400, v0
	s_mov_b32 s0, exec_lo
	s_delay_alu instid0(VALU_DEP_1)
	v_cmpx_gt_u32_e64 s7, v43
	s_cbranch_execz .LBB683_1264
; %bb.1263:
	v_add_co_u32 v43, vcc_lo, 0x2000, v61
	v_add_co_ci_u32_e32 v44, vcc_lo, 0, v62, vcc_lo
	global_store_b64 v[43:44], v[45:46], off
.LBB683_1264:
	s_or_b32 exec_lo, exec_lo, s0
	v_or_b32_e32 v43, 0x480, v0
	s_mov_b32 s0, exec_lo
	s_delay_alu instid0(VALU_DEP_1)
	v_cmpx_gt_u32_e64 s7, v43
	s_cbranch_execz .LBB683_1266
; %bb.1265:
	v_add_co_u32 v43, vcc_lo, 0x2000, v61
	v_add_co_ci_u32_e32 v44, vcc_lo, 0, v62, vcc_lo
	s_waitcnt lgkmcnt(9)
	global_store_b64 v[43:44], v[39:40], off offset:1024
.LBB683_1266:
	s_or_b32 exec_lo, exec_lo, s0
	s_waitcnt lgkmcnt(9)
	v_or_b32_e32 v39, 0x500, v0
	s_mov_b32 s0, exec_lo
	s_delay_alu instid0(VALU_DEP_1)
	v_cmpx_gt_u32_e64 s7, v39
	s_cbranch_execz .LBB683_1268
; %bb.1267:
	v_add_co_u32 v39, vcc_lo, 0x2000, v61
	v_add_co_ci_u32_e32 v40, vcc_lo, 0, v62, vcc_lo
	global_store_b64 v[39:40], v[41:42], off offset:2048
.LBB683_1268:
	s_or_b32 exec_lo, exec_lo, s0
	v_or_b32_e32 v39, 0x580, v0
	s_mov_b32 s0, exec_lo
	s_delay_alu instid0(VALU_DEP_1)
	v_cmpx_gt_u32_e64 s7, v39
	s_cbranch_execz .LBB683_1270
; %bb.1269:
	v_add_co_u32 v39, vcc_lo, 0x2000, v61
	v_add_co_ci_u32_e32 v40, vcc_lo, 0, v62, vcc_lo
	s_waitcnt lgkmcnt(8)
	global_store_b64 v[39:40], v[35:36], off offset:3072
.LBB683_1270:
	;; [unrolled: 48-line block ×6, first 2 shown]
	s_or_b32 exec_lo, exec_lo, s0
	s_waitcnt lgkmcnt(0)
	v_or_b32_e32 v3, 0xe00, v0
	s_delay_alu instid0(VALU_DEP_1)
	v_cmp_gt_u32_e64 s5, s7, v3
	s_branch .LBB683_1305
.LBB683_1303:
	s_mov_b32 s5, 0
                                        ; implicit-def: $vgpr5_vgpr6
                                        ; implicit-def: $vgpr61_vgpr62
	s_cbranch_execz .LBB683_1305
; %bb.1304:
	v_mad_u32_u24 v4, 0xe8, v0, v66
	ds_store_2addr_b64 v65, v[1:2], v[181:182] offset1:1
	ds_store_2addr_b64 v65, v[167:168], v[107:108] offset0:2 offset1:3
	ds_store_2addr_b64 v65, v[169:170], v[103:104] offset0:4 offset1:5
	;; [unrolled: 1-line block ×13, first 2 shown]
	ds_store_b64 v65, v[111:112] offset:224
	s_waitcnt lgkmcnt(0)
	s_waitcnt_vscnt null, 0x0
	s_barrier
	buffer_gl0_inv
	ds_load_2addr_stride64_b64 v[0:3], v4 offset1:2
	s_mov_b32 s3, 0
	ds_load_2addr_stride64_b64 v[7:10], v4 offset0:4 offset1:6
	ds_load_2addr_stride64_b64 v[11:14], v4 offset0:8 offset1:10
	;; [unrolled: 1-line block ×13, first 2 shown]
	ds_load_b64 v[5:6], v4 offset:28672
	s_lshl_b64 s[0:1], s[2:3], 3
	s_delay_alu instid0(SALU_CYCLE_1) | instskip(SKIP_2) | instid1(VALU_DEP_1)
	s_add_u32 s0, s8, s0
	s_addc_u32 s1, s4, s1
	v_add_co_u32 v61, s2, s0, v195
	v_add_co_ci_u32_e64 v62, null, s1, 0, s2
	s_or_b32 s5, s5, exec_lo
	s_waitcnt lgkmcnt(14)
	s_clause 0x1
	global_store_b64 v195, v[0:1], s[0:1]
	global_store_b64 v195, v[2:3], s[0:1] offset:1024
	s_waitcnt lgkmcnt(13)
	s_clause 0x1
	global_store_b64 v195, v[7:8], s[0:1] offset:2048
	global_store_b64 v195, v[9:10], s[0:1] offset:3072
	v_add_co_u32 v0, vcc_lo, 0x1000, v61
	v_add_co_ci_u32_e32 v1, vcc_lo, 0, v62, vcc_lo
	v_add_co_u32 v2, vcc_lo, v61, 0x2000
	v_add_co_ci_u32_e32 v3, vcc_lo, 0, v62, vcc_lo
	v_add_co_u32 v7, vcc_lo, 0x2000, v61
	v_add_co_ci_u32_e32 v8, vcc_lo, 0, v62, vcc_lo
	s_waitcnt lgkmcnt(10)
	s_clause 0x4
	global_store_b64 v[2:3], v[19:20], off
	global_store_b64 v[0:1], v[13:14], off offset:1024
	global_store_b64 v[0:1], v[15:16], off offset:2048
	;; [unrolled: 1-line block ×4, first 2 shown]
	v_add_co_u32 v0, vcc_lo, 0x3000, v61
	v_add_co_ci_u32_e32 v1, vcc_lo, 0, v62, vcc_lo
	v_add_co_u32 v9, vcc_lo, v61, 0x4000
	v_add_co_ci_u32_e32 v10, vcc_lo, 0, v62, vcc_lo
	;; [unrolled: 2-line block ×3, first 2 shown]
	s_waitcnt lgkmcnt(9)
	s_clause 0x1
	global_store_b64 v[7:8], v[23:24], off offset:2048
	global_store_b64 v[7:8], v[25:26], off offset:3072
	s_waitcnt lgkmcnt(8)
	global_store_b64 v[0:1], v[29:30], off offset:1024
	s_waitcnt lgkmcnt(7)
	s_clause 0x1
	global_store_b64 v[0:1], v[31:32], off offset:2048
	global_store_b64 v[0:1], v[33:34], off offset:3072
	s_waitcnt lgkmcnt(6)
	global_store_b64 v[13:14], v[37:38], off offset:1024
	s_waitcnt lgkmcnt(5)
	s_clause 0x1
	global_store_b64 v[13:14], v[39:40], off offset:2048
	global_store_b64 v[13:14], v[41:42], off offset:3072
	v_add_co_u32 v0, vcc_lo, 0x5000, v61
	v_add_co_ci_u32_e32 v1, vcc_lo, 0, v62, vcc_lo
	v_add_co_u32 v7, vcc_lo, v61, 0x6000
	v_add_co_ci_u32_e32 v8, vcc_lo, 0, v62, vcc_lo
	;; [unrolled: 2-line block ×3, first 2 shown]
	s_clause 0x1
	global_store_b64 v[9:10], v[27:28], off offset:-4096
	global_store_b64 v[9:10], v[35:36], off
	s_waitcnt lgkmcnt(4)
	global_store_b64 v[7:8], v[43:44], off offset:-4096
	s_waitcnt lgkmcnt(2)
	s_clause 0x4
	global_store_b64 v[7:8], v[51:52], off
	global_store_b64 v[0:1], v[45:46], off offset:1024
	global_store_b64 v[0:1], v[47:48], off offset:2048
	;; [unrolled: 1-line block ×4, first 2 shown]
	s_waitcnt lgkmcnt(1)
	s_clause 0x2
	global_store_b64 v[13:14], v[55:56], off offset:2048
	global_store_b64 v[2:3], v[11:12], off offset:-4096
	global_store_b64 v[13:14], v[57:58], off offset:3072
.LBB683_1305:
	s_delay_alu instid0(VALU_DEP_1)
	s_and_saveexec_b32 s0, s5
	s_cbranch_execnz .LBB683_1307
; %bb.1306:
	s_nop 0
	s_sendmsg sendmsg(MSG_DEALLOC_VGPRS)
	s_endpgm
.LBB683_1307:
	v_add_co_u32 v0, vcc_lo, 0x7000, v61
	v_add_co_ci_u32_e32 v1, vcc_lo, 0, v62, vcc_lo
	s_waitcnt lgkmcnt(0)
	global_store_b64 v[0:1], v[5:6], off
	s_nop 0
	s_sendmsg sendmsg(MSG_DEALLOC_VGPRS)
	s_endpgm
	.section	.rodata,"a",@progbits
	.p2align	6, 0x0
	.amdhsa_kernel _ZN7rocprim17ROCPRIM_400000_NS6detail17trampoline_kernelINS0_14default_configENS1_35adjacent_difference_config_selectorILb1ElEEZNS1_24adjacent_difference_implIS3_Lb1ELb0EPlS7_ZN2at6native12_GLOBAL__N_124unique_dim_cuda_templateIsEESt5tupleIJNS8_6TensorESD_SD_EERKSD_lbbbEUlllE1_EE10hipError_tPvRmT2_T3_mT4_P12ihipStream_tbEUlT_E_NS1_11comp_targetILNS1_3genE9ELNS1_11target_archE1100ELNS1_3gpuE3ELNS1_3repE0EEENS1_30default_config_static_selectorELNS0_4arch9wavefront6targetE0EEEvT1_
		.amdhsa_group_segment_fixed_size 29696
		.amdhsa_private_segment_fixed_size 0
		.amdhsa_kernarg_size 64
		.amdhsa_user_sgpr_count 15
		.amdhsa_user_sgpr_dispatch_ptr 0
		.amdhsa_user_sgpr_queue_ptr 0
		.amdhsa_user_sgpr_kernarg_segment_ptr 1
		.amdhsa_user_sgpr_dispatch_id 0
		.amdhsa_user_sgpr_private_segment_size 0
		.amdhsa_wavefront_size32 1
		.amdhsa_uses_dynamic_stack 0
		.amdhsa_enable_private_segment 0
		.amdhsa_system_sgpr_workgroup_id_x 1
		.amdhsa_system_sgpr_workgroup_id_y 0
		.amdhsa_system_sgpr_workgroup_id_z 0
		.amdhsa_system_sgpr_workgroup_info 0
		.amdhsa_system_vgpr_workitem_id 0
		.amdhsa_next_free_vgpr 196
		.amdhsa_next_free_sgpr 30
		.amdhsa_reserve_vcc 1
		.amdhsa_float_round_mode_32 0
		.amdhsa_float_round_mode_16_64 0
		.amdhsa_float_denorm_mode_32 3
		.amdhsa_float_denorm_mode_16_64 3
		.amdhsa_dx10_clamp 1
		.amdhsa_ieee_mode 1
		.amdhsa_fp16_overflow 0
		.amdhsa_workgroup_processor_mode 1
		.amdhsa_memory_ordered 1
		.amdhsa_forward_progress 0
		.amdhsa_shared_vgpr_count 0
		.amdhsa_exception_fp_ieee_invalid_op 0
		.amdhsa_exception_fp_denorm_src 0
		.amdhsa_exception_fp_ieee_div_zero 0
		.amdhsa_exception_fp_ieee_overflow 0
		.amdhsa_exception_fp_ieee_underflow 0
		.amdhsa_exception_fp_ieee_inexact 0
		.amdhsa_exception_int_div_zero 0
	.end_amdhsa_kernel
	.section	.text._ZN7rocprim17ROCPRIM_400000_NS6detail17trampoline_kernelINS0_14default_configENS1_35adjacent_difference_config_selectorILb1ElEEZNS1_24adjacent_difference_implIS3_Lb1ELb0EPlS7_ZN2at6native12_GLOBAL__N_124unique_dim_cuda_templateIsEESt5tupleIJNS8_6TensorESD_SD_EERKSD_lbbbEUlllE1_EE10hipError_tPvRmT2_T3_mT4_P12ihipStream_tbEUlT_E_NS1_11comp_targetILNS1_3genE9ELNS1_11target_archE1100ELNS1_3gpuE3ELNS1_3repE0EEENS1_30default_config_static_selectorELNS0_4arch9wavefront6targetE0EEEvT1_,"axG",@progbits,_ZN7rocprim17ROCPRIM_400000_NS6detail17trampoline_kernelINS0_14default_configENS1_35adjacent_difference_config_selectorILb1ElEEZNS1_24adjacent_difference_implIS3_Lb1ELb0EPlS7_ZN2at6native12_GLOBAL__N_124unique_dim_cuda_templateIsEESt5tupleIJNS8_6TensorESD_SD_EERKSD_lbbbEUlllE1_EE10hipError_tPvRmT2_T3_mT4_P12ihipStream_tbEUlT_E_NS1_11comp_targetILNS1_3genE9ELNS1_11target_archE1100ELNS1_3gpuE3ELNS1_3repE0EEENS1_30default_config_static_selectorELNS0_4arch9wavefront6targetE0EEEvT1_,comdat
.Lfunc_end683:
	.size	_ZN7rocprim17ROCPRIM_400000_NS6detail17trampoline_kernelINS0_14default_configENS1_35adjacent_difference_config_selectorILb1ElEEZNS1_24adjacent_difference_implIS3_Lb1ELb0EPlS7_ZN2at6native12_GLOBAL__N_124unique_dim_cuda_templateIsEESt5tupleIJNS8_6TensorESD_SD_EERKSD_lbbbEUlllE1_EE10hipError_tPvRmT2_T3_mT4_P12ihipStream_tbEUlT_E_NS1_11comp_targetILNS1_3genE9ELNS1_11target_archE1100ELNS1_3gpuE3ELNS1_3repE0EEENS1_30default_config_static_selectorELNS0_4arch9wavefront6targetE0EEEvT1_, .Lfunc_end683-_ZN7rocprim17ROCPRIM_400000_NS6detail17trampoline_kernelINS0_14default_configENS1_35adjacent_difference_config_selectorILb1ElEEZNS1_24adjacent_difference_implIS3_Lb1ELb0EPlS7_ZN2at6native12_GLOBAL__N_124unique_dim_cuda_templateIsEESt5tupleIJNS8_6TensorESD_SD_EERKSD_lbbbEUlllE1_EE10hipError_tPvRmT2_T3_mT4_P12ihipStream_tbEUlT_E_NS1_11comp_targetILNS1_3genE9ELNS1_11target_archE1100ELNS1_3gpuE3ELNS1_3repE0EEENS1_30default_config_static_selectorELNS0_4arch9wavefront6targetE0EEEvT1_
                                        ; -- End function
	.section	.AMDGPU.csdata,"",@progbits
; Kernel info:
; codeLenInByte = 52496
; NumSgprs: 32
; NumVgprs: 196
; ScratchSize: 0
; MemoryBound: 0
; FloatMode: 240
; IeeeMode: 1
; LDSByteSize: 29696 bytes/workgroup (compile time only)
; SGPRBlocks: 3
; VGPRBlocks: 24
; NumSGPRsForWavesPerEU: 32
; NumVGPRsForWavesPerEU: 196
; Occupancy: 4
; WaveLimiterHint : 1
; COMPUTE_PGM_RSRC2:SCRATCH_EN: 0
; COMPUTE_PGM_RSRC2:USER_SGPR: 15
; COMPUTE_PGM_RSRC2:TRAP_HANDLER: 0
; COMPUTE_PGM_RSRC2:TGID_X_EN: 1
; COMPUTE_PGM_RSRC2:TGID_Y_EN: 0
; COMPUTE_PGM_RSRC2:TGID_Z_EN: 0
; COMPUTE_PGM_RSRC2:TIDIG_COMP_CNT: 0
	.section	.text._ZN7rocprim17ROCPRIM_400000_NS6detail17trampoline_kernelINS0_14default_configENS1_35adjacent_difference_config_selectorILb1ElEEZNS1_24adjacent_difference_implIS3_Lb1ELb0EPlS7_ZN2at6native12_GLOBAL__N_124unique_dim_cuda_templateIsEESt5tupleIJNS8_6TensorESD_SD_EERKSD_lbbbEUlllE1_EE10hipError_tPvRmT2_T3_mT4_P12ihipStream_tbEUlT_E_NS1_11comp_targetILNS1_3genE8ELNS1_11target_archE1030ELNS1_3gpuE2ELNS1_3repE0EEENS1_30default_config_static_selectorELNS0_4arch9wavefront6targetE0EEEvT1_,"axG",@progbits,_ZN7rocprim17ROCPRIM_400000_NS6detail17trampoline_kernelINS0_14default_configENS1_35adjacent_difference_config_selectorILb1ElEEZNS1_24adjacent_difference_implIS3_Lb1ELb0EPlS7_ZN2at6native12_GLOBAL__N_124unique_dim_cuda_templateIsEESt5tupleIJNS8_6TensorESD_SD_EERKSD_lbbbEUlllE1_EE10hipError_tPvRmT2_T3_mT4_P12ihipStream_tbEUlT_E_NS1_11comp_targetILNS1_3genE8ELNS1_11target_archE1030ELNS1_3gpuE2ELNS1_3repE0EEENS1_30default_config_static_selectorELNS0_4arch9wavefront6targetE0EEEvT1_,comdat
	.globl	_ZN7rocprim17ROCPRIM_400000_NS6detail17trampoline_kernelINS0_14default_configENS1_35adjacent_difference_config_selectorILb1ElEEZNS1_24adjacent_difference_implIS3_Lb1ELb0EPlS7_ZN2at6native12_GLOBAL__N_124unique_dim_cuda_templateIsEESt5tupleIJNS8_6TensorESD_SD_EERKSD_lbbbEUlllE1_EE10hipError_tPvRmT2_T3_mT4_P12ihipStream_tbEUlT_E_NS1_11comp_targetILNS1_3genE8ELNS1_11target_archE1030ELNS1_3gpuE2ELNS1_3repE0EEENS1_30default_config_static_selectorELNS0_4arch9wavefront6targetE0EEEvT1_ ; -- Begin function _ZN7rocprim17ROCPRIM_400000_NS6detail17trampoline_kernelINS0_14default_configENS1_35adjacent_difference_config_selectorILb1ElEEZNS1_24adjacent_difference_implIS3_Lb1ELb0EPlS7_ZN2at6native12_GLOBAL__N_124unique_dim_cuda_templateIsEESt5tupleIJNS8_6TensorESD_SD_EERKSD_lbbbEUlllE1_EE10hipError_tPvRmT2_T3_mT4_P12ihipStream_tbEUlT_E_NS1_11comp_targetILNS1_3genE8ELNS1_11target_archE1030ELNS1_3gpuE2ELNS1_3repE0EEENS1_30default_config_static_selectorELNS0_4arch9wavefront6targetE0EEEvT1_
	.p2align	8
	.type	_ZN7rocprim17ROCPRIM_400000_NS6detail17trampoline_kernelINS0_14default_configENS1_35adjacent_difference_config_selectorILb1ElEEZNS1_24adjacent_difference_implIS3_Lb1ELb0EPlS7_ZN2at6native12_GLOBAL__N_124unique_dim_cuda_templateIsEESt5tupleIJNS8_6TensorESD_SD_EERKSD_lbbbEUlllE1_EE10hipError_tPvRmT2_T3_mT4_P12ihipStream_tbEUlT_E_NS1_11comp_targetILNS1_3genE8ELNS1_11target_archE1030ELNS1_3gpuE2ELNS1_3repE0EEENS1_30default_config_static_selectorELNS0_4arch9wavefront6targetE0EEEvT1_,@function
_ZN7rocprim17ROCPRIM_400000_NS6detail17trampoline_kernelINS0_14default_configENS1_35adjacent_difference_config_selectorILb1ElEEZNS1_24adjacent_difference_implIS3_Lb1ELb0EPlS7_ZN2at6native12_GLOBAL__N_124unique_dim_cuda_templateIsEESt5tupleIJNS8_6TensorESD_SD_EERKSD_lbbbEUlllE1_EE10hipError_tPvRmT2_T3_mT4_P12ihipStream_tbEUlT_E_NS1_11comp_targetILNS1_3genE8ELNS1_11target_archE1030ELNS1_3gpuE2ELNS1_3repE0EEENS1_30default_config_static_selectorELNS0_4arch9wavefront6targetE0EEEvT1_: ; @_ZN7rocprim17ROCPRIM_400000_NS6detail17trampoline_kernelINS0_14default_configENS1_35adjacent_difference_config_selectorILb1ElEEZNS1_24adjacent_difference_implIS3_Lb1ELb0EPlS7_ZN2at6native12_GLOBAL__N_124unique_dim_cuda_templateIsEESt5tupleIJNS8_6TensorESD_SD_EERKSD_lbbbEUlllE1_EE10hipError_tPvRmT2_T3_mT4_P12ihipStream_tbEUlT_E_NS1_11comp_targetILNS1_3genE8ELNS1_11target_archE1030ELNS1_3gpuE2ELNS1_3repE0EEENS1_30default_config_static_selectorELNS0_4arch9wavefront6targetE0EEEvT1_
; %bb.0:
	.section	.rodata,"a",@progbits
	.p2align	6, 0x0
	.amdhsa_kernel _ZN7rocprim17ROCPRIM_400000_NS6detail17trampoline_kernelINS0_14default_configENS1_35adjacent_difference_config_selectorILb1ElEEZNS1_24adjacent_difference_implIS3_Lb1ELb0EPlS7_ZN2at6native12_GLOBAL__N_124unique_dim_cuda_templateIsEESt5tupleIJNS8_6TensorESD_SD_EERKSD_lbbbEUlllE1_EE10hipError_tPvRmT2_T3_mT4_P12ihipStream_tbEUlT_E_NS1_11comp_targetILNS1_3genE8ELNS1_11target_archE1030ELNS1_3gpuE2ELNS1_3repE0EEENS1_30default_config_static_selectorELNS0_4arch9wavefront6targetE0EEEvT1_
		.amdhsa_group_segment_fixed_size 0
		.amdhsa_private_segment_fixed_size 0
		.amdhsa_kernarg_size 64
		.amdhsa_user_sgpr_count 15
		.amdhsa_user_sgpr_dispatch_ptr 0
		.amdhsa_user_sgpr_queue_ptr 0
		.amdhsa_user_sgpr_kernarg_segment_ptr 1
		.amdhsa_user_sgpr_dispatch_id 0
		.amdhsa_user_sgpr_private_segment_size 0
		.amdhsa_wavefront_size32 1
		.amdhsa_uses_dynamic_stack 0
		.amdhsa_enable_private_segment 0
		.amdhsa_system_sgpr_workgroup_id_x 1
		.amdhsa_system_sgpr_workgroup_id_y 0
		.amdhsa_system_sgpr_workgroup_id_z 0
		.amdhsa_system_sgpr_workgroup_info 0
		.amdhsa_system_vgpr_workitem_id 0
		.amdhsa_next_free_vgpr 1
		.amdhsa_next_free_sgpr 1
		.amdhsa_reserve_vcc 0
		.amdhsa_float_round_mode_32 0
		.amdhsa_float_round_mode_16_64 0
		.amdhsa_float_denorm_mode_32 3
		.amdhsa_float_denorm_mode_16_64 3
		.amdhsa_dx10_clamp 1
		.amdhsa_ieee_mode 1
		.amdhsa_fp16_overflow 0
		.amdhsa_workgroup_processor_mode 1
		.amdhsa_memory_ordered 1
		.amdhsa_forward_progress 0
		.amdhsa_shared_vgpr_count 0
		.amdhsa_exception_fp_ieee_invalid_op 0
		.amdhsa_exception_fp_denorm_src 0
		.amdhsa_exception_fp_ieee_div_zero 0
		.amdhsa_exception_fp_ieee_overflow 0
		.amdhsa_exception_fp_ieee_underflow 0
		.amdhsa_exception_fp_ieee_inexact 0
		.amdhsa_exception_int_div_zero 0
	.end_amdhsa_kernel
	.section	.text._ZN7rocprim17ROCPRIM_400000_NS6detail17trampoline_kernelINS0_14default_configENS1_35adjacent_difference_config_selectorILb1ElEEZNS1_24adjacent_difference_implIS3_Lb1ELb0EPlS7_ZN2at6native12_GLOBAL__N_124unique_dim_cuda_templateIsEESt5tupleIJNS8_6TensorESD_SD_EERKSD_lbbbEUlllE1_EE10hipError_tPvRmT2_T3_mT4_P12ihipStream_tbEUlT_E_NS1_11comp_targetILNS1_3genE8ELNS1_11target_archE1030ELNS1_3gpuE2ELNS1_3repE0EEENS1_30default_config_static_selectorELNS0_4arch9wavefront6targetE0EEEvT1_,"axG",@progbits,_ZN7rocprim17ROCPRIM_400000_NS6detail17trampoline_kernelINS0_14default_configENS1_35adjacent_difference_config_selectorILb1ElEEZNS1_24adjacent_difference_implIS3_Lb1ELb0EPlS7_ZN2at6native12_GLOBAL__N_124unique_dim_cuda_templateIsEESt5tupleIJNS8_6TensorESD_SD_EERKSD_lbbbEUlllE1_EE10hipError_tPvRmT2_T3_mT4_P12ihipStream_tbEUlT_E_NS1_11comp_targetILNS1_3genE8ELNS1_11target_archE1030ELNS1_3gpuE2ELNS1_3repE0EEENS1_30default_config_static_selectorELNS0_4arch9wavefront6targetE0EEEvT1_,comdat
.Lfunc_end684:
	.size	_ZN7rocprim17ROCPRIM_400000_NS6detail17trampoline_kernelINS0_14default_configENS1_35adjacent_difference_config_selectorILb1ElEEZNS1_24adjacent_difference_implIS3_Lb1ELb0EPlS7_ZN2at6native12_GLOBAL__N_124unique_dim_cuda_templateIsEESt5tupleIJNS8_6TensorESD_SD_EERKSD_lbbbEUlllE1_EE10hipError_tPvRmT2_T3_mT4_P12ihipStream_tbEUlT_E_NS1_11comp_targetILNS1_3genE8ELNS1_11target_archE1030ELNS1_3gpuE2ELNS1_3repE0EEENS1_30default_config_static_selectorELNS0_4arch9wavefront6targetE0EEEvT1_, .Lfunc_end684-_ZN7rocprim17ROCPRIM_400000_NS6detail17trampoline_kernelINS0_14default_configENS1_35adjacent_difference_config_selectorILb1ElEEZNS1_24adjacent_difference_implIS3_Lb1ELb0EPlS7_ZN2at6native12_GLOBAL__N_124unique_dim_cuda_templateIsEESt5tupleIJNS8_6TensorESD_SD_EERKSD_lbbbEUlllE1_EE10hipError_tPvRmT2_T3_mT4_P12ihipStream_tbEUlT_E_NS1_11comp_targetILNS1_3genE8ELNS1_11target_archE1030ELNS1_3gpuE2ELNS1_3repE0EEENS1_30default_config_static_selectorELNS0_4arch9wavefront6targetE0EEEvT1_
                                        ; -- End function
	.section	.AMDGPU.csdata,"",@progbits
; Kernel info:
; codeLenInByte = 0
; NumSgprs: 0
; NumVgprs: 0
; ScratchSize: 0
; MemoryBound: 0
; FloatMode: 240
; IeeeMode: 1
; LDSByteSize: 0 bytes/workgroup (compile time only)
; SGPRBlocks: 0
; VGPRBlocks: 0
; NumSGPRsForWavesPerEU: 1
; NumVGPRsForWavesPerEU: 1
; Occupancy: 16
; WaveLimiterHint : 0
; COMPUTE_PGM_RSRC2:SCRATCH_EN: 0
; COMPUTE_PGM_RSRC2:USER_SGPR: 15
; COMPUTE_PGM_RSRC2:TRAP_HANDLER: 0
; COMPUTE_PGM_RSRC2:TGID_X_EN: 1
; COMPUTE_PGM_RSRC2:TGID_Y_EN: 0
; COMPUTE_PGM_RSRC2:TGID_Z_EN: 0
; COMPUTE_PGM_RSRC2:TIDIG_COMP_CNT: 0
	.section	.text._ZN7rocprim17ROCPRIM_400000_NS6detail17trampoline_kernelINS0_14default_configENS1_25partition_config_selectorILNS1_17partition_subalgoE8ElNS0_10empty_typeEbEEZZNS1_14partition_implILS5_8ELb0ES3_jPlPS6_PKS6_NS0_5tupleIJS9_S6_EEENSD_IJSA_SA_EEENS0_18inequality_wrapperIZN2at6native12_GLOBAL__N_124unique_dim_cuda_templateIsEESt5tupleIJNSH_6TensorESM_SM_EERKSM_lbbbEUlllE0_EEPmJS6_EEE10hipError_tPvRmT3_T4_T5_T6_T7_T9_mT8_P12ihipStream_tbDpT10_ENKUlT_T0_E_clISt17integral_constantIbLb0EES1C_EEDaS17_S18_EUlS17_E_NS1_11comp_targetILNS1_3genE0ELNS1_11target_archE4294967295ELNS1_3gpuE0ELNS1_3repE0EEENS1_30default_config_static_selectorELNS0_4arch9wavefront6targetE0EEEvT1_,"axG",@progbits,_ZN7rocprim17ROCPRIM_400000_NS6detail17trampoline_kernelINS0_14default_configENS1_25partition_config_selectorILNS1_17partition_subalgoE8ElNS0_10empty_typeEbEEZZNS1_14partition_implILS5_8ELb0ES3_jPlPS6_PKS6_NS0_5tupleIJS9_S6_EEENSD_IJSA_SA_EEENS0_18inequality_wrapperIZN2at6native12_GLOBAL__N_124unique_dim_cuda_templateIsEESt5tupleIJNSH_6TensorESM_SM_EERKSM_lbbbEUlllE0_EEPmJS6_EEE10hipError_tPvRmT3_T4_T5_T6_T7_T9_mT8_P12ihipStream_tbDpT10_ENKUlT_T0_E_clISt17integral_constantIbLb0EES1C_EEDaS17_S18_EUlS17_E_NS1_11comp_targetILNS1_3genE0ELNS1_11target_archE4294967295ELNS1_3gpuE0ELNS1_3repE0EEENS1_30default_config_static_selectorELNS0_4arch9wavefront6targetE0EEEvT1_,comdat
	.globl	_ZN7rocprim17ROCPRIM_400000_NS6detail17trampoline_kernelINS0_14default_configENS1_25partition_config_selectorILNS1_17partition_subalgoE8ElNS0_10empty_typeEbEEZZNS1_14partition_implILS5_8ELb0ES3_jPlPS6_PKS6_NS0_5tupleIJS9_S6_EEENSD_IJSA_SA_EEENS0_18inequality_wrapperIZN2at6native12_GLOBAL__N_124unique_dim_cuda_templateIsEESt5tupleIJNSH_6TensorESM_SM_EERKSM_lbbbEUlllE0_EEPmJS6_EEE10hipError_tPvRmT3_T4_T5_T6_T7_T9_mT8_P12ihipStream_tbDpT10_ENKUlT_T0_E_clISt17integral_constantIbLb0EES1C_EEDaS17_S18_EUlS17_E_NS1_11comp_targetILNS1_3genE0ELNS1_11target_archE4294967295ELNS1_3gpuE0ELNS1_3repE0EEENS1_30default_config_static_selectorELNS0_4arch9wavefront6targetE0EEEvT1_ ; -- Begin function _ZN7rocprim17ROCPRIM_400000_NS6detail17trampoline_kernelINS0_14default_configENS1_25partition_config_selectorILNS1_17partition_subalgoE8ElNS0_10empty_typeEbEEZZNS1_14partition_implILS5_8ELb0ES3_jPlPS6_PKS6_NS0_5tupleIJS9_S6_EEENSD_IJSA_SA_EEENS0_18inequality_wrapperIZN2at6native12_GLOBAL__N_124unique_dim_cuda_templateIsEESt5tupleIJNSH_6TensorESM_SM_EERKSM_lbbbEUlllE0_EEPmJS6_EEE10hipError_tPvRmT3_T4_T5_T6_T7_T9_mT8_P12ihipStream_tbDpT10_ENKUlT_T0_E_clISt17integral_constantIbLb0EES1C_EEDaS17_S18_EUlS17_E_NS1_11comp_targetILNS1_3genE0ELNS1_11target_archE4294967295ELNS1_3gpuE0ELNS1_3repE0EEENS1_30default_config_static_selectorELNS0_4arch9wavefront6targetE0EEEvT1_
	.p2align	8
	.type	_ZN7rocprim17ROCPRIM_400000_NS6detail17trampoline_kernelINS0_14default_configENS1_25partition_config_selectorILNS1_17partition_subalgoE8ElNS0_10empty_typeEbEEZZNS1_14partition_implILS5_8ELb0ES3_jPlPS6_PKS6_NS0_5tupleIJS9_S6_EEENSD_IJSA_SA_EEENS0_18inequality_wrapperIZN2at6native12_GLOBAL__N_124unique_dim_cuda_templateIsEESt5tupleIJNSH_6TensorESM_SM_EERKSM_lbbbEUlllE0_EEPmJS6_EEE10hipError_tPvRmT3_T4_T5_T6_T7_T9_mT8_P12ihipStream_tbDpT10_ENKUlT_T0_E_clISt17integral_constantIbLb0EES1C_EEDaS17_S18_EUlS17_E_NS1_11comp_targetILNS1_3genE0ELNS1_11target_archE4294967295ELNS1_3gpuE0ELNS1_3repE0EEENS1_30default_config_static_selectorELNS0_4arch9wavefront6targetE0EEEvT1_,@function
_ZN7rocprim17ROCPRIM_400000_NS6detail17trampoline_kernelINS0_14default_configENS1_25partition_config_selectorILNS1_17partition_subalgoE8ElNS0_10empty_typeEbEEZZNS1_14partition_implILS5_8ELb0ES3_jPlPS6_PKS6_NS0_5tupleIJS9_S6_EEENSD_IJSA_SA_EEENS0_18inequality_wrapperIZN2at6native12_GLOBAL__N_124unique_dim_cuda_templateIsEESt5tupleIJNSH_6TensorESM_SM_EERKSM_lbbbEUlllE0_EEPmJS6_EEE10hipError_tPvRmT3_T4_T5_T6_T7_T9_mT8_P12ihipStream_tbDpT10_ENKUlT_T0_E_clISt17integral_constantIbLb0EES1C_EEDaS17_S18_EUlS17_E_NS1_11comp_targetILNS1_3genE0ELNS1_11target_archE4294967295ELNS1_3gpuE0ELNS1_3repE0EEENS1_30default_config_static_selectorELNS0_4arch9wavefront6targetE0EEEvT1_: ; @_ZN7rocprim17ROCPRIM_400000_NS6detail17trampoline_kernelINS0_14default_configENS1_25partition_config_selectorILNS1_17partition_subalgoE8ElNS0_10empty_typeEbEEZZNS1_14partition_implILS5_8ELb0ES3_jPlPS6_PKS6_NS0_5tupleIJS9_S6_EEENSD_IJSA_SA_EEENS0_18inequality_wrapperIZN2at6native12_GLOBAL__N_124unique_dim_cuda_templateIsEESt5tupleIJNSH_6TensorESM_SM_EERKSM_lbbbEUlllE0_EEPmJS6_EEE10hipError_tPvRmT3_T4_T5_T6_T7_T9_mT8_P12ihipStream_tbDpT10_ENKUlT_T0_E_clISt17integral_constantIbLb0EES1C_EEDaS17_S18_EUlS17_E_NS1_11comp_targetILNS1_3genE0ELNS1_11target_archE4294967295ELNS1_3gpuE0ELNS1_3repE0EEENS1_30default_config_static_selectorELNS0_4arch9wavefront6targetE0EEEvT1_
; %bb.0:
	.section	.rodata,"a",@progbits
	.p2align	6, 0x0
	.amdhsa_kernel _ZN7rocprim17ROCPRIM_400000_NS6detail17trampoline_kernelINS0_14default_configENS1_25partition_config_selectorILNS1_17partition_subalgoE8ElNS0_10empty_typeEbEEZZNS1_14partition_implILS5_8ELb0ES3_jPlPS6_PKS6_NS0_5tupleIJS9_S6_EEENSD_IJSA_SA_EEENS0_18inequality_wrapperIZN2at6native12_GLOBAL__N_124unique_dim_cuda_templateIsEESt5tupleIJNSH_6TensorESM_SM_EERKSM_lbbbEUlllE0_EEPmJS6_EEE10hipError_tPvRmT3_T4_T5_T6_T7_T9_mT8_P12ihipStream_tbDpT10_ENKUlT_T0_E_clISt17integral_constantIbLb0EES1C_EEDaS17_S18_EUlS17_E_NS1_11comp_targetILNS1_3genE0ELNS1_11target_archE4294967295ELNS1_3gpuE0ELNS1_3repE0EEENS1_30default_config_static_selectorELNS0_4arch9wavefront6targetE0EEEvT1_
		.amdhsa_group_segment_fixed_size 0
		.amdhsa_private_segment_fixed_size 0
		.amdhsa_kernarg_size 120
		.amdhsa_user_sgpr_count 15
		.amdhsa_user_sgpr_dispatch_ptr 0
		.amdhsa_user_sgpr_queue_ptr 0
		.amdhsa_user_sgpr_kernarg_segment_ptr 1
		.amdhsa_user_sgpr_dispatch_id 0
		.amdhsa_user_sgpr_private_segment_size 0
		.amdhsa_wavefront_size32 1
		.amdhsa_uses_dynamic_stack 0
		.amdhsa_enable_private_segment 0
		.amdhsa_system_sgpr_workgroup_id_x 1
		.amdhsa_system_sgpr_workgroup_id_y 0
		.amdhsa_system_sgpr_workgroup_id_z 0
		.amdhsa_system_sgpr_workgroup_info 0
		.amdhsa_system_vgpr_workitem_id 0
		.amdhsa_next_free_vgpr 1
		.amdhsa_next_free_sgpr 1
		.amdhsa_reserve_vcc 0
		.amdhsa_float_round_mode_32 0
		.amdhsa_float_round_mode_16_64 0
		.amdhsa_float_denorm_mode_32 3
		.amdhsa_float_denorm_mode_16_64 3
		.amdhsa_dx10_clamp 1
		.amdhsa_ieee_mode 1
		.amdhsa_fp16_overflow 0
		.amdhsa_workgroup_processor_mode 1
		.amdhsa_memory_ordered 1
		.amdhsa_forward_progress 0
		.amdhsa_shared_vgpr_count 0
		.amdhsa_exception_fp_ieee_invalid_op 0
		.amdhsa_exception_fp_denorm_src 0
		.amdhsa_exception_fp_ieee_div_zero 0
		.amdhsa_exception_fp_ieee_overflow 0
		.amdhsa_exception_fp_ieee_underflow 0
		.amdhsa_exception_fp_ieee_inexact 0
		.amdhsa_exception_int_div_zero 0
	.end_amdhsa_kernel
	.section	.text._ZN7rocprim17ROCPRIM_400000_NS6detail17trampoline_kernelINS0_14default_configENS1_25partition_config_selectorILNS1_17partition_subalgoE8ElNS0_10empty_typeEbEEZZNS1_14partition_implILS5_8ELb0ES3_jPlPS6_PKS6_NS0_5tupleIJS9_S6_EEENSD_IJSA_SA_EEENS0_18inequality_wrapperIZN2at6native12_GLOBAL__N_124unique_dim_cuda_templateIsEESt5tupleIJNSH_6TensorESM_SM_EERKSM_lbbbEUlllE0_EEPmJS6_EEE10hipError_tPvRmT3_T4_T5_T6_T7_T9_mT8_P12ihipStream_tbDpT10_ENKUlT_T0_E_clISt17integral_constantIbLb0EES1C_EEDaS17_S18_EUlS17_E_NS1_11comp_targetILNS1_3genE0ELNS1_11target_archE4294967295ELNS1_3gpuE0ELNS1_3repE0EEENS1_30default_config_static_selectorELNS0_4arch9wavefront6targetE0EEEvT1_,"axG",@progbits,_ZN7rocprim17ROCPRIM_400000_NS6detail17trampoline_kernelINS0_14default_configENS1_25partition_config_selectorILNS1_17partition_subalgoE8ElNS0_10empty_typeEbEEZZNS1_14partition_implILS5_8ELb0ES3_jPlPS6_PKS6_NS0_5tupleIJS9_S6_EEENSD_IJSA_SA_EEENS0_18inequality_wrapperIZN2at6native12_GLOBAL__N_124unique_dim_cuda_templateIsEESt5tupleIJNSH_6TensorESM_SM_EERKSM_lbbbEUlllE0_EEPmJS6_EEE10hipError_tPvRmT3_T4_T5_T6_T7_T9_mT8_P12ihipStream_tbDpT10_ENKUlT_T0_E_clISt17integral_constantIbLb0EES1C_EEDaS17_S18_EUlS17_E_NS1_11comp_targetILNS1_3genE0ELNS1_11target_archE4294967295ELNS1_3gpuE0ELNS1_3repE0EEENS1_30default_config_static_selectorELNS0_4arch9wavefront6targetE0EEEvT1_,comdat
.Lfunc_end685:
	.size	_ZN7rocprim17ROCPRIM_400000_NS6detail17trampoline_kernelINS0_14default_configENS1_25partition_config_selectorILNS1_17partition_subalgoE8ElNS0_10empty_typeEbEEZZNS1_14partition_implILS5_8ELb0ES3_jPlPS6_PKS6_NS0_5tupleIJS9_S6_EEENSD_IJSA_SA_EEENS0_18inequality_wrapperIZN2at6native12_GLOBAL__N_124unique_dim_cuda_templateIsEESt5tupleIJNSH_6TensorESM_SM_EERKSM_lbbbEUlllE0_EEPmJS6_EEE10hipError_tPvRmT3_T4_T5_T6_T7_T9_mT8_P12ihipStream_tbDpT10_ENKUlT_T0_E_clISt17integral_constantIbLb0EES1C_EEDaS17_S18_EUlS17_E_NS1_11comp_targetILNS1_3genE0ELNS1_11target_archE4294967295ELNS1_3gpuE0ELNS1_3repE0EEENS1_30default_config_static_selectorELNS0_4arch9wavefront6targetE0EEEvT1_, .Lfunc_end685-_ZN7rocprim17ROCPRIM_400000_NS6detail17trampoline_kernelINS0_14default_configENS1_25partition_config_selectorILNS1_17partition_subalgoE8ElNS0_10empty_typeEbEEZZNS1_14partition_implILS5_8ELb0ES3_jPlPS6_PKS6_NS0_5tupleIJS9_S6_EEENSD_IJSA_SA_EEENS0_18inequality_wrapperIZN2at6native12_GLOBAL__N_124unique_dim_cuda_templateIsEESt5tupleIJNSH_6TensorESM_SM_EERKSM_lbbbEUlllE0_EEPmJS6_EEE10hipError_tPvRmT3_T4_T5_T6_T7_T9_mT8_P12ihipStream_tbDpT10_ENKUlT_T0_E_clISt17integral_constantIbLb0EES1C_EEDaS17_S18_EUlS17_E_NS1_11comp_targetILNS1_3genE0ELNS1_11target_archE4294967295ELNS1_3gpuE0ELNS1_3repE0EEENS1_30default_config_static_selectorELNS0_4arch9wavefront6targetE0EEEvT1_
                                        ; -- End function
	.section	.AMDGPU.csdata,"",@progbits
; Kernel info:
; codeLenInByte = 0
; NumSgprs: 0
; NumVgprs: 0
; ScratchSize: 0
; MemoryBound: 0
; FloatMode: 240
; IeeeMode: 1
; LDSByteSize: 0 bytes/workgroup (compile time only)
; SGPRBlocks: 0
; VGPRBlocks: 0
; NumSGPRsForWavesPerEU: 1
; NumVGPRsForWavesPerEU: 1
; Occupancy: 16
; WaveLimiterHint : 0
; COMPUTE_PGM_RSRC2:SCRATCH_EN: 0
; COMPUTE_PGM_RSRC2:USER_SGPR: 15
; COMPUTE_PGM_RSRC2:TRAP_HANDLER: 0
; COMPUTE_PGM_RSRC2:TGID_X_EN: 1
; COMPUTE_PGM_RSRC2:TGID_Y_EN: 0
; COMPUTE_PGM_RSRC2:TGID_Z_EN: 0
; COMPUTE_PGM_RSRC2:TIDIG_COMP_CNT: 0
	.section	.text._ZN7rocprim17ROCPRIM_400000_NS6detail17trampoline_kernelINS0_14default_configENS1_25partition_config_selectorILNS1_17partition_subalgoE8ElNS0_10empty_typeEbEEZZNS1_14partition_implILS5_8ELb0ES3_jPlPS6_PKS6_NS0_5tupleIJS9_S6_EEENSD_IJSA_SA_EEENS0_18inequality_wrapperIZN2at6native12_GLOBAL__N_124unique_dim_cuda_templateIsEESt5tupleIJNSH_6TensorESM_SM_EERKSM_lbbbEUlllE0_EEPmJS6_EEE10hipError_tPvRmT3_T4_T5_T6_T7_T9_mT8_P12ihipStream_tbDpT10_ENKUlT_T0_E_clISt17integral_constantIbLb0EES1C_EEDaS17_S18_EUlS17_E_NS1_11comp_targetILNS1_3genE5ELNS1_11target_archE942ELNS1_3gpuE9ELNS1_3repE0EEENS1_30default_config_static_selectorELNS0_4arch9wavefront6targetE0EEEvT1_,"axG",@progbits,_ZN7rocprim17ROCPRIM_400000_NS6detail17trampoline_kernelINS0_14default_configENS1_25partition_config_selectorILNS1_17partition_subalgoE8ElNS0_10empty_typeEbEEZZNS1_14partition_implILS5_8ELb0ES3_jPlPS6_PKS6_NS0_5tupleIJS9_S6_EEENSD_IJSA_SA_EEENS0_18inequality_wrapperIZN2at6native12_GLOBAL__N_124unique_dim_cuda_templateIsEESt5tupleIJNSH_6TensorESM_SM_EERKSM_lbbbEUlllE0_EEPmJS6_EEE10hipError_tPvRmT3_T4_T5_T6_T7_T9_mT8_P12ihipStream_tbDpT10_ENKUlT_T0_E_clISt17integral_constantIbLb0EES1C_EEDaS17_S18_EUlS17_E_NS1_11comp_targetILNS1_3genE5ELNS1_11target_archE942ELNS1_3gpuE9ELNS1_3repE0EEENS1_30default_config_static_selectorELNS0_4arch9wavefront6targetE0EEEvT1_,comdat
	.globl	_ZN7rocprim17ROCPRIM_400000_NS6detail17trampoline_kernelINS0_14default_configENS1_25partition_config_selectorILNS1_17partition_subalgoE8ElNS0_10empty_typeEbEEZZNS1_14partition_implILS5_8ELb0ES3_jPlPS6_PKS6_NS0_5tupleIJS9_S6_EEENSD_IJSA_SA_EEENS0_18inequality_wrapperIZN2at6native12_GLOBAL__N_124unique_dim_cuda_templateIsEESt5tupleIJNSH_6TensorESM_SM_EERKSM_lbbbEUlllE0_EEPmJS6_EEE10hipError_tPvRmT3_T4_T5_T6_T7_T9_mT8_P12ihipStream_tbDpT10_ENKUlT_T0_E_clISt17integral_constantIbLb0EES1C_EEDaS17_S18_EUlS17_E_NS1_11comp_targetILNS1_3genE5ELNS1_11target_archE942ELNS1_3gpuE9ELNS1_3repE0EEENS1_30default_config_static_selectorELNS0_4arch9wavefront6targetE0EEEvT1_ ; -- Begin function _ZN7rocprim17ROCPRIM_400000_NS6detail17trampoline_kernelINS0_14default_configENS1_25partition_config_selectorILNS1_17partition_subalgoE8ElNS0_10empty_typeEbEEZZNS1_14partition_implILS5_8ELb0ES3_jPlPS6_PKS6_NS0_5tupleIJS9_S6_EEENSD_IJSA_SA_EEENS0_18inequality_wrapperIZN2at6native12_GLOBAL__N_124unique_dim_cuda_templateIsEESt5tupleIJNSH_6TensorESM_SM_EERKSM_lbbbEUlllE0_EEPmJS6_EEE10hipError_tPvRmT3_T4_T5_T6_T7_T9_mT8_P12ihipStream_tbDpT10_ENKUlT_T0_E_clISt17integral_constantIbLb0EES1C_EEDaS17_S18_EUlS17_E_NS1_11comp_targetILNS1_3genE5ELNS1_11target_archE942ELNS1_3gpuE9ELNS1_3repE0EEENS1_30default_config_static_selectorELNS0_4arch9wavefront6targetE0EEEvT1_
	.p2align	8
	.type	_ZN7rocprim17ROCPRIM_400000_NS6detail17trampoline_kernelINS0_14default_configENS1_25partition_config_selectorILNS1_17partition_subalgoE8ElNS0_10empty_typeEbEEZZNS1_14partition_implILS5_8ELb0ES3_jPlPS6_PKS6_NS0_5tupleIJS9_S6_EEENSD_IJSA_SA_EEENS0_18inequality_wrapperIZN2at6native12_GLOBAL__N_124unique_dim_cuda_templateIsEESt5tupleIJNSH_6TensorESM_SM_EERKSM_lbbbEUlllE0_EEPmJS6_EEE10hipError_tPvRmT3_T4_T5_T6_T7_T9_mT8_P12ihipStream_tbDpT10_ENKUlT_T0_E_clISt17integral_constantIbLb0EES1C_EEDaS17_S18_EUlS17_E_NS1_11comp_targetILNS1_3genE5ELNS1_11target_archE942ELNS1_3gpuE9ELNS1_3repE0EEENS1_30default_config_static_selectorELNS0_4arch9wavefront6targetE0EEEvT1_,@function
_ZN7rocprim17ROCPRIM_400000_NS6detail17trampoline_kernelINS0_14default_configENS1_25partition_config_selectorILNS1_17partition_subalgoE8ElNS0_10empty_typeEbEEZZNS1_14partition_implILS5_8ELb0ES3_jPlPS6_PKS6_NS0_5tupleIJS9_S6_EEENSD_IJSA_SA_EEENS0_18inequality_wrapperIZN2at6native12_GLOBAL__N_124unique_dim_cuda_templateIsEESt5tupleIJNSH_6TensorESM_SM_EERKSM_lbbbEUlllE0_EEPmJS6_EEE10hipError_tPvRmT3_T4_T5_T6_T7_T9_mT8_P12ihipStream_tbDpT10_ENKUlT_T0_E_clISt17integral_constantIbLb0EES1C_EEDaS17_S18_EUlS17_E_NS1_11comp_targetILNS1_3genE5ELNS1_11target_archE942ELNS1_3gpuE9ELNS1_3repE0EEENS1_30default_config_static_selectorELNS0_4arch9wavefront6targetE0EEEvT1_: ; @_ZN7rocprim17ROCPRIM_400000_NS6detail17trampoline_kernelINS0_14default_configENS1_25partition_config_selectorILNS1_17partition_subalgoE8ElNS0_10empty_typeEbEEZZNS1_14partition_implILS5_8ELb0ES3_jPlPS6_PKS6_NS0_5tupleIJS9_S6_EEENSD_IJSA_SA_EEENS0_18inequality_wrapperIZN2at6native12_GLOBAL__N_124unique_dim_cuda_templateIsEESt5tupleIJNSH_6TensorESM_SM_EERKSM_lbbbEUlllE0_EEPmJS6_EEE10hipError_tPvRmT3_T4_T5_T6_T7_T9_mT8_P12ihipStream_tbDpT10_ENKUlT_T0_E_clISt17integral_constantIbLb0EES1C_EEDaS17_S18_EUlS17_E_NS1_11comp_targetILNS1_3genE5ELNS1_11target_archE942ELNS1_3gpuE9ELNS1_3repE0EEENS1_30default_config_static_selectorELNS0_4arch9wavefront6targetE0EEEvT1_
; %bb.0:
	.section	.rodata,"a",@progbits
	.p2align	6, 0x0
	.amdhsa_kernel _ZN7rocprim17ROCPRIM_400000_NS6detail17trampoline_kernelINS0_14default_configENS1_25partition_config_selectorILNS1_17partition_subalgoE8ElNS0_10empty_typeEbEEZZNS1_14partition_implILS5_8ELb0ES3_jPlPS6_PKS6_NS0_5tupleIJS9_S6_EEENSD_IJSA_SA_EEENS0_18inequality_wrapperIZN2at6native12_GLOBAL__N_124unique_dim_cuda_templateIsEESt5tupleIJNSH_6TensorESM_SM_EERKSM_lbbbEUlllE0_EEPmJS6_EEE10hipError_tPvRmT3_T4_T5_T6_T7_T9_mT8_P12ihipStream_tbDpT10_ENKUlT_T0_E_clISt17integral_constantIbLb0EES1C_EEDaS17_S18_EUlS17_E_NS1_11comp_targetILNS1_3genE5ELNS1_11target_archE942ELNS1_3gpuE9ELNS1_3repE0EEENS1_30default_config_static_selectorELNS0_4arch9wavefront6targetE0EEEvT1_
		.amdhsa_group_segment_fixed_size 0
		.amdhsa_private_segment_fixed_size 0
		.amdhsa_kernarg_size 120
		.amdhsa_user_sgpr_count 15
		.amdhsa_user_sgpr_dispatch_ptr 0
		.amdhsa_user_sgpr_queue_ptr 0
		.amdhsa_user_sgpr_kernarg_segment_ptr 1
		.amdhsa_user_sgpr_dispatch_id 0
		.amdhsa_user_sgpr_private_segment_size 0
		.amdhsa_wavefront_size32 1
		.amdhsa_uses_dynamic_stack 0
		.amdhsa_enable_private_segment 0
		.amdhsa_system_sgpr_workgroup_id_x 1
		.amdhsa_system_sgpr_workgroup_id_y 0
		.amdhsa_system_sgpr_workgroup_id_z 0
		.amdhsa_system_sgpr_workgroup_info 0
		.amdhsa_system_vgpr_workitem_id 0
		.amdhsa_next_free_vgpr 1
		.amdhsa_next_free_sgpr 1
		.amdhsa_reserve_vcc 0
		.amdhsa_float_round_mode_32 0
		.amdhsa_float_round_mode_16_64 0
		.amdhsa_float_denorm_mode_32 3
		.amdhsa_float_denorm_mode_16_64 3
		.amdhsa_dx10_clamp 1
		.amdhsa_ieee_mode 1
		.amdhsa_fp16_overflow 0
		.amdhsa_workgroup_processor_mode 1
		.amdhsa_memory_ordered 1
		.amdhsa_forward_progress 0
		.amdhsa_shared_vgpr_count 0
		.amdhsa_exception_fp_ieee_invalid_op 0
		.amdhsa_exception_fp_denorm_src 0
		.amdhsa_exception_fp_ieee_div_zero 0
		.amdhsa_exception_fp_ieee_overflow 0
		.amdhsa_exception_fp_ieee_underflow 0
		.amdhsa_exception_fp_ieee_inexact 0
		.amdhsa_exception_int_div_zero 0
	.end_amdhsa_kernel
	.section	.text._ZN7rocprim17ROCPRIM_400000_NS6detail17trampoline_kernelINS0_14default_configENS1_25partition_config_selectorILNS1_17partition_subalgoE8ElNS0_10empty_typeEbEEZZNS1_14partition_implILS5_8ELb0ES3_jPlPS6_PKS6_NS0_5tupleIJS9_S6_EEENSD_IJSA_SA_EEENS0_18inequality_wrapperIZN2at6native12_GLOBAL__N_124unique_dim_cuda_templateIsEESt5tupleIJNSH_6TensorESM_SM_EERKSM_lbbbEUlllE0_EEPmJS6_EEE10hipError_tPvRmT3_T4_T5_T6_T7_T9_mT8_P12ihipStream_tbDpT10_ENKUlT_T0_E_clISt17integral_constantIbLb0EES1C_EEDaS17_S18_EUlS17_E_NS1_11comp_targetILNS1_3genE5ELNS1_11target_archE942ELNS1_3gpuE9ELNS1_3repE0EEENS1_30default_config_static_selectorELNS0_4arch9wavefront6targetE0EEEvT1_,"axG",@progbits,_ZN7rocprim17ROCPRIM_400000_NS6detail17trampoline_kernelINS0_14default_configENS1_25partition_config_selectorILNS1_17partition_subalgoE8ElNS0_10empty_typeEbEEZZNS1_14partition_implILS5_8ELb0ES3_jPlPS6_PKS6_NS0_5tupleIJS9_S6_EEENSD_IJSA_SA_EEENS0_18inequality_wrapperIZN2at6native12_GLOBAL__N_124unique_dim_cuda_templateIsEESt5tupleIJNSH_6TensorESM_SM_EERKSM_lbbbEUlllE0_EEPmJS6_EEE10hipError_tPvRmT3_T4_T5_T6_T7_T9_mT8_P12ihipStream_tbDpT10_ENKUlT_T0_E_clISt17integral_constantIbLb0EES1C_EEDaS17_S18_EUlS17_E_NS1_11comp_targetILNS1_3genE5ELNS1_11target_archE942ELNS1_3gpuE9ELNS1_3repE0EEENS1_30default_config_static_selectorELNS0_4arch9wavefront6targetE0EEEvT1_,comdat
.Lfunc_end686:
	.size	_ZN7rocprim17ROCPRIM_400000_NS6detail17trampoline_kernelINS0_14default_configENS1_25partition_config_selectorILNS1_17partition_subalgoE8ElNS0_10empty_typeEbEEZZNS1_14partition_implILS5_8ELb0ES3_jPlPS6_PKS6_NS0_5tupleIJS9_S6_EEENSD_IJSA_SA_EEENS0_18inequality_wrapperIZN2at6native12_GLOBAL__N_124unique_dim_cuda_templateIsEESt5tupleIJNSH_6TensorESM_SM_EERKSM_lbbbEUlllE0_EEPmJS6_EEE10hipError_tPvRmT3_T4_T5_T6_T7_T9_mT8_P12ihipStream_tbDpT10_ENKUlT_T0_E_clISt17integral_constantIbLb0EES1C_EEDaS17_S18_EUlS17_E_NS1_11comp_targetILNS1_3genE5ELNS1_11target_archE942ELNS1_3gpuE9ELNS1_3repE0EEENS1_30default_config_static_selectorELNS0_4arch9wavefront6targetE0EEEvT1_, .Lfunc_end686-_ZN7rocprim17ROCPRIM_400000_NS6detail17trampoline_kernelINS0_14default_configENS1_25partition_config_selectorILNS1_17partition_subalgoE8ElNS0_10empty_typeEbEEZZNS1_14partition_implILS5_8ELb0ES3_jPlPS6_PKS6_NS0_5tupleIJS9_S6_EEENSD_IJSA_SA_EEENS0_18inequality_wrapperIZN2at6native12_GLOBAL__N_124unique_dim_cuda_templateIsEESt5tupleIJNSH_6TensorESM_SM_EERKSM_lbbbEUlllE0_EEPmJS6_EEE10hipError_tPvRmT3_T4_T5_T6_T7_T9_mT8_P12ihipStream_tbDpT10_ENKUlT_T0_E_clISt17integral_constantIbLb0EES1C_EEDaS17_S18_EUlS17_E_NS1_11comp_targetILNS1_3genE5ELNS1_11target_archE942ELNS1_3gpuE9ELNS1_3repE0EEENS1_30default_config_static_selectorELNS0_4arch9wavefront6targetE0EEEvT1_
                                        ; -- End function
	.section	.AMDGPU.csdata,"",@progbits
; Kernel info:
; codeLenInByte = 0
; NumSgprs: 0
; NumVgprs: 0
; ScratchSize: 0
; MemoryBound: 0
; FloatMode: 240
; IeeeMode: 1
; LDSByteSize: 0 bytes/workgroup (compile time only)
; SGPRBlocks: 0
; VGPRBlocks: 0
; NumSGPRsForWavesPerEU: 1
; NumVGPRsForWavesPerEU: 1
; Occupancy: 16
; WaveLimiterHint : 0
; COMPUTE_PGM_RSRC2:SCRATCH_EN: 0
; COMPUTE_PGM_RSRC2:USER_SGPR: 15
; COMPUTE_PGM_RSRC2:TRAP_HANDLER: 0
; COMPUTE_PGM_RSRC2:TGID_X_EN: 1
; COMPUTE_PGM_RSRC2:TGID_Y_EN: 0
; COMPUTE_PGM_RSRC2:TGID_Z_EN: 0
; COMPUTE_PGM_RSRC2:TIDIG_COMP_CNT: 0
	.section	.text._ZN7rocprim17ROCPRIM_400000_NS6detail17trampoline_kernelINS0_14default_configENS1_25partition_config_selectorILNS1_17partition_subalgoE8ElNS0_10empty_typeEbEEZZNS1_14partition_implILS5_8ELb0ES3_jPlPS6_PKS6_NS0_5tupleIJS9_S6_EEENSD_IJSA_SA_EEENS0_18inequality_wrapperIZN2at6native12_GLOBAL__N_124unique_dim_cuda_templateIsEESt5tupleIJNSH_6TensorESM_SM_EERKSM_lbbbEUlllE0_EEPmJS6_EEE10hipError_tPvRmT3_T4_T5_T6_T7_T9_mT8_P12ihipStream_tbDpT10_ENKUlT_T0_E_clISt17integral_constantIbLb0EES1C_EEDaS17_S18_EUlS17_E_NS1_11comp_targetILNS1_3genE4ELNS1_11target_archE910ELNS1_3gpuE8ELNS1_3repE0EEENS1_30default_config_static_selectorELNS0_4arch9wavefront6targetE0EEEvT1_,"axG",@progbits,_ZN7rocprim17ROCPRIM_400000_NS6detail17trampoline_kernelINS0_14default_configENS1_25partition_config_selectorILNS1_17partition_subalgoE8ElNS0_10empty_typeEbEEZZNS1_14partition_implILS5_8ELb0ES3_jPlPS6_PKS6_NS0_5tupleIJS9_S6_EEENSD_IJSA_SA_EEENS0_18inequality_wrapperIZN2at6native12_GLOBAL__N_124unique_dim_cuda_templateIsEESt5tupleIJNSH_6TensorESM_SM_EERKSM_lbbbEUlllE0_EEPmJS6_EEE10hipError_tPvRmT3_T4_T5_T6_T7_T9_mT8_P12ihipStream_tbDpT10_ENKUlT_T0_E_clISt17integral_constantIbLb0EES1C_EEDaS17_S18_EUlS17_E_NS1_11comp_targetILNS1_3genE4ELNS1_11target_archE910ELNS1_3gpuE8ELNS1_3repE0EEENS1_30default_config_static_selectorELNS0_4arch9wavefront6targetE0EEEvT1_,comdat
	.globl	_ZN7rocprim17ROCPRIM_400000_NS6detail17trampoline_kernelINS0_14default_configENS1_25partition_config_selectorILNS1_17partition_subalgoE8ElNS0_10empty_typeEbEEZZNS1_14partition_implILS5_8ELb0ES3_jPlPS6_PKS6_NS0_5tupleIJS9_S6_EEENSD_IJSA_SA_EEENS0_18inequality_wrapperIZN2at6native12_GLOBAL__N_124unique_dim_cuda_templateIsEESt5tupleIJNSH_6TensorESM_SM_EERKSM_lbbbEUlllE0_EEPmJS6_EEE10hipError_tPvRmT3_T4_T5_T6_T7_T9_mT8_P12ihipStream_tbDpT10_ENKUlT_T0_E_clISt17integral_constantIbLb0EES1C_EEDaS17_S18_EUlS17_E_NS1_11comp_targetILNS1_3genE4ELNS1_11target_archE910ELNS1_3gpuE8ELNS1_3repE0EEENS1_30default_config_static_selectorELNS0_4arch9wavefront6targetE0EEEvT1_ ; -- Begin function _ZN7rocprim17ROCPRIM_400000_NS6detail17trampoline_kernelINS0_14default_configENS1_25partition_config_selectorILNS1_17partition_subalgoE8ElNS0_10empty_typeEbEEZZNS1_14partition_implILS5_8ELb0ES3_jPlPS6_PKS6_NS0_5tupleIJS9_S6_EEENSD_IJSA_SA_EEENS0_18inequality_wrapperIZN2at6native12_GLOBAL__N_124unique_dim_cuda_templateIsEESt5tupleIJNSH_6TensorESM_SM_EERKSM_lbbbEUlllE0_EEPmJS6_EEE10hipError_tPvRmT3_T4_T5_T6_T7_T9_mT8_P12ihipStream_tbDpT10_ENKUlT_T0_E_clISt17integral_constantIbLb0EES1C_EEDaS17_S18_EUlS17_E_NS1_11comp_targetILNS1_3genE4ELNS1_11target_archE910ELNS1_3gpuE8ELNS1_3repE0EEENS1_30default_config_static_selectorELNS0_4arch9wavefront6targetE0EEEvT1_
	.p2align	8
	.type	_ZN7rocprim17ROCPRIM_400000_NS6detail17trampoline_kernelINS0_14default_configENS1_25partition_config_selectorILNS1_17partition_subalgoE8ElNS0_10empty_typeEbEEZZNS1_14partition_implILS5_8ELb0ES3_jPlPS6_PKS6_NS0_5tupleIJS9_S6_EEENSD_IJSA_SA_EEENS0_18inequality_wrapperIZN2at6native12_GLOBAL__N_124unique_dim_cuda_templateIsEESt5tupleIJNSH_6TensorESM_SM_EERKSM_lbbbEUlllE0_EEPmJS6_EEE10hipError_tPvRmT3_T4_T5_T6_T7_T9_mT8_P12ihipStream_tbDpT10_ENKUlT_T0_E_clISt17integral_constantIbLb0EES1C_EEDaS17_S18_EUlS17_E_NS1_11comp_targetILNS1_3genE4ELNS1_11target_archE910ELNS1_3gpuE8ELNS1_3repE0EEENS1_30default_config_static_selectorELNS0_4arch9wavefront6targetE0EEEvT1_,@function
_ZN7rocprim17ROCPRIM_400000_NS6detail17trampoline_kernelINS0_14default_configENS1_25partition_config_selectorILNS1_17partition_subalgoE8ElNS0_10empty_typeEbEEZZNS1_14partition_implILS5_8ELb0ES3_jPlPS6_PKS6_NS0_5tupleIJS9_S6_EEENSD_IJSA_SA_EEENS0_18inequality_wrapperIZN2at6native12_GLOBAL__N_124unique_dim_cuda_templateIsEESt5tupleIJNSH_6TensorESM_SM_EERKSM_lbbbEUlllE0_EEPmJS6_EEE10hipError_tPvRmT3_T4_T5_T6_T7_T9_mT8_P12ihipStream_tbDpT10_ENKUlT_T0_E_clISt17integral_constantIbLb0EES1C_EEDaS17_S18_EUlS17_E_NS1_11comp_targetILNS1_3genE4ELNS1_11target_archE910ELNS1_3gpuE8ELNS1_3repE0EEENS1_30default_config_static_selectorELNS0_4arch9wavefront6targetE0EEEvT1_: ; @_ZN7rocprim17ROCPRIM_400000_NS6detail17trampoline_kernelINS0_14default_configENS1_25partition_config_selectorILNS1_17partition_subalgoE8ElNS0_10empty_typeEbEEZZNS1_14partition_implILS5_8ELb0ES3_jPlPS6_PKS6_NS0_5tupleIJS9_S6_EEENSD_IJSA_SA_EEENS0_18inequality_wrapperIZN2at6native12_GLOBAL__N_124unique_dim_cuda_templateIsEESt5tupleIJNSH_6TensorESM_SM_EERKSM_lbbbEUlllE0_EEPmJS6_EEE10hipError_tPvRmT3_T4_T5_T6_T7_T9_mT8_P12ihipStream_tbDpT10_ENKUlT_T0_E_clISt17integral_constantIbLb0EES1C_EEDaS17_S18_EUlS17_E_NS1_11comp_targetILNS1_3genE4ELNS1_11target_archE910ELNS1_3gpuE8ELNS1_3repE0EEENS1_30default_config_static_selectorELNS0_4arch9wavefront6targetE0EEEvT1_
; %bb.0:
	.section	.rodata,"a",@progbits
	.p2align	6, 0x0
	.amdhsa_kernel _ZN7rocprim17ROCPRIM_400000_NS6detail17trampoline_kernelINS0_14default_configENS1_25partition_config_selectorILNS1_17partition_subalgoE8ElNS0_10empty_typeEbEEZZNS1_14partition_implILS5_8ELb0ES3_jPlPS6_PKS6_NS0_5tupleIJS9_S6_EEENSD_IJSA_SA_EEENS0_18inequality_wrapperIZN2at6native12_GLOBAL__N_124unique_dim_cuda_templateIsEESt5tupleIJNSH_6TensorESM_SM_EERKSM_lbbbEUlllE0_EEPmJS6_EEE10hipError_tPvRmT3_T4_T5_T6_T7_T9_mT8_P12ihipStream_tbDpT10_ENKUlT_T0_E_clISt17integral_constantIbLb0EES1C_EEDaS17_S18_EUlS17_E_NS1_11comp_targetILNS1_3genE4ELNS1_11target_archE910ELNS1_3gpuE8ELNS1_3repE0EEENS1_30default_config_static_selectorELNS0_4arch9wavefront6targetE0EEEvT1_
		.amdhsa_group_segment_fixed_size 0
		.amdhsa_private_segment_fixed_size 0
		.amdhsa_kernarg_size 120
		.amdhsa_user_sgpr_count 15
		.amdhsa_user_sgpr_dispatch_ptr 0
		.amdhsa_user_sgpr_queue_ptr 0
		.amdhsa_user_sgpr_kernarg_segment_ptr 1
		.amdhsa_user_sgpr_dispatch_id 0
		.amdhsa_user_sgpr_private_segment_size 0
		.amdhsa_wavefront_size32 1
		.amdhsa_uses_dynamic_stack 0
		.amdhsa_enable_private_segment 0
		.amdhsa_system_sgpr_workgroup_id_x 1
		.amdhsa_system_sgpr_workgroup_id_y 0
		.amdhsa_system_sgpr_workgroup_id_z 0
		.amdhsa_system_sgpr_workgroup_info 0
		.amdhsa_system_vgpr_workitem_id 0
		.amdhsa_next_free_vgpr 1
		.amdhsa_next_free_sgpr 1
		.amdhsa_reserve_vcc 0
		.amdhsa_float_round_mode_32 0
		.amdhsa_float_round_mode_16_64 0
		.amdhsa_float_denorm_mode_32 3
		.amdhsa_float_denorm_mode_16_64 3
		.amdhsa_dx10_clamp 1
		.amdhsa_ieee_mode 1
		.amdhsa_fp16_overflow 0
		.amdhsa_workgroup_processor_mode 1
		.amdhsa_memory_ordered 1
		.amdhsa_forward_progress 0
		.amdhsa_shared_vgpr_count 0
		.amdhsa_exception_fp_ieee_invalid_op 0
		.amdhsa_exception_fp_denorm_src 0
		.amdhsa_exception_fp_ieee_div_zero 0
		.amdhsa_exception_fp_ieee_overflow 0
		.amdhsa_exception_fp_ieee_underflow 0
		.amdhsa_exception_fp_ieee_inexact 0
		.amdhsa_exception_int_div_zero 0
	.end_amdhsa_kernel
	.section	.text._ZN7rocprim17ROCPRIM_400000_NS6detail17trampoline_kernelINS0_14default_configENS1_25partition_config_selectorILNS1_17partition_subalgoE8ElNS0_10empty_typeEbEEZZNS1_14partition_implILS5_8ELb0ES3_jPlPS6_PKS6_NS0_5tupleIJS9_S6_EEENSD_IJSA_SA_EEENS0_18inequality_wrapperIZN2at6native12_GLOBAL__N_124unique_dim_cuda_templateIsEESt5tupleIJNSH_6TensorESM_SM_EERKSM_lbbbEUlllE0_EEPmJS6_EEE10hipError_tPvRmT3_T4_T5_T6_T7_T9_mT8_P12ihipStream_tbDpT10_ENKUlT_T0_E_clISt17integral_constantIbLb0EES1C_EEDaS17_S18_EUlS17_E_NS1_11comp_targetILNS1_3genE4ELNS1_11target_archE910ELNS1_3gpuE8ELNS1_3repE0EEENS1_30default_config_static_selectorELNS0_4arch9wavefront6targetE0EEEvT1_,"axG",@progbits,_ZN7rocprim17ROCPRIM_400000_NS6detail17trampoline_kernelINS0_14default_configENS1_25partition_config_selectorILNS1_17partition_subalgoE8ElNS0_10empty_typeEbEEZZNS1_14partition_implILS5_8ELb0ES3_jPlPS6_PKS6_NS0_5tupleIJS9_S6_EEENSD_IJSA_SA_EEENS0_18inequality_wrapperIZN2at6native12_GLOBAL__N_124unique_dim_cuda_templateIsEESt5tupleIJNSH_6TensorESM_SM_EERKSM_lbbbEUlllE0_EEPmJS6_EEE10hipError_tPvRmT3_T4_T5_T6_T7_T9_mT8_P12ihipStream_tbDpT10_ENKUlT_T0_E_clISt17integral_constantIbLb0EES1C_EEDaS17_S18_EUlS17_E_NS1_11comp_targetILNS1_3genE4ELNS1_11target_archE910ELNS1_3gpuE8ELNS1_3repE0EEENS1_30default_config_static_selectorELNS0_4arch9wavefront6targetE0EEEvT1_,comdat
.Lfunc_end687:
	.size	_ZN7rocprim17ROCPRIM_400000_NS6detail17trampoline_kernelINS0_14default_configENS1_25partition_config_selectorILNS1_17partition_subalgoE8ElNS0_10empty_typeEbEEZZNS1_14partition_implILS5_8ELb0ES3_jPlPS6_PKS6_NS0_5tupleIJS9_S6_EEENSD_IJSA_SA_EEENS0_18inequality_wrapperIZN2at6native12_GLOBAL__N_124unique_dim_cuda_templateIsEESt5tupleIJNSH_6TensorESM_SM_EERKSM_lbbbEUlllE0_EEPmJS6_EEE10hipError_tPvRmT3_T4_T5_T6_T7_T9_mT8_P12ihipStream_tbDpT10_ENKUlT_T0_E_clISt17integral_constantIbLb0EES1C_EEDaS17_S18_EUlS17_E_NS1_11comp_targetILNS1_3genE4ELNS1_11target_archE910ELNS1_3gpuE8ELNS1_3repE0EEENS1_30default_config_static_selectorELNS0_4arch9wavefront6targetE0EEEvT1_, .Lfunc_end687-_ZN7rocprim17ROCPRIM_400000_NS6detail17trampoline_kernelINS0_14default_configENS1_25partition_config_selectorILNS1_17partition_subalgoE8ElNS0_10empty_typeEbEEZZNS1_14partition_implILS5_8ELb0ES3_jPlPS6_PKS6_NS0_5tupleIJS9_S6_EEENSD_IJSA_SA_EEENS0_18inequality_wrapperIZN2at6native12_GLOBAL__N_124unique_dim_cuda_templateIsEESt5tupleIJNSH_6TensorESM_SM_EERKSM_lbbbEUlllE0_EEPmJS6_EEE10hipError_tPvRmT3_T4_T5_T6_T7_T9_mT8_P12ihipStream_tbDpT10_ENKUlT_T0_E_clISt17integral_constantIbLb0EES1C_EEDaS17_S18_EUlS17_E_NS1_11comp_targetILNS1_3genE4ELNS1_11target_archE910ELNS1_3gpuE8ELNS1_3repE0EEENS1_30default_config_static_selectorELNS0_4arch9wavefront6targetE0EEEvT1_
                                        ; -- End function
	.section	.AMDGPU.csdata,"",@progbits
; Kernel info:
; codeLenInByte = 0
; NumSgprs: 0
; NumVgprs: 0
; ScratchSize: 0
; MemoryBound: 0
; FloatMode: 240
; IeeeMode: 1
; LDSByteSize: 0 bytes/workgroup (compile time only)
; SGPRBlocks: 0
; VGPRBlocks: 0
; NumSGPRsForWavesPerEU: 1
; NumVGPRsForWavesPerEU: 1
; Occupancy: 16
; WaveLimiterHint : 0
; COMPUTE_PGM_RSRC2:SCRATCH_EN: 0
; COMPUTE_PGM_RSRC2:USER_SGPR: 15
; COMPUTE_PGM_RSRC2:TRAP_HANDLER: 0
; COMPUTE_PGM_RSRC2:TGID_X_EN: 1
; COMPUTE_PGM_RSRC2:TGID_Y_EN: 0
; COMPUTE_PGM_RSRC2:TGID_Z_EN: 0
; COMPUTE_PGM_RSRC2:TIDIG_COMP_CNT: 0
	.section	.text._ZN7rocprim17ROCPRIM_400000_NS6detail17trampoline_kernelINS0_14default_configENS1_25partition_config_selectorILNS1_17partition_subalgoE8ElNS0_10empty_typeEbEEZZNS1_14partition_implILS5_8ELb0ES3_jPlPS6_PKS6_NS0_5tupleIJS9_S6_EEENSD_IJSA_SA_EEENS0_18inequality_wrapperIZN2at6native12_GLOBAL__N_124unique_dim_cuda_templateIsEESt5tupleIJNSH_6TensorESM_SM_EERKSM_lbbbEUlllE0_EEPmJS6_EEE10hipError_tPvRmT3_T4_T5_T6_T7_T9_mT8_P12ihipStream_tbDpT10_ENKUlT_T0_E_clISt17integral_constantIbLb0EES1C_EEDaS17_S18_EUlS17_E_NS1_11comp_targetILNS1_3genE3ELNS1_11target_archE908ELNS1_3gpuE7ELNS1_3repE0EEENS1_30default_config_static_selectorELNS0_4arch9wavefront6targetE0EEEvT1_,"axG",@progbits,_ZN7rocprim17ROCPRIM_400000_NS6detail17trampoline_kernelINS0_14default_configENS1_25partition_config_selectorILNS1_17partition_subalgoE8ElNS0_10empty_typeEbEEZZNS1_14partition_implILS5_8ELb0ES3_jPlPS6_PKS6_NS0_5tupleIJS9_S6_EEENSD_IJSA_SA_EEENS0_18inequality_wrapperIZN2at6native12_GLOBAL__N_124unique_dim_cuda_templateIsEESt5tupleIJNSH_6TensorESM_SM_EERKSM_lbbbEUlllE0_EEPmJS6_EEE10hipError_tPvRmT3_T4_T5_T6_T7_T9_mT8_P12ihipStream_tbDpT10_ENKUlT_T0_E_clISt17integral_constantIbLb0EES1C_EEDaS17_S18_EUlS17_E_NS1_11comp_targetILNS1_3genE3ELNS1_11target_archE908ELNS1_3gpuE7ELNS1_3repE0EEENS1_30default_config_static_selectorELNS0_4arch9wavefront6targetE0EEEvT1_,comdat
	.globl	_ZN7rocprim17ROCPRIM_400000_NS6detail17trampoline_kernelINS0_14default_configENS1_25partition_config_selectorILNS1_17partition_subalgoE8ElNS0_10empty_typeEbEEZZNS1_14partition_implILS5_8ELb0ES3_jPlPS6_PKS6_NS0_5tupleIJS9_S6_EEENSD_IJSA_SA_EEENS0_18inequality_wrapperIZN2at6native12_GLOBAL__N_124unique_dim_cuda_templateIsEESt5tupleIJNSH_6TensorESM_SM_EERKSM_lbbbEUlllE0_EEPmJS6_EEE10hipError_tPvRmT3_T4_T5_T6_T7_T9_mT8_P12ihipStream_tbDpT10_ENKUlT_T0_E_clISt17integral_constantIbLb0EES1C_EEDaS17_S18_EUlS17_E_NS1_11comp_targetILNS1_3genE3ELNS1_11target_archE908ELNS1_3gpuE7ELNS1_3repE0EEENS1_30default_config_static_selectorELNS0_4arch9wavefront6targetE0EEEvT1_ ; -- Begin function _ZN7rocprim17ROCPRIM_400000_NS6detail17trampoline_kernelINS0_14default_configENS1_25partition_config_selectorILNS1_17partition_subalgoE8ElNS0_10empty_typeEbEEZZNS1_14partition_implILS5_8ELb0ES3_jPlPS6_PKS6_NS0_5tupleIJS9_S6_EEENSD_IJSA_SA_EEENS0_18inequality_wrapperIZN2at6native12_GLOBAL__N_124unique_dim_cuda_templateIsEESt5tupleIJNSH_6TensorESM_SM_EERKSM_lbbbEUlllE0_EEPmJS6_EEE10hipError_tPvRmT3_T4_T5_T6_T7_T9_mT8_P12ihipStream_tbDpT10_ENKUlT_T0_E_clISt17integral_constantIbLb0EES1C_EEDaS17_S18_EUlS17_E_NS1_11comp_targetILNS1_3genE3ELNS1_11target_archE908ELNS1_3gpuE7ELNS1_3repE0EEENS1_30default_config_static_selectorELNS0_4arch9wavefront6targetE0EEEvT1_
	.p2align	8
	.type	_ZN7rocprim17ROCPRIM_400000_NS6detail17trampoline_kernelINS0_14default_configENS1_25partition_config_selectorILNS1_17partition_subalgoE8ElNS0_10empty_typeEbEEZZNS1_14partition_implILS5_8ELb0ES3_jPlPS6_PKS6_NS0_5tupleIJS9_S6_EEENSD_IJSA_SA_EEENS0_18inequality_wrapperIZN2at6native12_GLOBAL__N_124unique_dim_cuda_templateIsEESt5tupleIJNSH_6TensorESM_SM_EERKSM_lbbbEUlllE0_EEPmJS6_EEE10hipError_tPvRmT3_T4_T5_T6_T7_T9_mT8_P12ihipStream_tbDpT10_ENKUlT_T0_E_clISt17integral_constantIbLb0EES1C_EEDaS17_S18_EUlS17_E_NS1_11comp_targetILNS1_3genE3ELNS1_11target_archE908ELNS1_3gpuE7ELNS1_3repE0EEENS1_30default_config_static_selectorELNS0_4arch9wavefront6targetE0EEEvT1_,@function
_ZN7rocprim17ROCPRIM_400000_NS6detail17trampoline_kernelINS0_14default_configENS1_25partition_config_selectorILNS1_17partition_subalgoE8ElNS0_10empty_typeEbEEZZNS1_14partition_implILS5_8ELb0ES3_jPlPS6_PKS6_NS0_5tupleIJS9_S6_EEENSD_IJSA_SA_EEENS0_18inequality_wrapperIZN2at6native12_GLOBAL__N_124unique_dim_cuda_templateIsEESt5tupleIJNSH_6TensorESM_SM_EERKSM_lbbbEUlllE0_EEPmJS6_EEE10hipError_tPvRmT3_T4_T5_T6_T7_T9_mT8_P12ihipStream_tbDpT10_ENKUlT_T0_E_clISt17integral_constantIbLb0EES1C_EEDaS17_S18_EUlS17_E_NS1_11comp_targetILNS1_3genE3ELNS1_11target_archE908ELNS1_3gpuE7ELNS1_3repE0EEENS1_30default_config_static_selectorELNS0_4arch9wavefront6targetE0EEEvT1_: ; @_ZN7rocprim17ROCPRIM_400000_NS6detail17trampoline_kernelINS0_14default_configENS1_25partition_config_selectorILNS1_17partition_subalgoE8ElNS0_10empty_typeEbEEZZNS1_14partition_implILS5_8ELb0ES3_jPlPS6_PKS6_NS0_5tupleIJS9_S6_EEENSD_IJSA_SA_EEENS0_18inequality_wrapperIZN2at6native12_GLOBAL__N_124unique_dim_cuda_templateIsEESt5tupleIJNSH_6TensorESM_SM_EERKSM_lbbbEUlllE0_EEPmJS6_EEE10hipError_tPvRmT3_T4_T5_T6_T7_T9_mT8_P12ihipStream_tbDpT10_ENKUlT_T0_E_clISt17integral_constantIbLb0EES1C_EEDaS17_S18_EUlS17_E_NS1_11comp_targetILNS1_3genE3ELNS1_11target_archE908ELNS1_3gpuE7ELNS1_3repE0EEENS1_30default_config_static_selectorELNS0_4arch9wavefront6targetE0EEEvT1_
; %bb.0:
	.section	.rodata,"a",@progbits
	.p2align	6, 0x0
	.amdhsa_kernel _ZN7rocprim17ROCPRIM_400000_NS6detail17trampoline_kernelINS0_14default_configENS1_25partition_config_selectorILNS1_17partition_subalgoE8ElNS0_10empty_typeEbEEZZNS1_14partition_implILS5_8ELb0ES3_jPlPS6_PKS6_NS0_5tupleIJS9_S6_EEENSD_IJSA_SA_EEENS0_18inequality_wrapperIZN2at6native12_GLOBAL__N_124unique_dim_cuda_templateIsEESt5tupleIJNSH_6TensorESM_SM_EERKSM_lbbbEUlllE0_EEPmJS6_EEE10hipError_tPvRmT3_T4_T5_T6_T7_T9_mT8_P12ihipStream_tbDpT10_ENKUlT_T0_E_clISt17integral_constantIbLb0EES1C_EEDaS17_S18_EUlS17_E_NS1_11comp_targetILNS1_3genE3ELNS1_11target_archE908ELNS1_3gpuE7ELNS1_3repE0EEENS1_30default_config_static_selectorELNS0_4arch9wavefront6targetE0EEEvT1_
		.amdhsa_group_segment_fixed_size 0
		.amdhsa_private_segment_fixed_size 0
		.amdhsa_kernarg_size 120
		.amdhsa_user_sgpr_count 15
		.amdhsa_user_sgpr_dispatch_ptr 0
		.amdhsa_user_sgpr_queue_ptr 0
		.amdhsa_user_sgpr_kernarg_segment_ptr 1
		.amdhsa_user_sgpr_dispatch_id 0
		.amdhsa_user_sgpr_private_segment_size 0
		.amdhsa_wavefront_size32 1
		.amdhsa_uses_dynamic_stack 0
		.amdhsa_enable_private_segment 0
		.amdhsa_system_sgpr_workgroup_id_x 1
		.amdhsa_system_sgpr_workgroup_id_y 0
		.amdhsa_system_sgpr_workgroup_id_z 0
		.amdhsa_system_sgpr_workgroup_info 0
		.amdhsa_system_vgpr_workitem_id 0
		.amdhsa_next_free_vgpr 1
		.amdhsa_next_free_sgpr 1
		.amdhsa_reserve_vcc 0
		.amdhsa_float_round_mode_32 0
		.amdhsa_float_round_mode_16_64 0
		.amdhsa_float_denorm_mode_32 3
		.amdhsa_float_denorm_mode_16_64 3
		.amdhsa_dx10_clamp 1
		.amdhsa_ieee_mode 1
		.amdhsa_fp16_overflow 0
		.amdhsa_workgroup_processor_mode 1
		.amdhsa_memory_ordered 1
		.amdhsa_forward_progress 0
		.amdhsa_shared_vgpr_count 0
		.amdhsa_exception_fp_ieee_invalid_op 0
		.amdhsa_exception_fp_denorm_src 0
		.amdhsa_exception_fp_ieee_div_zero 0
		.amdhsa_exception_fp_ieee_overflow 0
		.amdhsa_exception_fp_ieee_underflow 0
		.amdhsa_exception_fp_ieee_inexact 0
		.amdhsa_exception_int_div_zero 0
	.end_amdhsa_kernel
	.section	.text._ZN7rocprim17ROCPRIM_400000_NS6detail17trampoline_kernelINS0_14default_configENS1_25partition_config_selectorILNS1_17partition_subalgoE8ElNS0_10empty_typeEbEEZZNS1_14partition_implILS5_8ELb0ES3_jPlPS6_PKS6_NS0_5tupleIJS9_S6_EEENSD_IJSA_SA_EEENS0_18inequality_wrapperIZN2at6native12_GLOBAL__N_124unique_dim_cuda_templateIsEESt5tupleIJNSH_6TensorESM_SM_EERKSM_lbbbEUlllE0_EEPmJS6_EEE10hipError_tPvRmT3_T4_T5_T6_T7_T9_mT8_P12ihipStream_tbDpT10_ENKUlT_T0_E_clISt17integral_constantIbLb0EES1C_EEDaS17_S18_EUlS17_E_NS1_11comp_targetILNS1_3genE3ELNS1_11target_archE908ELNS1_3gpuE7ELNS1_3repE0EEENS1_30default_config_static_selectorELNS0_4arch9wavefront6targetE0EEEvT1_,"axG",@progbits,_ZN7rocprim17ROCPRIM_400000_NS6detail17trampoline_kernelINS0_14default_configENS1_25partition_config_selectorILNS1_17partition_subalgoE8ElNS0_10empty_typeEbEEZZNS1_14partition_implILS5_8ELb0ES3_jPlPS6_PKS6_NS0_5tupleIJS9_S6_EEENSD_IJSA_SA_EEENS0_18inequality_wrapperIZN2at6native12_GLOBAL__N_124unique_dim_cuda_templateIsEESt5tupleIJNSH_6TensorESM_SM_EERKSM_lbbbEUlllE0_EEPmJS6_EEE10hipError_tPvRmT3_T4_T5_T6_T7_T9_mT8_P12ihipStream_tbDpT10_ENKUlT_T0_E_clISt17integral_constantIbLb0EES1C_EEDaS17_S18_EUlS17_E_NS1_11comp_targetILNS1_3genE3ELNS1_11target_archE908ELNS1_3gpuE7ELNS1_3repE0EEENS1_30default_config_static_selectorELNS0_4arch9wavefront6targetE0EEEvT1_,comdat
.Lfunc_end688:
	.size	_ZN7rocprim17ROCPRIM_400000_NS6detail17trampoline_kernelINS0_14default_configENS1_25partition_config_selectorILNS1_17partition_subalgoE8ElNS0_10empty_typeEbEEZZNS1_14partition_implILS5_8ELb0ES3_jPlPS6_PKS6_NS0_5tupleIJS9_S6_EEENSD_IJSA_SA_EEENS0_18inequality_wrapperIZN2at6native12_GLOBAL__N_124unique_dim_cuda_templateIsEESt5tupleIJNSH_6TensorESM_SM_EERKSM_lbbbEUlllE0_EEPmJS6_EEE10hipError_tPvRmT3_T4_T5_T6_T7_T9_mT8_P12ihipStream_tbDpT10_ENKUlT_T0_E_clISt17integral_constantIbLb0EES1C_EEDaS17_S18_EUlS17_E_NS1_11comp_targetILNS1_3genE3ELNS1_11target_archE908ELNS1_3gpuE7ELNS1_3repE0EEENS1_30default_config_static_selectorELNS0_4arch9wavefront6targetE0EEEvT1_, .Lfunc_end688-_ZN7rocprim17ROCPRIM_400000_NS6detail17trampoline_kernelINS0_14default_configENS1_25partition_config_selectorILNS1_17partition_subalgoE8ElNS0_10empty_typeEbEEZZNS1_14partition_implILS5_8ELb0ES3_jPlPS6_PKS6_NS0_5tupleIJS9_S6_EEENSD_IJSA_SA_EEENS0_18inequality_wrapperIZN2at6native12_GLOBAL__N_124unique_dim_cuda_templateIsEESt5tupleIJNSH_6TensorESM_SM_EERKSM_lbbbEUlllE0_EEPmJS6_EEE10hipError_tPvRmT3_T4_T5_T6_T7_T9_mT8_P12ihipStream_tbDpT10_ENKUlT_T0_E_clISt17integral_constantIbLb0EES1C_EEDaS17_S18_EUlS17_E_NS1_11comp_targetILNS1_3genE3ELNS1_11target_archE908ELNS1_3gpuE7ELNS1_3repE0EEENS1_30default_config_static_selectorELNS0_4arch9wavefront6targetE0EEEvT1_
                                        ; -- End function
	.section	.AMDGPU.csdata,"",@progbits
; Kernel info:
; codeLenInByte = 0
; NumSgprs: 0
; NumVgprs: 0
; ScratchSize: 0
; MemoryBound: 0
; FloatMode: 240
; IeeeMode: 1
; LDSByteSize: 0 bytes/workgroup (compile time only)
; SGPRBlocks: 0
; VGPRBlocks: 0
; NumSGPRsForWavesPerEU: 1
; NumVGPRsForWavesPerEU: 1
; Occupancy: 16
; WaveLimiterHint : 0
; COMPUTE_PGM_RSRC2:SCRATCH_EN: 0
; COMPUTE_PGM_RSRC2:USER_SGPR: 15
; COMPUTE_PGM_RSRC2:TRAP_HANDLER: 0
; COMPUTE_PGM_RSRC2:TGID_X_EN: 1
; COMPUTE_PGM_RSRC2:TGID_Y_EN: 0
; COMPUTE_PGM_RSRC2:TGID_Z_EN: 0
; COMPUTE_PGM_RSRC2:TIDIG_COMP_CNT: 0
	.section	.text._ZN7rocprim17ROCPRIM_400000_NS6detail17trampoline_kernelINS0_14default_configENS1_25partition_config_selectorILNS1_17partition_subalgoE8ElNS0_10empty_typeEbEEZZNS1_14partition_implILS5_8ELb0ES3_jPlPS6_PKS6_NS0_5tupleIJS9_S6_EEENSD_IJSA_SA_EEENS0_18inequality_wrapperIZN2at6native12_GLOBAL__N_124unique_dim_cuda_templateIsEESt5tupleIJNSH_6TensorESM_SM_EERKSM_lbbbEUlllE0_EEPmJS6_EEE10hipError_tPvRmT3_T4_T5_T6_T7_T9_mT8_P12ihipStream_tbDpT10_ENKUlT_T0_E_clISt17integral_constantIbLb0EES1C_EEDaS17_S18_EUlS17_E_NS1_11comp_targetILNS1_3genE2ELNS1_11target_archE906ELNS1_3gpuE6ELNS1_3repE0EEENS1_30default_config_static_selectorELNS0_4arch9wavefront6targetE0EEEvT1_,"axG",@progbits,_ZN7rocprim17ROCPRIM_400000_NS6detail17trampoline_kernelINS0_14default_configENS1_25partition_config_selectorILNS1_17partition_subalgoE8ElNS0_10empty_typeEbEEZZNS1_14partition_implILS5_8ELb0ES3_jPlPS6_PKS6_NS0_5tupleIJS9_S6_EEENSD_IJSA_SA_EEENS0_18inequality_wrapperIZN2at6native12_GLOBAL__N_124unique_dim_cuda_templateIsEESt5tupleIJNSH_6TensorESM_SM_EERKSM_lbbbEUlllE0_EEPmJS6_EEE10hipError_tPvRmT3_T4_T5_T6_T7_T9_mT8_P12ihipStream_tbDpT10_ENKUlT_T0_E_clISt17integral_constantIbLb0EES1C_EEDaS17_S18_EUlS17_E_NS1_11comp_targetILNS1_3genE2ELNS1_11target_archE906ELNS1_3gpuE6ELNS1_3repE0EEENS1_30default_config_static_selectorELNS0_4arch9wavefront6targetE0EEEvT1_,comdat
	.globl	_ZN7rocprim17ROCPRIM_400000_NS6detail17trampoline_kernelINS0_14default_configENS1_25partition_config_selectorILNS1_17partition_subalgoE8ElNS0_10empty_typeEbEEZZNS1_14partition_implILS5_8ELb0ES3_jPlPS6_PKS6_NS0_5tupleIJS9_S6_EEENSD_IJSA_SA_EEENS0_18inequality_wrapperIZN2at6native12_GLOBAL__N_124unique_dim_cuda_templateIsEESt5tupleIJNSH_6TensorESM_SM_EERKSM_lbbbEUlllE0_EEPmJS6_EEE10hipError_tPvRmT3_T4_T5_T6_T7_T9_mT8_P12ihipStream_tbDpT10_ENKUlT_T0_E_clISt17integral_constantIbLb0EES1C_EEDaS17_S18_EUlS17_E_NS1_11comp_targetILNS1_3genE2ELNS1_11target_archE906ELNS1_3gpuE6ELNS1_3repE0EEENS1_30default_config_static_selectorELNS0_4arch9wavefront6targetE0EEEvT1_ ; -- Begin function _ZN7rocprim17ROCPRIM_400000_NS6detail17trampoline_kernelINS0_14default_configENS1_25partition_config_selectorILNS1_17partition_subalgoE8ElNS0_10empty_typeEbEEZZNS1_14partition_implILS5_8ELb0ES3_jPlPS6_PKS6_NS0_5tupleIJS9_S6_EEENSD_IJSA_SA_EEENS0_18inequality_wrapperIZN2at6native12_GLOBAL__N_124unique_dim_cuda_templateIsEESt5tupleIJNSH_6TensorESM_SM_EERKSM_lbbbEUlllE0_EEPmJS6_EEE10hipError_tPvRmT3_T4_T5_T6_T7_T9_mT8_P12ihipStream_tbDpT10_ENKUlT_T0_E_clISt17integral_constantIbLb0EES1C_EEDaS17_S18_EUlS17_E_NS1_11comp_targetILNS1_3genE2ELNS1_11target_archE906ELNS1_3gpuE6ELNS1_3repE0EEENS1_30default_config_static_selectorELNS0_4arch9wavefront6targetE0EEEvT1_
	.p2align	8
	.type	_ZN7rocprim17ROCPRIM_400000_NS6detail17trampoline_kernelINS0_14default_configENS1_25partition_config_selectorILNS1_17partition_subalgoE8ElNS0_10empty_typeEbEEZZNS1_14partition_implILS5_8ELb0ES3_jPlPS6_PKS6_NS0_5tupleIJS9_S6_EEENSD_IJSA_SA_EEENS0_18inequality_wrapperIZN2at6native12_GLOBAL__N_124unique_dim_cuda_templateIsEESt5tupleIJNSH_6TensorESM_SM_EERKSM_lbbbEUlllE0_EEPmJS6_EEE10hipError_tPvRmT3_T4_T5_T6_T7_T9_mT8_P12ihipStream_tbDpT10_ENKUlT_T0_E_clISt17integral_constantIbLb0EES1C_EEDaS17_S18_EUlS17_E_NS1_11comp_targetILNS1_3genE2ELNS1_11target_archE906ELNS1_3gpuE6ELNS1_3repE0EEENS1_30default_config_static_selectorELNS0_4arch9wavefront6targetE0EEEvT1_,@function
_ZN7rocprim17ROCPRIM_400000_NS6detail17trampoline_kernelINS0_14default_configENS1_25partition_config_selectorILNS1_17partition_subalgoE8ElNS0_10empty_typeEbEEZZNS1_14partition_implILS5_8ELb0ES3_jPlPS6_PKS6_NS0_5tupleIJS9_S6_EEENSD_IJSA_SA_EEENS0_18inequality_wrapperIZN2at6native12_GLOBAL__N_124unique_dim_cuda_templateIsEESt5tupleIJNSH_6TensorESM_SM_EERKSM_lbbbEUlllE0_EEPmJS6_EEE10hipError_tPvRmT3_T4_T5_T6_T7_T9_mT8_P12ihipStream_tbDpT10_ENKUlT_T0_E_clISt17integral_constantIbLb0EES1C_EEDaS17_S18_EUlS17_E_NS1_11comp_targetILNS1_3genE2ELNS1_11target_archE906ELNS1_3gpuE6ELNS1_3repE0EEENS1_30default_config_static_selectorELNS0_4arch9wavefront6targetE0EEEvT1_: ; @_ZN7rocprim17ROCPRIM_400000_NS6detail17trampoline_kernelINS0_14default_configENS1_25partition_config_selectorILNS1_17partition_subalgoE8ElNS0_10empty_typeEbEEZZNS1_14partition_implILS5_8ELb0ES3_jPlPS6_PKS6_NS0_5tupleIJS9_S6_EEENSD_IJSA_SA_EEENS0_18inequality_wrapperIZN2at6native12_GLOBAL__N_124unique_dim_cuda_templateIsEESt5tupleIJNSH_6TensorESM_SM_EERKSM_lbbbEUlllE0_EEPmJS6_EEE10hipError_tPvRmT3_T4_T5_T6_T7_T9_mT8_P12ihipStream_tbDpT10_ENKUlT_T0_E_clISt17integral_constantIbLb0EES1C_EEDaS17_S18_EUlS17_E_NS1_11comp_targetILNS1_3genE2ELNS1_11target_archE906ELNS1_3gpuE6ELNS1_3repE0EEENS1_30default_config_static_selectorELNS0_4arch9wavefront6targetE0EEEvT1_
; %bb.0:
	.section	.rodata,"a",@progbits
	.p2align	6, 0x0
	.amdhsa_kernel _ZN7rocprim17ROCPRIM_400000_NS6detail17trampoline_kernelINS0_14default_configENS1_25partition_config_selectorILNS1_17partition_subalgoE8ElNS0_10empty_typeEbEEZZNS1_14partition_implILS5_8ELb0ES3_jPlPS6_PKS6_NS0_5tupleIJS9_S6_EEENSD_IJSA_SA_EEENS0_18inequality_wrapperIZN2at6native12_GLOBAL__N_124unique_dim_cuda_templateIsEESt5tupleIJNSH_6TensorESM_SM_EERKSM_lbbbEUlllE0_EEPmJS6_EEE10hipError_tPvRmT3_T4_T5_T6_T7_T9_mT8_P12ihipStream_tbDpT10_ENKUlT_T0_E_clISt17integral_constantIbLb0EES1C_EEDaS17_S18_EUlS17_E_NS1_11comp_targetILNS1_3genE2ELNS1_11target_archE906ELNS1_3gpuE6ELNS1_3repE0EEENS1_30default_config_static_selectorELNS0_4arch9wavefront6targetE0EEEvT1_
		.amdhsa_group_segment_fixed_size 0
		.amdhsa_private_segment_fixed_size 0
		.amdhsa_kernarg_size 120
		.amdhsa_user_sgpr_count 15
		.amdhsa_user_sgpr_dispatch_ptr 0
		.amdhsa_user_sgpr_queue_ptr 0
		.amdhsa_user_sgpr_kernarg_segment_ptr 1
		.amdhsa_user_sgpr_dispatch_id 0
		.amdhsa_user_sgpr_private_segment_size 0
		.amdhsa_wavefront_size32 1
		.amdhsa_uses_dynamic_stack 0
		.amdhsa_enable_private_segment 0
		.amdhsa_system_sgpr_workgroup_id_x 1
		.amdhsa_system_sgpr_workgroup_id_y 0
		.amdhsa_system_sgpr_workgroup_id_z 0
		.amdhsa_system_sgpr_workgroup_info 0
		.amdhsa_system_vgpr_workitem_id 0
		.amdhsa_next_free_vgpr 1
		.amdhsa_next_free_sgpr 1
		.amdhsa_reserve_vcc 0
		.amdhsa_float_round_mode_32 0
		.amdhsa_float_round_mode_16_64 0
		.amdhsa_float_denorm_mode_32 3
		.amdhsa_float_denorm_mode_16_64 3
		.amdhsa_dx10_clamp 1
		.amdhsa_ieee_mode 1
		.amdhsa_fp16_overflow 0
		.amdhsa_workgroup_processor_mode 1
		.amdhsa_memory_ordered 1
		.amdhsa_forward_progress 0
		.amdhsa_shared_vgpr_count 0
		.amdhsa_exception_fp_ieee_invalid_op 0
		.amdhsa_exception_fp_denorm_src 0
		.amdhsa_exception_fp_ieee_div_zero 0
		.amdhsa_exception_fp_ieee_overflow 0
		.amdhsa_exception_fp_ieee_underflow 0
		.amdhsa_exception_fp_ieee_inexact 0
		.amdhsa_exception_int_div_zero 0
	.end_amdhsa_kernel
	.section	.text._ZN7rocprim17ROCPRIM_400000_NS6detail17trampoline_kernelINS0_14default_configENS1_25partition_config_selectorILNS1_17partition_subalgoE8ElNS0_10empty_typeEbEEZZNS1_14partition_implILS5_8ELb0ES3_jPlPS6_PKS6_NS0_5tupleIJS9_S6_EEENSD_IJSA_SA_EEENS0_18inequality_wrapperIZN2at6native12_GLOBAL__N_124unique_dim_cuda_templateIsEESt5tupleIJNSH_6TensorESM_SM_EERKSM_lbbbEUlllE0_EEPmJS6_EEE10hipError_tPvRmT3_T4_T5_T6_T7_T9_mT8_P12ihipStream_tbDpT10_ENKUlT_T0_E_clISt17integral_constantIbLb0EES1C_EEDaS17_S18_EUlS17_E_NS1_11comp_targetILNS1_3genE2ELNS1_11target_archE906ELNS1_3gpuE6ELNS1_3repE0EEENS1_30default_config_static_selectorELNS0_4arch9wavefront6targetE0EEEvT1_,"axG",@progbits,_ZN7rocprim17ROCPRIM_400000_NS6detail17trampoline_kernelINS0_14default_configENS1_25partition_config_selectorILNS1_17partition_subalgoE8ElNS0_10empty_typeEbEEZZNS1_14partition_implILS5_8ELb0ES3_jPlPS6_PKS6_NS0_5tupleIJS9_S6_EEENSD_IJSA_SA_EEENS0_18inequality_wrapperIZN2at6native12_GLOBAL__N_124unique_dim_cuda_templateIsEESt5tupleIJNSH_6TensorESM_SM_EERKSM_lbbbEUlllE0_EEPmJS6_EEE10hipError_tPvRmT3_T4_T5_T6_T7_T9_mT8_P12ihipStream_tbDpT10_ENKUlT_T0_E_clISt17integral_constantIbLb0EES1C_EEDaS17_S18_EUlS17_E_NS1_11comp_targetILNS1_3genE2ELNS1_11target_archE906ELNS1_3gpuE6ELNS1_3repE0EEENS1_30default_config_static_selectorELNS0_4arch9wavefront6targetE0EEEvT1_,comdat
.Lfunc_end689:
	.size	_ZN7rocprim17ROCPRIM_400000_NS6detail17trampoline_kernelINS0_14default_configENS1_25partition_config_selectorILNS1_17partition_subalgoE8ElNS0_10empty_typeEbEEZZNS1_14partition_implILS5_8ELb0ES3_jPlPS6_PKS6_NS0_5tupleIJS9_S6_EEENSD_IJSA_SA_EEENS0_18inequality_wrapperIZN2at6native12_GLOBAL__N_124unique_dim_cuda_templateIsEESt5tupleIJNSH_6TensorESM_SM_EERKSM_lbbbEUlllE0_EEPmJS6_EEE10hipError_tPvRmT3_T4_T5_T6_T7_T9_mT8_P12ihipStream_tbDpT10_ENKUlT_T0_E_clISt17integral_constantIbLb0EES1C_EEDaS17_S18_EUlS17_E_NS1_11comp_targetILNS1_3genE2ELNS1_11target_archE906ELNS1_3gpuE6ELNS1_3repE0EEENS1_30default_config_static_selectorELNS0_4arch9wavefront6targetE0EEEvT1_, .Lfunc_end689-_ZN7rocprim17ROCPRIM_400000_NS6detail17trampoline_kernelINS0_14default_configENS1_25partition_config_selectorILNS1_17partition_subalgoE8ElNS0_10empty_typeEbEEZZNS1_14partition_implILS5_8ELb0ES3_jPlPS6_PKS6_NS0_5tupleIJS9_S6_EEENSD_IJSA_SA_EEENS0_18inequality_wrapperIZN2at6native12_GLOBAL__N_124unique_dim_cuda_templateIsEESt5tupleIJNSH_6TensorESM_SM_EERKSM_lbbbEUlllE0_EEPmJS6_EEE10hipError_tPvRmT3_T4_T5_T6_T7_T9_mT8_P12ihipStream_tbDpT10_ENKUlT_T0_E_clISt17integral_constantIbLb0EES1C_EEDaS17_S18_EUlS17_E_NS1_11comp_targetILNS1_3genE2ELNS1_11target_archE906ELNS1_3gpuE6ELNS1_3repE0EEENS1_30default_config_static_selectorELNS0_4arch9wavefront6targetE0EEEvT1_
                                        ; -- End function
	.section	.AMDGPU.csdata,"",@progbits
; Kernel info:
; codeLenInByte = 0
; NumSgprs: 0
; NumVgprs: 0
; ScratchSize: 0
; MemoryBound: 0
; FloatMode: 240
; IeeeMode: 1
; LDSByteSize: 0 bytes/workgroup (compile time only)
; SGPRBlocks: 0
; VGPRBlocks: 0
; NumSGPRsForWavesPerEU: 1
; NumVGPRsForWavesPerEU: 1
; Occupancy: 16
; WaveLimiterHint : 0
; COMPUTE_PGM_RSRC2:SCRATCH_EN: 0
; COMPUTE_PGM_RSRC2:USER_SGPR: 15
; COMPUTE_PGM_RSRC2:TRAP_HANDLER: 0
; COMPUTE_PGM_RSRC2:TGID_X_EN: 1
; COMPUTE_PGM_RSRC2:TGID_Y_EN: 0
; COMPUTE_PGM_RSRC2:TGID_Z_EN: 0
; COMPUTE_PGM_RSRC2:TIDIG_COMP_CNT: 0
	.section	.text._ZN7rocprim17ROCPRIM_400000_NS6detail17trampoline_kernelINS0_14default_configENS1_25partition_config_selectorILNS1_17partition_subalgoE8ElNS0_10empty_typeEbEEZZNS1_14partition_implILS5_8ELb0ES3_jPlPS6_PKS6_NS0_5tupleIJS9_S6_EEENSD_IJSA_SA_EEENS0_18inequality_wrapperIZN2at6native12_GLOBAL__N_124unique_dim_cuda_templateIsEESt5tupleIJNSH_6TensorESM_SM_EERKSM_lbbbEUlllE0_EEPmJS6_EEE10hipError_tPvRmT3_T4_T5_T6_T7_T9_mT8_P12ihipStream_tbDpT10_ENKUlT_T0_E_clISt17integral_constantIbLb0EES1C_EEDaS17_S18_EUlS17_E_NS1_11comp_targetILNS1_3genE10ELNS1_11target_archE1200ELNS1_3gpuE4ELNS1_3repE0EEENS1_30default_config_static_selectorELNS0_4arch9wavefront6targetE0EEEvT1_,"axG",@progbits,_ZN7rocprim17ROCPRIM_400000_NS6detail17trampoline_kernelINS0_14default_configENS1_25partition_config_selectorILNS1_17partition_subalgoE8ElNS0_10empty_typeEbEEZZNS1_14partition_implILS5_8ELb0ES3_jPlPS6_PKS6_NS0_5tupleIJS9_S6_EEENSD_IJSA_SA_EEENS0_18inequality_wrapperIZN2at6native12_GLOBAL__N_124unique_dim_cuda_templateIsEESt5tupleIJNSH_6TensorESM_SM_EERKSM_lbbbEUlllE0_EEPmJS6_EEE10hipError_tPvRmT3_T4_T5_T6_T7_T9_mT8_P12ihipStream_tbDpT10_ENKUlT_T0_E_clISt17integral_constantIbLb0EES1C_EEDaS17_S18_EUlS17_E_NS1_11comp_targetILNS1_3genE10ELNS1_11target_archE1200ELNS1_3gpuE4ELNS1_3repE0EEENS1_30default_config_static_selectorELNS0_4arch9wavefront6targetE0EEEvT1_,comdat
	.globl	_ZN7rocprim17ROCPRIM_400000_NS6detail17trampoline_kernelINS0_14default_configENS1_25partition_config_selectorILNS1_17partition_subalgoE8ElNS0_10empty_typeEbEEZZNS1_14partition_implILS5_8ELb0ES3_jPlPS6_PKS6_NS0_5tupleIJS9_S6_EEENSD_IJSA_SA_EEENS0_18inequality_wrapperIZN2at6native12_GLOBAL__N_124unique_dim_cuda_templateIsEESt5tupleIJNSH_6TensorESM_SM_EERKSM_lbbbEUlllE0_EEPmJS6_EEE10hipError_tPvRmT3_T4_T5_T6_T7_T9_mT8_P12ihipStream_tbDpT10_ENKUlT_T0_E_clISt17integral_constantIbLb0EES1C_EEDaS17_S18_EUlS17_E_NS1_11comp_targetILNS1_3genE10ELNS1_11target_archE1200ELNS1_3gpuE4ELNS1_3repE0EEENS1_30default_config_static_selectorELNS0_4arch9wavefront6targetE0EEEvT1_ ; -- Begin function _ZN7rocprim17ROCPRIM_400000_NS6detail17trampoline_kernelINS0_14default_configENS1_25partition_config_selectorILNS1_17partition_subalgoE8ElNS0_10empty_typeEbEEZZNS1_14partition_implILS5_8ELb0ES3_jPlPS6_PKS6_NS0_5tupleIJS9_S6_EEENSD_IJSA_SA_EEENS0_18inequality_wrapperIZN2at6native12_GLOBAL__N_124unique_dim_cuda_templateIsEESt5tupleIJNSH_6TensorESM_SM_EERKSM_lbbbEUlllE0_EEPmJS6_EEE10hipError_tPvRmT3_T4_T5_T6_T7_T9_mT8_P12ihipStream_tbDpT10_ENKUlT_T0_E_clISt17integral_constantIbLb0EES1C_EEDaS17_S18_EUlS17_E_NS1_11comp_targetILNS1_3genE10ELNS1_11target_archE1200ELNS1_3gpuE4ELNS1_3repE0EEENS1_30default_config_static_selectorELNS0_4arch9wavefront6targetE0EEEvT1_
	.p2align	8
	.type	_ZN7rocprim17ROCPRIM_400000_NS6detail17trampoline_kernelINS0_14default_configENS1_25partition_config_selectorILNS1_17partition_subalgoE8ElNS0_10empty_typeEbEEZZNS1_14partition_implILS5_8ELb0ES3_jPlPS6_PKS6_NS0_5tupleIJS9_S6_EEENSD_IJSA_SA_EEENS0_18inequality_wrapperIZN2at6native12_GLOBAL__N_124unique_dim_cuda_templateIsEESt5tupleIJNSH_6TensorESM_SM_EERKSM_lbbbEUlllE0_EEPmJS6_EEE10hipError_tPvRmT3_T4_T5_T6_T7_T9_mT8_P12ihipStream_tbDpT10_ENKUlT_T0_E_clISt17integral_constantIbLb0EES1C_EEDaS17_S18_EUlS17_E_NS1_11comp_targetILNS1_3genE10ELNS1_11target_archE1200ELNS1_3gpuE4ELNS1_3repE0EEENS1_30default_config_static_selectorELNS0_4arch9wavefront6targetE0EEEvT1_,@function
_ZN7rocprim17ROCPRIM_400000_NS6detail17trampoline_kernelINS0_14default_configENS1_25partition_config_selectorILNS1_17partition_subalgoE8ElNS0_10empty_typeEbEEZZNS1_14partition_implILS5_8ELb0ES3_jPlPS6_PKS6_NS0_5tupleIJS9_S6_EEENSD_IJSA_SA_EEENS0_18inequality_wrapperIZN2at6native12_GLOBAL__N_124unique_dim_cuda_templateIsEESt5tupleIJNSH_6TensorESM_SM_EERKSM_lbbbEUlllE0_EEPmJS6_EEE10hipError_tPvRmT3_T4_T5_T6_T7_T9_mT8_P12ihipStream_tbDpT10_ENKUlT_T0_E_clISt17integral_constantIbLb0EES1C_EEDaS17_S18_EUlS17_E_NS1_11comp_targetILNS1_3genE10ELNS1_11target_archE1200ELNS1_3gpuE4ELNS1_3repE0EEENS1_30default_config_static_selectorELNS0_4arch9wavefront6targetE0EEEvT1_: ; @_ZN7rocprim17ROCPRIM_400000_NS6detail17trampoline_kernelINS0_14default_configENS1_25partition_config_selectorILNS1_17partition_subalgoE8ElNS0_10empty_typeEbEEZZNS1_14partition_implILS5_8ELb0ES3_jPlPS6_PKS6_NS0_5tupleIJS9_S6_EEENSD_IJSA_SA_EEENS0_18inequality_wrapperIZN2at6native12_GLOBAL__N_124unique_dim_cuda_templateIsEESt5tupleIJNSH_6TensorESM_SM_EERKSM_lbbbEUlllE0_EEPmJS6_EEE10hipError_tPvRmT3_T4_T5_T6_T7_T9_mT8_P12ihipStream_tbDpT10_ENKUlT_T0_E_clISt17integral_constantIbLb0EES1C_EEDaS17_S18_EUlS17_E_NS1_11comp_targetILNS1_3genE10ELNS1_11target_archE1200ELNS1_3gpuE4ELNS1_3repE0EEENS1_30default_config_static_selectorELNS0_4arch9wavefront6targetE0EEEvT1_
; %bb.0:
	.section	.rodata,"a",@progbits
	.p2align	6, 0x0
	.amdhsa_kernel _ZN7rocprim17ROCPRIM_400000_NS6detail17trampoline_kernelINS0_14default_configENS1_25partition_config_selectorILNS1_17partition_subalgoE8ElNS0_10empty_typeEbEEZZNS1_14partition_implILS5_8ELb0ES3_jPlPS6_PKS6_NS0_5tupleIJS9_S6_EEENSD_IJSA_SA_EEENS0_18inequality_wrapperIZN2at6native12_GLOBAL__N_124unique_dim_cuda_templateIsEESt5tupleIJNSH_6TensorESM_SM_EERKSM_lbbbEUlllE0_EEPmJS6_EEE10hipError_tPvRmT3_T4_T5_T6_T7_T9_mT8_P12ihipStream_tbDpT10_ENKUlT_T0_E_clISt17integral_constantIbLb0EES1C_EEDaS17_S18_EUlS17_E_NS1_11comp_targetILNS1_3genE10ELNS1_11target_archE1200ELNS1_3gpuE4ELNS1_3repE0EEENS1_30default_config_static_selectorELNS0_4arch9wavefront6targetE0EEEvT1_
		.amdhsa_group_segment_fixed_size 0
		.amdhsa_private_segment_fixed_size 0
		.amdhsa_kernarg_size 120
		.amdhsa_user_sgpr_count 15
		.amdhsa_user_sgpr_dispatch_ptr 0
		.amdhsa_user_sgpr_queue_ptr 0
		.amdhsa_user_sgpr_kernarg_segment_ptr 1
		.amdhsa_user_sgpr_dispatch_id 0
		.amdhsa_user_sgpr_private_segment_size 0
		.amdhsa_wavefront_size32 1
		.amdhsa_uses_dynamic_stack 0
		.amdhsa_enable_private_segment 0
		.amdhsa_system_sgpr_workgroup_id_x 1
		.amdhsa_system_sgpr_workgroup_id_y 0
		.amdhsa_system_sgpr_workgroup_id_z 0
		.amdhsa_system_sgpr_workgroup_info 0
		.amdhsa_system_vgpr_workitem_id 0
		.amdhsa_next_free_vgpr 1
		.amdhsa_next_free_sgpr 1
		.amdhsa_reserve_vcc 0
		.amdhsa_float_round_mode_32 0
		.amdhsa_float_round_mode_16_64 0
		.amdhsa_float_denorm_mode_32 3
		.amdhsa_float_denorm_mode_16_64 3
		.amdhsa_dx10_clamp 1
		.amdhsa_ieee_mode 1
		.amdhsa_fp16_overflow 0
		.amdhsa_workgroup_processor_mode 1
		.amdhsa_memory_ordered 1
		.amdhsa_forward_progress 0
		.amdhsa_shared_vgpr_count 0
		.amdhsa_exception_fp_ieee_invalid_op 0
		.amdhsa_exception_fp_denorm_src 0
		.amdhsa_exception_fp_ieee_div_zero 0
		.amdhsa_exception_fp_ieee_overflow 0
		.amdhsa_exception_fp_ieee_underflow 0
		.amdhsa_exception_fp_ieee_inexact 0
		.amdhsa_exception_int_div_zero 0
	.end_amdhsa_kernel
	.section	.text._ZN7rocprim17ROCPRIM_400000_NS6detail17trampoline_kernelINS0_14default_configENS1_25partition_config_selectorILNS1_17partition_subalgoE8ElNS0_10empty_typeEbEEZZNS1_14partition_implILS5_8ELb0ES3_jPlPS6_PKS6_NS0_5tupleIJS9_S6_EEENSD_IJSA_SA_EEENS0_18inequality_wrapperIZN2at6native12_GLOBAL__N_124unique_dim_cuda_templateIsEESt5tupleIJNSH_6TensorESM_SM_EERKSM_lbbbEUlllE0_EEPmJS6_EEE10hipError_tPvRmT3_T4_T5_T6_T7_T9_mT8_P12ihipStream_tbDpT10_ENKUlT_T0_E_clISt17integral_constantIbLb0EES1C_EEDaS17_S18_EUlS17_E_NS1_11comp_targetILNS1_3genE10ELNS1_11target_archE1200ELNS1_3gpuE4ELNS1_3repE0EEENS1_30default_config_static_selectorELNS0_4arch9wavefront6targetE0EEEvT1_,"axG",@progbits,_ZN7rocprim17ROCPRIM_400000_NS6detail17trampoline_kernelINS0_14default_configENS1_25partition_config_selectorILNS1_17partition_subalgoE8ElNS0_10empty_typeEbEEZZNS1_14partition_implILS5_8ELb0ES3_jPlPS6_PKS6_NS0_5tupleIJS9_S6_EEENSD_IJSA_SA_EEENS0_18inequality_wrapperIZN2at6native12_GLOBAL__N_124unique_dim_cuda_templateIsEESt5tupleIJNSH_6TensorESM_SM_EERKSM_lbbbEUlllE0_EEPmJS6_EEE10hipError_tPvRmT3_T4_T5_T6_T7_T9_mT8_P12ihipStream_tbDpT10_ENKUlT_T0_E_clISt17integral_constantIbLb0EES1C_EEDaS17_S18_EUlS17_E_NS1_11comp_targetILNS1_3genE10ELNS1_11target_archE1200ELNS1_3gpuE4ELNS1_3repE0EEENS1_30default_config_static_selectorELNS0_4arch9wavefront6targetE0EEEvT1_,comdat
.Lfunc_end690:
	.size	_ZN7rocprim17ROCPRIM_400000_NS6detail17trampoline_kernelINS0_14default_configENS1_25partition_config_selectorILNS1_17partition_subalgoE8ElNS0_10empty_typeEbEEZZNS1_14partition_implILS5_8ELb0ES3_jPlPS6_PKS6_NS0_5tupleIJS9_S6_EEENSD_IJSA_SA_EEENS0_18inequality_wrapperIZN2at6native12_GLOBAL__N_124unique_dim_cuda_templateIsEESt5tupleIJNSH_6TensorESM_SM_EERKSM_lbbbEUlllE0_EEPmJS6_EEE10hipError_tPvRmT3_T4_T5_T6_T7_T9_mT8_P12ihipStream_tbDpT10_ENKUlT_T0_E_clISt17integral_constantIbLb0EES1C_EEDaS17_S18_EUlS17_E_NS1_11comp_targetILNS1_3genE10ELNS1_11target_archE1200ELNS1_3gpuE4ELNS1_3repE0EEENS1_30default_config_static_selectorELNS0_4arch9wavefront6targetE0EEEvT1_, .Lfunc_end690-_ZN7rocprim17ROCPRIM_400000_NS6detail17trampoline_kernelINS0_14default_configENS1_25partition_config_selectorILNS1_17partition_subalgoE8ElNS0_10empty_typeEbEEZZNS1_14partition_implILS5_8ELb0ES3_jPlPS6_PKS6_NS0_5tupleIJS9_S6_EEENSD_IJSA_SA_EEENS0_18inequality_wrapperIZN2at6native12_GLOBAL__N_124unique_dim_cuda_templateIsEESt5tupleIJNSH_6TensorESM_SM_EERKSM_lbbbEUlllE0_EEPmJS6_EEE10hipError_tPvRmT3_T4_T5_T6_T7_T9_mT8_P12ihipStream_tbDpT10_ENKUlT_T0_E_clISt17integral_constantIbLb0EES1C_EEDaS17_S18_EUlS17_E_NS1_11comp_targetILNS1_3genE10ELNS1_11target_archE1200ELNS1_3gpuE4ELNS1_3repE0EEENS1_30default_config_static_selectorELNS0_4arch9wavefront6targetE0EEEvT1_
                                        ; -- End function
	.section	.AMDGPU.csdata,"",@progbits
; Kernel info:
; codeLenInByte = 0
; NumSgprs: 0
; NumVgprs: 0
; ScratchSize: 0
; MemoryBound: 0
; FloatMode: 240
; IeeeMode: 1
; LDSByteSize: 0 bytes/workgroup (compile time only)
; SGPRBlocks: 0
; VGPRBlocks: 0
; NumSGPRsForWavesPerEU: 1
; NumVGPRsForWavesPerEU: 1
; Occupancy: 15
; WaveLimiterHint : 0
; COMPUTE_PGM_RSRC2:SCRATCH_EN: 0
; COMPUTE_PGM_RSRC2:USER_SGPR: 15
; COMPUTE_PGM_RSRC2:TRAP_HANDLER: 0
; COMPUTE_PGM_RSRC2:TGID_X_EN: 1
; COMPUTE_PGM_RSRC2:TGID_Y_EN: 0
; COMPUTE_PGM_RSRC2:TGID_Z_EN: 0
; COMPUTE_PGM_RSRC2:TIDIG_COMP_CNT: 0
	.section	.text._ZN7rocprim17ROCPRIM_400000_NS6detail17trampoline_kernelINS0_14default_configENS1_25partition_config_selectorILNS1_17partition_subalgoE8ElNS0_10empty_typeEbEEZZNS1_14partition_implILS5_8ELb0ES3_jPlPS6_PKS6_NS0_5tupleIJS9_S6_EEENSD_IJSA_SA_EEENS0_18inequality_wrapperIZN2at6native12_GLOBAL__N_124unique_dim_cuda_templateIsEESt5tupleIJNSH_6TensorESM_SM_EERKSM_lbbbEUlllE0_EEPmJS6_EEE10hipError_tPvRmT3_T4_T5_T6_T7_T9_mT8_P12ihipStream_tbDpT10_ENKUlT_T0_E_clISt17integral_constantIbLb0EES1C_EEDaS17_S18_EUlS17_E_NS1_11comp_targetILNS1_3genE9ELNS1_11target_archE1100ELNS1_3gpuE3ELNS1_3repE0EEENS1_30default_config_static_selectorELNS0_4arch9wavefront6targetE0EEEvT1_,"axG",@progbits,_ZN7rocprim17ROCPRIM_400000_NS6detail17trampoline_kernelINS0_14default_configENS1_25partition_config_selectorILNS1_17partition_subalgoE8ElNS0_10empty_typeEbEEZZNS1_14partition_implILS5_8ELb0ES3_jPlPS6_PKS6_NS0_5tupleIJS9_S6_EEENSD_IJSA_SA_EEENS0_18inequality_wrapperIZN2at6native12_GLOBAL__N_124unique_dim_cuda_templateIsEESt5tupleIJNSH_6TensorESM_SM_EERKSM_lbbbEUlllE0_EEPmJS6_EEE10hipError_tPvRmT3_T4_T5_T6_T7_T9_mT8_P12ihipStream_tbDpT10_ENKUlT_T0_E_clISt17integral_constantIbLb0EES1C_EEDaS17_S18_EUlS17_E_NS1_11comp_targetILNS1_3genE9ELNS1_11target_archE1100ELNS1_3gpuE3ELNS1_3repE0EEENS1_30default_config_static_selectorELNS0_4arch9wavefront6targetE0EEEvT1_,comdat
	.globl	_ZN7rocprim17ROCPRIM_400000_NS6detail17trampoline_kernelINS0_14default_configENS1_25partition_config_selectorILNS1_17partition_subalgoE8ElNS0_10empty_typeEbEEZZNS1_14partition_implILS5_8ELb0ES3_jPlPS6_PKS6_NS0_5tupleIJS9_S6_EEENSD_IJSA_SA_EEENS0_18inequality_wrapperIZN2at6native12_GLOBAL__N_124unique_dim_cuda_templateIsEESt5tupleIJNSH_6TensorESM_SM_EERKSM_lbbbEUlllE0_EEPmJS6_EEE10hipError_tPvRmT3_T4_T5_T6_T7_T9_mT8_P12ihipStream_tbDpT10_ENKUlT_T0_E_clISt17integral_constantIbLb0EES1C_EEDaS17_S18_EUlS17_E_NS1_11comp_targetILNS1_3genE9ELNS1_11target_archE1100ELNS1_3gpuE3ELNS1_3repE0EEENS1_30default_config_static_selectorELNS0_4arch9wavefront6targetE0EEEvT1_ ; -- Begin function _ZN7rocprim17ROCPRIM_400000_NS6detail17trampoline_kernelINS0_14default_configENS1_25partition_config_selectorILNS1_17partition_subalgoE8ElNS0_10empty_typeEbEEZZNS1_14partition_implILS5_8ELb0ES3_jPlPS6_PKS6_NS0_5tupleIJS9_S6_EEENSD_IJSA_SA_EEENS0_18inequality_wrapperIZN2at6native12_GLOBAL__N_124unique_dim_cuda_templateIsEESt5tupleIJNSH_6TensorESM_SM_EERKSM_lbbbEUlllE0_EEPmJS6_EEE10hipError_tPvRmT3_T4_T5_T6_T7_T9_mT8_P12ihipStream_tbDpT10_ENKUlT_T0_E_clISt17integral_constantIbLb0EES1C_EEDaS17_S18_EUlS17_E_NS1_11comp_targetILNS1_3genE9ELNS1_11target_archE1100ELNS1_3gpuE3ELNS1_3repE0EEENS1_30default_config_static_selectorELNS0_4arch9wavefront6targetE0EEEvT1_
	.p2align	8
	.type	_ZN7rocprim17ROCPRIM_400000_NS6detail17trampoline_kernelINS0_14default_configENS1_25partition_config_selectorILNS1_17partition_subalgoE8ElNS0_10empty_typeEbEEZZNS1_14partition_implILS5_8ELb0ES3_jPlPS6_PKS6_NS0_5tupleIJS9_S6_EEENSD_IJSA_SA_EEENS0_18inequality_wrapperIZN2at6native12_GLOBAL__N_124unique_dim_cuda_templateIsEESt5tupleIJNSH_6TensorESM_SM_EERKSM_lbbbEUlllE0_EEPmJS6_EEE10hipError_tPvRmT3_T4_T5_T6_T7_T9_mT8_P12ihipStream_tbDpT10_ENKUlT_T0_E_clISt17integral_constantIbLb0EES1C_EEDaS17_S18_EUlS17_E_NS1_11comp_targetILNS1_3genE9ELNS1_11target_archE1100ELNS1_3gpuE3ELNS1_3repE0EEENS1_30default_config_static_selectorELNS0_4arch9wavefront6targetE0EEEvT1_,@function
_ZN7rocprim17ROCPRIM_400000_NS6detail17trampoline_kernelINS0_14default_configENS1_25partition_config_selectorILNS1_17partition_subalgoE8ElNS0_10empty_typeEbEEZZNS1_14partition_implILS5_8ELb0ES3_jPlPS6_PKS6_NS0_5tupleIJS9_S6_EEENSD_IJSA_SA_EEENS0_18inequality_wrapperIZN2at6native12_GLOBAL__N_124unique_dim_cuda_templateIsEESt5tupleIJNSH_6TensorESM_SM_EERKSM_lbbbEUlllE0_EEPmJS6_EEE10hipError_tPvRmT3_T4_T5_T6_T7_T9_mT8_P12ihipStream_tbDpT10_ENKUlT_T0_E_clISt17integral_constantIbLb0EES1C_EEDaS17_S18_EUlS17_E_NS1_11comp_targetILNS1_3genE9ELNS1_11target_archE1100ELNS1_3gpuE3ELNS1_3repE0EEENS1_30default_config_static_selectorELNS0_4arch9wavefront6targetE0EEEvT1_: ; @_ZN7rocprim17ROCPRIM_400000_NS6detail17trampoline_kernelINS0_14default_configENS1_25partition_config_selectorILNS1_17partition_subalgoE8ElNS0_10empty_typeEbEEZZNS1_14partition_implILS5_8ELb0ES3_jPlPS6_PKS6_NS0_5tupleIJS9_S6_EEENSD_IJSA_SA_EEENS0_18inequality_wrapperIZN2at6native12_GLOBAL__N_124unique_dim_cuda_templateIsEESt5tupleIJNSH_6TensorESM_SM_EERKSM_lbbbEUlllE0_EEPmJS6_EEE10hipError_tPvRmT3_T4_T5_T6_T7_T9_mT8_P12ihipStream_tbDpT10_ENKUlT_T0_E_clISt17integral_constantIbLb0EES1C_EEDaS17_S18_EUlS17_E_NS1_11comp_targetILNS1_3genE9ELNS1_11target_archE1100ELNS1_3gpuE3ELNS1_3repE0EEENS1_30default_config_static_selectorELNS0_4arch9wavefront6targetE0EEEvT1_
; %bb.0:
	s_clause 0x3
	s_load_b128 s[4:7], s[0:1], 0x8
	s_load_b256 s[16:23], s[0:1], 0x40
	s_load_b32 s14, s[0:1], 0x70
	s_load_b128 s[8:11], s[0:1], 0x60
	s_mov_b32 s3, 0
	v_lshlrev_b32_e32 v39, 3, v0
	v_lshrrev_b32_e32 v17, 2, v0
	v_or_b32_e32 v24, 0x200, v0
	v_or_b32_e32 v22, 0x400, v0
	;; [unrolled: 1-line block ×7, first 2 shown]
	s_waitcnt lgkmcnt(0)
	s_lshl_b64 s[24:25], s[6:7], 3
	s_load_b64 s[12:13], s[18:19], 0x0
	s_add_u32 s26, s4, s24
	s_addc_u32 s5, s5, s25
	s_add_i32 s24, s14, -1
	s_lshl_b32 s14, s14, 12
	s_lshl_b32 s4, s24, 12
	;; [unrolled: 1-line block ×3, first 2 shown]
	s_add_i32 s4, s6, s4
	s_add_u32 s18, s6, s14
	s_addc_u32 s19, s7, 0
	s_cmp_eq_u32 s15, s24
	v_cmp_ge_u64_e64 s18, s[18:19], s[20:21]
	s_cselect_b32 s14, -1, 0
	s_lshl_b64 s[2:3], s[2:3], 3
	s_delay_alu instid0(VALU_DEP_1) | instskip(NEXT) | instid1(SALU_CYCLE_1)
	s_and_b32 s24, s14, s18
	s_xor_b32 s21, s24, -1
	s_add_u32 s2, s26, s2
	s_addc_u32 s3, s5, s3
	s_and_b32 vcc_lo, exec_lo, s21
	s_mov_b32 s5, -1
	s_cbranch_vccz .LBB691_2
; %bb.1:
	v_add_co_u32 v9, s5, s2, v39
	s_delay_alu instid0(VALU_DEP_1)
	v_add_co_ci_u32_e64 v10, null, s3, 0, s5
	global_load_b64 v[1:2], v39, s[2:3]
	v_add_co_u32 v3, vcc_lo, v9, 0x2000
	v_add_co_ci_u32_e32 v4, vcc_lo, 0, v10, vcc_lo
	v_add_co_u32 v5, vcc_lo, v9, 0x4000
	v_add_co_ci_u32_e32 v6, vcc_lo, 0, v10, vcc_lo
	;; [unrolled: 2-line block ×4, first 2 shown]
	s_clause 0x6
	global_load_b64 v[11:12], v[3:4], off offset:-4096
	global_load_b64 v[3:4], v[3:4], off
	global_load_b64 v[13:14], v[5:6], off offset:-4096
	global_load_b64 v[5:6], v[5:6], off
	;; [unrolled: 2-line block ×3, first 2 shown]
	global_load_b64 v[9:10], v[9:10], off
	v_lshrrev_b32_e32 v26, 2, v24
	v_lshrrev_b32_e32 v27, 2, v22
	;; [unrolled: 1-line block ×4, first 2 shown]
	v_and_b32_e32 v25, 0x78, v17
	v_lshrrev_b32_e32 v30, 2, v20
	v_lshrrev_b32_e32 v31, 2, v19
	;; [unrolled: 1-line block ×3, first 2 shown]
	v_and_b32_e32 v26, 0xf8, v26
	v_and_b32_e32 v27, 0x178, v27
	;; [unrolled: 1-line block ×4, first 2 shown]
	v_add_nc_u32_e32 v25, v25, v39
	v_and_b32_e32 v30, 0x2f8, v30
	v_and_b32_e32 v31, 0x378, v31
	;; [unrolled: 1-line block ×3, first 2 shown]
	v_add_nc_u32_e32 v26, v26, v39
	v_add_nc_u32_e32 v27, v27, v39
	;; [unrolled: 1-line block ×4, first 2 shown]
	s_mov_b32 s5, 0
	v_add_nc_u32_e32 v30, v30, v39
	v_add_nc_u32_e32 v31, v31, v39
	;; [unrolled: 1-line block ×3, first 2 shown]
	s_waitcnt vmcnt(7)
	ds_store_b64 v25, v[1:2]
	s_waitcnt vmcnt(6)
	ds_store_b64 v26, v[11:12] offset:4096
	s_waitcnt vmcnt(5)
	ds_store_b64 v27, v[3:4] offset:8192
	;; [unrolled: 2-line block ×7, first 2 shown]
	s_waitcnt lgkmcnt(0)
	s_barrier
.LBB691_2:
	s_and_not1_b32 vcc_lo, exec_lo, s5
	s_sub_i32 s20, s20, s4
	s_cbranch_vccnz .LBB691_13
; %bb.3:
	s_mov_b32 s4, exec_lo
                                        ; implicit-def: $vgpr1_vgpr2_vgpr3_vgpr4_vgpr5_vgpr6_vgpr7_vgpr8_vgpr9_vgpr10_vgpr11_vgpr12_vgpr13_vgpr14_vgpr15_vgpr16
	v_cmpx_gt_u32_e64 s20, v0
	s_cbranch_execnz .LBB691_23
; %bb.4:
	s_or_b32 exec_lo, exec_lo, s4
	s_delay_alu instid0(SALU_CYCLE_1)
	s_mov_b32 s4, exec_lo
	v_cmpx_gt_u32_e64 s20, v24
	s_cbranch_execnz .LBB691_24
.LBB691_5:
	s_or_b32 exec_lo, exec_lo, s4
	s_delay_alu instid0(SALU_CYCLE_1)
	s_mov_b32 s4, exec_lo
	v_cmpx_gt_u32_e64 s20, v22
	s_cbranch_execnz .LBB691_25
.LBB691_6:
	s_or_b32 exec_lo, exec_lo, s4
	s_delay_alu instid0(SALU_CYCLE_1)
	s_mov_b32 s4, exec_lo
	v_cmpx_gt_u32_e64 s20, v23
	s_cbranch_execnz .LBB691_26
.LBB691_7:
	s_or_b32 exec_lo, exec_lo, s4
	s_delay_alu instid0(SALU_CYCLE_1)
	s_mov_b32 s4, exec_lo
	v_cmpx_gt_u32_e64 s20, v21
	s_cbranch_execnz .LBB691_27
.LBB691_8:
	s_or_b32 exec_lo, exec_lo, s4
	s_delay_alu instid0(SALU_CYCLE_1)
	s_mov_b32 s4, exec_lo
	v_cmpx_gt_u32_e64 s20, v20
	s_cbranch_execnz .LBB691_28
.LBB691_9:
	s_or_b32 exec_lo, exec_lo, s4
	s_delay_alu instid0(SALU_CYCLE_1)
	s_mov_b32 s4, exec_lo
	v_cmpx_gt_u32_e64 s20, v19
	s_cbranch_execnz .LBB691_29
.LBB691_10:
	s_or_b32 exec_lo, exec_lo, s4
	s_delay_alu instid0(SALU_CYCLE_1)
	s_mov_b32 s4, exec_lo
	v_cmpx_gt_u32_e64 s20, v18
	s_cbranch_execz .LBB691_12
.LBB691_11:
	v_lshlrev_b32_e32 v15, 3, v18
	global_load_b64 v[15:16], v15, s[2:3]
.LBB691_12:
	s_or_b32 exec_lo, exec_lo, s4
	v_lshrrev_b32_e32 v24, 2, v24
	v_lshrrev_b32_e32 v22, 2, v22
	;; [unrolled: 1-line block ×4, first 2 shown]
	v_and_b32_e32 v25, 0x78, v17
	v_lshrrev_b32_e32 v20, 2, v20
	v_lshrrev_b32_e32 v19, 2, v19
	;; [unrolled: 1-line block ×3, first 2 shown]
	v_and_b32_e32 v24, 0xf8, v24
	v_and_b32_e32 v22, 0x1f8, v22
	;; [unrolled: 1-line block ×4, first 2 shown]
	v_add_nc_u32_e32 v25, v25, v39
	v_and_b32_e32 v20, 0x3f8, v20
	v_and_b32_e32 v19, 0x3f8, v19
	;; [unrolled: 1-line block ×3, first 2 shown]
	v_add_nc_u32_e32 v24, v24, v39
	v_add_nc_u32_e32 v22, v22, v39
	;; [unrolled: 1-line block ×7, first 2 shown]
	s_waitcnt vmcnt(0)
	ds_store_b64 v25, v[1:2]
	ds_store_b64 v24, v[3:4] offset:4096
	ds_store_b64 v22, v[5:6] offset:8192
	;; [unrolled: 1-line block ×7, first 2 shown]
	s_waitcnt lgkmcnt(0)
	s_barrier
.LBB691_13:
	v_add_lshl_u32 v1, v17, v39, 3
	s_waitcnt lgkmcnt(0)
	buffer_gl0_inv
	s_cmp_lg_u32 s15, 0
	v_cmp_gt_i64_e64 s26, s[22:23], 0
	s_cselect_b32 s25, -1, 0
	ds_load_2addr_b64 v[13:16], v1 offset1:1
	ds_load_2addr_b64 v[9:12], v1 offset0:2 offset1:3
	ds_load_2addr_b64 v[5:8], v1 offset0:4 offset1:5
	;; [unrolled: 1-line block ×3, first 2 shown]
	s_cmp_lg_u64 s[6:7], 0
	s_mov_b32 s18, 0
	s_cselect_b32 s4, -1, 0
	s_waitcnt lgkmcnt(0)
	s_or_b32 s4, s25, s4
	s_barrier
	s_and_b32 vcc_lo, exec_lo, s4
	buffer_gl0_inv
	s_cbranch_vccz .LBB691_22
; %bb.14:
	s_add_u32 s2, s2, -8
	s_addc_u32 s3, s3, -1
	v_cndmask_b32_e64 v25, 0, 1, s26
	s_load_b64 s[4:5], s[2:3], 0x0
	s_and_b32 vcc_lo, exec_lo, s21
	ds_store_b64 v39, v[3:4]
	v_cmp_ne_u32_e64 s2, 1, v25
	s_cbranch_vccz .LBB691_30
; %bb.15:
	v_mul_lo_u32 v19, v2, s22
	v_mul_lo_u32 v20, v1, s23
	v_mad_u64_u32 v[17:18], null, v1, s22, 0
	s_mov_b32 s3, 0
	s_and_b32 vcc_lo, exec_lo, s2
	s_mov_b32 s27, 0
	s_delay_alu instid0(VALU_DEP_1) | instskip(NEXT) | instid1(VALU_DEP_1)
	v_add3_u32 v18, v18, v20, v19
	v_lshlrev_b64 v[17:18], 1, v[17:18]
	s_cbranch_vccnz .LBB691_33
; %bb.16:
	v_mul_lo_u32 v21, v4, s22
	v_mul_lo_u32 v22, v3, s23
	v_mad_u64_u32 v[19:20], null, v3, s22, 0
	s_mov_b32 s27, -1
	s_mov_b32 s28, exec_lo
	s_delay_alu instid0(VALU_DEP_1) | instskip(SKIP_2) | instid1(VALU_DEP_3)
	v_add3_u32 v20, v20, v22, v21
	v_add_co_u32 v21, vcc_lo, s8, v17
	v_add_co_ci_u32_e32 v22, vcc_lo, s9, v18, vcc_lo
	v_lshlrev_b64 v[19:20], 1, v[19:20]
	s_delay_alu instid0(VALU_DEP_1) | instskip(NEXT) | instid1(VALU_DEP_2)
	v_add_co_u32 v19, vcc_lo, s8, v19
	v_add_co_ci_u32_e32 v20, vcc_lo, s9, v20, vcc_lo
	s_clause 0x1
	global_load_u16 v23, v[21:22], off
	global_load_u16 v24, v[19:20], off
	s_waitcnt vmcnt(0)
	v_cmpx_eq_u16_e64 v23, v24
	s_cbranch_execz .LBB691_32
; %bb.17:
	v_add_co_u32 v19, vcc_lo, v19, 2
	v_add_co_ci_u32_e32 v20, vcc_lo, 0, v20, vcc_lo
	v_add_co_u32 v21, vcc_lo, v21, 2
	v_add_co_ci_u32_e32 v22, vcc_lo, 0, v22, vcc_lo
	s_add_u32 s6, s22, -1
	s_addc_u32 s7, s23, -1
	s_mov_b64 s[18:19], 0
	s_mov_b32 s27, 0
                                        ; implicit-def: $sgpr29
	s_set_inst_prefetch_distance 0x1
	s_branch .LBB691_20
	.p2align	6
.LBB691_18:                             ;   in Loop: Header=BB691_20 Depth=1
	global_load_u16 v23, v[21:22], off
	global_load_u16 v24, v[19:20], off
	v_add_co_u32 v19, vcc_lo, v19, 2
	v_add_co_ci_u32_e32 v20, vcc_lo, 0, v20, vcc_lo
	v_add_co_u32 v21, s2, v21, 2
	s_delay_alu instid0(VALU_DEP_1)
	v_add_co_ci_u32_e64 v22, s2, 0, v22, s2
	s_add_u32 s18, s18, 1
	s_addc_u32 s19, s19, 0
	s_and_not1_b32 s2, s29, exec_lo
	s_waitcnt vmcnt(0)
	v_cmp_ne_u16_e32 vcc_lo, v23, v24
	s_and_b32 s29, vcc_lo, exec_lo
	s_delay_alu instid0(SALU_CYCLE_1)
	s_or_b32 s29, s2, s29
.LBB691_19:                             ;   in Loop: Header=BB691_20 Depth=1
	v_dual_mov_b32 v24, s19 :: v_dual_mov_b32 v23, s18
	s_and_b32 s2, exec_lo, s29
	s_delay_alu instid0(SALU_CYCLE_1) | instskip(NEXT) | instid1(SALU_CYCLE_1)
	s_or_b32 s27, s2, s27
	s_and_not1_b32 exec_lo, exec_lo, s27
	s_cbranch_execz .LBB691_31
.LBB691_20:                             ; =>This Inner Loop Header: Depth=1
	s_or_b32 s29, s29, exec_lo
	s_cmp_eq_u64 s[6:7], s[18:19]
	s_cbranch_scc0 .LBB691_18
; %bb.21:                               ;   in Loop: Header=BB691_20 Depth=1
	s_mov_b64 s[18:19], s[22:23]
                                        ; implicit-def: $vgpr19_vgpr20
                                        ; implicit-def: $vgpr21_vgpr22
	s_branch .LBB691_19
.LBB691_22:
                                        ; implicit-def: $sgpr2
                                        ; implicit-def: $vgpr18
	s_branch .LBB691_191
.LBB691_23:
	global_load_b64 v[1:2], v39, s[2:3]
	s_or_b32 exec_lo, exec_lo, s4
	s_delay_alu instid0(SALU_CYCLE_1)
	s_mov_b32 s4, exec_lo
	v_cmpx_gt_u32_e64 s20, v24
	s_cbranch_execz .LBB691_5
.LBB691_24:
	v_lshlrev_b32_e32 v3, 3, v24
	global_load_b64 v[3:4], v3, s[2:3]
	s_or_b32 exec_lo, exec_lo, s4
	s_delay_alu instid0(SALU_CYCLE_1)
	s_mov_b32 s4, exec_lo
	v_cmpx_gt_u32_e64 s20, v22
	s_cbranch_execz .LBB691_6
.LBB691_25:
	v_lshlrev_b32_e32 v5, 3, v22
	global_load_b64 v[5:6], v5, s[2:3]
	s_or_b32 exec_lo, exec_lo, s4
	s_delay_alu instid0(SALU_CYCLE_1)
	s_mov_b32 s4, exec_lo
	v_cmpx_gt_u32_e64 s20, v23
	s_cbranch_execz .LBB691_7
.LBB691_26:
	v_lshlrev_b32_e32 v7, 3, v23
	global_load_b64 v[7:8], v7, s[2:3]
	s_or_b32 exec_lo, exec_lo, s4
	s_delay_alu instid0(SALU_CYCLE_1)
	s_mov_b32 s4, exec_lo
	v_cmpx_gt_u32_e64 s20, v21
	s_cbranch_execz .LBB691_8
.LBB691_27:
	v_lshlrev_b32_e32 v9, 3, v21
	global_load_b64 v[9:10], v9, s[2:3]
	s_or_b32 exec_lo, exec_lo, s4
	s_delay_alu instid0(SALU_CYCLE_1)
	s_mov_b32 s4, exec_lo
	v_cmpx_gt_u32_e64 s20, v20
	s_cbranch_execz .LBB691_9
.LBB691_28:
	v_lshlrev_b32_e32 v11, 3, v20
	global_load_b64 v[11:12], v11, s[2:3]
	s_or_b32 exec_lo, exec_lo, s4
	s_delay_alu instid0(SALU_CYCLE_1)
	s_mov_b32 s4, exec_lo
	v_cmpx_gt_u32_e64 s20, v19
	s_cbranch_execz .LBB691_10
.LBB691_29:
	v_lshlrev_b32_e32 v13, 3, v19
	global_load_b64 v[13:14], v13, s[2:3]
	s_or_b32 exec_lo, exec_lo, s4
	s_delay_alu instid0(SALU_CYCLE_1)
	s_mov_b32 s4, exec_lo
	v_cmpx_gt_u32_e64 s20, v18
	s_cbranch_execnz .LBB691_11
	s_branch .LBB691_12
.LBB691_30:
                                        ; implicit-def: $sgpr2
                                        ; implicit-def: $vgpr18
	s_cbranch_execnz .LBB691_99
	s_branch .LBB691_190
.LBB691_31:
	s_set_inst_prefetch_distance 0x2
	s_or_b32 exec_lo, exec_lo, s27
	v_cmp_gt_i64_e32 vcc_lo, s[22:23], v[23:24]
	s_or_not1_b32 s27, vcc_lo, exec_lo
.LBB691_32:
	s_or_b32 exec_lo, exec_lo, s28
.LBB691_33:
	v_mul_lo_u32 v21, v8, s22
	v_mul_lo_u32 v22, v7, s23
	v_mad_u64_u32 v[19:20], null, v7, s22, 0
	s_and_not1_b32 vcc_lo, exec_lo, s26
	s_delay_alu instid0(VALU_DEP_1) | instskip(NEXT) | instid1(VALU_DEP_1)
	v_add3_u32 v20, v20, v22, v21
	v_lshlrev_b64 v[19:20], 1, v[19:20]
	s_cbranch_vccnz .LBB691_42
; %bb.34:
	s_delay_alu instid0(VALU_DEP_1) | instskip(NEXT) | instid1(VALU_DEP_2)
	v_add_co_u32 v21, vcc_lo, s8, v19
	v_add_co_ci_u32_e32 v22, vcc_lo, s9, v20, vcc_lo
	v_add_co_u32 v17, vcc_lo, s8, v17
	v_add_co_ci_u32_e32 v18, vcc_lo, s9, v18, vcc_lo
	s_mov_b32 s3, -1
	s_clause 0x1
	global_load_u16 v23, v[21:22], off
	global_load_u16 v24, v[17:18], off
	s_mov_b32 s28, exec_lo
	s_waitcnt vmcnt(0)
	v_cmpx_eq_u16_e64 v23, v24
	s_cbranch_execz .LBB691_41
; %bb.35:
	v_add_co_u32 v17, vcc_lo, v17, 2
	v_add_co_ci_u32_e32 v18, vcc_lo, 0, v18, vcc_lo
	v_add_co_u32 v21, vcc_lo, v21, 2
	v_add_co_ci_u32_e32 v22, vcc_lo, 0, v22, vcc_lo
	s_add_u32 s6, s22, -1
	s_addc_u32 s7, s23, -1
	s_mov_b64 s[18:19], 0
	s_mov_b32 s3, 0
                                        ; implicit-def: $sgpr29
	s_set_inst_prefetch_distance 0x1
	s_branch .LBB691_38
	.p2align	6
.LBB691_36:                             ;   in Loop: Header=BB691_38 Depth=1
	global_load_u16 v23, v[21:22], off
	global_load_u16 v24, v[17:18], off
	v_add_co_u32 v17, vcc_lo, v17, 2
	v_add_co_ci_u32_e32 v18, vcc_lo, 0, v18, vcc_lo
	v_add_co_u32 v21, s2, v21, 2
	s_delay_alu instid0(VALU_DEP_1)
	v_add_co_ci_u32_e64 v22, s2, 0, v22, s2
	s_add_u32 s18, s18, 1
	s_addc_u32 s19, s19, 0
	s_and_not1_b32 s2, s29, exec_lo
	s_waitcnt vmcnt(0)
	v_cmp_ne_u16_e32 vcc_lo, v23, v24
	s_and_b32 s29, vcc_lo, exec_lo
	s_delay_alu instid0(SALU_CYCLE_1)
	s_or_b32 s29, s2, s29
.LBB691_37:                             ;   in Loop: Header=BB691_38 Depth=1
	v_dual_mov_b32 v24, s19 :: v_dual_mov_b32 v23, s18
	s_and_b32 s2, exec_lo, s29
	s_delay_alu instid0(SALU_CYCLE_1) | instskip(NEXT) | instid1(SALU_CYCLE_1)
	s_or_b32 s3, s2, s3
	s_and_not1_b32 exec_lo, exec_lo, s3
	s_cbranch_execz .LBB691_40
.LBB691_38:                             ; =>This Inner Loop Header: Depth=1
	s_or_b32 s29, s29, exec_lo
	s_cmp_eq_u64 s[6:7], s[18:19]
	s_cbranch_scc0 .LBB691_36
; %bb.39:                               ;   in Loop: Header=BB691_38 Depth=1
	s_mov_b64 s[18:19], s[22:23]
                                        ; implicit-def: $vgpr17_vgpr18
                                        ; implicit-def: $vgpr21_vgpr22
	s_branch .LBB691_37
.LBB691_40:
	s_set_inst_prefetch_distance 0x2
	s_or_b32 exec_lo, exec_lo, s3
	v_cmp_gt_i64_e32 vcc_lo, s[22:23], v[23:24]
	s_or_not1_b32 s3, vcc_lo, exec_lo
.LBB691_41:
	s_or_b32 exec_lo, exec_lo, s28
.LBB691_42:
	v_mul_lo_u32 v21, v6, s22
	v_mul_lo_u32 v22, v5, s23
	v_mad_u64_u32 v[17:18], null, v5, s22, 0
	s_mov_b32 s28, 0
	s_and_not1_b32 vcc_lo, exec_lo, s26
	s_mov_b32 s29, 0
	s_delay_alu instid0(VALU_DEP_1) | instskip(NEXT) | instid1(VALU_DEP_1)
	v_add3_u32 v18, v18, v22, v21
	v_lshlrev_b64 v[21:22], 1, v[17:18]
	s_cbranch_vccnz .LBB691_51
; %bb.43:
	s_delay_alu instid0(VALU_DEP_1) | instskip(NEXT) | instid1(VALU_DEP_2)
	v_add_co_u32 v23, vcc_lo, s8, v21
	v_add_co_ci_u32_e32 v24, vcc_lo, s9, v22, vcc_lo
	v_add_co_u32 v17, vcc_lo, s8, v19
	v_add_co_ci_u32_e32 v18, vcc_lo, s9, v20, vcc_lo
	s_mov_b32 s29, -1
	s_clause 0x1
	global_load_u16 v19, v[23:24], off
	global_load_u16 v20, v[17:18], off
	s_mov_b32 s30, exec_lo
	s_waitcnt vmcnt(0)
	v_cmpx_eq_u16_e64 v19, v20
	s_cbranch_execz .LBB691_50
; %bb.44:
	v_add_co_u32 v17, vcc_lo, v17, 2
	v_add_co_ci_u32_e32 v18, vcc_lo, 0, v18, vcc_lo
	v_add_co_u32 v19, vcc_lo, v23, 2
	v_add_co_ci_u32_e32 v20, vcc_lo, 0, v24, vcc_lo
	s_add_u32 s6, s22, -1
	s_addc_u32 s7, s23, -1
	s_mov_b64 s[18:19], 0
	s_mov_b32 s29, 0
                                        ; implicit-def: $sgpr31
	s_set_inst_prefetch_distance 0x1
	s_branch .LBB691_47
	.p2align	6
.LBB691_45:                             ;   in Loop: Header=BB691_47 Depth=1
	global_load_u16 v23, v[19:20], off
	global_load_u16 v24, v[17:18], off
	v_add_co_u32 v17, vcc_lo, v17, 2
	v_add_co_ci_u32_e32 v18, vcc_lo, 0, v18, vcc_lo
	v_add_co_u32 v19, s2, v19, 2
	s_delay_alu instid0(VALU_DEP_1)
	v_add_co_ci_u32_e64 v20, s2, 0, v20, s2
	s_add_u32 s18, s18, 1
	s_addc_u32 s19, s19, 0
	s_and_not1_b32 s2, s31, exec_lo
	s_waitcnt vmcnt(0)
	v_cmp_ne_u16_e32 vcc_lo, v23, v24
	s_and_b32 s31, vcc_lo, exec_lo
	s_delay_alu instid0(SALU_CYCLE_1)
	s_or_b32 s31, s2, s31
.LBB691_46:                             ;   in Loop: Header=BB691_47 Depth=1
	v_dual_mov_b32 v24, s19 :: v_dual_mov_b32 v23, s18
	s_and_b32 s2, exec_lo, s31
	s_delay_alu instid0(SALU_CYCLE_1) | instskip(NEXT) | instid1(SALU_CYCLE_1)
	s_or_b32 s29, s2, s29
	s_and_not1_b32 exec_lo, exec_lo, s29
	s_cbranch_execz .LBB691_49
.LBB691_47:                             ; =>This Inner Loop Header: Depth=1
	s_or_b32 s31, s31, exec_lo
	s_cmp_eq_u64 s[6:7], s[18:19]
	s_cbranch_scc0 .LBB691_45
; %bb.48:                               ;   in Loop: Header=BB691_47 Depth=1
	s_mov_b64 s[18:19], s[22:23]
                                        ; implicit-def: $vgpr17_vgpr18
                                        ; implicit-def: $vgpr19_vgpr20
	s_branch .LBB691_46
.LBB691_49:
	s_set_inst_prefetch_distance 0x2
	s_or_b32 exec_lo, exec_lo, s29
	v_cmp_gt_i64_e32 vcc_lo, s[22:23], v[23:24]
	s_or_not1_b32 s29, vcc_lo, exec_lo
.LBB691_50:
	s_or_b32 exec_lo, exec_lo, s30
.LBB691_51:
	v_mul_lo_u32 v19, v12, s22
	v_mul_lo_u32 v20, v11, s23
	v_mad_u64_u32 v[17:18], null, v11, s22, 0
	s_and_not1_b32 vcc_lo, exec_lo, s26
	s_delay_alu instid0(VALU_DEP_1) | instskip(NEXT) | instid1(VALU_DEP_1)
	v_add3_u32 v18, v18, v20, v19
	v_lshlrev_b64 v[17:18], 1, v[17:18]
	s_cbranch_vccnz .LBB691_60
; %bb.52:
	s_delay_alu instid0(VALU_DEP_1) | instskip(NEXT) | instid1(VALU_DEP_2)
	v_add_co_u32 v23, vcc_lo, s8, v17
	v_add_co_ci_u32_e32 v24, vcc_lo, s9, v18, vcc_lo
	v_add_co_u32 v19, vcc_lo, s8, v21
	v_add_co_ci_u32_e32 v20, vcc_lo, s9, v22, vcc_lo
	s_mov_b32 s28, -1
	s_clause 0x1
	global_load_u16 v21, v[23:24], off
	global_load_u16 v22, v[19:20], off
	s_mov_b32 s30, exec_lo
	s_waitcnt vmcnt(0)
	v_cmpx_eq_u16_e64 v21, v22
	s_cbranch_execz .LBB691_59
; %bb.53:
	v_add_co_u32 v19, vcc_lo, v19, 2
	v_add_co_ci_u32_e32 v20, vcc_lo, 0, v20, vcc_lo
	v_add_co_u32 v21, vcc_lo, v23, 2
	v_add_co_ci_u32_e32 v22, vcc_lo, 0, v24, vcc_lo
	s_add_u32 s6, s22, -1
	s_addc_u32 s7, s23, -1
	s_mov_b64 s[18:19], 0
	s_mov_b32 s28, 0
                                        ; implicit-def: $sgpr31
	s_set_inst_prefetch_distance 0x1
	s_branch .LBB691_56
	.p2align	6
.LBB691_54:                             ;   in Loop: Header=BB691_56 Depth=1
	global_load_u16 v23, v[21:22], off
	global_load_u16 v24, v[19:20], off
	v_add_co_u32 v19, vcc_lo, v19, 2
	v_add_co_ci_u32_e32 v20, vcc_lo, 0, v20, vcc_lo
	v_add_co_u32 v21, s2, v21, 2
	s_delay_alu instid0(VALU_DEP_1)
	v_add_co_ci_u32_e64 v22, s2, 0, v22, s2
	s_add_u32 s18, s18, 1
	s_addc_u32 s19, s19, 0
	s_and_not1_b32 s2, s31, exec_lo
	s_waitcnt vmcnt(0)
	v_cmp_ne_u16_e32 vcc_lo, v23, v24
	s_and_b32 s31, vcc_lo, exec_lo
	s_delay_alu instid0(SALU_CYCLE_1)
	s_or_b32 s31, s2, s31
.LBB691_55:                             ;   in Loop: Header=BB691_56 Depth=1
	v_dual_mov_b32 v24, s19 :: v_dual_mov_b32 v23, s18
	s_and_b32 s2, exec_lo, s31
	s_delay_alu instid0(SALU_CYCLE_1) | instskip(NEXT) | instid1(SALU_CYCLE_1)
	s_or_b32 s28, s2, s28
	s_and_not1_b32 exec_lo, exec_lo, s28
	s_cbranch_execz .LBB691_58
.LBB691_56:                             ; =>This Inner Loop Header: Depth=1
	s_or_b32 s31, s31, exec_lo
	s_cmp_eq_u64 s[6:7], s[18:19]
	s_cbranch_scc0 .LBB691_54
; %bb.57:                               ;   in Loop: Header=BB691_56 Depth=1
	s_mov_b64 s[18:19], s[22:23]
                                        ; implicit-def: $vgpr19_vgpr20
                                        ; implicit-def: $vgpr21_vgpr22
	s_branch .LBB691_55
.LBB691_58:
	s_set_inst_prefetch_distance 0x2
	s_or_b32 exec_lo, exec_lo, s28
	v_cmp_gt_i64_e32 vcc_lo, s[22:23], v[23:24]
	s_or_not1_b32 s28, vcc_lo, exec_lo
.LBB691_59:
	s_or_b32 exec_lo, exec_lo, s30
.LBB691_60:
	v_mul_lo_u32 v21, v10, s22
	v_mul_lo_u32 v22, v9, s23
	v_mad_u64_u32 v[19:20], null, v9, s22, 0
	s_mov_b32 s30, 0
	s_and_not1_b32 vcc_lo, exec_lo, s26
	s_mov_b32 s31, 0
	s_delay_alu instid0(VALU_DEP_1) | instskip(NEXT) | instid1(VALU_DEP_1)
	v_add3_u32 v20, v20, v22, v21
	v_lshlrev_b64 v[21:22], 1, v[19:20]
	s_cbranch_vccnz .LBB691_69
; %bb.61:
	s_delay_alu instid0(VALU_DEP_1) | instskip(NEXT) | instid1(VALU_DEP_2)
	v_add_co_u32 v19, vcc_lo, s8, v21
	v_add_co_ci_u32_e32 v20, vcc_lo, s9, v22, vcc_lo
	v_add_co_u32 v17, vcc_lo, s8, v17
	v_add_co_ci_u32_e32 v18, vcc_lo, s9, v18, vcc_lo
	s_mov_b32 s31, -1
	s_clause 0x1
	global_load_u16 v23, v[19:20], off
	global_load_u16 v24, v[17:18], off
	s_mov_b32 s33, exec_lo
	s_waitcnt vmcnt(0)
	v_cmpx_eq_u16_e64 v23, v24
	s_cbranch_execz .LBB691_68
; %bb.62:
	v_add_co_u32 v17, vcc_lo, v17, 2
	v_add_co_ci_u32_e32 v18, vcc_lo, 0, v18, vcc_lo
	v_add_co_u32 v19, vcc_lo, v19, 2
	v_add_co_ci_u32_e32 v20, vcc_lo, 0, v20, vcc_lo
	s_add_u32 s6, s22, -1
	s_addc_u32 s7, s23, -1
	s_mov_b64 s[18:19], 0
	s_mov_b32 s31, 0
                                        ; implicit-def: $sgpr34
	s_set_inst_prefetch_distance 0x1
	s_branch .LBB691_65
	.p2align	6
.LBB691_63:                             ;   in Loop: Header=BB691_65 Depth=1
	global_load_u16 v23, v[19:20], off
	global_load_u16 v24, v[17:18], off
	v_add_co_u32 v17, vcc_lo, v17, 2
	v_add_co_ci_u32_e32 v18, vcc_lo, 0, v18, vcc_lo
	v_add_co_u32 v19, s2, v19, 2
	s_delay_alu instid0(VALU_DEP_1)
	v_add_co_ci_u32_e64 v20, s2, 0, v20, s2
	s_add_u32 s18, s18, 1
	s_addc_u32 s19, s19, 0
	s_and_not1_b32 s2, s34, exec_lo
	s_waitcnt vmcnt(0)
	v_cmp_ne_u16_e32 vcc_lo, v23, v24
	s_and_b32 s34, vcc_lo, exec_lo
	s_delay_alu instid0(SALU_CYCLE_1)
	s_or_b32 s34, s2, s34
.LBB691_64:                             ;   in Loop: Header=BB691_65 Depth=1
	v_dual_mov_b32 v24, s19 :: v_dual_mov_b32 v23, s18
	s_and_b32 s2, exec_lo, s34
	s_delay_alu instid0(SALU_CYCLE_1) | instskip(NEXT) | instid1(SALU_CYCLE_1)
	s_or_b32 s31, s2, s31
	s_and_not1_b32 exec_lo, exec_lo, s31
	s_cbranch_execz .LBB691_67
.LBB691_65:                             ; =>This Inner Loop Header: Depth=1
	s_or_b32 s34, s34, exec_lo
	s_cmp_eq_u64 s[6:7], s[18:19]
	s_cbranch_scc0 .LBB691_63
; %bb.66:                               ;   in Loop: Header=BB691_65 Depth=1
	s_mov_b64 s[18:19], s[22:23]
                                        ; implicit-def: $vgpr17_vgpr18
                                        ; implicit-def: $vgpr19_vgpr20
	s_branch .LBB691_64
.LBB691_67:
	s_set_inst_prefetch_distance 0x2
	s_or_b32 exec_lo, exec_lo, s31
	v_cmp_gt_i64_e32 vcc_lo, s[22:23], v[23:24]
	s_or_not1_b32 s31, vcc_lo, exec_lo
.LBB691_68:
	s_or_b32 exec_lo, exec_lo, s33
.LBB691_69:
	v_mul_lo_u32 v19, v16, s22
	v_mul_lo_u32 v20, v15, s23
	v_mad_u64_u32 v[17:18], null, v15, s22, 0
	s_and_not1_b32 vcc_lo, exec_lo, s26
	s_delay_alu instid0(VALU_DEP_1) | instskip(NEXT) | instid1(VALU_DEP_1)
	v_add3_u32 v18, v18, v20, v19
	v_lshlrev_b64 v[19:20], 1, v[17:18]
	s_cbranch_vccnz .LBB691_78
; %bb.70:
	s_delay_alu instid0(VALU_DEP_1) | instskip(NEXT) | instid1(VALU_DEP_2)
	v_add_co_u32 v23, vcc_lo, s8, v19
	v_add_co_ci_u32_e32 v24, vcc_lo, s9, v20, vcc_lo
	v_add_co_u32 v17, vcc_lo, s8, v21
	v_add_co_ci_u32_e32 v18, vcc_lo, s9, v22, vcc_lo
	s_mov_b32 s30, -1
	s_clause 0x1
	global_load_u16 v21, v[23:24], off
	global_load_u16 v22, v[17:18], off
	s_mov_b32 s33, exec_lo
	s_waitcnt vmcnt(0)
	v_cmpx_eq_u16_e64 v21, v22
	s_cbranch_execz .LBB691_77
; %bb.71:
	v_add_co_u32 v17, vcc_lo, v17, 2
	v_add_co_ci_u32_e32 v18, vcc_lo, 0, v18, vcc_lo
	v_add_co_u32 v21, vcc_lo, v23, 2
	v_add_co_ci_u32_e32 v22, vcc_lo, 0, v24, vcc_lo
	s_add_u32 s6, s22, -1
	s_addc_u32 s7, s23, -1
	s_mov_b64 s[18:19], 0
	s_mov_b32 s30, 0
                                        ; implicit-def: $sgpr34
	s_set_inst_prefetch_distance 0x1
	s_branch .LBB691_74
	.p2align	6
.LBB691_72:                             ;   in Loop: Header=BB691_74 Depth=1
	global_load_u16 v23, v[21:22], off
	global_load_u16 v24, v[17:18], off
	v_add_co_u32 v17, vcc_lo, v17, 2
	v_add_co_ci_u32_e32 v18, vcc_lo, 0, v18, vcc_lo
	v_add_co_u32 v21, s2, v21, 2
	s_delay_alu instid0(VALU_DEP_1)
	v_add_co_ci_u32_e64 v22, s2, 0, v22, s2
	s_add_u32 s18, s18, 1
	s_addc_u32 s19, s19, 0
	s_and_not1_b32 s2, s34, exec_lo
	s_waitcnt vmcnt(0)
	v_cmp_ne_u16_e32 vcc_lo, v23, v24
	s_and_b32 s34, vcc_lo, exec_lo
	s_delay_alu instid0(SALU_CYCLE_1)
	s_or_b32 s34, s2, s34
.LBB691_73:                             ;   in Loop: Header=BB691_74 Depth=1
	v_dual_mov_b32 v24, s19 :: v_dual_mov_b32 v23, s18
	s_and_b32 s2, exec_lo, s34
	s_delay_alu instid0(SALU_CYCLE_1) | instskip(NEXT) | instid1(SALU_CYCLE_1)
	s_or_b32 s30, s2, s30
	s_and_not1_b32 exec_lo, exec_lo, s30
	s_cbranch_execz .LBB691_76
.LBB691_74:                             ; =>This Inner Loop Header: Depth=1
	s_or_b32 s34, s34, exec_lo
	s_cmp_eq_u64 s[6:7], s[18:19]
	s_cbranch_scc0 .LBB691_72
; %bb.75:                               ;   in Loop: Header=BB691_74 Depth=1
	s_mov_b64 s[18:19], s[22:23]
                                        ; implicit-def: $vgpr17_vgpr18
                                        ; implicit-def: $vgpr21_vgpr22
	s_branch .LBB691_73
.LBB691_76:
	s_set_inst_prefetch_distance 0x2
	s_or_b32 exec_lo, exec_lo, s30
	v_cmp_gt_i64_e32 vcc_lo, s[22:23], v[23:24]
	s_or_not1_b32 s30, vcc_lo, exec_lo
.LBB691_77:
	s_or_b32 exec_lo, exec_lo, s33
.LBB691_78:
	v_mul_lo_u32 v21, v14, s22
	v_mul_lo_u32 v22, v13, s23
	v_mad_u64_u32 v[17:18], null, v13, s22, 0
	s_and_not1_b32 vcc_lo, exec_lo, s26
	s_mov_b32 s2, 0
	s_delay_alu instid0(VALU_DEP_1) | instskip(NEXT) | instid1(VALU_DEP_1)
	v_add3_u32 v18, v18, v22, v21
	v_lshlrev_b64 v[17:18], 1, v[17:18]
	s_cbranch_vccnz .LBB691_87
; %bb.79:
	s_delay_alu instid0(VALU_DEP_1) | instskip(NEXT) | instid1(VALU_DEP_2)
	v_add_co_u32 v21, vcc_lo, s8, v17
	v_add_co_ci_u32_e32 v22, vcc_lo, s9, v18, vcc_lo
	v_add_co_u32 v19, vcc_lo, s8, v19
	v_add_co_ci_u32_e32 v20, vcc_lo, s9, v20, vcc_lo
	s_mov_b32 s2, -1
	s_clause 0x1
	global_load_u16 v23, v[21:22], off
	global_load_u16 v24, v[19:20], off
	s_mov_b32 s33, exec_lo
	s_waitcnt vmcnt(0)
	v_cmpx_eq_u16_e64 v23, v24
	s_cbranch_execz .LBB691_86
; %bb.80:
	v_add_co_u32 v19, vcc_lo, v19, 2
	v_add_co_ci_u32_e32 v20, vcc_lo, 0, v20, vcc_lo
	v_add_co_u32 v21, vcc_lo, v21, 2
	v_add_co_ci_u32_e32 v22, vcc_lo, 0, v22, vcc_lo
	s_add_u32 s6, s22, -1
	s_addc_u32 s7, s23, -1
	s_mov_b64 s[18:19], 0
	s_mov_b32 s34, 0
                                        ; implicit-def: $sgpr35
	s_set_inst_prefetch_distance 0x1
	s_branch .LBB691_83
	.p2align	6
.LBB691_81:                             ;   in Loop: Header=BB691_83 Depth=1
	global_load_u16 v23, v[21:22], off
	global_load_u16 v24, v[19:20], off
	v_add_co_u32 v19, vcc_lo, v19, 2
	v_add_co_ci_u32_e32 v20, vcc_lo, 0, v20, vcc_lo
	v_add_co_u32 v21, s2, v21, 2
	s_delay_alu instid0(VALU_DEP_1)
	v_add_co_ci_u32_e64 v22, s2, 0, v22, s2
	s_add_u32 s18, s18, 1
	s_addc_u32 s19, s19, 0
	s_and_not1_b32 s2, s35, exec_lo
	s_waitcnt vmcnt(0)
	v_cmp_ne_u16_e32 vcc_lo, v23, v24
	s_and_b32 s35, vcc_lo, exec_lo
	s_delay_alu instid0(SALU_CYCLE_1)
	s_or_b32 s35, s2, s35
.LBB691_82:                             ;   in Loop: Header=BB691_83 Depth=1
	v_dual_mov_b32 v24, s19 :: v_dual_mov_b32 v23, s18
	s_and_b32 s2, exec_lo, s35
	s_delay_alu instid0(SALU_CYCLE_1) | instskip(NEXT) | instid1(SALU_CYCLE_1)
	s_or_b32 s34, s2, s34
	s_and_not1_b32 exec_lo, exec_lo, s34
	s_cbranch_execz .LBB691_85
.LBB691_83:                             ; =>This Inner Loop Header: Depth=1
	s_or_b32 s35, s35, exec_lo
	s_cmp_eq_u64 s[6:7], s[18:19]
	s_cbranch_scc0 .LBB691_81
; %bb.84:                               ;   in Loop: Header=BB691_83 Depth=1
	s_mov_b64 s[18:19], s[22:23]
                                        ; implicit-def: $vgpr19_vgpr20
                                        ; implicit-def: $vgpr21_vgpr22
	s_branch .LBB691_82
.LBB691_85:
	s_set_inst_prefetch_distance 0x2
	s_or_b32 exec_lo, exec_lo, s34
	v_cmp_gt_i64_e32 vcc_lo, s[22:23], v[23:24]
	s_or_not1_b32 s2, vcc_lo, exec_lo
.LBB691_86:
	s_or_b32 exec_lo, exec_lo, s33
.LBB691_87:
	s_waitcnt lgkmcnt(0)
	v_dual_mov_b32 v20, s5 :: v_dual_mov_b32 v19, s4
	s_mov_b32 s6, exec_lo
	s_barrier
	buffer_gl0_inv
	v_cmpx_ne_u32_e32 0, v0
	s_cbranch_execz .LBB691_89
; %bb.88:
	v_add_nc_u32_e32 v19, -8, v39
	ds_load_b64 v[19:20], v19
.LBB691_89:
	s_or_b32 exec_lo, exec_lo, s6
	v_cndmask_b32_e64 v22, 0, 1, s31
	v_cndmask_b32_e64 v24, 0, 1, s29
	;; [unrolled: 1-line block ×7, first 2 shown]
	v_lshlrev_b16 v22, 8, v22
	v_lshlrev_b16 v24, 8, v24
	;; [unrolled: 1-line block ×4, first 2 shown]
	s_mov_b32 s3, 0
	v_or_b32_e32 v21, v21, v22
	v_or_b32_e32 v22, v23, v24
	v_or_b32_e32 v28, v28, v26
	v_and_b32_e32 v23, 0xffff, v27
	s_and_not1_b32 vcc_lo, exec_lo, s26
	v_lshlrev_b32_e32 v24, 16, v21
	v_and_b32_e32 v26, 0xffff, v22
	v_lshlrev_b32_e32 v27, 16, v28
	s_mov_b32 s2, 0
	s_cbranch_vccnz .LBB691_98
; %bb.90:
	s_waitcnt lgkmcnt(0)
	v_mul_lo_u32 v22, v20, s22
	v_mul_lo_u32 v28, v19, s23
	v_mad_u64_u32 v[20:21], null, v19, s22, 0
	s_mov_b32 s2, -1
	s_mov_b32 s27, exec_lo
	s_delay_alu instid0(VALU_DEP_1) | instskip(NEXT) | instid1(VALU_DEP_1)
	v_add3_u32 v21, v21, v28, v22
	v_lshlrev_b64 v[19:20], 1, v[20:21]
	s_delay_alu instid0(VALU_DEP_1) | instskip(NEXT) | instid1(VALU_DEP_2)
	v_add_co_u32 v19, vcc_lo, s8, v19
	v_add_co_ci_u32_e32 v20, vcc_lo, s9, v20, vcc_lo
	v_add_co_u32 v17, vcc_lo, s8, v17
	v_add_co_ci_u32_e32 v18, vcc_lo, s9, v18, vcc_lo
	s_clause 0x1
	global_load_u16 v21, v[19:20], off
	global_load_u16 v22, v[17:18], off
	s_waitcnt vmcnt(0)
	v_cmpx_eq_u16_e64 v21, v22
	s_cbranch_execz .LBB691_97
; %bb.91:
	v_add_co_u32 v17, vcc_lo, v17, 2
	v_add_co_ci_u32_e32 v18, vcc_lo, 0, v18, vcc_lo
	v_add_co_u32 v19, vcc_lo, v19, 2
	v_add_co_ci_u32_e32 v20, vcc_lo, 0, v20, vcc_lo
	s_add_u32 s6, s22, -1
	s_addc_u32 s7, s23, -1
	s_mov_b64 s[18:19], 0
	s_mov_b32 s28, 0
                                        ; implicit-def: $sgpr29
	s_set_inst_prefetch_distance 0x1
	s_branch .LBB691_94
	.p2align	6
.LBB691_92:                             ;   in Loop: Header=BB691_94 Depth=1
	global_load_u16 v21, v[19:20], off
	global_load_u16 v22, v[17:18], off
	v_add_co_u32 v17, vcc_lo, v17, 2
	v_add_co_ci_u32_e32 v18, vcc_lo, 0, v18, vcc_lo
	v_add_co_u32 v19, s2, v19, 2
	s_delay_alu instid0(VALU_DEP_1)
	v_add_co_ci_u32_e64 v20, s2, 0, v20, s2
	s_add_u32 s18, s18, 1
	s_addc_u32 s19, s19, 0
	s_and_not1_b32 s2, s29, exec_lo
	s_waitcnt vmcnt(0)
	v_cmp_ne_u16_e32 vcc_lo, v21, v22
	s_and_b32 s29, vcc_lo, exec_lo
	s_delay_alu instid0(SALU_CYCLE_1)
	s_or_b32 s29, s2, s29
.LBB691_93:                             ;   in Loop: Header=BB691_94 Depth=1
	v_dual_mov_b32 v22, s19 :: v_dual_mov_b32 v21, s18
	s_and_b32 s2, exec_lo, s29
	s_delay_alu instid0(SALU_CYCLE_1) | instskip(NEXT) | instid1(SALU_CYCLE_1)
	s_or_b32 s28, s2, s28
	s_and_not1_b32 exec_lo, exec_lo, s28
	s_cbranch_execz .LBB691_96
.LBB691_94:                             ; =>This Inner Loop Header: Depth=1
	s_or_b32 s29, s29, exec_lo
	s_cmp_eq_u64 s[6:7], s[18:19]
	s_cbranch_scc0 .LBB691_92
; %bb.95:                               ;   in Loop: Header=BB691_94 Depth=1
	s_mov_b64 s[18:19], s[22:23]
                                        ; implicit-def: $vgpr17_vgpr18
                                        ; implicit-def: $vgpr19_vgpr20
	s_branch .LBB691_93
.LBB691_96:
	s_set_inst_prefetch_distance 0x2
	s_or_b32 exec_lo, exec_lo, s28
	v_cmp_gt_i64_e32 vcc_lo, s[22:23], v[21:22]
	s_or_not1_b32 s2, vcc_lo, exec_lo
.LBB691_97:
	s_or_b32 exec_lo, exec_lo, s27
.LBB691_98:
	v_or_b32_e32 v17, v23, v24
	s_delay_alu instid0(VALU_DEP_2)
	v_or_b32_e32 v18, v26, v27
	s_and_b32 vcc_lo, exec_lo, s3
	s_cbranch_vccz .LBB691_190
.LBB691_99:
	v_or_b32_e32 v17, 7, v39
	s_mov_b32 s3, 0
	s_mov_b32 s27, 0
	s_mov_b32 s28, exec_lo
	s_delay_alu instid0(VALU_DEP_1)
	v_cmpx_gt_u32_e64 s20, v17
	s_cbranch_execz .LBB691_110
; %bb.100:
	s_and_not1_b32 vcc_lo, exec_lo, s26
	s_mov_b32 s2, 0
	s_cbranch_vccnz .LBB691_109
; %bb.101:
	v_mul_lo_u32 v21, v2, s22
	v_mul_lo_u32 v22, v1, s23
	v_mad_u64_u32 v[17:18], null, v1, s22, 0
	v_mul_lo_u32 v23, v4, s22
	v_mul_lo_u32 v24, v3, s23
	s_waitcnt lgkmcnt(0)
	v_mad_u64_u32 v[19:20], null, v3, s22, 0
	s_mov_b32 s2, -1
	s_mov_b32 s26, exec_lo
	s_delay_alu instid0(VALU_DEP_4) | instskip(NEXT) | instid1(VALU_DEP_2)
	v_add3_u32 v18, v18, v22, v21
	v_add3_u32 v20, v20, v24, v23
	s_delay_alu instid0(VALU_DEP_2) | instskip(NEXT) | instid1(VALU_DEP_2)
	v_lshlrev_b64 v[17:18], 1, v[17:18]
	v_lshlrev_b64 v[21:22], 1, v[19:20]
	s_delay_alu instid0(VALU_DEP_2) | instskip(NEXT) | instid1(VALU_DEP_3)
	v_add_co_u32 v19, vcc_lo, s8, v17
	v_add_co_ci_u32_e32 v20, vcc_lo, s9, v18, vcc_lo
	s_delay_alu instid0(VALU_DEP_3) | instskip(NEXT) | instid1(VALU_DEP_4)
	v_add_co_u32 v17, vcc_lo, s8, v21
	v_add_co_ci_u32_e32 v18, vcc_lo, s9, v22, vcc_lo
	s_clause 0x1
	global_load_u16 v21, v[19:20], off
	global_load_u16 v22, v[17:18], off
	s_waitcnt vmcnt(0)
	v_cmpx_eq_u16_e64 v21, v22
	s_cbranch_execz .LBB691_108
; %bb.102:
	v_add_co_u32 v17, vcc_lo, v17, 2
	v_add_co_ci_u32_e32 v18, vcc_lo, 0, v18, vcc_lo
	v_add_co_u32 v19, vcc_lo, v19, 2
	v_add_co_ci_u32_e32 v20, vcc_lo, 0, v20, vcc_lo
	s_add_u32 s6, s22, -1
	s_addc_u32 s7, s23, -1
	s_mov_b64 s[18:19], 0
                                        ; implicit-def: $sgpr29
	s_set_inst_prefetch_distance 0x1
	s_branch .LBB691_105
	.p2align	6
.LBB691_103:                            ;   in Loop: Header=BB691_105 Depth=1
	global_load_u16 v21, v[19:20], off
	global_load_u16 v22, v[17:18], off
	v_add_co_u32 v17, vcc_lo, v17, 2
	v_add_co_ci_u32_e32 v18, vcc_lo, 0, v18, vcc_lo
	v_add_co_u32 v19, s2, v19, 2
	s_delay_alu instid0(VALU_DEP_1)
	v_add_co_ci_u32_e64 v20, s2, 0, v20, s2
	s_add_u32 s18, s18, 1
	s_addc_u32 s19, s19, 0
	s_and_not1_b32 s2, s29, exec_lo
	s_waitcnt vmcnt(0)
	v_cmp_ne_u16_e32 vcc_lo, v21, v22
	s_and_b32 s29, vcc_lo, exec_lo
	s_delay_alu instid0(SALU_CYCLE_1)
	s_or_b32 s29, s2, s29
.LBB691_104:                            ;   in Loop: Header=BB691_105 Depth=1
	v_dual_mov_b32 v22, s19 :: v_dual_mov_b32 v21, s18
	s_and_b32 s2, exec_lo, s29
	s_delay_alu instid0(SALU_CYCLE_1) | instskip(NEXT) | instid1(SALU_CYCLE_1)
	s_or_b32 s27, s2, s27
	s_and_not1_b32 exec_lo, exec_lo, s27
	s_cbranch_execz .LBB691_107
.LBB691_105:                            ; =>This Inner Loop Header: Depth=1
	s_or_b32 s29, s29, exec_lo
	s_cmp_eq_u64 s[6:7], s[18:19]
	s_cbranch_scc0 .LBB691_103
; %bb.106:                              ;   in Loop: Header=BB691_105 Depth=1
	s_mov_b64 s[18:19], s[22:23]
                                        ; implicit-def: $vgpr17_vgpr18
                                        ; implicit-def: $vgpr19_vgpr20
	s_branch .LBB691_104
.LBB691_107:
	s_set_inst_prefetch_distance 0x2
	s_or_b32 exec_lo, exec_lo, s27
	v_cmp_gt_i64_e32 vcc_lo, s[22:23], v[21:22]
	s_or_not1_b32 s2, vcc_lo, exec_lo
.LBB691_108:
	s_or_b32 exec_lo, exec_lo, s26
.LBB691_109:
	s_delay_alu instid0(SALU_CYCLE_1)
	s_and_b32 s27, s2, exec_lo
.LBB691_110:
	s_or_b32 exec_lo, exec_lo, s28
	v_or_b32_e32 v17, 6, v39
	s_mov_b32 s26, exec_lo
	s_delay_alu instid0(VALU_DEP_1)
	v_cmpx_gt_u32_e64 s20, v17
	s_cbranch_execz .LBB691_121
; %bb.111:
	v_cmp_ne_u32_e32 vcc_lo, 1, v25
	s_mov_b32 s2, 0
	s_cbranch_vccnz .LBB691_120
; %bb.112:
	v_mul_lo_u32 v21, v8, s22
	v_mul_lo_u32 v22, v7, s23
	v_mad_u64_u32 v[17:18], null, v7, s22, 0
	v_mul_lo_u32 v23, v2, s22
	v_mul_lo_u32 v24, v1, s23
	s_waitcnt lgkmcnt(0)
	v_mad_u64_u32 v[19:20], null, v1, s22, 0
	s_mov_b32 s2, -1
	s_mov_b32 s3, exec_lo
	s_delay_alu instid0(VALU_DEP_4) | instskip(NEXT) | instid1(VALU_DEP_2)
	v_add3_u32 v18, v18, v22, v21
	v_add3_u32 v20, v20, v24, v23
	s_delay_alu instid0(VALU_DEP_2) | instskip(NEXT) | instid1(VALU_DEP_2)
	v_lshlrev_b64 v[17:18], 1, v[17:18]
	v_lshlrev_b64 v[21:22], 1, v[19:20]
	s_delay_alu instid0(VALU_DEP_2) | instskip(NEXT) | instid1(VALU_DEP_3)
	v_add_co_u32 v19, vcc_lo, s8, v17
	v_add_co_ci_u32_e32 v20, vcc_lo, s9, v18, vcc_lo
	s_delay_alu instid0(VALU_DEP_3) | instskip(NEXT) | instid1(VALU_DEP_4)
	v_add_co_u32 v17, vcc_lo, s8, v21
	v_add_co_ci_u32_e32 v18, vcc_lo, s9, v22, vcc_lo
	s_clause 0x1
	global_load_u16 v21, v[19:20], off
	global_load_u16 v22, v[17:18], off
	s_waitcnt vmcnt(0)
	v_cmpx_eq_u16_e64 v21, v22
	s_cbranch_execz .LBB691_119
; %bb.113:
	v_add_co_u32 v17, vcc_lo, v17, 2
	v_add_co_ci_u32_e32 v18, vcc_lo, 0, v18, vcc_lo
	v_add_co_u32 v19, vcc_lo, v19, 2
	v_add_co_ci_u32_e32 v20, vcc_lo, 0, v20, vcc_lo
	s_add_u32 s6, s22, -1
	s_addc_u32 s7, s23, -1
	s_mov_b64 s[18:19], 0
	s_mov_b32 s28, 0
                                        ; implicit-def: $sgpr29
	s_set_inst_prefetch_distance 0x1
	s_branch .LBB691_116
	.p2align	6
.LBB691_114:                            ;   in Loop: Header=BB691_116 Depth=1
	global_load_u16 v21, v[19:20], off
	global_load_u16 v22, v[17:18], off
	v_add_co_u32 v17, vcc_lo, v17, 2
	v_add_co_ci_u32_e32 v18, vcc_lo, 0, v18, vcc_lo
	v_add_co_u32 v19, s2, v19, 2
	s_delay_alu instid0(VALU_DEP_1)
	v_add_co_ci_u32_e64 v20, s2, 0, v20, s2
	s_add_u32 s18, s18, 1
	s_addc_u32 s19, s19, 0
	s_and_not1_b32 s2, s29, exec_lo
	s_waitcnt vmcnt(0)
	v_cmp_ne_u16_e32 vcc_lo, v21, v22
	s_and_b32 s29, vcc_lo, exec_lo
	s_delay_alu instid0(SALU_CYCLE_1)
	s_or_b32 s29, s2, s29
.LBB691_115:                            ;   in Loop: Header=BB691_116 Depth=1
	v_dual_mov_b32 v22, s19 :: v_dual_mov_b32 v21, s18
	s_and_b32 s2, exec_lo, s29
	s_delay_alu instid0(SALU_CYCLE_1) | instskip(NEXT) | instid1(SALU_CYCLE_1)
	s_or_b32 s28, s2, s28
	s_and_not1_b32 exec_lo, exec_lo, s28
	s_cbranch_execz .LBB691_118
.LBB691_116:                            ; =>This Inner Loop Header: Depth=1
	s_or_b32 s29, s29, exec_lo
	s_cmp_eq_u64 s[6:7], s[18:19]
	s_cbranch_scc0 .LBB691_114
; %bb.117:                              ;   in Loop: Header=BB691_116 Depth=1
	s_mov_b64 s[18:19], s[22:23]
                                        ; implicit-def: $vgpr17_vgpr18
                                        ; implicit-def: $vgpr19_vgpr20
	s_branch .LBB691_115
.LBB691_118:
	s_set_inst_prefetch_distance 0x2
	s_or_b32 exec_lo, exec_lo, s28
	v_cmp_gt_i64_e32 vcc_lo, s[22:23], v[21:22]
	s_or_not1_b32 s2, vcc_lo, exec_lo
.LBB691_119:
	s_or_b32 exec_lo, exec_lo, s3
.LBB691_120:
	s_delay_alu instid0(SALU_CYCLE_1)
	s_and_b32 s3, s2, exec_lo
.LBB691_121:
	s_or_b32 exec_lo, exec_lo, s26
	v_or_b32_e32 v17, 5, v39
	s_mov_b32 s28, 0
	s_mov_b32 s26, 0
	s_mov_b32 s29, exec_lo
	s_delay_alu instid0(VALU_DEP_1)
	v_cmpx_gt_u32_e64 s20, v17
	s_cbranch_execz .LBB691_132
; %bb.122:
	v_cmp_ne_u32_e32 vcc_lo, 1, v25
	s_mov_b32 s2, 0
	s_cbranch_vccnz .LBB691_131
; %bb.123:
	v_mul_lo_u32 v21, v6, s22
	v_mul_lo_u32 v22, v5, s23
	v_mad_u64_u32 v[17:18], null, v5, s22, 0
	v_mul_lo_u32 v23, v8, s22
	v_mul_lo_u32 v24, v7, s23
	s_waitcnt lgkmcnt(0)
	v_mad_u64_u32 v[19:20], null, v7, s22, 0
	s_mov_b32 s2, -1
	s_mov_b32 s26, exec_lo
	s_delay_alu instid0(VALU_DEP_4) | instskip(NEXT) | instid1(VALU_DEP_2)
	v_add3_u32 v18, v18, v22, v21
	v_add3_u32 v20, v20, v24, v23
	s_delay_alu instid0(VALU_DEP_2) | instskip(NEXT) | instid1(VALU_DEP_2)
	v_lshlrev_b64 v[17:18], 1, v[17:18]
	v_lshlrev_b64 v[21:22], 1, v[19:20]
	s_delay_alu instid0(VALU_DEP_2) | instskip(NEXT) | instid1(VALU_DEP_3)
	v_add_co_u32 v19, vcc_lo, s8, v17
	v_add_co_ci_u32_e32 v20, vcc_lo, s9, v18, vcc_lo
	s_delay_alu instid0(VALU_DEP_3) | instskip(NEXT) | instid1(VALU_DEP_4)
	v_add_co_u32 v17, vcc_lo, s8, v21
	v_add_co_ci_u32_e32 v18, vcc_lo, s9, v22, vcc_lo
	s_clause 0x1
	global_load_u16 v21, v[19:20], off
	global_load_u16 v22, v[17:18], off
	s_waitcnt vmcnt(0)
	v_cmpx_eq_u16_e64 v21, v22
	s_cbranch_execz .LBB691_130
; %bb.124:
	v_add_co_u32 v17, vcc_lo, v17, 2
	v_add_co_ci_u32_e32 v18, vcc_lo, 0, v18, vcc_lo
	v_add_co_u32 v19, vcc_lo, v19, 2
	v_add_co_ci_u32_e32 v20, vcc_lo, 0, v20, vcc_lo
	s_add_u32 s6, s22, -1
	s_addc_u32 s7, s23, -1
	s_mov_b64 s[18:19], 0
	s_mov_b32 s30, 0
                                        ; implicit-def: $sgpr31
	s_set_inst_prefetch_distance 0x1
	s_branch .LBB691_127
	.p2align	6
.LBB691_125:                            ;   in Loop: Header=BB691_127 Depth=1
	global_load_u16 v21, v[19:20], off
	global_load_u16 v22, v[17:18], off
	v_add_co_u32 v17, vcc_lo, v17, 2
	v_add_co_ci_u32_e32 v18, vcc_lo, 0, v18, vcc_lo
	v_add_co_u32 v19, s2, v19, 2
	s_delay_alu instid0(VALU_DEP_1)
	v_add_co_ci_u32_e64 v20, s2, 0, v20, s2
	s_add_u32 s18, s18, 1
	s_addc_u32 s19, s19, 0
	s_and_not1_b32 s2, s31, exec_lo
	s_waitcnt vmcnt(0)
	v_cmp_ne_u16_e32 vcc_lo, v21, v22
	s_and_b32 s31, vcc_lo, exec_lo
	s_delay_alu instid0(SALU_CYCLE_1)
	s_or_b32 s31, s2, s31
.LBB691_126:                            ;   in Loop: Header=BB691_127 Depth=1
	v_dual_mov_b32 v22, s19 :: v_dual_mov_b32 v21, s18
	s_and_b32 s2, exec_lo, s31
	s_delay_alu instid0(SALU_CYCLE_1) | instskip(NEXT) | instid1(SALU_CYCLE_1)
	s_or_b32 s30, s2, s30
	s_and_not1_b32 exec_lo, exec_lo, s30
	s_cbranch_execz .LBB691_129
.LBB691_127:                            ; =>This Inner Loop Header: Depth=1
	s_or_b32 s31, s31, exec_lo
	s_cmp_eq_u64 s[6:7], s[18:19]
	s_cbranch_scc0 .LBB691_125
; %bb.128:                              ;   in Loop: Header=BB691_127 Depth=1
	s_mov_b64 s[18:19], s[22:23]
                                        ; implicit-def: $vgpr17_vgpr18
                                        ; implicit-def: $vgpr19_vgpr20
	s_branch .LBB691_126
.LBB691_129:
	s_set_inst_prefetch_distance 0x2
	s_or_b32 exec_lo, exec_lo, s30
	v_cmp_gt_i64_e32 vcc_lo, s[22:23], v[21:22]
	s_or_not1_b32 s2, vcc_lo, exec_lo
.LBB691_130:
	s_or_b32 exec_lo, exec_lo, s26
.LBB691_131:
	s_delay_alu instid0(SALU_CYCLE_1)
	s_and_b32 s26, s2, exec_lo
.LBB691_132:
	s_or_b32 exec_lo, exec_lo, s29
	v_or_b32_e32 v17, 4, v39
	s_mov_b32 s29, exec_lo
	s_delay_alu instid0(VALU_DEP_1)
	v_cmpx_gt_u32_e64 s20, v17
	s_cbranch_execz .LBB691_143
; %bb.133:
	v_cmp_ne_u32_e32 vcc_lo, 1, v25
	s_mov_b32 s2, 0
	s_cbranch_vccnz .LBB691_142
; %bb.134:
	v_mul_lo_u32 v21, v12, s22
	v_mul_lo_u32 v22, v11, s23
	v_mad_u64_u32 v[17:18], null, v11, s22, 0
	v_mul_lo_u32 v23, v6, s22
	v_mul_lo_u32 v24, v5, s23
	s_waitcnt lgkmcnt(0)
	v_mad_u64_u32 v[19:20], null, v5, s22, 0
	s_mov_b32 s2, -1
	s_mov_b32 s28, exec_lo
	s_delay_alu instid0(VALU_DEP_4) | instskip(NEXT) | instid1(VALU_DEP_2)
	v_add3_u32 v18, v18, v22, v21
	v_add3_u32 v20, v20, v24, v23
	s_delay_alu instid0(VALU_DEP_2) | instskip(NEXT) | instid1(VALU_DEP_2)
	v_lshlrev_b64 v[17:18], 1, v[17:18]
	v_lshlrev_b64 v[21:22], 1, v[19:20]
	s_delay_alu instid0(VALU_DEP_2) | instskip(NEXT) | instid1(VALU_DEP_3)
	v_add_co_u32 v19, vcc_lo, s8, v17
	v_add_co_ci_u32_e32 v20, vcc_lo, s9, v18, vcc_lo
	s_delay_alu instid0(VALU_DEP_3) | instskip(NEXT) | instid1(VALU_DEP_4)
	v_add_co_u32 v17, vcc_lo, s8, v21
	v_add_co_ci_u32_e32 v18, vcc_lo, s9, v22, vcc_lo
	s_clause 0x1
	global_load_u16 v21, v[19:20], off
	global_load_u16 v22, v[17:18], off
	s_waitcnt vmcnt(0)
	v_cmpx_eq_u16_e64 v21, v22
	s_cbranch_execz .LBB691_141
; %bb.135:
	v_add_co_u32 v17, vcc_lo, v17, 2
	v_add_co_ci_u32_e32 v18, vcc_lo, 0, v18, vcc_lo
	v_add_co_u32 v19, vcc_lo, v19, 2
	v_add_co_ci_u32_e32 v20, vcc_lo, 0, v20, vcc_lo
	s_add_u32 s6, s22, -1
	s_addc_u32 s7, s23, -1
	s_mov_b64 s[18:19], 0
	s_mov_b32 s30, 0
                                        ; implicit-def: $sgpr31
	s_set_inst_prefetch_distance 0x1
	s_branch .LBB691_138
	.p2align	6
.LBB691_136:                            ;   in Loop: Header=BB691_138 Depth=1
	global_load_u16 v21, v[19:20], off
	global_load_u16 v22, v[17:18], off
	v_add_co_u32 v17, vcc_lo, v17, 2
	v_add_co_ci_u32_e32 v18, vcc_lo, 0, v18, vcc_lo
	v_add_co_u32 v19, s2, v19, 2
	s_delay_alu instid0(VALU_DEP_1)
	v_add_co_ci_u32_e64 v20, s2, 0, v20, s2
	s_add_u32 s18, s18, 1
	s_addc_u32 s19, s19, 0
	s_and_not1_b32 s2, s31, exec_lo
	s_waitcnt vmcnt(0)
	v_cmp_ne_u16_e32 vcc_lo, v21, v22
	s_and_b32 s31, vcc_lo, exec_lo
	s_delay_alu instid0(SALU_CYCLE_1)
	s_or_b32 s31, s2, s31
.LBB691_137:                            ;   in Loop: Header=BB691_138 Depth=1
	v_dual_mov_b32 v22, s19 :: v_dual_mov_b32 v21, s18
	s_and_b32 s2, exec_lo, s31
	s_delay_alu instid0(SALU_CYCLE_1) | instskip(NEXT) | instid1(SALU_CYCLE_1)
	s_or_b32 s30, s2, s30
	s_and_not1_b32 exec_lo, exec_lo, s30
	s_cbranch_execz .LBB691_140
.LBB691_138:                            ; =>This Inner Loop Header: Depth=1
	s_or_b32 s31, s31, exec_lo
	s_cmp_eq_u64 s[6:7], s[18:19]
	s_cbranch_scc0 .LBB691_136
; %bb.139:                              ;   in Loop: Header=BB691_138 Depth=1
	s_mov_b64 s[18:19], s[22:23]
                                        ; implicit-def: $vgpr17_vgpr18
                                        ; implicit-def: $vgpr19_vgpr20
	s_branch .LBB691_137
.LBB691_140:
	s_set_inst_prefetch_distance 0x2
	s_or_b32 exec_lo, exec_lo, s30
	v_cmp_gt_i64_e32 vcc_lo, s[22:23], v[21:22]
	s_or_not1_b32 s2, vcc_lo, exec_lo
.LBB691_141:
	s_or_b32 exec_lo, exec_lo, s28
.LBB691_142:
	s_delay_alu instid0(SALU_CYCLE_1)
	s_and_b32 s28, s2, exec_lo
.LBB691_143:
	s_or_b32 exec_lo, exec_lo, s29
	v_or_b32_e32 v17, 3, v39
	s_mov_b32 s30, 0
	s_mov_b32 s29, 0
	s_mov_b32 s31, exec_lo
	s_delay_alu instid0(VALU_DEP_1)
	v_cmpx_gt_u32_e64 s20, v17
	s_cbranch_execz .LBB691_154
; %bb.144:
	v_cmp_ne_u32_e32 vcc_lo, 1, v25
	s_mov_b32 s2, 0
	s_cbranch_vccnz .LBB691_153
; %bb.145:
	v_mul_lo_u32 v21, v10, s22
	v_mul_lo_u32 v22, v9, s23
	v_mad_u64_u32 v[17:18], null, v9, s22, 0
	v_mul_lo_u32 v23, v12, s22
	v_mul_lo_u32 v24, v11, s23
	s_waitcnt lgkmcnt(0)
	v_mad_u64_u32 v[19:20], null, v11, s22, 0
	s_mov_b32 s2, -1
	s_mov_b32 s29, exec_lo
	s_delay_alu instid0(VALU_DEP_4) | instskip(NEXT) | instid1(VALU_DEP_2)
	v_add3_u32 v18, v18, v22, v21
	v_add3_u32 v20, v20, v24, v23
	s_delay_alu instid0(VALU_DEP_2) | instskip(NEXT) | instid1(VALU_DEP_2)
	v_lshlrev_b64 v[17:18], 1, v[17:18]
	v_lshlrev_b64 v[21:22], 1, v[19:20]
	s_delay_alu instid0(VALU_DEP_2) | instskip(NEXT) | instid1(VALU_DEP_3)
	v_add_co_u32 v19, vcc_lo, s8, v17
	v_add_co_ci_u32_e32 v20, vcc_lo, s9, v18, vcc_lo
	s_delay_alu instid0(VALU_DEP_3) | instskip(NEXT) | instid1(VALU_DEP_4)
	v_add_co_u32 v17, vcc_lo, s8, v21
	v_add_co_ci_u32_e32 v18, vcc_lo, s9, v22, vcc_lo
	s_clause 0x1
	global_load_u16 v21, v[19:20], off
	global_load_u16 v22, v[17:18], off
	s_waitcnt vmcnt(0)
	v_cmpx_eq_u16_e64 v21, v22
	s_cbranch_execz .LBB691_152
; %bb.146:
	v_add_co_u32 v17, vcc_lo, v17, 2
	v_add_co_ci_u32_e32 v18, vcc_lo, 0, v18, vcc_lo
	v_add_co_u32 v19, vcc_lo, v19, 2
	v_add_co_ci_u32_e32 v20, vcc_lo, 0, v20, vcc_lo
	s_add_u32 s6, s22, -1
	s_addc_u32 s7, s23, -1
	s_mov_b64 s[18:19], 0
	s_mov_b32 s33, 0
                                        ; implicit-def: $sgpr34
	s_set_inst_prefetch_distance 0x1
	s_branch .LBB691_149
	.p2align	6
.LBB691_147:                            ;   in Loop: Header=BB691_149 Depth=1
	global_load_u16 v21, v[19:20], off
	global_load_u16 v22, v[17:18], off
	v_add_co_u32 v17, vcc_lo, v17, 2
	v_add_co_ci_u32_e32 v18, vcc_lo, 0, v18, vcc_lo
	v_add_co_u32 v19, s2, v19, 2
	s_delay_alu instid0(VALU_DEP_1)
	v_add_co_ci_u32_e64 v20, s2, 0, v20, s2
	s_add_u32 s18, s18, 1
	s_addc_u32 s19, s19, 0
	s_and_not1_b32 s2, s34, exec_lo
	s_waitcnt vmcnt(0)
	v_cmp_ne_u16_e32 vcc_lo, v21, v22
	s_and_b32 s34, vcc_lo, exec_lo
	s_delay_alu instid0(SALU_CYCLE_1)
	s_or_b32 s34, s2, s34
.LBB691_148:                            ;   in Loop: Header=BB691_149 Depth=1
	v_dual_mov_b32 v22, s19 :: v_dual_mov_b32 v21, s18
	s_and_b32 s2, exec_lo, s34
	s_delay_alu instid0(SALU_CYCLE_1) | instskip(NEXT) | instid1(SALU_CYCLE_1)
	s_or_b32 s33, s2, s33
	s_and_not1_b32 exec_lo, exec_lo, s33
	s_cbranch_execz .LBB691_151
.LBB691_149:                            ; =>This Inner Loop Header: Depth=1
	s_or_b32 s34, s34, exec_lo
	s_cmp_eq_u64 s[6:7], s[18:19]
	s_cbranch_scc0 .LBB691_147
; %bb.150:                              ;   in Loop: Header=BB691_149 Depth=1
	s_mov_b64 s[18:19], s[22:23]
                                        ; implicit-def: $vgpr17_vgpr18
                                        ; implicit-def: $vgpr19_vgpr20
	s_branch .LBB691_148
.LBB691_151:
	s_set_inst_prefetch_distance 0x2
	s_or_b32 exec_lo, exec_lo, s33
	v_cmp_gt_i64_e32 vcc_lo, s[22:23], v[21:22]
	s_or_not1_b32 s2, vcc_lo, exec_lo
.LBB691_152:
	s_or_b32 exec_lo, exec_lo, s29
.LBB691_153:
	s_delay_alu instid0(SALU_CYCLE_1)
	s_and_b32 s29, s2, exec_lo
.LBB691_154:
	s_or_b32 exec_lo, exec_lo, s31
	v_or_b32_e32 v17, 2, v39
	s_mov_b32 s31, exec_lo
	s_delay_alu instid0(VALU_DEP_1)
	v_cmpx_gt_u32_e64 s20, v17
	s_cbranch_execz .LBB691_165
; %bb.155:
	v_cmp_ne_u32_e32 vcc_lo, 1, v25
	s_mov_b32 s2, 0
	s_cbranch_vccnz .LBB691_164
; %bb.156:
	v_mul_lo_u32 v21, v16, s22
	v_mul_lo_u32 v22, v15, s23
	v_mad_u64_u32 v[17:18], null, v15, s22, 0
	v_mul_lo_u32 v23, v10, s22
	v_mul_lo_u32 v24, v9, s23
	s_waitcnt lgkmcnt(0)
	v_mad_u64_u32 v[19:20], null, v9, s22, 0
	s_mov_b32 s2, -1
	s_mov_b32 s30, exec_lo
	s_delay_alu instid0(VALU_DEP_4) | instskip(NEXT) | instid1(VALU_DEP_2)
	v_add3_u32 v18, v18, v22, v21
	v_add3_u32 v20, v20, v24, v23
	s_delay_alu instid0(VALU_DEP_2) | instskip(NEXT) | instid1(VALU_DEP_2)
	v_lshlrev_b64 v[17:18], 1, v[17:18]
	v_lshlrev_b64 v[21:22], 1, v[19:20]
	s_delay_alu instid0(VALU_DEP_2) | instskip(NEXT) | instid1(VALU_DEP_3)
	v_add_co_u32 v19, vcc_lo, s8, v17
	v_add_co_ci_u32_e32 v20, vcc_lo, s9, v18, vcc_lo
	s_delay_alu instid0(VALU_DEP_3) | instskip(NEXT) | instid1(VALU_DEP_4)
	v_add_co_u32 v17, vcc_lo, s8, v21
	v_add_co_ci_u32_e32 v18, vcc_lo, s9, v22, vcc_lo
	s_clause 0x1
	global_load_u16 v21, v[19:20], off
	global_load_u16 v22, v[17:18], off
	s_waitcnt vmcnt(0)
	v_cmpx_eq_u16_e64 v21, v22
	s_cbranch_execz .LBB691_163
; %bb.157:
	v_add_co_u32 v17, vcc_lo, v17, 2
	v_add_co_ci_u32_e32 v18, vcc_lo, 0, v18, vcc_lo
	v_add_co_u32 v19, vcc_lo, v19, 2
	v_add_co_ci_u32_e32 v20, vcc_lo, 0, v20, vcc_lo
	s_add_u32 s6, s22, -1
	s_addc_u32 s7, s23, -1
	s_mov_b64 s[18:19], 0
	s_mov_b32 s33, 0
                                        ; implicit-def: $sgpr34
	s_set_inst_prefetch_distance 0x1
	s_branch .LBB691_160
	.p2align	6
.LBB691_158:                            ;   in Loop: Header=BB691_160 Depth=1
	global_load_u16 v21, v[19:20], off
	global_load_u16 v22, v[17:18], off
	v_add_co_u32 v17, vcc_lo, v17, 2
	v_add_co_ci_u32_e32 v18, vcc_lo, 0, v18, vcc_lo
	v_add_co_u32 v19, s2, v19, 2
	s_delay_alu instid0(VALU_DEP_1)
	v_add_co_ci_u32_e64 v20, s2, 0, v20, s2
	s_add_u32 s18, s18, 1
	s_addc_u32 s19, s19, 0
	s_and_not1_b32 s2, s34, exec_lo
	s_waitcnt vmcnt(0)
	v_cmp_ne_u16_e32 vcc_lo, v21, v22
	s_and_b32 s34, vcc_lo, exec_lo
	s_delay_alu instid0(SALU_CYCLE_1)
	s_or_b32 s34, s2, s34
.LBB691_159:                            ;   in Loop: Header=BB691_160 Depth=1
	v_dual_mov_b32 v22, s19 :: v_dual_mov_b32 v21, s18
	s_and_b32 s2, exec_lo, s34
	s_delay_alu instid0(SALU_CYCLE_1) | instskip(NEXT) | instid1(SALU_CYCLE_1)
	s_or_b32 s33, s2, s33
	s_and_not1_b32 exec_lo, exec_lo, s33
	s_cbranch_execz .LBB691_162
.LBB691_160:                            ; =>This Inner Loop Header: Depth=1
	s_or_b32 s34, s34, exec_lo
	s_cmp_eq_u64 s[6:7], s[18:19]
	s_cbranch_scc0 .LBB691_158
; %bb.161:                              ;   in Loop: Header=BB691_160 Depth=1
	s_mov_b64 s[18:19], s[22:23]
                                        ; implicit-def: $vgpr17_vgpr18
                                        ; implicit-def: $vgpr19_vgpr20
	s_branch .LBB691_159
.LBB691_162:
	s_set_inst_prefetch_distance 0x2
	s_or_b32 exec_lo, exec_lo, s33
	v_cmp_gt_i64_e32 vcc_lo, s[22:23], v[21:22]
	s_or_not1_b32 s2, vcc_lo, exec_lo
.LBB691_163:
	s_or_b32 exec_lo, exec_lo, s30
.LBB691_164:
	s_delay_alu instid0(SALU_CYCLE_1)
	s_and_b32 s30, s2, exec_lo
.LBB691_165:
	s_or_b32 exec_lo, exec_lo, s31
	v_or_b32_e32 v17, 1, v39
	s_mov_b32 s2, 0
	s_mov_b32 s31, exec_lo
	s_delay_alu instid0(VALU_DEP_1)
	v_cmpx_gt_u32_e64 s20, v17
	s_cbranch_execz .LBB691_176
; %bb.166:
	v_cmp_ne_u32_e32 vcc_lo, 1, v25
	s_cbranch_vccnz .LBB691_175
; %bb.167:
	v_mul_lo_u32 v21, v14, s22
	v_mul_lo_u32 v22, v13, s23
	v_mad_u64_u32 v[17:18], null, v13, s22, 0
	v_mul_lo_u32 v23, v16, s22
	v_mul_lo_u32 v24, v15, s23
	s_waitcnt lgkmcnt(0)
	v_mad_u64_u32 v[19:20], null, v15, s22, 0
	s_mov_b32 s2, -1
	s_mov_b32 s33, exec_lo
	s_delay_alu instid0(VALU_DEP_4) | instskip(NEXT) | instid1(VALU_DEP_2)
	v_add3_u32 v18, v18, v22, v21
	v_add3_u32 v20, v20, v24, v23
	s_delay_alu instid0(VALU_DEP_2) | instskip(NEXT) | instid1(VALU_DEP_2)
	v_lshlrev_b64 v[17:18], 1, v[17:18]
	v_lshlrev_b64 v[21:22], 1, v[19:20]
	s_delay_alu instid0(VALU_DEP_2) | instskip(NEXT) | instid1(VALU_DEP_3)
	v_add_co_u32 v19, vcc_lo, s8, v17
	v_add_co_ci_u32_e32 v20, vcc_lo, s9, v18, vcc_lo
	s_delay_alu instid0(VALU_DEP_3) | instskip(NEXT) | instid1(VALU_DEP_4)
	v_add_co_u32 v17, vcc_lo, s8, v21
	v_add_co_ci_u32_e32 v18, vcc_lo, s9, v22, vcc_lo
	s_clause 0x1
	global_load_u16 v21, v[19:20], off
	global_load_u16 v22, v[17:18], off
	s_waitcnt vmcnt(0)
	v_cmpx_eq_u16_e64 v21, v22
	s_cbranch_execz .LBB691_174
; %bb.168:
	v_add_co_u32 v17, vcc_lo, v17, 2
	v_add_co_ci_u32_e32 v18, vcc_lo, 0, v18, vcc_lo
	v_add_co_u32 v19, vcc_lo, v19, 2
	v_add_co_ci_u32_e32 v20, vcc_lo, 0, v20, vcc_lo
	s_add_u32 s6, s22, -1
	s_addc_u32 s7, s23, -1
	s_mov_b64 s[18:19], 0
	s_mov_b32 s34, 0
                                        ; implicit-def: $sgpr35
	s_set_inst_prefetch_distance 0x1
	s_branch .LBB691_171
	.p2align	6
.LBB691_169:                            ;   in Loop: Header=BB691_171 Depth=1
	global_load_u16 v21, v[19:20], off
	global_load_u16 v22, v[17:18], off
	v_add_co_u32 v17, vcc_lo, v17, 2
	v_add_co_ci_u32_e32 v18, vcc_lo, 0, v18, vcc_lo
	v_add_co_u32 v19, s2, v19, 2
	s_delay_alu instid0(VALU_DEP_1)
	v_add_co_ci_u32_e64 v20, s2, 0, v20, s2
	s_add_u32 s18, s18, 1
	s_addc_u32 s19, s19, 0
	s_and_not1_b32 s2, s35, exec_lo
	s_waitcnt vmcnt(0)
	v_cmp_ne_u16_e32 vcc_lo, v21, v22
	s_and_b32 s35, vcc_lo, exec_lo
	s_delay_alu instid0(SALU_CYCLE_1)
	s_or_b32 s35, s2, s35
.LBB691_170:                            ;   in Loop: Header=BB691_171 Depth=1
	v_dual_mov_b32 v22, s19 :: v_dual_mov_b32 v21, s18
	s_and_b32 s2, exec_lo, s35
	s_delay_alu instid0(SALU_CYCLE_1) | instskip(NEXT) | instid1(SALU_CYCLE_1)
	s_or_b32 s34, s2, s34
	s_and_not1_b32 exec_lo, exec_lo, s34
	s_cbranch_execz .LBB691_173
.LBB691_171:                            ; =>This Inner Loop Header: Depth=1
	s_or_b32 s35, s35, exec_lo
	s_cmp_eq_u64 s[6:7], s[18:19]
	s_cbranch_scc0 .LBB691_169
; %bb.172:                              ;   in Loop: Header=BB691_171 Depth=1
	s_mov_b64 s[18:19], s[22:23]
                                        ; implicit-def: $vgpr17_vgpr18
                                        ; implicit-def: $vgpr19_vgpr20
	s_branch .LBB691_170
.LBB691_173:
	s_set_inst_prefetch_distance 0x2
	s_or_b32 exec_lo, exec_lo, s34
	v_cmp_gt_i64_e32 vcc_lo, s[22:23], v[21:22]
	s_or_not1_b32 s2, vcc_lo, exec_lo
.LBB691_174:
	s_or_b32 exec_lo, exec_lo, s33
.LBB691_175:
	s_delay_alu instid0(SALU_CYCLE_1)
	s_and_b32 s2, s2, exec_lo
.LBB691_176:
	s_or_b32 exec_lo, exec_lo, s31
	s_waitcnt lgkmcnt(0)
	v_dual_mov_b32 v18, s5 :: v_dual_mov_b32 v17, s4
	s_mov_b32 s4, exec_lo
	s_barrier
	buffer_gl0_inv
	v_cmpx_ne_u32_e32 0, v0
	s_cbranch_execz .LBB691_178
; %bb.177:
	v_add_nc_u32_e32 v17, -8, v39
	ds_load_b64 v[17:18], v17
.LBB691_178:
	s_or_b32 exec_lo, exec_lo, s4
	v_cndmask_b32_e64 v20, 0, 1, s29
	v_cndmask_b32_e64 v22, 0, 1, s26
	;; [unrolled: 1-line block ×7, first 2 shown]
	v_lshlrev_b16 v20, 8, v20
	v_lshlrev_b16 v22, 8, v22
	;; [unrolled: 1-line block ×3, first 2 shown]
	s_mov_b32 s2, 0
	v_lshlrev_b16 v26, 8, v26
	v_or_b32_e32 v19, v19, v20
	v_or_b32_e32 v20, v21, v22
	;; [unrolled: 1-line block ×3, first 2 shown]
	s_mov_b32 s3, exec_lo
	v_and_b32_e32 v23, 0xffff, v26
	v_lshlrev_b32_e32 v24, 16, v19
	v_and_b32_e32 v26, 0xffff, v20
	v_lshlrev_b32_e32 v27, 16, v21
	v_cmpx_gt_u32_e64 s20, v39
	s_cbranch_execz .LBB691_189
; %bb.179:
	v_cmp_ne_u32_e32 vcc_lo, 1, v25
	s_cbranch_vccnz .LBB691_188
; %bb.180:
	s_waitcnt lgkmcnt(0)
	v_mul_lo_u32 v22, v18, s22
	v_mul_lo_u32 v25, v17, s23
	v_mad_u64_u32 v[18:19], null, v17, s22, 0
	v_mul_lo_u32 v17, v14, s22
	v_mul_lo_u32 v28, v13, s23
	v_mad_u64_u32 v[20:21], null, v13, s22, 0
	s_mov_b32 s2, -1
	s_mov_b32 s18, exec_lo
	s_delay_alu instid0(VALU_DEP_4) | instskip(NEXT) | instid1(VALU_DEP_2)
	v_add3_u32 v19, v19, v25, v22
	v_add3_u32 v21, v21, v28, v17
	s_delay_alu instid0(VALU_DEP_2) | instskip(NEXT) | instid1(VALU_DEP_2)
	v_lshlrev_b64 v[17:18], 1, v[18:19]
	v_lshlrev_b64 v[21:22], 1, v[20:21]
	s_delay_alu instid0(VALU_DEP_2) | instskip(NEXT) | instid1(VALU_DEP_3)
	v_add_co_u32 v19, vcc_lo, s8, v17
	v_add_co_ci_u32_e32 v20, vcc_lo, s9, v18, vcc_lo
	s_delay_alu instid0(VALU_DEP_3) | instskip(NEXT) | instid1(VALU_DEP_4)
	v_add_co_u32 v17, vcc_lo, s8, v21
	v_add_co_ci_u32_e32 v18, vcc_lo, s9, v22, vcc_lo
	s_clause 0x1
	global_load_u16 v21, v[19:20], off
	global_load_u16 v22, v[17:18], off
	s_waitcnt vmcnt(0)
	v_cmpx_eq_u16_e64 v21, v22
	s_cbranch_execz .LBB691_187
; %bb.181:
	v_add_co_u32 v17, vcc_lo, v17, 2
	v_add_co_ci_u32_e32 v18, vcc_lo, 0, v18, vcc_lo
	v_add_co_u32 v19, vcc_lo, v19, 2
	v_add_co_ci_u32_e32 v20, vcc_lo, 0, v20, vcc_lo
	s_add_u32 s4, s22, -1
	s_addc_u32 s5, s23, -1
	s_mov_b64 s[6:7], 0
	s_mov_b32 s19, 0
                                        ; implicit-def: $sgpr26
	s_set_inst_prefetch_distance 0x1
	s_branch .LBB691_184
	.p2align	6
.LBB691_182:                            ;   in Loop: Header=BB691_184 Depth=1
	global_load_u16 v21, v[19:20], off
	global_load_u16 v22, v[17:18], off
	v_add_co_u32 v17, vcc_lo, v17, 2
	v_add_co_ci_u32_e32 v18, vcc_lo, 0, v18, vcc_lo
	v_add_co_u32 v19, s2, v19, 2
	s_delay_alu instid0(VALU_DEP_1)
	v_add_co_ci_u32_e64 v20, s2, 0, v20, s2
	s_add_u32 s6, s6, 1
	s_addc_u32 s7, s7, 0
	s_and_not1_b32 s2, s26, exec_lo
	s_waitcnt vmcnt(0)
	v_cmp_ne_u16_e32 vcc_lo, v21, v22
	s_and_b32 s26, vcc_lo, exec_lo
	s_delay_alu instid0(SALU_CYCLE_1)
	s_or_b32 s26, s2, s26
.LBB691_183:                            ;   in Loop: Header=BB691_184 Depth=1
	v_dual_mov_b32 v22, s7 :: v_dual_mov_b32 v21, s6
	s_and_b32 s2, exec_lo, s26
	s_delay_alu instid0(SALU_CYCLE_1) | instskip(NEXT) | instid1(SALU_CYCLE_1)
	s_or_b32 s19, s2, s19
	s_and_not1_b32 exec_lo, exec_lo, s19
	s_cbranch_execz .LBB691_186
.LBB691_184:                            ; =>This Inner Loop Header: Depth=1
	s_or_b32 s26, s26, exec_lo
	s_cmp_eq_u64 s[4:5], s[6:7]
	s_cbranch_scc0 .LBB691_182
; %bb.185:                              ;   in Loop: Header=BB691_184 Depth=1
	s_mov_b64 s[6:7], s[22:23]
                                        ; implicit-def: $vgpr17_vgpr18
                                        ; implicit-def: $vgpr19_vgpr20
	s_branch .LBB691_183
.LBB691_186:
	s_set_inst_prefetch_distance 0x2
	s_or_b32 exec_lo, exec_lo, s19
	v_cmp_gt_i64_e32 vcc_lo, s[22:23], v[21:22]
	s_or_not1_b32 s2, vcc_lo, exec_lo
.LBB691_187:
	s_or_b32 exec_lo, exec_lo, s18
.LBB691_188:
	s_delay_alu instid0(SALU_CYCLE_1)
	s_and_b32 s2, s2, exec_lo
.LBB691_189:
	s_or_b32 exec_lo, exec_lo, s3
	s_waitcnt lgkmcnt(0)
	v_or_b32_e32 v17, v23, v24
	v_or_b32_e32 v18, v26, v27
.LBB691_190:
	s_mov_b32 s18, -1
	s_cbranch_execnz .LBB691_359
.LBB691_191:
	v_cmp_gt_i64_e64 s3, s[22:23], 0
	s_and_b32 vcc_lo, exec_lo, s21
	ds_store_b64 v39, v[3:4]
	s_cbranch_vccz .LBB691_199
; %bb.192:
	s_waitcnt lgkmcnt(0)
	v_mul_lo_u32 v19, v2, s22
	v_mul_lo_u32 v20, v1, s23
	v_mad_u64_u32 v[17:18], null, v1, s22, 0
	s_mov_b32 s19, 0
	s_and_not1_b32 vcc_lo, exec_lo, s3
	s_mov_b32 s26, 0
	s_delay_alu instid0(VALU_DEP_1) | instskip(NEXT) | instid1(VALU_DEP_1)
	v_add3_u32 v18, v18, v20, v19
	v_lshlrev_b64 v[17:18], 1, v[17:18]
	s_cbranch_vccnz .LBB691_202
; %bb.193:
	v_mul_lo_u32 v21, v4, s22
	v_mul_lo_u32 v22, v3, s23
	v_mad_u64_u32 v[19:20], null, v3, s22, 0
	s_mov_b32 s26, -1
	s_mov_b32 s27, exec_lo
	s_delay_alu instid0(VALU_DEP_1) | instskip(SKIP_2) | instid1(VALU_DEP_3)
	v_add3_u32 v20, v20, v22, v21
	v_add_co_u32 v21, vcc_lo, s8, v17
	v_add_co_ci_u32_e32 v22, vcc_lo, s9, v18, vcc_lo
	v_lshlrev_b64 v[19:20], 1, v[19:20]
	s_delay_alu instid0(VALU_DEP_1) | instskip(NEXT) | instid1(VALU_DEP_2)
	v_add_co_u32 v19, vcc_lo, s8, v19
	v_add_co_ci_u32_e32 v20, vcc_lo, s9, v20, vcc_lo
	s_clause 0x1
	global_load_u16 v23, v[21:22], off
	global_load_u16 v24, v[19:20], off
	s_waitcnt vmcnt(0)
	v_cmpx_eq_u16_e64 v23, v24
	s_cbranch_execz .LBB691_201
; %bb.194:
	v_add_co_u32 v19, vcc_lo, v19, 2
	v_add_co_ci_u32_e32 v20, vcc_lo, 0, v20, vcc_lo
	v_add_co_u32 v21, vcc_lo, v21, 2
	v_add_co_ci_u32_e32 v22, vcc_lo, 0, v22, vcc_lo
	s_add_u32 s4, s22, -1
	s_addc_u32 s5, s23, -1
	s_mov_b64 s[6:7], 0
	s_mov_b32 s26, 0
                                        ; implicit-def: $sgpr28
	s_set_inst_prefetch_distance 0x1
	s_branch .LBB691_197
	.p2align	6
.LBB691_195:                            ;   in Loop: Header=BB691_197 Depth=1
	global_load_u16 v23, v[21:22], off
	global_load_u16 v24, v[19:20], off
	v_add_co_u32 v19, vcc_lo, v19, 2
	v_add_co_ci_u32_e32 v20, vcc_lo, 0, v20, vcc_lo
	v_add_co_u32 v21, s2, v21, 2
	s_delay_alu instid0(VALU_DEP_1)
	v_add_co_ci_u32_e64 v22, s2, 0, v22, s2
	s_add_u32 s6, s6, 1
	s_addc_u32 s7, s7, 0
	s_and_not1_b32 s2, s28, exec_lo
	s_waitcnt vmcnt(0)
	v_cmp_ne_u16_e32 vcc_lo, v23, v24
	s_and_b32 s28, vcc_lo, exec_lo
	s_delay_alu instid0(SALU_CYCLE_1)
	s_or_b32 s28, s2, s28
.LBB691_196:                            ;   in Loop: Header=BB691_197 Depth=1
	v_dual_mov_b32 v24, s7 :: v_dual_mov_b32 v23, s6
	s_and_b32 s2, exec_lo, s28
	s_delay_alu instid0(SALU_CYCLE_1) | instskip(NEXT) | instid1(SALU_CYCLE_1)
	s_or_b32 s26, s2, s26
	s_and_not1_b32 exec_lo, exec_lo, s26
	s_cbranch_execz .LBB691_200
.LBB691_197:                            ; =>This Inner Loop Header: Depth=1
	s_or_b32 s28, s28, exec_lo
	s_cmp_eq_u64 s[4:5], s[6:7]
	s_cbranch_scc0 .LBB691_195
; %bb.198:                              ;   in Loop: Header=BB691_197 Depth=1
	s_mov_b64 s[6:7], s[22:23]
                                        ; implicit-def: $vgpr19_vgpr20
                                        ; implicit-def: $vgpr21_vgpr22
	s_branch .LBB691_196
.LBB691_199:
	s_waitcnt lgkmcnt(0)
                                        ; implicit-def: $sgpr2
                                        ; implicit-def: $vgpr18
	s_cbranch_execnz .LBB691_268
	s_branch .LBB691_359
.LBB691_200:
	s_set_inst_prefetch_distance 0x2
	s_or_b32 exec_lo, exec_lo, s26
	v_cmp_gt_i64_e32 vcc_lo, s[22:23], v[23:24]
	s_or_not1_b32 s26, vcc_lo, exec_lo
.LBB691_201:
	s_or_b32 exec_lo, exec_lo, s27
.LBB691_202:
	v_mul_lo_u32 v21, v8, s22
	v_mul_lo_u32 v22, v7, s23
	v_mad_u64_u32 v[19:20], null, v7, s22, 0
	s_and_not1_b32 vcc_lo, exec_lo, s3
	s_delay_alu instid0(VALU_DEP_1) | instskip(NEXT) | instid1(VALU_DEP_1)
	v_add3_u32 v20, v20, v22, v21
	v_lshlrev_b64 v[19:20], 1, v[19:20]
	s_cbranch_vccnz .LBB691_211
; %bb.203:
	s_delay_alu instid0(VALU_DEP_1) | instskip(NEXT) | instid1(VALU_DEP_2)
	v_add_co_u32 v21, vcc_lo, s8, v19
	v_add_co_ci_u32_e32 v22, vcc_lo, s9, v20, vcc_lo
	v_add_co_u32 v17, vcc_lo, s8, v17
	v_add_co_ci_u32_e32 v18, vcc_lo, s9, v18, vcc_lo
	s_mov_b32 s19, -1
	s_clause 0x1
	global_load_u16 v23, v[21:22], off
	global_load_u16 v24, v[17:18], off
	s_mov_b32 s27, exec_lo
	s_waitcnt vmcnt(0)
	v_cmpx_eq_u16_e64 v23, v24
	s_cbranch_execz .LBB691_210
; %bb.204:
	v_add_co_u32 v17, vcc_lo, v17, 2
	v_add_co_ci_u32_e32 v18, vcc_lo, 0, v18, vcc_lo
	v_add_co_u32 v21, vcc_lo, v21, 2
	v_add_co_ci_u32_e32 v22, vcc_lo, 0, v22, vcc_lo
	s_add_u32 s4, s22, -1
	s_addc_u32 s5, s23, -1
	s_mov_b64 s[6:7], 0
	s_mov_b32 s19, 0
                                        ; implicit-def: $sgpr28
	s_set_inst_prefetch_distance 0x1
	s_branch .LBB691_207
	.p2align	6
.LBB691_205:                            ;   in Loop: Header=BB691_207 Depth=1
	global_load_u16 v23, v[21:22], off
	global_load_u16 v24, v[17:18], off
	v_add_co_u32 v17, vcc_lo, v17, 2
	v_add_co_ci_u32_e32 v18, vcc_lo, 0, v18, vcc_lo
	v_add_co_u32 v21, s2, v21, 2
	s_delay_alu instid0(VALU_DEP_1)
	v_add_co_ci_u32_e64 v22, s2, 0, v22, s2
	s_add_u32 s6, s6, 1
	s_addc_u32 s7, s7, 0
	s_and_not1_b32 s2, s28, exec_lo
	s_waitcnt vmcnt(0)
	v_cmp_ne_u16_e32 vcc_lo, v23, v24
	s_and_b32 s28, vcc_lo, exec_lo
	s_delay_alu instid0(SALU_CYCLE_1)
	s_or_b32 s28, s2, s28
.LBB691_206:                            ;   in Loop: Header=BB691_207 Depth=1
	v_dual_mov_b32 v24, s7 :: v_dual_mov_b32 v23, s6
	s_and_b32 s2, exec_lo, s28
	s_delay_alu instid0(SALU_CYCLE_1) | instskip(NEXT) | instid1(SALU_CYCLE_1)
	s_or_b32 s19, s2, s19
	s_and_not1_b32 exec_lo, exec_lo, s19
	s_cbranch_execz .LBB691_209
.LBB691_207:                            ; =>This Inner Loop Header: Depth=1
	s_or_b32 s28, s28, exec_lo
	s_cmp_eq_u64 s[4:5], s[6:7]
	s_cbranch_scc0 .LBB691_205
; %bb.208:                              ;   in Loop: Header=BB691_207 Depth=1
	s_mov_b64 s[6:7], s[22:23]
                                        ; implicit-def: $vgpr17_vgpr18
                                        ; implicit-def: $vgpr21_vgpr22
	s_branch .LBB691_206
.LBB691_209:
	s_set_inst_prefetch_distance 0x2
	s_or_b32 exec_lo, exec_lo, s19
	v_cmp_gt_i64_e32 vcc_lo, s[22:23], v[23:24]
	s_or_not1_b32 s19, vcc_lo, exec_lo
.LBB691_210:
	s_or_b32 exec_lo, exec_lo, s27
.LBB691_211:
	v_mul_lo_u32 v21, v6, s22
	v_mul_lo_u32 v22, v5, s23
	v_mad_u64_u32 v[17:18], null, v5, s22, 0
	s_mov_b32 s27, 0
	s_and_not1_b32 vcc_lo, exec_lo, s3
	s_mov_b32 s28, 0
	s_delay_alu instid0(VALU_DEP_1) | instskip(NEXT) | instid1(VALU_DEP_1)
	v_add3_u32 v18, v18, v22, v21
	v_lshlrev_b64 v[21:22], 1, v[17:18]
	s_cbranch_vccnz .LBB691_220
; %bb.212:
	s_delay_alu instid0(VALU_DEP_1) | instskip(NEXT) | instid1(VALU_DEP_2)
	v_add_co_u32 v23, vcc_lo, s8, v21
	v_add_co_ci_u32_e32 v24, vcc_lo, s9, v22, vcc_lo
	v_add_co_u32 v17, vcc_lo, s8, v19
	v_add_co_ci_u32_e32 v18, vcc_lo, s9, v20, vcc_lo
	s_mov_b32 s28, -1
	s_clause 0x1
	global_load_u16 v19, v[23:24], off
	global_load_u16 v20, v[17:18], off
	s_mov_b32 s29, exec_lo
	s_waitcnt vmcnt(0)
	v_cmpx_eq_u16_e64 v19, v20
	s_cbranch_execz .LBB691_219
; %bb.213:
	v_add_co_u32 v17, vcc_lo, v17, 2
	v_add_co_ci_u32_e32 v18, vcc_lo, 0, v18, vcc_lo
	v_add_co_u32 v19, vcc_lo, v23, 2
	v_add_co_ci_u32_e32 v20, vcc_lo, 0, v24, vcc_lo
	s_add_u32 s4, s22, -1
	s_addc_u32 s5, s23, -1
	s_mov_b64 s[6:7], 0
	s_mov_b32 s28, 0
                                        ; implicit-def: $sgpr30
	s_set_inst_prefetch_distance 0x1
	s_branch .LBB691_216
	.p2align	6
.LBB691_214:                            ;   in Loop: Header=BB691_216 Depth=1
	global_load_u16 v23, v[19:20], off
	global_load_u16 v24, v[17:18], off
	v_add_co_u32 v17, vcc_lo, v17, 2
	v_add_co_ci_u32_e32 v18, vcc_lo, 0, v18, vcc_lo
	v_add_co_u32 v19, s2, v19, 2
	s_delay_alu instid0(VALU_DEP_1)
	v_add_co_ci_u32_e64 v20, s2, 0, v20, s2
	s_add_u32 s6, s6, 1
	s_addc_u32 s7, s7, 0
	s_and_not1_b32 s2, s30, exec_lo
	s_waitcnt vmcnt(0)
	v_cmp_ne_u16_e32 vcc_lo, v23, v24
	s_and_b32 s30, vcc_lo, exec_lo
	s_delay_alu instid0(SALU_CYCLE_1)
	s_or_b32 s30, s2, s30
.LBB691_215:                            ;   in Loop: Header=BB691_216 Depth=1
	v_dual_mov_b32 v24, s7 :: v_dual_mov_b32 v23, s6
	s_and_b32 s2, exec_lo, s30
	s_delay_alu instid0(SALU_CYCLE_1) | instskip(NEXT) | instid1(SALU_CYCLE_1)
	s_or_b32 s28, s2, s28
	s_and_not1_b32 exec_lo, exec_lo, s28
	s_cbranch_execz .LBB691_218
.LBB691_216:                            ; =>This Inner Loop Header: Depth=1
	s_or_b32 s30, s30, exec_lo
	s_cmp_eq_u64 s[4:5], s[6:7]
	s_cbranch_scc0 .LBB691_214
; %bb.217:                              ;   in Loop: Header=BB691_216 Depth=1
	s_mov_b64 s[6:7], s[22:23]
                                        ; implicit-def: $vgpr17_vgpr18
                                        ; implicit-def: $vgpr19_vgpr20
	s_branch .LBB691_215
.LBB691_218:
	s_set_inst_prefetch_distance 0x2
	s_or_b32 exec_lo, exec_lo, s28
	v_cmp_gt_i64_e32 vcc_lo, s[22:23], v[23:24]
	s_or_not1_b32 s28, vcc_lo, exec_lo
.LBB691_219:
	s_or_b32 exec_lo, exec_lo, s29
.LBB691_220:
	v_mul_lo_u32 v19, v12, s22
	v_mul_lo_u32 v20, v11, s23
	v_mad_u64_u32 v[17:18], null, v11, s22, 0
	s_and_not1_b32 vcc_lo, exec_lo, s3
	s_delay_alu instid0(VALU_DEP_1) | instskip(NEXT) | instid1(VALU_DEP_1)
	v_add3_u32 v18, v18, v20, v19
	v_lshlrev_b64 v[17:18], 1, v[17:18]
	s_cbranch_vccnz .LBB691_229
; %bb.221:
	s_delay_alu instid0(VALU_DEP_1) | instskip(NEXT) | instid1(VALU_DEP_2)
	v_add_co_u32 v23, vcc_lo, s8, v17
	v_add_co_ci_u32_e32 v24, vcc_lo, s9, v18, vcc_lo
	v_add_co_u32 v19, vcc_lo, s8, v21
	v_add_co_ci_u32_e32 v20, vcc_lo, s9, v22, vcc_lo
	s_mov_b32 s27, -1
	s_clause 0x1
	global_load_u16 v21, v[23:24], off
	global_load_u16 v22, v[19:20], off
	s_mov_b32 s29, exec_lo
	s_waitcnt vmcnt(0)
	v_cmpx_eq_u16_e64 v21, v22
	s_cbranch_execz .LBB691_228
; %bb.222:
	v_add_co_u32 v19, vcc_lo, v19, 2
	v_add_co_ci_u32_e32 v20, vcc_lo, 0, v20, vcc_lo
	v_add_co_u32 v21, vcc_lo, v23, 2
	v_add_co_ci_u32_e32 v22, vcc_lo, 0, v24, vcc_lo
	s_add_u32 s4, s22, -1
	s_addc_u32 s5, s23, -1
	s_mov_b64 s[6:7], 0
	s_mov_b32 s27, 0
                                        ; implicit-def: $sgpr30
	s_set_inst_prefetch_distance 0x1
	s_branch .LBB691_225
	.p2align	6
.LBB691_223:                            ;   in Loop: Header=BB691_225 Depth=1
	global_load_u16 v23, v[21:22], off
	global_load_u16 v24, v[19:20], off
	v_add_co_u32 v19, vcc_lo, v19, 2
	v_add_co_ci_u32_e32 v20, vcc_lo, 0, v20, vcc_lo
	v_add_co_u32 v21, s2, v21, 2
	s_delay_alu instid0(VALU_DEP_1)
	v_add_co_ci_u32_e64 v22, s2, 0, v22, s2
	s_add_u32 s6, s6, 1
	s_addc_u32 s7, s7, 0
	s_and_not1_b32 s2, s30, exec_lo
	s_waitcnt vmcnt(0)
	v_cmp_ne_u16_e32 vcc_lo, v23, v24
	s_and_b32 s30, vcc_lo, exec_lo
	s_delay_alu instid0(SALU_CYCLE_1)
	s_or_b32 s30, s2, s30
.LBB691_224:                            ;   in Loop: Header=BB691_225 Depth=1
	v_dual_mov_b32 v24, s7 :: v_dual_mov_b32 v23, s6
	s_and_b32 s2, exec_lo, s30
	s_delay_alu instid0(SALU_CYCLE_1) | instskip(NEXT) | instid1(SALU_CYCLE_1)
	s_or_b32 s27, s2, s27
	s_and_not1_b32 exec_lo, exec_lo, s27
	s_cbranch_execz .LBB691_227
.LBB691_225:                            ; =>This Inner Loop Header: Depth=1
	s_or_b32 s30, s30, exec_lo
	s_cmp_eq_u64 s[4:5], s[6:7]
	s_cbranch_scc0 .LBB691_223
; %bb.226:                              ;   in Loop: Header=BB691_225 Depth=1
	s_mov_b64 s[6:7], s[22:23]
                                        ; implicit-def: $vgpr19_vgpr20
                                        ; implicit-def: $vgpr21_vgpr22
	s_branch .LBB691_224
.LBB691_227:
	s_set_inst_prefetch_distance 0x2
	s_or_b32 exec_lo, exec_lo, s27
	v_cmp_gt_i64_e32 vcc_lo, s[22:23], v[23:24]
	s_or_not1_b32 s27, vcc_lo, exec_lo
.LBB691_228:
	s_or_b32 exec_lo, exec_lo, s29
.LBB691_229:
	v_mul_lo_u32 v21, v10, s22
	v_mul_lo_u32 v22, v9, s23
	v_mad_u64_u32 v[19:20], null, v9, s22, 0
	s_mov_b32 s29, 0
	s_and_not1_b32 vcc_lo, exec_lo, s3
	s_mov_b32 s30, 0
	s_delay_alu instid0(VALU_DEP_1) | instskip(NEXT) | instid1(VALU_DEP_1)
	v_add3_u32 v20, v20, v22, v21
	v_lshlrev_b64 v[19:20], 1, v[19:20]
	s_cbranch_vccnz .LBB691_238
; %bb.230:
	s_delay_alu instid0(VALU_DEP_1) | instskip(NEXT) | instid1(VALU_DEP_2)
	v_add_co_u32 v21, vcc_lo, s8, v19
	v_add_co_ci_u32_e32 v22, vcc_lo, s9, v20, vcc_lo
	v_add_co_u32 v17, vcc_lo, s8, v17
	v_add_co_ci_u32_e32 v18, vcc_lo, s9, v18, vcc_lo
	s_mov_b32 s30, -1
	s_clause 0x1
	global_load_u16 v23, v[21:22], off
	global_load_u16 v24, v[17:18], off
	s_mov_b32 s31, exec_lo
	s_waitcnt vmcnt(0)
	v_cmpx_eq_u16_e64 v23, v24
	s_cbranch_execz .LBB691_237
; %bb.231:
	v_add_co_u32 v17, vcc_lo, v17, 2
	v_add_co_ci_u32_e32 v18, vcc_lo, 0, v18, vcc_lo
	v_add_co_u32 v21, vcc_lo, v21, 2
	v_add_co_ci_u32_e32 v22, vcc_lo, 0, v22, vcc_lo
	s_add_u32 s4, s22, -1
	s_addc_u32 s5, s23, -1
	s_mov_b64 s[6:7], 0
	s_mov_b32 s30, 0
                                        ; implicit-def: $sgpr33
	s_set_inst_prefetch_distance 0x1
	s_branch .LBB691_234
	.p2align	6
.LBB691_232:                            ;   in Loop: Header=BB691_234 Depth=1
	global_load_u16 v23, v[21:22], off
	global_load_u16 v24, v[17:18], off
	v_add_co_u32 v17, vcc_lo, v17, 2
	v_add_co_ci_u32_e32 v18, vcc_lo, 0, v18, vcc_lo
	v_add_co_u32 v21, s2, v21, 2
	s_delay_alu instid0(VALU_DEP_1)
	v_add_co_ci_u32_e64 v22, s2, 0, v22, s2
	s_add_u32 s6, s6, 1
	s_addc_u32 s7, s7, 0
	s_and_not1_b32 s2, s33, exec_lo
	s_waitcnt vmcnt(0)
	v_cmp_ne_u16_e32 vcc_lo, v23, v24
	s_and_b32 s33, vcc_lo, exec_lo
	s_delay_alu instid0(SALU_CYCLE_1)
	s_or_b32 s33, s2, s33
.LBB691_233:                            ;   in Loop: Header=BB691_234 Depth=1
	v_dual_mov_b32 v24, s7 :: v_dual_mov_b32 v23, s6
	s_and_b32 s2, exec_lo, s33
	s_delay_alu instid0(SALU_CYCLE_1) | instskip(NEXT) | instid1(SALU_CYCLE_1)
	s_or_b32 s30, s2, s30
	s_and_not1_b32 exec_lo, exec_lo, s30
	s_cbranch_execz .LBB691_236
.LBB691_234:                            ; =>This Inner Loop Header: Depth=1
	s_or_b32 s33, s33, exec_lo
	s_cmp_eq_u64 s[4:5], s[6:7]
	s_cbranch_scc0 .LBB691_232
; %bb.235:                              ;   in Loop: Header=BB691_234 Depth=1
	s_mov_b64 s[6:7], s[22:23]
                                        ; implicit-def: $vgpr17_vgpr18
                                        ; implicit-def: $vgpr21_vgpr22
	s_branch .LBB691_233
.LBB691_236:
	s_set_inst_prefetch_distance 0x2
	s_or_b32 exec_lo, exec_lo, s30
	v_cmp_gt_i64_e32 vcc_lo, s[22:23], v[23:24]
	s_or_not1_b32 s30, vcc_lo, exec_lo
.LBB691_237:
	s_or_b32 exec_lo, exec_lo, s31
.LBB691_238:
	v_mul_lo_u32 v21, v16, s22
	v_mul_lo_u32 v22, v15, s23
	v_mad_u64_u32 v[17:18], null, v15, s22, 0
	s_and_not1_b32 vcc_lo, exec_lo, s3
	s_delay_alu instid0(VALU_DEP_1) | instskip(NEXT) | instid1(VALU_DEP_1)
	v_add3_u32 v18, v18, v22, v21
	v_lshlrev_b64 v[17:18], 1, v[17:18]
	s_cbranch_vccnz .LBB691_247
; %bb.239:
	s_delay_alu instid0(VALU_DEP_1) | instskip(NEXT) | instid1(VALU_DEP_2)
	v_add_co_u32 v21, vcc_lo, s8, v17
	v_add_co_ci_u32_e32 v22, vcc_lo, s9, v18, vcc_lo
	v_add_co_u32 v19, vcc_lo, s8, v19
	v_add_co_ci_u32_e32 v20, vcc_lo, s9, v20, vcc_lo
	s_mov_b32 s29, -1
	s_clause 0x1
	global_load_u16 v23, v[21:22], off
	global_load_u16 v24, v[19:20], off
	s_mov_b32 s31, exec_lo
	s_waitcnt vmcnt(0)
	v_cmpx_eq_u16_e64 v23, v24
	s_cbranch_execz .LBB691_246
; %bb.240:
	v_add_co_u32 v19, vcc_lo, v19, 2
	v_add_co_ci_u32_e32 v20, vcc_lo, 0, v20, vcc_lo
	v_add_co_u32 v21, vcc_lo, v21, 2
	v_add_co_ci_u32_e32 v22, vcc_lo, 0, v22, vcc_lo
	s_add_u32 s4, s22, -1
	s_addc_u32 s5, s23, -1
	s_mov_b64 s[6:7], 0
	s_mov_b32 s29, 0
                                        ; implicit-def: $sgpr33
	s_set_inst_prefetch_distance 0x1
	s_branch .LBB691_243
	.p2align	6
.LBB691_241:                            ;   in Loop: Header=BB691_243 Depth=1
	global_load_u16 v23, v[21:22], off
	global_load_u16 v24, v[19:20], off
	v_add_co_u32 v19, vcc_lo, v19, 2
	v_add_co_ci_u32_e32 v20, vcc_lo, 0, v20, vcc_lo
	v_add_co_u32 v21, s2, v21, 2
	s_delay_alu instid0(VALU_DEP_1)
	v_add_co_ci_u32_e64 v22, s2, 0, v22, s2
	s_add_u32 s6, s6, 1
	s_addc_u32 s7, s7, 0
	s_and_not1_b32 s2, s33, exec_lo
	s_waitcnt vmcnt(0)
	v_cmp_ne_u16_e32 vcc_lo, v23, v24
	s_and_b32 s33, vcc_lo, exec_lo
	s_delay_alu instid0(SALU_CYCLE_1)
	s_or_b32 s33, s2, s33
.LBB691_242:                            ;   in Loop: Header=BB691_243 Depth=1
	v_dual_mov_b32 v24, s7 :: v_dual_mov_b32 v23, s6
	s_and_b32 s2, exec_lo, s33
	s_delay_alu instid0(SALU_CYCLE_1) | instskip(NEXT) | instid1(SALU_CYCLE_1)
	s_or_b32 s29, s2, s29
	s_and_not1_b32 exec_lo, exec_lo, s29
	s_cbranch_execz .LBB691_245
.LBB691_243:                            ; =>This Inner Loop Header: Depth=1
	s_or_b32 s33, s33, exec_lo
	s_cmp_eq_u64 s[4:5], s[6:7]
	s_cbranch_scc0 .LBB691_241
; %bb.244:                              ;   in Loop: Header=BB691_243 Depth=1
	s_mov_b64 s[6:7], s[22:23]
                                        ; implicit-def: $vgpr19_vgpr20
                                        ; implicit-def: $vgpr21_vgpr22
	s_branch .LBB691_242
.LBB691_245:
	s_set_inst_prefetch_distance 0x2
	s_or_b32 exec_lo, exec_lo, s29
	v_cmp_gt_i64_e32 vcc_lo, s[22:23], v[23:24]
	s_or_not1_b32 s29, vcc_lo, exec_lo
.LBB691_246:
	s_or_b32 exec_lo, exec_lo, s31
.LBB691_247:
	v_mul_lo_u32 v21, v14, s22
	v_mul_lo_u32 v22, v13, s23
	v_mad_u64_u32 v[19:20], null, v13, s22, 0
	s_and_not1_b32 vcc_lo, exec_lo, s3
	s_mov_b32 s2, 0
	s_delay_alu instid0(VALU_DEP_1)
	v_add3_u32 v20, v20, v22, v21
	s_cbranch_vccnz .LBB691_256
; %bb.248:
	s_delay_alu instid0(VALU_DEP_1) | instskip(SKIP_2) | instid1(VALU_DEP_1)
	v_lshlrev_b64 v[21:22], 1, v[19:20]
	s_mov_b32 s2, -1
	s_mov_b32 s31, exec_lo
	v_add_co_u32 v21, vcc_lo, s8, v21
	s_delay_alu instid0(VALU_DEP_2)
	v_add_co_ci_u32_e32 v22, vcc_lo, s9, v22, vcc_lo
	v_add_co_u32 v17, vcc_lo, s8, v17
	v_add_co_ci_u32_e32 v18, vcc_lo, s9, v18, vcc_lo
	s_clause 0x1
	global_load_u16 v23, v[21:22], off
	global_load_u16 v24, v[17:18], off
	s_waitcnt vmcnt(0)
	v_cmpx_eq_u16_e64 v23, v24
	s_cbranch_execz .LBB691_255
; %bb.249:
	v_add_co_u32 v17, vcc_lo, v17, 2
	v_add_co_ci_u32_e32 v18, vcc_lo, 0, v18, vcc_lo
	v_add_co_u32 v21, vcc_lo, v21, 2
	v_add_co_ci_u32_e32 v22, vcc_lo, 0, v22, vcc_lo
	s_add_u32 s4, s22, -1
	s_addc_u32 s5, s23, -1
	s_mov_b64 s[6:7], 0
	s_mov_b32 s33, 0
                                        ; implicit-def: $sgpr34
	s_set_inst_prefetch_distance 0x1
	s_branch .LBB691_252
	.p2align	6
.LBB691_250:                            ;   in Loop: Header=BB691_252 Depth=1
	global_load_u16 v23, v[21:22], off
	global_load_u16 v24, v[17:18], off
	v_add_co_u32 v17, vcc_lo, v17, 2
	v_add_co_ci_u32_e32 v18, vcc_lo, 0, v18, vcc_lo
	v_add_co_u32 v21, s2, v21, 2
	s_delay_alu instid0(VALU_DEP_1)
	v_add_co_ci_u32_e64 v22, s2, 0, v22, s2
	s_add_u32 s6, s6, 1
	s_addc_u32 s7, s7, 0
	s_and_not1_b32 s2, s34, exec_lo
	s_waitcnt vmcnt(0)
	v_cmp_ne_u16_e32 vcc_lo, v23, v24
	s_and_b32 s34, vcc_lo, exec_lo
	s_delay_alu instid0(SALU_CYCLE_1)
	s_or_b32 s34, s2, s34
.LBB691_251:                            ;   in Loop: Header=BB691_252 Depth=1
	v_dual_mov_b32 v24, s7 :: v_dual_mov_b32 v23, s6
	s_and_b32 s2, exec_lo, s34
	s_delay_alu instid0(SALU_CYCLE_1) | instskip(NEXT) | instid1(SALU_CYCLE_1)
	s_or_b32 s33, s2, s33
	s_and_not1_b32 exec_lo, exec_lo, s33
	s_cbranch_execz .LBB691_254
.LBB691_252:                            ; =>This Inner Loop Header: Depth=1
	s_or_b32 s34, s34, exec_lo
	s_cmp_eq_u64 s[4:5], s[6:7]
	s_cbranch_scc0 .LBB691_250
; %bb.253:                              ;   in Loop: Header=BB691_252 Depth=1
	s_mov_b64 s[6:7], s[22:23]
                                        ; implicit-def: $vgpr17_vgpr18
                                        ; implicit-def: $vgpr21_vgpr22
	s_branch .LBB691_251
.LBB691_254:
	s_set_inst_prefetch_distance 0x2
	s_or_b32 exec_lo, exec_lo, s33
	v_cmp_gt_i64_e32 vcc_lo, s[22:23], v[23:24]
	s_or_not1_b32 s2, vcc_lo, exec_lo
.LBB691_255:
	s_or_b32 exec_lo, exec_lo, s31
.LBB691_256:
	v_cndmask_b32_e64 v18, 0, 1, s30
	v_cndmask_b32_e64 v21, 0, 1, s28
	;; [unrolled: 1-line block ×7, first 2 shown]
	v_lshlrev_b16 v21, 8, v21
	v_lshlrev_b16 v22, 8, v22
	;; [unrolled: 1-line block ×4, first 2 shown]
	s_delay_alu instid0(VALU_DEP_4) | instskip(NEXT) | instid1(VALU_DEP_4)
	v_or_b32_e32 v21, v24, v21
	v_or_b32_e32 v22, v25, v22
	s_delay_alu instid0(VALU_DEP_4) | instskip(NEXT) | instid1(VALU_DEP_4)
	v_or_b32_e32 v23, 1, v23
	v_or_b32_e32 v17, v17, v18
	s_barrier
	v_and_b32_e32 v18, 0xffff, v21
	v_lshlrev_b32_e32 v21, 16, v22
	v_and_b32_e32 v22, 0xffff, v23
	v_lshlrev_b32_e32 v17, 16, v17
	buffer_gl0_inv
                                        ; implicit-def: $sgpr2
	s_mov_b32 s4, exec_lo
	v_or_b32_e32 v18, v18, v21
	v_or_b32_e32 v17, v22, v17
	v_cmpx_ne_u32_e32 0, v0
	s_xor_b32 s19, exec_lo, s4
	s_cbranch_execz .LBB691_267
; %bb.257:
	s_and_not1_b32 vcc_lo, exec_lo, s3
	s_mov_b32 s2, 0
	s_cbranch_vccnz .LBB691_266
; %bb.258:
	v_add_nc_u32_e32 v21, -8, v39
	v_lshlrev_b64 v[19:20], 1, v[19:20]
	s_mov_b32 s2, -1
	s_mov_b32 s26, exec_lo
	ds_load_b64 v[21:22], v21
	s_waitcnt lgkmcnt(0)
	v_mul_lo_u32 v24, v22, s22
	v_mul_lo_u32 v25, v21, s23
	v_mad_u64_u32 v[22:23], null, v21, s22, 0
	s_delay_alu instid0(VALU_DEP_1) | instskip(NEXT) | instid1(VALU_DEP_1)
	v_add3_u32 v23, v23, v25, v24
	v_lshlrev_b64 v[21:22], 1, v[22:23]
	s_delay_alu instid0(VALU_DEP_1) | instskip(NEXT) | instid1(VALU_DEP_2)
	v_add_co_u32 v21, vcc_lo, s8, v21
	v_add_co_ci_u32_e32 v22, vcc_lo, s9, v22, vcc_lo
	v_add_co_u32 v19, vcc_lo, s8, v19
	v_add_co_ci_u32_e32 v20, vcc_lo, s9, v20, vcc_lo
	s_clause 0x1
	global_load_u16 v23, v[21:22], off
	global_load_u16 v24, v[19:20], off
	s_waitcnt vmcnt(0)
	v_cmpx_eq_u16_e64 v23, v24
	s_cbranch_execz .LBB691_265
; %bb.259:
	v_add_co_u32 v19, vcc_lo, v19, 2
	v_add_co_ci_u32_e32 v20, vcc_lo, 0, v20, vcc_lo
	v_add_co_u32 v21, vcc_lo, v21, 2
	v_add_co_ci_u32_e32 v22, vcc_lo, 0, v22, vcc_lo
	s_add_u32 s4, s22, -1
	s_addc_u32 s5, s23, -1
	s_mov_b64 s[6:7], 0
	s_mov_b32 s27, 0
                                        ; implicit-def: $sgpr28
	s_set_inst_prefetch_distance 0x1
	s_branch .LBB691_262
	.p2align	6
.LBB691_260:                            ;   in Loop: Header=BB691_262 Depth=1
	global_load_u16 v23, v[21:22], off
	global_load_u16 v24, v[19:20], off
	v_add_co_u32 v19, vcc_lo, v19, 2
	v_add_co_ci_u32_e32 v20, vcc_lo, 0, v20, vcc_lo
	v_add_co_u32 v21, s2, v21, 2
	s_delay_alu instid0(VALU_DEP_1)
	v_add_co_ci_u32_e64 v22, s2, 0, v22, s2
	s_add_u32 s6, s6, 1
	s_addc_u32 s7, s7, 0
	s_and_not1_b32 s2, s28, exec_lo
	s_waitcnt vmcnt(0)
	v_cmp_ne_u16_e32 vcc_lo, v23, v24
	s_and_b32 s28, vcc_lo, exec_lo
	s_delay_alu instid0(SALU_CYCLE_1)
	s_or_b32 s28, s2, s28
.LBB691_261:                            ;   in Loop: Header=BB691_262 Depth=1
	v_dual_mov_b32 v24, s7 :: v_dual_mov_b32 v23, s6
	s_and_b32 s2, exec_lo, s28
	s_delay_alu instid0(SALU_CYCLE_1) | instskip(NEXT) | instid1(SALU_CYCLE_1)
	s_or_b32 s27, s2, s27
	s_and_not1_b32 exec_lo, exec_lo, s27
	s_cbranch_execz .LBB691_264
.LBB691_262:                            ; =>This Inner Loop Header: Depth=1
	s_or_b32 s28, s28, exec_lo
	s_cmp_eq_u64 s[4:5], s[6:7]
	s_cbranch_scc0 .LBB691_260
; %bb.263:                              ;   in Loop: Header=BB691_262 Depth=1
	s_mov_b64 s[6:7], s[22:23]
                                        ; implicit-def: $vgpr19_vgpr20
                                        ; implicit-def: $vgpr21_vgpr22
	s_branch .LBB691_261
.LBB691_264:
	s_set_inst_prefetch_distance 0x2
	s_or_b32 exec_lo, exec_lo, s27
	v_cmp_gt_i64_e32 vcc_lo, s[22:23], v[23:24]
	s_or_not1_b32 s2, vcc_lo, exec_lo
.LBB691_265:
	s_or_b32 exec_lo, exec_lo, s26
.LBB691_266:
	s_delay_alu instid0(SALU_CYCLE_1)
	s_and_b32 s2, s2, exec_lo
	s_or_b32 s18, s18, exec_lo
.LBB691_267:
	s_or_b32 exec_lo, exec_lo, s19
	s_branch .LBB691_359
.LBB691_268:
	v_or_b32_e32 v17, 7, v39
	s_mov_b32 s19, 0
	s_mov_b32 s26, 0
	s_mov_b32 s27, exec_lo
	s_delay_alu instid0(VALU_DEP_1)
	v_cmpx_gt_u32_e64 s20, v17
	s_cbranch_execz .LBB691_279
; %bb.269:
	s_and_not1_b32 vcc_lo, exec_lo, s3
	s_mov_b32 s2, 0
	s_cbranch_vccnz .LBB691_278
; %bb.270:
	v_mul_lo_u32 v21, v2, s22
	v_mul_lo_u32 v22, v1, s23
	v_mad_u64_u32 v[17:18], null, v1, s22, 0
	v_mul_lo_u32 v23, v4, s22
	v_mul_lo_u32 v24, v3, s23
	v_mad_u64_u32 v[19:20], null, v3, s22, 0
	s_mov_b32 s2, -1
	s_mov_b32 s26, exec_lo
	s_delay_alu instid0(VALU_DEP_4) | instskip(NEXT) | instid1(VALU_DEP_2)
	v_add3_u32 v18, v18, v22, v21
	v_add3_u32 v20, v20, v24, v23
	s_delay_alu instid0(VALU_DEP_2) | instskip(NEXT) | instid1(VALU_DEP_2)
	v_lshlrev_b64 v[17:18], 1, v[17:18]
	v_lshlrev_b64 v[21:22], 1, v[19:20]
	s_delay_alu instid0(VALU_DEP_2) | instskip(NEXT) | instid1(VALU_DEP_3)
	v_add_co_u32 v19, vcc_lo, s8, v17
	v_add_co_ci_u32_e32 v20, vcc_lo, s9, v18, vcc_lo
	s_delay_alu instid0(VALU_DEP_3) | instskip(NEXT) | instid1(VALU_DEP_4)
	v_add_co_u32 v17, vcc_lo, s8, v21
	v_add_co_ci_u32_e32 v18, vcc_lo, s9, v22, vcc_lo
	s_clause 0x1
	global_load_u16 v21, v[19:20], off
	global_load_u16 v22, v[17:18], off
	s_waitcnt vmcnt(0)
	v_cmpx_eq_u16_e64 v21, v22
	s_cbranch_execz .LBB691_277
; %bb.271:
	v_add_co_u32 v17, vcc_lo, v17, 2
	v_add_co_ci_u32_e32 v18, vcc_lo, 0, v18, vcc_lo
	v_add_co_u32 v19, vcc_lo, v19, 2
	v_add_co_ci_u32_e32 v20, vcc_lo, 0, v20, vcc_lo
	s_add_u32 s4, s22, -1
	s_addc_u32 s5, s23, -1
	s_mov_b64 s[6:7], 0
	s_mov_b32 s28, 0
                                        ; implicit-def: $sgpr29
	s_set_inst_prefetch_distance 0x1
	s_branch .LBB691_274
	.p2align	6
.LBB691_272:                            ;   in Loop: Header=BB691_274 Depth=1
	global_load_u16 v21, v[19:20], off
	global_load_u16 v22, v[17:18], off
	v_add_co_u32 v17, vcc_lo, v17, 2
	v_add_co_ci_u32_e32 v18, vcc_lo, 0, v18, vcc_lo
	v_add_co_u32 v19, s2, v19, 2
	s_delay_alu instid0(VALU_DEP_1)
	v_add_co_ci_u32_e64 v20, s2, 0, v20, s2
	s_add_u32 s6, s6, 1
	s_addc_u32 s7, s7, 0
	s_and_not1_b32 s2, s29, exec_lo
	s_waitcnt vmcnt(0)
	v_cmp_ne_u16_e32 vcc_lo, v21, v22
	s_and_b32 s29, vcc_lo, exec_lo
	s_delay_alu instid0(SALU_CYCLE_1)
	s_or_b32 s29, s2, s29
.LBB691_273:                            ;   in Loop: Header=BB691_274 Depth=1
	v_dual_mov_b32 v22, s7 :: v_dual_mov_b32 v21, s6
	s_and_b32 s2, exec_lo, s29
	s_delay_alu instid0(SALU_CYCLE_1) | instskip(NEXT) | instid1(SALU_CYCLE_1)
	s_or_b32 s28, s2, s28
	s_and_not1_b32 exec_lo, exec_lo, s28
	s_cbranch_execz .LBB691_276
.LBB691_274:                            ; =>This Inner Loop Header: Depth=1
	s_or_b32 s29, s29, exec_lo
	s_cmp_eq_u64 s[4:5], s[6:7]
	s_cbranch_scc0 .LBB691_272
; %bb.275:                              ;   in Loop: Header=BB691_274 Depth=1
	s_mov_b64 s[6:7], s[22:23]
                                        ; implicit-def: $vgpr17_vgpr18
                                        ; implicit-def: $vgpr19_vgpr20
	s_branch .LBB691_273
.LBB691_276:
	s_set_inst_prefetch_distance 0x2
	s_or_b32 exec_lo, exec_lo, s28
	v_cmp_gt_i64_e32 vcc_lo, s[22:23], v[21:22]
	s_or_not1_b32 s2, vcc_lo, exec_lo
.LBB691_277:
	s_or_b32 exec_lo, exec_lo, s26
.LBB691_278:
	s_delay_alu instid0(SALU_CYCLE_1)
	s_and_b32 s26, s2, exec_lo
.LBB691_279:
	s_or_b32 exec_lo, exec_lo, s27
	v_or_b32_e32 v17, 6, v39
	s_mov_b32 s27, exec_lo
	s_delay_alu instid0(VALU_DEP_1)
	v_cmpx_gt_u32_e64 s20, v17
	s_cbranch_execz .LBB691_290
; %bb.280:
	s_and_not1_b32 vcc_lo, exec_lo, s3
	s_mov_b32 s2, 0
	s_cbranch_vccnz .LBB691_289
; %bb.281:
	v_mul_lo_u32 v21, v8, s22
	v_mul_lo_u32 v22, v7, s23
	v_mad_u64_u32 v[17:18], null, v7, s22, 0
	v_mul_lo_u32 v23, v2, s22
	v_mul_lo_u32 v24, v1, s23
	v_mad_u64_u32 v[19:20], null, v1, s22, 0
	s_mov_b32 s2, -1
	s_mov_b32 s19, exec_lo
	s_delay_alu instid0(VALU_DEP_4) | instskip(NEXT) | instid1(VALU_DEP_2)
	v_add3_u32 v18, v18, v22, v21
	v_add3_u32 v20, v20, v24, v23
	s_delay_alu instid0(VALU_DEP_2) | instskip(NEXT) | instid1(VALU_DEP_2)
	v_lshlrev_b64 v[17:18], 1, v[17:18]
	v_lshlrev_b64 v[21:22], 1, v[19:20]
	s_delay_alu instid0(VALU_DEP_2) | instskip(NEXT) | instid1(VALU_DEP_3)
	v_add_co_u32 v19, vcc_lo, s8, v17
	v_add_co_ci_u32_e32 v20, vcc_lo, s9, v18, vcc_lo
	s_delay_alu instid0(VALU_DEP_3) | instskip(NEXT) | instid1(VALU_DEP_4)
	v_add_co_u32 v17, vcc_lo, s8, v21
	v_add_co_ci_u32_e32 v18, vcc_lo, s9, v22, vcc_lo
	s_clause 0x1
	global_load_u16 v21, v[19:20], off
	global_load_u16 v22, v[17:18], off
	s_waitcnt vmcnt(0)
	v_cmpx_eq_u16_e64 v21, v22
	s_cbranch_execz .LBB691_288
; %bb.282:
	v_add_co_u32 v17, vcc_lo, v17, 2
	v_add_co_ci_u32_e32 v18, vcc_lo, 0, v18, vcc_lo
	v_add_co_u32 v19, vcc_lo, v19, 2
	v_add_co_ci_u32_e32 v20, vcc_lo, 0, v20, vcc_lo
	s_add_u32 s4, s22, -1
	s_addc_u32 s5, s23, -1
	s_mov_b64 s[6:7], 0
	s_mov_b32 s28, 0
                                        ; implicit-def: $sgpr29
	s_set_inst_prefetch_distance 0x1
	s_branch .LBB691_285
	.p2align	6
.LBB691_283:                            ;   in Loop: Header=BB691_285 Depth=1
	global_load_u16 v21, v[19:20], off
	global_load_u16 v22, v[17:18], off
	v_add_co_u32 v17, vcc_lo, v17, 2
	v_add_co_ci_u32_e32 v18, vcc_lo, 0, v18, vcc_lo
	v_add_co_u32 v19, s2, v19, 2
	s_delay_alu instid0(VALU_DEP_1)
	v_add_co_ci_u32_e64 v20, s2, 0, v20, s2
	s_add_u32 s6, s6, 1
	s_addc_u32 s7, s7, 0
	s_and_not1_b32 s2, s29, exec_lo
	s_waitcnt vmcnt(0)
	v_cmp_ne_u16_e32 vcc_lo, v21, v22
	s_and_b32 s29, vcc_lo, exec_lo
	s_delay_alu instid0(SALU_CYCLE_1)
	s_or_b32 s29, s2, s29
.LBB691_284:                            ;   in Loop: Header=BB691_285 Depth=1
	v_dual_mov_b32 v22, s7 :: v_dual_mov_b32 v21, s6
	s_and_b32 s2, exec_lo, s29
	s_delay_alu instid0(SALU_CYCLE_1) | instskip(NEXT) | instid1(SALU_CYCLE_1)
	s_or_b32 s28, s2, s28
	s_and_not1_b32 exec_lo, exec_lo, s28
	s_cbranch_execz .LBB691_287
.LBB691_285:                            ; =>This Inner Loop Header: Depth=1
	s_or_b32 s29, s29, exec_lo
	s_cmp_eq_u64 s[4:5], s[6:7]
	s_cbranch_scc0 .LBB691_283
; %bb.286:                              ;   in Loop: Header=BB691_285 Depth=1
	s_mov_b64 s[6:7], s[22:23]
                                        ; implicit-def: $vgpr17_vgpr18
                                        ; implicit-def: $vgpr19_vgpr20
	s_branch .LBB691_284
.LBB691_287:
	s_set_inst_prefetch_distance 0x2
	s_or_b32 exec_lo, exec_lo, s28
	v_cmp_gt_i64_e32 vcc_lo, s[22:23], v[21:22]
	s_or_not1_b32 s2, vcc_lo, exec_lo
.LBB691_288:
	s_or_b32 exec_lo, exec_lo, s19
.LBB691_289:
	s_delay_alu instid0(SALU_CYCLE_1)
	s_and_b32 s19, s2, exec_lo
.LBB691_290:
	s_or_b32 exec_lo, exec_lo, s27
	v_or_b32_e32 v17, 5, v39
	s_mov_b32 s27, 0
	s_mov_b32 s28, 0
	s_mov_b32 s29, exec_lo
	s_delay_alu instid0(VALU_DEP_1)
	v_cmpx_gt_u32_e64 s20, v17
	s_cbranch_execz .LBB691_301
; %bb.291:
	s_and_not1_b32 vcc_lo, exec_lo, s3
	s_mov_b32 s2, 0
	s_cbranch_vccnz .LBB691_300
; %bb.292:
	v_mul_lo_u32 v21, v6, s22
	v_mul_lo_u32 v22, v5, s23
	v_mad_u64_u32 v[17:18], null, v5, s22, 0
	v_mul_lo_u32 v23, v8, s22
	v_mul_lo_u32 v24, v7, s23
	v_mad_u64_u32 v[19:20], null, v7, s22, 0
	s_mov_b32 s2, -1
	s_mov_b32 s28, exec_lo
	s_delay_alu instid0(VALU_DEP_4) | instskip(NEXT) | instid1(VALU_DEP_2)
	v_add3_u32 v18, v18, v22, v21
	v_add3_u32 v20, v20, v24, v23
	s_delay_alu instid0(VALU_DEP_2) | instskip(NEXT) | instid1(VALU_DEP_2)
	v_lshlrev_b64 v[17:18], 1, v[17:18]
	v_lshlrev_b64 v[21:22], 1, v[19:20]
	s_delay_alu instid0(VALU_DEP_2) | instskip(NEXT) | instid1(VALU_DEP_3)
	v_add_co_u32 v19, vcc_lo, s8, v17
	v_add_co_ci_u32_e32 v20, vcc_lo, s9, v18, vcc_lo
	s_delay_alu instid0(VALU_DEP_3) | instskip(NEXT) | instid1(VALU_DEP_4)
	v_add_co_u32 v17, vcc_lo, s8, v21
	v_add_co_ci_u32_e32 v18, vcc_lo, s9, v22, vcc_lo
	s_clause 0x1
	global_load_u16 v21, v[19:20], off
	global_load_u16 v22, v[17:18], off
	s_waitcnt vmcnt(0)
	v_cmpx_eq_u16_e64 v21, v22
	s_cbranch_execz .LBB691_299
; %bb.293:
	v_add_co_u32 v17, vcc_lo, v17, 2
	v_add_co_ci_u32_e32 v18, vcc_lo, 0, v18, vcc_lo
	v_add_co_u32 v19, vcc_lo, v19, 2
	v_add_co_ci_u32_e32 v20, vcc_lo, 0, v20, vcc_lo
	s_add_u32 s4, s22, -1
	s_addc_u32 s5, s23, -1
	s_mov_b64 s[6:7], 0
	s_mov_b32 s30, 0
                                        ; implicit-def: $sgpr31
	s_set_inst_prefetch_distance 0x1
	s_branch .LBB691_296
	.p2align	6
.LBB691_294:                            ;   in Loop: Header=BB691_296 Depth=1
	global_load_u16 v21, v[19:20], off
	global_load_u16 v22, v[17:18], off
	v_add_co_u32 v17, vcc_lo, v17, 2
	v_add_co_ci_u32_e32 v18, vcc_lo, 0, v18, vcc_lo
	v_add_co_u32 v19, s2, v19, 2
	s_delay_alu instid0(VALU_DEP_1)
	v_add_co_ci_u32_e64 v20, s2, 0, v20, s2
	s_add_u32 s6, s6, 1
	s_addc_u32 s7, s7, 0
	s_and_not1_b32 s2, s31, exec_lo
	s_waitcnt vmcnt(0)
	v_cmp_ne_u16_e32 vcc_lo, v21, v22
	s_and_b32 s31, vcc_lo, exec_lo
	s_delay_alu instid0(SALU_CYCLE_1)
	s_or_b32 s31, s2, s31
.LBB691_295:                            ;   in Loop: Header=BB691_296 Depth=1
	v_dual_mov_b32 v22, s7 :: v_dual_mov_b32 v21, s6
	s_and_b32 s2, exec_lo, s31
	s_delay_alu instid0(SALU_CYCLE_1) | instskip(NEXT) | instid1(SALU_CYCLE_1)
	s_or_b32 s30, s2, s30
	s_and_not1_b32 exec_lo, exec_lo, s30
	s_cbranch_execz .LBB691_298
.LBB691_296:                            ; =>This Inner Loop Header: Depth=1
	s_or_b32 s31, s31, exec_lo
	s_cmp_eq_u64 s[4:5], s[6:7]
	s_cbranch_scc0 .LBB691_294
; %bb.297:                              ;   in Loop: Header=BB691_296 Depth=1
	s_mov_b64 s[6:7], s[22:23]
                                        ; implicit-def: $vgpr17_vgpr18
                                        ; implicit-def: $vgpr19_vgpr20
	s_branch .LBB691_295
.LBB691_298:
	s_set_inst_prefetch_distance 0x2
	s_or_b32 exec_lo, exec_lo, s30
	v_cmp_gt_i64_e32 vcc_lo, s[22:23], v[21:22]
	s_or_not1_b32 s2, vcc_lo, exec_lo
.LBB691_299:
	s_or_b32 exec_lo, exec_lo, s28
.LBB691_300:
	s_delay_alu instid0(SALU_CYCLE_1)
	s_and_b32 s28, s2, exec_lo
.LBB691_301:
	s_or_b32 exec_lo, exec_lo, s29
	v_or_b32_e32 v17, 4, v39
	s_mov_b32 s29, exec_lo
	s_delay_alu instid0(VALU_DEP_1)
	v_cmpx_gt_u32_e64 s20, v17
	s_cbranch_execz .LBB691_312
; %bb.302:
	s_and_not1_b32 vcc_lo, exec_lo, s3
	s_mov_b32 s2, 0
	s_cbranch_vccnz .LBB691_311
; %bb.303:
	v_mul_lo_u32 v21, v12, s22
	v_mul_lo_u32 v22, v11, s23
	v_mad_u64_u32 v[17:18], null, v11, s22, 0
	v_mul_lo_u32 v23, v6, s22
	v_mul_lo_u32 v24, v5, s23
	v_mad_u64_u32 v[19:20], null, v5, s22, 0
	s_mov_b32 s2, -1
	s_mov_b32 s27, exec_lo
	s_delay_alu instid0(VALU_DEP_4) | instskip(NEXT) | instid1(VALU_DEP_2)
	v_add3_u32 v18, v18, v22, v21
	v_add3_u32 v20, v20, v24, v23
	s_delay_alu instid0(VALU_DEP_2) | instskip(NEXT) | instid1(VALU_DEP_2)
	v_lshlrev_b64 v[17:18], 1, v[17:18]
	v_lshlrev_b64 v[21:22], 1, v[19:20]
	s_delay_alu instid0(VALU_DEP_2) | instskip(NEXT) | instid1(VALU_DEP_3)
	v_add_co_u32 v19, vcc_lo, s8, v17
	v_add_co_ci_u32_e32 v20, vcc_lo, s9, v18, vcc_lo
	s_delay_alu instid0(VALU_DEP_3) | instskip(NEXT) | instid1(VALU_DEP_4)
	v_add_co_u32 v17, vcc_lo, s8, v21
	v_add_co_ci_u32_e32 v18, vcc_lo, s9, v22, vcc_lo
	s_clause 0x1
	global_load_u16 v21, v[19:20], off
	global_load_u16 v22, v[17:18], off
	s_waitcnt vmcnt(0)
	v_cmpx_eq_u16_e64 v21, v22
	s_cbranch_execz .LBB691_310
; %bb.304:
	v_add_co_u32 v17, vcc_lo, v17, 2
	v_add_co_ci_u32_e32 v18, vcc_lo, 0, v18, vcc_lo
	v_add_co_u32 v19, vcc_lo, v19, 2
	v_add_co_ci_u32_e32 v20, vcc_lo, 0, v20, vcc_lo
	s_add_u32 s4, s22, -1
	s_addc_u32 s5, s23, -1
	s_mov_b64 s[6:7], 0
	s_mov_b32 s30, 0
                                        ; implicit-def: $sgpr31
	s_set_inst_prefetch_distance 0x1
	s_branch .LBB691_307
	.p2align	6
.LBB691_305:                            ;   in Loop: Header=BB691_307 Depth=1
	global_load_u16 v21, v[19:20], off
	global_load_u16 v22, v[17:18], off
	v_add_co_u32 v17, vcc_lo, v17, 2
	v_add_co_ci_u32_e32 v18, vcc_lo, 0, v18, vcc_lo
	v_add_co_u32 v19, s2, v19, 2
	s_delay_alu instid0(VALU_DEP_1)
	v_add_co_ci_u32_e64 v20, s2, 0, v20, s2
	s_add_u32 s6, s6, 1
	s_addc_u32 s7, s7, 0
	s_and_not1_b32 s2, s31, exec_lo
	s_waitcnt vmcnt(0)
	v_cmp_ne_u16_e32 vcc_lo, v21, v22
	s_and_b32 s31, vcc_lo, exec_lo
	s_delay_alu instid0(SALU_CYCLE_1)
	s_or_b32 s31, s2, s31
.LBB691_306:                            ;   in Loop: Header=BB691_307 Depth=1
	v_dual_mov_b32 v22, s7 :: v_dual_mov_b32 v21, s6
	s_and_b32 s2, exec_lo, s31
	s_delay_alu instid0(SALU_CYCLE_1) | instskip(NEXT) | instid1(SALU_CYCLE_1)
	s_or_b32 s30, s2, s30
	s_and_not1_b32 exec_lo, exec_lo, s30
	s_cbranch_execz .LBB691_309
.LBB691_307:                            ; =>This Inner Loop Header: Depth=1
	s_or_b32 s31, s31, exec_lo
	s_cmp_eq_u64 s[4:5], s[6:7]
	s_cbranch_scc0 .LBB691_305
; %bb.308:                              ;   in Loop: Header=BB691_307 Depth=1
	s_mov_b64 s[6:7], s[22:23]
                                        ; implicit-def: $vgpr17_vgpr18
                                        ; implicit-def: $vgpr19_vgpr20
	s_branch .LBB691_306
.LBB691_309:
	s_set_inst_prefetch_distance 0x2
	s_or_b32 exec_lo, exec_lo, s30
	v_cmp_gt_i64_e32 vcc_lo, s[22:23], v[21:22]
	s_or_not1_b32 s2, vcc_lo, exec_lo
.LBB691_310:
	s_or_b32 exec_lo, exec_lo, s27
.LBB691_311:
	s_delay_alu instid0(SALU_CYCLE_1)
	s_and_b32 s27, s2, exec_lo
.LBB691_312:
	s_or_b32 exec_lo, exec_lo, s29
	v_or_b32_e32 v17, 3, v39
	s_mov_b32 s30, 0
	s_mov_b32 s29, 0
	s_mov_b32 s31, exec_lo
	s_delay_alu instid0(VALU_DEP_1)
	v_cmpx_gt_u32_e64 s20, v17
	s_cbranch_execz .LBB691_323
; %bb.313:
	s_and_not1_b32 vcc_lo, exec_lo, s3
	s_mov_b32 s2, 0
	s_cbranch_vccnz .LBB691_322
; %bb.314:
	v_mul_lo_u32 v21, v10, s22
	v_mul_lo_u32 v22, v9, s23
	v_mad_u64_u32 v[17:18], null, v9, s22, 0
	v_mul_lo_u32 v23, v12, s22
	v_mul_lo_u32 v24, v11, s23
	v_mad_u64_u32 v[19:20], null, v11, s22, 0
	s_mov_b32 s2, -1
	s_mov_b32 s29, exec_lo
	s_delay_alu instid0(VALU_DEP_4) | instskip(NEXT) | instid1(VALU_DEP_2)
	v_add3_u32 v18, v18, v22, v21
	v_add3_u32 v20, v20, v24, v23
	s_delay_alu instid0(VALU_DEP_2) | instskip(NEXT) | instid1(VALU_DEP_2)
	v_lshlrev_b64 v[17:18], 1, v[17:18]
	v_lshlrev_b64 v[21:22], 1, v[19:20]
	s_delay_alu instid0(VALU_DEP_2) | instskip(NEXT) | instid1(VALU_DEP_3)
	v_add_co_u32 v19, vcc_lo, s8, v17
	v_add_co_ci_u32_e32 v20, vcc_lo, s9, v18, vcc_lo
	s_delay_alu instid0(VALU_DEP_3) | instskip(NEXT) | instid1(VALU_DEP_4)
	v_add_co_u32 v17, vcc_lo, s8, v21
	v_add_co_ci_u32_e32 v18, vcc_lo, s9, v22, vcc_lo
	s_clause 0x1
	global_load_u16 v21, v[19:20], off
	global_load_u16 v22, v[17:18], off
	s_waitcnt vmcnt(0)
	v_cmpx_eq_u16_e64 v21, v22
	s_cbranch_execz .LBB691_321
; %bb.315:
	v_add_co_u32 v17, vcc_lo, v17, 2
	v_add_co_ci_u32_e32 v18, vcc_lo, 0, v18, vcc_lo
	v_add_co_u32 v19, vcc_lo, v19, 2
	v_add_co_ci_u32_e32 v20, vcc_lo, 0, v20, vcc_lo
	s_add_u32 s4, s22, -1
	s_addc_u32 s5, s23, -1
	s_mov_b64 s[6:7], 0
	s_mov_b32 s33, 0
                                        ; implicit-def: $sgpr34
	s_set_inst_prefetch_distance 0x1
	s_branch .LBB691_318
	.p2align	6
.LBB691_316:                            ;   in Loop: Header=BB691_318 Depth=1
	global_load_u16 v21, v[19:20], off
	global_load_u16 v22, v[17:18], off
	v_add_co_u32 v17, vcc_lo, v17, 2
	v_add_co_ci_u32_e32 v18, vcc_lo, 0, v18, vcc_lo
	v_add_co_u32 v19, s2, v19, 2
	s_delay_alu instid0(VALU_DEP_1)
	v_add_co_ci_u32_e64 v20, s2, 0, v20, s2
	s_add_u32 s6, s6, 1
	s_addc_u32 s7, s7, 0
	s_and_not1_b32 s2, s34, exec_lo
	s_waitcnt vmcnt(0)
	v_cmp_ne_u16_e32 vcc_lo, v21, v22
	s_and_b32 s34, vcc_lo, exec_lo
	s_delay_alu instid0(SALU_CYCLE_1)
	s_or_b32 s34, s2, s34
.LBB691_317:                            ;   in Loop: Header=BB691_318 Depth=1
	v_dual_mov_b32 v22, s7 :: v_dual_mov_b32 v21, s6
	s_and_b32 s2, exec_lo, s34
	s_delay_alu instid0(SALU_CYCLE_1) | instskip(NEXT) | instid1(SALU_CYCLE_1)
	s_or_b32 s33, s2, s33
	s_and_not1_b32 exec_lo, exec_lo, s33
	s_cbranch_execz .LBB691_320
.LBB691_318:                            ; =>This Inner Loop Header: Depth=1
	s_or_b32 s34, s34, exec_lo
	s_cmp_eq_u64 s[4:5], s[6:7]
	s_cbranch_scc0 .LBB691_316
; %bb.319:                              ;   in Loop: Header=BB691_318 Depth=1
	s_mov_b64 s[6:7], s[22:23]
                                        ; implicit-def: $vgpr17_vgpr18
                                        ; implicit-def: $vgpr19_vgpr20
	s_branch .LBB691_317
.LBB691_320:
	s_set_inst_prefetch_distance 0x2
	s_or_b32 exec_lo, exec_lo, s33
	v_cmp_gt_i64_e32 vcc_lo, s[22:23], v[21:22]
	s_or_not1_b32 s2, vcc_lo, exec_lo
.LBB691_321:
	s_or_b32 exec_lo, exec_lo, s29
.LBB691_322:
	s_delay_alu instid0(SALU_CYCLE_1)
	s_and_b32 s29, s2, exec_lo
.LBB691_323:
	s_or_b32 exec_lo, exec_lo, s31
	v_or_b32_e32 v17, 2, v39
	s_mov_b32 s31, exec_lo
	s_delay_alu instid0(VALU_DEP_1)
	v_cmpx_gt_u32_e64 s20, v17
	s_cbranch_execz .LBB691_334
; %bb.324:
	s_and_not1_b32 vcc_lo, exec_lo, s3
	s_mov_b32 s2, 0
	s_cbranch_vccnz .LBB691_333
; %bb.325:
	v_mul_lo_u32 v21, v16, s22
	v_mul_lo_u32 v22, v15, s23
	v_mad_u64_u32 v[17:18], null, v15, s22, 0
	v_mul_lo_u32 v23, v10, s22
	v_mul_lo_u32 v24, v9, s23
	v_mad_u64_u32 v[19:20], null, v9, s22, 0
	s_mov_b32 s2, -1
	s_mov_b32 s30, exec_lo
	s_delay_alu instid0(VALU_DEP_4) | instskip(NEXT) | instid1(VALU_DEP_2)
	v_add3_u32 v18, v18, v22, v21
	v_add3_u32 v20, v20, v24, v23
	s_delay_alu instid0(VALU_DEP_2) | instskip(NEXT) | instid1(VALU_DEP_2)
	v_lshlrev_b64 v[17:18], 1, v[17:18]
	v_lshlrev_b64 v[21:22], 1, v[19:20]
	s_delay_alu instid0(VALU_DEP_2) | instskip(NEXT) | instid1(VALU_DEP_3)
	v_add_co_u32 v19, vcc_lo, s8, v17
	v_add_co_ci_u32_e32 v20, vcc_lo, s9, v18, vcc_lo
	s_delay_alu instid0(VALU_DEP_3) | instskip(NEXT) | instid1(VALU_DEP_4)
	v_add_co_u32 v17, vcc_lo, s8, v21
	v_add_co_ci_u32_e32 v18, vcc_lo, s9, v22, vcc_lo
	s_clause 0x1
	global_load_u16 v21, v[19:20], off
	global_load_u16 v22, v[17:18], off
	s_waitcnt vmcnt(0)
	v_cmpx_eq_u16_e64 v21, v22
	s_cbranch_execz .LBB691_332
; %bb.326:
	v_add_co_u32 v17, vcc_lo, v17, 2
	v_add_co_ci_u32_e32 v18, vcc_lo, 0, v18, vcc_lo
	v_add_co_u32 v19, vcc_lo, v19, 2
	v_add_co_ci_u32_e32 v20, vcc_lo, 0, v20, vcc_lo
	s_add_u32 s4, s22, -1
	s_addc_u32 s5, s23, -1
	s_mov_b64 s[6:7], 0
	s_mov_b32 s33, 0
                                        ; implicit-def: $sgpr34
	s_set_inst_prefetch_distance 0x1
	s_branch .LBB691_329
	.p2align	6
.LBB691_327:                            ;   in Loop: Header=BB691_329 Depth=1
	global_load_u16 v21, v[19:20], off
	global_load_u16 v22, v[17:18], off
	v_add_co_u32 v17, vcc_lo, v17, 2
	v_add_co_ci_u32_e32 v18, vcc_lo, 0, v18, vcc_lo
	v_add_co_u32 v19, s2, v19, 2
	s_delay_alu instid0(VALU_DEP_1)
	v_add_co_ci_u32_e64 v20, s2, 0, v20, s2
	s_add_u32 s6, s6, 1
	s_addc_u32 s7, s7, 0
	s_and_not1_b32 s2, s34, exec_lo
	s_waitcnt vmcnt(0)
	v_cmp_ne_u16_e32 vcc_lo, v21, v22
	s_and_b32 s34, vcc_lo, exec_lo
	s_delay_alu instid0(SALU_CYCLE_1)
	s_or_b32 s34, s2, s34
.LBB691_328:                            ;   in Loop: Header=BB691_329 Depth=1
	v_dual_mov_b32 v22, s7 :: v_dual_mov_b32 v21, s6
	s_and_b32 s2, exec_lo, s34
	s_delay_alu instid0(SALU_CYCLE_1) | instskip(NEXT) | instid1(SALU_CYCLE_1)
	s_or_b32 s33, s2, s33
	s_and_not1_b32 exec_lo, exec_lo, s33
	s_cbranch_execz .LBB691_331
.LBB691_329:                            ; =>This Inner Loop Header: Depth=1
	s_or_b32 s34, s34, exec_lo
	s_cmp_eq_u64 s[4:5], s[6:7]
	s_cbranch_scc0 .LBB691_327
; %bb.330:                              ;   in Loop: Header=BB691_329 Depth=1
	s_mov_b64 s[6:7], s[22:23]
                                        ; implicit-def: $vgpr17_vgpr18
                                        ; implicit-def: $vgpr19_vgpr20
	s_branch .LBB691_328
.LBB691_331:
	s_set_inst_prefetch_distance 0x2
	s_or_b32 exec_lo, exec_lo, s33
	v_cmp_gt_i64_e32 vcc_lo, s[22:23], v[21:22]
	s_or_not1_b32 s2, vcc_lo, exec_lo
.LBB691_332:
	s_or_b32 exec_lo, exec_lo, s30
.LBB691_333:
	s_delay_alu instid0(SALU_CYCLE_1)
	s_and_b32 s30, s2, exec_lo
.LBB691_334:
	s_or_b32 exec_lo, exec_lo, s31
	v_or_b32_e32 v17, 1, v39
	s_mov_b32 s2, 0
	s_mov_b32 s31, exec_lo
	s_delay_alu instid0(VALU_DEP_1)
	v_cmpx_gt_u32_e64 s20, v17
	s_cbranch_execz .LBB691_345
; %bb.335:
	s_and_not1_b32 vcc_lo, exec_lo, s3
	s_cbranch_vccnz .LBB691_344
; %bb.336:
	v_mul_lo_u32 v21, v14, s22
	v_mul_lo_u32 v22, v13, s23
	v_mad_u64_u32 v[17:18], null, v13, s22, 0
	v_mul_lo_u32 v23, v16, s22
	v_mul_lo_u32 v24, v15, s23
	v_mad_u64_u32 v[19:20], null, v15, s22, 0
	s_mov_b32 s2, -1
	s_mov_b32 s33, exec_lo
	s_delay_alu instid0(VALU_DEP_4) | instskip(NEXT) | instid1(VALU_DEP_2)
	v_add3_u32 v18, v18, v22, v21
	v_add3_u32 v20, v20, v24, v23
	s_delay_alu instid0(VALU_DEP_2) | instskip(NEXT) | instid1(VALU_DEP_2)
	v_lshlrev_b64 v[17:18], 1, v[17:18]
	v_lshlrev_b64 v[21:22], 1, v[19:20]
	s_delay_alu instid0(VALU_DEP_2) | instskip(NEXT) | instid1(VALU_DEP_3)
	v_add_co_u32 v19, vcc_lo, s8, v17
	v_add_co_ci_u32_e32 v20, vcc_lo, s9, v18, vcc_lo
	s_delay_alu instid0(VALU_DEP_3) | instskip(NEXT) | instid1(VALU_DEP_4)
	v_add_co_u32 v17, vcc_lo, s8, v21
	v_add_co_ci_u32_e32 v18, vcc_lo, s9, v22, vcc_lo
	s_clause 0x1
	global_load_u16 v21, v[19:20], off
	global_load_u16 v22, v[17:18], off
	s_waitcnt vmcnt(0)
	v_cmpx_eq_u16_e64 v21, v22
	s_cbranch_execz .LBB691_343
; %bb.337:
	v_add_co_u32 v17, vcc_lo, v17, 2
	v_add_co_ci_u32_e32 v18, vcc_lo, 0, v18, vcc_lo
	v_add_co_u32 v19, vcc_lo, v19, 2
	v_add_co_ci_u32_e32 v20, vcc_lo, 0, v20, vcc_lo
	s_add_u32 s4, s22, -1
	s_addc_u32 s5, s23, -1
	s_mov_b64 s[6:7], 0
	s_mov_b32 s34, 0
                                        ; implicit-def: $sgpr35
	s_set_inst_prefetch_distance 0x1
	s_branch .LBB691_340
	.p2align	6
.LBB691_338:                            ;   in Loop: Header=BB691_340 Depth=1
	global_load_u16 v21, v[19:20], off
	global_load_u16 v22, v[17:18], off
	v_add_co_u32 v17, vcc_lo, v17, 2
	v_add_co_ci_u32_e32 v18, vcc_lo, 0, v18, vcc_lo
	v_add_co_u32 v19, s2, v19, 2
	s_delay_alu instid0(VALU_DEP_1)
	v_add_co_ci_u32_e64 v20, s2, 0, v20, s2
	s_add_u32 s6, s6, 1
	s_addc_u32 s7, s7, 0
	s_and_not1_b32 s2, s35, exec_lo
	s_waitcnt vmcnt(0)
	v_cmp_ne_u16_e32 vcc_lo, v21, v22
	s_and_b32 s35, vcc_lo, exec_lo
	s_delay_alu instid0(SALU_CYCLE_1)
	s_or_b32 s35, s2, s35
.LBB691_339:                            ;   in Loop: Header=BB691_340 Depth=1
	v_dual_mov_b32 v22, s7 :: v_dual_mov_b32 v21, s6
	s_and_b32 s2, exec_lo, s35
	s_delay_alu instid0(SALU_CYCLE_1) | instskip(NEXT) | instid1(SALU_CYCLE_1)
	s_or_b32 s34, s2, s34
	s_and_not1_b32 exec_lo, exec_lo, s34
	s_cbranch_execz .LBB691_342
.LBB691_340:                            ; =>This Inner Loop Header: Depth=1
	s_or_b32 s35, s35, exec_lo
	s_cmp_eq_u64 s[4:5], s[6:7]
	s_cbranch_scc0 .LBB691_338
; %bb.341:                              ;   in Loop: Header=BB691_340 Depth=1
	s_mov_b64 s[6:7], s[22:23]
                                        ; implicit-def: $vgpr17_vgpr18
                                        ; implicit-def: $vgpr19_vgpr20
	s_branch .LBB691_339
.LBB691_342:
	s_set_inst_prefetch_distance 0x2
	s_or_b32 exec_lo, exec_lo, s34
	v_cmp_gt_i64_e32 vcc_lo, s[22:23], v[21:22]
	s_or_not1_b32 s2, vcc_lo, exec_lo
.LBB691_343:
	s_or_b32 exec_lo, exec_lo, s33
.LBB691_344:
	s_delay_alu instid0(SALU_CYCLE_1)
	s_and_b32 s2, s2, exec_lo
.LBB691_345:
	s_or_b32 exec_lo, exec_lo, s31
	v_cndmask_b32_e64 v18, 0, 1, s29
	v_cndmask_b32_e64 v19, 0, 1, s28
	;; [unrolled: 1-line block ×7, first 2 shown]
	v_lshlrev_b16 v19, 8, v19
	v_lshlrev_b16 v20, 8, v20
	;; [unrolled: 1-line block ×4, first 2 shown]
	s_mov_b32 s19, exec_lo
	v_or_b32_e32 v19, v22, v19
	v_or_b32_e32 v20, v23, v20
	;; [unrolled: 1-line block ×4, first 2 shown]
	s_delay_alu instid0(VALU_DEP_4) | instskip(NEXT) | instid1(VALU_DEP_4)
	v_and_b32_e32 v18, 0xffff, v19
	v_lshlrev_b32_e32 v19, 16, v20
	s_delay_alu instid0(VALU_DEP_4) | instskip(NEXT) | instid1(VALU_DEP_4)
	v_and_b32_e32 v20, 0xffff, v21
	v_lshlrev_b32_e32 v17, 16, v17
	s_barrier
	buffer_gl0_inv
	v_or_b32_e32 v18, v18, v19
                                        ; implicit-def: $sgpr2
	v_or_b32_e32 v17, v20, v17
	v_cmpx_ne_u32_e32 0, v0
	s_cbranch_execz .LBB691_358
; %bb.346:
	s_mov_b32 s2, 0
	s_mov_b32 s26, exec_lo
	v_cmpx_gt_u32_e64 s20, v39
	s_cbranch_execz .LBB691_357
; %bb.347:
	s_and_not1_b32 vcc_lo, exec_lo, s3
	s_cbranch_vccnz .LBB691_356
; %bb.348:
	v_add_nc_u32_e32 v19, -8, v39
	v_mul_lo_u32 v26, v13, s23
	v_mad_u64_u32 v[22:23], null, v13, s22, 0
	s_mov_b32 s2, -1
	ds_load_b64 v[19:20], v19
	s_mov_b32 s3, exec_lo
	s_waitcnt lgkmcnt(0)
	v_mul_lo_u32 v24, v20, s22
	v_mul_lo_u32 v25, v19, s23
	v_mad_u64_u32 v[20:21], null, v19, s22, 0
	v_mul_lo_u32 v19, v14, s22
	s_delay_alu instid0(VALU_DEP_2) | instskip(NEXT) | instid1(VALU_DEP_2)
	v_add3_u32 v21, v21, v25, v24
	v_add3_u32 v23, v23, v26, v19
	s_delay_alu instid0(VALU_DEP_2) | instskip(NEXT) | instid1(VALU_DEP_2)
	v_lshlrev_b64 v[19:20], 1, v[20:21]
	v_lshlrev_b64 v[23:24], 1, v[22:23]
	s_delay_alu instid0(VALU_DEP_2) | instskip(NEXT) | instid1(VALU_DEP_3)
	v_add_co_u32 v21, vcc_lo, s8, v19
	v_add_co_ci_u32_e32 v22, vcc_lo, s9, v20, vcc_lo
	s_delay_alu instid0(VALU_DEP_3) | instskip(NEXT) | instid1(VALU_DEP_4)
	v_add_co_u32 v19, vcc_lo, s8, v23
	v_add_co_ci_u32_e32 v20, vcc_lo, s9, v24, vcc_lo
	s_clause 0x1
	global_load_u16 v23, v[21:22], off
	global_load_u16 v24, v[19:20], off
	s_waitcnt vmcnt(0)
	v_cmpx_eq_u16_e64 v23, v24
	s_cbranch_execz .LBB691_355
; %bb.349:
	v_add_co_u32 v19, vcc_lo, v19, 2
	v_add_co_ci_u32_e32 v20, vcc_lo, 0, v20, vcc_lo
	v_add_co_u32 v21, vcc_lo, v21, 2
	v_add_co_ci_u32_e32 v22, vcc_lo, 0, v22, vcc_lo
	s_add_u32 s4, s22, -1
	s_addc_u32 s5, s23, -1
	s_mov_b64 s[6:7], 0
	s_mov_b32 s8, 0
                                        ; implicit-def: $sgpr9
	s_set_inst_prefetch_distance 0x1
	s_branch .LBB691_352
	.p2align	6
.LBB691_350:                            ;   in Loop: Header=BB691_352 Depth=1
	global_load_u16 v23, v[21:22], off
	global_load_u16 v24, v[19:20], off
	v_add_co_u32 v19, vcc_lo, v19, 2
	v_add_co_ci_u32_e32 v20, vcc_lo, 0, v20, vcc_lo
	v_add_co_u32 v21, s2, v21, 2
	s_delay_alu instid0(VALU_DEP_1)
	v_add_co_ci_u32_e64 v22, s2, 0, v22, s2
	s_add_u32 s6, s6, 1
	s_addc_u32 s7, s7, 0
	s_and_not1_b32 s2, s9, exec_lo
	s_waitcnt vmcnt(0)
	v_cmp_ne_u16_e32 vcc_lo, v23, v24
	s_and_b32 s9, vcc_lo, exec_lo
	s_delay_alu instid0(SALU_CYCLE_1)
	s_or_b32 s9, s2, s9
.LBB691_351:                            ;   in Loop: Header=BB691_352 Depth=1
	v_dual_mov_b32 v24, s7 :: v_dual_mov_b32 v23, s6
	s_and_b32 s2, exec_lo, s9
	s_delay_alu instid0(SALU_CYCLE_1) | instskip(NEXT) | instid1(SALU_CYCLE_1)
	s_or_b32 s8, s2, s8
	s_and_not1_b32 exec_lo, exec_lo, s8
	s_cbranch_execz .LBB691_354
.LBB691_352:                            ; =>This Inner Loop Header: Depth=1
	s_or_b32 s9, s9, exec_lo
	s_cmp_eq_u64 s[4:5], s[6:7]
	s_cbranch_scc0 .LBB691_350
; %bb.353:                              ;   in Loop: Header=BB691_352 Depth=1
	s_mov_b64 s[6:7], s[22:23]
                                        ; implicit-def: $vgpr19_vgpr20
                                        ; implicit-def: $vgpr21_vgpr22
	s_branch .LBB691_351
.LBB691_354:
	s_set_inst_prefetch_distance 0x2
	s_or_b32 exec_lo, exec_lo, s8
	v_cmp_gt_i64_e32 vcc_lo, s[22:23], v[23:24]
	s_or_not1_b32 s2, vcc_lo, exec_lo
.LBB691_355:
	s_or_b32 exec_lo, exec_lo, s3
.LBB691_356:
	s_delay_alu instid0(SALU_CYCLE_1)
	s_and_b32 s2, s2, exec_lo
.LBB691_357:
	s_or_b32 exec_lo, exec_lo, s26
	s_delay_alu instid0(SALU_CYCLE_1)
	s_and_b32 s2, s2, exec_lo
	s_or_b32 s18, s18, exec_lo
.LBB691_358:
	s_or_b32 exec_lo, exec_lo, s19
.LBB691_359:
	s_and_saveexec_b32 s3, s18
	s_cbranch_execz .LBB691_361
; %bb.360:
	s_waitcnt lgkmcnt(0)
	v_and_b32_e32 v19, 0xffffff00, v17
	v_cndmask_b32_e64 v20, 0, 1, s2
	s_delay_alu instid0(VALU_DEP_1) | instskip(NEXT) | instid1(VALU_DEP_1)
	v_or_b32_e32 v19, v20, v19
	v_and_b32_e32 v19, 0xffff, v19
	s_delay_alu instid0(VALU_DEP_1)
	v_and_or_b32 v17, 0xffff0000, v17, v19
.LBB691_361:
	s_or_b32 exec_lo, exec_lo, s3
	s_delay_alu instid0(SALU_CYCLE_1)
	s_and_not1_b32 vcc_lo, exec_lo, s24
	s_cbranch_vccnz .LBB691_363
; %bb.362:
	v_cmp_gt_u32_e32 vcc_lo, s20, v39
	s_waitcnt lgkmcnt(0)
	v_or_b32_e32 v20, 1, v39
	v_and_b32_e32 v21, 0xffffff00, v18
	v_or_b32_e32 v22, 2, v39
	v_cndmask_b32_e32 v19, 0, v17, vcc_lo
	s_delay_alu instid0(VALU_DEP_4) | instskip(SKIP_1) | instid1(VALU_DEP_4)
	v_cmp_gt_u32_e32 vcc_lo, s20, v20
	v_or_b32_e32 v20, 4, v39
	v_cmp_gt_u32_e64 s2, s20, v22
	v_or_b32_e32 v22, 3, v39
	v_and_b32_e32 v19, 0xff, v19
	s_delay_alu instid0(VALU_DEP_2) | instskip(NEXT) | instid1(VALU_DEP_2)
	v_cmp_gt_u32_e64 s3, s20, v22
	v_cndmask_b32_e32 v19, v19, v17, vcc_lo
	v_cmp_gt_u32_e32 vcc_lo, s20, v20
	v_cndmask_b32_e32 v20, v21, v18, vcc_lo
	v_or_b32_e32 v21, 5, v39
	s_delay_alu instid0(VALU_DEP_2) | instskip(SKIP_1) | instid1(VALU_DEP_1)
	v_and_b32_e32 v20, 0xffff00ff, v20
	v_and_b32_e32 v19, 0xffff, v19
	v_cndmask_b32_e64 v19, v19, v17, s2
	s_delay_alu instid0(VALU_DEP_4) | instskip(SKIP_1) | instid1(VALU_DEP_3)
	v_cmp_gt_u32_e64 s2, s20, v21
	v_or_b32_e32 v21, 6, v39
	v_and_b32_e32 v19, 0xffffff, v19
	s_delay_alu instid0(VALU_DEP_3) | instskip(NEXT) | instid1(VALU_DEP_2)
	v_cndmask_b32_e64 v20, v20, v18, s2
	v_cndmask_b32_e64 v19, v19, v17, s3
	s_delay_alu instid0(VALU_DEP_1) | instskip(SKIP_2) | instid1(VALU_DEP_3)
	v_dual_cndmask_b32 v19, v19, v17 :: v_dual_and_b32 v20, 0xff00ffff, v20
	v_cmp_gt_u32_e32 vcc_lo, s20, v21
	v_or_b32_e32 v21, 7, v39
	v_cndmask_b32_e64 v19, v19, v17, s2
	s_delay_alu instid0(VALU_DEP_1) | instskip(NEXT) | instid1(VALU_DEP_1)
	v_dual_cndmask_b32 v20, v20, v18 :: v_dual_cndmask_b32 v19, v19, v17
	v_and_b32_e32 v20, 0xffffff, v20
	s_delay_alu instid0(VALU_DEP_4) | instskip(NEXT) | instid1(VALU_DEP_2)
	v_cmp_gt_u32_e32 vcc_lo, s20, v21
	v_dual_cndmask_b32 v18, v20, v18 :: v_dual_cndmask_b32 v17, v19, v17
.LBB691_363:
	s_delay_alu instid0(VALU_DEP_1) | instskip(SKIP_1) | instid1(VALU_DEP_2)
	v_and_b32_e32 v26, 0xff, v17
	s_waitcnt lgkmcnt(0)
	v_alignbit_b32 v19, v18, v17, 24
	v_bfe_u32 v28, v17, 8, 8
	v_bfe_u32 v30, v17, 16, 8
	v_and_b32_e32 v34, 0xff, v18
	v_bfe_u32 v36, v18, 8, 8
	v_and_b32_e32 v32, 0xff, v19
	v_add_nc_u32_e32 v19, v28, v26
	v_mbcnt_lo_u32_b32 v41, -1, 0
	v_bfe_u32 v38, v18, 16, 8
	v_lshrrev_b32_e32 v40, 24, v18
	v_lshrrev_b32_e32 v42, 5, v0
	v_add3_u32 v19, v19, v30, v32
	v_and_b32_e32 v20, 15, v41
	v_and_b32_e32 v21, 16, v41
	s_and_b32 vcc_lo, exec_lo, s25
	s_mov_b32 s18, -1
	v_add3_u32 v19, v19, v34, v36
	v_cmp_eq_u32_e64 s4, 0, v20
	v_cmp_lt_u32_e64 s2, 1, v20
	v_cmp_lt_u32_e64 s5, 3, v20
	;; [unrolled: 1-line block ×3, first 2 shown]
	v_add3_u32 v43, v19, v38, v40
	v_or_b32_e32 v19, 31, v0
	v_cmp_eq_u32_e64 s7, 0, v21
	s_barrier
	buffer_gl0_inv
	v_cmp_eq_u32_e64 s6, v19, v0
	s_cbranch_vccz .LBB691_389
; %bb.364:
	v_mov_b32_dpp v19, v43 row_shr:1 row_mask:0xf bank_mask:0xf
	s_delay_alu instid0(VALU_DEP_1) | instskip(NEXT) | instid1(VALU_DEP_1)
	v_cndmask_b32_e64 v19, v19, 0, s4
	v_add_nc_u32_e32 v19, v19, v43
	s_delay_alu instid0(VALU_DEP_1) | instskip(NEXT) | instid1(VALU_DEP_1)
	v_mov_b32_dpp v20, v19 row_shr:2 row_mask:0xf bank_mask:0xf
	v_cndmask_b32_e64 v20, 0, v20, s2
	s_delay_alu instid0(VALU_DEP_1) | instskip(NEXT) | instid1(VALU_DEP_1)
	v_add_nc_u32_e32 v19, v19, v20
	v_mov_b32_dpp v20, v19 row_shr:4 row_mask:0xf bank_mask:0xf
	s_delay_alu instid0(VALU_DEP_1) | instskip(NEXT) | instid1(VALU_DEP_1)
	v_cndmask_b32_e64 v20, 0, v20, s5
	v_add_nc_u32_e32 v19, v19, v20
	s_delay_alu instid0(VALU_DEP_1) | instskip(NEXT) | instid1(VALU_DEP_1)
	v_mov_b32_dpp v20, v19 row_shr:8 row_mask:0xf bank_mask:0xf
	v_cndmask_b32_e64 v20, 0, v20, s3
	s_delay_alu instid0(VALU_DEP_1) | instskip(SKIP_3) | instid1(VALU_DEP_1)
	v_add_nc_u32_e32 v19, v19, v20
	ds_swizzle_b32 v20, v19 offset:swizzle(BROADCAST,32,15)
	s_waitcnt lgkmcnt(0)
	v_cndmask_b32_e64 v20, v20, 0, s7
	v_add_nc_u32_e32 v19, v19, v20
	s_and_saveexec_b32 s8, s6
	s_cbranch_execz .LBB691_366
; %bb.365:
	v_lshlrev_b32_e32 v20, 2, v42
	ds_store_b32 v20, v19
.LBB691_366:
	s_or_b32 exec_lo, exec_lo, s8
	s_delay_alu instid0(SALU_CYCLE_1)
	s_mov_b32 s8, exec_lo
	s_waitcnt lgkmcnt(0)
	s_barrier
	buffer_gl0_inv
	v_cmpx_gt_u32_e32 16, v0
	s_cbranch_execz .LBB691_368
; %bb.367:
	v_lshlrev_b32_e32 v20, 2, v0
	ds_load_b32 v21, v20
	s_waitcnt lgkmcnt(0)
	v_mov_b32_dpp v22, v21 row_shr:1 row_mask:0xf bank_mask:0xf
	s_delay_alu instid0(VALU_DEP_1) | instskip(NEXT) | instid1(VALU_DEP_1)
	v_cndmask_b32_e64 v22, v22, 0, s4
	v_add_nc_u32_e32 v21, v22, v21
	s_delay_alu instid0(VALU_DEP_1) | instskip(NEXT) | instid1(VALU_DEP_1)
	v_mov_b32_dpp v22, v21 row_shr:2 row_mask:0xf bank_mask:0xf
	v_cndmask_b32_e64 v22, 0, v22, s2
	s_delay_alu instid0(VALU_DEP_1) | instskip(NEXT) | instid1(VALU_DEP_1)
	v_add_nc_u32_e32 v21, v21, v22
	v_mov_b32_dpp v22, v21 row_shr:4 row_mask:0xf bank_mask:0xf
	s_delay_alu instid0(VALU_DEP_1) | instskip(NEXT) | instid1(VALU_DEP_1)
	v_cndmask_b32_e64 v22, 0, v22, s5
	v_add_nc_u32_e32 v21, v21, v22
	s_delay_alu instid0(VALU_DEP_1) | instskip(NEXT) | instid1(VALU_DEP_1)
	v_mov_b32_dpp v22, v21 row_shr:8 row_mask:0xf bank_mask:0xf
	v_cndmask_b32_e64 v22, 0, v22, s3
	s_delay_alu instid0(VALU_DEP_1)
	v_add_nc_u32_e32 v21, v21, v22
	ds_store_b32 v20, v21
.LBB691_368:
	s_or_b32 exec_lo, exec_lo, s8
	v_cmp_gt_u32_e32 vcc_lo, 32, v0
	s_mov_b32 s9, exec_lo
	s_waitcnt lgkmcnt(0)
	s_barrier
	buffer_gl0_inv
                                        ; implicit-def: $vgpr27
	v_cmpx_lt_u32_e32 31, v0
	s_cbranch_execz .LBB691_370
; %bb.369:
	v_lshl_add_u32 v20, v42, 2, -4
	ds_load_b32 v27, v20
	s_waitcnt lgkmcnt(0)
	v_add_nc_u32_e32 v19, v27, v19
.LBB691_370:
	s_or_b32 exec_lo, exec_lo, s9
	v_add_nc_u32_e32 v20, -1, v41
	s_delay_alu instid0(VALU_DEP_1) | instskip(NEXT) | instid1(VALU_DEP_1)
	v_cmp_gt_i32_e64 s8, 0, v20
	v_cndmask_b32_e64 v20, v20, v41, s8
	v_cmp_eq_u32_e64 s8, 0, v41
	s_delay_alu instid0(VALU_DEP_2)
	v_lshlrev_b32_e32 v20, 2, v20
	ds_bpermute_b32 v29, v20, v19
	s_and_saveexec_b32 s9, vcc_lo
	s_cbranch_execz .LBB691_388
; %bb.371:
	v_mov_b32_e32 v22, 0
	ds_load_b32 v19, v22 offset:60
	s_and_saveexec_b32 s18, s8
	s_cbranch_execz .LBB691_373
; %bb.372:
	s_add_i32 s22, s15, 32
	s_mov_b32 s23, 0
	v_mov_b32_e32 v20, 1
	s_lshl_b64 s[22:23], s[22:23], 3
	s_delay_alu instid0(SALU_CYCLE_1)
	s_add_u32 s22, s10, s22
	s_addc_u32 s23, s11, s23
	s_waitcnt lgkmcnt(0)
	global_store_b64 v22, v[19:20], s[22:23]
.LBB691_373:
	s_or_b32 exec_lo, exec_lo, s18
	v_xad_u32 v20, v41, -1, s15
	s_mov_b32 s19, 0
	s_mov_b32 s18, exec_lo
	s_delay_alu instid0(VALU_DEP_1) | instskip(NEXT) | instid1(VALU_DEP_1)
	v_add_nc_u32_e32 v21, 32, v20
	v_lshlrev_b64 v[21:22], 3, v[21:22]
	s_delay_alu instid0(VALU_DEP_1) | instskip(NEXT) | instid1(VALU_DEP_2)
	v_add_co_u32 v24, vcc_lo, s10, v21
	v_add_co_ci_u32_e32 v25, vcc_lo, s11, v22, vcc_lo
	global_load_b64 v[22:23], v[24:25], off glc
	s_waitcnt vmcnt(0)
	v_and_b32_e32 v21, 0xff, v23
	s_delay_alu instid0(VALU_DEP_1)
	v_cmpx_eq_u16_e32 0, v21
	s_cbranch_execz .LBB691_376
.LBB691_374:                            ; =>This Inner Loop Header: Depth=1
	global_load_b64 v[22:23], v[24:25], off glc
	s_waitcnt vmcnt(0)
	v_and_b32_e32 v21, 0xff, v23
	s_delay_alu instid0(VALU_DEP_1) | instskip(SKIP_1) | instid1(SALU_CYCLE_1)
	v_cmp_ne_u16_e32 vcc_lo, 0, v21
	s_or_b32 s19, vcc_lo, s19
	s_and_not1_b32 exec_lo, exec_lo, s19
	s_cbranch_execnz .LBB691_374
; %bb.375:
	s_or_b32 exec_lo, exec_lo, s19
.LBB691_376:
	s_delay_alu instid0(SALU_CYCLE_1)
	s_or_b32 exec_lo, exec_lo, s18
	v_cmp_ne_u32_e32 vcc_lo, 31, v41
	v_lshlrev_b32_e64 v33, v41, -1
	v_add_nc_u32_e32 v37, 2, v41
	v_add_nc_u32_e32 v46, 4, v41
	;; [unrolled: 1-line block ×3, first 2 shown]
	v_add_co_ci_u32_e32 v21, vcc_lo, 0, v41, vcc_lo
	v_add_nc_u32_e32 v50, 16, v41
	s_delay_alu instid0(VALU_DEP_2)
	v_lshlrev_b32_e32 v31, 2, v21
	v_and_b32_e32 v21, 0xff, v23
	ds_bpermute_b32 v24, v31, v22
	v_cmp_eq_u16_e32 vcc_lo, 2, v21
	v_and_or_b32 v21, vcc_lo, v33, 0x80000000
	v_cmp_gt_u32_e32 vcc_lo, 30, v41
	s_delay_alu instid0(VALU_DEP_2) | instskip(SKIP_1) | instid1(VALU_DEP_2)
	v_ctz_i32_b32_e32 v21, v21
	v_cndmask_b32_e64 v25, 0, 1, vcc_lo
	v_cmp_lt_u32_e32 vcc_lo, v41, v21
	s_waitcnt lgkmcnt(0)
	s_delay_alu instid0(VALU_DEP_2) | instskip(NEXT) | instid1(VALU_DEP_1)
	v_dual_cndmask_b32 v24, 0, v24 :: v_dual_lshlrev_b32 v25, 1, v25
	v_add_lshl_u32 v35, v25, v41, 2
	v_cmp_gt_u32_e32 vcc_lo, 28, v41
	s_delay_alu instid0(VALU_DEP_3) | instskip(SKIP_4) | instid1(VALU_DEP_1)
	v_add_nc_u32_e32 v22, v24, v22
	v_cndmask_b32_e64 v25, 0, 1, vcc_lo
	v_cmp_le_u32_e32 vcc_lo, v37, v21
	ds_bpermute_b32 v24, v35, v22
	v_lshlrev_b32_e32 v25, 2, v25
	v_add_lshl_u32 v44, v25, v41, 2
	s_waitcnt lgkmcnt(0)
	v_cndmask_b32_e32 v24, 0, v24, vcc_lo
	v_cmp_gt_u32_e32 vcc_lo, 24, v41
	s_delay_alu instid0(VALU_DEP_2) | instskip(SKIP_4) | instid1(VALU_DEP_1)
	v_add_nc_u32_e32 v22, v22, v24
	v_cndmask_b32_e64 v25, 0, 1, vcc_lo
	v_cmp_le_u32_e32 vcc_lo, v46, v21
	ds_bpermute_b32 v24, v44, v22
	v_lshlrev_b32_e32 v25, 3, v25
	v_add_lshl_u32 v47, v25, v41, 2
	s_waitcnt lgkmcnt(0)
	v_cndmask_b32_e32 v24, 0, v24, vcc_lo
	v_cmp_gt_u32_e32 vcc_lo, 16, v41
	s_delay_alu instid0(VALU_DEP_2) | instskip(SKIP_4) | instid1(VALU_DEP_1)
	v_add_nc_u32_e32 v22, v22, v24
	v_cndmask_b32_e64 v25, 0, 1, vcc_lo
	v_cmp_le_u32_e32 vcc_lo, v48, v21
	ds_bpermute_b32 v24, v47, v22
	v_lshlrev_b32_e32 v25, 4, v25
	v_add_lshl_u32 v49, v25, v41, 2
	s_waitcnt lgkmcnt(0)
	v_cndmask_b32_e32 v24, 0, v24, vcc_lo
	v_cmp_le_u32_e32 vcc_lo, v50, v21
	s_delay_alu instid0(VALU_DEP_2) | instskip(SKIP_3) | instid1(VALU_DEP_1)
	v_add_nc_u32_e32 v22, v22, v24
	ds_bpermute_b32 v24, v49, v22
	s_waitcnt lgkmcnt(0)
	v_cndmask_b32_e32 v21, 0, v24, vcc_lo
	v_dual_mov_b32 v21, 0 :: v_dual_add_nc_u32 v22, v22, v21
	s_branch .LBB691_378
.LBB691_377:                            ;   in Loop: Header=BB691_378 Depth=1
	s_or_b32 exec_lo, exec_lo, s18
	ds_bpermute_b32 v25, v31, v22
	v_and_b32_e32 v24, 0xff, v23
	v_subrev_nc_u32_e32 v20, 32, v20
	s_delay_alu instid0(VALU_DEP_2) | instskip(SKIP_1) | instid1(VALU_DEP_1)
	v_cmp_eq_u16_e32 vcc_lo, 2, v24
	v_and_or_b32 v24, vcc_lo, v33, 0x80000000
	v_ctz_i32_b32_e32 v24, v24
	s_delay_alu instid0(VALU_DEP_1) | instskip(SKIP_3) | instid1(VALU_DEP_2)
	v_cmp_lt_u32_e32 vcc_lo, v41, v24
	s_waitcnt lgkmcnt(0)
	v_cndmask_b32_e32 v25, 0, v25, vcc_lo
	v_cmp_le_u32_e32 vcc_lo, v37, v24
	v_add_nc_u32_e32 v22, v25, v22
	ds_bpermute_b32 v25, v35, v22
	s_waitcnt lgkmcnt(0)
	v_cndmask_b32_e32 v25, 0, v25, vcc_lo
	v_cmp_le_u32_e32 vcc_lo, v46, v24
	s_delay_alu instid0(VALU_DEP_2) | instskip(SKIP_4) | instid1(VALU_DEP_2)
	v_add_nc_u32_e32 v22, v22, v25
	ds_bpermute_b32 v25, v44, v22
	s_waitcnt lgkmcnt(0)
	v_cndmask_b32_e32 v25, 0, v25, vcc_lo
	v_cmp_le_u32_e32 vcc_lo, v48, v24
	v_add_nc_u32_e32 v22, v22, v25
	ds_bpermute_b32 v25, v47, v22
	s_waitcnt lgkmcnt(0)
	v_cndmask_b32_e32 v25, 0, v25, vcc_lo
	v_cmp_le_u32_e32 vcc_lo, v50, v24
	s_delay_alu instid0(VALU_DEP_2) | instskip(SKIP_3) | instid1(VALU_DEP_1)
	v_add_nc_u32_e32 v22, v22, v25
	ds_bpermute_b32 v25, v49, v22
	s_waitcnt lgkmcnt(0)
	v_cndmask_b32_e32 v24, 0, v25, vcc_lo
	v_add3_u32 v22, v24, v45, v22
.LBB691_378:                            ; =>This Loop Header: Depth=1
                                        ;     Child Loop BB691_381 Depth 2
	v_and_b32_e32 v23, 0xff, v23
	s_delay_alu instid0(VALU_DEP_2) | instskip(NEXT) | instid1(VALU_DEP_2)
	v_mov_b32_e32 v45, v22
	v_cmp_ne_u16_e32 vcc_lo, 2, v23
	v_cndmask_b32_e64 v23, 0, 1, vcc_lo
	;;#ASMSTART
	;;#ASMEND
	s_delay_alu instid0(VALU_DEP_1)
	v_cmp_ne_u32_e32 vcc_lo, 0, v23
	s_cmp_lg_u32 vcc_lo, exec_lo
	s_cbranch_scc1 .LBB691_383
; %bb.379:                              ;   in Loop: Header=BB691_378 Depth=1
	v_lshlrev_b64 v[22:23], 3, v[20:21]
	s_mov_b32 s18, exec_lo
	s_delay_alu instid0(VALU_DEP_1) | instskip(NEXT) | instid1(VALU_DEP_2)
	v_add_co_u32 v24, vcc_lo, s10, v22
	v_add_co_ci_u32_e32 v25, vcc_lo, s11, v23, vcc_lo
	global_load_b64 v[22:23], v[24:25], off glc
	s_waitcnt vmcnt(0)
	v_and_b32_e32 v51, 0xff, v23
	s_delay_alu instid0(VALU_DEP_1)
	v_cmpx_eq_u16_e32 0, v51
	s_cbranch_execz .LBB691_377
; %bb.380:                              ;   in Loop: Header=BB691_378 Depth=1
	s_mov_b32 s19, 0
.LBB691_381:                            ;   Parent Loop BB691_378 Depth=1
                                        ; =>  This Inner Loop Header: Depth=2
	global_load_b64 v[22:23], v[24:25], off glc
	s_waitcnt vmcnt(0)
	v_and_b32_e32 v51, 0xff, v23
	s_delay_alu instid0(VALU_DEP_1) | instskip(SKIP_1) | instid1(SALU_CYCLE_1)
	v_cmp_ne_u16_e32 vcc_lo, 0, v51
	s_or_b32 s19, vcc_lo, s19
	s_and_not1_b32 exec_lo, exec_lo, s19
	s_cbranch_execnz .LBB691_381
; %bb.382:                              ;   in Loop: Header=BB691_378 Depth=1
	s_or_b32 exec_lo, exec_lo, s19
	s_branch .LBB691_377
.LBB691_383:                            ;   in Loop: Header=BB691_378 Depth=1
                                        ; implicit-def: $vgpr22
                                        ; implicit-def: $vgpr23
	s_cbranch_execz .LBB691_378
; %bb.384:
	s_and_saveexec_b32 s18, s8
	s_cbranch_execz .LBB691_386
; %bb.385:
	s_add_i32 s22, s15, 32
	s_mov_b32 s23, 0
	v_dual_mov_b32 v21, 2 :: v_dual_add_nc_u32 v20, v45, v19
	s_lshl_b64 s[22:23], s[22:23], 3
	v_mov_b32_e32 v22, 0
	v_add_nc_u32_e64 v23, 0x8400, 0
	s_add_u32 s22, s10, s22
	s_addc_u32 s23, s11, s23
	global_store_b64 v22, v[20:21], s[22:23]
	ds_store_2addr_b32 v23, v19, v45 offset1:2
.LBB691_386:
	s_or_b32 exec_lo, exec_lo, s18
	v_cmp_eq_u32_e32 vcc_lo, 0, v0
	s_and_b32 exec_lo, exec_lo, vcc_lo
	s_cbranch_execz .LBB691_388
; %bb.387:
	v_mov_b32_e32 v19, 0
	ds_store_b32 v19, v45 offset:60
.LBB691_388:
	s_or_b32 exec_lo, exec_lo, s9
	s_waitcnt lgkmcnt(0)
	v_cndmask_b32_e64 v20, v29, v27, s8
	v_cmp_ne_u32_e32 vcc_lo, 0, v0
	v_mov_b32_e32 v19, 0
	s_waitcnt_vscnt null, 0x0
	s_barrier
	buffer_gl0_inv
	v_cndmask_b32_e32 v20, 0, v20, vcc_lo
	ds_load_b32 v19, v19 offset:60
	s_waitcnt lgkmcnt(0)
	s_barrier
	buffer_gl0_inv
	v_add_nc_u32_e32 v37, v19, v20
	v_add_nc_u32_e64 v19, 0x8400, 0
	s_delay_alu instid0(VALU_DEP_2) | instskip(SKIP_2) | instid1(VALU_DEP_1)
	v_add_nc_u32_e32 v35, v37, v26
	ds_load_2addr_b32 v[19:20], v19 offset1:2
	v_add_nc_u32_e32 v33, v35, v28
	v_add_nc_u32_e32 v31, v33, v30
	s_delay_alu instid0(VALU_DEP_1) | instskip(NEXT) | instid1(VALU_DEP_1)
	v_add_nc_u32_e32 v29, v31, v32
	v_add_nc_u32_e32 v27, v29, v34
	s_delay_alu instid0(VALU_DEP_1) | instskip(NEXT) | instid1(VALU_DEP_1)
	v_add_nc_u32_e32 v25, v27, v36
	v_add_nc_u32_e32 v23, v25, v38
	s_load_b64 s[8:9], s[0:1], 0x28
	v_lshrrev_b64 v[21:22], 24, v[17:18]
	s_branch .LBB691_399
.LBB691_389:
                                        ; implicit-def: $vgpr23
                                        ; implicit-def: $vgpr25
                                        ; implicit-def: $vgpr27
                                        ; implicit-def: $vgpr29
                                        ; implicit-def: $vgpr31
                                        ; implicit-def: $vgpr33
                                        ; implicit-def: $vgpr35
                                        ; implicit-def: $vgpr37
                                        ; implicit-def: $vgpr20
	s_load_b64 s[8:9], s[0:1], 0x28
	v_lshrrev_b64 v[21:22], 24, v[17:18]
	s_and_b32 vcc_lo, exec_lo, s18
	s_cbranch_vccz .LBB691_399
; %bb.390:
	s_waitcnt lgkmcnt(0)
	v_mov_b32_dpp v19, v43 row_shr:1 row_mask:0xf bank_mask:0xf
	s_delay_alu instid0(VALU_DEP_1) | instskip(NEXT) | instid1(VALU_DEP_1)
	v_cndmask_b32_e64 v19, v19, 0, s4
	v_add_nc_u32_e32 v19, v19, v43
	s_delay_alu instid0(VALU_DEP_1) | instskip(NEXT) | instid1(VALU_DEP_1)
	v_mov_b32_dpp v20, v19 row_shr:2 row_mask:0xf bank_mask:0xf
	v_cndmask_b32_e64 v20, 0, v20, s2
	s_delay_alu instid0(VALU_DEP_1) | instskip(NEXT) | instid1(VALU_DEP_1)
	v_add_nc_u32_e32 v19, v19, v20
	v_mov_b32_dpp v20, v19 row_shr:4 row_mask:0xf bank_mask:0xf
	s_delay_alu instid0(VALU_DEP_1) | instskip(NEXT) | instid1(VALU_DEP_1)
	v_cndmask_b32_e64 v20, 0, v20, s5
	v_add_nc_u32_e32 v19, v19, v20
	s_delay_alu instid0(VALU_DEP_1) | instskip(NEXT) | instid1(VALU_DEP_1)
	v_mov_b32_dpp v20, v19 row_shr:8 row_mask:0xf bank_mask:0xf
	v_cndmask_b32_e64 v20, 0, v20, s3
	s_delay_alu instid0(VALU_DEP_1) | instskip(SKIP_3) | instid1(VALU_DEP_1)
	v_add_nc_u32_e32 v19, v19, v20
	ds_swizzle_b32 v20, v19 offset:swizzle(BROADCAST,32,15)
	s_waitcnt lgkmcnt(0)
	v_cndmask_b32_e64 v20, v20, 0, s7
	v_add_nc_u32_e32 v19, v19, v20
	s_and_saveexec_b32 s0, s6
	s_cbranch_execz .LBB691_392
; %bb.391:
	v_lshlrev_b32_e32 v20, 2, v42
	ds_store_b32 v20, v19
.LBB691_392:
	s_or_b32 exec_lo, exec_lo, s0
	s_delay_alu instid0(SALU_CYCLE_1)
	s_mov_b32 s0, exec_lo
	s_waitcnt lgkmcnt(0)
	s_barrier
	buffer_gl0_inv
	v_cmpx_gt_u32_e32 16, v0
	s_cbranch_execz .LBB691_394
; %bb.393:
	v_lshlrev_b32_e32 v20, 2, v0
	ds_load_b32 v22, v20
	s_waitcnt lgkmcnt(0)
	v_mov_b32_dpp v23, v22 row_shr:1 row_mask:0xf bank_mask:0xf
	s_delay_alu instid0(VALU_DEP_1) | instskip(NEXT) | instid1(VALU_DEP_1)
	v_cndmask_b32_e64 v23, v23, 0, s4
	v_add_nc_u32_e32 v22, v23, v22
	s_delay_alu instid0(VALU_DEP_1) | instskip(NEXT) | instid1(VALU_DEP_1)
	v_mov_b32_dpp v23, v22 row_shr:2 row_mask:0xf bank_mask:0xf
	v_cndmask_b32_e64 v23, 0, v23, s2
	s_delay_alu instid0(VALU_DEP_1) | instskip(NEXT) | instid1(VALU_DEP_1)
	v_add_nc_u32_e32 v22, v22, v23
	v_mov_b32_dpp v23, v22 row_shr:4 row_mask:0xf bank_mask:0xf
	s_delay_alu instid0(VALU_DEP_1) | instskip(NEXT) | instid1(VALU_DEP_1)
	v_cndmask_b32_e64 v23, 0, v23, s5
	v_add_nc_u32_e32 v22, v22, v23
	s_delay_alu instid0(VALU_DEP_1) | instskip(NEXT) | instid1(VALU_DEP_1)
	v_mov_b32_dpp v23, v22 row_shr:8 row_mask:0xf bank_mask:0xf
	v_cndmask_b32_e64 v23, 0, v23, s3
	s_delay_alu instid0(VALU_DEP_1)
	v_add_nc_u32_e32 v22, v22, v23
	ds_store_b32 v20, v22
.LBB691_394:
	s_or_b32 exec_lo, exec_lo, s0
	v_mov_b32_e32 v20, 0
	v_mov_b32_e32 v22, 0
	s_mov_b32 s0, exec_lo
	s_waitcnt lgkmcnt(0)
	s_barrier
	buffer_gl0_inv
	v_cmpx_lt_u32_e32 31, v0
	s_cbranch_execz .LBB691_396
; %bb.395:
	v_lshl_add_u32 v22, v42, 2, -4
	ds_load_b32 v22, v22
.LBB691_396:
	s_or_b32 exec_lo, exec_lo, s0
	v_add_nc_u32_e32 v23, -1, v41
	s_waitcnt lgkmcnt(0)
	v_add_nc_u32_e32 v19, v22, v19
	s_delay_alu instid0(VALU_DEP_2) | instskip(SKIP_2) | instid1(VALU_DEP_2)
	v_cmp_gt_i32_e32 vcc_lo, 0, v23
	v_cndmask_b32_e32 v23, v23, v41, vcc_lo
	v_cmp_eq_u32_e32 vcc_lo, 0, v0
	v_lshlrev_b32_e32 v23, 2, v23
	ds_bpermute_b32 v23, v23, v19
	ds_load_b32 v19, v20 offset:60
	s_and_saveexec_b32 s0, vcc_lo
	s_cbranch_execz .LBB691_398
; %bb.397:
	v_mov_b32_e32 v24, 0
	v_mov_b32_e32 v20, 2
	s_waitcnt lgkmcnt(0)
	global_store_b64 v24, v[19:20], s[10:11] offset:256
.LBB691_398:
	s_or_b32 exec_lo, exec_lo, s0
	v_cmp_eq_u32_e64 s0, 0, v41
	s_waitcnt lgkmcnt(0)
	s_waitcnt_vscnt null, 0x0
	s_barrier
	buffer_gl0_inv
	v_cndmask_b32_e64 v20, v23, v22, s0
	s_delay_alu instid0(VALU_DEP_1) | instskip(NEXT) | instid1(VALU_DEP_1)
	v_cndmask_b32_e64 v37, v20, 0, vcc_lo
	v_dual_mov_b32 v20, 0 :: v_dual_add_nc_u32 v35, v37, v26
	s_delay_alu instid0(VALU_DEP_1) | instskip(NEXT) | instid1(VALU_DEP_1)
	v_add_nc_u32_e32 v33, v35, v28
	v_add_nc_u32_e32 v31, v33, v30
	s_delay_alu instid0(VALU_DEP_1) | instskip(NEXT) | instid1(VALU_DEP_1)
	v_add_nc_u32_e32 v29, v31, v32
	v_add_nc_u32_e32 v27, v29, v34
	;; [unrolled: 3-line block ×3, first 2 shown]
.LBB691_399:
	s_waitcnt lgkmcnt(0)
	v_cmp_gt_u32_e32 vcc_lo, 0x201, v19
	v_lshrrev_b32_e32 v43, 8, v17
	v_lshrrev_b32_e32 v42, 16, v17
	;; [unrolled: 1-line block ×4, first 2 shown]
	s_mov_b32 s0, -1
	s_cbranch_vccnz .LBB691_403
; %bb.400:
	s_and_b32 vcc_lo, exec_lo, s0
	s_cbranch_vccnz .LBB691_428
.LBB691_401:
	v_cmp_eq_u32_e32 vcc_lo, 0, v0
	s_and_b32 s0, vcc_lo, s14
	s_delay_alu instid0(SALU_CYCLE_1)
	s_and_saveexec_b32 s1, s0
	s_cbranch_execnz .LBB691_448
.LBB691_402:
	s_nop 0
	s_sendmsg sendmsg(MSG_DEALLOC_VGPRS)
	s_endpgm
.LBB691_403:
	v_add_nc_u32_e32 v24, v20, v19
	s_delay_alu instid0(VALU_DEP_1) | instskip(SKIP_1) | instid1(SALU_CYCLE_1)
	v_cmp_lt_u32_e32 vcc_lo, v37, v24
	s_or_b32 s1, s21, vcc_lo
	s_and_saveexec_b32 s0, s1
	s_cbranch_execz .LBB691_406
; %bb.404:
	v_and_b32_e32 v26, 1, v17
	s_delay_alu instid0(VALU_DEP_1)
	v_cmp_eq_u32_e32 vcc_lo, 1, v26
	s_and_b32 exec_lo, exec_lo, vcc_lo
	s_cbranch_execz .LBB691_406
; %bb.405:
	v_mov_b32_e32 v38, 0
	s_lshl_b64 s[2:3], s[12:13], 3
	s_delay_alu instid0(SALU_CYCLE_1) | instskip(SKIP_1) | instid1(VALU_DEP_1)
	s_add_u32 s1, s8, s2
	s_addc_u32 s2, s9, s3
	v_lshlrev_b64 v[44:45], 3, v[37:38]
	s_delay_alu instid0(VALU_DEP_1) | instskip(NEXT) | instid1(VALU_DEP_2)
	v_add_co_u32 v44, vcc_lo, s1, v44
	v_add_co_ci_u32_e32 v45, vcc_lo, s2, v45, vcc_lo
	global_store_b64 v[44:45], v[13:14], off
.LBB691_406:
	s_or_b32 exec_lo, exec_lo, s0
	v_cmp_lt_u32_e32 vcc_lo, v35, v24
	s_or_b32 s1, s21, vcc_lo
	s_delay_alu instid0(SALU_CYCLE_1)
	s_and_saveexec_b32 s0, s1
	s_cbranch_execz .LBB691_409
; %bb.407:
	v_and_b32_e32 v26, 1, v43
	s_delay_alu instid0(VALU_DEP_1)
	v_cmp_eq_u32_e32 vcc_lo, 1, v26
	s_and_b32 exec_lo, exec_lo, vcc_lo
	s_cbranch_execz .LBB691_409
; %bb.408:
	v_mov_b32_e32 v36, 0
	s_lshl_b64 s[2:3], s[12:13], 3
	s_delay_alu instid0(SALU_CYCLE_1) | instskip(SKIP_1) | instid1(VALU_DEP_1)
	s_add_u32 s1, s8, s2
	s_addc_u32 s2, s9, s3
	v_lshlrev_b64 v[44:45], 3, v[35:36]
	s_delay_alu instid0(VALU_DEP_1) | instskip(NEXT) | instid1(VALU_DEP_2)
	v_add_co_u32 v44, vcc_lo, s1, v44
	v_add_co_ci_u32_e32 v45, vcc_lo, s2, v45, vcc_lo
	global_store_b64 v[44:45], v[15:16], off
.LBB691_409:
	s_or_b32 exec_lo, exec_lo, s0
	v_cmp_lt_u32_e32 vcc_lo, v33, v24
	s_or_b32 s1, s21, vcc_lo
	s_delay_alu instid0(SALU_CYCLE_1)
	;; [unrolled: 24-line block ×7, first 2 shown]
	s_and_saveexec_b32 s0, s1
	s_cbranch_execz .LBB691_427
; %bb.425:
	v_and_b32_e32 v24, 1, v40
	s_delay_alu instid0(VALU_DEP_1)
	v_cmp_eq_u32_e32 vcc_lo, 1, v24
	s_and_b32 exec_lo, exec_lo, vcc_lo
	s_cbranch_execz .LBB691_427
; %bb.426:
	v_mov_b32_e32 v24, 0
	s_lshl_b64 s[2:3], s[12:13], 3
	s_delay_alu instid0(SALU_CYCLE_1) | instskip(SKIP_1) | instid1(VALU_DEP_1)
	s_add_u32 s1, s8, s2
	s_addc_u32 s2, s9, s3
	v_lshlrev_b64 v[44:45], 3, v[23:24]
	s_delay_alu instid0(VALU_DEP_1) | instskip(NEXT) | instid1(VALU_DEP_2)
	v_add_co_u32 v44, vcc_lo, s1, v44
	v_add_co_ci_u32_e32 v45, vcc_lo, s2, v45, vcc_lo
	global_store_b64 v[44:45], v[3:4], off
.LBB691_427:
	s_or_b32 exec_lo, exec_lo, s0
	s_branch .LBB691_401
.LBB691_428:
	v_and_b32_e32 v17, 1, v17
	s_mov_b32 s0, exec_lo
	s_delay_alu instid0(VALU_DEP_1)
	v_cmpx_eq_u32_e32 1, v17
	s_cbranch_execz .LBB691_430
; %bb.429:
	v_sub_nc_u32_e32 v17, v37, v20
	s_delay_alu instid0(VALU_DEP_1)
	v_lshlrev_b32_e32 v17, 3, v17
	ds_store_b64 v17, v[13:14]
.LBB691_430:
	s_or_b32 exec_lo, exec_lo, s0
	v_and_b32_e32 v13, 1, v43
	s_mov_b32 s0, exec_lo
	s_delay_alu instid0(VALU_DEP_1)
	v_cmpx_eq_u32_e32 1, v13
	s_cbranch_execz .LBB691_432
; %bb.431:
	v_sub_nc_u32_e32 v13, v35, v20
	s_delay_alu instid0(VALU_DEP_1)
	v_lshlrev_b32_e32 v13, 3, v13
	ds_store_b64 v13, v[15:16]
.LBB691_432:
	s_or_b32 exec_lo, exec_lo, s0
	;; [unrolled: 12-line block ×8, first 2 shown]
	s_delay_alu instid0(SALU_CYCLE_1)
	s_mov_b32 s1, exec_lo
	s_waitcnt lgkmcnt(0)
	s_waitcnt_vscnt null, 0x0
	s_barrier
	buffer_gl0_inv
	v_cmpx_lt_u32_e64 v0, v19
	s_cbranch_execz .LBB691_447
; %bb.445:
	v_dual_mov_b32 v2, 0 :: v_dual_mov_b32 v1, v20
	s_lshl_b64 s[2:3], s[12:13], 3
	v_mov_b32_e32 v3, v0
	s_delay_alu instid0(VALU_DEP_2) | instskip(NEXT) | instid1(VALU_DEP_1)
	v_lshlrev_b64 v[1:2], 3, v[1:2]
	v_add_co_u32 v1, vcc_lo, s2, v1
	s_delay_alu instid0(VALU_DEP_2) | instskip(SKIP_1) | instid1(VALU_DEP_2)
	v_add_co_ci_u32_e32 v2, vcc_lo, s3, v2, vcc_lo
	s_mov_b32 s2, 0
	v_add_co_u32 v1, vcc_lo, s8, v1
	s_delay_alu instid0(VALU_DEP_2) | instskip(NEXT) | instid1(VALU_DEP_2)
	v_add_co_ci_u32_e32 v2, vcc_lo, s9, v2, vcc_lo
	v_add_co_u32 v1, vcc_lo, v1, v39
	s_delay_alu instid0(VALU_DEP_2)
	v_add_co_ci_u32_e32 v2, vcc_lo, 0, v2, vcc_lo
	.p2align	6
.LBB691_446:                            ; =>This Inner Loop Header: Depth=1
	ds_load_b64 v[4:5], v39
	v_add_nc_u32_e32 v3, 0x200, v3
	v_add_nc_u32_e32 v39, 0x1000, v39
	s_delay_alu instid0(VALU_DEP_2) | instskip(SKIP_4) | instid1(VALU_DEP_1)
	v_cmp_ge_u32_e32 vcc_lo, v3, v19
	s_or_b32 s2, vcc_lo, s2
	s_waitcnt lgkmcnt(0)
	global_store_b64 v[1:2], v[4:5], off
	v_add_co_u32 v1, s0, 0x1000, v1
	v_add_co_ci_u32_e64 v2, s0, 0, v2, s0
	s_and_not1_b32 exec_lo, exec_lo, s2
	s_cbranch_execnz .LBB691_446
.LBB691_447:
	s_or_b32 exec_lo, exec_lo, s1
	v_cmp_eq_u32_e32 vcc_lo, 0, v0
	s_and_b32 s0, vcc_lo, s14
	s_delay_alu instid0(SALU_CYCLE_1)
	s_and_saveexec_b32 s1, s0
	s_cbranch_execz .LBB691_402
.LBB691_448:
	v_add_co_u32 v0, s0, s12, v19
	s_delay_alu instid0(VALU_DEP_1) | instskip(SKIP_1) | instid1(VALU_DEP_3)
	v_add_co_ci_u32_e64 v1, null, s13, 0, s0
	v_mov_b32_e32 v2, 0
	v_add_co_u32 v0, vcc_lo, v0, v20
	s_delay_alu instid0(VALU_DEP_3)
	v_add_co_ci_u32_e32 v1, vcc_lo, 0, v1, vcc_lo
	global_store_b64 v2, v[0:1], s[16:17]
	s_nop 0
	s_sendmsg sendmsg(MSG_DEALLOC_VGPRS)
	s_endpgm
	.section	.rodata,"a",@progbits
	.p2align	6, 0x0
	.amdhsa_kernel _ZN7rocprim17ROCPRIM_400000_NS6detail17trampoline_kernelINS0_14default_configENS1_25partition_config_selectorILNS1_17partition_subalgoE8ElNS0_10empty_typeEbEEZZNS1_14partition_implILS5_8ELb0ES3_jPlPS6_PKS6_NS0_5tupleIJS9_S6_EEENSD_IJSA_SA_EEENS0_18inequality_wrapperIZN2at6native12_GLOBAL__N_124unique_dim_cuda_templateIsEESt5tupleIJNSH_6TensorESM_SM_EERKSM_lbbbEUlllE0_EEPmJS6_EEE10hipError_tPvRmT3_T4_T5_T6_T7_T9_mT8_P12ihipStream_tbDpT10_ENKUlT_T0_E_clISt17integral_constantIbLb0EES1C_EEDaS17_S18_EUlS17_E_NS1_11comp_targetILNS1_3genE9ELNS1_11target_archE1100ELNS1_3gpuE3ELNS1_3repE0EEENS1_30default_config_static_selectorELNS0_4arch9wavefront6targetE0EEEvT1_
		.amdhsa_group_segment_fixed_size 33804
		.amdhsa_private_segment_fixed_size 0
		.amdhsa_kernarg_size 120
		.amdhsa_user_sgpr_count 15
		.amdhsa_user_sgpr_dispatch_ptr 0
		.amdhsa_user_sgpr_queue_ptr 0
		.amdhsa_user_sgpr_kernarg_segment_ptr 1
		.amdhsa_user_sgpr_dispatch_id 0
		.amdhsa_user_sgpr_private_segment_size 0
		.amdhsa_wavefront_size32 1
		.amdhsa_uses_dynamic_stack 0
		.amdhsa_enable_private_segment 0
		.amdhsa_system_sgpr_workgroup_id_x 1
		.amdhsa_system_sgpr_workgroup_id_y 0
		.amdhsa_system_sgpr_workgroup_id_z 0
		.amdhsa_system_sgpr_workgroup_info 0
		.amdhsa_system_vgpr_workitem_id 0
		.amdhsa_next_free_vgpr 52
		.amdhsa_next_free_sgpr 36
		.amdhsa_reserve_vcc 1
		.amdhsa_float_round_mode_32 0
		.amdhsa_float_round_mode_16_64 0
		.amdhsa_float_denorm_mode_32 3
		.amdhsa_float_denorm_mode_16_64 3
		.amdhsa_dx10_clamp 1
		.amdhsa_ieee_mode 1
		.amdhsa_fp16_overflow 0
		.amdhsa_workgroup_processor_mode 1
		.amdhsa_memory_ordered 1
		.amdhsa_forward_progress 0
		.amdhsa_shared_vgpr_count 0
		.amdhsa_exception_fp_ieee_invalid_op 0
		.amdhsa_exception_fp_denorm_src 0
		.amdhsa_exception_fp_ieee_div_zero 0
		.amdhsa_exception_fp_ieee_overflow 0
		.amdhsa_exception_fp_ieee_underflow 0
		.amdhsa_exception_fp_ieee_inexact 0
		.amdhsa_exception_int_div_zero 0
	.end_amdhsa_kernel
	.section	.text._ZN7rocprim17ROCPRIM_400000_NS6detail17trampoline_kernelINS0_14default_configENS1_25partition_config_selectorILNS1_17partition_subalgoE8ElNS0_10empty_typeEbEEZZNS1_14partition_implILS5_8ELb0ES3_jPlPS6_PKS6_NS0_5tupleIJS9_S6_EEENSD_IJSA_SA_EEENS0_18inequality_wrapperIZN2at6native12_GLOBAL__N_124unique_dim_cuda_templateIsEESt5tupleIJNSH_6TensorESM_SM_EERKSM_lbbbEUlllE0_EEPmJS6_EEE10hipError_tPvRmT3_T4_T5_T6_T7_T9_mT8_P12ihipStream_tbDpT10_ENKUlT_T0_E_clISt17integral_constantIbLb0EES1C_EEDaS17_S18_EUlS17_E_NS1_11comp_targetILNS1_3genE9ELNS1_11target_archE1100ELNS1_3gpuE3ELNS1_3repE0EEENS1_30default_config_static_selectorELNS0_4arch9wavefront6targetE0EEEvT1_,"axG",@progbits,_ZN7rocprim17ROCPRIM_400000_NS6detail17trampoline_kernelINS0_14default_configENS1_25partition_config_selectorILNS1_17partition_subalgoE8ElNS0_10empty_typeEbEEZZNS1_14partition_implILS5_8ELb0ES3_jPlPS6_PKS6_NS0_5tupleIJS9_S6_EEENSD_IJSA_SA_EEENS0_18inequality_wrapperIZN2at6native12_GLOBAL__N_124unique_dim_cuda_templateIsEESt5tupleIJNSH_6TensorESM_SM_EERKSM_lbbbEUlllE0_EEPmJS6_EEE10hipError_tPvRmT3_T4_T5_T6_T7_T9_mT8_P12ihipStream_tbDpT10_ENKUlT_T0_E_clISt17integral_constantIbLb0EES1C_EEDaS17_S18_EUlS17_E_NS1_11comp_targetILNS1_3genE9ELNS1_11target_archE1100ELNS1_3gpuE3ELNS1_3repE0EEENS1_30default_config_static_selectorELNS0_4arch9wavefront6targetE0EEEvT1_,comdat
.Lfunc_end691:
	.size	_ZN7rocprim17ROCPRIM_400000_NS6detail17trampoline_kernelINS0_14default_configENS1_25partition_config_selectorILNS1_17partition_subalgoE8ElNS0_10empty_typeEbEEZZNS1_14partition_implILS5_8ELb0ES3_jPlPS6_PKS6_NS0_5tupleIJS9_S6_EEENSD_IJSA_SA_EEENS0_18inequality_wrapperIZN2at6native12_GLOBAL__N_124unique_dim_cuda_templateIsEESt5tupleIJNSH_6TensorESM_SM_EERKSM_lbbbEUlllE0_EEPmJS6_EEE10hipError_tPvRmT3_T4_T5_T6_T7_T9_mT8_P12ihipStream_tbDpT10_ENKUlT_T0_E_clISt17integral_constantIbLb0EES1C_EEDaS17_S18_EUlS17_E_NS1_11comp_targetILNS1_3genE9ELNS1_11target_archE1100ELNS1_3gpuE3ELNS1_3repE0EEENS1_30default_config_static_selectorELNS0_4arch9wavefront6targetE0EEEvT1_, .Lfunc_end691-_ZN7rocprim17ROCPRIM_400000_NS6detail17trampoline_kernelINS0_14default_configENS1_25partition_config_selectorILNS1_17partition_subalgoE8ElNS0_10empty_typeEbEEZZNS1_14partition_implILS5_8ELb0ES3_jPlPS6_PKS6_NS0_5tupleIJS9_S6_EEENSD_IJSA_SA_EEENS0_18inequality_wrapperIZN2at6native12_GLOBAL__N_124unique_dim_cuda_templateIsEESt5tupleIJNSH_6TensorESM_SM_EERKSM_lbbbEUlllE0_EEPmJS6_EEE10hipError_tPvRmT3_T4_T5_T6_T7_T9_mT8_P12ihipStream_tbDpT10_ENKUlT_T0_E_clISt17integral_constantIbLb0EES1C_EEDaS17_S18_EUlS17_E_NS1_11comp_targetILNS1_3genE9ELNS1_11target_archE1100ELNS1_3gpuE3ELNS1_3repE0EEENS1_30default_config_static_selectorELNS0_4arch9wavefront6targetE0EEEvT1_
                                        ; -- End function
	.section	.AMDGPU.csdata,"",@progbits
; Kernel info:
; codeLenInByte = 18232
; NumSgprs: 38
; NumVgprs: 52
; ScratchSize: 0
; MemoryBound: 0
; FloatMode: 240
; IeeeMode: 1
; LDSByteSize: 33804 bytes/workgroup (compile time only)
; SGPRBlocks: 4
; VGPRBlocks: 6
; NumSGPRsForWavesPerEU: 38
; NumVGPRsForWavesPerEU: 52
; Occupancy: 12
; WaveLimiterHint : 1
; COMPUTE_PGM_RSRC2:SCRATCH_EN: 0
; COMPUTE_PGM_RSRC2:USER_SGPR: 15
; COMPUTE_PGM_RSRC2:TRAP_HANDLER: 0
; COMPUTE_PGM_RSRC2:TGID_X_EN: 1
; COMPUTE_PGM_RSRC2:TGID_Y_EN: 0
; COMPUTE_PGM_RSRC2:TGID_Z_EN: 0
; COMPUTE_PGM_RSRC2:TIDIG_COMP_CNT: 0
	.section	.text._ZN7rocprim17ROCPRIM_400000_NS6detail17trampoline_kernelINS0_14default_configENS1_25partition_config_selectorILNS1_17partition_subalgoE8ElNS0_10empty_typeEbEEZZNS1_14partition_implILS5_8ELb0ES3_jPlPS6_PKS6_NS0_5tupleIJS9_S6_EEENSD_IJSA_SA_EEENS0_18inequality_wrapperIZN2at6native12_GLOBAL__N_124unique_dim_cuda_templateIsEESt5tupleIJNSH_6TensorESM_SM_EERKSM_lbbbEUlllE0_EEPmJS6_EEE10hipError_tPvRmT3_T4_T5_T6_T7_T9_mT8_P12ihipStream_tbDpT10_ENKUlT_T0_E_clISt17integral_constantIbLb0EES1C_EEDaS17_S18_EUlS17_E_NS1_11comp_targetILNS1_3genE8ELNS1_11target_archE1030ELNS1_3gpuE2ELNS1_3repE0EEENS1_30default_config_static_selectorELNS0_4arch9wavefront6targetE0EEEvT1_,"axG",@progbits,_ZN7rocprim17ROCPRIM_400000_NS6detail17trampoline_kernelINS0_14default_configENS1_25partition_config_selectorILNS1_17partition_subalgoE8ElNS0_10empty_typeEbEEZZNS1_14partition_implILS5_8ELb0ES3_jPlPS6_PKS6_NS0_5tupleIJS9_S6_EEENSD_IJSA_SA_EEENS0_18inequality_wrapperIZN2at6native12_GLOBAL__N_124unique_dim_cuda_templateIsEESt5tupleIJNSH_6TensorESM_SM_EERKSM_lbbbEUlllE0_EEPmJS6_EEE10hipError_tPvRmT3_T4_T5_T6_T7_T9_mT8_P12ihipStream_tbDpT10_ENKUlT_T0_E_clISt17integral_constantIbLb0EES1C_EEDaS17_S18_EUlS17_E_NS1_11comp_targetILNS1_3genE8ELNS1_11target_archE1030ELNS1_3gpuE2ELNS1_3repE0EEENS1_30default_config_static_selectorELNS0_4arch9wavefront6targetE0EEEvT1_,comdat
	.globl	_ZN7rocprim17ROCPRIM_400000_NS6detail17trampoline_kernelINS0_14default_configENS1_25partition_config_selectorILNS1_17partition_subalgoE8ElNS0_10empty_typeEbEEZZNS1_14partition_implILS5_8ELb0ES3_jPlPS6_PKS6_NS0_5tupleIJS9_S6_EEENSD_IJSA_SA_EEENS0_18inequality_wrapperIZN2at6native12_GLOBAL__N_124unique_dim_cuda_templateIsEESt5tupleIJNSH_6TensorESM_SM_EERKSM_lbbbEUlllE0_EEPmJS6_EEE10hipError_tPvRmT3_T4_T5_T6_T7_T9_mT8_P12ihipStream_tbDpT10_ENKUlT_T0_E_clISt17integral_constantIbLb0EES1C_EEDaS17_S18_EUlS17_E_NS1_11comp_targetILNS1_3genE8ELNS1_11target_archE1030ELNS1_3gpuE2ELNS1_3repE0EEENS1_30default_config_static_selectorELNS0_4arch9wavefront6targetE0EEEvT1_ ; -- Begin function _ZN7rocprim17ROCPRIM_400000_NS6detail17trampoline_kernelINS0_14default_configENS1_25partition_config_selectorILNS1_17partition_subalgoE8ElNS0_10empty_typeEbEEZZNS1_14partition_implILS5_8ELb0ES3_jPlPS6_PKS6_NS0_5tupleIJS9_S6_EEENSD_IJSA_SA_EEENS0_18inequality_wrapperIZN2at6native12_GLOBAL__N_124unique_dim_cuda_templateIsEESt5tupleIJNSH_6TensorESM_SM_EERKSM_lbbbEUlllE0_EEPmJS6_EEE10hipError_tPvRmT3_T4_T5_T6_T7_T9_mT8_P12ihipStream_tbDpT10_ENKUlT_T0_E_clISt17integral_constantIbLb0EES1C_EEDaS17_S18_EUlS17_E_NS1_11comp_targetILNS1_3genE8ELNS1_11target_archE1030ELNS1_3gpuE2ELNS1_3repE0EEENS1_30default_config_static_selectorELNS0_4arch9wavefront6targetE0EEEvT1_
	.p2align	8
	.type	_ZN7rocprim17ROCPRIM_400000_NS6detail17trampoline_kernelINS0_14default_configENS1_25partition_config_selectorILNS1_17partition_subalgoE8ElNS0_10empty_typeEbEEZZNS1_14partition_implILS5_8ELb0ES3_jPlPS6_PKS6_NS0_5tupleIJS9_S6_EEENSD_IJSA_SA_EEENS0_18inequality_wrapperIZN2at6native12_GLOBAL__N_124unique_dim_cuda_templateIsEESt5tupleIJNSH_6TensorESM_SM_EERKSM_lbbbEUlllE0_EEPmJS6_EEE10hipError_tPvRmT3_T4_T5_T6_T7_T9_mT8_P12ihipStream_tbDpT10_ENKUlT_T0_E_clISt17integral_constantIbLb0EES1C_EEDaS17_S18_EUlS17_E_NS1_11comp_targetILNS1_3genE8ELNS1_11target_archE1030ELNS1_3gpuE2ELNS1_3repE0EEENS1_30default_config_static_selectorELNS0_4arch9wavefront6targetE0EEEvT1_,@function
_ZN7rocprim17ROCPRIM_400000_NS6detail17trampoline_kernelINS0_14default_configENS1_25partition_config_selectorILNS1_17partition_subalgoE8ElNS0_10empty_typeEbEEZZNS1_14partition_implILS5_8ELb0ES3_jPlPS6_PKS6_NS0_5tupleIJS9_S6_EEENSD_IJSA_SA_EEENS0_18inequality_wrapperIZN2at6native12_GLOBAL__N_124unique_dim_cuda_templateIsEESt5tupleIJNSH_6TensorESM_SM_EERKSM_lbbbEUlllE0_EEPmJS6_EEE10hipError_tPvRmT3_T4_T5_T6_T7_T9_mT8_P12ihipStream_tbDpT10_ENKUlT_T0_E_clISt17integral_constantIbLb0EES1C_EEDaS17_S18_EUlS17_E_NS1_11comp_targetILNS1_3genE8ELNS1_11target_archE1030ELNS1_3gpuE2ELNS1_3repE0EEENS1_30default_config_static_selectorELNS0_4arch9wavefront6targetE0EEEvT1_: ; @_ZN7rocprim17ROCPRIM_400000_NS6detail17trampoline_kernelINS0_14default_configENS1_25partition_config_selectorILNS1_17partition_subalgoE8ElNS0_10empty_typeEbEEZZNS1_14partition_implILS5_8ELb0ES3_jPlPS6_PKS6_NS0_5tupleIJS9_S6_EEENSD_IJSA_SA_EEENS0_18inequality_wrapperIZN2at6native12_GLOBAL__N_124unique_dim_cuda_templateIsEESt5tupleIJNSH_6TensorESM_SM_EERKSM_lbbbEUlllE0_EEPmJS6_EEE10hipError_tPvRmT3_T4_T5_T6_T7_T9_mT8_P12ihipStream_tbDpT10_ENKUlT_T0_E_clISt17integral_constantIbLb0EES1C_EEDaS17_S18_EUlS17_E_NS1_11comp_targetILNS1_3genE8ELNS1_11target_archE1030ELNS1_3gpuE2ELNS1_3repE0EEENS1_30default_config_static_selectorELNS0_4arch9wavefront6targetE0EEEvT1_
; %bb.0:
	.section	.rodata,"a",@progbits
	.p2align	6, 0x0
	.amdhsa_kernel _ZN7rocprim17ROCPRIM_400000_NS6detail17trampoline_kernelINS0_14default_configENS1_25partition_config_selectorILNS1_17partition_subalgoE8ElNS0_10empty_typeEbEEZZNS1_14partition_implILS5_8ELb0ES3_jPlPS6_PKS6_NS0_5tupleIJS9_S6_EEENSD_IJSA_SA_EEENS0_18inequality_wrapperIZN2at6native12_GLOBAL__N_124unique_dim_cuda_templateIsEESt5tupleIJNSH_6TensorESM_SM_EERKSM_lbbbEUlllE0_EEPmJS6_EEE10hipError_tPvRmT3_T4_T5_T6_T7_T9_mT8_P12ihipStream_tbDpT10_ENKUlT_T0_E_clISt17integral_constantIbLb0EES1C_EEDaS17_S18_EUlS17_E_NS1_11comp_targetILNS1_3genE8ELNS1_11target_archE1030ELNS1_3gpuE2ELNS1_3repE0EEENS1_30default_config_static_selectorELNS0_4arch9wavefront6targetE0EEEvT1_
		.amdhsa_group_segment_fixed_size 0
		.amdhsa_private_segment_fixed_size 0
		.amdhsa_kernarg_size 120
		.amdhsa_user_sgpr_count 15
		.amdhsa_user_sgpr_dispatch_ptr 0
		.amdhsa_user_sgpr_queue_ptr 0
		.amdhsa_user_sgpr_kernarg_segment_ptr 1
		.amdhsa_user_sgpr_dispatch_id 0
		.amdhsa_user_sgpr_private_segment_size 0
		.amdhsa_wavefront_size32 1
		.amdhsa_uses_dynamic_stack 0
		.amdhsa_enable_private_segment 0
		.amdhsa_system_sgpr_workgroup_id_x 1
		.amdhsa_system_sgpr_workgroup_id_y 0
		.amdhsa_system_sgpr_workgroup_id_z 0
		.amdhsa_system_sgpr_workgroup_info 0
		.amdhsa_system_vgpr_workitem_id 0
		.amdhsa_next_free_vgpr 1
		.amdhsa_next_free_sgpr 1
		.amdhsa_reserve_vcc 0
		.amdhsa_float_round_mode_32 0
		.amdhsa_float_round_mode_16_64 0
		.amdhsa_float_denorm_mode_32 3
		.amdhsa_float_denorm_mode_16_64 3
		.amdhsa_dx10_clamp 1
		.amdhsa_ieee_mode 1
		.amdhsa_fp16_overflow 0
		.amdhsa_workgroup_processor_mode 1
		.amdhsa_memory_ordered 1
		.amdhsa_forward_progress 0
		.amdhsa_shared_vgpr_count 0
		.amdhsa_exception_fp_ieee_invalid_op 0
		.amdhsa_exception_fp_denorm_src 0
		.amdhsa_exception_fp_ieee_div_zero 0
		.amdhsa_exception_fp_ieee_overflow 0
		.amdhsa_exception_fp_ieee_underflow 0
		.amdhsa_exception_fp_ieee_inexact 0
		.amdhsa_exception_int_div_zero 0
	.end_amdhsa_kernel
	.section	.text._ZN7rocprim17ROCPRIM_400000_NS6detail17trampoline_kernelINS0_14default_configENS1_25partition_config_selectorILNS1_17partition_subalgoE8ElNS0_10empty_typeEbEEZZNS1_14partition_implILS5_8ELb0ES3_jPlPS6_PKS6_NS0_5tupleIJS9_S6_EEENSD_IJSA_SA_EEENS0_18inequality_wrapperIZN2at6native12_GLOBAL__N_124unique_dim_cuda_templateIsEESt5tupleIJNSH_6TensorESM_SM_EERKSM_lbbbEUlllE0_EEPmJS6_EEE10hipError_tPvRmT3_T4_T5_T6_T7_T9_mT8_P12ihipStream_tbDpT10_ENKUlT_T0_E_clISt17integral_constantIbLb0EES1C_EEDaS17_S18_EUlS17_E_NS1_11comp_targetILNS1_3genE8ELNS1_11target_archE1030ELNS1_3gpuE2ELNS1_3repE0EEENS1_30default_config_static_selectorELNS0_4arch9wavefront6targetE0EEEvT1_,"axG",@progbits,_ZN7rocprim17ROCPRIM_400000_NS6detail17trampoline_kernelINS0_14default_configENS1_25partition_config_selectorILNS1_17partition_subalgoE8ElNS0_10empty_typeEbEEZZNS1_14partition_implILS5_8ELb0ES3_jPlPS6_PKS6_NS0_5tupleIJS9_S6_EEENSD_IJSA_SA_EEENS0_18inequality_wrapperIZN2at6native12_GLOBAL__N_124unique_dim_cuda_templateIsEESt5tupleIJNSH_6TensorESM_SM_EERKSM_lbbbEUlllE0_EEPmJS6_EEE10hipError_tPvRmT3_T4_T5_T6_T7_T9_mT8_P12ihipStream_tbDpT10_ENKUlT_T0_E_clISt17integral_constantIbLb0EES1C_EEDaS17_S18_EUlS17_E_NS1_11comp_targetILNS1_3genE8ELNS1_11target_archE1030ELNS1_3gpuE2ELNS1_3repE0EEENS1_30default_config_static_selectorELNS0_4arch9wavefront6targetE0EEEvT1_,comdat
.Lfunc_end692:
	.size	_ZN7rocprim17ROCPRIM_400000_NS6detail17trampoline_kernelINS0_14default_configENS1_25partition_config_selectorILNS1_17partition_subalgoE8ElNS0_10empty_typeEbEEZZNS1_14partition_implILS5_8ELb0ES3_jPlPS6_PKS6_NS0_5tupleIJS9_S6_EEENSD_IJSA_SA_EEENS0_18inequality_wrapperIZN2at6native12_GLOBAL__N_124unique_dim_cuda_templateIsEESt5tupleIJNSH_6TensorESM_SM_EERKSM_lbbbEUlllE0_EEPmJS6_EEE10hipError_tPvRmT3_T4_T5_T6_T7_T9_mT8_P12ihipStream_tbDpT10_ENKUlT_T0_E_clISt17integral_constantIbLb0EES1C_EEDaS17_S18_EUlS17_E_NS1_11comp_targetILNS1_3genE8ELNS1_11target_archE1030ELNS1_3gpuE2ELNS1_3repE0EEENS1_30default_config_static_selectorELNS0_4arch9wavefront6targetE0EEEvT1_, .Lfunc_end692-_ZN7rocprim17ROCPRIM_400000_NS6detail17trampoline_kernelINS0_14default_configENS1_25partition_config_selectorILNS1_17partition_subalgoE8ElNS0_10empty_typeEbEEZZNS1_14partition_implILS5_8ELb0ES3_jPlPS6_PKS6_NS0_5tupleIJS9_S6_EEENSD_IJSA_SA_EEENS0_18inequality_wrapperIZN2at6native12_GLOBAL__N_124unique_dim_cuda_templateIsEESt5tupleIJNSH_6TensorESM_SM_EERKSM_lbbbEUlllE0_EEPmJS6_EEE10hipError_tPvRmT3_T4_T5_T6_T7_T9_mT8_P12ihipStream_tbDpT10_ENKUlT_T0_E_clISt17integral_constantIbLb0EES1C_EEDaS17_S18_EUlS17_E_NS1_11comp_targetILNS1_3genE8ELNS1_11target_archE1030ELNS1_3gpuE2ELNS1_3repE0EEENS1_30default_config_static_selectorELNS0_4arch9wavefront6targetE0EEEvT1_
                                        ; -- End function
	.section	.AMDGPU.csdata,"",@progbits
; Kernel info:
; codeLenInByte = 0
; NumSgprs: 0
; NumVgprs: 0
; ScratchSize: 0
; MemoryBound: 0
; FloatMode: 240
; IeeeMode: 1
; LDSByteSize: 0 bytes/workgroup (compile time only)
; SGPRBlocks: 0
; VGPRBlocks: 0
; NumSGPRsForWavesPerEU: 1
; NumVGPRsForWavesPerEU: 1
; Occupancy: 16
; WaveLimiterHint : 0
; COMPUTE_PGM_RSRC2:SCRATCH_EN: 0
; COMPUTE_PGM_RSRC2:USER_SGPR: 15
; COMPUTE_PGM_RSRC2:TRAP_HANDLER: 0
; COMPUTE_PGM_RSRC2:TGID_X_EN: 1
; COMPUTE_PGM_RSRC2:TGID_Y_EN: 0
; COMPUTE_PGM_RSRC2:TGID_Z_EN: 0
; COMPUTE_PGM_RSRC2:TIDIG_COMP_CNT: 0
	.section	.text._ZN7rocprim17ROCPRIM_400000_NS6detail17trampoline_kernelINS0_14default_configENS1_25partition_config_selectorILNS1_17partition_subalgoE8ElNS0_10empty_typeEbEEZZNS1_14partition_implILS5_8ELb0ES3_jPlPS6_PKS6_NS0_5tupleIJS9_S6_EEENSD_IJSA_SA_EEENS0_18inequality_wrapperIZN2at6native12_GLOBAL__N_124unique_dim_cuda_templateIsEESt5tupleIJNSH_6TensorESM_SM_EERKSM_lbbbEUlllE0_EEPmJS6_EEE10hipError_tPvRmT3_T4_T5_T6_T7_T9_mT8_P12ihipStream_tbDpT10_ENKUlT_T0_E_clISt17integral_constantIbLb1EES1C_EEDaS17_S18_EUlS17_E_NS1_11comp_targetILNS1_3genE0ELNS1_11target_archE4294967295ELNS1_3gpuE0ELNS1_3repE0EEENS1_30default_config_static_selectorELNS0_4arch9wavefront6targetE0EEEvT1_,"axG",@progbits,_ZN7rocprim17ROCPRIM_400000_NS6detail17trampoline_kernelINS0_14default_configENS1_25partition_config_selectorILNS1_17partition_subalgoE8ElNS0_10empty_typeEbEEZZNS1_14partition_implILS5_8ELb0ES3_jPlPS6_PKS6_NS0_5tupleIJS9_S6_EEENSD_IJSA_SA_EEENS0_18inequality_wrapperIZN2at6native12_GLOBAL__N_124unique_dim_cuda_templateIsEESt5tupleIJNSH_6TensorESM_SM_EERKSM_lbbbEUlllE0_EEPmJS6_EEE10hipError_tPvRmT3_T4_T5_T6_T7_T9_mT8_P12ihipStream_tbDpT10_ENKUlT_T0_E_clISt17integral_constantIbLb1EES1C_EEDaS17_S18_EUlS17_E_NS1_11comp_targetILNS1_3genE0ELNS1_11target_archE4294967295ELNS1_3gpuE0ELNS1_3repE0EEENS1_30default_config_static_selectorELNS0_4arch9wavefront6targetE0EEEvT1_,comdat
	.globl	_ZN7rocprim17ROCPRIM_400000_NS6detail17trampoline_kernelINS0_14default_configENS1_25partition_config_selectorILNS1_17partition_subalgoE8ElNS0_10empty_typeEbEEZZNS1_14partition_implILS5_8ELb0ES3_jPlPS6_PKS6_NS0_5tupleIJS9_S6_EEENSD_IJSA_SA_EEENS0_18inequality_wrapperIZN2at6native12_GLOBAL__N_124unique_dim_cuda_templateIsEESt5tupleIJNSH_6TensorESM_SM_EERKSM_lbbbEUlllE0_EEPmJS6_EEE10hipError_tPvRmT3_T4_T5_T6_T7_T9_mT8_P12ihipStream_tbDpT10_ENKUlT_T0_E_clISt17integral_constantIbLb1EES1C_EEDaS17_S18_EUlS17_E_NS1_11comp_targetILNS1_3genE0ELNS1_11target_archE4294967295ELNS1_3gpuE0ELNS1_3repE0EEENS1_30default_config_static_selectorELNS0_4arch9wavefront6targetE0EEEvT1_ ; -- Begin function _ZN7rocprim17ROCPRIM_400000_NS6detail17trampoline_kernelINS0_14default_configENS1_25partition_config_selectorILNS1_17partition_subalgoE8ElNS0_10empty_typeEbEEZZNS1_14partition_implILS5_8ELb0ES3_jPlPS6_PKS6_NS0_5tupleIJS9_S6_EEENSD_IJSA_SA_EEENS0_18inequality_wrapperIZN2at6native12_GLOBAL__N_124unique_dim_cuda_templateIsEESt5tupleIJNSH_6TensorESM_SM_EERKSM_lbbbEUlllE0_EEPmJS6_EEE10hipError_tPvRmT3_T4_T5_T6_T7_T9_mT8_P12ihipStream_tbDpT10_ENKUlT_T0_E_clISt17integral_constantIbLb1EES1C_EEDaS17_S18_EUlS17_E_NS1_11comp_targetILNS1_3genE0ELNS1_11target_archE4294967295ELNS1_3gpuE0ELNS1_3repE0EEENS1_30default_config_static_selectorELNS0_4arch9wavefront6targetE0EEEvT1_
	.p2align	8
	.type	_ZN7rocprim17ROCPRIM_400000_NS6detail17trampoline_kernelINS0_14default_configENS1_25partition_config_selectorILNS1_17partition_subalgoE8ElNS0_10empty_typeEbEEZZNS1_14partition_implILS5_8ELb0ES3_jPlPS6_PKS6_NS0_5tupleIJS9_S6_EEENSD_IJSA_SA_EEENS0_18inequality_wrapperIZN2at6native12_GLOBAL__N_124unique_dim_cuda_templateIsEESt5tupleIJNSH_6TensorESM_SM_EERKSM_lbbbEUlllE0_EEPmJS6_EEE10hipError_tPvRmT3_T4_T5_T6_T7_T9_mT8_P12ihipStream_tbDpT10_ENKUlT_T0_E_clISt17integral_constantIbLb1EES1C_EEDaS17_S18_EUlS17_E_NS1_11comp_targetILNS1_3genE0ELNS1_11target_archE4294967295ELNS1_3gpuE0ELNS1_3repE0EEENS1_30default_config_static_selectorELNS0_4arch9wavefront6targetE0EEEvT1_,@function
_ZN7rocprim17ROCPRIM_400000_NS6detail17trampoline_kernelINS0_14default_configENS1_25partition_config_selectorILNS1_17partition_subalgoE8ElNS0_10empty_typeEbEEZZNS1_14partition_implILS5_8ELb0ES3_jPlPS6_PKS6_NS0_5tupleIJS9_S6_EEENSD_IJSA_SA_EEENS0_18inequality_wrapperIZN2at6native12_GLOBAL__N_124unique_dim_cuda_templateIsEESt5tupleIJNSH_6TensorESM_SM_EERKSM_lbbbEUlllE0_EEPmJS6_EEE10hipError_tPvRmT3_T4_T5_T6_T7_T9_mT8_P12ihipStream_tbDpT10_ENKUlT_T0_E_clISt17integral_constantIbLb1EES1C_EEDaS17_S18_EUlS17_E_NS1_11comp_targetILNS1_3genE0ELNS1_11target_archE4294967295ELNS1_3gpuE0ELNS1_3repE0EEENS1_30default_config_static_selectorELNS0_4arch9wavefront6targetE0EEEvT1_: ; @_ZN7rocprim17ROCPRIM_400000_NS6detail17trampoline_kernelINS0_14default_configENS1_25partition_config_selectorILNS1_17partition_subalgoE8ElNS0_10empty_typeEbEEZZNS1_14partition_implILS5_8ELb0ES3_jPlPS6_PKS6_NS0_5tupleIJS9_S6_EEENSD_IJSA_SA_EEENS0_18inequality_wrapperIZN2at6native12_GLOBAL__N_124unique_dim_cuda_templateIsEESt5tupleIJNSH_6TensorESM_SM_EERKSM_lbbbEUlllE0_EEPmJS6_EEE10hipError_tPvRmT3_T4_T5_T6_T7_T9_mT8_P12ihipStream_tbDpT10_ENKUlT_T0_E_clISt17integral_constantIbLb1EES1C_EEDaS17_S18_EUlS17_E_NS1_11comp_targetILNS1_3genE0ELNS1_11target_archE4294967295ELNS1_3gpuE0ELNS1_3repE0EEENS1_30default_config_static_selectorELNS0_4arch9wavefront6targetE0EEEvT1_
; %bb.0:
	.section	.rodata,"a",@progbits
	.p2align	6, 0x0
	.amdhsa_kernel _ZN7rocprim17ROCPRIM_400000_NS6detail17trampoline_kernelINS0_14default_configENS1_25partition_config_selectorILNS1_17partition_subalgoE8ElNS0_10empty_typeEbEEZZNS1_14partition_implILS5_8ELb0ES3_jPlPS6_PKS6_NS0_5tupleIJS9_S6_EEENSD_IJSA_SA_EEENS0_18inequality_wrapperIZN2at6native12_GLOBAL__N_124unique_dim_cuda_templateIsEESt5tupleIJNSH_6TensorESM_SM_EERKSM_lbbbEUlllE0_EEPmJS6_EEE10hipError_tPvRmT3_T4_T5_T6_T7_T9_mT8_P12ihipStream_tbDpT10_ENKUlT_T0_E_clISt17integral_constantIbLb1EES1C_EEDaS17_S18_EUlS17_E_NS1_11comp_targetILNS1_3genE0ELNS1_11target_archE4294967295ELNS1_3gpuE0ELNS1_3repE0EEENS1_30default_config_static_selectorELNS0_4arch9wavefront6targetE0EEEvT1_
		.amdhsa_group_segment_fixed_size 0
		.amdhsa_private_segment_fixed_size 0
		.amdhsa_kernarg_size 136
		.amdhsa_user_sgpr_count 15
		.amdhsa_user_sgpr_dispatch_ptr 0
		.amdhsa_user_sgpr_queue_ptr 0
		.amdhsa_user_sgpr_kernarg_segment_ptr 1
		.amdhsa_user_sgpr_dispatch_id 0
		.amdhsa_user_sgpr_private_segment_size 0
		.amdhsa_wavefront_size32 1
		.amdhsa_uses_dynamic_stack 0
		.amdhsa_enable_private_segment 0
		.amdhsa_system_sgpr_workgroup_id_x 1
		.amdhsa_system_sgpr_workgroup_id_y 0
		.amdhsa_system_sgpr_workgroup_id_z 0
		.amdhsa_system_sgpr_workgroup_info 0
		.amdhsa_system_vgpr_workitem_id 0
		.amdhsa_next_free_vgpr 1
		.amdhsa_next_free_sgpr 1
		.amdhsa_reserve_vcc 0
		.amdhsa_float_round_mode_32 0
		.amdhsa_float_round_mode_16_64 0
		.amdhsa_float_denorm_mode_32 3
		.amdhsa_float_denorm_mode_16_64 3
		.amdhsa_dx10_clamp 1
		.amdhsa_ieee_mode 1
		.amdhsa_fp16_overflow 0
		.amdhsa_workgroup_processor_mode 1
		.amdhsa_memory_ordered 1
		.amdhsa_forward_progress 0
		.amdhsa_shared_vgpr_count 0
		.amdhsa_exception_fp_ieee_invalid_op 0
		.amdhsa_exception_fp_denorm_src 0
		.amdhsa_exception_fp_ieee_div_zero 0
		.amdhsa_exception_fp_ieee_overflow 0
		.amdhsa_exception_fp_ieee_underflow 0
		.amdhsa_exception_fp_ieee_inexact 0
		.amdhsa_exception_int_div_zero 0
	.end_amdhsa_kernel
	.section	.text._ZN7rocprim17ROCPRIM_400000_NS6detail17trampoline_kernelINS0_14default_configENS1_25partition_config_selectorILNS1_17partition_subalgoE8ElNS0_10empty_typeEbEEZZNS1_14partition_implILS5_8ELb0ES3_jPlPS6_PKS6_NS0_5tupleIJS9_S6_EEENSD_IJSA_SA_EEENS0_18inequality_wrapperIZN2at6native12_GLOBAL__N_124unique_dim_cuda_templateIsEESt5tupleIJNSH_6TensorESM_SM_EERKSM_lbbbEUlllE0_EEPmJS6_EEE10hipError_tPvRmT3_T4_T5_T6_T7_T9_mT8_P12ihipStream_tbDpT10_ENKUlT_T0_E_clISt17integral_constantIbLb1EES1C_EEDaS17_S18_EUlS17_E_NS1_11comp_targetILNS1_3genE0ELNS1_11target_archE4294967295ELNS1_3gpuE0ELNS1_3repE0EEENS1_30default_config_static_selectorELNS0_4arch9wavefront6targetE0EEEvT1_,"axG",@progbits,_ZN7rocprim17ROCPRIM_400000_NS6detail17trampoline_kernelINS0_14default_configENS1_25partition_config_selectorILNS1_17partition_subalgoE8ElNS0_10empty_typeEbEEZZNS1_14partition_implILS5_8ELb0ES3_jPlPS6_PKS6_NS0_5tupleIJS9_S6_EEENSD_IJSA_SA_EEENS0_18inequality_wrapperIZN2at6native12_GLOBAL__N_124unique_dim_cuda_templateIsEESt5tupleIJNSH_6TensorESM_SM_EERKSM_lbbbEUlllE0_EEPmJS6_EEE10hipError_tPvRmT3_T4_T5_T6_T7_T9_mT8_P12ihipStream_tbDpT10_ENKUlT_T0_E_clISt17integral_constantIbLb1EES1C_EEDaS17_S18_EUlS17_E_NS1_11comp_targetILNS1_3genE0ELNS1_11target_archE4294967295ELNS1_3gpuE0ELNS1_3repE0EEENS1_30default_config_static_selectorELNS0_4arch9wavefront6targetE0EEEvT1_,comdat
.Lfunc_end693:
	.size	_ZN7rocprim17ROCPRIM_400000_NS6detail17trampoline_kernelINS0_14default_configENS1_25partition_config_selectorILNS1_17partition_subalgoE8ElNS0_10empty_typeEbEEZZNS1_14partition_implILS5_8ELb0ES3_jPlPS6_PKS6_NS0_5tupleIJS9_S6_EEENSD_IJSA_SA_EEENS0_18inequality_wrapperIZN2at6native12_GLOBAL__N_124unique_dim_cuda_templateIsEESt5tupleIJNSH_6TensorESM_SM_EERKSM_lbbbEUlllE0_EEPmJS6_EEE10hipError_tPvRmT3_T4_T5_T6_T7_T9_mT8_P12ihipStream_tbDpT10_ENKUlT_T0_E_clISt17integral_constantIbLb1EES1C_EEDaS17_S18_EUlS17_E_NS1_11comp_targetILNS1_3genE0ELNS1_11target_archE4294967295ELNS1_3gpuE0ELNS1_3repE0EEENS1_30default_config_static_selectorELNS0_4arch9wavefront6targetE0EEEvT1_, .Lfunc_end693-_ZN7rocprim17ROCPRIM_400000_NS6detail17trampoline_kernelINS0_14default_configENS1_25partition_config_selectorILNS1_17partition_subalgoE8ElNS0_10empty_typeEbEEZZNS1_14partition_implILS5_8ELb0ES3_jPlPS6_PKS6_NS0_5tupleIJS9_S6_EEENSD_IJSA_SA_EEENS0_18inequality_wrapperIZN2at6native12_GLOBAL__N_124unique_dim_cuda_templateIsEESt5tupleIJNSH_6TensorESM_SM_EERKSM_lbbbEUlllE0_EEPmJS6_EEE10hipError_tPvRmT3_T4_T5_T6_T7_T9_mT8_P12ihipStream_tbDpT10_ENKUlT_T0_E_clISt17integral_constantIbLb1EES1C_EEDaS17_S18_EUlS17_E_NS1_11comp_targetILNS1_3genE0ELNS1_11target_archE4294967295ELNS1_3gpuE0ELNS1_3repE0EEENS1_30default_config_static_selectorELNS0_4arch9wavefront6targetE0EEEvT1_
                                        ; -- End function
	.section	.AMDGPU.csdata,"",@progbits
; Kernel info:
; codeLenInByte = 0
; NumSgprs: 0
; NumVgprs: 0
; ScratchSize: 0
; MemoryBound: 0
; FloatMode: 240
; IeeeMode: 1
; LDSByteSize: 0 bytes/workgroup (compile time only)
; SGPRBlocks: 0
; VGPRBlocks: 0
; NumSGPRsForWavesPerEU: 1
; NumVGPRsForWavesPerEU: 1
; Occupancy: 16
; WaveLimiterHint : 0
; COMPUTE_PGM_RSRC2:SCRATCH_EN: 0
; COMPUTE_PGM_RSRC2:USER_SGPR: 15
; COMPUTE_PGM_RSRC2:TRAP_HANDLER: 0
; COMPUTE_PGM_RSRC2:TGID_X_EN: 1
; COMPUTE_PGM_RSRC2:TGID_Y_EN: 0
; COMPUTE_PGM_RSRC2:TGID_Z_EN: 0
; COMPUTE_PGM_RSRC2:TIDIG_COMP_CNT: 0
	.section	.text._ZN7rocprim17ROCPRIM_400000_NS6detail17trampoline_kernelINS0_14default_configENS1_25partition_config_selectorILNS1_17partition_subalgoE8ElNS0_10empty_typeEbEEZZNS1_14partition_implILS5_8ELb0ES3_jPlPS6_PKS6_NS0_5tupleIJS9_S6_EEENSD_IJSA_SA_EEENS0_18inequality_wrapperIZN2at6native12_GLOBAL__N_124unique_dim_cuda_templateIsEESt5tupleIJNSH_6TensorESM_SM_EERKSM_lbbbEUlllE0_EEPmJS6_EEE10hipError_tPvRmT3_T4_T5_T6_T7_T9_mT8_P12ihipStream_tbDpT10_ENKUlT_T0_E_clISt17integral_constantIbLb1EES1C_EEDaS17_S18_EUlS17_E_NS1_11comp_targetILNS1_3genE5ELNS1_11target_archE942ELNS1_3gpuE9ELNS1_3repE0EEENS1_30default_config_static_selectorELNS0_4arch9wavefront6targetE0EEEvT1_,"axG",@progbits,_ZN7rocprim17ROCPRIM_400000_NS6detail17trampoline_kernelINS0_14default_configENS1_25partition_config_selectorILNS1_17partition_subalgoE8ElNS0_10empty_typeEbEEZZNS1_14partition_implILS5_8ELb0ES3_jPlPS6_PKS6_NS0_5tupleIJS9_S6_EEENSD_IJSA_SA_EEENS0_18inequality_wrapperIZN2at6native12_GLOBAL__N_124unique_dim_cuda_templateIsEESt5tupleIJNSH_6TensorESM_SM_EERKSM_lbbbEUlllE0_EEPmJS6_EEE10hipError_tPvRmT3_T4_T5_T6_T7_T9_mT8_P12ihipStream_tbDpT10_ENKUlT_T0_E_clISt17integral_constantIbLb1EES1C_EEDaS17_S18_EUlS17_E_NS1_11comp_targetILNS1_3genE5ELNS1_11target_archE942ELNS1_3gpuE9ELNS1_3repE0EEENS1_30default_config_static_selectorELNS0_4arch9wavefront6targetE0EEEvT1_,comdat
	.globl	_ZN7rocprim17ROCPRIM_400000_NS6detail17trampoline_kernelINS0_14default_configENS1_25partition_config_selectorILNS1_17partition_subalgoE8ElNS0_10empty_typeEbEEZZNS1_14partition_implILS5_8ELb0ES3_jPlPS6_PKS6_NS0_5tupleIJS9_S6_EEENSD_IJSA_SA_EEENS0_18inequality_wrapperIZN2at6native12_GLOBAL__N_124unique_dim_cuda_templateIsEESt5tupleIJNSH_6TensorESM_SM_EERKSM_lbbbEUlllE0_EEPmJS6_EEE10hipError_tPvRmT3_T4_T5_T6_T7_T9_mT8_P12ihipStream_tbDpT10_ENKUlT_T0_E_clISt17integral_constantIbLb1EES1C_EEDaS17_S18_EUlS17_E_NS1_11comp_targetILNS1_3genE5ELNS1_11target_archE942ELNS1_3gpuE9ELNS1_3repE0EEENS1_30default_config_static_selectorELNS0_4arch9wavefront6targetE0EEEvT1_ ; -- Begin function _ZN7rocprim17ROCPRIM_400000_NS6detail17trampoline_kernelINS0_14default_configENS1_25partition_config_selectorILNS1_17partition_subalgoE8ElNS0_10empty_typeEbEEZZNS1_14partition_implILS5_8ELb0ES3_jPlPS6_PKS6_NS0_5tupleIJS9_S6_EEENSD_IJSA_SA_EEENS0_18inequality_wrapperIZN2at6native12_GLOBAL__N_124unique_dim_cuda_templateIsEESt5tupleIJNSH_6TensorESM_SM_EERKSM_lbbbEUlllE0_EEPmJS6_EEE10hipError_tPvRmT3_T4_T5_T6_T7_T9_mT8_P12ihipStream_tbDpT10_ENKUlT_T0_E_clISt17integral_constantIbLb1EES1C_EEDaS17_S18_EUlS17_E_NS1_11comp_targetILNS1_3genE5ELNS1_11target_archE942ELNS1_3gpuE9ELNS1_3repE0EEENS1_30default_config_static_selectorELNS0_4arch9wavefront6targetE0EEEvT1_
	.p2align	8
	.type	_ZN7rocprim17ROCPRIM_400000_NS6detail17trampoline_kernelINS0_14default_configENS1_25partition_config_selectorILNS1_17partition_subalgoE8ElNS0_10empty_typeEbEEZZNS1_14partition_implILS5_8ELb0ES3_jPlPS6_PKS6_NS0_5tupleIJS9_S6_EEENSD_IJSA_SA_EEENS0_18inequality_wrapperIZN2at6native12_GLOBAL__N_124unique_dim_cuda_templateIsEESt5tupleIJNSH_6TensorESM_SM_EERKSM_lbbbEUlllE0_EEPmJS6_EEE10hipError_tPvRmT3_T4_T5_T6_T7_T9_mT8_P12ihipStream_tbDpT10_ENKUlT_T0_E_clISt17integral_constantIbLb1EES1C_EEDaS17_S18_EUlS17_E_NS1_11comp_targetILNS1_3genE5ELNS1_11target_archE942ELNS1_3gpuE9ELNS1_3repE0EEENS1_30default_config_static_selectorELNS0_4arch9wavefront6targetE0EEEvT1_,@function
_ZN7rocprim17ROCPRIM_400000_NS6detail17trampoline_kernelINS0_14default_configENS1_25partition_config_selectorILNS1_17partition_subalgoE8ElNS0_10empty_typeEbEEZZNS1_14partition_implILS5_8ELb0ES3_jPlPS6_PKS6_NS0_5tupleIJS9_S6_EEENSD_IJSA_SA_EEENS0_18inequality_wrapperIZN2at6native12_GLOBAL__N_124unique_dim_cuda_templateIsEESt5tupleIJNSH_6TensorESM_SM_EERKSM_lbbbEUlllE0_EEPmJS6_EEE10hipError_tPvRmT3_T4_T5_T6_T7_T9_mT8_P12ihipStream_tbDpT10_ENKUlT_T0_E_clISt17integral_constantIbLb1EES1C_EEDaS17_S18_EUlS17_E_NS1_11comp_targetILNS1_3genE5ELNS1_11target_archE942ELNS1_3gpuE9ELNS1_3repE0EEENS1_30default_config_static_selectorELNS0_4arch9wavefront6targetE0EEEvT1_: ; @_ZN7rocprim17ROCPRIM_400000_NS6detail17trampoline_kernelINS0_14default_configENS1_25partition_config_selectorILNS1_17partition_subalgoE8ElNS0_10empty_typeEbEEZZNS1_14partition_implILS5_8ELb0ES3_jPlPS6_PKS6_NS0_5tupleIJS9_S6_EEENSD_IJSA_SA_EEENS0_18inequality_wrapperIZN2at6native12_GLOBAL__N_124unique_dim_cuda_templateIsEESt5tupleIJNSH_6TensorESM_SM_EERKSM_lbbbEUlllE0_EEPmJS6_EEE10hipError_tPvRmT3_T4_T5_T6_T7_T9_mT8_P12ihipStream_tbDpT10_ENKUlT_T0_E_clISt17integral_constantIbLb1EES1C_EEDaS17_S18_EUlS17_E_NS1_11comp_targetILNS1_3genE5ELNS1_11target_archE942ELNS1_3gpuE9ELNS1_3repE0EEENS1_30default_config_static_selectorELNS0_4arch9wavefront6targetE0EEEvT1_
; %bb.0:
	.section	.rodata,"a",@progbits
	.p2align	6, 0x0
	.amdhsa_kernel _ZN7rocprim17ROCPRIM_400000_NS6detail17trampoline_kernelINS0_14default_configENS1_25partition_config_selectorILNS1_17partition_subalgoE8ElNS0_10empty_typeEbEEZZNS1_14partition_implILS5_8ELb0ES3_jPlPS6_PKS6_NS0_5tupleIJS9_S6_EEENSD_IJSA_SA_EEENS0_18inequality_wrapperIZN2at6native12_GLOBAL__N_124unique_dim_cuda_templateIsEESt5tupleIJNSH_6TensorESM_SM_EERKSM_lbbbEUlllE0_EEPmJS6_EEE10hipError_tPvRmT3_T4_T5_T6_T7_T9_mT8_P12ihipStream_tbDpT10_ENKUlT_T0_E_clISt17integral_constantIbLb1EES1C_EEDaS17_S18_EUlS17_E_NS1_11comp_targetILNS1_3genE5ELNS1_11target_archE942ELNS1_3gpuE9ELNS1_3repE0EEENS1_30default_config_static_selectorELNS0_4arch9wavefront6targetE0EEEvT1_
		.amdhsa_group_segment_fixed_size 0
		.amdhsa_private_segment_fixed_size 0
		.amdhsa_kernarg_size 136
		.amdhsa_user_sgpr_count 15
		.amdhsa_user_sgpr_dispatch_ptr 0
		.amdhsa_user_sgpr_queue_ptr 0
		.amdhsa_user_sgpr_kernarg_segment_ptr 1
		.amdhsa_user_sgpr_dispatch_id 0
		.amdhsa_user_sgpr_private_segment_size 0
		.amdhsa_wavefront_size32 1
		.amdhsa_uses_dynamic_stack 0
		.amdhsa_enable_private_segment 0
		.amdhsa_system_sgpr_workgroup_id_x 1
		.amdhsa_system_sgpr_workgroup_id_y 0
		.amdhsa_system_sgpr_workgroup_id_z 0
		.amdhsa_system_sgpr_workgroup_info 0
		.amdhsa_system_vgpr_workitem_id 0
		.amdhsa_next_free_vgpr 1
		.amdhsa_next_free_sgpr 1
		.amdhsa_reserve_vcc 0
		.amdhsa_float_round_mode_32 0
		.amdhsa_float_round_mode_16_64 0
		.amdhsa_float_denorm_mode_32 3
		.amdhsa_float_denorm_mode_16_64 3
		.amdhsa_dx10_clamp 1
		.amdhsa_ieee_mode 1
		.amdhsa_fp16_overflow 0
		.amdhsa_workgroup_processor_mode 1
		.amdhsa_memory_ordered 1
		.amdhsa_forward_progress 0
		.amdhsa_shared_vgpr_count 0
		.amdhsa_exception_fp_ieee_invalid_op 0
		.amdhsa_exception_fp_denorm_src 0
		.amdhsa_exception_fp_ieee_div_zero 0
		.amdhsa_exception_fp_ieee_overflow 0
		.amdhsa_exception_fp_ieee_underflow 0
		.amdhsa_exception_fp_ieee_inexact 0
		.amdhsa_exception_int_div_zero 0
	.end_amdhsa_kernel
	.section	.text._ZN7rocprim17ROCPRIM_400000_NS6detail17trampoline_kernelINS0_14default_configENS1_25partition_config_selectorILNS1_17partition_subalgoE8ElNS0_10empty_typeEbEEZZNS1_14partition_implILS5_8ELb0ES3_jPlPS6_PKS6_NS0_5tupleIJS9_S6_EEENSD_IJSA_SA_EEENS0_18inequality_wrapperIZN2at6native12_GLOBAL__N_124unique_dim_cuda_templateIsEESt5tupleIJNSH_6TensorESM_SM_EERKSM_lbbbEUlllE0_EEPmJS6_EEE10hipError_tPvRmT3_T4_T5_T6_T7_T9_mT8_P12ihipStream_tbDpT10_ENKUlT_T0_E_clISt17integral_constantIbLb1EES1C_EEDaS17_S18_EUlS17_E_NS1_11comp_targetILNS1_3genE5ELNS1_11target_archE942ELNS1_3gpuE9ELNS1_3repE0EEENS1_30default_config_static_selectorELNS0_4arch9wavefront6targetE0EEEvT1_,"axG",@progbits,_ZN7rocprim17ROCPRIM_400000_NS6detail17trampoline_kernelINS0_14default_configENS1_25partition_config_selectorILNS1_17partition_subalgoE8ElNS0_10empty_typeEbEEZZNS1_14partition_implILS5_8ELb0ES3_jPlPS6_PKS6_NS0_5tupleIJS9_S6_EEENSD_IJSA_SA_EEENS0_18inequality_wrapperIZN2at6native12_GLOBAL__N_124unique_dim_cuda_templateIsEESt5tupleIJNSH_6TensorESM_SM_EERKSM_lbbbEUlllE0_EEPmJS6_EEE10hipError_tPvRmT3_T4_T5_T6_T7_T9_mT8_P12ihipStream_tbDpT10_ENKUlT_T0_E_clISt17integral_constantIbLb1EES1C_EEDaS17_S18_EUlS17_E_NS1_11comp_targetILNS1_3genE5ELNS1_11target_archE942ELNS1_3gpuE9ELNS1_3repE0EEENS1_30default_config_static_selectorELNS0_4arch9wavefront6targetE0EEEvT1_,comdat
.Lfunc_end694:
	.size	_ZN7rocprim17ROCPRIM_400000_NS6detail17trampoline_kernelINS0_14default_configENS1_25partition_config_selectorILNS1_17partition_subalgoE8ElNS0_10empty_typeEbEEZZNS1_14partition_implILS5_8ELb0ES3_jPlPS6_PKS6_NS0_5tupleIJS9_S6_EEENSD_IJSA_SA_EEENS0_18inequality_wrapperIZN2at6native12_GLOBAL__N_124unique_dim_cuda_templateIsEESt5tupleIJNSH_6TensorESM_SM_EERKSM_lbbbEUlllE0_EEPmJS6_EEE10hipError_tPvRmT3_T4_T5_T6_T7_T9_mT8_P12ihipStream_tbDpT10_ENKUlT_T0_E_clISt17integral_constantIbLb1EES1C_EEDaS17_S18_EUlS17_E_NS1_11comp_targetILNS1_3genE5ELNS1_11target_archE942ELNS1_3gpuE9ELNS1_3repE0EEENS1_30default_config_static_selectorELNS0_4arch9wavefront6targetE0EEEvT1_, .Lfunc_end694-_ZN7rocprim17ROCPRIM_400000_NS6detail17trampoline_kernelINS0_14default_configENS1_25partition_config_selectorILNS1_17partition_subalgoE8ElNS0_10empty_typeEbEEZZNS1_14partition_implILS5_8ELb0ES3_jPlPS6_PKS6_NS0_5tupleIJS9_S6_EEENSD_IJSA_SA_EEENS0_18inequality_wrapperIZN2at6native12_GLOBAL__N_124unique_dim_cuda_templateIsEESt5tupleIJNSH_6TensorESM_SM_EERKSM_lbbbEUlllE0_EEPmJS6_EEE10hipError_tPvRmT3_T4_T5_T6_T7_T9_mT8_P12ihipStream_tbDpT10_ENKUlT_T0_E_clISt17integral_constantIbLb1EES1C_EEDaS17_S18_EUlS17_E_NS1_11comp_targetILNS1_3genE5ELNS1_11target_archE942ELNS1_3gpuE9ELNS1_3repE0EEENS1_30default_config_static_selectorELNS0_4arch9wavefront6targetE0EEEvT1_
                                        ; -- End function
	.section	.AMDGPU.csdata,"",@progbits
; Kernel info:
; codeLenInByte = 0
; NumSgprs: 0
; NumVgprs: 0
; ScratchSize: 0
; MemoryBound: 0
; FloatMode: 240
; IeeeMode: 1
; LDSByteSize: 0 bytes/workgroup (compile time only)
; SGPRBlocks: 0
; VGPRBlocks: 0
; NumSGPRsForWavesPerEU: 1
; NumVGPRsForWavesPerEU: 1
; Occupancy: 16
; WaveLimiterHint : 0
; COMPUTE_PGM_RSRC2:SCRATCH_EN: 0
; COMPUTE_PGM_RSRC2:USER_SGPR: 15
; COMPUTE_PGM_RSRC2:TRAP_HANDLER: 0
; COMPUTE_PGM_RSRC2:TGID_X_EN: 1
; COMPUTE_PGM_RSRC2:TGID_Y_EN: 0
; COMPUTE_PGM_RSRC2:TGID_Z_EN: 0
; COMPUTE_PGM_RSRC2:TIDIG_COMP_CNT: 0
	.section	.text._ZN7rocprim17ROCPRIM_400000_NS6detail17trampoline_kernelINS0_14default_configENS1_25partition_config_selectorILNS1_17partition_subalgoE8ElNS0_10empty_typeEbEEZZNS1_14partition_implILS5_8ELb0ES3_jPlPS6_PKS6_NS0_5tupleIJS9_S6_EEENSD_IJSA_SA_EEENS0_18inequality_wrapperIZN2at6native12_GLOBAL__N_124unique_dim_cuda_templateIsEESt5tupleIJNSH_6TensorESM_SM_EERKSM_lbbbEUlllE0_EEPmJS6_EEE10hipError_tPvRmT3_T4_T5_T6_T7_T9_mT8_P12ihipStream_tbDpT10_ENKUlT_T0_E_clISt17integral_constantIbLb1EES1C_EEDaS17_S18_EUlS17_E_NS1_11comp_targetILNS1_3genE4ELNS1_11target_archE910ELNS1_3gpuE8ELNS1_3repE0EEENS1_30default_config_static_selectorELNS0_4arch9wavefront6targetE0EEEvT1_,"axG",@progbits,_ZN7rocprim17ROCPRIM_400000_NS6detail17trampoline_kernelINS0_14default_configENS1_25partition_config_selectorILNS1_17partition_subalgoE8ElNS0_10empty_typeEbEEZZNS1_14partition_implILS5_8ELb0ES3_jPlPS6_PKS6_NS0_5tupleIJS9_S6_EEENSD_IJSA_SA_EEENS0_18inequality_wrapperIZN2at6native12_GLOBAL__N_124unique_dim_cuda_templateIsEESt5tupleIJNSH_6TensorESM_SM_EERKSM_lbbbEUlllE0_EEPmJS6_EEE10hipError_tPvRmT3_T4_T5_T6_T7_T9_mT8_P12ihipStream_tbDpT10_ENKUlT_T0_E_clISt17integral_constantIbLb1EES1C_EEDaS17_S18_EUlS17_E_NS1_11comp_targetILNS1_3genE4ELNS1_11target_archE910ELNS1_3gpuE8ELNS1_3repE0EEENS1_30default_config_static_selectorELNS0_4arch9wavefront6targetE0EEEvT1_,comdat
	.globl	_ZN7rocprim17ROCPRIM_400000_NS6detail17trampoline_kernelINS0_14default_configENS1_25partition_config_selectorILNS1_17partition_subalgoE8ElNS0_10empty_typeEbEEZZNS1_14partition_implILS5_8ELb0ES3_jPlPS6_PKS6_NS0_5tupleIJS9_S6_EEENSD_IJSA_SA_EEENS0_18inequality_wrapperIZN2at6native12_GLOBAL__N_124unique_dim_cuda_templateIsEESt5tupleIJNSH_6TensorESM_SM_EERKSM_lbbbEUlllE0_EEPmJS6_EEE10hipError_tPvRmT3_T4_T5_T6_T7_T9_mT8_P12ihipStream_tbDpT10_ENKUlT_T0_E_clISt17integral_constantIbLb1EES1C_EEDaS17_S18_EUlS17_E_NS1_11comp_targetILNS1_3genE4ELNS1_11target_archE910ELNS1_3gpuE8ELNS1_3repE0EEENS1_30default_config_static_selectorELNS0_4arch9wavefront6targetE0EEEvT1_ ; -- Begin function _ZN7rocprim17ROCPRIM_400000_NS6detail17trampoline_kernelINS0_14default_configENS1_25partition_config_selectorILNS1_17partition_subalgoE8ElNS0_10empty_typeEbEEZZNS1_14partition_implILS5_8ELb0ES3_jPlPS6_PKS6_NS0_5tupleIJS9_S6_EEENSD_IJSA_SA_EEENS0_18inequality_wrapperIZN2at6native12_GLOBAL__N_124unique_dim_cuda_templateIsEESt5tupleIJNSH_6TensorESM_SM_EERKSM_lbbbEUlllE0_EEPmJS6_EEE10hipError_tPvRmT3_T4_T5_T6_T7_T9_mT8_P12ihipStream_tbDpT10_ENKUlT_T0_E_clISt17integral_constantIbLb1EES1C_EEDaS17_S18_EUlS17_E_NS1_11comp_targetILNS1_3genE4ELNS1_11target_archE910ELNS1_3gpuE8ELNS1_3repE0EEENS1_30default_config_static_selectorELNS0_4arch9wavefront6targetE0EEEvT1_
	.p2align	8
	.type	_ZN7rocprim17ROCPRIM_400000_NS6detail17trampoline_kernelINS0_14default_configENS1_25partition_config_selectorILNS1_17partition_subalgoE8ElNS0_10empty_typeEbEEZZNS1_14partition_implILS5_8ELb0ES3_jPlPS6_PKS6_NS0_5tupleIJS9_S6_EEENSD_IJSA_SA_EEENS0_18inequality_wrapperIZN2at6native12_GLOBAL__N_124unique_dim_cuda_templateIsEESt5tupleIJNSH_6TensorESM_SM_EERKSM_lbbbEUlllE0_EEPmJS6_EEE10hipError_tPvRmT3_T4_T5_T6_T7_T9_mT8_P12ihipStream_tbDpT10_ENKUlT_T0_E_clISt17integral_constantIbLb1EES1C_EEDaS17_S18_EUlS17_E_NS1_11comp_targetILNS1_3genE4ELNS1_11target_archE910ELNS1_3gpuE8ELNS1_3repE0EEENS1_30default_config_static_selectorELNS0_4arch9wavefront6targetE0EEEvT1_,@function
_ZN7rocprim17ROCPRIM_400000_NS6detail17trampoline_kernelINS0_14default_configENS1_25partition_config_selectorILNS1_17partition_subalgoE8ElNS0_10empty_typeEbEEZZNS1_14partition_implILS5_8ELb0ES3_jPlPS6_PKS6_NS0_5tupleIJS9_S6_EEENSD_IJSA_SA_EEENS0_18inequality_wrapperIZN2at6native12_GLOBAL__N_124unique_dim_cuda_templateIsEESt5tupleIJNSH_6TensorESM_SM_EERKSM_lbbbEUlllE0_EEPmJS6_EEE10hipError_tPvRmT3_T4_T5_T6_T7_T9_mT8_P12ihipStream_tbDpT10_ENKUlT_T0_E_clISt17integral_constantIbLb1EES1C_EEDaS17_S18_EUlS17_E_NS1_11comp_targetILNS1_3genE4ELNS1_11target_archE910ELNS1_3gpuE8ELNS1_3repE0EEENS1_30default_config_static_selectorELNS0_4arch9wavefront6targetE0EEEvT1_: ; @_ZN7rocprim17ROCPRIM_400000_NS6detail17trampoline_kernelINS0_14default_configENS1_25partition_config_selectorILNS1_17partition_subalgoE8ElNS0_10empty_typeEbEEZZNS1_14partition_implILS5_8ELb0ES3_jPlPS6_PKS6_NS0_5tupleIJS9_S6_EEENSD_IJSA_SA_EEENS0_18inequality_wrapperIZN2at6native12_GLOBAL__N_124unique_dim_cuda_templateIsEESt5tupleIJNSH_6TensorESM_SM_EERKSM_lbbbEUlllE0_EEPmJS6_EEE10hipError_tPvRmT3_T4_T5_T6_T7_T9_mT8_P12ihipStream_tbDpT10_ENKUlT_T0_E_clISt17integral_constantIbLb1EES1C_EEDaS17_S18_EUlS17_E_NS1_11comp_targetILNS1_3genE4ELNS1_11target_archE910ELNS1_3gpuE8ELNS1_3repE0EEENS1_30default_config_static_selectorELNS0_4arch9wavefront6targetE0EEEvT1_
; %bb.0:
	.section	.rodata,"a",@progbits
	.p2align	6, 0x0
	.amdhsa_kernel _ZN7rocprim17ROCPRIM_400000_NS6detail17trampoline_kernelINS0_14default_configENS1_25partition_config_selectorILNS1_17partition_subalgoE8ElNS0_10empty_typeEbEEZZNS1_14partition_implILS5_8ELb0ES3_jPlPS6_PKS6_NS0_5tupleIJS9_S6_EEENSD_IJSA_SA_EEENS0_18inequality_wrapperIZN2at6native12_GLOBAL__N_124unique_dim_cuda_templateIsEESt5tupleIJNSH_6TensorESM_SM_EERKSM_lbbbEUlllE0_EEPmJS6_EEE10hipError_tPvRmT3_T4_T5_T6_T7_T9_mT8_P12ihipStream_tbDpT10_ENKUlT_T0_E_clISt17integral_constantIbLb1EES1C_EEDaS17_S18_EUlS17_E_NS1_11comp_targetILNS1_3genE4ELNS1_11target_archE910ELNS1_3gpuE8ELNS1_3repE0EEENS1_30default_config_static_selectorELNS0_4arch9wavefront6targetE0EEEvT1_
		.amdhsa_group_segment_fixed_size 0
		.amdhsa_private_segment_fixed_size 0
		.amdhsa_kernarg_size 136
		.amdhsa_user_sgpr_count 15
		.amdhsa_user_sgpr_dispatch_ptr 0
		.amdhsa_user_sgpr_queue_ptr 0
		.amdhsa_user_sgpr_kernarg_segment_ptr 1
		.amdhsa_user_sgpr_dispatch_id 0
		.amdhsa_user_sgpr_private_segment_size 0
		.amdhsa_wavefront_size32 1
		.amdhsa_uses_dynamic_stack 0
		.amdhsa_enable_private_segment 0
		.amdhsa_system_sgpr_workgroup_id_x 1
		.amdhsa_system_sgpr_workgroup_id_y 0
		.amdhsa_system_sgpr_workgroup_id_z 0
		.amdhsa_system_sgpr_workgroup_info 0
		.amdhsa_system_vgpr_workitem_id 0
		.amdhsa_next_free_vgpr 1
		.amdhsa_next_free_sgpr 1
		.amdhsa_reserve_vcc 0
		.amdhsa_float_round_mode_32 0
		.amdhsa_float_round_mode_16_64 0
		.amdhsa_float_denorm_mode_32 3
		.amdhsa_float_denorm_mode_16_64 3
		.amdhsa_dx10_clamp 1
		.amdhsa_ieee_mode 1
		.amdhsa_fp16_overflow 0
		.amdhsa_workgroup_processor_mode 1
		.amdhsa_memory_ordered 1
		.amdhsa_forward_progress 0
		.amdhsa_shared_vgpr_count 0
		.amdhsa_exception_fp_ieee_invalid_op 0
		.amdhsa_exception_fp_denorm_src 0
		.amdhsa_exception_fp_ieee_div_zero 0
		.amdhsa_exception_fp_ieee_overflow 0
		.amdhsa_exception_fp_ieee_underflow 0
		.amdhsa_exception_fp_ieee_inexact 0
		.amdhsa_exception_int_div_zero 0
	.end_amdhsa_kernel
	.section	.text._ZN7rocprim17ROCPRIM_400000_NS6detail17trampoline_kernelINS0_14default_configENS1_25partition_config_selectorILNS1_17partition_subalgoE8ElNS0_10empty_typeEbEEZZNS1_14partition_implILS5_8ELb0ES3_jPlPS6_PKS6_NS0_5tupleIJS9_S6_EEENSD_IJSA_SA_EEENS0_18inequality_wrapperIZN2at6native12_GLOBAL__N_124unique_dim_cuda_templateIsEESt5tupleIJNSH_6TensorESM_SM_EERKSM_lbbbEUlllE0_EEPmJS6_EEE10hipError_tPvRmT3_T4_T5_T6_T7_T9_mT8_P12ihipStream_tbDpT10_ENKUlT_T0_E_clISt17integral_constantIbLb1EES1C_EEDaS17_S18_EUlS17_E_NS1_11comp_targetILNS1_3genE4ELNS1_11target_archE910ELNS1_3gpuE8ELNS1_3repE0EEENS1_30default_config_static_selectorELNS0_4arch9wavefront6targetE0EEEvT1_,"axG",@progbits,_ZN7rocprim17ROCPRIM_400000_NS6detail17trampoline_kernelINS0_14default_configENS1_25partition_config_selectorILNS1_17partition_subalgoE8ElNS0_10empty_typeEbEEZZNS1_14partition_implILS5_8ELb0ES3_jPlPS6_PKS6_NS0_5tupleIJS9_S6_EEENSD_IJSA_SA_EEENS0_18inequality_wrapperIZN2at6native12_GLOBAL__N_124unique_dim_cuda_templateIsEESt5tupleIJNSH_6TensorESM_SM_EERKSM_lbbbEUlllE0_EEPmJS6_EEE10hipError_tPvRmT3_T4_T5_T6_T7_T9_mT8_P12ihipStream_tbDpT10_ENKUlT_T0_E_clISt17integral_constantIbLb1EES1C_EEDaS17_S18_EUlS17_E_NS1_11comp_targetILNS1_3genE4ELNS1_11target_archE910ELNS1_3gpuE8ELNS1_3repE0EEENS1_30default_config_static_selectorELNS0_4arch9wavefront6targetE0EEEvT1_,comdat
.Lfunc_end695:
	.size	_ZN7rocprim17ROCPRIM_400000_NS6detail17trampoline_kernelINS0_14default_configENS1_25partition_config_selectorILNS1_17partition_subalgoE8ElNS0_10empty_typeEbEEZZNS1_14partition_implILS5_8ELb0ES3_jPlPS6_PKS6_NS0_5tupleIJS9_S6_EEENSD_IJSA_SA_EEENS0_18inequality_wrapperIZN2at6native12_GLOBAL__N_124unique_dim_cuda_templateIsEESt5tupleIJNSH_6TensorESM_SM_EERKSM_lbbbEUlllE0_EEPmJS6_EEE10hipError_tPvRmT3_T4_T5_T6_T7_T9_mT8_P12ihipStream_tbDpT10_ENKUlT_T0_E_clISt17integral_constantIbLb1EES1C_EEDaS17_S18_EUlS17_E_NS1_11comp_targetILNS1_3genE4ELNS1_11target_archE910ELNS1_3gpuE8ELNS1_3repE0EEENS1_30default_config_static_selectorELNS0_4arch9wavefront6targetE0EEEvT1_, .Lfunc_end695-_ZN7rocprim17ROCPRIM_400000_NS6detail17trampoline_kernelINS0_14default_configENS1_25partition_config_selectorILNS1_17partition_subalgoE8ElNS0_10empty_typeEbEEZZNS1_14partition_implILS5_8ELb0ES3_jPlPS6_PKS6_NS0_5tupleIJS9_S6_EEENSD_IJSA_SA_EEENS0_18inequality_wrapperIZN2at6native12_GLOBAL__N_124unique_dim_cuda_templateIsEESt5tupleIJNSH_6TensorESM_SM_EERKSM_lbbbEUlllE0_EEPmJS6_EEE10hipError_tPvRmT3_T4_T5_T6_T7_T9_mT8_P12ihipStream_tbDpT10_ENKUlT_T0_E_clISt17integral_constantIbLb1EES1C_EEDaS17_S18_EUlS17_E_NS1_11comp_targetILNS1_3genE4ELNS1_11target_archE910ELNS1_3gpuE8ELNS1_3repE0EEENS1_30default_config_static_selectorELNS0_4arch9wavefront6targetE0EEEvT1_
                                        ; -- End function
	.section	.AMDGPU.csdata,"",@progbits
; Kernel info:
; codeLenInByte = 0
; NumSgprs: 0
; NumVgprs: 0
; ScratchSize: 0
; MemoryBound: 0
; FloatMode: 240
; IeeeMode: 1
; LDSByteSize: 0 bytes/workgroup (compile time only)
; SGPRBlocks: 0
; VGPRBlocks: 0
; NumSGPRsForWavesPerEU: 1
; NumVGPRsForWavesPerEU: 1
; Occupancy: 16
; WaveLimiterHint : 0
; COMPUTE_PGM_RSRC2:SCRATCH_EN: 0
; COMPUTE_PGM_RSRC2:USER_SGPR: 15
; COMPUTE_PGM_RSRC2:TRAP_HANDLER: 0
; COMPUTE_PGM_RSRC2:TGID_X_EN: 1
; COMPUTE_PGM_RSRC2:TGID_Y_EN: 0
; COMPUTE_PGM_RSRC2:TGID_Z_EN: 0
; COMPUTE_PGM_RSRC2:TIDIG_COMP_CNT: 0
	.section	.text._ZN7rocprim17ROCPRIM_400000_NS6detail17trampoline_kernelINS0_14default_configENS1_25partition_config_selectorILNS1_17partition_subalgoE8ElNS0_10empty_typeEbEEZZNS1_14partition_implILS5_8ELb0ES3_jPlPS6_PKS6_NS0_5tupleIJS9_S6_EEENSD_IJSA_SA_EEENS0_18inequality_wrapperIZN2at6native12_GLOBAL__N_124unique_dim_cuda_templateIsEESt5tupleIJNSH_6TensorESM_SM_EERKSM_lbbbEUlllE0_EEPmJS6_EEE10hipError_tPvRmT3_T4_T5_T6_T7_T9_mT8_P12ihipStream_tbDpT10_ENKUlT_T0_E_clISt17integral_constantIbLb1EES1C_EEDaS17_S18_EUlS17_E_NS1_11comp_targetILNS1_3genE3ELNS1_11target_archE908ELNS1_3gpuE7ELNS1_3repE0EEENS1_30default_config_static_selectorELNS0_4arch9wavefront6targetE0EEEvT1_,"axG",@progbits,_ZN7rocprim17ROCPRIM_400000_NS6detail17trampoline_kernelINS0_14default_configENS1_25partition_config_selectorILNS1_17partition_subalgoE8ElNS0_10empty_typeEbEEZZNS1_14partition_implILS5_8ELb0ES3_jPlPS6_PKS6_NS0_5tupleIJS9_S6_EEENSD_IJSA_SA_EEENS0_18inequality_wrapperIZN2at6native12_GLOBAL__N_124unique_dim_cuda_templateIsEESt5tupleIJNSH_6TensorESM_SM_EERKSM_lbbbEUlllE0_EEPmJS6_EEE10hipError_tPvRmT3_T4_T5_T6_T7_T9_mT8_P12ihipStream_tbDpT10_ENKUlT_T0_E_clISt17integral_constantIbLb1EES1C_EEDaS17_S18_EUlS17_E_NS1_11comp_targetILNS1_3genE3ELNS1_11target_archE908ELNS1_3gpuE7ELNS1_3repE0EEENS1_30default_config_static_selectorELNS0_4arch9wavefront6targetE0EEEvT1_,comdat
	.globl	_ZN7rocprim17ROCPRIM_400000_NS6detail17trampoline_kernelINS0_14default_configENS1_25partition_config_selectorILNS1_17partition_subalgoE8ElNS0_10empty_typeEbEEZZNS1_14partition_implILS5_8ELb0ES3_jPlPS6_PKS6_NS0_5tupleIJS9_S6_EEENSD_IJSA_SA_EEENS0_18inequality_wrapperIZN2at6native12_GLOBAL__N_124unique_dim_cuda_templateIsEESt5tupleIJNSH_6TensorESM_SM_EERKSM_lbbbEUlllE0_EEPmJS6_EEE10hipError_tPvRmT3_T4_T5_T6_T7_T9_mT8_P12ihipStream_tbDpT10_ENKUlT_T0_E_clISt17integral_constantIbLb1EES1C_EEDaS17_S18_EUlS17_E_NS1_11comp_targetILNS1_3genE3ELNS1_11target_archE908ELNS1_3gpuE7ELNS1_3repE0EEENS1_30default_config_static_selectorELNS0_4arch9wavefront6targetE0EEEvT1_ ; -- Begin function _ZN7rocprim17ROCPRIM_400000_NS6detail17trampoline_kernelINS0_14default_configENS1_25partition_config_selectorILNS1_17partition_subalgoE8ElNS0_10empty_typeEbEEZZNS1_14partition_implILS5_8ELb0ES3_jPlPS6_PKS6_NS0_5tupleIJS9_S6_EEENSD_IJSA_SA_EEENS0_18inequality_wrapperIZN2at6native12_GLOBAL__N_124unique_dim_cuda_templateIsEESt5tupleIJNSH_6TensorESM_SM_EERKSM_lbbbEUlllE0_EEPmJS6_EEE10hipError_tPvRmT3_T4_T5_T6_T7_T9_mT8_P12ihipStream_tbDpT10_ENKUlT_T0_E_clISt17integral_constantIbLb1EES1C_EEDaS17_S18_EUlS17_E_NS1_11comp_targetILNS1_3genE3ELNS1_11target_archE908ELNS1_3gpuE7ELNS1_3repE0EEENS1_30default_config_static_selectorELNS0_4arch9wavefront6targetE0EEEvT1_
	.p2align	8
	.type	_ZN7rocprim17ROCPRIM_400000_NS6detail17trampoline_kernelINS0_14default_configENS1_25partition_config_selectorILNS1_17partition_subalgoE8ElNS0_10empty_typeEbEEZZNS1_14partition_implILS5_8ELb0ES3_jPlPS6_PKS6_NS0_5tupleIJS9_S6_EEENSD_IJSA_SA_EEENS0_18inequality_wrapperIZN2at6native12_GLOBAL__N_124unique_dim_cuda_templateIsEESt5tupleIJNSH_6TensorESM_SM_EERKSM_lbbbEUlllE0_EEPmJS6_EEE10hipError_tPvRmT3_T4_T5_T6_T7_T9_mT8_P12ihipStream_tbDpT10_ENKUlT_T0_E_clISt17integral_constantIbLb1EES1C_EEDaS17_S18_EUlS17_E_NS1_11comp_targetILNS1_3genE3ELNS1_11target_archE908ELNS1_3gpuE7ELNS1_3repE0EEENS1_30default_config_static_selectorELNS0_4arch9wavefront6targetE0EEEvT1_,@function
_ZN7rocprim17ROCPRIM_400000_NS6detail17trampoline_kernelINS0_14default_configENS1_25partition_config_selectorILNS1_17partition_subalgoE8ElNS0_10empty_typeEbEEZZNS1_14partition_implILS5_8ELb0ES3_jPlPS6_PKS6_NS0_5tupleIJS9_S6_EEENSD_IJSA_SA_EEENS0_18inequality_wrapperIZN2at6native12_GLOBAL__N_124unique_dim_cuda_templateIsEESt5tupleIJNSH_6TensorESM_SM_EERKSM_lbbbEUlllE0_EEPmJS6_EEE10hipError_tPvRmT3_T4_T5_T6_T7_T9_mT8_P12ihipStream_tbDpT10_ENKUlT_T0_E_clISt17integral_constantIbLb1EES1C_EEDaS17_S18_EUlS17_E_NS1_11comp_targetILNS1_3genE3ELNS1_11target_archE908ELNS1_3gpuE7ELNS1_3repE0EEENS1_30default_config_static_selectorELNS0_4arch9wavefront6targetE0EEEvT1_: ; @_ZN7rocprim17ROCPRIM_400000_NS6detail17trampoline_kernelINS0_14default_configENS1_25partition_config_selectorILNS1_17partition_subalgoE8ElNS0_10empty_typeEbEEZZNS1_14partition_implILS5_8ELb0ES3_jPlPS6_PKS6_NS0_5tupleIJS9_S6_EEENSD_IJSA_SA_EEENS0_18inequality_wrapperIZN2at6native12_GLOBAL__N_124unique_dim_cuda_templateIsEESt5tupleIJNSH_6TensorESM_SM_EERKSM_lbbbEUlllE0_EEPmJS6_EEE10hipError_tPvRmT3_T4_T5_T6_T7_T9_mT8_P12ihipStream_tbDpT10_ENKUlT_T0_E_clISt17integral_constantIbLb1EES1C_EEDaS17_S18_EUlS17_E_NS1_11comp_targetILNS1_3genE3ELNS1_11target_archE908ELNS1_3gpuE7ELNS1_3repE0EEENS1_30default_config_static_selectorELNS0_4arch9wavefront6targetE0EEEvT1_
; %bb.0:
	.section	.rodata,"a",@progbits
	.p2align	6, 0x0
	.amdhsa_kernel _ZN7rocprim17ROCPRIM_400000_NS6detail17trampoline_kernelINS0_14default_configENS1_25partition_config_selectorILNS1_17partition_subalgoE8ElNS0_10empty_typeEbEEZZNS1_14partition_implILS5_8ELb0ES3_jPlPS6_PKS6_NS0_5tupleIJS9_S6_EEENSD_IJSA_SA_EEENS0_18inequality_wrapperIZN2at6native12_GLOBAL__N_124unique_dim_cuda_templateIsEESt5tupleIJNSH_6TensorESM_SM_EERKSM_lbbbEUlllE0_EEPmJS6_EEE10hipError_tPvRmT3_T4_T5_T6_T7_T9_mT8_P12ihipStream_tbDpT10_ENKUlT_T0_E_clISt17integral_constantIbLb1EES1C_EEDaS17_S18_EUlS17_E_NS1_11comp_targetILNS1_3genE3ELNS1_11target_archE908ELNS1_3gpuE7ELNS1_3repE0EEENS1_30default_config_static_selectorELNS0_4arch9wavefront6targetE0EEEvT1_
		.amdhsa_group_segment_fixed_size 0
		.amdhsa_private_segment_fixed_size 0
		.amdhsa_kernarg_size 136
		.amdhsa_user_sgpr_count 15
		.amdhsa_user_sgpr_dispatch_ptr 0
		.amdhsa_user_sgpr_queue_ptr 0
		.amdhsa_user_sgpr_kernarg_segment_ptr 1
		.amdhsa_user_sgpr_dispatch_id 0
		.amdhsa_user_sgpr_private_segment_size 0
		.amdhsa_wavefront_size32 1
		.amdhsa_uses_dynamic_stack 0
		.amdhsa_enable_private_segment 0
		.amdhsa_system_sgpr_workgroup_id_x 1
		.amdhsa_system_sgpr_workgroup_id_y 0
		.amdhsa_system_sgpr_workgroup_id_z 0
		.amdhsa_system_sgpr_workgroup_info 0
		.amdhsa_system_vgpr_workitem_id 0
		.amdhsa_next_free_vgpr 1
		.amdhsa_next_free_sgpr 1
		.amdhsa_reserve_vcc 0
		.amdhsa_float_round_mode_32 0
		.amdhsa_float_round_mode_16_64 0
		.amdhsa_float_denorm_mode_32 3
		.amdhsa_float_denorm_mode_16_64 3
		.amdhsa_dx10_clamp 1
		.amdhsa_ieee_mode 1
		.amdhsa_fp16_overflow 0
		.amdhsa_workgroup_processor_mode 1
		.amdhsa_memory_ordered 1
		.amdhsa_forward_progress 0
		.amdhsa_shared_vgpr_count 0
		.amdhsa_exception_fp_ieee_invalid_op 0
		.amdhsa_exception_fp_denorm_src 0
		.amdhsa_exception_fp_ieee_div_zero 0
		.amdhsa_exception_fp_ieee_overflow 0
		.amdhsa_exception_fp_ieee_underflow 0
		.amdhsa_exception_fp_ieee_inexact 0
		.amdhsa_exception_int_div_zero 0
	.end_amdhsa_kernel
	.section	.text._ZN7rocprim17ROCPRIM_400000_NS6detail17trampoline_kernelINS0_14default_configENS1_25partition_config_selectorILNS1_17partition_subalgoE8ElNS0_10empty_typeEbEEZZNS1_14partition_implILS5_8ELb0ES3_jPlPS6_PKS6_NS0_5tupleIJS9_S6_EEENSD_IJSA_SA_EEENS0_18inequality_wrapperIZN2at6native12_GLOBAL__N_124unique_dim_cuda_templateIsEESt5tupleIJNSH_6TensorESM_SM_EERKSM_lbbbEUlllE0_EEPmJS6_EEE10hipError_tPvRmT3_T4_T5_T6_T7_T9_mT8_P12ihipStream_tbDpT10_ENKUlT_T0_E_clISt17integral_constantIbLb1EES1C_EEDaS17_S18_EUlS17_E_NS1_11comp_targetILNS1_3genE3ELNS1_11target_archE908ELNS1_3gpuE7ELNS1_3repE0EEENS1_30default_config_static_selectorELNS0_4arch9wavefront6targetE0EEEvT1_,"axG",@progbits,_ZN7rocprim17ROCPRIM_400000_NS6detail17trampoline_kernelINS0_14default_configENS1_25partition_config_selectorILNS1_17partition_subalgoE8ElNS0_10empty_typeEbEEZZNS1_14partition_implILS5_8ELb0ES3_jPlPS6_PKS6_NS0_5tupleIJS9_S6_EEENSD_IJSA_SA_EEENS0_18inequality_wrapperIZN2at6native12_GLOBAL__N_124unique_dim_cuda_templateIsEESt5tupleIJNSH_6TensorESM_SM_EERKSM_lbbbEUlllE0_EEPmJS6_EEE10hipError_tPvRmT3_T4_T5_T6_T7_T9_mT8_P12ihipStream_tbDpT10_ENKUlT_T0_E_clISt17integral_constantIbLb1EES1C_EEDaS17_S18_EUlS17_E_NS1_11comp_targetILNS1_3genE3ELNS1_11target_archE908ELNS1_3gpuE7ELNS1_3repE0EEENS1_30default_config_static_selectorELNS0_4arch9wavefront6targetE0EEEvT1_,comdat
.Lfunc_end696:
	.size	_ZN7rocprim17ROCPRIM_400000_NS6detail17trampoline_kernelINS0_14default_configENS1_25partition_config_selectorILNS1_17partition_subalgoE8ElNS0_10empty_typeEbEEZZNS1_14partition_implILS5_8ELb0ES3_jPlPS6_PKS6_NS0_5tupleIJS9_S6_EEENSD_IJSA_SA_EEENS0_18inequality_wrapperIZN2at6native12_GLOBAL__N_124unique_dim_cuda_templateIsEESt5tupleIJNSH_6TensorESM_SM_EERKSM_lbbbEUlllE0_EEPmJS6_EEE10hipError_tPvRmT3_T4_T5_T6_T7_T9_mT8_P12ihipStream_tbDpT10_ENKUlT_T0_E_clISt17integral_constantIbLb1EES1C_EEDaS17_S18_EUlS17_E_NS1_11comp_targetILNS1_3genE3ELNS1_11target_archE908ELNS1_3gpuE7ELNS1_3repE0EEENS1_30default_config_static_selectorELNS0_4arch9wavefront6targetE0EEEvT1_, .Lfunc_end696-_ZN7rocprim17ROCPRIM_400000_NS6detail17trampoline_kernelINS0_14default_configENS1_25partition_config_selectorILNS1_17partition_subalgoE8ElNS0_10empty_typeEbEEZZNS1_14partition_implILS5_8ELb0ES3_jPlPS6_PKS6_NS0_5tupleIJS9_S6_EEENSD_IJSA_SA_EEENS0_18inequality_wrapperIZN2at6native12_GLOBAL__N_124unique_dim_cuda_templateIsEESt5tupleIJNSH_6TensorESM_SM_EERKSM_lbbbEUlllE0_EEPmJS6_EEE10hipError_tPvRmT3_T4_T5_T6_T7_T9_mT8_P12ihipStream_tbDpT10_ENKUlT_T0_E_clISt17integral_constantIbLb1EES1C_EEDaS17_S18_EUlS17_E_NS1_11comp_targetILNS1_3genE3ELNS1_11target_archE908ELNS1_3gpuE7ELNS1_3repE0EEENS1_30default_config_static_selectorELNS0_4arch9wavefront6targetE0EEEvT1_
                                        ; -- End function
	.section	.AMDGPU.csdata,"",@progbits
; Kernel info:
; codeLenInByte = 0
; NumSgprs: 0
; NumVgprs: 0
; ScratchSize: 0
; MemoryBound: 0
; FloatMode: 240
; IeeeMode: 1
; LDSByteSize: 0 bytes/workgroup (compile time only)
; SGPRBlocks: 0
; VGPRBlocks: 0
; NumSGPRsForWavesPerEU: 1
; NumVGPRsForWavesPerEU: 1
; Occupancy: 16
; WaveLimiterHint : 0
; COMPUTE_PGM_RSRC2:SCRATCH_EN: 0
; COMPUTE_PGM_RSRC2:USER_SGPR: 15
; COMPUTE_PGM_RSRC2:TRAP_HANDLER: 0
; COMPUTE_PGM_RSRC2:TGID_X_EN: 1
; COMPUTE_PGM_RSRC2:TGID_Y_EN: 0
; COMPUTE_PGM_RSRC2:TGID_Z_EN: 0
; COMPUTE_PGM_RSRC2:TIDIG_COMP_CNT: 0
	.section	.text._ZN7rocprim17ROCPRIM_400000_NS6detail17trampoline_kernelINS0_14default_configENS1_25partition_config_selectorILNS1_17partition_subalgoE8ElNS0_10empty_typeEbEEZZNS1_14partition_implILS5_8ELb0ES3_jPlPS6_PKS6_NS0_5tupleIJS9_S6_EEENSD_IJSA_SA_EEENS0_18inequality_wrapperIZN2at6native12_GLOBAL__N_124unique_dim_cuda_templateIsEESt5tupleIJNSH_6TensorESM_SM_EERKSM_lbbbEUlllE0_EEPmJS6_EEE10hipError_tPvRmT3_T4_T5_T6_T7_T9_mT8_P12ihipStream_tbDpT10_ENKUlT_T0_E_clISt17integral_constantIbLb1EES1C_EEDaS17_S18_EUlS17_E_NS1_11comp_targetILNS1_3genE2ELNS1_11target_archE906ELNS1_3gpuE6ELNS1_3repE0EEENS1_30default_config_static_selectorELNS0_4arch9wavefront6targetE0EEEvT1_,"axG",@progbits,_ZN7rocprim17ROCPRIM_400000_NS6detail17trampoline_kernelINS0_14default_configENS1_25partition_config_selectorILNS1_17partition_subalgoE8ElNS0_10empty_typeEbEEZZNS1_14partition_implILS5_8ELb0ES3_jPlPS6_PKS6_NS0_5tupleIJS9_S6_EEENSD_IJSA_SA_EEENS0_18inequality_wrapperIZN2at6native12_GLOBAL__N_124unique_dim_cuda_templateIsEESt5tupleIJNSH_6TensorESM_SM_EERKSM_lbbbEUlllE0_EEPmJS6_EEE10hipError_tPvRmT3_T4_T5_T6_T7_T9_mT8_P12ihipStream_tbDpT10_ENKUlT_T0_E_clISt17integral_constantIbLb1EES1C_EEDaS17_S18_EUlS17_E_NS1_11comp_targetILNS1_3genE2ELNS1_11target_archE906ELNS1_3gpuE6ELNS1_3repE0EEENS1_30default_config_static_selectorELNS0_4arch9wavefront6targetE0EEEvT1_,comdat
	.globl	_ZN7rocprim17ROCPRIM_400000_NS6detail17trampoline_kernelINS0_14default_configENS1_25partition_config_selectorILNS1_17partition_subalgoE8ElNS0_10empty_typeEbEEZZNS1_14partition_implILS5_8ELb0ES3_jPlPS6_PKS6_NS0_5tupleIJS9_S6_EEENSD_IJSA_SA_EEENS0_18inequality_wrapperIZN2at6native12_GLOBAL__N_124unique_dim_cuda_templateIsEESt5tupleIJNSH_6TensorESM_SM_EERKSM_lbbbEUlllE0_EEPmJS6_EEE10hipError_tPvRmT3_T4_T5_T6_T7_T9_mT8_P12ihipStream_tbDpT10_ENKUlT_T0_E_clISt17integral_constantIbLb1EES1C_EEDaS17_S18_EUlS17_E_NS1_11comp_targetILNS1_3genE2ELNS1_11target_archE906ELNS1_3gpuE6ELNS1_3repE0EEENS1_30default_config_static_selectorELNS0_4arch9wavefront6targetE0EEEvT1_ ; -- Begin function _ZN7rocprim17ROCPRIM_400000_NS6detail17trampoline_kernelINS0_14default_configENS1_25partition_config_selectorILNS1_17partition_subalgoE8ElNS0_10empty_typeEbEEZZNS1_14partition_implILS5_8ELb0ES3_jPlPS6_PKS6_NS0_5tupleIJS9_S6_EEENSD_IJSA_SA_EEENS0_18inequality_wrapperIZN2at6native12_GLOBAL__N_124unique_dim_cuda_templateIsEESt5tupleIJNSH_6TensorESM_SM_EERKSM_lbbbEUlllE0_EEPmJS6_EEE10hipError_tPvRmT3_T4_T5_T6_T7_T9_mT8_P12ihipStream_tbDpT10_ENKUlT_T0_E_clISt17integral_constantIbLb1EES1C_EEDaS17_S18_EUlS17_E_NS1_11comp_targetILNS1_3genE2ELNS1_11target_archE906ELNS1_3gpuE6ELNS1_3repE0EEENS1_30default_config_static_selectorELNS0_4arch9wavefront6targetE0EEEvT1_
	.p2align	8
	.type	_ZN7rocprim17ROCPRIM_400000_NS6detail17trampoline_kernelINS0_14default_configENS1_25partition_config_selectorILNS1_17partition_subalgoE8ElNS0_10empty_typeEbEEZZNS1_14partition_implILS5_8ELb0ES3_jPlPS6_PKS6_NS0_5tupleIJS9_S6_EEENSD_IJSA_SA_EEENS0_18inequality_wrapperIZN2at6native12_GLOBAL__N_124unique_dim_cuda_templateIsEESt5tupleIJNSH_6TensorESM_SM_EERKSM_lbbbEUlllE0_EEPmJS6_EEE10hipError_tPvRmT3_T4_T5_T6_T7_T9_mT8_P12ihipStream_tbDpT10_ENKUlT_T0_E_clISt17integral_constantIbLb1EES1C_EEDaS17_S18_EUlS17_E_NS1_11comp_targetILNS1_3genE2ELNS1_11target_archE906ELNS1_3gpuE6ELNS1_3repE0EEENS1_30default_config_static_selectorELNS0_4arch9wavefront6targetE0EEEvT1_,@function
_ZN7rocprim17ROCPRIM_400000_NS6detail17trampoline_kernelINS0_14default_configENS1_25partition_config_selectorILNS1_17partition_subalgoE8ElNS0_10empty_typeEbEEZZNS1_14partition_implILS5_8ELb0ES3_jPlPS6_PKS6_NS0_5tupleIJS9_S6_EEENSD_IJSA_SA_EEENS0_18inequality_wrapperIZN2at6native12_GLOBAL__N_124unique_dim_cuda_templateIsEESt5tupleIJNSH_6TensorESM_SM_EERKSM_lbbbEUlllE0_EEPmJS6_EEE10hipError_tPvRmT3_T4_T5_T6_T7_T9_mT8_P12ihipStream_tbDpT10_ENKUlT_T0_E_clISt17integral_constantIbLb1EES1C_EEDaS17_S18_EUlS17_E_NS1_11comp_targetILNS1_3genE2ELNS1_11target_archE906ELNS1_3gpuE6ELNS1_3repE0EEENS1_30default_config_static_selectorELNS0_4arch9wavefront6targetE0EEEvT1_: ; @_ZN7rocprim17ROCPRIM_400000_NS6detail17trampoline_kernelINS0_14default_configENS1_25partition_config_selectorILNS1_17partition_subalgoE8ElNS0_10empty_typeEbEEZZNS1_14partition_implILS5_8ELb0ES3_jPlPS6_PKS6_NS0_5tupleIJS9_S6_EEENSD_IJSA_SA_EEENS0_18inequality_wrapperIZN2at6native12_GLOBAL__N_124unique_dim_cuda_templateIsEESt5tupleIJNSH_6TensorESM_SM_EERKSM_lbbbEUlllE0_EEPmJS6_EEE10hipError_tPvRmT3_T4_T5_T6_T7_T9_mT8_P12ihipStream_tbDpT10_ENKUlT_T0_E_clISt17integral_constantIbLb1EES1C_EEDaS17_S18_EUlS17_E_NS1_11comp_targetILNS1_3genE2ELNS1_11target_archE906ELNS1_3gpuE6ELNS1_3repE0EEENS1_30default_config_static_selectorELNS0_4arch9wavefront6targetE0EEEvT1_
; %bb.0:
	.section	.rodata,"a",@progbits
	.p2align	6, 0x0
	.amdhsa_kernel _ZN7rocprim17ROCPRIM_400000_NS6detail17trampoline_kernelINS0_14default_configENS1_25partition_config_selectorILNS1_17partition_subalgoE8ElNS0_10empty_typeEbEEZZNS1_14partition_implILS5_8ELb0ES3_jPlPS6_PKS6_NS0_5tupleIJS9_S6_EEENSD_IJSA_SA_EEENS0_18inequality_wrapperIZN2at6native12_GLOBAL__N_124unique_dim_cuda_templateIsEESt5tupleIJNSH_6TensorESM_SM_EERKSM_lbbbEUlllE0_EEPmJS6_EEE10hipError_tPvRmT3_T4_T5_T6_T7_T9_mT8_P12ihipStream_tbDpT10_ENKUlT_T0_E_clISt17integral_constantIbLb1EES1C_EEDaS17_S18_EUlS17_E_NS1_11comp_targetILNS1_3genE2ELNS1_11target_archE906ELNS1_3gpuE6ELNS1_3repE0EEENS1_30default_config_static_selectorELNS0_4arch9wavefront6targetE0EEEvT1_
		.amdhsa_group_segment_fixed_size 0
		.amdhsa_private_segment_fixed_size 0
		.amdhsa_kernarg_size 136
		.amdhsa_user_sgpr_count 15
		.amdhsa_user_sgpr_dispatch_ptr 0
		.amdhsa_user_sgpr_queue_ptr 0
		.amdhsa_user_sgpr_kernarg_segment_ptr 1
		.amdhsa_user_sgpr_dispatch_id 0
		.amdhsa_user_sgpr_private_segment_size 0
		.amdhsa_wavefront_size32 1
		.amdhsa_uses_dynamic_stack 0
		.amdhsa_enable_private_segment 0
		.amdhsa_system_sgpr_workgroup_id_x 1
		.amdhsa_system_sgpr_workgroup_id_y 0
		.amdhsa_system_sgpr_workgroup_id_z 0
		.amdhsa_system_sgpr_workgroup_info 0
		.amdhsa_system_vgpr_workitem_id 0
		.amdhsa_next_free_vgpr 1
		.amdhsa_next_free_sgpr 1
		.amdhsa_reserve_vcc 0
		.amdhsa_float_round_mode_32 0
		.amdhsa_float_round_mode_16_64 0
		.amdhsa_float_denorm_mode_32 3
		.amdhsa_float_denorm_mode_16_64 3
		.amdhsa_dx10_clamp 1
		.amdhsa_ieee_mode 1
		.amdhsa_fp16_overflow 0
		.amdhsa_workgroup_processor_mode 1
		.amdhsa_memory_ordered 1
		.amdhsa_forward_progress 0
		.amdhsa_shared_vgpr_count 0
		.amdhsa_exception_fp_ieee_invalid_op 0
		.amdhsa_exception_fp_denorm_src 0
		.amdhsa_exception_fp_ieee_div_zero 0
		.amdhsa_exception_fp_ieee_overflow 0
		.amdhsa_exception_fp_ieee_underflow 0
		.amdhsa_exception_fp_ieee_inexact 0
		.amdhsa_exception_int_div_zero 0
	.end_amdhsa_kernel
	.section	.text._ZN7rocprim17ROCPRIM_400000_NS6detail17trampoline_kernelINS0_14default_configENS1_25partition_config_selectorILNS1_17partition_subalgoE8ElNS0_10empty_typeEbEEZZNS1_14partition_implILS5_8ELb0ES3_jPlPS6_PKS6_NS0_5tupleIJS9_S6_EEENSD_IJSA_SA_EEENS0_18inequality_wrapperIZN2at6native12_GLOBAL__N_124unique_dim_cuda_templateIsEESt5tupleIJNSH_6TensorESM_SM_EERKSM_lbbbEUlllE0_EEPmJS6_EEE10hipError_tPvRmT3_T4_T5_T6_T7_T9_mT8_P12ihipStream_tbDpT10_ENKUlT_T0_E_clISt17integral_constantIbLb1EES1C_EEDaS17_S18_EUlS17_E_NS1_11comp_targetILNS1_3genE2ELNS1_11target_archE906ELNS1_3gpuE6ELNS1_3repE0EEENS1_30default_config_static_selectorELNS0_4arch9wavefront6targetE0EEEvT1_,"axG",@progbits,_ZN7rocprim17ROCPRIM_400000_NS6detail17trampoline_kernelINS0_14default_configENS1_25partition_config_selectorILNS1_17partition_subalgoE8ElNS0_10empty_typeEbEEZZNS1_14partition_implILS5_8ELb0ES3_jPlPS6_PKS6_NS0_5tupleIJS9_S6_EEENSD_IJSA_SA_EEENS0_18inequality_wrapperIZN2at6native12_GLOBAL__N_124unique_dim_cuda_templateIsEESt5tupleIJNSH_6TensorESM_SM_EERKSM_lbbbEUlllE0_EEPmJS6_EEE10hipError_tPvRmT3_T4_T5_T6_T7_T9_mT8_P12ihipStream_tbDpT10_ENKUlT_T0_E_clISt17integral_constantIbLb1EES1C_EEDaS17_S18_EUlS17_E_NS1_11comp_targetILNS1_3genE2ELNS1_11target_archE906ELNS1_3gpuE6ELNS1_3repE0EEENS1_30default_config_static_selectorELNS0_4arch9wavefront6targetE0EEEvT1_,comdat
.Lfunc_end697:
	.size	_ZN7rocprim17ROCPRIM_400000_NS6detail17trampoline_kernelINS0_14default_configENS1_25partition_config_selectorILNS1_17partition_subalgoE8ElNS0_10empty_typeEbEEZZNS1_14partition_implILS5_8ELb0ES3_jPlPS6_PKS6_NS0_5tupleIJS9_S6_EEENSD_IJSA_SA_EEENS0_18inequality_wrapperIZN2at6native12_GLOBAL__N_124unique_dim_cuda_templateIsEESt5tupleIJNSH_6TensorESM_SM_EERKSM_lbbbEUlllE0_EEPmJS6_EEE10hipError_tPvRmT3_T4_T5_T6_T7_T9_mT8_P12ihipStream_tbDpT10_ENKUlT_T0_E_clISt17integral_constantIbLb1EES1C_EEDaS17_S18_EUlS17_E_NS1_11comp_targetILNS1_3genE2ELNS1_11target_archE906ELNS1_3gpuE6ELNS1_3repE0EEENS1_30default_config_static_selectorELNS0_4arch9wavefront6targetE0EEEvT1_, .Lfunc_end697-_ZN7rocprim17ROCPRIM_400000_NS6detail17trampoline_kernelINS0_14default_configENS1_25partition_config_selectorILNS1_17partition_subalgoE8ElNS0_10empty_typeEbEEZZNS1_14partition_implILS5_8ELb0ES3_jPlPS6_PKS6_NS0_5tupleIJS9_S6_EEENSD_IJSA_SA_EEENS0_18inequality_wrapperIZN2at6native12_GLOBAL__N_124unique_dim_cuda_templateIsEESt5tupleIJNSH_6TensorESM_SM_EERKSM_lbbbEUlllE0_EEPmJS6_EEE10hipError_tPvRmT3_T4_T5_T6_T7_T9_mT8_P12ihipStream_tbDpT10_ENKUlT_T0_E_clISt17integral_constantIbLb1EES1C_EEDaS17_S18_EUlS17_E_NS1_11comp_targetILNS1_3genE2ELNS1_11target_archE906ELNS1_3gpuE6ELNS1_3repE0EEENS1_30default_config_static_selectorELNS0_4arch9wavefront6targetE0EEEvT1_
                                        ; -- End function
	.section	.AMDGPU.csdata,"",@progbits
; Kernel info:
; codeLenInByte = 0
; NumSgprs: 0
; NumVgprs: 0
; ScratchSize: 0
; MemoryBound: 0
; FloatMode: 240
; IeeeMode: 1
; LDSByteSize: 0 bytes/workgroup (compile time only)
; SGPRBlocks: 0
; VGPRBlocks: 0
; NumSGPRsForWavesPerEU: 1
; NumVGPRsForWavesPerEU: 1
; Occupancy: 16
; WaveLimiterHint : 0
; COMPUTE_PGM_RSRC2:SCRATCH_EN: 0
; COMPUTE_PGM_RSRC2:USER_SGPR: 15
; COMPUTE_PGM_RSRC2:TRAP_HANDLER: 0
; COMPUTE_PGM_RSRC2:TGID_X_EN: 1
; COMPUTE_PGM_RSRC2:TGID_Y_EN: 0
; COMPUTE_PGM_RSRC2:TGID_Z_EN: 0
; COMPUTE_PGM_RSRC2:TIDIG_COMP_CNT: 0
	.section	.text._ZN7rocprim17ROCPRIM_400000_NS6detail17trampoline_kernelINS0_14default_configENS1_25partition_config_selectorILNS1_17partition_subalgoE8ElNS0_10empty_typeEbEEZZNS1_14partition_implILS5_8ELb0ES3_jPlPS6_PKS6_NS0_5tupleIJS9_S6_EEENSD_IJSA_SA_EEENS0_18inequality_wrapperIZN2at6native12_GLOBAL__N_124unique_dim_cuda_templateIsEESt5tupleIJNSH_6TensorESM_SM_EERKSM_lbbbEUlllE0_EEPmJS6_EEE10hipError_tPvRmT3_T4_T5_T6_T7_T9_mT8_P12ihipStream_tbDpT10_ENKUlT_T0_E_clISt17integral_constantIbLb1EES1C_EEDaS17_S18_EUlS17_E_NS1_11comp_targetILNS1_3genE10ELNS1_11target_archE1200ELNS1_3gpuE4ELNS1_3repE0EEENS1_30default_config_static_selectorELNS0_4arch9wavefront6targetE0EEEvT1_,"axG",@progbits,_ZN7rocprim17ROCPRIM_400000_NS6detail17trampoline_kernelINS0_14default_configENS1_25partition_config_selectorILNS1_17partition_subalgoE8ElNS0_10empty_typeEbEEZZNS1_14partition_implILS5_8ELb0ES3_jPlPS6_PKS6_NS0_5tupleIJS9_S6_EEENSD_IJSA_SA_EEENS0_18inequality_wrapperIZN2at6native12_GLOBAL__N_124unique_dim_cuda_templateIsEESt5tupleIJNSH_6TensorESM_SM_EERKSM_lbbbEUlllE0_EEPmJS6_EEE10hipError_tPvRmT3_T4_T5_T6_T7_T9_mT8_P12ihipStream_tbDpT10_ENKUlT_T0_E_clISt17integral_constantIbLb1EES1C_EEDaS17_S18_EUlS17_E_NS1_11comp_targetILNS1_3genE10ELNS1_11target_archE1200ELNS1_3gpuE4ELNS1_3repE0EEENS1_30default_config_static_selectorELNS0_4arch9wavefront6targetE0EEEvT1_,comdat
	.globl	_ZN7rocprim17ROCPRIM_400000_NS6detail17trampoline_kernelINS0_14default_configENS1_25partition_config_selectorILNS1_17partition_subalgoE8ElNS0_10empty_typeEbEEZZNS1_14partition_implILS5_8ELb0ES3_jPlPS6_PKS6_NS0_5tupleIJS9_S6_EEENSD_IJSA_SA_EEENS0_18inequality_wrapperIZN2at6native12_GLOBAL__N_124unique_dim_cuda_templateIsEESt5tupleIJNSH_6TensorESM_SM_EERKSM_lbbbEUlllE0_EEPmJS6_EEE10hipError_tPvRmT3_T4_T5_T6_T7_T9_mT8_P12ihipStream_tbDpT10_ENKUlT_T0_E_clISt17integral_constantIbLb1EES1C_EEDaS17_S18_EUlS17_E_NS1_11comp_targetILNS1_3genE10ELNS1_11target_archE1200ELNS1_3gpuE4ELNS1_3repE0EEENS1_30default_config_static_selectorELNS0_4arch9wavefront6targetE0EEEvT1_ ; -- Begin function _ZN7rocprim17ROCPRIM_400000_NS6detail17trampoline_kernelINS0_14default_configENS1_25partition_config_selectorILNS1_17partition_subalgoE8ElNS0_10empty_typeEbEEZZNS1_14partition_implILS5_8ELb0ES3_jPlPS6_PKS6_NS0_5tupleIJS9_S6_EEENSD_IJSA_SA_EEENS0_18inequality_wrapperIZN2at6native12_GLOBAL__N_124unique_dim_cuda_templateIsEESt5tupleIJNSH_6TensorESM_SM_EERKSM_lbbbEUlllE0_EEPmJS6_EEE10hipError_tPvRmT3_T4_T5_T6_T7_T9_mT8_P12ihipStream_tbDpT10_ENKUlT_T0_E_clISt17integral_constantIbLb1EES1C_EEDaS17_S18_EUlS17_E_NS1_11comp_targetILNS1_3genE10ELNS1_11target_archE1200ELNS1_3gpuE4ELNS1_3repE0EEENS1_30default_config_static_selectorELNS0_4arch9wavefront6targetE0EEEvT1_
	.p2align	8
	.type	_ZN7rocprim17ROCPRIM_400000_NS6detail17trampoline_kernelINS0_14default_configENS1_25partition_config_selectorILNS1_17partition_subalgoE8ElNS0_10empty_typeEbEEZZNS1_14partition_implILS5_8ELb0ES3_jPlPS6_PKS6_NS0_5tupleIJS9_S6_EEENSD_IJSA_SA_EEENS0_18inequality_wrapperIZN2at6native12_GLOBAL__N_124unique_dim_cuda_templateIsEESt5tupleIJNSH_6TensorESM_SM_EERKSM_lbbbEUlllE0_EEPmJS6_EEE10hipError_tPvRmT3_T4_T5_T6_T7_T9_mT8_P12ihipStream_tbDpT10_ENKUlT_T0_E_clISt17integral_constantIbLb1EES1C_EEDaS17_S18_EUlS17_E_NS1_11comp_targetILNS1_3genE10ELNS1_11target_archE1200ELNS1_3gpuE4ELNS1_3repE0EEENS1_30default_config_static_selectorELNS0_4arch9wavefront6targetE0EEEvT1_,@function
_ZN7rocprim17ROCPRIM_400000_NS6detail17trampoline_kernelINS0_14default_configENS1_25partition_config_selectorILNS1_17partition_subalgoE8ElNS0_10empty_typeEbEEZZNS1_14partition_implILS5_8ELb0ES3_jPlPS6_PKS6_NS0_5tupleIJS9_S6_EEENSD_IJSA_SA_EEENS0_18inequality_wrapperIZN2at6native12_GLOBAL__N_124unique_dim_cuda_templateIsEESt5tupleIJNSH_6TensorESM_SM_EERKSM_lbbbEUlllE0_EEPmJS6_EEE10hipError_tPvRmT3_T4_T5_T6_T7_T9_mT8_P12ihipStream_tbDpT10_ENKUlT_T0_E_clISt17integral_constantIbLb1EES1C_EEDaS17_S18_EUlS17_E_NS1_11comp_targetILNS1_3genE10ELNS1_11target_archE1200ELNS1_3gpuE4ELNS1_3repE0EEENS1_30default_config_static_selectorELNS0_4arch9wavefront6targetE0EEEvT1_: ; @_ZN7rocprim17ROCPRIM_400000_NS6detail17trampoline_kernelINS0_14default_configENS1_25partition_config_selectorILNS1_17partition_subalgoE8ElNS0_10empty_typeEbEEZZNS1_14partition_implILS5_8ELb0ES3_jPlPS6_PKS6_NS0_5tupleIJS9_S6_EEENSD_IJSA_SA_EEENS0_18inequality_wrapperIZN2at6native12_GLOBAL__N_124unique_dim_cuda_templateIsEESt5tupleIJNSH_6TensorESM_SM_EERKSM_lbbbEUlllE0_EEPmJS6_EEE10hipError_tPvRmT3_T4_T5_T6_T7_T9_mT8_P12ihipStream_tbDpT10_ENKUlT_T0_E_clISt17integral_constantIbLb1EES1C_EEDaS17_S18_EUlS17_E_NS1_11comp_targetILNS1_3genE10ELNS1_11target_archE1200ELNS1_3gpuE4ELNS1_3repE0EEENS1_30default_config_static_selectorELNS0_4arch9wavefront6targetE0EEEvT1_
; %bb.0:
	.section	.rodata,"a",@progbits
	.p2align	6, 0x0
	.amdhsa_kernel _ZN7rocprim17ROCPRIM_400000_NS6detail17trampoline_kernelINS0_14default_configENS1_25partition_config_selectorILNS1_17partition_subalgoE8ElNS0_10empty_typeEbEEZZNS1_14partition_implILS5_8ELb0ES3_jPlPS6_PKS6_NS0_5tupleIJS9_S6_EEENSD_IJSA_SA_EEENS0_18inequality_wrapperIZN2at6native12_GLOBAL__N_124unique_dim_cuda_templateIsEESt5tupleIJNSH_6TensorESM_SM_EERKSM_lbbbEUlllE0_EEPmJS6_EEE10hipError_tPvRmT3_T4_T5_T6_T7_T9_mT8_P12ihipStream_tbDpT10_ENKUlT_T0_E_clISt17integral_constantIbLb1EES1C_EEDaS17_S18_EUlS17_E_NS1_11comp_targetILNS1_3genE10ELNS1_11target_archE1200ELNS1_3gpuE4ELNS1_3repE0EEENS1_30default_config_static_selectorELNS0_4arch9wavefront6targetE0EEEvT1_
		.amdhsa_group_segment_fixed_size 0
		.amdhsa_private_segment_fixed_size 0
		.amdhsa_kernarg_size 136
		.amdhsa_user_sgpr_count 15
		.amdhsa_user_sgpr_dispatch_ptr 0
		.amdhsa_user_sgpr_queue_ptr 0
		.amdhsa_user_sgpr_kernarg_segment_ptr 1
		.amdhsa_user_sgpr_dispatch_id 0
		.amdhsa_user_sgpr_private_segment_size 0
		.amdhsa_wavefront_size32 1
		.amdhsa_uses_dynamic_stack 0
		.amdhsa_enable_private_segment 0
		.amdhsa_system_sgpr_workgroup_id_x 1
		.amdhsa_system_sgpr_workgroup_id_y 0
		.amdhsa_system_sgpr_workgroup_id_z 0
		.amdhsa_system_sgpr_workgroup_info 0
		.amdhsa_system_vgpr_workitem_id 0
		.amdhsa_next_free_vgpr 1
		.amdhsa_next_free_sgpr 1
		.amdhsa_reserve_vcc 0
		.amdhsa_float_round_mode_32 0
		.amdhsa_float_round_mode_16_64 0
		.amdhsa_float_denorm_mode_32 3
		.amdhsa_float_denorm_mode_16_64 3
		.amdhsa_dx10_clamp 1
		.amdhsa_ieee_mode 1
		.amdhsa_fp16_overflow 0
		.amdhsa_workgroup_processor_mode 1
		.amdhsa_memory_ordered 1
		.amdhsa_forward_progress 0
		.amdhsa_shared_vgpr_count 0
		.amdhsa_exception_fp_ieee_invalid_op 0
		.amdhsa_exception_fp_denorm_src 0
		.amdhsa_exception_fp_ieee_div_zero 0
		.amdhsa_exception_fp_ieee_overflow 0
		.amdhsa_exception_fp_ieee_underflow 0
		.amdhsa_exception_fp_ieee_inexact 0
		.amdhsa_exception_int_div_zero 0
	.end_amdhsa_kernel
	.section	.text._ZN7rocprim17ROCPRIM_400000_NS6detail17trampoline_kernelINS0_14default_configENS1_25partition_config_selectorILNS1_17partition_subalgoE8ElNS0_10empty_typeEbEEZZNS1_14partition_implILS5_8ELb0ES3_jPlPS6_PKS6_NS0_5tupleIJS9_S6_EEENSD_IJSA_SA_EEENS0_18inequality_wrapperIZN2at6native12_GLOBAL__N_124unique_dim_cuda_templateIsEESt5tupleIJNSH_6TensorESM_SM_EERKSM_lbbbEUlllE0_EEPmJS6_EEE10hipError_tPvRmT3_T4_T5_T6_T7_T9_mT8_P12ihipStream_tbDpT10_ENKUlT_T0_E_clISt17integral_constantIbLb1EES1C_EEDaS17_S18_EUlS17_E_NS1_11comp_targetILNS1_3genE10ELNS1_11target_archE1200ELNS1_3gpuE4ELNS1_3repE0EEENS1_30default_config_static_selectorELNS0_4arch9wavefront6targetE0EEEvT1_,"axG",@progbits,_ZN7rocprim17ROCPRIM_400000_NS6detail17trampoline_kernelINS0_14default_configENS1_25partition_config_selectorILNS1_17partition_subalgoE8ElNS0_10empty_typeEbEEZZNS1_14partition_implILS5_8ELb0ES3_jPlPS6_PKS6_NS0_5tupleIJS9_S6_EEENSD_IJSA_SA_EEENS0_18inequality_wrapperIZN2at6native12_GLOBAL__N_124unique_dim_cuda_templateIsEESt5tupleIJNSH_6TensorESM_SM_EERKSM_lbbbEUlllE0_EEPmJS6_EEE10hipError_tPvRmT3_T4_T5_T6_T7_T9_mT8_P12ihipStream_tbDpT10_ENKUlT_T0_E_clISt17integral_constantIbLb1EES1C_EEDaS17_S18_EUlS17_E_NS1_11comp_targetILNS1_3genE10ELNS1_11target_archE1200ELNS1_3gpuE4ELNS1_3repE0EEENS1_30default_config_static_selectorELNS0_4arch9wavefront6targetE0EEEvT1_,comdat
.Lfunc_end698:
	.size	_ZN7rocprim17ROCPRIM_400000_NS6detail17trampoline_kernelINS0_14default_configENS1_25partition_config_selectorILNS1_17partition_subalgoE8ElNS0_10empty_typeEbEEZZNS1_14partition_implILS5_8ELb0ES3_jPlPS6_PKS6_NS0_5tupleIJS9_S6_EEENSD_IJSA_SA_EEENS0_18inequality_wrapperIZN2at6native12_GLOBAL__N_124unique_dim_cuda_templateIsEESt5tupleIJNSH_6TensorESM_SM_EERKSM_lbbbEUlllE0_EEPmJS6_EEE10hipError_tPvRmT3_T4_T5_T6_T7_T9_mT8_P12ihipStream_tbDpT10_ENKUlT_T0_E_clISt17integral_constantIbLb1EES1C_EEDaS17_S18_EUlS17_E_NS1_11comp_targetILNS1_3genE10ELNS1_11target_archE1200ELNS1_3gpuE4ELNS1_3repE0EEENS1_30default_config_static_selectorELNS0_4arch9wavefront6targetE0EEEvT1_, .Lfunc_end698-_ZN7rocprim17ROCPRIM_400000_NS6detail17trampoline_kernelINS0_14default_configENS1_25partition_config_selectorILNS1_17partition_subalgoE8ElNS0_10empty_typeEbEEZZNS1_14partition_implILS5_8ELb0ES3_jPlPS6_PKS6_NS0_5tupleIJS9_S6_EEENSD_IJSA_SA_EEENS0_18inequality_wrapperIZN2at6native12_GLOBAL__N_124unique_dim_cuda_templateIsEESt5tupleIJNSH_6TensorESM_SM_EERKSM_lbbbEUlllE0_EEPmJS6_EEE10hipError_tPvRmT3_T4_T5_T6_T7_T9_mT8_P12ihipStream_tbDpT10_ENKUlT_T0_E_clISt17integral_constantIbLb1EES1C_EEDaS17_S18_EUlS17_E_NS1_11comp_targetILNS1_3genE10ELNS1_11target_archE1200ELNS1_3gpuE4ELNS1_3repE0EEENS1_30default_config_static_selectorELNS0_4arch9wavefront6targetE0EEEvT1_
                                        ; -- End function
	.section	.AMDGPU.csdata,"",@progbits
; Kernel info:
; codeLenInByte = 0
; NumSgprs: 0
; NumVgprs: 0
; ScratchSize: 0
; MemoryBound: 0
; FloatMode: 240
; IeeeMode: 1
; LDSByteSize: 0 bytes/workgroup (compile time only)
; SGPRBlocks: 0
; VGPRBlocks: 0
; NumSGPRsForWavesPerEU: 1
; NumVGPRsForWavesPerEU: 1
; Occupancy: 15
; WaveLimiterHint : 0
; COMPUTE_PGM_RSRC2:SCRATCH_EN: 0
; COMPUTE_PGM_RSRC2:USER_SGPR: 15
; COMPUTE_PGM_RSRC2:TRAP_HANDLER: 0
; COMPUTE_PGM_RSRC2:TGID_X_EN: 1
; COMPUTE_PGM_RSRC2:TGID_Y_EN: 0
; COMPUTE_PGM_RSRC2:TGID_Z_EN: 0
; COMPUTE_PGM_RSRC2:TIDIG_COMP_CNT: 0
	.section	.text._ZN7rocprim17ROCPRIM_400000_NS6detail17trampoline_kernelINS0_14default_configENS1_25partition_config_selectorILNS1_17partition_subalgoE8ElNS0_10empty_typeEbEEZZNS1_14partition_implILS5_8ELb0ES3_jPlPS6_PKS6_NS0_5tupleIJS9_S6_EEENSD_IJSA_SA_EEENS0_18inequality_wrapperIZN2at6native12_GLOBAL__N_124unique_dim_cuda_templateIsEESt5tupleIJNSH_6TensorESM_SM_EERKSM_lbbbEUlllE0_EEPmJS6_EEE10hipError_tPvRmT3_T4_T5_T6_T7_T9_mT8_P12ihipStream_tbDpT10_ENKUlT_T0_E_clISt17integral_constantIbLb1EES1C_EEDaS17_S18_EUlS17_E_NS1_11comp_targetILNS1_3genE9ELNS1_11target_archE1100ELNS1_3gpuE3ELNS1_3repE0EEENS1_30default_config_static_selectorELNS0_4arch9wavefront6targetE0EEEvT1_,"axG",@progbits,_ZN7rocprim17ROCPRIM_400000_NS6detail17trampoline_kernelINS0_14default_configENS1_25partition_config_selectorILNS1_17partition_subalgoE8ElNS0_10empty_typeEbEEZZNS1_14partition_implILS5_8ELb0ES3_jPlPS6_PKS6_NS0_5tupleIJS9_S6_EEENSD_IJSA_SA_EEENS0_18inequality_wrapperIZN2at6native12_GLOBAL__N_124unique_dim_cuda_templateIsEESt5tupleIJNSH_6TensorESM_SM_EERKSM_lbbbEUlllE0_EEPmJS6_EEE10hipError_tPvRmT3_T4_T5_T6_T7_T9_mT8_P12ihipStream_tbDpT10_ENKUlT_T0_E_clISt17integral_constantIbLb1EES1C_EEDaS17_S18_EUlS17_E_NS1_11comp_targetILNS1_3genE9ELNS1_11target_archE1100ELNS1_3gpuE3ELNS1_3repE0EEENS1_30default_config_static_selectorELNS0_4arch9wavefront6targetE0EEEvT1_,comdat
	.globl	_ZN7rocprim17ROCPRIM_400000_NS6detail17trampoline_kernelINS0_14default_configENS1_25partition_config_selectorILNS1_17partition_subalgoE8ElNS0_10empty_typeEbEEZZNS1_14partition_implILS5_8ELb0ES3_jPlPS6_PKS6_NS0_5tupleIJS9_S6_EEENSD_IJSA_SA_EEENS0_18inequality_wrapperIZN2at6native12_GLOBAL__N_124unique_dim_cuda_templateIsEESt5tupleIJNSH_6TensorESM_SM_EERKSM_lbbbEUlllE0_EEPmJS6_EEE10hipError_tPvRmT3_T4_T5_T6_T7_T9_mT8_P12ihipStream_tbDpT10_ENKUlT_T0_E_clISt17integral_constantIbLb1EES1C_EEDaS17_S18_EUlS17_E_NS1_11comp_targetILNS1_3genE9ELNS1_11target_archE1100ELNS1_3gpuE3ELNS1_3repE0EEENS1_30default_config_static_selectorELNS0_4arch9wavefront6targetE0EEEvT1_ ; -- Begin function _ZN7rocprim17ROCPRIM_400000_NS6detail17trampoline_kernelINS0_14default_configENS1_25partition_config_selectorILNS1_17partition_subalgoE8ElNS0_10empty_typeEbEEZZNS1_14partition_implILS5_8ELb0ES3_jPlPS6_PKS6_NS0_5tupleIJS9_S6_EEENSD_IJSA_SA_EEENS0_18inequality_wrapperIZN2at6native12_GLOBAL__N_124unique_dim_cuda_templateIsEESt5tupleIJNSH_6TensorESM_SM_EERKSM_lbbbEUlllE0_EEPmJS6_EEE10hipError_tPvRmT3_T4_T5_T6_T7_T9_mT8_P12ihipStream_tbDpT10_ENKUlT_T0_E_clISt17integral_constantIbLb1EES1C_EEDaS17_S18_EUlS17_E_NS1_11comp_targetILNS1_3genE9ELNS1_11target_archE1100ELNS1_3gpuE3ELNS1_3repE0EEENS1_30default_config_static_selectorELNS0_4arch9wavefront6targetE0EEEvT1_
	.p2align	8
	.type	_ZN7rocprim17ROCPRIM_400000_NS6detail17trampoline_kernelINS0_14default_configENS1_25partition_config_selectorILNS1_17partition_subalgoE8ElNS0_10empty_typeEbEEZZNS1_14partition_implILS5_8ELb0ES3_jPlPS6_PKS6_NS0_5tupleIJS9_S6_EEENSD_IJSA_SA_EEENS0_18inequality_wrapperIZN2at6native12_GLOBAL__N_124unique_dim_cuda_templateIsEESt5tupleIJNSH_6TensorESM_SM_EERKSM_lbbbEUlllE0_EEPmJS6_EEE10hipError_tPvRmT3_T4_T5_T6_T7_T9_mT8_P12ihipStream_tbDpT10_ENKUlT_T0_E_clISt17integral_constantIbLb1EES1C_EEDaS17_S18_EUlS17_E_NS1_11comp_targetILNS1_3genE9ELNS1_11target_archE1100ELNS1_3gpuE3ELNS1_3repE0EEENS1_30default_config_static_selectorELNS0_4arch9wavefront6targetE0EEEvT1_,@function
_ZN7rocprim17ROCPRIM_400000_NS6detail17trampoline_kernelINS0_14default_configENS1_25partition_config_selectorILNS1_17partition_subalgoE8ElNS0_10empty_typeEbEEZZNS1_14partition_implILS5_8ELb0ES3_jPlPS6_PKS6_NS0_5tupleIJS9_S6_EEENSD_IJSA_SA_EEENS0_18inequality_wrapperIZN2at6native12_GLOBAL__N_124unique_dim_cuda_templateIsEESt5tupleIJNSH_6TensorESM_SM_EERKSM_lbbbEUlllE0_EEPmJS6_EEE10hipError_tPvRmT3_T4_T5_T6_T7_T9_mT8_P12ihipStream_tbDpT10_ENKUlT_T0_E_clISt17integral_constantIbLb1EES1C_EEDaS17_S18_EUlS17_E_NS1_11comp_targetILNS1_3genE9ELNS1_11target_archE1100ELNS1_3gpuE3ELNS1_3repE0EEENS1_30default_config_static_selectorELNS0_4arch9wavefront6targetE0EEEvT1_: ; @_ZN7rocprim17ROCPRIM_400000_NS6detail17trampoline_kernelINS0_14default_configENS1_25partition_config_selectorILNS1_17partition_subalgoE8ElNS0_10empty_typeEbEEZZNS1_14partition_implILS5_8ELb0ES3_jPlPS6_PKS6_NS0_5tupleIJS9_S6_EEENSD_IJSA_SA_EEENS0_18inequality_wrapperIZN2at6native12_GLOBAL__N_124unique_dim_cuda_templateIsEESt5tupleIJNSH_6TensorESM_SM_EERKSM_lbbbEUlllE0_EEPmJS6_EEE10hipError_tPvRmT3_T4_T5_T6_T7_T9_mT8_P12ihipStream_tbDpT10_ENKUlT_T0_E_clISt17integral_constantIbLb1EES1C_EEDaS17_S18_EUlS17_E_NS1_11comp_targetILNS1_3genE9ELNS1_11target_archE1100ELNS1_3gpuE3ELNS1_3repE0EEENS1_30default_config_static_selectorELNS0_4arch9wavefront6targetE0EEEvT1_
; %bb.0:
	s_clause 0x2
	s_load_b64 s[20:21], s[0:1], 0x28
	s_load_b256 s[8:15], s[0:1], 0x40
	s_load_b128 s[16:19], s[0:1], 0x60
	v_cmp_ne_u32_e64 s3, 0, v0
	v_cmp_eq_u32_e64 s2, 0, v0
	s_delay_alu instid0(VALU_DEP_1)
	s_and_saveexec_b32 s4, s2
	s_cbranch_execz .LBB699_4
; %bb.1:
	s_mov_b32 s6, exec_lo
	s_mov_b32 s5, exec_lo
	v_mbcnt_lo_u32_b32 v1, s6, 0
                                        ; implicit-def: $vgpr2
	s_delay_alu instid0(VALU_DEP_1)
	v_cmpx_eq_u32_e32 0, v1
	s_cbranch_execz .LBB699_3
; %bb.2:
	s_load_b64 s[22:23], s[0:1], 0x78
	s_bcnt1_i32_b32 s6, s6
	s_delay_alu instid0(SALU_CYCLE_1)
	v_dual_mov_b32 v2, 0 :: v_dual_mov_b32 v3, s6
	s_waitcnt lgkmcnt(0)
	global_atomic_add_u32 v2, v2, v3, s[22:23] glc
.LBB699_3:
	s_or_b32 exec_lo, exec_lo, s5
	s_waitcnt vmcnt(0)
	v_readfirstlane_b32 s5, v2
	s_delay_alu instid0(VALU_DEP_1)
	v_dual_mov_b32 v2, 0 :: v_dual_add_nc_u32 v1, s5, v1
	ds_store_b32 v2, v1
.LBB699_4:
	s_or_b32 exec_lo, exec_lo, s4
	v_dual_mov_b32 v2, 0 :: v_dual_lshlrev_b32 v39, 3, v0
	s_clause 0x1
	s_load_b128 s[4:7], s[0:1], 0x8
	s_load_b32 s0, s[0:1], 0x70
	s_waitcnt lgkmcnt(0)
	s_barrier
	buffer_gl0_inv
	ds_load_b32 v1, v2
	s_waitcnt lgkmcnt(0)
	s_barrier
	buffer_gl0_inv
	global_load_b64 v[3:4], v2, s[10:11]
	v_lshrrev_b32_e32 v19, 2, v0
	v_or_b32_e32 v26, 0x200, v0
	v_or_b32_e32 v25, 0x400, v0
	;; [unrolled: 1-line block ×7, first 2 shown]
	s_lshl_b64 s[10:11], s[6:7], 3
	s_delay_alu instid0(SALU_CYCLE_1)
	s_add_u32 s10, s4, s10
	s_addc_u32 s11, s5, s11
	s_add_i32 s1, s0, -1
	v_readfirstlane_b32 s23, v1
	s_lshl_b32 s4, s1, 12
	v_lshlrev_b32_e32 v1, 12, v1
	s_lshl_b32 s5, s0, 12
	s_add_i32 s0, s6, s4
	s_add_u32 s4, s6, s5
	s_addc_u32 s5, s7, 0
	v_lshlrev_b64 v[1:2], 3, v[1:2]
	v_cmp_ge_u64_e64 s4, s[4:5], s[12:13]
	s_cmp_eq_u32 s23, s1
	s_cselect_b32 s13, -1, 0
	s_delay_alu instid0(VALU_DEP_2) | instskip(NEXT) | instid1(VALU_DEP_2)
	v_add_co_u32 v17, vcc_lo, s10, v1
	s_and_b32 s1, s4, s13
	v_add_co_ci_u32_e32 v18, vcc_lo, s11, v2, vcc_lo
	s_xor_b32 s22, s1, -1
	s_mov_b32 s4, -1
	s_and_b32 vcc_lo, exec_lo, s22
	s_waitcnt vmcnt(0)
	v_readfirstlane_b32 s10, v3
	v_readfirstlane_b32 s11, v4
	s_cbranch_vccz .LBB699_6
; %bb.5:
	v_add_co_u32 v9, vcc_lo, v17, v39
	v_add_co_ci_u32_e32 v10, vcc_lo, 0, v18, vcc_lo
	v_readfirstlane_b32 s4, v17
	s_delay_alu instid0(VALU_DEP_3) | instskip(NEXT) | instid1(VALU_DEP_3)
	v_add_co_u32 v3, vcc_lo, v9, 0x2000
	v_add_co_ci_u32_e32 v4, vcc_lo, 0, v10, vcc_lo
	v_add_co_u32 v5, vcc_lo, v9, 0x4000
	v_add_co_ci_u32_e32 v6, vcc_lo, 0, v10, vcc_lo
	v_add_co_u32 v7, vcc_lo, v9, 0x6000
	v_readfirstlane_b32 s5, v18
	v_add_co_ci_u32_e32 v8, vcc_lo, 0, v10, vcc_lo
	v_add_co_u32 v9, vcc_lo, 0x7000, v9
	v_add_co_ci_u32_e32 v10, vcc_lo, 0, v10, vcc_lo
	s_clause 0x7
	global_load_b64 v[1:2], v39, s[4:5]
	global_load_b64 v[11:12], v[3:4], off offset:-4096
	global_load_b64 v[3:4], v[3:4], off
	global_load_b64 v[13:14], v[5:6], off offset:-4096
	global_load_b64 v[5:6], v[5:6], off
	;; [unrolled: 2-line block ×3, first 2 shown]
	global_load_b64 v[9:10], v[9:10], off
	v_lshrrev_b32_e32 v28, 2, v26
	v_lshrrev_b32_e32 v29, 2, v25
	;; [unrolled: 1-line block ×4, first 2 shown]
	v_and_b32_e32 v27, 0x78, v19
	v_lshrrev_b32_e32 v32, 2, v22
	v_lshrrev_b32_e32 v33, 2, v21
	;; [unrolled: 1-line block ×3, first 2 shown]
	v_and_b32_e32 v28, 0xf8, v28
	v_and_b32_e32 v29, 0x178, v29
	;; [unrolled: 1-line block ×4, first 2 shown]
	v_add_nc_u32_e32 v27, v27, v39
	v_and_b32_e32 v32, 0x2f8, v32
	v_and_b32_e32 v33, 0x378, v33
	;; [unrolled: 1-line block ×3, first 2 shown]
	v_add_nc_u32_e32 v28, v28, v39
	v_add_nc_u32_e32 v29, v29, v39
	;; [unrolled: 1-line block ×4, first 2 shown]
	s_mov_b32 s4, 0
	v_add_nc_u32_e32 v32, v32, v39
	v_add_nc_u32_e32 v33, v33, v39
	;; [unrolled: 1-line block ×3, first 2 shown]
	s_waitcnt vmcnt(7)
	ds_store_b64 v27, v[1:2]
	s_waitcnt vmcnt(6)
	ds_store_b64 v28, v[11:12] offset:4096
	s_waitcnt vmcnt(5)
	ds_store_b64 v29, v[3:4] offset:8192
	;; [unrolled: 2-line block ×7, first 2 shown]
	s_waitcnt lgkmcnt(0)
	s_barrier
.LBB699_6:
	s_and_not1_b32 vcc_lo, exec_lo, s4
	s_sub_i32 s12, s12, s0
	s_cbranch_vccnz .LBB699_17
; %bb.7:
	s_mov_b32 s0, exec_lo
                                        ; implicit-def: $vgpr1_vgpr2_vgpr3_vgpr4_vgpr5_vgpr6_vgpr7_vgpr8_vgpr9_vgpr10_vgpr11_vgpr12_vgpr13_vgpr14_vgpr15_vgpr16
	v_cmpx_gt_u32_e64 s12, v0
	s_cbranch_execnz .LBB699_27
; %bb.8:
	s_or_b32 exec_lo, exec_lo, s0
	s_delay_alu instid0(SALU_CYCLE_1)
	s_mov_b32 s0, exec_lo
	v_cmpx_gt_u32_e64 s12, v26
	s_cbranch_execnz .LBB699_28
.LBB699_9:
	s_or_b32 exec_lo, exec_lo, s0
	s_delay_alu instid0(SALU_CYCLE_1)
	s_mov_b32 s0, exec_lo
	v_cmpx_gt_u32_e64 s12, v25
	s_cbranch_execnz .LBB699_29
.LBB699_10:
	s_or_b32 exec_lo, exec_lo, s0
	s_delay_alu instid0(SALU_CYCLE_1)
	s_mov_b32 s0, exec_lo
	v_cmpx_gt_u32_e64 s12, v24
	s_cbranch_execnz .LBB699_30
.LBB699_11:
	s_or_b32 exec_lo, exec_lo, s0
	s_delay_alu instid0(SALU_CYCLE_1)
	s_mov_b32 s0, exec_lo
	v_cmpx_gt_u32_e64 s12, v23
	s_cbranch_execnz .LBB699_31
.LBB699_12:
	s_or_b32 exec_lo, exec_lo, s0
	s_delay_alu instid0(SALU_CYCLE_1)
	s_mov_b32 s0, exec_lo
	v_cmpx_gt_u32_e64 s12, v22
	s_cbranch_execnz .LBB699_32
.LBB699_13:
	s_or_b32 exec_lo, exec_lo, s0
	s_delay_alu instid0(SALU_CYCLE_1)
	s_mov_b32 s0, exec_lo
	v_cmpx_gt_u32_e64 s12, v21
	s_cbranch_execnz .LBB699_33
.LBB699_14:
	s_or_b32 exec_lo, exec_lo, s0
	s_delay_alu instid0(SALU_CYCLE_1)
	s_mov_b32 s0, exec_lo
	v_cmpx_gt_u32_e64 s12, v20
	s_cbranch_execz .LBB699_16
.LBB699_15:
	v_lshlrev_b32_e32 v15, 3, v20
	v_readfirstlane_b32 s4, v17
	v_readfirstlane_b32 s5, v18
	global_load_b64 v[15:16], v15, s[4:5]
.LBB699_16:
	s_or_b32 exec_lo, exec_lo, s0
	v_lshrrev_b32_e32 v26, 2, v26
	v_lshrrev_b32_e32 v25, 2, v25
	v_lshrrev_b32_e32 v24, 2, v24
	v_lshrrev_b32_e32 v23, 2, v23
	v_and_b32_e32 v27, 0x78, v19
	v_lshrrev_b32_e32 v22, 2, v22
	v_lshrrev_b32_e32 v21, 2, v21
	;; [unrolled: 1-line block ×3, first 2 shown]
	v_and_b32_e32 v26, 0xf8, v26
	v_and_b32_e32 v25, 0x1f8, v25
	;; [unrolled: 1-line block ×4, first 2 shown]
	v_add_nc_u32_e32 v27, v27, v39
	v_and_b32_e32 v22, 0x3f8, v22
	v_and_b32_e32 v21, 0x3f8, v21
	;; [unrolled: 1-line block ×3, first 2 shown]
	v_add_nc_u32_e32 v26, v26, v39
	v_add_nc_u32_e32 v25, v25, v39
	;; [unrolled: 1-line block ×7, first 2 shown]
	s_waitcnt vmcnt(0)
	ds_store_b64 v27, v[1:2]
	ds_store_b64 v26, v[3:4] offset:4096
	ds_store_b64 v25, v[5:6] offset:8192
	;; [unrolled: 1-line block ×7, first 2 shown]
	s_waitcnt lgkmcnt(0)
	s_barrier
.LBB699_17:
	v_add_lshl_u32 v1, v19, v39, 3
	buffer_gl0_inv
	s_cmp_lg_u32 s23, 0
	v_cmp_gt_i64_e64 s26, s[14:15], 0
	s_cselect_b32 s24, -1, 0
	ds_load_2addr_b64 v[13:16], v1 offset1:1
	ds_load_2addr_b64 v[9:12], v1 offset0:2 offset1:3
	ds_load_2addr_b64 v[5:8], v1 offset0:4 offset1:5
	;; [unrolled: 1-line block ×3, first 2 shown]
	s_cmp_lg_u64 s[6:7], 0
	s_mov_b32 s25, 0
	s_cselect_b32 s0, -1, 0
	s_waitcnt lgkmcnt(0)
	s_or_b32 s0, s0, s24
	s_barrier
	s_and_b32 vcc_lo, exec_lo, s0
	buffer_gl0_inv
	s_cbranch_vccz .LBB699_26
; %bb.18:
	global_load_b64 v[17:18], v[17:18], off offset:-8
	v_cndmask_b32_e64 v27, 0, 1, s26
	s_and_b32 vcc_lo, exec_lo, s22
	ds_store_b64 v39, v[3:4]
	v_cmp_ne_u32_e64 s0, 1, v27
	s_cbranch_vccz .LBB699_34
; %bb.19:
	v_mul_lo_u32 v21, v2, s14
	v_mul_lo_u32 v22, v1, s15
	v_mad_u64_u32 v[19:20], null, v1, s14, 0
	s_and_b32 vcc_lo, exec_lo, s0
	s_mov_b32 s27, 0
	s_delay_alu instid0(VALU_DEP_1) | instskip(NEXT) | instid1(VALU_DEP_1)
	v_add3_u32 v20, v20, v22, v21
	v_lshlrev_b64 v[19:20], 1, v[19:20]
	s_cbranch_vccnz .LBB699_37
; %bb.20:
	v_mul_lo_u32 v23, v4, s14
	v_mul_lo_u32 v24, v3, s15
	v_mad_u64_u32 v[21:22], null, v3, s14, 0
	s_mov_b32 s27, -1
	s_mov_b32 s28, exec_lo
	s_delay_alu instid0(VALU_DEP_1) | instskip(SKIP_2) | instid1(VALU_DEP_3)
	v_add3_u32 v22, v22, v24, v23
	v_add_co_u32 v23, vcc_lo, s16, v19
	v_add_co_ci_u32_e32 v24, vcc_lo, s17, v20, vcc_lo
	v_lshlrev_b64 v[21:22], 1, v[21:22]
	s_delay_alu instid0(VALU_DEP_1) | instskip(NEXT) | instid1(VALU_DEP_2)
	v_add_co_u32 v21, vcc_lo, s16, v21
	v_add_co_ci_u32_e32 v22, vcc_lo, s17, v22, vcc_lo
	s_clause 0x1
	global_load_u16 v25, v[23:24], off
	global_load_u16 v26, v[21:22], off
	s_waitcnt vmcnt(0)
	v_cmpx_eq_u16_e64 v25, v26
	s_cbranch_execz .LBB699_36
; %bb.21:
	v_add_co_u32 v21, vcc_lo, v21, 2
	v_add_co_ci_u32_e32 v22, vcc_lo, 0, v22, vcc_lo
	v_add_co_u32 v23, vcc_lo, v23, 2
	v_add_co_ci_u32_e32 v24, vcc_lo, 0, v24, vcc_lo
	s_add_u32 s4, s14, -1
	s_addc_u32 s5, s15, -1
	s_mov_b64 s[6:7], 0
	s_mov_b32 s27, 0
                                        ; implicit-def: $sgpr29
	s_set_inst_prefetch_distance 0x1
	s_branch .LBB699_24
	.p2align	6
.LBB699_22:                             ;   in Loop: Header=BB699_24 Depth=1
	global_load_u16 v25, v[23:24], off
	global_load_u16 v26, v[21:22], off
	v_add_co_u32 v21, vcc_lo, v21, 2
	v_add_co_ci_u32_e32 v22, vcc_lo, 0, v22, vcc_lo
	v_add_co_u32 v23, s0, v23, 2
	s_delay_alu instid0(VALU_DEP_1)
	v_add_co_ci_u32_e64 v24, s0, 0, v24, s0
	s_add_u32 s6, s6, 1
	s_addc_u32 s7, s7, 0
	s_and_not1_b32 s0, s29, exec_lo
	s_waitcnt vmcnt(0)
	v_cmp_ne_u16_e32 vcc_lo, v25, v26
	s_and_b32 s29, vcc_lo, exec_lo
	s_delay_alu instid0(SALU_CYCLE_1)
	s_or_b32 s29, s0, s29
.LBB699_23:                             ;   in Loop: Header=BB699_24 Depth=1
	v_dual_mov_b32 v26, s7 :: v_dual_mov_b32 v25, s6
	s_and_b32 s0, exec_lo, s29
	s_delay_alu instid0(SALU_CYCLE_1) | instskip(NEXT) | instid1(SALU_CYCLE_1)
	s_or_b32 s27, s0, s27
	s_and_not1_b32 exec_lo, exec_lo, s27
	s_cbranch_execz .LBB699_35
.LBB699_24:                             ; =>This Inner Loop Header: Depth=1
	s_or_b32 s29, s29, exec_lo
	s_cmp_eq_u64 s[4:5], s[6:7]
	s_cbranch_scc0 .LBB699_22
; %bb.25:                               ;   in Loop: Header=BB699_24 Depth=1
	s_mov_b64 s[6:7], s[14:15]
                                        ; implicit-def: $vgpr21_vgpr22
                                        ; implicit-def: $vgpr23_vgpr24
	s_branch .LBB699_23
.LBB699_26:
                                        ; implicit-def: $sgpr0
                                        ; implicit-def: $vgpr20
	s_branch .LBB699_195
.LBB699_27:
	v_readfirstlane_b32 s4, v17
	v_readfirstlane_b32 s5, v18
	global_load_b64 v[1:2], v39, s[4:5]
	s_or_b32 exec_lo, exec_lo, s0
	s_delay_alu instid0(SALU_CYCLE_1)
	s_mov_b32 s0, exec_lo
	v_cmpx_gt_u32_e64 s12, v26
	s_cbranch_execz .LBB699_9
.LBB699_28:
	v_lshlrev_b32_e32 v3, 3, v26
	v_readfirstlane_b32 s4, v17
	v_readfirstlane_b32 s5, v18
	global_load_b64 v[3:4], v3, s[4:5]
	s_or_b32 exec_lo, exec_lo, s0
	s_delay_alu instid0(SALU_CYCLE_1)
	s_mov_b32 s0, exec_lo
	v_cmpx_gt_u32_e64 s12, v25
	s_cbranch_execz .LBB699_10
.LBB699_29:
	v_lshlrev_b32_e32 v5, 3, v25
	v_readfirstlane_b32 s4, v17
	v_readfirstlane_b32 s5, v18
	global_load_b64 v[5:6], v5, s[4:5]
	s_or_b32 exec_lo, exec_lo, s0
	s_delay_alu instid0(SALU_CYCLE_1)
	s_mov_b32 s0, exec_lo
	v_cmpx_gt_u32_e64 s12, v24
	s_cbranch_execz .LBB699_11
.LBB699_30:
	v_lshlrev_b32_e32 v7, 3, v24
	v_readfirstlane_b32 s4, v17
	v_readfirstlane_b32 s5, v18
	global_load_b64 v[7:8], v7, s[4:5]
	s_or_b32 exec_lo, exec_lo, s0
	s_delay_alu instid0(SALU_CYCLE_1)
	s_mov_b32 s0, exec_lo
	v_cmpx_gt_u32_e64 s12, v23
	s_cbranch_execz .LBB699_12
.LBB699_31:
	v_lshlrev_b32_e32 v9, 3, v23
	v_readfirstlane_b32 s4, v17
	v_readfirstlane_b32 s5, v18
	global_load_b64 v[9:10], v9, s[4:5]
	s_or_b32 exec_lo, exec_lo, s0
	s_delay_alu instid0(SALU_CYCLE_1)
	s_mov_b32 s0, exec_lo
	v_cmpx_gt_u32_e64 s12, v22
	s_cbranch_execz .LBB699_13
.LBB699_32:
	v_lshlrev_b32_e32 v11, 3, v22
	v_readfirstlane_b32 s4, v17
	v_readfirstlane_b32 s5, v18
	global_load_b64 v[11:12], v11, s[4:5]
	s_or_b32 exec_lo, exec_lo, s0
	s_delay_alu instid0(SALU_CYCLE_1)
	s_mov_b32 s0, exec_lo
	v_cmpx_gt_u32_e64 s12, v21
	s_cbranch_execz .LBB699_14
.LBB699_33:
	v_lshlrev_b32_e32 v13, 3, v21
	v_readfirstlane_b32 s4, v17
	v_readfirstlane_b32 s5, v18
	global_load_b64 v[13:14], v13, s[4:5]
	s_or_b32 exec_lo, exec_lo, s0
	s_delay_alu instid0(SALU_CYCLE_1)
	s_mov_b32 s0, exec_lo
	v_cmpx_gt_u32_e64 s12, v20
	s_cbranch_execnz .LBB699_15
	s_branch .LBB699_16
.LBB699_34:
                                        ; implicit-def: $sgpr0
                                        ; implicit-def: $vgpr20
	s_cbranch_execnz .LBB699_103
	s_branch .LBB699_194
.LBB699_35:
	s_set_inst_prefetch_distance 0x2
	s_or_b32 exec_lo, exec_lo, s27
	v_cmp_gt_i64_e32 vcc_lo, s[14:15], v[25:26]
	s_or_not1_b32 s27, vcc_lo, exec_lo
.LBB699_36:
	s_or_b32 exec_lo, exec_lo, s28
.LBB699_37:
	v_mul_lo_u32 v23, v8, s14
	v_mul_lo_u32 v24, v7, s15
	v_mad_u64_u32 v[21:22], null, v7, s14, 0
	s_and_not1_b32 vcc_lo, exec_lo, s26
	s_delay_alu instid0(VALU_DEP_1) | instskip(NEXT) | instid1(VALU_DEP_1)
	v_add3_u32 v22, v22, v24, v23
	v_lshlrev_b64 v[21:22], 1, v[21:22]
	s_cbranch_vccnz .LBB699_46
; %bb.38:
	s_delay_alu instid0(VALU_DEP_1) | instskip(NEXT) | instid1(VALU_DEP_2)
	v_add_co_u32 v23, vcc_lo, s16, v21
	v_add_co_ci_u32_e32 v24, vcc_lo, s17, v22, vcc_lo
	v_add_co_u32 v19, vcc_lo, s16, v19
	v_add_co_ci_u32_e32 v20, vcc_lo, s17, v20, vcc_lo
	s_mov_b32 s25, -1
	s_clause 0x1
	global_load_u16 v25, v[23:24], off
	global_load_u16 v26, v[19:20], off
	s_mov_b32 s28, exec_lo
	s_waitcnt vmcnt(0)
	v_cmpx_eq_u16_e64 v25, v26
	s_cbranch_execz .LBB699_45
; %bb.39:
	v_add_co_u32 v19, vcc_lo, v19, 2
	v_add_co_ci_u32_e32 v20, vcc_lo, 0, v20, vcc_lo
	v_add_co_u32 v23, vcc_lo, v23, 2
	v_add_co_ci_u32_e32 v24, vcc_lo, 0, v24, vcc_lo
	s_add_u32 s4, s14, -1
	s_addc_u32 s5, s15, -1
	s_mov_b64 s[6:7], 0
	s_mov_b32 s25, 0
                                        ; implicit-def: $sgpr29
	s_set_inst_prefetch_distance 0x1
	s_branch .LBB699_42
	.p2align	6
.LBB699_40:                             ;   in Loop: Header=BB699_42 Depth=1
	global_load_u16 v25, v[23:24], off
	global_load_u16 v26, v[19:20], off
	v_add_co_u32 v19, vcc_lo, v19, 2
	v_add_co_ci_u32_e32 v20, vcc_lo, 0, v20, vcc_lo
	v_add_co_u32 v23, s0, v23, 2
	s_delay_alu instid0(VALU_DEP_1)
	v_add_co_ci_u32_e64 v24, s0, 0, v24, s0
	s_add_u32 s6, s6, 1
	s_addc_u32 s7, s7, 0
	s_and_not1_b32 s0, s29, exec_lo
	s_waitcnt vmcnt(0)
	v_cmp_ne_u16_e32 vcc_lo, v25, v26
	s_and_b32 s29, vcc_lo, exec_lo
	s_delay_alu instid0(SALU_CYCLE_1)
	s_or_b32 s29, s0, s29
.LBB699_41:                             ;   in Loop: Header=BB699_42 Depth=1
	v_dual_mov_b32 v26, s7 :: v_dual_mov_b32 v25, s6
	s_and_b32 s0, exec_lo, s29
	s_delay_alu instid0(SALU_CYCLE_1) | instskip(NEXT) | instid1(SALU_CYCLE_1)
	s_or_b32 s25, s0, s25
	s_and_not1_b32 exec_lo, exec_lo, s25
	s_cbranch_execz .LBB699_44
.LBB699_42:                             ; =>This Inner Loop Header: Depth=1
	s_or_b32 s29, s29, exec_lo
	s_cmp_eq_u64 s[4:5], s[6:7]
	s_cbranch_scc0 .LBB699_40
; %bb.43:                               ;   in Loop: Header=BB699_42 Depth=1
	s_mov_b64 s[6:7], s[14:15]
                                        ; implicit-def: $vgpr19_vgpr20
                                        ; implicit-def: $vgpr23_vgpr24
	s_branch .LBB699_41
.LBB699_44:
	s_set_inst_prefetch_distance 0x2
	s_or_b32 exec_lo, exec_lo, s25
	v_cmp_gt_i64_e32 vcc_lo, s[14:15], v[25:26]
	s_or_not1_b32 s25, vcc_lo, exec_lo
.LBB699_45:
	s_or_b32 exec_lo, exec_lo, s28
.LBB699_46:
	v_mul_lo_u32 v23, v6, s14
	v_mul_lo_u32 v24, v5, s15
	v_mad_u64_u32 v[19:20], null, v5, s14, 0
	s_mov_b32 s28, 0
	s_and_not1_b32 vcc_lo, exec_lo, s26
	s_mov_b32 s29, 0
	s_delay_alu instid0(VALU_DEP_1) | instskip(NEXT) | instid1(VALU_DEP_1)
	v_add3_u32 v20, v20, v24, v23
	v_lshlrev_b64 v[23:24], 1, v[19:20]
	s_cbranch_vccnz .LBB699_55
; %bb.47:
	s_delay_alu instid0(VALU_DEP_1) | instskip(NEXT) | instid1(VALU_DEP_2)
	v_add_co_u32 v25, vcc_lo, s16, v23
	v_add_co_ci_u32_e32 v26, vcc_lo, s17, v24, vcc_lo
	v_add_co_u32 v19, vcc_lo, s16, v21
	v_add_co_ci_u32_e32 v20, vcc_lo, s17, v22, vcc_lo
	s_mov_b32 s29, -1
	s_clause 0x1
	global_load_u16 v21, v[25:26], off
	global_load_u16 v22, v[19:20], off
	s_mov_b32 s30, exec_lo
	s_waitcnt vmcnt(0)
	v_cmpx_eq_u16_e64 v21, v22
	s_cbranch_execz .LBB699_54
; %bb.48:
	v_add_co_u32 v19, vcc_lo, v19, 2
	v_add_co_ci_u32_e32 v20, vcc_lo, 0, v20, vcc_lo
	v_add_co_u32 v21, vcc_lo, v25, 2
	v_add_co_ci_u32_e32 v22, vcc_lo, 0, v26, vcc_lo
	s_add_u32 s4, s14, -1
	s_addc_u32 s5, s15, -1
	s_mov_b64 s[6:7], 0
	s_mov_b32 s29, 0
                                        ; implicit-def: $sgpr31
	s_set_inst_prefetch_distance 0x1
	s_branch .LBB699_51
	.p2align	6
.LBB699_49:                             ;   in Loop: Header=BB699_51 Depth=1
	global_load_u16 v25, v[21:22], off
	global_load_u16 v26, v[19:20], off
	v_add_co_u32 v19, vcc_lo, v19, 2
	v_add_co_ci_u32_e32 v20, vcc_lo, 0, v20, vcc_lo
	v_add_co_u32 v21, s0, v21, 2
	s_delay_alu instid0(VALU_DEP_1)
	v_add_co_ci_u32_e64 v22, s0, 0, v22, s0
	s_add_u32 s6, s6, 1
	s_addc_u32 s7, s7, 0
	s_and_not1_b32 s0, s31, exec_lo
	s_waitcnt vmcnt(0)
	v_cmp_ne_u16_e32 vcc_lo, v25, v26
	s_and_b32 s31, vcc_lo, exec_lo
	s_delay_alu instid0(SALU_CYCLE_1)
	s_or_b32 s31, s0, s31
.LBB699_50:                             ;   in Loop: Header=BB699_51 Depth=1
	v_dual_mov_b32 v26, s7 :: v_dual_mov_b32 v25, s6
	s_and_b32 s0, exec_lo, s31
	s_delay_alu instid0(SALU_CYCLE_1) | instskip(NEXT) | instid1(SALU_CYCLE_1)
	s_or_b32 s29, s0, s29
	s_and_not1_b32 exec_lo, exec_lo, s29
	s_cbranch_execz .LBB699_53
.LBB699_51:                             ; =>This Inner Loop Header: Depth=1
	s_or_b32 s31, s31, exec_lo
	s_cmp_eq_u64 s[4:5], s[6:7]
	s_cbranch_scc0 .LBB699_49
; %bb.52:                               ;   in Loop: Header=BB699_51 Depth=1
	s_mov_b64 s[6:7], s[14:15]
                                        ; implicit-def: $vgpr19_vgpr20
                                        ; implicit-def: $vgpr21_vgpr22
	s_branch .LBB699_50
.LBB699_53:
	s_set_inst_prefetch_distance 0x2
	s_or_b32 exec_lo, exec_lo, s29
	v_cmp_gt_i64_e32 vcc_lo, s[14:15], v[25:26]
	s_or_not1_b32 s29, vcc_lo, exec_lo
.LBB699_54:
	s_or_b32 exec_lo, exec_lo, s30
.LBB699_55:
	v_mul_lo_u32 v21, v12, s14
	v_mul_lo_u32 v22, v11, s15
	v_mad_u64_u32 v[19:20], null, v11, s14, 0
	s_and_not1_b32 vcc_lo, exec_lo, s26
	s_delay_alu instid0(VALU_DEP_1) | instskip(NEXT) | instid1(VALU_DEP_1)
	v_add3_u32 v20, v20, v22, v21
	v_lshlrev_b64 v[19:20], 1, v[19:20]
	s_cbranch_vccnz .LBB699_64
; %bb.56:
	s_delay_alu instid0(VALU_DEP_1) | instskip(NEXT) | instid1(VALU_DEP_2)
	v_add_co_u32 v25, vcc_lo, s16, v19
	v_add_co_ci_u32_e32 v26, vcc_lo, s17, v20, vcc_lo
	v_add_co_u32 v21, vcc_lo, s16, v23
	v_add_co_ci_u32_e32 v22, vcc_lo, s17, v24, vcc_lo
	s_mov_b32 s28, -1
	s_clause 0x1
	global_load_u16 v23, v[25:26], off
	global_load_u16 v24, v[21:22], off
	s_mov_b32 s30, exec_lo
	s_waitcnt vmcnt(0)
	v_cmpx_eq_u16_e64 v23, v24
	s_cbranch_execz .LBB699_63
; %bb.57:
	v_add_co_u32 v21, vcc_lo, v21, 2
	v_add_co_ci_u32_e32 v22, vcc_lo, 0, v22, vcc_lo
	v_add_co_u32 v23, vcc_lo, v25, 2
	v_add_co_ci_u32_e32 v24, vcc_lo, 0, v26, vcc_lo
	s_add_u32 s4, s14, -1
	s_addc_u32 s5, s15, -1
	s_mov_b64 s[6:7], 0
	s_mov_b32 s28, 0
                                        ; implicit-def: $sgpr31
	s_set_inst_prefetch_distance 0x1
	s_branch .LBB699_60
	.p2align	6
.LBB699_58:                             ;   in Loop: Header=BB699_60 Depth=1
	global_load_u16 v25, v[23:24], off
	global_load_u16 v26, v[21:22], off
	v_add_co_u32 v21, vcc_lo, v21, 2
	v_add_co_ci_u32_e32 v22, vcc_lo, 0, v22, vcc_lo
	v_add_co_u32 v23, s0, v23, 2
	s_delay_alu instid0(VALU_DEP_1)
	v_add_co_ci_u32_e64 v24, s0, 0, v24, s0
	s_add_u32 s6, s6, 1
	s_addc_u32 s7, s7, 0
	s_and_not1_b32 s0, s31, exec_lo
	s_waitcnt vmcnt(0)
	v_cmp_ne_u16_e32 vcc_lo, v25, v26
	s_and_b32 s31, vcc_lo, exec_lo
	s_delay_alu instid0(SALU_CYCLE_1)
	s_or_b32 s31, s0, s31
.LBB699_59:                             ;   in Loop: Header=BB699_60 Depth=1
	v_dual_mov_b32 v26, s7 :: v_dual_mov_b32 v25, s6
	s_and_b32 s0, exec_lo, s31
	s_delay_alu instid0(SALU_CYCLE_1) | instskip(NEXT) | instid1(SALU_CYCLE_1)
	s_or_b32 s28, s0, s28
	s_and_not1_b32 exec_lo, exec_lo, s28
	s_cbranch_execz .LBB699_62
.LBB699_60:                             ; =>This Inner Loop Header: Depth=1
	s_or_b32 s31, s31, exec_lo
	s_cmp_eq_u64 s[4:5], s[6:7]
	s_cbranch_scc0 .LBB699_58
; %bb.61:                               ;   in Loop: Header=BB699_60 Depth=1
	s_mov_b64 s[6:7], s[14:15]
                                        ; implicit-def: $vgpr21_vgpr22
                                        ; implicit-def: $vgpr23_vgpr24
	s_branch .LBB699_59
.LBB699_62:
	s_set_inst_prefetch_distance 0x2
	s_or_b32 exec_lo, exec_lo, s28
	v_cmp_gt_i64_e32 vcc_lo, s[14:15], v[25:26]
	s_or_not1_b32 s28, vcc_lo, exec_lo
.LBB699_63:
	s_or_b32 exec_lo, exec_lo, s30
.LBB699_64:
	v_mul_lo_u32 v23, v10, s14
	v_mul_lo_u32 v24, v9, s15
	v_mad_u64_u32 v[21:22], null, v9, s14, 0
	s_mov_b32 s30, 0
	s_and_not1_b32 vcc_lo, exec_lo, s26
	s_mov_b32 s31, 0
	s_delay_alu instid0(VALU_DEP_1) | instskip(NEXT) | instid1(VALU_DEP_1)
	v_add3_u32 v22, v22, v24, v23
	v_lshlrev_b64 v[23:24], 1, v[21:22]
	s_cbranch_vccnz .LBB699_73
; %bb.65:
	s_delay_alu instid0(VALU_DEP_1) | instskip(NEXT) | instid1(VALU_DEP_2)
	v_add_co_u32 v21, vcc_lo, s16, v23
	v_add_co_ci_u32_e32 v22, vcc_lo, s17, v24, vcc_lo
	v_add_co_u32 v19, vcc_lo, s16, v19
	v_add_co_ci_u32_e32 v20, vcc_lo, s17, v20, vcc_lo
	s_mov_b32 s31, -1
	s_clause 0x1
	global_load_u16 v25, v[21:22], off
	global_load_u16 v26, v[19:20], off
	s_mov_b32 s33, exec_lo
	s_waitcnt vmcnt(0)
	v_cmpx_eq_u16_e64 v25, v26
	s_cbranch_execz .LBB699_72
; %bb.66:
	v_add_co_u32 v19, vcc_lo, v19, 2
	v_add_co_ci_u32_e32 v20, vcc_lo, 0, v20, vcc_lo
	v_add_co_u32 v21, vcc_lo, v21, 2
	v_add_co_ci_u32_e32 v22, vcc_lo, 0, v22, vcc_lo
	s_add_u32 s4, s14, -1
	s_addc_u32 s5, s15, -1
	s_mov_b64 s[6:7], 0
	s_mov_b32 s31, 0
                                        ; implicit-def: $sgpr34
	s_set_inst_prefetch_distance 0x1
	s_branch .LBB699_69
	.p2align	6
.LBB699_67:                             ;   in Loop: Header=BB699_69 Depth=1
	global_load_u16 v25, v[21:22], off
	global_load_u16 v26, v[19:20], off
	v_add_co_u32 v19, vcc_lo, v19, 2
	v_add_co_ci_u32_e32 v20, vcc_lo, 0, v20, vcc_lo
	v_add_co_u32 v21, s0, v21, 2
	s_delay_alu instid0(VALU_DEP_1)
	v_add_co_ci_u32_e64 v22, s0, 0, v22, s0
	s_add_u32 s6, s6, 1
	s_addc_u32 s7, s7, 0
	s_and_not1_b32 s0, s34, exec_lo
	s_waitcnt vmcnt(0)
	v_cmp_ne_u16_e32 vcc_lo, v25, v26
	s_and_b32 s34, vcc_lo, exec_lo
	s_delay_alu instid0(SALU_CYCLE_1)
	s_or_b32 s34, s0, s34
.LBB699_68:                             ;   in Loop: Header=BB699_69 Depth=1
	v_dual_mov_b32 v26, s7 :: v_dual_mov_b32 v25, s6
	s_and_b32 s0, exec_lo, s34
	s_delay_alu instid0(SALU_CYCLE_1) | instskip(NEXT) | instid1(SALU_CYCLE_1)
	s_or_b32 s31, s0, s31
	s_and_not1_b32 exec_lo, exec_lo, s31
	s_cbranch_execz .LBB699_71
.LBB699_69:                             ; =>This Inner Loop Header: Depth=1
	s_or_b32 s34, s34, exec_lo
	s_cmp_eq_u64 s[4:5], s[6:7]
	s_cbranch_scc0 .LBB699_67
; %bb.70:                               ;   in Loop: Header=BB699_69 Depth=1
	s_mov_b64 s[6:7], s[14:15]
                                        ; implicit-def: $vgpr19_vgpr20
                                        ; implicit-def: $vgpr21_vgpr22
	s_branch .LBB699_68
.LBB699_71:
	s_set_inst_prefetch_distance 0x2
	s_or_b32 exec_lo, exec_lo, s31
	v_cmp_gt_i64_e32 vcc_lo, s[14:15], v[25:26]
	s_or_not1_b32 s31, vcc_lo, exec_lo
.LBB699_72:
	s_or_b32 exec_lo, exec_lo, s33
.LBB699_73:
	v_mul_lo_u32 v21, v16, s14
	v_mul_lo_u32 v22, v15, s15
	v_mad_u64_u32 v[19:20], null, v15, s14, 0
	s_and_not1_b32 vcc_lo, exec_lo, s26
	s_delay_alu instid0(VALU_DEP_1) | instskip(NEXT) | instid1(VALU_DEP_1)
	v_add3_u32 v20, v20, v22, v21
	v_lshlrev_b64 v[21:22], 1, v[19:20]
	s_cbranch_vccnz .LBB699_82
; %bb.74:
	s_delay_alu instid0(VALU_DEP_1) | instskip(NEXT) | instid1(VALU_DEP_2)
	v_add_co_u32 v25, vcc_lo, s16, v21
	v_add_co_ci_u32_e32 v26, vcc_lo, s17, v22, vcc_lo
	v_add_co_u32 v19, vcc_lo, s16, v23
	v_add_co_ci_u32_e32 v20, vcc_lo, s17, v24, vcc_lo
	s_mov_b32 s30, -1
	s_clause 0x1
	global_load_u16 v23, v[25:26], off
	global_load_u16 v24, v[19:20], off
	s_mov_b32 s33, exec_lo
	s_waitcnt vmcnt(0)
	v_cmpx_eq_u16_e64 v23, v24
	s_cbranch_execz .LBB699_81
; %bb.75:
	v_add_co_u32 v19, vcc_lo, v19, 2
	v_add_co_ci_u32_e32 v20, vcc_lo, 0, v20, vcc_lo
	v_add_co_u32 v23, vcc_lo, v25, 2
	v_add_co_ci_u32_e32 v24, vcc_lo, 0, v26, vcc_lo
	s_add_u32 s4, s14, -1
	s_addc_u32 s5, s15, -1
	s_mov_b64 s[6:7], 0
	s_mov_b32 s30, 0
                                        ; implicit-def: $sgpr34
	s_set_inst_prefetch_distance 0x1
	s_branch .LBB699_78
	.p2align	6
.LBB699_76:                             ;   in Loop: Header=BB699_78 Depth=1
	global_load_u16 v25, v[23:24], off
	global_load_u16 v26, v[19:20], off
	v_add_co_u32 v19, vcc_lo, v19, 2
	v_add_co_ci_u32_e32 v20, vcc_lo, 0, v20, vcc_lo
	v_add_co_u32 v23, s0, v23, 2
	s_delay_alu instid0(VALU_DEP_1)
	v_add_co_ci_u32_e64 v24, s0, 0, v24, s0
	s_add_u32 s6, s6, 1
	s_addc_u32 s7, s7, 0
	s_and_not1_b32 s0, s34, exec_lo
	s_waitcnt vmcnt(0)
	v_cmp_ne_u16_e32 vcc_lo, v25, v26
	s_and_b32 s34, vcc_lo, exec_lo
	s_delay_alu instid0(SALU_CYCLE_1)
	s_or_b32 s34, s0, s34
.LBB699_77:                             ;   in Loop: Header=BB699_78 Depth=1
	v_dual_mov_b32 v26, s7 :: v_dual_mov_b32 v25, s6
	s_and_b32 s0, exec_lo, s34
	s_delay_alu instid0(SALU_CYCLE_1) | instskip(NEXT) | instid1(SALU_CYCLE_1)
	s_or_b32 s30, s0, s30
	s_and_not1_b32 exec_lo, exec_lo, s30
	s_cbranch_execz .LBB699_80
.LBB699_78:                             ; =>This Inner Loop Header: Depth=1
	s_or_b32 s34, s34, exec_lo
	s_cmp_eq_u64 s[4:5], s[6:7]
	s_cbranch_scc0 .LBB699_76
; %bb.79:                               ;   in Loop: Header=BB699_78 Depth=1
	s_mov_b64 s[6:7], s[14:15]
                                        ; implicit-def: $vgpr19_vgpr20
                                        ; implicit-def: $vgpr23_vgpr24
	s_branch .LBB699_77
.LBB699_80:
	s_set_inst_prefetch_distance 0x2
	s_or_b32 exec_lo, exec_lo, s30
	v_cmp_gt_i64_e32 vcc_lo, s[14:15], v[25:26]
	s_or_not1_b32 s30, vcc_lo, exec_lo
.LBB699_81:
	s_or_b32 exec_lo, exec_lo, s33
.LBB699_82:
	v_mul_lo_u32 v23, v14, s14
	v_mul_lo_u32 v24, v13, s15
	v_mad_u64_u32 v[19:20], null, v13, s14, 0
	s_and_not1_b32 vcc_lo, exec_lo, s26
	s_mov_b32 s0, 0
	s_delay_alu instid0(VALU_DEP_1) | instskip(NEXT) | instid1(VALU_DEP_1)
	v_add3_u32 v20, v20, v24, v23
	v_lshlrev_b64 v[19:20], 1, v[19:20]
	s_cbranch_vccnz .LBB699_91
; %bb.83:
	s_delay_alu instid0(VALU_DEP_1) | instskip(NEXT) | instid1(VALU_DEP_2)
	v_add_co_u32 v23, vcc_lo, s16, v19
	v_add_co_ci_u32_e32 v24, vcc_lo, s17, v20, vcc_lo
	v_add_co_u32 v21, vcc_lo, s16, v21
	v_add_co_ci_u32_e32 v22, vcc_lo, s17, v22, vcc_lo
	s_mov_b32 s0, -1
	s_clause 0x1
	global_load_u16 v25, v[23:24], off
	global_load_u16 v26, v[21:22], off
	s_mov_b32 s33, exec_lo
	s_waitcnt vmcnt(0)
	v_cmpx_eq_u16_e64 v25, v26
	s_cbranch_execz .LBB699_90
; %bb.84:
	v_add_co_u32 v21, vcc_lo, v21, 2
	v_add_co_ci_u32_e32 v22, vcc_lo, 0, v22, vcc_lo
	v_add_co_u32 v23, vcc_lo, v23, 2
	v_add_co_ci_u32_e32 v24, vcc_lo, 0, v24, vcc_lo
	s_add_u32 s4, s14, -1
	s_addc_u32 s5, s15, -1
	s_mov_b64 s[6:7], 0
	s_mov_b32 s34, 0
                                        ; implicit-def: $sgpr35
	s_set_inst_prefetch_distance 0x1
	s_branch .LBB699_87
	.p2align	6
.LBB699_85:                             ;   in Loop: Header=BB699_87 Depth=1
	global_load_u16 v25, v[23:24], off
	global_load_u16 v26, v[21:22], off
	v_add_co_u32 v21, vcc_lo, v21, 2
	v_add_co_ci_u32_e32 v22, vcc_lo, 0, v22, vcc_lo
	v_add_co_u32 v23, s0, v23, 2
	s_delay_alu instid0(VALU_DEP_1)
	v_add_co_ci_u32_e64 v24, s0, 0, v24, s0
	s_add_u32 s6, s6, 1
	s_addc_u32 s7, s7, 0
	s_and_not1_b32 s0, s35, exec_lo
	s_waitcnt vmcnt(0)
	v_cmp_ne_u16_e32 vcc_lo, v25, v26
	s_and_b32 s35, vcc_lo, exec_lo
	s_delay_alu instid0(SALU_CYCLE_1)
	s_or_b32 s35, s0, s35
.LBB699_86:                             ;   in Loop: Header=BB699_87 Depth=1
	v_dual_mov_b32 v26, s7 :: v_dual_mov_b32 v25, s6
	s_and_b32 s0, exec_lo, s35
	s_delay_alu instid0(SALU_CYCLE_1) | instskip(NEXT) | instid1(SALU_CYCLE_1)
	s_or_b32 s34, s0, s34
	s_and_not1_b32 exec_lo, exec_lo, s34
	s_cbranch_execz .LBB699_89
.LBB699_87:                             ; =>This Inner Loop Header: Depth=1
	s_or_b32 s35, s35, exec_lo
	s_cmp_eq_u64 s[4:5], s[6:7]
	s_cbranch_scc0 .LBB699_85
; %bb.88:                               ;   in Loop: Header=BB699_87 Depth=1
	s_mov_b64 s[6:7], s[14:15]
                                        ; implicit-def: $vgpr21_vgpr22
                                        ; implicit-def: $vgpr23_vgpr24
	s_branch .LBB699_86
.LBB699_89:
	s_set_inst_prefetch_distance 0x2
	s_or_b32 exec_lo, exec_lo, s34
	v_cmp_gt_i64_e32 vcc_lo, s[14:15], v[25:26]
	s_or_not1_b32 s0, vcc_lo, exec_lo
.LBB699_90:
	s_or_b32 exec_lo, exec_lo, s33
.LBB699_91:
	s_waitcnt vmcnt(0)
	v_dual_mov_b32 v22, v18 :: v_dual_mov_b32 v21, v17
	s_waitcnt lgkmcnt(0)
	s_barrier
	buffer_gl0_inv
	s_and_saveexec_b32 s4, s3
	s_cbranch_execz .LBB699_93
; %bb.92:
	v_add_nc_u32_e32 v21, -8, v39
	ds_load_b64 v[21:22], v21
.LBB699_93:
	s_or_b32 exec_lo, exec_lo, s4
	v_cndmask_b32_e64 v24, 0, 1, s31
	v_cndmask_b32_e64 v26, 0, 1, s29
	;; [unrolled: 1-line block ×7, first 2 shown]
	v_lshlrev_b16 v24, 8, v24
	v_lshlrev_b16 v26, 8, v26
	;; [unrolled: 1-line block ×4, first 2 shown]
	s_mov_b32 s25, 0
	v_or_b32_e32 v23, v23, v24
	v_or_b32_e32 v24, v25, v26
	;; [unrolled: 1-line block ×3, first 2 shown]
	v_and_b32_e32 v25, 0xffff, v29
	s_and_not1_b32 vcc_lo, exec_lo, s26
	v_lshlrev_b32_e32 v26, 16, v23
	v_and_b32_e32 v28, 0xffff, v24
	v_lshlrev_b32_e32 v29, 16, v30
	s_mov_b32 s0, 0
	s_cbranch_vccnz .LBB699_102
; %bb.94:
	s_waitcnt lgkmcnt(0)
	v_mul_lo_u32 v24, v22, s14
	v_mul_lo_u32 v30, v21, s15
	v_mad_u64_u32 v[22:23], null, v21, s14, 0
	s_mov_b32 s0, -1
	s_mov_b32 s27, exec_lo
	s_delay_alu instid0(VALU_DEP_1) | instskip(NEXT) | instid1(VALU_DEP_1)
	v_add3_u32 v23, v23, v30, v24
	v_lshlrev_b64 v[21:22], 1, v[22:23]
	s_delay_alu instid0(VALU_DEP_1) | instskip(NEXT) | instid1(VALU_DEP_2)
	v_add_co_u32 v21, vcc_lo, s16, v21
	v_add_co_ci_u32_e32 v22, vcc_lo, s17, v22, vcc_lo
	v_add_co_u32 v19, vcc_lo, s16, v19
	v_add_co_ci_u32_e32 v20, vcc_lo, s17, v20, vcc_lo
	s_clause 0x1
	global_load_u16 v23, v[21:22], off
	global_load_u16 v24, v[19:20], off
	s_waitcnt vmcnt(0)
	v_cmpx_eq_u16_e64 v23, v24
	s_cbranch_execz .LBB699_101
; %bb.95:
	v_add_co_u32 v19, vcc_lo, v19, 2
	v_add_co_ci_u32_e32 v20, vcc_lo, 0, v20, vcc_lo
	v_add_co_u32 v21, vcc_lo, v21, 2
	v_add_co_ci_u32_e32 v22, vcc_lo, 0, v22, vcc_lo
	s_add_u32 s4, s14, -1
	s_addc_u32 s5, s15, -1
	s_mov_b64 s[6:7], 0
	s_mov_b32 s28, 0
                                        ; implicit-def: $sgpr29
	s_set_inst_prefetch_distance 0x1
	s_branch .LBB699_98
	.p2align	6
.LBB699_96:                             ;   in Loop: Header=BB699_98 Depth=1
	global_load_u16 v23, v[21:22], off
	global_load_u16 v24, v[19:20], off
	v_add_co_u32 v19, vcc_lo, v19, 2
	v_add_co_ci_u32_e32 v20, vcc_lo, 0, v20, vcc_lo
	v_add_co_u32 v21, s0, v21, 2
	s_delay_alu instid0(VALU_DEP_1)
	v_add_co_ci_u32_e64 v22, s0, 0, v22, s0
	s_add_u32 s6, s6, 1
	s_addc_u32 s7, s7, 0
	s_and_not1_b32 s0, s29, exec_lo
	s_waitcnt vmcnt(0)
	v_cmp_ne_u16_e32 vcc_lo, v23, v24
	s_and_b32 s29, vcc_lo, exec_lo
	s_delay_alu instid0(SALU_CYCLE_1)
	s_or_b32 s29, s0, s29
.LBB699_97:                             ;   in Loop: Header=BB699_98 Depth=1
	v_dual_mov_b32 v24, s7 :: v_dual_mov_b32 v23, s6
	s_and_b32 s0, exec_lo, s29
	s_delay_alu instid0(SALU_CYCLE_1) | instskip(NEXT) | instid1(SALU_CYCLE_1)
	s_or_b32 s28, s0, s28
	s_and_not1_b32 exec_lo, exec_lo, s28
	s_cbranch_execz .LBB699_100
.LBB699_98:                             ; =>This Inner Loop Header: Depth=1
	s_or_b32 s29, s29, exec_lo
	s_cmp_eq_u64 s[4:5], s[6:7]
	s_cbranch_scc0 .LBB699_96
; %bb.99:                               ;   in Loop: Header=BB699_98 Depth=1
	s_mov_b64 s[6:7], s[14:15]
                                        ; implicit-def: $vgpr19_vgpr20
                                        ; implicit-def: $vgpr21_vgpr22
	s_branch .LBB699_97
.LBB699_100:
	s_set_inst_prefetch_distance 0x2
	s_or_b32 exec_lo, exec_lo, s28
	v_cmp_gt_i64_e32 vcc_lo, s[14:15], v[23:24]
	s_or_not1_b32 s0, vcc_lo, exec_lo
.LBB699_101:
	s_or_b32 exec_lo, exec_lo, s27
.LBB699_102:
	v_or_b32_e32 v19, v25, v26
	s_delay_alu instid0(VALU_DEP_2)
	v_or_b32_e32 v20, v28, v29
	s_and_b32 vcc_lo, exec_lo, s25
	s_cbranch_vccz .LBB699_194
.LBB699_103:
	v_or_b32_e32 v19, 7, v39
	s_mov_b32 s25, 0
	s_mov_b32 s27, 0
	s_mov_b32 s28, exec_lo
	s_delay_alu instid0(VALU_DEP_1)
	v_cmpx_gt_u32_e64 s12, v19
	s_cbranch_execz .LBB699_114
; %bb.104:
	s_and_not1_b32 vcc_lo, exec_lo, s26
	s_mov_b32 s0, 0
	s_cbranch_vccnz .LBB699_113
; %bb.105:
	v_mul_lo_u32 v23, v2, s14
	v_mul_lo_u32 v24, v1, s15
	v_mad_u64_u32 v[19:20], null, v1, s14, 0
	v_mul_lo_u32 v25, v4, s14
	v_mul_lo_u32 v26, v3, s15
	s_waitcnt lgkmcnt(0)
	v_mad_u64_u32 v[21:22], null, v3, s14, 0
	s_mov_b32 s0, -1
	s_mov_b32 s26, exec_lo
	s_delay_alu instid0(VALU_DEP_4) | instskip(NEXT) | instid1(VALU_DEP_2)
	v_add3_u32 v20, v20, v24, v23
	v_add3_u32 v22, v22, v26, v25
	s_delay_alu instid0(VALU_DEP_2) | instskip(NEXT) | instid1(VALU_DEP_2)
	v_lshlrev_b64 v[19:20], 1, v[19:20]
	v_lshlrev_b64 v[23:24], 1, v[21:22]
	s_delay_alu instid0(VALU_DEP_2) | instskip(NEXT) | instid1(VALU_DEP_3)
	v_add_co_u32 v21, vcc_lo, s16, v19
	v_add_co_ci_u32_e32 v22, vcc_lo, s17, v20, vcc_lo
	s_delay_alu instid0(VALU_DEP_3) | instskip(NEXT) | instid1(VALU_DEP_4)
	v_add_co_u32 v19, vcc_lo, s16, v23
	v_add_co_ci_u32_e32 v20, vcc_lo, s17, v24, vcc_lo
	s_clause 0x1
	global_load_u16 v23, v[21:22], off
	global_load_u16 v24, v[19:20], off
	s_waitcnt vmcnt(0)
	v_cmpx_eq_u16_e64 v23, v24
	s_cbranch_execz .LBB699_112
; %bb.106:
	v_add_co_u32 v19, vcc_lo, v19, 2
	v_add_co_ci_u32_e32 v20, vcc_lo, 0, v20, vcc_lo
	v_add_co_u32 v21, vcc_lo, v21, 2
	v_add_co_ci_u32_e32 v22, vcc_lo, 0, v22, vcc_lo
	s_add_u32 s4, s14, -1
	s_addc_u32 s5, s15, -1
	s_mov_b64 s[6:7], 0
                                        ; implicit-def: $sgpr29
	s_set_inst_prefetch_distance 0x1
	s_branch .LBB699_109
	.p2align	6
.LBB699_107:                            ;   in Loop: Header=BB699_109 Depth=1
	global_load_u16 v23, v[21:22], off
	global_load_u16 v24, v[19:20], off
	v_add_co_u32 v19, vcc_lo, v19, 2
	v_add_co_ci_u32_e32 v20, vcc_lo, 0, v20, vcc_lo
	v_add_co_u32 v21, s0, v21, 2
	s_delay_alu instid0(VALU_DEP_1)
	v_add_co_ci_u32_e64 v22, s0, 0, v22, s0
	s_add_u32 s6, s6, 1
	s_addc_u32 s7, s7, 0
	s_and_not1_b32 s0, s29, exec_lo
	s_waitcnt vmcnt(0)
	v_cmp_ne_u16_e32 vcc_lo, v23, v24
	s_and_b32 s29, vcc_lo, exec_lo
	s_delay_alu instid0(SALU_CYCLE_1)
	s_or_b32 s29, s0, s29
.LBB699_108:                            ;   in Loop: Header=BB699_109 Depth=1
	v_dual_mov_b32 v24, s7 :: v_dual_mov_b32 v23, s6
	s_and_b32 s0, exec_lo, s29
	s_delay_alu instid0(SALU_CYCLE_1) | instskip(NEXT) | instid1(SALU_CYCLE_1)
	s_or_b32 s27, s0, s27
	s_and_not1_b32 exec_lo, exec_lo, s27
	s_cbranch_execz .LBB699_111
.LBB699_109:                            ; =>This Inner Loop Header: Depth=1
	s_or_b32 s29, s29, exec_lo
	s_cmp_eq_u64 s[4:5], s[6:7]
	s_cbranch_scc0 .LBB699_107
; %bb.110:                              ;   in Loop: Header=BB699_109 Depth=1
	s_mov_b64 s[6:7], s[14:15]
                                        ; implicit-def: $vgpr19_vgpr20
                                        ; implicit-def: $vgpr21_vgpr22
	s_branch .LBB699_108
.LBB699_111:
	s_set_inst_prefetch_distance 0x2
	s_or_b32 exec_lo, exec_lo, s27
	v_cmp_gt_i64_e32 vcc_lo, s[14:15], v[23:24]
	s_or_not1_b32 s0, vcc_lo, exec_lo
.LBB699_112:
	s_or_b32 exec_lo, exec_lo, s26
.LBB699_113:
	s_delay_alu instid0(SALU_CYCLE_1)
	s_and_b32 s27, s0, exec_lo
.LBB699_114:
	s_or_b32 exec_lo, exec_lo, s28
	v_or_b32_e32 v19, 6, v39
	s_mov_b32 s26, exec_lo
	s_delay_alu instid0(VALU_DEP_1)
	v_cmpx_gt_u32_e64 s12, v19
	s_cbranch_execz .LBB699_125
; %bb.115:
	v_cmp_ne_u32_e32 vcc_lo, 1, v27
	s_mov_b32 s0, 0
	s_cbranch_vccnz .LBB699_124
; %bb.116:
	v_mul_lo_u32 v23, v8, s14
	v_mul_lo_u32 v24, v7, s15
	v_mad_u64_u32 v[19:20], null, v7, s14, 0
	v_mul_lo_u32 v25, v2, s14
	v_mul_lo_u32 v26, v1, s15
	s_waitcnt lgkmcnt(0)
	v_mad_u64_u32 v[21:22], null, v1, s14, 0
	s_mov_b32 s0, -1
	s_mov_b32 s25, exec_lo
	s_delay_alu instid0(VALU_DEP_4) | instskip(NEXT) | instid1(VALU_DEP_2)
	v_add3_u32 v20, v20, v24, v23
	v_add3_u32 v22, v22, v26, v25
	s_delay_alu instid0(VALU_DEP_2) | instskip(NEXT) | instid1(VALU_DEP_2)
	v_lshlrev_b64 v[19:20], 1, v[19:20]
	v_lshlrev_b64 v[23:24], 1, v[21:22]
	s_delay_alu instid0(VALU_DEP_2) | instskip(NEXT) | instid1(VALU_DEP_3)
	v_add_co_u32 v21, vcc_lo, s16, v19
	v_add_co_ci_u32_e32 v22, vcc_lo, s17, v20, vcc_lo
	s_delay_alu instid0(VALU_DEP_3) | instskip(NEXT) | instid1(VALU_DEP_4)
	v_add_co_u32 v19, vcc_lo, s16, v23
	v_add_co_ci_u32_e32 v20, vcc_lo, s17, v24, vcc_lo
	s_clause 0x1
	global_load_u16 v23, v[21:22], off
	global_load_u16 v24, v[19:20], off
	s_waitcnt vmcnt(0)
	v_cmpx_eq_u16_e64 v23, v24
	s_cbranch_execz .LBB699_123
; %bb.117:
	v_add_co_u32 v19, vcc_lo, v19, 2
	v_add_co_ci_u32_e32 v20, vcc_lo, 0, v20, vcc_lo
	v_add_co_u32 v21, vcc_lo, v21, 2
	v_add_co_ci_u32_e32 v22, vcc_lo, 0, v22, vcc_lo
	s_add_u32 s4, s14, -1
	s_addc_u32 s5, s15, -1
	s_mov_b64 s[6:7], 0
	s_mov_b32 s28, 0
                                        ; implicit-def: $sgpr29
	s_set_inst_prefetch_distance 0x1
	s_branch .LBB699_120
	.p2align	6
.LBB699_118:                            ;   in Loop: Header=BB699_120 Depth=1
	global_load_u16 v23, v[21:22], off
	global_load_u16 v24, v[19:20], off
	v_add_co_u32 v19, vcc_lo, v19, 2
	v_add_co_ci_u32_e32 v20, vcc_lo, 0, v20, vcc_lo
	v_add_co_u32 v21, s0, v21, 2
	s_delay_alu instid0(VALU_DEP_1)
	v_add_co_ci_u32_e64 v22, s0, 0, v22, s0
	s_add_u32 s6, s6, 1
	s_addc_u32 s7, s7, 0
	s_and_not1_b32 s0, s29, exec_lo
	s_waitcnt vmcnt(0)
	v_cmp_ne_u16_e32 vcc_lo, v23, v24
	s_and_b32 s29, vcc_lo, exec_lo
	s_delay_alu instid0(SALU_CYCLE_1)
	s_or_b32 s29, s0, s29
.LBB699_119:                            ;   in Loop: Header=BB699_120 Depth=1
	v_dual_mov_b32 v24, s7 :: v_dual_mov_b32 v23, s6
	s_and_b32 s0, exec_lo, s29
	s_delay_alu instid0(SALU_CYCLE_1) | instskip(NEXT) | instid1(SALU_CYCLE_1)
	s_or_b32 s28, s0, s28
	s_and_not1_b32 exec_lo, exec_lo, s28
	s_cbranch_execz .LBB699_122
.LBB699_120:                            ; =>This Inner Loop Header: Depth=1
	s_or_b32 s29, s29, exec_lo
	s_cmp_eq_u64 s[4:5], s[6:7]
	s_cbranch_scc0 .LBB699_118
; %bb.121:                              ;   in Loop: Header=BB699_120 Depth=1
	s_mov_b64 s[6:7], s[14:15]
                                        ; implicit-def: $vgpr19_vgpr20
                                        ; implicit-def: $vgpr21_vgpr22
	s_branch .LBB699_119
.LBB699_122:
	s_set_inst_prefetch_distance 0x2
	s_or_b32 exec_lo, exec_lo, s28
	v_cmp_gt_i64_e32 vcc_lo, s[14:15], v[23:24]
	s_or_not1_b32 s0, vcc_lo, exec_lo
.LBB699_123:
	s_or_b32 exec_lo, exec_lo, s25
.LBB699_124:
	s_delay_alu instid0(SALU_CYCLE_1)
	s_and_b32 s25, s0, exec_lo
.LBB699_125:
	s_or_b32 exec_lo, exec_lo, s26
	v_or_b32_e32 v19, 5, v39
	s_mov_b32 s28, 0
	s_mov_b32 s26, 0
	s_mov_b32 s29, exec_lo
	s_delay_alu instid0(VALU_DEP_1)
	v_cmpx_gt_u32_e64 s12, v19
	s_cbranch_execz .LBB699_136
; %bb.126:
	v_cmp_ne_u32_e32 vcc_lo, 1, v27
	s_mov_b32 s0, 0
	s_cbranch_vccnz .LBB699_135
; %bb.127:
	v_mul_lo_u32 v23, v6, s14
	v_mul_lo_u32 v24, v5, s15
	v_mad_u64_u32 v[19:20], null, v5, s14, 0
	v_mul_lo_u32 v25, v8, s14
	v_mul_lo_u32 v26, v7, s15
	s_waitcnt lgkmcnt(0)
	v_mad_u64_u32 v[21:22], null, v7, s14, 0
	s_mov_b32 s0, -1
	s_mov_b32 s26, exec_lo
	s_delay_alu instid0(VALU_DEP_4) | instskip(NEXT) | instid1(VALU_DEP_2)
	v_add3_u32 v20, v20, v24, v23
	v_add3_u32 v22, v22, v26, v25
	s_delay_alu instid0(VALU_DEP_2) | instskip(NEXT) | instid1(VALU_DEP_2)
	v_lshlrev_b64 v[19:20], 1, v[19:20]
	v_lshlrev_b64 v[23:24], 1, v[21:22]
	s_delay_alu instid0(VALU_DEP_2) | instskip(NEXT) | instid1(VALU_DEP_3)
	v_add_co_u32 v21, vcc_lo, s16, v19
	v_add_co_ci_u32_e32 v22, vcc_lo, s17, v20, vcc_lo
	s_delay_alu instid0(VALU_DEP_3) | instskip(NEXT) | instid1(VALU_DEP_4)
	v_add_co_u32 v19, vcc_lo, s16, v23
	v_add_co_ci_u32_e32 v20, vcc_lo, s17, v24, vcc_lo
	s_clause 0x1
	global_load_u16 v23, v[21:22], off
	global_load_u16 v24, v[19:20], off
	s_waitcnt vmcnt(0)
	v_cmpx_eq_u16_e64 v23, v24
	s_cbranch_execz .LBB699_134
; %bb.128:
	v_add_co_u32 v19, vcc_lo, v19, 2
	v_add_co_ci_u32_e32 v20, vcc_lo, 0, v20, vcc_lo
	v_add_co_u32 v21, vcc_lo, v21, 2
	v_add_co_ci_u32_e32 v22, vcc_lo, 0, v22, vcc_lo
	s_add_u32 s4, s14, -1
	s_addc_u32 s5, s15, -1
	s_mov_b64 s[6:7], 0
	s_mov_b32 s30, 0
                                        ; implicit-def: $sgpr31
	s_set_inst_prefetch_distance 0x1
	s_branch .LBB699_131
	.p2align	6
.LBB699_129:                            ;   in Loop: Header=BB699_131 Depth=1
	global_load_u16 v23, v[21:22], off
	global_load_u16 v24, v[19:20], off
	v_add_co_u32 v19, vcc_lo, v19, 2
	v_add_co_ci_u32_e32 v20, vcc_lo, 0, v20, vcc_lo
	v_add_co_u32 v21, s0, v21, 2
	s_delay_alu instid0(VALU_DEP_1)
	v_add_co_ci_u32_e64 v22, s0, 0, v22, s0
	s_add_u32 s6, s6, 1
	s_addc_u32 s7, s7, 0
	s_and_not1_b32 s0, s31, exec_lo
	s_waitcnt vmcnt(0)
	v_cmp_ne_u16_e32 vcc_lo, v23, v24
	s_and_b32 s31, vcc_lo, exec_lo
	s_delay_alu instid0(SALU_CYCLE_1)
	s_or_b32 s31, s0, s31
.LBB699_130:                            ;   in Loop: Header=BB699_131 Depth=1
	v_dual_mov_b32 v24, s7 :: v_dual_mov_b32 v23, s6
	s_and_b32 s0, exec_lo, s31
	s_delay_alu instid0(SALU_CYCLE_1) | instskip(NEXT) | instid1(SALU_CYCLE_1)
	s_or_b32 s30, s0, s30
	s_and_not1_b32 exec_lo, exec_lo, s30
	s_cbranch_execz .LBB699_133
.LBB699_131:                            ; =>This Inner Loop Header: Depth=1
	s_or_b32 s31, s31, exec_lo
	s_cmp_eq_u64 s[4:5], s[6:7]
	s_cbranch_scc0 .LBB699_129
; %bb.132:                              ;   in Loop: Header=BB699_131 Depth=1
	s_mov_b64 s[6:7], s[14:15]
                                        ; implicit-def: $vgpr19_vgpr20
                                        ; implicit-def: $vgpr21_vgpr22
	s_branch .LBB699_130
.LBB699_133:
	s_set_inst_prefetch_distance 0x2
	s_or_b32 exec_lo, exec_lo, s30
	v_cmp_gt_i64_e32 vcc_lo, s[14:15], v[23:24]
	s_or_not1_b32 s0, vcc_lo, exec_lo
.LBB699_134:
	s_or_b32 exec_lo, exec_lo, s26
.LBB699_135:
	s_delay_alu instid0(SALU_CYCLE_1)
	s_and_b32 s26, s0, exec_lo
.LBB699_136:
	s_or_b32 exec_lo, exec_lo, s29
	v_or_b32_e32 v19, 4, v39
	s_mov_b32 s29, exec_lo
	s_delay_alu instid0(VALU_DEP_1)
	v_cmpx_gt_u32_e64 s12, v19
	s_cbranch_execz .LBB699_147
; %bb.137:
	v_cmp_ne_u32_e32 vcc_lo, 1, v27
	s_mov_b32 s0, 0
	s_cbranch_vccnz .LBB699_146
; %bb.138:
	v_mul_lo_u32 v23, v12, s14
	v_mul_lo_u32 v24, v11, s15
	v_mad_u64_u32 v[19:20], null, v11, s14, 0
	v_mul_lo_u32 v25, v6, s14
	v_mul_lo_u32 v26, v5, s15
	s_waitcnt lgkmcnt(0)
	v_mad_u64_u32 v[21:22], null, v5, s14, 0
	s_mov_b32 s0, -1
	s_mov_b32 s28, exec_lo
	s_delay_alu instid0(VALU_DEP_4) | instskip(NEXT) | instid1(VALU_DEP_2)
	v_add3_u32 v20, v20, v24, v23
	v_add3_u32 v22, v22, v26, v25
	s_delay_alu instid0(VALU_DEP_2) | instskip(NEXT) | instid1(VALU_DEP_2)
	v_lshlrev_b64 v[19:20], 1, v[19:20]
	v_lshlrev_b64 v[23:24], 1, v[21:22]
	s_delay_alu instid0(VALU_DEP_2) | instskip(NEXT) | instid1(VALU_DEP_3)
	v_add_co_u32 v21, vcc_lo, s16, v19
	v_add_co_ci_u32_e32 v22, vcc_lo, s17, v20, vcc_lo
	s_delay_alu instid0(VALU_DEP_3) | instskip(NEXT) | instid1(VALU_DEP_4)
	v_add_co_u32 v19, vcc_lo, s16, v23
	v_add_co_ci_u32_e32 v20, vcc_lo, s17, v24, vcc_lo
	s_clause 0x1
	global_load_u16 v23, v[21:22], off
	global_load_u16 v24, v[19:20], off
	s_waitcnt vmcnt(0)
	v_cmpx_eq_u16_e64 v23, v24
	s_cbranch_execz .LBB699_145
; %bb.139:
	v_add_co_u32 v19, vcc_lo, v19, 2
	v_add_co_ci_u32_e32 v20, vcc_lo, 0, v20, vcc_lo
	v_add_co_u32 v21, vcc_lo, v21, 2
	v_add_co_ci_u32_e32 v22, vcc_lo, 0, v22, vcc_lo
	s_add_u32 s4, s14, -1
	s_addc_u32 s5, s15, -1
	s_mov_b64 s[6:7], 0
	s_mov_b32 s30, 0
                                        ; implicit-def: $sgpr31
	s_set_inst_prefetch_distance 0x1
	s_branch .LBB699_142
	.p2align	6
.LBB699_140:                            ;   in Loop: Header=BB699_142 Depth=1
	global_load_u16 v23, v[21:22], off
	global_load_u16 v24, v[19:20], off
	v_add_co_u32 v19, vcc_lo, v19, 2
	v_add_co_ci_u32_e32 v20, vcc_lo, 0, v20, vcc_lo
	v_add_co_u32 v21, s0, v21, 2
	s_delay_alu instid0(VALU_DEP_1)
	v_add_co_ci_u32_e64 v22, s0, 0, v22, s0
	s_add_u32 s6, s6, 1
	s_addc_u32 s7, s7, 0
	s_and_not1_b32 s0, s31, exec_lo
	s_waitcnt vmcnt(0)
	v_cmp_ne_u16_e32 vcc_lo, v23, v24
	s_and_b32 s31, vcc_lo, exec_lo
	s_delay_alu instid0(SALU_CYCLE_1)
	s_or_b32 s31, s0, s31
.LBB699_141:                            ;   in Loop: Header=BB699_142 Depth=1
	v_dual_mov_b32 v24, s7 :: v_dual_mov_b32 v23, s6
	s_and_b32 s0, exec_lo, s31
	s_delay_alu instid0(SALU_CYCLE_1) | instskip(NEXT) | instid1(SALU_CYCLE_1)
	s_or_b32 s30, s0, s30
	s_and_not1_b32 exec_lo, exec_lo, s30
	s_cbranch_execz .LBB699_144
.LBB699_142:                            ; =>This Inner Loop Header: Depth=1
	s_or_b32 s31, s31, exec_lo
	s_cmp_eq_u64 s[4:5], s[6:7]
	s_cbranch_scc0 .LBB699_140
; %bb.143:                              ;   in Loop: Header=BB699_142 Depth=1
	s_mov_b64 s[6:7], s[14:15]
                                        ; implicit-def: $vgpr19_vgpr20
                                        ; implicit-def: $vgpr21_vgpr22
	s_branch .LBB699_141
.LBB699_144:
	s_set_inst_prefetch_distance 0x2
	s_or_b32 exec_lo, exec_lo, s30
	v_cmp_gt_i64_e32 vcc_lo, s[14:15], v[23:24]
	s_or_not1_b32 s0, vcc_lo, exec_lo
.LBB699_145:
	s_or_b32 exec_lo, exec_lo, s28
.LBB699_146:
	s_delay_alu instid0(SALU_CYCLE_1)
	s_and_b32 s28, s0, exec_lo
.LBB699_147:
	s_or_b32 exec_lo, exec_lo, s29
	v_or_b32_e32 v19, 3, v39
	s_mov_b32 s30, 0
	s_mov_b32 s29, 0
	s_mov_b32 s31, exec_lo
	s_delay_alu instid0(VALU_DEP_1)
	v_cmpx_gt_u32_e64 s12, v19
	s_cbranch_execz .LBB699_158
; %bb.148:
	v_cmp_ne_u32_e32 vcc_lo, 1, v27
	s_mov_b32 s0, 0
	s_cbranch_vccnz .LBB699_157
; %bb.149:
	v_mul_lo_u32 v23, v10, s14
	v_mul_lo_u32 v24, v9, s15
	v_mad_u64_u32 v[19:20], null, v9, s14, 0
	v_mul_lo_u32 v25, v12, s14
	v_mul_lo_u32 v26, v11, s15
	s_waitcnt lgkmcnt(0)
	v_mad_u64_u32 v[21:22], null, v11, s14, 0
	s_mov_b32 s0, -1
	s_mov_b32 s29, exec_lo
	s_delay_alu instid0(VALU_DEP_4) | instskip(NEXT) | instid1(VALU_DEP_2)
	v_add3_u32 v20, v20, v24, v23
	v_add3_u32 v22, v22, v26, v25
	s_delay_alu instid0(VALU_DEP_2) | instskip(NEXT) | instid1(VALU_DEP_2)
	v_lshlrev_b64 v[19:20], 1, v[19:20]
	v_lshlrev_b64 v[23:24], 1, v[21:22]
	s_delay_alu instid0(VALU_DEP_2) | instskip(NEXT) | instid1(VALU_DEP_3)
	v_add_co_u32 v21, vcc_lo, s16, v19
	v_add_co_ci_u32_e32 v22, vcc_lo, s17, v20, vcc_lo
	s_delay_alu instid0(VALU_DEP_3) | instskip(NEXT) | instid1(VALU_DEP_4)
	v_add_co_u32 v19, vcc_lo, s16, v23
	v_add_co_ci_u32_e32 v20, vcc_lo, s17, v24, vcc_lo
	s_clause 0x1
	global_load_u16 v23, v[21:22], off
	global_load_u16 v24, v[19:20], off
	s_waitcnt vmcnt(0)
	v_cmpx_eq_u16_e64 v23, v24
	s_cbranch_execz .LBB699_156
; %bb.150:
	v_add_co_u32 v19, vcc_lo, v19, 2
	v_add_co_ci_u32_e32 v20, vcc_lo, 0, v20, vcc_lo
	v_add_co_u32 v21, vcc_lo, v21, 2
	v_add_co_ci_u32_e32 v22, vcc_lo, 0, v22, vcc_lo
	s_add_u32 s4, s14, -1
	s_addc_u32 s5, s15, -1
	s_mov_b64 s[6:7], 0
	s_mov_b32 s33, 0
                                        ; implicit-def: $sgpr34
	s_set_inst_prefetch_distance 0x1
	s_branch .LBB699_153
	.p2align	6
.LBB699_151:                            ;   in Loop: Header=BB699_153 Depth=1
	global_load_u16 v23, v[21:22], off
	global_load_u16 v24, v[19:20], off
	v_add_co_u32 v19, vcc_lo, v19, 2
	v_add_co_ci_u32_e32 v20, vcc_lo, 0, v20, vcc_lo
	v_add_co_u32 v21, s0, v21, 2
	s_delay_alu instid0(VALU_DEP_1)
	v_add_co_ci_u32_e64 v22, s0, 0, v22, s0
	s_add_u32 s6, s6, 1
	s_addc_u32 s7, s7, 0
	s_and_not1_b32 s0, s34, exec_lo
	s_waitcnt vmcnt(0)
	v_cmp_ne_u16_e32 vcc_lo, v23, v24
	s_and_b32 s34, vcc_lo, exec_lo
	s_delay_alu instid0(SALU_CYCLE_1)
	s_or_b32 s34, s0, s34
.LBB699_152:                            ;   in Loop: Header=BB699_153 Depth=1
	v_dual_mov_b32 v24, s7 :: v_dual_mov_b32 v23, s6
	s_and_b32 s0, exec_lo, s34
	s_delay_alu instid0(SALU_CYCLE_1) | instskip(NEXT) | instid1(SALU_CYCLE_1)
	s_or_b32 s33, s0, s33
	s_and_not1_b32 exec_lo, exec_lo, s33
	s_cbranch_execz .LBB699_155
.LBB699_153:                            ; =>This Inner Loop Header: Depth=1
	s_or_b32 s34, s34, exec_lo
	s_cmp_eq_u64 s[4:5], s[6:7]
	s_cbranch_scc0 .LBB699_151
; %bb.154:                              ;   in Loop: Header=BB699_153 Depth=1
	s_mov_b64 s[6:7], s[14:15]
                                        ; implicit-def: $vgpr19_vgpr20
                                        ; implicit-def: $vgpr21_vgpr22
	s_branch .LBB699_152
.LBB699_155:
	s_set_inst_prefetch_distance 0x2
	s_or_b32 exec_lo, exec_lo, s33
	v_cmp_gt_i64_e32 vcc_lo, s[14:15], v[23:24]
	s_or_not1_b32 s0, vcc_lo, exec_lo
.LBB699_156:
	s_or_b32 exec_lo, exec_lo, s29
.LBB699_157:
	s_delay_alu instid0(SALU_CYCLE_1)
	s_and_b32 s29, s0, exec_lo
.LBB699_158:
	s_or_b32 exec_lo, exec_lo, s31
	v_or_b32_e32 v19, 2, v39
	s_mov_b32 s31, exec_lo
	s_delay_alu instid0(VALU_DEP_1)
	v_cmpx_gt_u32_e64 s12, v19
	s_cbranch_execz .LBB699_169
; %bb.159:
	v_cmp_ne_u32_e32 vcc_lo, 1, v27
	s_mov_b32 s0, 0
	s_cbranch_vccnz .LBB699_168
; %bb.160:
	v_mul_lo_u32 v23, v16, s14
	v_mul_lo_u32 v24, v15, s15
	v_mad_u64_u32 v[19:20], null, v15, s14, 0
	v_mul_lo_u32 v25, v10, s14
	v_mul_lo_u32 v26, v9, s15
	s_waitcnt lgkmcnt(0)
	v_mad_u64_u32 v[21:22], null, v9, s14, 0
	s_mov_b32 s0, -1
	s_mov_b32 s30, exec_lo
	s_delay_alu instid0(VALU_DEP_4) | instskip(NEXT) | instid1(VALU_DEP_2)
	v_add3_u32 v20, v20, v24, v23
	v_add3_u32 v22, v22, v26, v25
	s_delay_alu instid0(VALU_DEP_2) | instskip(NEXT) | instid1(VALU_DEP_2)
	v_lshlrev_b64 v[19:20], 1, v[19:20]
	v_lshlrev_b64 v[23:24], 1, v[21:22]
	s_delay_alu instid0(VALU_DEP_2) | instskip(NEXT) | instid1(VALU_DEP_3)
	v_add_co_u32 v21, vcc_lo, s16, v19
	v_add_co_ci_u32_e32 v22, vcc_lo, s17, v20, vcc_lo
	s_delay_alu instid0(VALU_DEP_3) | instskip(NEXT) | instid1(VALU_DEP_4)
	v_add_co_u32 v19, vcc_lo, s16, v23
	v_add_co_ci_u32_e32 v20, vcc_lo, s17, v24, vcc_lo
	s_clause 0x1
	global_load_u16 v23, v[21:22], off
	global_load_u16 v24, v[19:20], off
	s_waitcnt vmcnt(0)
	v_cmpx_eq_u16_e64 v23, v24
	s_cbranch_execz .LBB699_167
; %bb.161:
	v_add_co_u32 v19, vcc_lo, v19, 2
	v_add_co_ci_u32_e32 v20, vcc_lo, 0, v20, vcc_lo
	v_add_co_u32 v21, vcc_lo, v21, 2
	v_add_co_ci_u32_e32 v22, vcc_lo, 0, v22, vcc_lo
	s_add_u32 s4, s14, -1
	s_addc_u32 s5, s15, -1
	s_mov_b64 s[6:7], 0
	s_mov_b32 s33, 0
                                        ; implicit-def: $sgpr34
	s_set_inst_prefetch_distance 0x1
	s_branch .LBB699_164
	.p2align	6
.LBB699_162:                            ;   in Loop: Header=BB699_164 Depth=1
	global_load_u16 v23, v[21:22], off
	global_load_u16 v24, v[19:20], off
	v_add_co_u32 v19, vcc_lo, v19, 2
	v_add_co_ci_u32_e32 v20, vcc_lo, 0, v20, vcc_lo
	v_add_co_u32 v21, s0, v21, 2
	s_delay_alu instid0(VALU_DEP_1)
	v_add_co_ci_u32_e64 v22, s0, 0, v22, s0
	s_add_u32 s6, s6, 1
	s_addc_u32 s7, s7, 0
	s_and_not1_b32 s0, s34, exec_lo
	s_waitcnt vmcnt(0)
	v_cmp_ne_u16_e32 vcc_lo, v23, v24
	s_and_b32 s34, vcc_lo, exec_lo
	s_delay_alu instid0(SALU_CYCLE_1)
	s_or_b32 s34, s0, s34
.LBB699_163:                            ;   in Loop: Header=BB699_164 Depth=1
	v_dual_mov_b32 v24, s7 :: v_dual_mov_b32 v23, s6
	s_and_b32 s0, exec_lo, s34
	s_delay_alu instid0(SALU_CYCLE_1) | instskip(NEXT) | instid1(SALU_CYCLE_1)
	s_or_b32 s33, s0, s33
	s_and_not1_b32 exec_lo, exec_lo, s33
	s_cbranch_execz .LBB699_166
.LBB699_164:                            ; =>This Inner Loop Header: Depth=1
	s_or_b32 s34, s34, exec_lo
	s_cmp_eq_u64 s[4:5], s[6:7]
	s_cbranch_scc0 .LBB699_162
; %bb.165:                              ;   in Loop: Header=BB699_164 Depth=1
	s_mov_b64 s[6:7], s[14:15]
                                        ; implicit-def: $vgpr19_vgpr20
                                        ; implicit-def: $vgpr21_vgpr22
	s_branch .LBB699_163
.LBB699_166:
	s_set_inst_prefetch_distance 0x2
	s_or_b32 exec_lo, exec_lo, s33
	v_cmp_gt_i64_e32 vcc_lo, s[14:15], v[23:24]
	s_or_not1_b32 s0, vcc_lo, exec_lo
.LBB699_167:
	s_or_b32 exec_lo, exec_lo, s30
.LBB699_168:
	s_delay_alu instid0(SALU_CYCLE_1)
	s_and_b32 s30, s0, exec_lo
.LBB699_169:
	s_or_b32 exec_lo, exec_lo, s31
	v_or_b32_e32 v19, 1, v39
	s_mov_b32 s0, 0
	s_mov_b32 s31, exec_lo
	s_delay_alu instid0(VALU_DEP_1)
	v_cmpx_gt_u32_e64 s12, v19
	s_cbranch_execz .LBB699_180
; %bb.170:
	v_cmp_ne_u32_e32 vcc_lo, 1, v27
	s_cbranch_vccnz .LBB699_179
; %bb.171:
	v_mul_lo_u32 v23, v14, s14
	v_mul_lo_u32 v24, v13, s15
	v_mad_u64_u32 v[19:20], null, v13, s14, 0
	v_mul_lo_u32 v25, v16, s14
	v_mul_lo_u32 v26, v15, s15
	s_waitcnt lgkmcnt(0)
	v_mad_u64_u32 v[21:22], null, v15, s14, 0
	s_mov_b32 s0, -1
	s_mov_b32 s33, exec_lo
	s_delay_alu instid0(VALU_DEP_4) | instskip(NEXT) | instid1(VALU_DEP_2)
	v_add3_u32 v20, v20, v24, v23
	v_add3_u32 v22, v22, v26, v25
	s_delay_alu instid0(VALU_DEP_2) | instskip(NEXT) | instid1(VALU_DEP_2)
	v_lshlrev_b64 v[19:20], 1, v[19:20]
	v_lshlrev_b64 v[23:24], 1, v[21:22]
	s_delay_alu instid0(VALU_DEP_2) | instskip(NEXT) | instid1(VALU_DEP_3)
	v_add_co_u32 v21, vcc_lo, s16, v19
	v_add_co_ci_u32_e32 v22, vcc_lo, s17, v20, vcc_lo
	s_delay_alu instid0(VALU_DEP_3) | instskip(NEXT) | instid1(VALU_DEP_4)
	v_add_co_u32 v19, vcc_lo, s16, v23
	v_add_co_ci_u32_e32 v20, vcc_lo, s17, v24, vcc_lo
	s_clause 0x1
	global_load_u16 v23, v[21:22], off
	global_load_u16 v24, v[19:20], off
	s_waitcnt vmcnt(0)
	v_cmpx_eq_u16_e64 v23, v24
	s_cbranch_execz .LBB699_178
; %bb.172:
	v_add_co_u32 v19, vcc_lo, v19, 2
	v_add_co_ci_u32_e32 v20, vcc_lo, 0, v20, vcc_lo
	v_add_co_u32 v21, vcc_lo, v21, 2
	v_add_co_ci_u32_e32 v22, vcc_lo, 0, v22, vcc_lo
	s_add_u32 s4, s14, -1
	s_addc_u32 s5, s15, -1
	s_mov_b64 s[6:7], 0
	s_mov_b32 s34, 0
                                        ; implicit-def: $sgpr35
	s_set_inst_prefetch_distance 0x1
	s_branch .LBB699_175
	.p2align	6
.LBB699_173:                            ;   in Loop: Header=BB699_175 Depth=1
	global_load_u16 v23, v[21:22], off
	global_load_u16 v24, v[19:20], off
	v_add_co_u32 v19, vcc_lo, v19, 2
	v_add_co_ci_u32_e32 v20, vcc_lo, 0, v20, vcc_lo
	v_add_co_u32 v21, s0, v21, 2
	s_delay_alu instid0(VALU_DEP_1)
	v_add_co_ci_u32_e64 v22, s0, 0, v22, s0
	s_add_u32 s6, s6, 1
	s_addc_u32 s7, s7, 0
	s_and_not1_b32 s0, s35, exec_lo
	s_waitcnt vmcnt(0)
	v_cmp_ne_u16_e32 vcc_lo, v23, v24
	s_and_b32 s35, vcc_lo, exec_lo
	s_delay_alu instid0(SALU_CYCLE_1)
	s_or_b32 s35, s0, s35
.LBB699_174:                            ;   in Loop: Header=BB699_175 Depth=1
	v_dual_mov_b32 v24, s7 :: v_dual_mov_b32 v23, s6
	s_and_b32 s0, exec_lo, s35
	s_delay_alu instid0(SALU_CYCLE_1) | instskip(NEXT) | instid1(SALU_CYCLE_1)
	s_or_b32 s34, s0, s34
	s_and_not1_b32 exec_lo, exec_lo, s34
	s_cbranch_execz .LBB699_177
.LBB699_175:                            ; =>This Inner Loop Header: Depth=1
	s_or_b32 s35, s35, exec_lo
	s_cmp_eq_u64 s[4:5], s[6:7]
	s_cbranch_scc0 .LBB699_173
; %bb.176:                              ;   in Loop: Header=BB699_175 Depth=1
	s_mov_b64 s[6:7], s[14:15]
                                        ; implicit-def: $vgpr19_vgpr20
                                        ; implicit-def: $vgpr21_vgpr22
	s_branch .LBB699_174
.LBB699_177:
	s_set_inst_prefetch_distance 0x2
	s_or_b32 exec_lo, exec_lo, s34
	v_cmp_gt_i64_e32 vcc_lo, s[14:15], v[23:24]
	s_or_not1_b32 s0, vcc_lo, exec_lo
.LBB699_178:
	s_or_b32 exec_lo, exec_lo, s33
.LBB699_179:
	s_delay_alu instid0(SALU_CYCLE_1)
	s_and_b32 s0, s0, exec_lo
.LBB699_180:
	s_or_b32 exec_lo, exec_lo, s31
	s_waitcnt vmcnt(0) lgkmcnt(0)
	s_barrier
	buffer_gl0_inv
	s_and_saveexec_b32 s4, s3
	s_cbranch_execz .LBB699_182
; %bb.181:
	v_add_nc_u32_e32 v17, -8, v39
	ds_load_b64 v[17:18], v17
.LBB699_182:
	s_or_b32 exec_lo, exec_lo, s4
	v_cndmask_b32_e64 v20, 0, 1, s29
	v_cndmask_b32_e64 v22, 0, 1, s26
	;; [unrolled: 1-line block ×7, first 2 shown]
	v_lshlrev_b16 v20, 8, v20
	v_lshlrev_b16 v22, 8, v22
	v_lshlrev_b16 v23, 8, v23
	s_mov_b32 s0, 0
	v_lshlrev_b16 v25, 8, v25
	v_or_b32_e32 v19, v19, v20
	v_or_b32_e32 v20, v21, v22
	;; [unrolled: 1-line block ×3, first 2 shown]
	s_mov_b32 s25, exec_lo
	v_and_b32_e32 v23, 0xffff, v25
	v_lshlrev_b32_e32 v24, 16, v19
	v_and_b32_e32 v25, 0xffff, v20
	v_lshlrev_b32_e32 v26, 16, v21
	v_cmpx_gt_u32_e64 s12, v39
	s_cbranch_execz .LBB699_193
; %bb.183:
	v_cmp_ne_u32_e32 vcc_lo, 1, v27
	s_cbranch_vccnz .LBB699_192
; %bb.184:
	s_waitcnt lgkmcnt(0)
	v_mul_lo_u32 v22, v18, s14
	v_mul_lo_u32 v27, v17, s15
	v_mad_u64_u32 v[18:19], null, v17, s14, 0
	v_mul_lo_u32 v17, v14, s14
	v_mul_lo_u32 v28, v13, s15
	v_mad_u64_u32 v[20:21], null, v13, s14, 0
	s_mov_b32 s0, -1
	s_mov_b32 s26, exec_lo
	s_delay_alu instid0(VALU_DEP_4) | instskip(NEXT) | instid1(VALU_DEP_2)
	v_add3_u32 v19, v19, v27, v22
	v_add3_u32 v21, v21, v28, v17
	s_delay_alu instid0(VALU_DEP_2) | instskip(NEXT) | instid1(VALU_DEP_2)
	v_lshlrev_b64 v[17:18], 1, v[18:19]
	v_lshlrev_b64 v[21:22], 1, v[20:21]
	s_delay_alu instid0(VALU_DEP_2) | instskip(NEXT) | instid1(VALU_DEP_3)
	v_add_co_u32 v19, vcc_lo, s16, v17
	v_add_co_ci_u32_e32 v20, vcc_lo, s17, v18, vcc_lo
	s_delay_alu instid0(VALU_DEP_3) | instskip(NEXT) | instid1(VALU_DEP_4)
	v_add_co_u32 v17, vcc_lo, s16, v21
	v_add_co_ci_u32_e32 v18, vcc_lo, s17, v22, vcc_lo
	s_clause 0x1
	global_load_u16 v21, v[19:20], off
	global_load_u16 v22, v[17:18], off
	s_waitcnt vmcnt(0)
	v_cmpx_eq_u16_e64 v21, v22
	s_cbranch_execz .LBB699_191
; %bb.185:
	v_add_co_u32 v17, vcc_lo, v17, 2
	v_add_co_ci_u32_e32 v18, vcc_lo, 0, v18, vcc_lo
	v_add_co_u32 v19, vcc_lo, v19, 2
	v_add_co_ci_u32_e32 v20, vcc_lo, 0, v20, vcc_lo
	s_add_u32 s4, s14, -1
	s_addc_u32 s5, s15, -1
	s_mov_b64 s[6:7], 0
	s_mov_b32 s27, 0
                                        ; implicit-def: $sgpr28
	s_set_inst_prefetch_distance 0x1
	s_branch .LBB699_188
	.p2align	6
.LBB699_186:                            ;   in Loop: Header=BB699_188 Depth=1
	global_load_u16 v21, v[19:20], off
	global_load_u16 v22, v[17:18], off
	v_add_co_u32 v17, vcc_lo, v17, 2
	v_add_co_ci_u32_e32 v18, vcc_lo, 0, v18, vcc_lo
	v_add_co_u32 v19, s0, v19, 2
	s_delay_alu instid0(VALU_DEP_1)
	v_add_co_ci_u32_e64 v20, s0, 0, v20, s0
	s_add_u32 s6, s6, 1
	s_addc_u32 s7, s7, 0
	s_and_not1_b32 s0, s28, exec_lo
	s_waitcnt vmcnt(0)
	v_cmp_ne_u16_e32 vcc_lo, v21, v22
	s_and_b32 s28, vcc_lo, exec_lo
	s_delay_alu instid0(SALU_CYCLE_1)
	s_or_b32 s28, s0, s28
.LBB699_187:                            ;   in Loop: Header=BB699_188 Depth=1
	v_dual_mov_b32 v22, s7 :: v_dual_mov_b32 v21, s6
	s_and_b32 s0, exec_lo, s28
	s_delay_alu instid0(SALU_CYCLE_1) | instskip(NEXT) | instid1(SALU_CYCLE_1)
	s_or_b32 s27, s0, s27
	s_and_not1_b32 exec_lo, exec_lo, s27
	s_cbranch_execz .LBB699_190
.LBB699_188:                            ; =>This Inner Loop Header: Depth=1
	s_or_b32 s28, s28, exec_lo
	s_cmp_eq_u64 s[4:5], s[6:7]
	s_cbranch_scc0 .LBB699_186
; %bb.189:                              ;   in Loop: Header=BB699_188 Depth=1
	s_mov_b64 s[6:7], s[14:15]
                                        ; implicit-def: $vgpr17_vgpr18
                                        ; implicit-def: $vgpr19_vgpr20
	s_branch .LBB699_187
.LBB699_190:
	s_set_inst_prefetch_distance 0x2
	s_or_b32 exec_lo, exec_lo, s27
	v_cmp_gt_i64_e32 vcc_lo, s[14:15], v[21:22]
	s_or_not1_b32 s0, vcc_lo, exec_lo
.LBB699_191:
	s_or_b32 exec_lo, exec_lo, s26
.LBB699_192:
	s_delay_alu instid0(SALU_CYCLE_1)
	s_and_b32 s0, s0, exec_lo
.LBB699_193:
	s_or_b32 exec_lo, exec_lo, s25
	v_or_b32_e32 v19, v23, v24
	v_or_b32_e32 v20, v25, v26
.LBB699_194:
	s_mov_b32 s25, -1
	s_cbranch_execnz .LBB699_363
.LBB699_195:
	v_cmp_gt_i64_e64 s26, s[14:15], 0
	s_and_b32 vcc_lo, exec_lo, s22
	ds_store_b64 v39, v[3:4]
	s_cbranch_vccz .LBB699_203
; %bb.196:
	v_mul_lo_u32 v19, v2, s14
	v_mul_lo_u32 v20, v1, s15
	s_waitcnt vmcnt(0) lgkmcnt(1)
	v_mad_u64_u32 v[17:18], null, v1, s14, 0
	s_mov_b32 s27, 0
	s_and_not1_b32 vcc_lo, exec_lo, s26
	s_mov_b32 s28, 0
	s_delay_alu instid0(VALU_DEP_1) | instskip(NEXT) | instid1(VALU_DEP_1)
	v_add3_u32 v18, v18, v20, v19
	v_lshlrev_b64 v[17:18], 1, v[17:18]
	s_cbranch_vccnz .LBB699_206
; %bb.197:
	v_mul_lo_u32 v21, v4, s14
	v_mul_lo_u32 v22, v3, s15
	v_mad_u64_u32 v[19:20], null, v3, s14, 0
	s_mov_b32 s28, -1
	s_mov_b32 s29, exec_lo
	s_delay_alu instid0(VALU_DEP_1) | instskip(SKIP_2) | instid1(VALU_DEP_3)
	v_add3_u32 v20, v20, v22, v21
	v_add_co_u32 v21, vcc_lo, s16, v17
	v_add_co_ci_u32_e32 v22, vcc_lo, s17, v18, vcc_lo
	v_lshlrev_b64 v[19:20], 1, v[19:20]
	s_delay_alu instid0(VALU_DEP_1) | instskip(NEXT) | instid1(VALU_DEP_2)
	v_add_co_u32 v19, vcc_lo, s16, v19
	v_add_co_ci_u32_e32 v20, vcc_lo, s17, v20, vcc_lo
	s_clause 0x1
	global_load_u16 v23, v[21:22], off
	global_load_u16 v24, v[19:20], off
	s_waitcnt vmcnt(0)
	v_cmpx_eq_u16_e64 v23, v24
	s_cbranch_execz .LBB699_205
; %bb.198:
	v_add_co_u32 v19, vcc_lo, v19, 2
	v_add_co_ci_u32_e32 v20, vcc_lo, 0, v20, vcc_lo
	v_add_co_u32 v21, vcc_lo, v21, 2
	v_add_co_ci_u32_e32 v22, vcc_lo, 0, v22, vcc_lo
	s_add_u32 s4, s14, -1
	s_addc_u32 s5, s15, -1
	s_mov_b64 s[6:7], 0
	s_mov_b32 s28, 0
                                        ; implicit-def: $sgpr30
	s_set_inst_prefetch_distance 0x1
	s_branch .LBB699_201
	.p2align	6
.LBB699_199:                            ;   in Loop: Header=BB699_201 Depth=1
	global_load_u16 v23, v[21:22], off
	global_load_u16 v24, v[19:20], off
	v_add_co_u32 v19, vcc_lo, v19, 2
	v_add_co_ci_u32_e32 v20, vcc_lo, 0, v20, vcc_lo
	v_add_co_u32 v21, s0, v21, 2
	s_delay_alu instid0(VALU_DEP_1)
	v_add_co_ci_u32_e64 v22, s0, 0, v22, s0
	s_add_u32 s6, s6, 1
	s_addc_u32 s7, s7, 0
	s_and_not1_b32 s0, s30, exec_lo
	s_waitcnt vmcnt(0)
	v_cmp_ne_u16_e32 vcc_lo, v23, v24
	s_and_b32 s30, vcc_lo, exec_lo
	s_delay_alu instid0(SALU_CYCLE_1)
	s_or_b32 s30, s0, s30
.LBB699_200:                            ;   in Loop: Header=BB699_201 Depth=1
	v_dual_mov_b32 v24, s7 :: v_dual_mov_b32 v23, s6
	s_and_b32 s0, exec_lo, s30
	s_delay_alu instid0(SALU_CYCLE_1) | instskip(NEXT) | instid1(SALU_CYCLE_1)
	s_or_b32 s28, s0, s28
	s_and_not1_b32 exec_lo, exec_lo, s28
	s_cbranch_execz .LBB699_204
.LBB699_201:                            ; =>This Inner Loop Header: Depth=1
	s_or_b32 s30, s30, exec_lo
	s_cmp_eq_u64 s[4:5], s[6:7]
	s_cbranch_scc0 .LBB699_199
; %bb.202:                              ;   in Loop: Header=BB699_201 Depth=1
	s_mov_b64 s[6:7], s[14:15]
                                        ; implicit-def: $vgpr19_vgpr20
                                        ; implicit-def: $vgpr21_vgpr22
	s_branch .LBB699_200
.LBB699_203:
                                        ; implicit-def: $sgpr0
                                        ; implicit-def: $vgpr20
	s_cbranch_execnz .LBB699_272
	s_branch .LBB699_363
.LBB699_204:
	s_set_inst_prefetch_distance 0x2
	s_or_b32 exec_lo, exec_lo, s28
	v_cmp_gt_i64_e32 vcc_lo, s[14:15], v[23:24]
	s_or_not1_b32 s28, vcc_lo, exec_lo
.LBB699_205:
	s_or_b32 exec_lo, exec_lo, s29
.LBB699_206:
	v_mul_lo_u32 v21, v8, s14
	v_mul_lo_u32 v22, v7, s15
	v_mad_u64_u32 v[19:20], null, v7, s14, 0
	s_and_not1_b32 vcc_lo, exec_lo, s26
	s_delay_alu instid0(VALU_DEP_1) | instskip(NEXT) | instid1(VALU_DEP_1)
	v_add3_u32 v20, v20, v22, v21
	v_lshlrev_b64 v[19:20], 1, v[19:20]
	s_cbranch_vccnz .LBB699_215
; %bb.207:
	s_delay_alu instid0(VALU_DEP_1) | instskip(NEXT) | instid1(VALU_DEP_2)
	v_add_co_u32 v21, vcc_lo, s16, v19
	v_add_co_ci_u32_e32 v22, vcc_lo, s17, v20, vcc_lo
	v_add_co_u32 v17, vcc_lo, s16, v17
	v_add_co_ci_u32_e32 v18, vcc_lo, s17, v18, vcc_lo
	s_mov_b32 s27, -1
	s_clause 0x1
	global_load_u16 v23, v[21:22], off
	global_load_u16 v24, v[17:18], off
	s_mov_b32 s29, exec_lo
	s_waitcnt vmcnt(0)
	v_cmpx_eq_u16_e64 v23, v24
	s_cbranch_execz .LBB699_214
; %bb.208:
	v_add_co_u32 v17, vcc_lo, v17, 2
	v_add_co_ci_u32_e32 v18, vcc_lo, 0, v18, vcc_lo
	v_add_co_u32 v21, vcc_lo, v21, 2
	v_add_co_ci_u32_e32 v22, vcc_lo, 0, v22, vcc_lo
	s_add_u32 s4, s14, -1
	s_addc_u32 s5, s15, -1
	s_mov_b64 s[6:7], 0
	s_mov_b32 s27, 0
                                        ; implicit-def: $sgpr30
	s_set_inst_prefetch_distance 0x1
	s_branch .LBB699_211
	.p2align	6
.LBB699_209:                            ;   in Loop: Header=BB699_211 Depth=1
	global_load_u16 v23, v[21:22], off
	global_load_u16 v24, v[17:18], off
	v_add_co_u32 v17, vcc_lo, v17, 2
	v_add_co_ci_u32_e32 v18, vcc_lo, 0, v18, vcc_lo
	v_add_co_u32 v21, s0, v21, 2
	s_delay_alu instid0(VALU_DEP_1)
	v_add_co_ci_u32_e64 v22, s0, 0, v22, s0
	s_add_u32 s6, s6, 1
	s_addc_u32 s7, s7, 0
	s_and_not1_b32 s0, s30, exec_lo
	s_waitcnt vmcnt(0)
	v_cmp_ne_u16_e32 vcc_lo, v23, v24
	s_and_b32 s30, vcc_lo, exec_lo
	s_delay_alu instid0(SALU_CYCLE_1)
	s_or_b32 s30, s0, s30
.LBB699_210:                            ;   in Loop: Header=BB699_211 Depth=1
	v_dual_mov_b32 v24, s7 :: v_dual_mov_b32 v23, s6
	s_and_b32 s0, exec_lo, s30
	s_delay_alu instid0(SALU_CYCLE_1) | instskip(NEXT) | instid1(SALU_CYCLE_1)
	s_or_b32 s27, s0, s27
	s_and_not1_b32 exec_lo, exec_lo, s27
	s_cbranch_execz .LBB699_213
.LBB699_211:                            ; =>This Inner Loop Header: Depth=1
	s_or_b32 s30, s30, exec_lo
	s_cmp_eq_u64 s[4:5], s[6:7]
	s_cbranch_scc0 .LBB699_209
; %bb.212:                              ;   in Loop: Header=BB699_211 Depth=1
	s_mov_b64 s[6:7], s[14:15]
                                        ; implicit-def: $vgpr17_vgpr18
                                        ; implicit-def: $vgpr21_vgpr22
	s_branch .LBB699_210
.LBB699_213:
	s_set_inst_prefetch_distance 0x2
	s_or_b32 exec_lo, exec_lo, s27
	v_cmp_gt_i64_e32 vcc_lo, s[14:15], v[23:24]
	s_or_not1_b32 s27, vcc_lo, exec_lo
.LBB699_214:
	s_or_b32 exec_lo, exec_lo, s29
.LBB699_215:
	v_mul_lo_u32 v21, v6, s14
	v_mul_lo_u32 v22, v5, s15
	v_mad_u64_u32 v[17:18], null, v5, s14, 0
	s_mov_b32 s29, 0
	s_and_not1_b32 vcc_lo, exec_lo, s26
	s_mov_b32 s30, 0
	s_delay_alu instid0(VALU_DEP_1) | instskip(NEXT) | instid1(VALU_DEP_1)
	v_add3_u32 v18, v18, v22, v21
	v_lshlrev_b64 v[21:22], 1, v[17:18]
	s_cbranch_vccnz .LBB699_224
; %bb.216:
	s_delay_alu instid0(VALU_DEP_1) | instskip(NEXT) | instid1(VALU_DEP_2)
	v_add_co_u32 v23, vcc_lo, s16, v21
	v_add_co_ci_u32_e32 v24, vcc_lo, s17, v22, vcc_lo
	v_add_co_u32 v17, vcc_lo, s16, v19
	v_add_co_ci_u32_e32 v18, vcc_lo, s17, v20, vcc_lo
	s_mov_b32 s30, -1
	s_clause 0x1
	global_load_u16 v19, v[23:24], off
	global_load_u16 v20, v[17:18], off
	s_mov_b32 s31, exec_lo
	s_waitcnt vmcnt(0)
	v_cmpx_eq_u16_e64 v19, v20
	s_cbranch_execz .LBB699_223
; %bb.217:
	v_add_co_u32 v17, vcc_lo, v17, 2
	v_add_co_ci_u32_e32 v18, vcc_lo, 0, v18, vcc_lo
	v_add_co_u32 v19, vcc_lo, v23, 2
	v_add_co_ci_u32_e32 v20, vcc_lo, 0, v24, vcc_lo
	s_add_u32 s4, s14, -1
	s_addc_u32 s5, s15, -1
	s_mov_b64 s[6:7], 0
	s_mov_b32 s30, 0
                                        ; implicit-def: $sgpr33
	s_set_inst_prefetch_distance 0x1
	s_branch .LBB699_220
	.p2align	6
.LBB699_218:                            ;   in Loop: Header=BB699_220 Depth=1
	global_load_u16 v23, v[19:20], off
	global_load_u16 v24, v[17:18], off
	v_add_co_u32 v17, vcc_lo, v17, 2
	v_add_co_ci_u32_e32 v18, vcc_lo, 0, v18, vcc_lo
	v_add_co_u32 v19, s0, v19, 2
	s_delay_alu instid0(VALU_DEP_1)
	v_add_co_ci_u32_e64 v20, s0, 0, v20, s0
	s_add_u32 s6, s6, 1
	s_addc_u32 s7, s7, 0
	s_and_not1_b32 s0, s33, exec_lo
	s_waitcnt vmcnt(0)
	v_cmp_ne_u16_e32 vcc_lo, v23, v24
	s_and_b32 s33, vcc_lo, exec_lo
	s_delay_alu instid0(SALU_CYCLE_1)
	s_or_b32 s33, s0, s33
.LBB699_219:                            ;   in Loop: Header=BB699_220 Depth=1
	v_dual_mov_b32 v24, s7 :: v_dual_mov_b32 v23, s6
	s_and_b32 s0, exec_lo, s33
	s_delay_alu instid0(SALU_CYCLE_1) | instskip(NEXT) | instid1(SALU_CYCLE_1)
	s_or_b32 s30, s0, s30
	s_and_not1_b32 exec_lo, exec_lo, s30
	s_cbranch_execz .LBB699_222
.LBB699_220:                            ; =>This Inner Loop Header: Depth=1
	s_or_b32 s33, s33, exec_lo
	s_cmp_eq_u64 s[4:5], s[6:7]
	s_cbranch_scc0 .LBB699_218
; %bb.221:                              ;   in Loop: Header=BB699_220 Depth=1
	s_mov_b64 s[6:7], s[14:15]
                                        ; implicit-def: $vgpr17_vgpr18
                                        ; implicit-def: $vgpr19_vgpr20
	s_branch .LBB699_219
.LBB699_222:
	s_set_inst_prefetch_distance 0x2
	s_or_b32 exec_lo, exec_lo, s30
	v_cmp_gt_i64_e32 vcc_lo, s[14:15], v[23:24]
	s_or_not1_b32 s30, vcc_lo, exec_lo
.LBB699_223:
	s_or_b32 exec_lo, exec_lo, s31
.LBB699_224:
	v_mul_lo_u32 v19, v12, s14
	v_mul_lo_u32 v20, v11, s15
	v_mad_u64_u32 v[17:18], null, v11, s14, 0
	s_and_not1_b32 vcc_lo, exec_lo, s26
	s_delay_alu instid0(VALU_DEP_1) | instskip(NEXT) | instid1(VALU_DEP_1)
	v_add3_u32 v18, v18, v20, v19
	v_lshlrev_b64 v[17:18], 1, v[17:18]
	s_cbranch_vccnz .LBB699_233
; %bb.225:
	s_delay_alu instid0(VALU_DEP_1) | instskip(NEXT) | instid1(VALU_DEP_2)
	v_add_co_u32 v23, vcc_lo, s16, v17
	v_add_co_ci_u32_e32 v24, vcc_lo, s17, v18, vcc_lo
	v_add_co_u32 v19, vcc_lo, s16, v21
	v_add_co_ci_u32_e32 v20, vcc_lo, s17, v22, vcc_lo
	s_mov_b32 s29, -1
	s_clause 0x1
	global_load_u16 v21, v[23:24], off
	global_load_u16 v22, v[19:20], off
	s_mov_b32 s31, exec_lo
	s_waitcnt vmcnt(0)
	v_cmpx_eq_u16_e64 v21, v22
	s_cbranch_execz .LBB699_232
; %bb.226:
	v_add_co_u32 v19, vcc_lo, v19, 2
	v_add_co_ci_u32_e32 v20, vcc_lo, 0, v20, vcc_lo
	v_add_co_u32 v21, vcc_lo, v23, 2
	v_add_co_ci_u32_e32 v22, vcc_lo, 0, v24, vcc_lo
	s_add_u32 s4, s14, -1
	s_addc_u32 s5, s15, -1
	s_mov_b64 s[6:7], 0
	s_mov_b32 s29, 0
                                        ; implicit-def: $sgpr33
	s_set_inst_prefetch_distance 0x1
	s_branch .LBB699_229
	.p2align	6
.LBB699_227:                            ;   in Loop: Header=BB699_229 Depth=1
	global_load_u16 v23, v[21:22], off
	global_load_u16 v24, v[19:20], off
	v_add_co_u32 v19, vcc_lo, v19, 2
	v_add_co_ci_u32_e32 v20, vcc_lo, 0, v20, vcc_lo
	v_add_co_u32 v21, s0, v21, 2
	s_delay_alu instid0(VALU_DEP_1)
	v_add_co_ci_u32_e64 v22, s0, 0, v22, s0
	s_add_u32 s6, s6, 1
	s_addc_u32 s7, s7, 0
	s_and_not1_b32 s0, s33, exec_lo
	s_waitcnt vmcnt(0)
	v_cmp_ne_u16_e32 vcc_lo, v23, v24
	s_and_b32 s33, vcc_lo, exec_lo
	s_delay_alu instid0(SALU_CYCLE_1)
	s_or_b32 s33, s0, s33
.LBB699_228:                            ;   in Loop: Header=BB699_229 Depth=1
	v_dual_mov_b32 v24, s7 :: v_dual_mov_b32 v23, s6
	s_and_b32 s0, exec_lo, s33
	s_delay_alu instid0(SALU_CYCLE_1) | instskip(NEXT) | instid1(SALU_CYCLE_1)
	s_or_b32 s29, s0, s29
	s_and_not1_b32 exec_lo, exec_lo, s29
	s_cbranch_execz .LBB699_231
.LBB699_229:                            ; =>This Inner Loop Header: Depth=1
	s_or_b32 s33, s33, exec_lo
	s_cmp_eq_u64 s[4:5], s[6:7]
	s_cbranch_scc0 .LBB699_227
; %bb.230:                              ;   in Loop: Header=BB699_229 Depth=1
	s_mov_b64 s[6:7], s[14:15]
                                        ; implicit-def: $vgpr19_vgpr20
                                        ; implicit-def: $vgpr21_vgpr22
	s_branch .LBB699_228
.LBB699_231:
	s_set_inst_prefetch_distance 0x2
	s_or_b32 exec_lo, exec_lo, s29
	v_cmp_gt_i64_e32 vcc_lo, s[14:15], v[23:24]
	s_or_not1_b32 s29, vcc_lo, exec_lo
.LBB699_232:
	s_or_b32 exec_lo, exec_lo, s31
.LBB699_233:
	v_mul_lo_u32 v21, v10, s14
	v_mul_lo_u32 v22, v9, s15
	v_mad_u64_u32 v[19:20], null, v9, s14, 0
	s_mov_b32 s31, 0
	s_and_not1_b32 vcc_lo, exec_lo, s26
	s_mov_b32 s33, 0
	s_delay_alu instid0(VALU_DEP_1) | instskip(NEXT) | instid1(VALU_DEP_1)
	v_add3_u32 v20, v20, v22, v21
	v_lshlrev_b64 v[21:22], 1, v[19:20]
	s_cbranch_vccnz .LBB699_242
; %bb.234:
	s_delay_alu instid0(VALU_DEP_1) | instskip(NEXT) | instid1(VALU_DEP_2)
	v_add_co_u32 v19, vcc_lo, s16, v21
	v_add_co_ci_u32_e32 v20, vcc_lo, s17, v22, vcc_lo
	v_add_co_u32 v17, vcc_lo, s16, v17
	v_add_co_ci_u32_e32 v18, vcc_lo, s17, v18, vcc_lo
	s_mov_b32 s33, -1
	s_clause 0x1
	global_load_u16 v23, v[19:20], off
	global_load_u16 v24, v[17:18], off
	s_mov_b32 s34, exec_lo
	s_waitcnt vmcnt(0)
	v_cmpx_eq_u16_e64 v23, v24
	s_cbranch_execz .LBB699_241
; %bb.235:
	v_add_co_u32 v17, vcc_lo, v17, 2
	v_add_co_ci_u32_e32 v18, vcc_lo, 0, v18, vcc_lo
	v_add_co_u32 v19, vcc_lo, v19, 2
	v_add_co_ci_u32_e32 v20, vcc_lo, 0, v20, vcc_lo
	s_add_u32 s4, s14, -1
	s_addc_u32 s5, s15, -1
	s_mov_b64 s[6:7], 0
	s_mov_b32 s33, 0
                                        ; implicit-def: $sgpr35
	s_set_inst_prefetch_distance 0x1
	s_branch .LBB699_238
	.p2align	6
.LBB699_236:                            ;   in Loop: Header=BB699_238 Depth=1
	global_load_u16 v23, v[19:20], off
	global_load_u16 v24, v[17:18], off
	v_add_co_u32 v17, vcc_lo, v17, 2
	v_add_co_ci_u32_e32 v18, vcc_lo, 0, v18, vcc_lo
	v_add_co_u32 v19, s0, v19, 2
	s_delay_alu instid0(VALU_DEP_1)
	v_add_co_ci_u32_e64 v20, s0, 0, v20, s0
	s_add_u32 s6, s6, 1
	s_addc_u32 s7, s7, 0
	s_and_not1_b32 s0, s35, exec_lo
	s_waitcnt vmcnt(0)
	v_cmp_ne_u16_e32 vcc_lo, v23, v24
	s_and_b32 s35, vcc_lo, exec_lo
	s_delay_alu instid0(SALU_CYCLE_1)
	s_or_b32 s35, s0, s35
.LBB699_237:                            ;   in Loop: Header=BB699_238 Depth=1
	v_dual_mov_b32 v24, s7 :: v_dual_mov_b32 v23, s6
	s_and_b32 s0, exec_lo, s35
	s_delay_alu instid0(SALU_CYCLE_1) | instskip(NEXT) | instid1(SALU_CYCLE_1)
	s_or_b32 s33, s0, s33
	s_and_not1_b32 exec_lo, exec_lo, s33
	s_cbranch_execz .LBB699_240
.LBB699_238:                            ; =>This Inner Loop Header: Depth=1
	s_or_b32 s35, s35, exec_lo
	s_cmp_eq_u64 s[4:5], s[6:7]
	s_cbranch_scc0 .LBB699_236
; %bb.239:                              ;   in Loop: Header=BB699_238 Depth=1
	s_mov_b64 s[6:7], s[14:15]
                                        ; implicit-def: $vgpr17_vgpr18
                                        ; implicit-def: $vgpr19_vgpr20
	s_branch .LBB699_237
.LBB699_240:
	s_set_inst_prefetch_distance 0x2
	s_or_b32 exec_lo, exec_lo, s33
	v_cmp_gt_i64_e32 vcc_lo, s[14:15], v[23:24]
	s_or_not1_b32 s33, vcc_lo, exec_lo
.LBB699_241:
	s_or_b32 exec_lo, exec_lo, s34
.LBB699_242:
	v_mul_lo_u32 v19, v16, s14
	v_mul_lo_u32 v20, v15, s15
	v_mad_u64_u32 v[17:18], null, v15, s14, 0
	s_and_not1_b32 vcc_lo, exec_lo, s26
	s_delay_alu instid0(VALU_DEP_1) | instskip(NEXT) | instid1(VALU_DEP_1)
	v_add3_u32 v18, v18, v20, v19
	v_lshlrev_b64 v[19:20], 1, v[17:18]
	s_cbranch_vccnz .LBB699_251
; %bb.243:
	s_delay_alu instid0(VALU_DEP_1) | instskip(NEXT) | instid1(VALU_DEP_2)
	v_add_co_u32 v23, vcc_lo, s16, v19
	v_add_co_ci_u32_e32 v24, vcc_lo, s17, v20, vcc_lo
	v_add_co_u32 v17, vcc_lo, s16, v21
	v_add_co_ci_u32_e32 v18, vcc_lo, s17, v22, vcc_lo
	s_mov_b32 s31, -1
	s_clause 0x1
	global_load_u16 v21, v[23:24], off
	global_load_u16 v22, v[17:18], off
	s_mov_b32 s34, exec_lo
	s_waitcnt vmcnt(0)
	v_cmpx_eq_u16_e64 v21, v22
	s_cbranch_execz .LBB699_250
; %bb.244:
	v_add_co_u32 v17, vcc_lo, v17, 2
	v_add_co_ci_u32_e32 v18, vcc_lo, 0, v18, vcc_lo
	v_add_co_u32 v21, vcc_lo, v23, 2
	v_add_co_ci_u32_e32 v22, vcc_lo, 0, v24, vcc_lo
	s_add_u32 s4, s14, -1
	s_addc_u32 s5, s15, -1
	s_mov_b64 s[6:7], 0
	s_mov_b32 s31, 0
                                        ; implicit-def: $sgpr35
	s_set_inst_prefetch_distance 0x1
	s_branch .LBB699_247
	.p2align	6
.LBB699_245:                            ;   in Loop: Header=BB699_247 Depth=1
	global_load_u16 v23, v[21:22], off
	global_load_u16 v24, v[17:18], off
	v_add_co_u32 v17, vcc_lo, v17, 2
	v_add_co_ci_u32_e32 v18, vcc_lo, 0, v18, vcc_lo
	v_add_co_u32 v21, s0, v21, 2
	s_delay_alu instid0(VALU_DEP_1)
	v_add_co_ci_u32_e64 v22, s0, 0, v22, s0
	s_add_u32 s6, s6, 1
	s_addc_u32 s7, s7, 0
	s_and_not1_b32 s0, s35, exec_lo
	s_waitcnt vmcnt(0)
	v_cmp_ne_u16_e32 vcc_lo, v23, v24
	s_and_b32 s35, vcc_lo, exec_lo
	s_delay_alu instid0(SALU_CYCLE_1)
	s_or_b32 s35, s0, s35
.LBB699_246:                            ;   in Loop: Header=BB699_247 Depth=1
	v_dual_mov_b32 v24, s7 :: v_dual_mov_b32 v23, s6
	s_and_b32 s0, exec_lo, s35
	s_delay_alu instid0(SALU_CYCLE_1) | instskip(NEXT) | instid1(SALU_CYCLE_1)
	s_or_b32 s31, s0, s31
	s_and_not1_b32 exec_lo, exec_lo, s31
	s_cbranch_execz .LBB699_249
.LBB699_247:                            ; =>This Inner Loop Header: Depth=1
	s_or_b32 s35, s35, exec_lo
	s_cmp_eq_u64 s[4:5], s[6:7]
	s_cbranch_scc0 .LBB699_245
; %bb.248:                              ;   in Loop: Header=BB699_247 Depth=1
	s_mov_b64 s[6:7], s[14:15]
                                        ; implicit-def: $vgpr17_vgpr18
                                        ; implicit-def: $vgpr21_vgpr22
	s_branch .LBB699_246
.LBB699_249:
	s_set_inst_prefetch_distance 0x2
	s_or_b32 exec_lo, exec_lo, s31
	v_cmp_gt_i64_e32 vcc_lo, s[14:15], v[23:24]
	s_or_not1_b32 s31, vcc_lo, exec_lo
.LBB699_250:
	s_or_b32 exec_lo, exec_lo, s34
.LBB699_251:
	v_mul_lo_u32 v21, v14, s14
	v_mul_lo_u32 v22, v13, s15
	v_mad_u64_u32 v[17:18], null, v13, s14, 0
	s_and_not1_b32 vcc_lo, exec_lo, s26
	s_mov_b32 s0, 0
	s_delay_alu instid0(VALU_DEP_1)
	v_add3_u32 v18, v18, v22, v21
	s_cbranch_vccnz .LBB699_260
; %bb.252:
	s_delay_alu instid0(VALU_DEP_1) | instskip(SKIP_2) | instid1(VALU_DEP_1)
	v_lshlrev_b64 v[21:22], 1, v[17:18]
	s_mov_b32 s0, -1
	s_mov_b32 s34, exec_lo
	v_add_co_u32 v21, vcc_lo, s16, v21
	s_delay_alu instid0(VALU_DEP_2)
	v_add_co_ci_u32_e32 v22, vcc_lo, s17, v22, vcc_lo
	v_add_co_u32 v19, vcc_lo, s16, v19
	v_add_co_ci_u32_e32 v20, vcc_lo, s17, v20, vcc_lo
	s_clause 0x1
	global_load_u16 v23, v[21:22], off
	global_load_u16 v24, v[19:20], off
	s_waitcnt vmcnt(0)
	v_cmpx_eq_u16_e64 v23, v24
	s_cbranch_execz .LBB699_259
; %bb.253:
	v_add_co_u32 v19, vcc_lo, v19, 2
	v_add_co_ci_u32_e32 v20, vcc_lo, 0, v20, vcc_lo
	v_add_co_u32 v21, vcc_lo, v21, 2
	v_add_co_ci_u32_e32 v22, vcc_lo, 0, v22, vcc_lo
	s_add_u32 s4, s14, -1
	s_addc_u32 s5, s15, -1
	s_mov_b64 s[6:7], 0
	s_mov_b32 s35, 0
                                        ; implicit-def: $sgpr36
	s_set_inst_prefetch_distance 0x1
	s_branch .LBB699_256
	.p2align	6
.LBB699_254:                            ;   in Loop: Header=BB699_256 Depth=1
	global_load_u16 v23, v[21:22], off
	global_load_u16 v24, v[19:20], off
	v_add_co_u32 v19, vcc_lo, v19, 2
	v_add_co_ci_u32_e32 v20, vcc_lo, 0, v20, vcc_lo
	v_add_co_u32 v21, s0, v21, 2
	s_delay_alu instid0(VALU_DEP_1)
	v_add_co_ci_u32_e64 v22, s0, 0, v22, s0
	s_add_u32 s6, s6, 1
	s_addc_u32 s7, s7, 0
	s_and_not1_b32 s0, s36, exec_lo
	s_waitcnt vmcnt(0)
	v_cmp_ne_u16_e32 vcc_lo, v23, v24
	s_and_b32 s36, vcc_lo, exec_lo
	s_delay_alu instid0(SALU_CYCLE_1)
	s_or_b32 s36, s0, s36
.LBB699_255:                            ;   in Loop: Header=BB699_256 Depth=1
	v_dual_mov_b32 v24, s7 :: v_dual_mov_b32 v23, s6
	s_and_b32 s0, exec_lo, s36
	s_delay_alu instid0(SALU_CYCLE_1) | instskip(NEXT) | instid1(SALU_CYCLE_1)
	s_or_b32 s35, s0, s35
	s_and_not1_b32 exec_lo, exec_lo, s35
	s_cbranch_execz .LBB699_258
.LBB699_256:                            ; =>This Inner Loop Header: Depth=1
	s_or_b32 s36, s36, exec_lo
	s_cmp_eq_u64 s[4:5], s[6:7]
	s_cbranch_scc0 .LBB699_254
; %bb.257:                              ;   in Loop: Header=BB699_256 Depth=1
	s_mov_b64 s[6:7], s[14:15]
                                        ; implicit-def: $vgpr19_vgpr20
                                        ; implicit-def: $vgpr21_vgpr22
	s_branch .LBB699_255
.LBB699_258:
	s_set_inst_prefetch_distance 0x2
	s_or_b32 exec_lo, exec_lo, s35
	v_cmp_gt_i64_e32 vcc_lo, s[14:15], v[23:24]
	s_or_not1_b32 s0, vcc_lo, exec_lo
.LBB699_259:
	s_or_b32 exec_lo, exec_lo, s34
.LBB699_260:
	v_cndmask_b32_e64 v20, 0, 1, s33
	v_cndmask_b32_e64 v21, 0, 1, s30
	;; [unrolled: 1-line block ×7, first 2 shown]
	v_lshlrev_b16 v21, 8, v21
	v_lshlrev_b16 v22, 8, v22
	;; [unrolled: 1-line block ×4, first 2 shown]
	s_waitcnt lgkmcnt(0)
	v_or_b32_e32 v21, v24, v21
	v_or_b32_e32 v22, v25, v22
	;; [unrolled: 1-line block ×4, first 2 shown]
	s_barrier
	v_and_b32_e32 v20, 0xffff, v21
	v_lshlrev_b32_e32 v21, 16, v22
	v_and_b32_e32 v22, 0xffff, v23
	v_lshlrev_b32_e32 v19, 16, v19
	buffer_gl0_inv
                                        ; implicit-def: $sgpr0
	v_or_b32_e32 v20, v20, v21
	v_or_b32_e32 v19, v22, v19
	s_and_saveexec_b32 s4, s3
	s_delay_alu instid0(SALU_CYCLE_1)
	s_xor_b32 s27, exec_lo, s4
	s_cbranch_execz .LBB699_271
; %bb.261:
	s_and_not1_b32 vcc_lo, exec_lo, s26
	s_mov_b32 s0, 0
	s_cbranch_vccnz .LBB699_270
; %bb.262:
	v_add_nc_u32_e32 v21, -8, v39
	v_lshlrev_b64 v[17:18], 1, v[17:18]
	s_mov_b32 s0, -1
	s_mov_b32 s28, exec_lo
	ds_load_b64 v[21:22], v21
	s_waitcnt lgkmcnt(0)
	v_mul_lo_u32 v24, v22, s14
	v_mul_lo_u32 v25, v21, s15
	v_mad_u64_u32 v[22:23], null, v21, s14, 0
	s_delay_alu instid0(VALU_DEP_1) | instskip(NEXT) | instid1(VALU_DEP_1)
	v_add3_u32 v23, v23, v25, v24
	v_lshlrev_b64 v[21:22], 1, v[22:23]
	s_delay_alu instid0(VALU_DEP_1) | instskip(NEXT) | instid1(VALU_DEP_2)
	v_add_co_u32 v21, vcc_lo, s16, v21
	v_add_co_ci_u32_e32 v22, vcc_lo, s17, v22, vcc_lo
	v_add_co_u32 v17, vcc_lo, s16, v17
	v_add_co_ci_u32_e32 v18, vcc_lo, s17, v18, vcc_lo
	s_clause 0x1
	global_load_u16 v23, v[21:22], off
	global_load_u16 v24, v[17:18], off
	s_waitcnt vmcnt(0)
	v_cmpx_eq_u16_e64 v23, v24
	s_cbranch_execz .LBB699_269
; %bb.263:
	v_add_co_u32 v17, vcc_lo, v17, 2
	v_add_co_ci_u32_e32 v18, vcc_lo, 0, v18, vcc_lo
	v_add_co_u32 v21, vcc_lo, v21, 2
	v_add_co_ci_u32_e32 v22, vcc_lo, 0, v22, vcc_lo
	s_add_u32 s4, s14, -1
	s_addc_u32 s5, s15, -1
	s_mov_b64 s[6:7], 0
	s_mov_b32 s29, 0
                                        ; implicit-def: $sgpr30
	s_set_inst_prefetch_distance 0x1
	s_branch .LBB699_266
	.p2align	6
.LBB699_264:                            ;   in Loop: Header=BB699_266 Depth=1
	global_load_u16 v23, v[21:22], off
	global_load_u16 v24, v[17:18], off
	v_add_co_u32 v17, vcc_lo, v17, 2
	v_add_co_ci_u32_e32 v18, vcc_lo, 0, v18, vcc_lo
	v_add_co_u32 v21, s0, v21, 2
	s_delay_alu instid0(VALU_DEP_1)
	v_add_co_ci_u32_e64 v22, s0, 0, v22, s0
	s_add_u32 s6, s6, 1
	s_addc_u32 s7, s7, 0
	s_and_not1_b32 s0, s30, exec_lo
	s_waitcnt vmcnt(0)
	v_cmp_ne_u16_e32 vcc_lo, v23, v24
	s_and_b32 s30, vcc_lo, exec_lo
	s_delay_alu instid0(SALU_CYCLE_1)
	s_or_b32 s30, s0, s30
.LBB699_265:                            ;   in Loop: Header=BB699_266 Depth=1
	v_dual_mov_b32 v24, s7 :: v_dual_mov_b32 v23, s6
	s_and_b32 s0, exec_lo, s30
	s_delay_alu instid0(SALU_CYCLE_1) | instskip(NEXT) | instid1(SALU_CYCLE_1)
	s_or_b32 s29, s0, s29
	s_and_not1_b32 exec_lo, exec_lo, s29
	s_cbranch_execz .LBB699_268
.LBB699_266:                            ; =>This Inner Loop Header: Depth=1
	s_or_b32 s30, s30, exec_lo
	s_cmp_eq_u64 s[4:5], s[6:7]
	s_cbranch_scc0 .LBB699_264
; %bb.267:                              ;   in Loop: Header=BB699_266 Depth=1
	s_mov_b64 s[6:7], s[14:15]
                                        ; implicit-def: $vgpr17_vgpr18
                                        ; implicit-def: $vgpr21_vgpr22
	s_branch .LBB699_265
.LBB699_268:
	s_set_inst_prefetch_distance 0x2
	s_or_b32 exec_lo, exec_lo, s29
	v_cmp_gt_i64_e32 vcc_lo, s[14:15], v[23:24]
	s_or_not1_b32 s0, vcc_lo, exec_lo
.LBB699_269:
	s_or_b32 exec_lo, exec_lo, s28
.LBB699_270:
	s_delay_alu instid0(SALU_CYCLE_1)
	s_and_b32 s0, s0, exec_lo
	s_or_b32 s25, s25, exec_lo
.LBB699_271:
	s_or_b32 exec_lo, exec_lo, s27
	s_branch .LBB699_363
.LBB699_272:
	s_waitcnt vmcnt(0) lgkmcnt(1)
	v_or_b32_e32 v17, 7, v39
	s_mov_b32 s27, 0
	s_mov_b32 s28, 0
	s_mov_b32 s29, exec_lo
	s_delay_alu instid0(VALU_DEP_1)
	v_cmpx_gt_u32_e64 s12, v17
	s_cbranch_execz .LBB699_283
; %bb.273:
	s_and_not1_b32 vcc_lo, exec_lo, s26
	s_mov_b32 s0, 0
	s_cbranch_vccnz .LBB699_282
; %bb.274:
	v_mul_lo_u32 v21, v2, s14
	v_mul_lo_u32 v22, v1, s15
	v_mad_u64_u32 v[17:18], null, v1, s14, 0
	v_mul_lo_u32 v23, v4, s14
	v_mul_lo_u32 v24, v3, s15
	v_mad_u64_u32 v[19:20], null, v3, s14, 0
	s_mov_b32 s0, -1
	s_mov_b32 s28, exec_lo
	s_delay_alu instid0(VALU_DEP_4) | instskip(NEXT) | instid1(VALU_DEP_2)
	v_add3_u32 v18, v18, v22, v21
	v_add3_u32 v20, v20, v24, v23
	s_delay_alu instid0(VALU_DEP_2) | instskip(NEXT) | instid1(VALU_DEP_2)
	v_lshlrev_b64 v[17:18], 1, v[17:18]
	v_lshlrev_b64 v[21:22], 1, v[19:20]
	s_delay_alu instid0(VALU_DEP_2) | instskip(NEXT) | instid1(VALU_DEP_3)
	v_add_co_u32 v19, vcc_lo, s16, v17
	v_add_co_ci_u32_e32 v20, vcc_lo, s17, v18, vcc_lo
	s_delay_alu instid0(VALU_DEP_3) | instskip(NEXT) | instid1(VALU_DEP_4)
	v_add_co_u32 v17, vcc_lo, s16, v21
	v_add_co_ci_u32_e32 v18, vcc_lo, s17, v22, vcc_lo
	s_clause 0x1
	global_load_u16 v21, v[19:20], off
	global_load_u16 v22, v[17:18], off
	s_waitcnt vmcnt(0)
	v_cmpx_eq_u16_e64 v21, v22
	s_cbranch_execz .LBB699_281
; %bb.275:
	v_add_co_u32 v17, vcc_lo, v17, 2
	v_add_co_ci_u32_e32 v18, vcc_lo, 0, v18, vcc_lo
	v_add_co_u32 v19, vcc_lo, v19, 2
	v_add_co_ci_u32_e32 v20, vcc_lo, 0, v20, vcc_lo
	s_add_u32 s4, s14, -1
	s_addc_u32 s5, s15, -1
	s_mov_b64 s[6:7], 0
	s_mov_b32 s30, 0
                                        ; implicit-def: $sgpr31
	s_set_inst_prefetch_distance 0x1
	s_branch .LBB699_278
	.p2align	6
.LBB699_276:                            ;   in Loop: Header=BB699_278 Depth=1
	global_load_u16 v21, v[19:20], off
	global_load_u16 v22, v[17:18], off
	v_add_co_u32 v17, vcc_lo, v17, 2
	v_add_co_ci_u32_e32 v18, vcc_lo, 0, v18, vcc_lo
	v_add_co_u32 v19, s0, v19, 2
	s_delay_alu instid0(VALU_DEP_1)
	v_add_co_ci_u32_e64 v20, s0, 0, v20, s0
	s_add_u32 s6, s6, 1
	s_addc_u32 s7, s7, 0
	s_and_not1_b32 s0, s31, exec_lo
	s_waitcnt vmcnt(0)
	v_cmp_ne_u16_e32 vcc_lo, v21, v22
	s_and_b32 s31, vcc_lo, exec_lo
	s_delay_alu instid0(SALU_CYCLE_1)
	s_or_b32 s31, s0, s31
.LBB699_277:                            ;   in Loop: Header=BB699_278 Depth=1
	v_dual_mov_b32 v22, s7 :: v_dual_mov_b32 v21, s6
	s_and_b32 s0, exec_lo, s31
	s_delay_alu instid0(SALU_CYCLE_1) | instskip(NEXT) | instid1(SALU_CYCLE_1)
	s_or_b32 s30, s0, s30
	s_and_not1_b32 exec_lo, exec_lo, s30
	s_cbranch_execz .LBB699_280
.LBB699_278:                            ; =>This Inner Loop Header: Depth=1
	s_or_b32 s31, s31, exec_lo
	s_cmp_eq_u64 s[4:5], s[6:7]
	s_cbranch_scc0 .LBB699_276
; %bb.279:                              ;   in Loop: Header=BB699_278 Depth=1
	s_mov_b64 s[6:7], s[14:15]
                                        ; implicit-def: $vgpr17_vgpr18
                                        ; implicit-def: $vgpr19_vgpr20
	s_branch .LBB699_277
.LBB699_280:
	s_set_inst_prefetch_distance 0x2
	s_or_b32 exec_lo, exec_lo, s30
	v_cmp_gt_i64_e32 vcc_lo, s[14:15], v[21:22]
	s_or_not1_b32 s0, vcc_lo, exec_lo
.LBB699_281:
	s_or_b32 exec_lo, exec_lo, s28
.LBB699_282:
	s_delay_alu instid0(SALU_CYCLE_1)
	s_and_b32 s28, s0, exec_lo
.LBB699_283:
	s_or_b32 exec_lo, exec_lo, s29
	v_or_b32_e32 v17, 6, v39
	s_mov_b32 s29, exec_lo
	s_delay_alu instid0(VALU_DEP_1)
	v_cmpx_gt_u32_e64 s12, v17
	s_cbranch_execz .LBB699_294
; %bb.284:
	s_and_not1_b32 vcc_lo, exec_lo, s26
	s_mov_b32 s0, 0
	s_cbranch_vccnz .LBB699_293
; %bb.285:
	v_mul_lo_u32 v21, v8, s14
	v_mul_lo_u32 v22, v7, s15
	v_mad_u64_u32 v[17:18], null, v7, s14, 0
	v_mul_lo_u32 v23, v2, s14
	v_mul_lo_u32 v24, v1, s15
	v_mad_u64_u32 v[19:20], null, v1, s14, 0
	s_mov_b32 s0, -1
	s_mov_b32 s27, exec_lo
	s_delay_alu instid0(VALU_DEP_4) | instskip(NEXT) | instid1(VALU_DEP_2)
	v_add3_u32 v18, v18, v22, v21
	v_add3_u32 v20, v20, v24, v23
	s_delay_alu instid0(VALU_DEP_2) | instskip(NEXT) | instid1(VALU_DEP_2)
	v_lshlrev_b64 v[17:18], 1, v[17:18]
	v_lshlrev_b64 v[21:22], 1, v[19:20]
	s_delay_alu instid0(VALU_DEP_2) | instskip(NEXT) | instid1(VALU_DEP_3)
	v_add_co_u32 v19, vcc_lo, s16, v17
	v_add_co_ci_u32_e32 v20, vcc_lo, s17, v18, vcc_lo
	s_delay_alu instid0(VALU_DEP_3) | instskip(NEXT) | instid1(VALU_DEP_4)
	v_add_co_u32 v17, vcc_lo, s16, v21
	v_add_co_ci_u32_e32 v18, vcc_lo, s17, v22, vcc_lo
	s_clause 0x1
	global_load_u16 v21, v[19:20], off
	global_load_u16 v22, v[17:18], off
	s_waitcnt vmcnt(0)
	v_cmpx_eq_u16_e64 v21, v22
	s_cbranch_execz .LBB699_292
; %bb.286:
	v_add_co_u32 v17, vcc_lo, v17, 2
	v_add_co_ci_u32_e32 v18, vcc_lo, 0, v18, vcc_lo
	v_add_co_u32 v19, vcc_lo, v19, 2
	v_add_co_ci_u32_e32 v20, vcc_lo, 0, v20, vcc_lo
	s_add_u32 s4, s14, -1
	s_addc_u32 s5, s15, -1
	s_mov_b64 s[6:7], 0
	s_mov_b32 s30, 0
                                        ; implicit-def: $sgpr31
	s_set_inst_prefetch_distance 0x1
	s_branch .LBB699_289
	.p2align	6
.LBB699_287:                            ;   in Loop: Header=BB699_289 Depth=1
	global_load_u16 v21, v[19:20], off
	global_load_u16 v22, v[17:18], off
	v_add_co_u32 v17, vcc_lo, v17, 2
	v_add_co_ci_u32_e32 v18, vcc_lo, 0, v18, vcc_lo
	v_add_co_u32 v19, s0, v19, 2
	s_delay_alu instid0(VALU_DEP_1)
	v_add_co_ci_u32_e64 v20, s0, 0, v20, s0
	s_add_u32 s6, s6, 1
	s_addc_u32 s7, s7, 0
	s_and_not1_b32 s0, s31, exec_lo
	s_waitcnt vmcnt(0)
	v_cmp_ne_u16_e32 vcc_lo, v21, v22
	s_and_b32 s31, vcc_lo, exec_lo
	s_delay_alu instid0(SALU_CYCLE_1)
	s_or_b32 s31, s0, s31
.LBB699_288:                            ;   in Loop: Header=BB699_289 Depth=1
	v_dual_mov_b32 v22, s7 :: v_dual_mov_b32 v21, s6
	s_and_b32 s0, exec_lo, s31
	s_delay_alu instid0(SALU_CYCLE_1) | instskip(NEXT) | instid1(SALU_CYCLE_1)
	s_or_b32 s30, s0, s30
	s_and_not1_b32 exec_lo, exec_lo, s30
	s_cbranch_execz .LBB699_291
.LBB699_289:                            ; =>This Inner Loop Header: Depth=1
	s_or_b32 s31, s31, exec_lo
	s_cmp_eq_u64 s[4:5], s[6:7]
	s_cbranch_scc0 .LBB699_287
; %bb.290:                              ;   in Loop: Header=BB699_289 Depth=1
	s_mov_b64 s[6:7], s[14:15]
                                        ; implicit-def: $vgpr17_vgpr18
                                        ; implicit-def: $vgpr19_vgpr20
	s_branch .LBB699_288
.LBB699_291:
	s_set_inst_prefetch_distance 0x2
	s_or_b32 exec_lo, exec_lo, s30
	v_cmp_gt_i64_e32 vcc_lo, s[14:15], v[21:22]
	s_or_not1_b32 s0, vcc_lo, exec_lo
.LBB699_292:
	s_or_b32 exec_lo, exec_lo, s27
.LBB699_293:
	s_delay_alu instid0(SALU_CYCLE_1)
	s_and_b32 s27, s0, exec_lo
.LBB699_294:
	s_or_b32 exec_lo, exec_lo, s29
	v_or_b32_e32 v17, 5, v39
	s_mov_b32 s29, 0
	s_mov_b32 s30, 0
	s_mov_b32 s31, exec_lo
	s_delay_alu instid0(VALU_DEP_1)
	v_cmpx_gt_u32_e64 s12, v17
	s_cbranch_execz .LBB699_305
; %bb.295:
	s_and_not1_b32 vcc_lo, exec_lo, s26
	s_mov_b32 s0, 0
	s_cbranch_vccnz .LBB699_304
; %bb.296:
	v_mul_lo_u32 v21, v6, s14
	v_mul_lo_u32 v22, v5, s15
	v_mad_u64_u32 v[17:18], null, v5, s14, 0
	v_mul_lo_u32 v23, v8, s14
	v_mul_lo_u32 v24, v7, s15
	v_mad_u64_u32 v[19:20], null, v7, s14, 0
	s_mov_b32 s0, -1
	s_mov_b32 s30, exec_lo
	s_delay_alu instid0(VALU_DEP_4) | instskip(NEXT) | instid1(VALU_DEP_2)
	v_add3_u32 v18, v18, v22, v21
	v_add3_u32 v20, v20, v24, v23
	s_delay_alu instid0(VALU_DEP_2) | instskip(NEXT) | instid1(VALU_DEP_2)
	v_lshlrev_b64 v[17:18], 1, v[17:18]
	v_lshlrev_b64 v[21:22], 1, v[19:20]
	s_delay_alu instid0(VALU_DEP_2) | instskip(NEXT) | instid1(VALU_DEP_3)
	v_add_co_u32 v19, vcc_lo, s16, v17
	v_add_co_ci_u32_e32 v20, vcc_lo, s17, v18, vcc_lo
	s_delay_alu instid0(VALU_DEP_3) | instskip(NEXT) | instid1(VALU_DEP_4)
	v_add_co_u32 v17, vcc_lo, s16, v21
	v_add_co_ci_u32_e32 v18, vcc_lo, s17, v22, vcc_lo
	s_clause 0x1
	global_load_u16 v21, v[19:20], off
	global_load_u16 v22, v[17:18], off
	s_waitcnt vmcnt(0)
	v_cmpx_eq_u16_e64 v21, v22
	s_cbranch_execz .LBB699_303
; %bb.297:
	v_add_co_u32 v17, vcc_lo, v17, 2
	v_add_co_ci_u32_e32 v18, vcc_lo, 0, v18, vcc_lo
	v_add_co_u32 v19, vcc_lo, v19, 2
	v_add_co_ci_u32_e32 v20, vcc_lo, 0, v20, vcc_lo
	s_add_u32 s4, s14, -1
	s_addc_u32 s5, s15, -1
	s_mov_b64 s[6:7], 0
	s_mov_b32 s33, 0
                                        ; implicit-def: $sgpr34
	s_set_inst_prefetch_distance 0x1
	s_branch .LBB699_300
	.p2align	6
.LBB699_298:                            ;   in Loop: Header=BB699_300 Depth=1
	global_load_u16 v21, v[19:20], off
	global_load_u16 v22, v[17:18], off
	v_add_co_u32 v17, vcc_lo, v17, 2
	v_add_co_ci_u32_e32 v18, vcc_lo, 0, v18, vcc_lo
	v_add_co_u32 v19, s0, v19, 2
	s_delay_alu instid0(VALU_DEP_1)
	v_add_co_ci_u32_e64 v20, s0, 0, v20, s0
	s_add_u32 s6, s6, 1
	s_addc_u32 s7, s7, 0
	s_and_not1_b32 s0, s34, exec_lo
	s_waitcnt vmcnt(0)
	v_cmp_ne_u16_e32 vcc_lo, v21, v22
	s_and_b32 s34, vcc_lo, exec_lo
	s_delay_alu instid0(SALU_CYCLE_1)
	s_or_b32 s34, s0, s34
.LBB699_299:                            ;   in Loop: Header=BB699_300 Depth=1
	v_dual_mov_b32 v22, s7 :: v_dual_mov_b32 v21, s6
	s_and_b32 s0, exec_lo, s34
	s_delay_alu instid0(SALU_CYCLE_1) | instskip(NEXT) | instid1(SALU_CYCLE_1)
	s_or_b32 s33, s0, s33
	s_and_not1_b32 exec_lo, exec_lo, s33
	s_cbranch_execz .LBB699_302
.LBB699_300:                            ; =>This Inner Loop Header: Depth=1
	s_or_b32 s34, s34, exec_lo
	s_cmp_eq_u64 s[4:5], s[6:7]
	s_cbranch_scc0 .LBB699_298
; %bb.301:                              ;   in Loop: Header=BB699_300 Depth=1
	s_mov_b64 s[6:7], s[14:15]
                                        ; implicit-def: $vgpr17_vgpr18
                                        ; implicit-def: $vgpr19_vgpr20
	s_branch .LBB699_299
.LBB699_302:
	s_set_inst_prefetch_distance 0x2
	s_or_b32 exec_lo, exec_lo, s33
	v_cmp_gt_i64_e32 vcc_lo, s[14:15], v[21:22]
	s_or_not1_b32 s0, vcc_lo, exec_lo
.LBB699_303:
	s_or_b32 exec_lo, exec_lo, s30
.LBB699_304:
	s_delay_alu instid0(SALU_CYCLE_1)
	s_and_b32 s30, s0, exec_lo
.LBB699_305:
	s_or_b32 exec_lo, exec_lo, s31
	v_or_b32_e32 v17, 4, v39
	s_mov_b32 s31, exec_lo
	s_delay_alu instid0(VALU_DEP_1)
	v_cmpx_gt_u32_e64 s12, v17
	s_cbranch_execz .LBB699_316
; %bb.306:
	s_and_not1_b32 vcc_lo, exec_lo, s26
	s_mov_b32 s0, 0
	s_cbranch_vccnz .LBB699_315
; %bb.307:
	v_mul_lo_u32 v21, v12, s14
	v_mul_lo_u32 v22, v11, s15
	v_mad_u64_u32 v[17:18], null, v11, s14, 0
	v_mul_lo_u32 v23, v6, s14
	v_mul_lo_u32 v24, v5, s15
	v_mad_u64_u32 v[19:20], null, v5, s14, 0
	s_mov_b32 s0, -1
	s_mov_b32 s29, exec_lo
	s_delay_alu instid0(VALU_DEP_4) | instskip(NEXT) | instid1(VALU_DEP_2)
	v_add3_u32 v18, v18, v22, v21
	v_add3_u32 v20, v20, v24, v23
	s_delay_alu instid0(VALU_DEP_2) | instskip(NEXT) | instid1(VALU_DEP_2)
	v_lshlrev_b64 v[17:18], 1, v[17:18]
	v_lshlrev_b64 v[21:22], 1, v[19:20]
	s_delay_alu instid0(VALU_DEP_2) | instskip(NEXT) | instid1(VALU_DEP_3)
	v_add_co_u32 v19, vcc_lo, s16, v17
	v_add_co_ci_u32_e32 v20, vcc_lo, s17, v18, vcc_lo
	s_delay_alu instid0(VALU_DEP_3) | instskip(NEXT) | instid1(VALU_DEP_4)
	v_add_co_u32 v17, vcc_lo, s16, v21
	v_add_co_ci_u32_e32 v18, vcc_lo, s17, v22, vcc_lo
	s_clause 0x1
	global_load_u16 v21, v[19:20], off
	global_load_u16 v22, v[17:18], off
	s_waitcnt vmcnt(0)
	v_cmpx_eq_u16_e64 v21, v22
	s_cbranch_execz .LBB699_314
; %bb.308:
	v_add_co_u32 v17, vcc_lo, v17, 2
	v_add_co_ci_u32_e32 v18, vcc_lo, 0, v18, vcc_lo
	v_add_co_u32 v19, vcc_lo, v19, 2
	v_add_co_ci_u32_e32 v20, vcc_lo, 0, v20, vcc_lo
	s_add_u32 s4, s14, -1
	s_addc_u32 s5, s15, -1
	s_mov_b64 s[6:7], 0
	s_mov_b32 s33, 0
                                        ; implicit-def: $sgpr34
	s_set_inst_prefetch_distance 0x1
	s_branch .LBB699_311
	.p2align	6
.LBB699_309:                            ;   in Loop: Header=BB699_311 Depth=1
	global_load_u16 v21, v[19:20], off
	global_load_u16 v22, v[17:18], off
	v_add_co_u32 v17, vcc_lo, v17, 2
	v_add_co_ci_u32_e32 v18, vcc_lo, 0, v18, vcc_lo
	v_add_co_u32 v19, s0, v19, 2
	s_delay_alu instid0(VALU_DEP_1)
	v_add_co_ci_u32_e64 v20, s0, 0, v20, s0
	s_add_u32 s6, s6, 1
	s_addc_u32 s7, s7, 0
	s_and_not1_b32 s0, s34, exec_lo
	s_waitcnt vmcnt(0)
	v_cmp_ne_u16_e32 vcc_lo, v21, v22
	s_and_b32 s34, vcc_lo, exec_lo
	s_delay_alu instid0(SALU_CYCLE_1)
	s_or_b32 s34, s0, s34
.LBB699_310:                            ;   in Loop: Header=BB699_311 Depth=1
	v_dual_mov_b32 v22, s7 :: v_dual_mov_b32 v21, s6
	s_and_b32 s0, exec_lo, s34
	s_delay_alu instid0(SALU_CYCLE_1) | instskip(NEXT) | instid1(SALU_CYCLE_1)
	s_or_b32 s33, s0, s33
	s_and_not1_b32 exec_lo, exec_lo, s33
	s_cbranch_execz .LBB699_313
.LBB699_311:                            ; =>This Inner Loop Header: Depth=1
	s_or_b32 s34, s34, exec_lo
	s_cmp_eq_u64 s[4:5], s[6:7]
	s_cbranch_scc0 .LBB699_309
; %bb.312:                              ;   in Loop: Header=BB699_311 Depth=1
	s_mov_b64 s[6:7], s[14:15]
                                        ; implicit-def: $vgpr17_vgpr18
                                        ; implicit-def: $vgpr19_vgpr20
	s_branch .LBB699_310
.LBB699_313:
	s_set_inst_prefetch_distance 0x2
	s_or_b32 exec_lo, exec_lo, s33
	v_cmp_gt_i64_e32 vcc_lo, s[14:15], v[21:22]
	s_or_not1_b32 s0, vcc_lo, exec_lo
.LBB699_314:
	s_or_b32 exec_lo, exec_lo, s29
.LBB699_315:
	s_delay_alu instid0(SALU_CYCLE_1)
	s_and_b32 s29, s0, exec_lo
.LBB699_316:
	s_or_b32 exec_lo, exec_lo, s31
	v_or_b32_e32 v17, 3, v39
	s_mov_b32 s33, 0
	s_mov_b32 s31, 0
	s_mov_b32 s34, exec_lo
	s_delay_alu instid0(VALU_DEP_1)
	v_cmpx_gt_u32_e64 s12, v17
	s_cbranch_execz .LBB699_327
; %bb.317:
	s_and_not1_b32 vcc_lo, exec_lo, s26
	s_mov_b32 s0, 0
	s_cbranch_vccnz .LBB699_326
; %bb.318:
	v_mul_lo_u32 v21, v10, s14
	v_mul_lo_u32 v22, v9, s15
	v_mad_u64_u32 v[17:18], null, v9, s14, 0
	v_mul_lo_u32 v23, v12, s14
	v_mul_lo_u32 v24, v11, s15
	v_mad_u64_u32 v[19:20], null, v11, s14, 0
	s_mov_b32 s0, -1
	s_mov_b32 s31, exec_lo
	s_delay_alu instid0(VALU_DEP_4) | instskip(NEXT) | instid1(VALU_DEP_2)
	v_add3_u32 v18, v18, v22, v21
	v_add3_u32 v20, v20, v24, v23
	s_delay_alu instid0(VALU_DEP_2) | instskip(NEXT) | instid1(VALU_DEP_2)
	v_lshlrev_b64 v[17:18], 1, v[17:18]
	v_lshlrev_b64 v[21:22], 1, v[19:20]
	s_delay_alu instid0(VALU_DEP_2) | instskip(NEXT) | instid1(VALU_DEP_3)
	v_add_co_u32 v19, vcc_lo, s16, v17
	v_add_co_ci_u32_e32 v20, vcc_lo, s17, v18, vcc_lo
	s_delay_alu instid0(VALU_DEP_3) | instskip(NEXT) | instid1(VALU_DEP_4)
	v_add_co_u32 v17, vcc_lo, s16, v21
	v_add_co_ci_u32_e32 v18, vcc_lo, s17, v22, vcc_lo
	s_clause 0x1
	global_load_u16 v21, v[19:20], off
	global_load_u16 v22, v[17:18], off
	s_waitcnt vmcnt(0)
	v_cmpx_eq_u16_e64 v21, v22
	s_cbranch_execz .LBB699_325
; %bb.319:
	v_add_co_u32 v17, vcc_lo, v17, 2
	v_add_co_ci_u32_e32 v18, vcc_lo, 0, v18, vcc_lo
	v_add_co_u32 v19, vcc_lo, v19, 2
	v_add_co_ci_u32_e32 v20, vcc_lo, 0, v20, vcc_lo
	s_add_u32 s4, s14, -1
	s_addc_u32 s5, s15, -1
	s_mov_b64 s[6:7], 0
	s_mov_b32 s35, 0
                                        ; implicit-def: $sgpr36
	s_set_inst_prefetch_distance 0x1
	s_branch .LBB699_322
	.p2align	6
.LBB699_320:                            ;   in Loop: Header=BB699_322 Depth=1
	global_load_u16 v21, v[19:20], off
	global_load_u16 v22, v[17:18], off
	v_add_co_u32 v17, vcc_lo, v17, 2
	v_add_co_ci_u32_e32 v18, vcc_lo, 0, v18, vcc_lo
	v_add_co_u32 v19, s0, v19, 2
	s_delay_alu instid0(VALU_DEP_1)
	v_add_co_ci_u32_e64 v20, s0, 0, v20, s0
	s_add_u32 s6, s6, 1
	s_addc_u32 s7, s7, 0
	s_and_not1_b32 s0, s36, exec_lo
	s_waitcnt vmcnt(0)
	v_cmp_ne_u16_e32 vcc_lo, v21, v22
	s_and_b32 s36, vcc_lo, exec_lo
	s_delay_alu instid0(SALU_CYCLE_1)
	s_or_b32 s36, s0, s36
.LBB699_321:                            ;   in Loop: Header=BB699_322 Depth=1
	v_dual_mov_b32 v22, s7 :: v_dual_mov_b32 v21, s6
	s_and_b32 s0, exec_lo, s36
	s_delay_alu instid0(SALU_CYCLE_1) | instskip(NEXT) | instid1(SALU_CYCLE_1)
	s_or_b32 s35, s0, s35
	s_and_not1_b32 exec_lo, exec_lo, s35
	s_cbranch_execz .LBB699_324
.LBB699_322:                            ; =>This Inner Loop Header: Depth=1
	s_or_b32 s36, s36, exec_lo
	s_cmp_eq_u64 s[4:5], s[6:7]
	s_cbranch_scc0 .LBB699_320
; %bb.323:                              ;   in Loop: Header=BB699_322 Depth=1
	s_mov_b64 s[6:7], s[14:15]
                                        ; implicit-def: $vgpr17_vgpr18
                                        ; implicit-def: $vgpr19_vgpr20
	s_branch .LBB699_321
.LBB699_324:
	s_set_inst_prefetch_distance 0x2
	s_or_b32 exec_lo, exec_lo, s35
	v_cmp_gt_i64_e32 vcc_lo, s[14:15], v[21:22]
	s_or_not1_b32 s0, vcc_lo, exec_lo
.LBB699_325:
	s_or_b32 exec_lo, exec_lo, s31
.LBB699_326:
	s_delay_alu instid0(SALU_CYCLE_1)
	s_and_b32 s31, s0, exec_lo
.LBB699_327:
	s_or_b32 exec_lo, exec_lo, s34
	v_or_b32_e32 v17, 2, v39
	s_mov_b32 s34, exec_lo
	s_delay_alu instid0(VALU_DEP_1)
	v_cmpx_gt_u32_e64 s12, v17
	s_cbranch_execz .LBB699_338
; %bb.328:
	s_and_not1_b32 vcc_lo, exec_lo, s26
	s_mov_b32 s0, 0
	s_cbranch_vccnz .LBB699_337
; %bb.329:
	v_mul_lo_u32 v21, v16, s14
	v_mul_lo_u32 v22, v15, s15
	v_mad_u64_u32 v[17:18], null, v15, s14, 0
	v_mul_lo_u32 v23, v10, s14
	v_mul_lo_u32 v24, v9, s15
	v_mad_u64_u32 v[19:20], null, v9, s14, 0
	s_mov_b32 s0, -1
	s_mov_b32 s33, exec_lo
	s_delay_alu instid0(VALU_DEP_4) | instskip(NEXT) | instid1(VALU_DEP_2)
	v_add3_u32 v18, v18, v22, v21
	v_add3_u32 v20, v20, v24, v23
	s_delay_alu instid0(VALU_DEP_2) | instskip(NEXT) | instid1(VALU_DEP_2)
	v_lshlrev_b64 v[17:18], 1, v[17:18]
	v_lshlrev_b64 v[21:22], 1, v[19:20]
	s_delay_alu instid0(VALU_DEP_2) | instskip(NEXT) | instid1(VALU_DEP_3)
	v_add_co_u32 v19, vcc_lo, s16, v17
	v_add_co_ci_u32_e32 v20, vcc_lo, s17, v18, vcc_lo
	s_delay_alu instid0(VALU_DEP_3) | instskip(NEXT) | instid1(VALU_DEP_4)
	v_add_co_u32 v17, vcc_lo, s16, v21
	v_add_co_ci_u32_e32 v18, vcc_lo, s17, v22, vcc_lo
	s_clause 0x1
	global_load_u16 v21, v[19:20], off
	global_load_u16 v22, v[17:18], off
	s_waitcnt vmcnt(0)
	v_cmpx_eq_u16_e64 v21, v22
	s_cbranch_execz .LBB699_336
; %bb.330:
	v_add_co_u32 v17, vcc_lo, v17, 2
	v_add_co_ci_u32_e32 v18, vcc_lo, 0, v18, vcc_lo
	v_add_co_u32 v19, vcc_lo, v19, 2
	v_add_co_ci_u32_e32 v20, vcc_lo, 0, v20, vcc_lo
	s_add_u32 s4, s14, -1
	s_addc_u32 s5, s15, -1
	s_mov_b64 s[6:7], 0
	s_mov_b32 s35, 0
                                        ; implicit-def: $sgpr36
	s_set_inst_prefetch_distance 0x1
	s_branch .LBB699_333
	.p2align	6
.LBB699_331:                            ;   in Loop: Header=BB699_333 Depth=1
	global_load_u16 v21, v[19:20], off
	global_load_u16 v22, v[17:18], off
	v_add_co_u32 v17, vcc_lo, v17, 2
	v_add_co_ci_u32_e32 v18, vcc_lo, 0, v18, vcc_lo
	v_add_co_u32 v19, s0, v19, 2
	s_delay_alu instid0(VALU_DEP_1)
	v_add_co_ci_u32_e64 v20, s0, 0, v20, s0
	s_add_u32 s6, s6, 1
	s_addc_u32 s7, s7, 0
	s_and_not1_b32 s0, s36, exec_lo
	s_waitcnt vmcnt(0)
	v_cmp_ne_u16_e32 vcc_lo, v21, v22
	s_and_b32 s36, vcc_lo, exec_lo
	s_delay_alu instid0(SALU_CYCLE_1)
	s_or_b32 s36, s0, s36
.LBB699_332:                            ;   in Loop: Header=BB699_333 Depth=1
	v_dual_mov_b32 v22, s7 :: v_dual_mov_b32 v21, s6
	s_and_b32 s0, exec_lo, s36
	s_delay_alu instid0(SALU_CYCLE_1) | instskip(NEXT) | instid1(SALU_CYCLE_1)
	s_or_b32 s35, s0, s35
	s_and_not1_b32 exec_lo, exec_lo, s35
	s_cbranch_execz .LBB699_335
.LBB699_333:                            ; =>This Inner Loop Header: Depth=1
	s_or_b32 s36, s36, exec_lo
	s_cmp_eq_u64 s[4:5], s[6:7]
	s_cbranch_scc0 .LBB699_331
; %bb.334:                              ;   in Loop: Header=BB699_333 Depth=1
	s_mov_b64 s[6:7], s[14:15]
                                        ; implicit-def: $vgpr17_vgpr18
                                        ; implicit-def: $vgpr19_vgpr20
	s_branch .LBB699_332
.LBB699_335:
	s_set_inst_prefetch_distance 0x2
	s_or_b32 exec_lo, exec_lo, s35
	v_cmp_gt_i64_e32 vcc_lo, s[14:15], v[21:22]
	s_or_not1_b32 s0, vcc_lo, exec_lo
.LBB699_336:
	s_or_b32 exec_lo, exec_lo, s33
.LBB699_337:
	s_delay_alu instid0(SALU_CYCLE_1)
	s_and_b32 s33, s0, exec_lo
.LBB699_338:
	s_or_b32 exec_lo, exec_lo, s34
	v_or_b32_e32 v17, 1, v39
	s_mov_b32 s0, 0
	s_mov_b32 s34, exec_lo
	s_delay_alu instid0(VALU_DEP_1)
	v_cmpx_gt_u32_e64 s12, v17
	s_cbranch_execz .LBB699_349
; %bb.339:
	s_and_not1_b32 vcc_lo, exec_lo, s26
	s_cbranch_vccnz .LBB699_348
; %bb.340:
	v_mul_lo_u32 v21, v14, s14
	v_mul_lo_u32 v22, v13, s15
	v_mad_u64_u32 v[17:18], null, v13, s14, 0
	v_mul_lo_u32 v23, v16, s14
	v_mul_lo_u32 v24, v15, s15
	v_mad_u64_u32 v[19:20], null, v15, s14, 0
	s_mov_b32 s0, -1
	s_mov_b32 s35, exec_lo
	s_delay_alu instid0(VALU_DEP_4) | instskip(NEXT) | instid1(VALU_DEP_2)
	v_add3_u32 v18, v18, v22, v21
	v_add3_u32 v20, v20, v24, v23
	s_delay_alu instid0(VALU_DEP_2) | instskip(NEXT) | instid1(VALU_DEP_2)
	v_lshlrev_b64 v[17:18], 1, v[17:18]
	v_lshlrev_b64 v[21:22], 1, v[19:20]
	s_delay_alu instid0(VALU_DEP_2) | instskip(NEXT) | instid1(VALU_DEP_3)
	v_add_co_u32 v19, vcc_lo, s16, v17
	v_add_co_ci_u32_e32 v20, vcc_lo, s17, v18, vcc_lo
	s_delay_alu instid0(VALU_DEP_3) | instskip(NEXT) | instid1(VALU_DEP_4)
	v_add_co_u32 v17, vcc_lo, s16, v21
	v_add_co_ci_u32_e32 v18, vcc_lo, s17, v22, vcc_lo
	s_clause 0x1
	global_load_u16 v21, v[19:20], off
	global_load_u16 v22, v[17:18], off
	s_waitcnt vmcnt(0)
	v_cmpx_eq_u16_e64 v21, v22
	s_cbranch_execz .LBB699_347
; %bb.341:
	v_add_co_u32 v17, vcc_lo, v17, 2
	v_add_co_ci_u32_e32 v18, vcc_lo, 0, v18, vcc_lo
	v_add_co_u32 v19, vcc_lo, v19, 2
	v_add_co_ci_u32_e32 v20, vcc_lo, 0, v20, vcc_lo
	s_add_u32 s4, s14, -1
	s_addc_u32 s5, s15, -1
	s_mov_b64 s[6:7], 0
	s_mov_b32 s36, 0
                                        ; implicit-def: $sgpr37
	s_set_inst_prefetch_distance 0x1
	s_branch .LBB699_344
	.p2align	6
.LBB699_342:                            ;   in Loop: Header=BB699_344 Depth=1
	global_load_u16 v21, v[19:20], off
	global_load_u16 v22, v[17:18], off
	v_add_co_u32 v17, vcc_lo, v17, 2
	v_add_co_ci_u32_e32 v18, vcc_lo, 0, v18, vcc_lo
	v_add_co_u32 v19, s0, v19, 2
	s_delay_alu instid0(VALU_DEP_1)
	v_add_co_ci_u32_e64 v20, s0, 0, v20, s0
	s_add_u32 s6, s6, 1
	s_addc_u32 s7, s7, 0
	s_and_not1_b32 s0, s37, exec_lo
	s_waitcnt vmcnt(0)
	v_cmp_ne_u16_e32 vcc_lo, v21, v22
	s_and_b32 s37, vcc_lo, exec_lo
	s_delay_alu instid0(SALU_CYCLE_1)
	s_or_b32 s37, s0, s37
.LBB699_343:                            ;   in Loop: Header=BB699_344 Depth=1
	v_dual_mov_b32 v22, s7 :: v_dual_mov_b32 v21, s6
	s_and_b32 s0, exec_lo, s37
	s_delay_alu instid0(SALU_CYCLE_1) | instskip(NEXT) | instid1(SALU_CYCLE_1)
	s_or_b32 s36, s0, s36
	s_and_not1_b32 exec_lo, exec_lo, s36
	s_cbranch_execz .LBB699_346
.LBB699_344:                            ; =>This Inner Loop Header: Depth=1
	s_or_b32 s37, s37, exec_lo
	s_cmp_eq_u64 s[4:5], s[6:7]
	s_cbranch_scc0 .LBB699_342
; %bb.345:                              ;   in Loop: Header=BB699_344 Depth=1
	s_mov_b64 s[6:7], s[14:15]
                                        ; implicit-def: $vgpr17_vgpr18
                                        ; implicit-def: $vgpr19_vgpr20
	s_branch .LBB699_343
.LBB699_346:
	s_set_inst_prefetch_distance 0x2
	s_or_b32 exec_lo, exec_lo, s36
	v_cmp_gt_i64_e32 vcc_lo, s[14:15], v[21:22]
	s_or_not1_b32 s0, vcc_lo, exec_lo
.LBB699_347:
	s_or_b32 exec_lo, exec_lo, s35
.LBB699_348:
	s_delay_alu instid0(SALU_CYCLE_1)
	s_and_b32 s0, s0, exec_lo
.LBB699_349:
	s_or_b32 exec_lo, exec_lo, s34
	v_cndmask_b32_e64 v18, 0, 1, s31
	v_cndmask_b32_e64 v19, 0, 1, s30
	;; [unrolled: 1-line block ×7, first 2 shown]
	v_lshlrev_b16 v19, 8, v19
	v_lshlrev_b16 v20, 8, v20
	v_lshlrev_b16 v21, 8, v21
	v_lshlrev_b16 v18, 8, v18
	s_waitcnt lgkmcnt(0)
	v_or_b32_e32 v19, v22, v19
	v_or_b32_e32 v20, v23, v20
	;; [unrolled: 1-line block ×4, first 2 shown]
	s_barrier
	v_and_b32_e32 v18, 0xffff, v19
	v_lshlrev_b32_e32 v19, 16, v20
	v_and_b32_e32 v21, 0xffff, v21
	v_lshlrev_b32_e32 v17, 16, v17
	buffer_gl0_inv
                                        ; implicit-def: $sgpr0
	v_or_b32_e32 v20, v18, v19
	v_or_b32_e32 v19, v21, v17
	s_and_saveexec_b32 s27, s3
	s_cbranch_execz .LBB699_362
; %bb.350:
	s_mov_b32 s0, 0
	s_mov_b32 s3, exec_lo
	v_cmpx_gt_u32_e64 s12, v39
	s_cbranch_execz .LBB699_361
; %bb.351:
	s_and_not1_b32 vcc_lo, exec_lo, s26
	s_cbranch_vccnz .LBB699_360
; %bb.352:
	v_add_nc_u32_e32 v17, -8, v39
	v_mul_lo_u32 v25, v14, s14
	v_mul_lo_u32 v26, v13, s15
	s_mov_b32 s0, -1
	ds_load_b64 v[17:18], v17
	s_waitcnt lgkmcnt(0)
	v_mul_lo_u32 v23, v18, s14
	v_mul_lo_u32 v24, v17, s15
	v_mad_u64_u32 v[21:22], null, v17, s14, 0
	v_mad_u64_u32 v[17:18], null, v13, s14, 0
	s_delay_alu instid0(VALU_DEP_2) | instskip(NEXT) | instid1(VALU_DEP_2)
	v_add3_u32 v22, v22, v24, v23
	v_add3_u32 v18, v18, v26, v25
	s_delay_alu instid0(VALU_DEP_2) | instskip(NEXT) | instid1(VALU_DEP_2)
	v_lshlrev_b64 v[21:22], 1, v[21:22]
	v_lshlrev_b64 v[17:18], 1, v[17:18]
	s_delay_alu instid0(VALU_DEP_2) | instskip(NEXT) | instid1(VALU_DEP_3)
	v_add_co_u32 v21, vcc_lo, s16, v21
	v_add_co_ci_u32_e32 v22, vcc_lo, s17, v22, vcc_lo
	s_delay_alu instid0(VALU_DEP_3) | instskip(NEXT) | instid1(VALU_DEP_4)
	v_add_co_u32 v17, vcc_lo, s16, v17
	v_add_co_ci_u32_e32 v18, vcc_lo, s17, v18, vcc_lo
	s_clause 0x1
	global_load_u16 v23, v[21:22], off
	global_load_u16 v24, v[17:18], off
	s_mov_b32 s16, exec_lo
	s_waitcnt vmcnt(0)
	v_cmpx_eq_u16_e64 v23, v24
	s_cbranch_execz .LBB699_359
; %bb.353:
	v_add_co_u32 v17, vcc_lo, v17, 2
	v_add_co_ci_u32_e32 v18, vcc_lo, 0, v18, vcc_lo
	v_add_co_u32 v21, vcc_lo, v21, 2
	v_add_co_ci_u32_e32 v22, vcc_lo, 0, v22, vcc_lo
	s_add_u32 s4, s14, -1
	s_addc_u32 s5, s15, -1
	s_mov_b64 s[6:7], 0
	s_mov_b32 s17, 0
                                        ; implicit-def: $sgpr26
	s_set_inst_prefetch_distance 0x1
	s_branch .LBB699_356
	.p2align	6
.LBB699_354:                            ;   in Loop: Header=BB699_356 Depth=1
	global_load_u16 v23, v[21:22], off
	global_load_u16 v24, v[17:18], off
	v_add_co_u32 v17, vcc_lo, v17, 2
	v_add_co_ci_u32_e32 v18, vcc_lo, 0, v18, vcc_lo
	v_add_co_u32 v21, s0, v21, 2
	s_delay_alu instid0(VALU_DEP_1)
	v_add_co_ci_u32_e64 v22, s0, 0, v22, s0
	s_add_u32 s6, s6, 1
	s_addc_u32 s7, s7, 0
	s_and_not1_b32 s0, s26, exec_lo
	s_waitcnt vmcnt(0)
	v_cmp_ne_u16_e32 vcc_lo, v23, v24
	s_and_b32 s26, vcc_lo, exec_lo
	s_delay_alu instid0(SALU_CYCLE_1)
	s_or_b32 s26, s0, s26
.LBB699_355:                            ;   in Loop: Header=BB699_356 Depth=1
	v_dual_mov_b32 v24, s7 :: v_dual_mov_b32 v23, s6
	s_and_b32 s0, exec_lo, s26
	s_delay_alu instid0(SALU_CYCLE_1) | instskip(NEXT) | instid1(SALU_CYCLE_1)
	s_or_b32 s17, s0, s17
	s_and_not1_b32 exec_lo, exec_lo, s17
	s_cbranch_execz .LBB699_358
.LBB699_356:                            ; =>This Inner Loop Header: Depth=1
	s_or_b32 s26, s26, exec_lo
	s_cmp_eq_u64 s[4:5], s[6:7]
	s_cbranch_scc0 .LBB699_354
; %bb.357:                              ;   in Loop: Header=BB699_356 Depth=1
	s_mov_b64 s[6:7], s[14:15]
                                        ; implicit-def: $vgpr17_vgpr18
                                        ; implicit-def: $vgpr21_vgpr22
	s_branch .LBB699_355
.LBB699_358:
	s_set_inst_prefetch_distance 0x2
	s_or_b32 exec_lo, exec_lo, s17
	v_cmp_gt_i64_e32 vcc_lo, s[14:15], v[23:24]
	s_or_not1_b32 s0, vcc_lo, exec_lo
.LBB699_359:
	s_or_b32 exec_lo, exec_lo, s16
.LBB699_360:
	s_delay_alu instid0(SALU_CYCLE_1)
	s_and_b32 s0, s0, exec_lo
.LBB699_361:
	s_or_b32 exec_lo, exec_lo, s3
	s_delay_alu instid0(SALU_CYCLE_1)
	s_and_b32 s0, s0, exec_lo
	s_or_b32 s25, s25, exec_lo
.LBB699_362:
	s_or_b32 exec_lo, exec_lo, s27
.LBB699_363:
	s_and_saveexec_b32 s3, s25
	s_cbranch_execz .LBB699_365
; %bb.364:
	s_waitcnt vmcnt(0) lgkmcnt(0)
	v_and_b32_e32 v17, 0xffffff00, v19
	v_cndmask_b32_e64 v18, 0, 1, s0
	s_delay_alu instid0(VALU_DEP_1) | instskip(NEXT) | instid1(VALU_DEP_1)
	v_or_b32_e32 v17, v18, v17
	v_and_b32_e32 v17, 0xffff, v17
	s_delay_alu instid0(VALU_DEP_1)
	v_and_or_b32 v19, 0xffff0000, v19, v17
.LBB699_365:
	s_or_b32 exec_lo, exec_lo, s3
	s_delay_alu instid0(SALU_CYCLE_1)
	s_and_not1_b32 vcc_lo, exec_lo, s1
	s_cbranch_vccnz .LBB699_367
; %bb.366:
	v_cmp_gt_u32_e32 vcc_lo, s12, v39
	s_waitcnt vmcnt(0) lgkmcnt(0)
	v_or_b32_e32 v18, 1, v39
	v_and_b32_e32 v21, 0xffffff00, v20
	v_or_b32_e32 v22, 2, v39
	v_cndmask_b32_e32 v17, 0, v19, vcc_lo
	s_delay_alu instid0(VALU_DEP_4) | instskip(SKIP_1) | instid1(VALU_DEP_4)
	v_cmp_gt_u32_e32 vcc_lo, s12, v18
	v_or_b32_e32 v18, 4, v39
	v_cmp_gt_u32_e64 s0, s12, v22
	v_or_b32_e32 v22, 3, v39
	v_and_b32_e32 v17, 0xff, v17
	s_delay_alu instid0(VALU_DEP_2) | instskip(NEXT) | instid1(VALU_DEP_2)
	v_cmp_gt_u32_e64 s1, s12, v22
	v_cndmask_b32_e32 v17, v17, v19, vcc_lo
	v_cmp_gt_u32_e32 vcc_lo, s12, v18
	v_cndmask_b32_e32 v18, v21, v20, vcc_lo
	v_or_b32_e32 v21, 5, v39
	s_delay_alu instid0(VALU_DEP_2) | instskip(SKIP_1) | instid1(VALU_DEP_1)
	v_and_b32_e32 v18, 0xffff00ff, v18
	v_and_b32_e32 v17, 0xffff, v17
	v_cndmask_b32_e64 v17, v17, v19, s0
	s_delay_alu instid0(VALU_DEP_4) | instskip(SKIP_1) | instid1(VALU_DEP_3)
	v_cmp_gt_u32_e64 s0, s12, v21
	v_or_b32_e32 v21, 6, v39
	v_and_b32_e32 v17, 0xffffff, v17
	s_delay_alu instid0(VALU_DEP_3) | instskip(NEXT) | instid1(VALU_DEP_2)
	v_cndmask_b32_e64 v18, v18, v20, s0
	v_cndmask_b32_e64 v17, v17, v19, s1
	s_delay_alu instid0(VALU_DEP_1) | instskip(SKIP_2) | instid1(VALU_DEP_3)
	v_dual_cndmask_b32 v17, v17, v19 :: v_dual_and_b32 v18, 0xff00ffff, v18
	v_cmp_gt_u32_e32 vcc_lo, s12, v21
	v_or_b32_e32 v21, 7, v39
	v_cndmask_b32_e64 v17, v17, v19, s0
	s_delay_alu instid0(VALU_DEP_1) | instskip(NEXT) | instid1(VALU_DEP_1)
	v_dual_cndmask_b32 v18, v18, v20 :: v_dual_cndmask_b32 v17, v17, v19
	v_and_b32_e32 v18, 0xffffff, v18
	s_delay_alu instid0(VALU_DEP_4) | instskip(NEXT) | instid1(VALU_DEP_2)
	v_cmp_gt_u32_e32 vcc_lo, s12, v21
	v_dual_cndmask_b32 v20, v18, v20 :: v_dual_cndmask_b32 v19, v17, v19
.LBB699_367:
	s_delay_alu instid0(VALU_DEP_1) | instskip(SKIP_1) | instid1(VALU_DEP_2)
	v_and_b32_e32 v28, 0xff, v19
	s_waitcnt vmcnt(0) lgkmcnt(0)
	v_alignbit_b32 v17, v20, v19, 24
	v_bfe_u32 v30, v19, 8, 8
	v_bfe_u32 v32, v19, 16, 8
	v_and_b32_e32 v36, 0xff, v20
	v_bfe_u32 v38, v20, 8, 8
	v_and_b32_e32 v34, 0xff, v17
	v_add_nc_u32_e32 v17, v30, v28
	v_mbcnt_lo_u32_b32 v42, -1, 0
	v_bfe_u32 v41, v20, 16, 8
	v_lshrrev_b32_e32 v40, 24, v20
	v_lshrrev_b32_e32 v43, 5, v0
	v_add3_u32 v17, v17, v32, v34
	v_and_b32_e32 v18, 15, v42
	v_and_b32_e32 v21, 16, v42
	s_and_b32 vcc_lo, exec_lo, s24
	s_mov_b32 s7, -1
	v_add3_u32 v17, v17, v36, v38
	v_cmp_eq_u32_e64 s3, 0, v18
	v_cmp_lt_u32_e64 s0, 1, v18
	v_cmp_lt_u32_e64 s4, 3, v18
	;; [unrolled: 1-line block ×3, first 2 shown]
	v_add3_u32 v44, v17, v41, v40
	v_or_b32_e32 v17, 31, v0
	v_cmp_eq_u32_e64 s6, 0, v21
	s_barrier
	buffer_gl0_inv
	v_cmp_eq_u32_e64 s5, v17, v0
	s_cbranch_vccz .LBB699_398
; %bb.368:
	v_mov_b32_dpp v17, v44 row_shr:1 row_mask:0xf bank_mask:0xf
	s_delay_alu instid0(VALU_DEP_1) | instskip(NEXT) | instid1(VALU_DEP_1)
	v_cndmask_b32_e64 v17, v17, 0, s3
	v_add_nc_u32_e32 v17, v17, v44
	s_delay_alu instid0(VALU_DEP_1) | instskip(NEXT) | instid1(VALU_DEP_1)
	v_mov_b32_dpp v18, v17 row_shr:2 row_mask:0xf bank_mask:0xf
	v_cndmask_b32_e64 v18, 0, v18, s0
	s_delay_alu instid0(VALU_DEP_1) | instskip(NEXT) | instid1(VALU_DEP_1)
	v_add_nc_u32_e32 v17, v17, v18
	v_mov_b32_dpp v18, v17 row_shr:4 row_mask:0xf bank_mask:0xf
	s_delay_alu instid0(VALU_DEP_1) | instskip(NEXT) | instid1(VALU_DEP_1)
	v_cndmask_b32_e64 v18, 0, v18, s4
	v_add_nc_u32_e32 v17, v17, v18
	s_delay_alu instid0(VALU_DEP_1) | instskip(NEXT) | instid1(VALU_DEP_1)
	v_mov_b32_dpp v18, v17 row_shr:8 row_mask:0xf bank_mask:0xf
	v_cndmask_b32_e64 v18, 0, v18, s1
	s_delay_alu instid0(VALU_DEP_1) | instskip(SKIP_3) | instid1(VALU_DEP_1)
	v_add_nc_u32_e32 v17, v17, v18
	ds_swizzle_b32 v18, v17 offset:swizzle(BROADCAST,32,15)
	s_waitcnt lgkmcnt(0)
	v_cndmask_b32_e64 v18, v18, 0, s6
	v_add_nc_u32_e32 v17, v17, v18
	s_and_saveexec_b32 s7, s5
	s_cbranch_execz .LBB699_370
; %bb.369:
	v_lshlrev_b32_e32 v18, 2, v43
	ds_store_b32 v18, v17
.LBB699_370:
	s_or_b32 exec_lo, exec_lo, s7
	s_delay_alu instid0(SALU_CYCLE_1)
	s_mov_b32 s7, exec_lo
	s_waitcnt lgkmcnt(0)
	s_barrier
	buffer_gl0_inv
	v_cmpx_gt_u32_e32 16, v0
	s_cbranch_execz .LBB699_372
; %bb.371:
	v_lshlrev_b32_e32 v18, 2, v0
	ds_load_b32 v21, v18
	s_waitcnt lgkmcnt(0)
	v_mov_b32_dpp v22, v21 row_shr:1 row_mask:0xf bank_mask:0xf
	s_delay_alu instid0(VALU_DEP_1) | instskip(NEXT) | instid1(VALU_DEP_1)
	v_cndmask_b32_e64 v22, v22, 0, s3
	v_add_nc_u32_e32 v21, v22, v21
	s_delay_alu instid0(VALU_DEP_1) | instskip(NEXT) | instid1(VALU_DEP_1)
	v_mov_b32_dpp v22, v21 row_shr:2 row_mask:0xf bank_mask:0xf
	v_cndmask_b32_e64 v22, 0, v22, s0
	s_delay_alu instid0(VALU_DEP_1) | instskip(NEXT) | instid1(VALU_DEP_1)
	v_add_nc_u32_e32 v21, v21, v22
	v_mov_b32_dpp v22, v21 row_shr:4 row_mask:0xf bank_mask:0xf
	s_delay_alu instid0(VALU_DEP_1) | instskip(NEXT) | instid1(VALU_DEP_1)
	v_cndmask_b32_e64 v22, 0, v22, s4
	v_add_nc_u32_e32 v21, v21, v22
	s_delay_alu instid0(VALU_DEP_1) | instskip(NEXT) | instid1(VALU_DEP_1)
	v_mov_b32_dpp v22, v21 row_shr:8 row_mask:0xf bank_mask:0xf
	v_cndmask_b32_e64 v22, 0, v22, s1
	s_delay_alu instid0(VALU_DEP_1)
	v_add_nc_u32_e32 v21, v21, v22
	ds_store_b32 v18, v21
.LBB699_372:
	s_or_b32 exec_lo, exec_lo, s7
	v_cmp_gt_u32_e32 vcc_lo, 32, v0
	s_mov_b32 s12, exec_lo
	s_waitcnt lgkmcnt(0)
	s_barrier
	buffer_gl0_inv
                                        ; implicit-def: $vgpr27
	v_cmpx_lt_u32_e32 31, v0
	s_cbranch_execz .LBB699_374
; %bb.373:
	v_lshl_add_u32 v18, v43, 2, -4
	ds_load_b32 v27, v18
	s_waitcnt lgkmcnt(0)
	v_add_nc_u32_e32 v17, v27, v17
.LBB699_374:
	s_or_b32 exec_lo, exec_lo, s12
	v_add_nc_u32_e32 v18, -1, v42
	s_delay_alu instid0(VALU_DEP_1) | instskip(NEXT) | instid1(VALU_DEP_1)
	v_cmp_gt_i32_e64 s7, 0, v18
	v_cndmask_b32_e64 v18, v18, v42, s7
	v_cmp_eq_u32_e64 s7, 0, v42
	s_delay_alu instid0(VALU_DEP_2)
	v_lshlrev_b32_e32 v18, 2, v18
	ds_bpermute_b32 v29, v18, v17
	s_and_saveexec_b32 s12, vcc_lo
	s_cbranch_execz .LBB699_397
; %bb.375:
	v_mov_b32_e32 v23, 0
	ds_load_b32 v17, v23 offset:60
	s_and_saveexec_b32 s14, s7
	s_cbranch_execz .LBB699_377
; %bb.376:
	s_add_i32 s16, s23, 32
	s_mov_b32 s17, 0
	v_mov_b32_e32 v18, 1
	s_lshl_b64 s[16:17], s[16:17], 3
	s_delay_alu instid0(SALU_CYCLE_1)
	s_add_u32 s16, s18, s16
	s_addc_u32 s17, s19, s17
	s_waitcnt lgkmcnt(0)
	global_store_b64 v23, v[17:18], s[16:17]
.LBB699_377:
	s_or_b32 exec_lo, exec_lo, s14
	v_xad_u32 v21, v42, -1, s23
	s_mov_b32 s15, 0
	s_mov_b32 s14, exec_lo
	s_delay_alu instid0(VALU_DEP_1) | instskip(NEXT) | instid1(VALU_DEP_1)
	v_add_nc_u32_e32 v22, 32, v21
	v_lshlrev_b64 v[22:23], 3, v[22:23]
	s_delay_alu instid0(VALU_DEP_1) | instskip(NEXT) | instid1(VALU_DEP_2)
	v_add_co_u32 v25, vcc_lo, s18, v22
	v_add_co_ci_u32_e32 v26, vcc_lo, s19, v23, vcc_lo
	global_load_b64 v[23:24], v[25:26], off glc
	s_waitcnt vmcnt(0)
	v_and_b32_e32 v18, 0xff, v24
	s_delay_alu instid0(VALU_DEP_1)
	v_cmpx_eq_u16_e32 0, v18
	s_cbranch_execz .LBB699_383
; %bb.378:
	s_mov_b32 s16, 1
	.p2align	6
.LBB699_379:                            ; =>This Loop Header: Depth=1
                                        ;     Child Loop BB699_380 Depth 2
	s_delay_alu instid0(SALU_CYCLE_1)
	s_max_u32 s17, s16, 1
.LBB699_380:                            ;   Parent Loop BB699_379 Depth=1
                                        ; =>  This Inner Loop Header: Depth=2
	s_delay_alu instid0(SALU_CYCLE_1)
	s_add_i32 s17, s17, -1
	s_sleep 1
	s_cmp_eq_u32 s17, 0
	s_cbranch_scc0 .LBB699_380
; %bb.381:                              ;   in Loop: Header=BB699_379 Depth=1
	global_load_b64 v[23:24], v[25:26], off glc
	s_cmp_lt_u32 s16, 32
	s_cselect_b32 s17, -1, 0
	s_delay_alu instid0(SALU_CYCLE_1) | instskip(SKIP_3) | instid1(VALU_DEP_1)
	s_cmp_lg_u32 s17, 0
	s_addc_u32 s16, s16, 0
	s_waitcnt vmcnt(0)
	v_and_b32_e32 v18, 0xff, v24
	v_cmp_ne_u16_e32 vcc_lo, 0, v18
	s_or_b32 s15, vcc_lo, s15
	s_delay_alu instid0(SALU_CYCLE_1)
	s_and_not1_b32 exec_lo, exec_lo, s15
	s_cbranch_execnz .LBB699_379
; %bb.382:
	s_or_b32 exec_lo, exec_lo, s15
.LBB699_383:
	s_delay_alu instid0(SALU_CYCLE_1)
	s_or_b32 exec_lo, exec_lo, s14
	v_cmp_ne_u32_e32 vcc_lo, 31, v42
	v_and_b32_e32 v22, 0xff, v24
	v_lshlrev_b32_e64 v31, v42, -1
	v_add_nc_u32_e32 v35, 2, v42
	v_add_nc_u32_e32 v45, 4, v42
	v_add_co_ci_u32_e32 v18, vcc_lo, 0, v42, vcc_lo
	v_cmp_eq_u16_e32 vcc_lo, 2, v22
	v_add_nc_u32_e32 v48, 8, v42
	v_add_nc_u32_e32 v50, 16, v42
	v_and_or_b32 v22, vcc_lo, v31, 0x80000000
	v_cmp_gt_u32_e32 vcc_lo, 30, v42
	s_delay_alu instid0(VALU_DEP_2) | instskip(SKIP_1) | instid1(VALU_DEP_2)
	v_ctz_i32_b32_e32 v22, v22
	v_cndmask_b32_e64 v26, 0, 1, vcc_lo
	v_cmp_lt_u32_e32 vcc_lo, v42, v22
	v_lshlrev_b32_e32 v18, 2, v18
	s_delay_alu instid0(VALU_DEP_3)
	v_lshlrev_b32_e32 v26, 1, v26
	ds_bpermute_b32 v25, v18, v23
	v_add_lshl_u32 v33, v26, v42, 2
	s_waitcnt lgkmcnt(0)
	v_cndmask_b32_e32 v25, 0, v25, vcc_lo
	v_cmp_gt_u32_e32 vcc_lo, 28, v42
	s_delay_alu instid0(VALU_DEP_2) | instskip(SKIP_4) | instid1(VALU_DEP_1)
	v_add_nc_u32_e32 v23, v25, v23
	v_cndmask_b32_e64 v26, 0, 1, vcc_lo
	v_cmp_le_u32_e32 vcc_lo, v35, v22
	ds_bpermute_b32 v25, v33, v23
	v_lshlrev_b32_e32 v26, 2, v26
	v_add_lshl_u32 v37, v26, v42, 2
	s_waitcnt lgkmcnt(0)
	v_cndmask_b32_e32 v25, 0, v25, vcc_lo
	v_cmp_gt_u32_e32 vcc_lo, 24, v42
	s_delay_alu instid0(VALU_DEP_2) | instskip(SKIP_4) | instid1(VALU_DEP_1)
	v_add_nc_u32_e32 v23, v23, v25
	v_cndmask_b32_e64 v26, 0, 1, vcc_lo
	v_cmp_le_u32_e32 vcc_lo, v45, v22
	ds_bpermute_b32 v25, v37, v23
	v_lshlrev_b32_e32 v26, 3, v26
	;; [unrolled: 10-line block ×3, first 2 shown]
	v_add_lshl_u32 v49, v26, v42, 2
	s_waitcnt lgkmcnt(0)
	v_cndmask_b32_e32 v25, 0, v25, vcc_lo
	v_cmp_le_u32_e32 vcc_lo, v50, v22
	s_delay_alu instid0(VALU_DEP_2) | instskip(SKIP_3) | instid1(VALU_DEP_1)
	v_add_nc_u32_e32 v23, v23, v25
	ds_bpermute_b32 v25, v49, v23
	s_waitcnt lgkmcnt(0)
	v_cndmask_b32_e32 v22, 0, v25, vcc_lo
	v_dual_mov_b32 v22, 0 :: v_dual_add_nc_u32 v23, v23, v22
	s_branch .LBB699_385
.LBB699_384:                            ;   in Loop: Header=BB699_385 Depth=1
	s_or_b32 exec_lo, exec_lo, s14
	ds_bpermute_b32 v26, v18, v23
	v_and_b32_e32 v25, 0xff, v24
	v_subrev_nc_u32_e32 v21, 32, v21
	s_delay_alu instid0(VALU_DEP_2) | instskip(SKIP_1) | instid1(VALU_DEP_1)
	v_cmp_eq_u16_e32 vcc_lo, 2, v25
	v_and_or_b32 v25, vcc_lo, v31, 0x80000000
	v_ctz_i32_b32_e32 v25, v25
	s_delay_alu instid0(VALU_DEP_1) | instskip(SKIP_3) | instid1(VALU_DEP_2)
	v_cmp_lt_u32_e32 vcc_lo, v42, v25
	s_waitcnt lgkmcnt(0)
	v_cndmask_b32_e32 v26, 0, v26, vcc_lo
	v_cmp_le_u32_e32 vcc_lo, v35, v25
	v_add_nc_u32_e32 v23, v26, v23
	ds_bpermute_b32 v26, v33, v23
	s_waitcnt lgkmcnt(0)
	v_cndmask_b32_e32 v26, 0, v26, vcc_lo
	v_cmp_le_u32_e32 vcc_lo, v45, v25
	s_delay_alu instid0(VALU_DEP_2) | instskip(SKIP_4) | instid1(VALU_DEP_2)
	v_add_nc_u32_e32 v23, v23, v26
	ds_bpermute_b32 v26, v37, v23
	s_waitcnt lgkmcnt(0)
	v_cndmask_b32_e32 v26, 0, v26, vcc_lo
	v_cmp_le_u32_e32 vcc_lo, v48, v25
	v_add_nc_u32_e32 v23, v23, v26
	ds_bpermute_b32 v26, v47, v23
	s_waitcnt lgkmcnt(0)
	v_cndmask_b32_e32 v26, 0, v26, vcc_lo
	v_cmp_le_u32_e32 vcc_lo, v50, v25
	s_delay_alu instid0(VALU_DEP_2) | instskip(SKIP_3) | instid1(VALU_DEP_1)
	v_add_nc_u32_e32 v23, v23, v26
	ds_bpermute_b32 v26, v49, v23
	s_waitcnt lgkmcnt(0)
	v_cndmask_b32_e32 v25, 0, v26, vcc_lo
	v_add3_u32 v23, v25, v46, v23
.LBB699_385:                            ; =>This Loop Header: Depth=1
                                        ;     Child Loop BB699_388 Depth 2
                                        ;       Child Loop BB699_389 Depth 3
	v_and_b32_e32 v24, 0xff, v24
	s_delay_alu instid0(VALU_DEP_2) | instskip(NEXT) | instid1(VALU_DEP_2)
	v_mov_b32_e32 v46, v23
	v_cmp_ne_u16_e32 vcc_lo, 2, v24
	v_cndmask_b32_e64 v24, 0, 1, vcc_lo
	;;#ASMSTART
	;;#ASMEND
	s_delay_alu instid0(VALU_DEP_1)
	v_cmp_ne_u32_e32 vcc_lo, 0, v24
	s_cmp_lg_u32 vcc_lo, exec_lo
	s_cbranch_scc1 .LBB699_392
; %bb.386:                              ;   in Loop: Header=BB699_385 Depth=1
	v_lshlrev_b64 v[23:24], 3, v[21:22]
	s_mov_b32 s14, exec_lo
	s_delay_alu instid0(VALU_DEP_1) | instskip(NEXT) | instid1(VALU_DEP_2)
	v_add_co_u32 v25, vcc_lo, s18, v23
	v_add_co_ci_u32_e32 v26, vcc_lo, s19, v24, vcc_lo
	global_load_b64 v[23:24], v[25:26], off glc
	s_waitcnt vmcnt(0)
	v_and_b32_e32 v51, 0xff, v24
	s_delay_alu instid0(VALU_DEP_1)
	v_cmpx_eq_u16_e32 0, v51
	s_cbranch_execz .LBB699_384
; %bb.387:                              ;   in Loop: Header=BB699_385 Depth=1
	s_mov_b32 s16, 1
	s_mov_b32 s15, 0
	.p2align	6
.LBB699_388:                            ;   Parent Loop BB699_385 Depth=1
                                        ; =>  This Loop Header: Depth=2
                                        ;       Child Loop BB699_389 Depth 3
	s_max_u32 s17, s16, 1
.LBB699_389:                            ;   Parent Loop BB699_385 Depth=1
                                        ;     Parent Loop BB699_388 Depth=2
                                        ; =>    This Inner Loop Header: Depth=3
	s_delay_alu instid0(SALU_CYCLE_1)
	s_add_i32 s17, s17, -1
	s_sleep 1
	s_cmp_eq_u32 s17, 0
	s_cbranch_scc0 .LBB699_389
; %bb.390:                              ;   in Loop: Header=BB699_388 Depth=2
	global_load_b64 v[23:24], v[25:26], off glc
	s_cmp_lt_u32 s16, 32
	s_cselect_b32 s17, -1, 0
	s_delay_alu instid0(SALU_CYCLE_1) | instskip(SKIP_3) | instid1(VALU_DEP_1)
	s_cmp_lg_u32 s17, 0
	s_addc_u32 s16, s16, 0
	s_waitcnt vmcnt(0)
	v_and_b32_e32 v51, 0xff, v24
	v_cmp_ne_u16_e32 vcc_lo, 0, v51
	s_or_b32 s15, vcc_lo, s15
	s_delay_alu instid0(SALU_CYCLE_1)
	s_and_not1_b32 exec_lo, exec_lo, s15
	s_cbranch_execnz .LBB699_388
; %bb.391:                              ;   in Loop: Header=BB699_385 Depth=1
	s_or_b32 exec_lo, exec_lo, s15
	s_branch .LBB699_384
.LBB699_392:                            ;   in Loop: Header=BB699_385 Depth=1
                                        ; implicit-def: $vgpr23
                                        ; implicit-def: $vgpr24
	s_cbranch_execz .LBB699_385
; %bb.393:
	s_and_saveexec_b32 s14, s7
	s_cbranch_execz .LBB699_395
; %bb.394:
	s_add_i32 s16, s23, 32
	s_mov_b32 s17, 0
	v_dual_mov_b32 v22, 2 :: v_dual_add_nc_u32 v21, v46, v17
	s_lshl_b64 s[16:17], s[16:17], 3
	v_mov_b32_e32 v18, 0
	v_add_nc_u32_e64 v23, 0x8400, 0
	s_add_u32 s16, s18, s16
	s_addc_u32 s17, s19, s17
	global_store_b64 v18, v[21:22], s[16:17]
	ds_store_2addr_b32 v23, v17, v46 offset1:2
.LBB699_395:
	s_or_b32 exec_lo, exec_lo, s14
	s_delay_alu instid0(SALU_CYCLE_1)
	s_and_b32 exec_lo, exec_lo, s2
	s_cbranch_execz .LBB699_397
; %bb.396:
	v_mov_b32_e32 v17, 0
	ds_store_b32 v17, v46 offset:60
.LBB699_397:
	s_or_b32 exec_lo, exec_lo, s12
	v_mov_b32_e32 v17, 0
	s_waitcnt lgkmcnt(0)
	s_waitcnt_vscnt null, 0x0
	s_barrier
	buffer_gl0_inv
	v_cndmask_b32_e64 v18, v29, v27, s7
	ds_load_b32 v17, v17 offset:60
	s_waitcnt lgkmcnt(0)
	s_barrier
	buffer_gl0_inv
	v_cndmask_b32_e64 v18, v18, 0, s2
	s_delay_alu instid0(VALU_DEP_1) | instskip(SKIP_1) | instid1(VALU_DEP_2)
	v_add_nc_u32_e32 v37, v17, v18
	v_add_nc_u32_e64 v17, 0x8400, 0
	v_add_nc_u32_e32 v35, v37, v28
	ds_load_2addr_b32 v[17:18], v17 offset1:2
	v_add_nc_u32_e32 v33, v35, v30
	s_delay_alu instid0(VALU_DEP_1) | instskip(NEXT) | instid1(VALU_DEP_1)
	v_add_nc_u32_e32 v31, v33, v32
	v_add_nc_u32_e32 v29, v31, v34
	s_delay_alu instid0(VALU_DEP_1) | instskip(NEXT) | instid1(VALU_DEP_1)
	v_add_nc_u32_e32 v27, v29, v36
	v_add_nc_u32_e32 v25, v27, v38
	s_delay_alu instid0(VALU_DEP_1)
	v_add_nc_u32_e32 v23, v25, v41
	v_lshrrev_b64 v[21:22], 24, v[19:20]
	s_branch .LBB699_408
.LBB699_398:
                                        ; implicit-def: $vgpr23
                                        ; implicit-def: $vgpr25
                                        ; implicit-def: $vgpr27
                                        ; implicit-def: $vgpr29
                                        ; implicit-def: $vgpr31
                                        ; implicit-def: $vgpr33
                                        ; implicit-def: $vgpr35
                                        ; implicit-def: $vgpr37
                                        ; implicit-def: $vgpr18
	v_lshrrev_b64 v[21:22], 24, v[19:20]
	s_and_b32 vcc_lo, exec_lo, s7
	s_cbranch_vccz .LBB699_408
; %bb.399:
	s_waitcnt lgkmcnt(0)
	v_mov_b32_dpp v17, v44 row_shr:1 row_mask:0xf bank_mask:0xf
	s_delay_alu instid0(VALU_DEP_1) | instskip(NEXT) | instid1(VALU_DEP_1)
	v_cndmask_b32_e64 v17, v17, 0, s3
	v_add_nc_u32_e32 v17, v17, v44
	s_delay_alu instid0(VALU_DEP_1) | instskip(NEXT) | instid1(VALU_DEP_1)
	v_mov_b32_dpp v18, v17 row_shr:2 row_mask:0xf bank_mask:0xf
	v_cndmask_b32_e64 v18, 0, v18, s0
	s_delay_alu instid0(VALU_DEP_1) | instskip(NEXT) | instid1(VALU_DEP_1)
	v_add_nc_u32_e32 v17, v17, v18
	v_mov_b32_dpp v18, v17 row_shr:4 row_mask:0xf bank_mask:0xf
	s_delay_alu instid0(VALU_DEP_1) | instskip(NEXT) | instid1(VALU_DEP_1)
	v_cndmask_b32_e64 v18, 0, v18, s4
	v_add_nc_u32_e32 v17, v17, v18
	s_delay_alu instid0(VALU_DEP_1) | instskip(NEXT) | instid1(VALU_DEP_1)
	v_mov_b32_dpp v18, v17 row_shr:8 row_mask:0xf bank_mask:0xf
	v_cndmask_b32_e64 v18, 0, v18, s1
	s_delay_alu instid0(VALU_DEP_1) | instskip(SKIP_3) | instid1(VALU_DEP_1)
	v_add_nc_u32_e32 v17, v17, v18
	ds_swizzle_b32 v18, v17 offset:swizzle(BROADCAST,32,15)
	s_waitcnt lgkmcnt(0)
	v_cndmask_b32_e64 v18, v18, 0, s6
	v_add_nc_u32_e32 v17, v17, v18
	s_and_saveexec_b32 s6, s5
	s_cbranch_execz .LBB699_401
; %bb.400:
	v_lshlrev_b32_e32 v18, 2, v43
	ds_store_b32 v18, v17
.LBB699_401:
	s_or_b32 exec_lo, exec_lo, s6
	s_delay_alu instid0(SALU_CYCLE_1)
	s_mov_b32 s5, exec_lo
	s_waitcnt lgkmcnt(0)
	s_barrier
	buffer_gl0_inv
	v_cmpx_gt_u32_e32 16, v0
	s_cbranch_execz .LBB699_403
; %bb.402:
	v_lshlrev_b32_e32 v18, 2, v0
	ds_load_b32 v22, v18
	s_waitcnt lgkmcnt(0)
	v_mov_b32_dpp v23, v22 row_shr:1 row_mask:0xf bank_mask:0xf
	s_delay_alu instid0(VALU_DEP_1) | instskip(NEXT) | instid1(VALU_DEP_1)
	v_cndmask_b32_e64 v23, v23, 0, s3
	v_add_nc_u32_e32 v22, v23, v22
	s_delay_alu instid0(VALU_DEP_1) | instskip(NEXT) | instid1(VALU_DEP_1)
	v_mov_b32_dpp v23, v22 row_shr:2 row_mask:0xf bank_mask:0xf
	v_cndmask_b32_e64 v23, 0, v23, s0
	s_delay_alu instid0(VALU_DEP_1) | instskip(NEXT) | instid1(VALU_DEP_1)
	v_add_nc_u32_e32 v22, v22, v23
	v_mov_b32_dpp v23, v22 row_shr:4 row_mask:0xf bank_mask:0xf
	s_delay_alu instid0(VALU_DEP_1) | instskip(NEXT) | instid1(VALU_DEP_1)
	v_cndmask_b32_e64 v23, 0, v23, s4
	v_add_nc_u32_e32 v22, v22, v23
	s_delay_alu instid0(VALU_DEP_1) | instskip(NEXT) | instid1(VALU_DEP_1)
	v_mov_b32_dpp v23, v22 row_shr:8 row_mask:0xf bank_mask:0xf
	v_cndmask_b32_e64 v23, 0, v23, s1
	s_delay_alu instid0(VALU_DEP_1)
	v_add_nc_u32_e32 v22, v22, v23
	ds_store_b32 v18, v22
.LBB699_403:
	s_or_b32 exec_lo, exec_lo, s5
	v_mov_b32_e32 v18, 0
	v_mov_b32_e32 v22, 0
	s_mov_b32 s0, exec_lo
	s_waitcnt lgkmcnt(0)
	s_barrier
	buffer_gl0_inv
	v_cmpx_lt_u32_e32 31, v0
	s_cbranch_execz .LBB699_405
; %bb.404:
	v_lshl_add_u32 v22, v43, 2, -4
	ds_load_b32 v22, v22
.LBB699_405:
	s_or_b32 exec_lo, exec_lo, s0
	v_add_nc_u32_e32 v23, -1, v42
	s_waitcnt lgkmcnt(0)
	v_add_nc_u32_e32 v17, v22, v17
	s_delay_alu instid0(VALU_DEP_2) | instskip(SKIP_1) | instid1(VALU_DEP_1)
	v_cmp_gt_i32_e32 vcc_lo, 0, v23
	v_cndmask_b32_e32 v23, v23, v42, vcc_lo
	v_lshlrev_b32_e32 v23, 2, v23
	ds_bpermute_b32 v23, v23, v17
	ds_load_b32 v17, v18 offset:60
	s_and_saveexec_b32 s0, s2
	s_cbranch_execz .LBB699_407
; %bb.406:
	v_mov_b32_e32 v24, 0
	v_mov_b32_e32 v18, 2
	s_waitcnt lgkmcnt(0)
	global_store_b64 v24, v[17:18], s[18:19] offset:256
.LBB699_407:
	s_or_b32 exec_lo, exec_lo, s0
	v_cmp_eq_u32_e32 vcc_lo, 0, v42
	s_waitcnt lgkmcnt(0)
	s_waitcnt_vscnt null, 0x0
	s_barrier
	buffer_gl0_inv
	v_cndmask_b32_e32 v18, v23, v22, vcc_lo
	s_delay_alu instid0(VALU_DEP_1) | instskip(NEXT) | instid1(VALU_DEP_1)
	v_cndmask_b32_e64 v37, v18, 0, s2
	v_dual_mov_b32 v18, 0 :: v_dual_add_nc_u32 v35, v37, v28
	s_delay_alu instid0(VALU_DEP_1) | instskip(NEXT) | instid1(VALU_DEP_1)
	v_add_nc_u32_e32 v33, v35, v30
	v_add_nc_u32_e32 v31, v33, v32
	s_delay_alu instid0(VALU_DEP_1) | instskip(NEXT) | instid1(VALU_DEP_1)
	v_add_nc_u32_e32 v29, v31, v34
	v_add_nc_u32_e32 v27, v29, v36
	;; [unrolled: 3-line block ×3, first 2 shown]
.LBB699_408:
	s_waitcnt lgkmcnt(0)
	v_cmp_gt_u32_e32 vcc_lo, 0x201, v17
	v_lshrrev_b32_e32 v43, 8, v19
	v_lshrrev_b32_e32 v42, 16, v19
	;; [unrolled: 1-line block ×4, first 2 shown]
	s_mov_b32 s0, -1
	s_cbranch_vccnz .LBB699_412
; %bb.409:
	s_and_b32 vcc_lo, exec_lo, s0
	s_cbranch_vccnz .LBB699_437
.LBB699_410:
	s_and_b32 s0, s2, s13
	s_delay_alu instid0(SALU_CYCLE_1)
	s_and_saveexec_b32 s1, s0
	s_cbranch_execnz .LBB699_457
.LBB699_411:
	s_nop 0
	s_sendmsg sendmsg(MSG_DEALLOC_VGPRS)
	s_endpgm
.LBB699_412:
	v_add_nc_u32_e32 v24, v18, v17
	s_delay_alu instid0(VALU_DEP_1) | instskip(SKIP_1) | instid1(SALU_CYCLE_1)
	v_cmp_lt_u32_e32 vcc_lo, v37, v24
	s_or_b32 s1, s22, vcc_lo
	s_and_saveexec_b32 s0, s1
	s_cbranch_execz .LBB699_415
; %bb.413:
	v_and_b32_e32 v26, 1, v19
	s_delay_alu instid0(VALU_DEP_1)
	v_cmp_eq_u32_e32 vcc_lo, 1, v26
	s_and_b32 exec_lo, exec_lo, vcc_lo
	s_cbranch_execz .LBB699_415
; %bb.414:
	v_mov_b32_e32 v38, 0
	s_lshl_b64 s[4:5], s[10:11], 3
	s_delay_alu instid0(SALU_CYCLE_1) | instskip(SKIP_1) | instid1(VALU_DEP_1)
	s_add_u32 s1, s20, s4
	s_addc_u32 s3, s21, s5
	v_lshlrev_b64 v[44:45], 3, v[37:38]
	s_delay_alu instid0(VALU_DEP_1) | instskip(NEXT) | instid1(VALU_DEP_2)
	v_add_co_u32 v44, vcc_lo, s1, v44
	v_add_co_ci_u32_e32 v45, vcc_lo, s3, v45, vcc_lo
	global_store_b64 v[44:45], v[13:14], off
.LBB699_415:
	s_or_b32 exec_lo, exec_lo, s0
	v_cmp_lt_u32_e32 vcc_lo, v35, v24
	s_or_b32 s1, s22, vcc_lo
	s_delay_alu instid0(SALU_CYCLE_1)
	s_and_saveexec_b32 s0, s1
	s_cbranch_execz .LBB699_418
; %bb.416:
	v_and_b32_e32 v26, 1, v43
	s_delay_alu instid0(VALU_DEP_1)
	v_cmp_eq_u32_e32 vcc_lo, 1, v26
	s_and_b32 exec_lo, exec_lo, vcc_lo
	s_cbranch_execz .LBB699_418
; %bb.417:
	v_mov_b32_e32 v36, 0
	s_lshl_b64 s[4:5], s[10:11], 3
	s_delay_alu instid0(SALU_CYCLE_1) | instskip(SKIP_1) | instid1(VALU_DEP_1)
	s_add_u32 s1, s20, s4
	s_addc_u32 s3, s21, s5
	v_lshlrev_b64 v[44:45], 3, v[35:36]
	s_delay_alu instid0(VALU_DEP_1) | instskip(NEXT) | instid1(VALU_DEP_2)
	v_add_co_u32 v44, vcc_lo, s1, v44
	v_add_co_ci_u32_e32 v45, vcc_lo, s3, v45, vcc_lo
	global_store_b64 v[44:45], v[15:16], off
.LBB699_418:
	s_or_b32 exec_lo, exec_lo, s0
	v_cmp_lt_u32_e32 vcc_lo, v33, v24
	s_or_b32 s1, s22, vcc_lo
	s_delay_alu instid0(SALU_CYCLE_1)
	s_and_saveexec_b32 s0, s1
	s_cbranch_execz .LBB699_421
; %bb.419:
	v_and_b32_e32 v26, 1, v42
	s_delay_alu instid0(VALU_DEP_1)
	v_cmp_eq_u32_e32 vcc_lo, 1, v26
	s_and_b32 exec_lo, exec_lo, vcc_lo
	s_cbranch_execz .LBB699_421
; %bb.420:
	v_mov_b32_e32 v34, 0
	s_lshl_b64 s[4:5], s[10:11], 3
	s_delay_alu instid0(SALU_CYCLE_1) | instskip(SKIP_1) | instid1(VALU_DEP_1)
	s_add_u32 s1, s20, s4
	s_addc_u32 s3, s21, s5
	v_lshlrev_b64 v[44:45], 3, v[33:34]
	s_delay_alu instid0(VALU_DEP_1) | instskip(NEXT) | instid1(VALU_DEP_2)
	v_add_co_u32 v44, vcc_lo, s1, v44
	v_add_co_ci_u32_e32 v45, vcc_lo, s3, v45, vcc_lo
	global_store_b64 v[44:45], v[9:10], off
.LBB699_421:
	s_or_b32 exec_lo, exec_lo, s0
	v_cmp_lt_u32_e32 vcc_lo, v31, v24
	s_or_b32 s1, s22, vcc_lo
	s_delay_alu instid0(SALU_CYCLE_1)
	s_and_saveexec_b32 s0, s1
	s_cbranch_execz .LBB699_424
; %bb.422:
	v_and_b32_e32 v26, 1, v21
	s_delay_alu instid0(VALU_DEP_1)
	v_cmp_eq_u32_e32 vcc_lo, 1, v26
	s_and_b32 exec_lo, exec_lo, vcc_lo
	s_cbranch_execz .LBB699_424
; %bb.423:
	v_mov_b32_e32 v32, 0
	s_lshl_b64 s[4:5], s[10:11], 3
	s_delay_alu instid0(SALU_CYCLE_1) | instskip(SKIP_1) | instid1(VALU_DEP_1)
	s_add_u32 s1, s20, s4
	s_addc_u32 s3, s21, s5
	v_lshlrev_b64 v[44:45], 3, v[31:32]
	s_delay_alu instid0(VALU_DEP_1) | instskip(NEXT) | instid1(VALU_DEP_2)
	v_add_co_u32 v44, vcc_lo, s1, v44
	v_add_co_ci_u32_e32 v45, vcc_lo, s3, v45, vcc_lo
	global_store_b64 v[44:45], v[11:12], off
.LBB699_424:
	s_or_b32 exec_lo, exec_lo, s0
	v_cmp_lt_u32_e32 vcc_lo, v29, v24
	s_or_b32 s1, s22, vcc_lo
	s_delay_alu instid0(SALU_CYCLE_1)
	s_and_saveexec_b32 s0, s1
	s_cbranch_execz .LBB699_427
; %bb.425:
	v_and_b32_e32 v26, 1, v20
	s_delay_alu instid0(VALU_DEP_1)
	v_cmp_eq_u32_e32 vcc_lo, 1, v26
	s_and_b32 exec_lo, exec_lo, vcc_lo
	s_cbranch_execz .LBB699_427
; %bb.426:
	v_mov_b32_e32 v30, 0
	s_lshl_b64 s[4:5], s[10:11], 3
	s_delay_alu instid0(SALU_CYCLE_1) | instskip(SKIP_1) | instid1(VALU_DEP_1)
	s_add_u32 s1, s20, s4
	s_addc_u32 s3, s21, s5
	v_lshlrev_b64 v[44:45], 3, v[29:30]
	s_delay_alu instid0(VALU_DEP_1) | instskip(NEXT) | instid1(VALU_DEP_2)
	v_add_co_u32 v44, vcc_lo, s1, v44
	v_add_co_ci_u32_e32 v45, vcc_lo, s3, v45, vcc_lo
	global_store_b64 v[44:45], v[5:6], off
.LBB699_427:
	s_or_b32 exec_lo, exec_lo, s0
	v_cmp_lt_u32_e32 vcc_lo, v27, v24
	s_or_b32 s1, s22, vcc_lo
	s_delay_alu instid0(SALU_CYCLE_1)
	s_and_saveexec_b32 s0, s1
	s_cbranch_execz .LBB699_430
; %bb.428:
	v_and_b32_e32 v26, 1, v41
	s_delay_alu instid0(VALU_DEP_1)
	v_cmp_eq_u32_e32 vcc_lo, 1, v26
	s_and_b32 exec_lo, exec_lo, vcc_lo
	s_cbranch_execz .LBB699_430
; %bb.429:
	v_mov_b32_e32 v28, 0
	s_lshl_b64 s[4:5], s[10:11], 3
	s_delay_alu instid0(SALU_CYCLE_1) | instskip(SKIP_1) | instid1(VALU_DEP_1)
	s_add_u32 s1, s20, s4
	s_addc_u32 s3, s21, s5
	v_lshlrev_b64 v[44:45], 3, v[27:28]
	s_delay_alu instid0(VALU_DEP_1) | instskip(NEXT) | instid1(VALU_DEP_2)
	v_add_co_u32 v44, vcc_lo, s1, v44
	v_add_co_ci_u32_e32 v45, vcc_lo, s3, v45, vcc_lo
	global_store_b64 v[44:45], v[7:8], off
.LBB699_430:
	s_or_b32 exec_lo, exec_lo, s0
	v_cmp_lt_u32_e32 vcc_lo, v25, v24
	s_or_b32 s1, s22, vcc_lo
	s_delay_alu instid0(SALU_CYCLE_1)
	s_and_saveexec_b32 s0, s1
	s_cbranch_execz .LBB699_433
; %bb.431:
	v_and_b32_e32 v26, 1, v22
	s_delay_alu instid0(VALU_DEP_1)
	v_cmp_eq_u32_e32 vcc_lo, 1, v26
	s_and_b32 exec_lo, exec_lo, vcc_lo
	s_cbranch_execz .LBB699_433
; %bb.432:
	v_mov_b32_e32 v26, 0
	s_lshl_b64 s[4:5], s[10:11], 3
	s_delay_alu instid0(SALU_CYCLE_1) | instskip(SKIP_1) | instid1(VALU_DEP_1)
	s_add_u32 s1, s20, s4
	s_addc_u32 s3, s21, s5
	v_lshlrev_b64 v[44:45], 3, v[25:26]
	s_delay_alu instid0(VALU_DEP_1) | instskip(NEXT) | instid1(VALU_DEP_2)
	v_add_co_u32 v44, vcc_lo, s1, v44
	v_add_co_ci_u32_e32 v45, vcc_lo, s3, v45, vcc_lo
	global_store_b64 v[44:45], v[1:2], off
.LBB699_433:
	s_or_b32 exec_lo, exec_lo, s0
	v_cmp_lt_u32_e32 vcc_lo, v23, v24
	s_or_b32 s1, s22, vcc_lo
	s_delay_alu instid0(SALU_CYCLE_1)
	s_and_saveexec_b32 s0, s1
	s_cbranch_execz .LBB699_436
; %bb.434:
	v_and_b32_e32 v24, 1, v40
	s_delay_alu instid0(VALU_DEP_1)
	v_cmp_eq_u32_e32 vcc_lo, 1, v24
	s_and_b32 exec_lo, exec_lo, vcc_lo
	s_cbranch_execz .LBB699_436
; %bb.435:
	v_mov_b32_e32 v24, 0
	s_lshl_b64 s[4:5], s[10:11], 3
	s_delay_alu instid0(SALU_CYCLE_1) | instskip(SKIP_1) | instid1(VALU_DEP_1)
	s_add_u32 s1, s20, s4
	s_addc_u32 s3, s21, s5
	v_lshlrev_b64 v[44:45], 3, v[23:24]
	s_delay_alu instid0(VALU_DEP_1) | instskip(NEXT) | instid1(VALU_DEP_2)
	v_add_co_u32 v44, vcc_lo, s1, v44
	v_add_co_ci_u32_e32 v45, vcc_lo, s3, v45, vcc_lo
	global_store_b64 v[44:45], v[3:4], off
.LBB699_436:
	s_or_b32 exec_lo, exec_lo, s0
	s_branch .LBB699_410
.LBB699_437:
	v_and_b32_e32 v19, 1, v19
	s_mov_b32 s0, exec_lo
	s_delay_alu instid0(VALU_DEP_1)
	v_cmpx_eq_u32_e32 1, v19
	s_cbranch_execz .LBB699_439
; %bb.438:
	v_sub_nc_u32_e32 v19, v37, v18
	s_delay_alu instid0(VALU_DEP_1)
	v_lshlrev_b32_e32 v19, 3, v19
	ds_store_b64 v19, v[13:14]
.LBB699_439:
	s_or_b32 exec_lo, exec_lo, s0
	v_and_b32_e32 v13, 1, v43
	s_mov_b32 s0, exec_lo
	s_delay_alu instid0(VALU_DEP_1)
	v_cmpx_eq_u32_e32 1, v13
	s_cbranch_execz .LBB699_441
; %bb.440:
	v_sub_nc_u32_e32 v13, v35, v18
	s_delay_alu instid0(VALU_DEP_1)
	v_lshlrev_b32_e32 v13, 3, v13
	ds_store_b64 v13, v[15:16]
.LBB699_441:
	s_or_b32 exec_lo, exec_lo, s0
	;; [unrolled: 12-line block ×8, first 2 shown]
	s_delay_alu instid0(SALU_CYCLE_1)
	s_mov_b32 s1, exec_lo
	s_waitcnt lgkmcnt(0)
	s_waitcnt_vscnt null, 0x0
	s_barrier
	buffer_gl0_inv
	v_cmpx_lt_u32_e64 v0, v17
	s_cbranch_execz .LBB699_456
; %bb.454:
	v_dual_mov_b32 v2, 0 :: v_dual_mov_b32 v1, v18
	s_lshl_b64 s[4:5], s[10:11], 3
	s_mov_b32 s3, 0
	s_delay_alu instid0(VALU_DEP_1) | instskip(NEXT) | instid1(VALU_DEP_1)
	v_lshlrev_b64 v[1:2], 3, v[1:2]
	v_add_co_u32 v1, vcc_lo, s4, v1
	s_delay_alu instid0(VALU_DEP_2) | instskip(NEXT) | instid1(VALU_DEP_2)
	v_add_co_ci_u32_e32 v2, vcc_lo, s5, v2, vcc_lo
	v_add_co_u32 v1, vcc_lo, s20, v1
	s_delay_alu instid0(VALU_DEP_2) | instskip(NEXT) | instid1(VALU_DEP_2)
	v_add_co_ci_u32_e32 v2, vcc_lo, s21, v2, vcc_lo
	v_add_co_u32 v1, vcc_lo, v1, v39
	s_delay_alu instid0(VALU_DEP_2)
	v_add_co_ci_u32_e32 v2, vcc_lo, 0, v2, vcc_lo
	.p2align	6
.LBB699_455:                            ; =>This Inner Loop Header: Depth=1
	ds_load_b64 v[3:4], v39
	v_add_nc_u32_e32 v0, 0x200, v0
	v_add_nc_u32_e32 v39, 0x1000, v39
	s_delay_alu instid0(VALU_DEP_2) | instskip(SKIP_4) | instid1(VALU_DEP_1)
	v_cmp_ge_u32_e32 vcc_lo, v0, v17
	s_or_b32 s3, vcc_lo, s3
	s_waitcnt lgkmcnt(0)
	global_store_b64 v[1:2], v[3:4], off
	v_add_co_u32 v1, s0, 0x1000, v1
	v_add_co_ci_u32_e64 v2, s0, 0, v2, s0
	s_and_not1_b32 exec_lo, exec_lo, s3
	s_cbranch_execnz .LBB699_455
.LBB699_456:
	s_or_b32 exec_lo, exec_lo, s1
	s_and_b32 s0, s2, s13
	s_delay_alu instid0(SALU_CYCLE_1)
	s_and_saveexec_b32 s1, s0
	s_cbranch_execz .LBB699_411
.LBB699_457:
	v_add_co_u32 v0, s0, s10, v17
	s_delay_alu instid0(VALU_DEP_1) | instskip(SKIP_1) | instid1(VALU_DEP_3)
	v_add_co_ci_u32_e64 v1, null, s11, 0, s0
	v_mov_b32_e32 v2, 0
	v_add_co_u32 v0, vcc_lo, v0, v18
	s_delay_alu instid0(VALU_DEP_3)
	v_add_co_ci_u32_e32 v1, vcc_lo, 0, v1, vcc_lo
	global_store_b64 v2, v[0:1], s[8:9]
	s_nop 0
	s_sendmsg sendmsg(MSG_DEALLOC_VGPRS)
	s_endpgm
	.section	.rodata,"a",@progbits
	.p2align	6, 0x0
	.amdhsa_kernel _ZN7rocprim17ROCPRIM_400000_NS6detail17trampoline_kernelINS0_14default_configENS1_25partition_config_selectorILNS1_17partition_subalgoE8ElNS0_10empty_typeEbEEZZNS1_14partition_implILS5_8ELb0ES3_jPlPS6_PKS6_NS0_5tupleIJS9_S6_EEENSD_IJSA_SA_EEENS0_18inequality_wrapperIZN2at6native12_GLOBAL__N_124unique_dim_cuda_templateIsEESt5tupleIJNSH_6TensorESM_SM_EERKSM_lbbbEUlllE0_EEPmJS6_EEE10hipError_tPvRmT3_T4_T5_T6_T7_T9_mT8_P12ihipStream_tbDpT10_ENKUlT_T0_E_clISt17integral_constantIbLb1EES1C_EEDaS17_S18_EUlS17_E_NS1_11comp_targetILNS1_3genE9ELNS1_11target_archE1100ELNS1_3gpuE3ELNS1_3repE0EEENS1_30default_config_static_selectorELNS0_4arch9wavefront6targetE0EEEvT1_
		.amdhsa_group_segment_fixed_size 33804
		.amdhsa_private_segment_fixed_size 0
		.amdhsa_kernarg_size 136
		.amdhsa_user_sgpr_count 15
		.amdhsa_user_sgpr_dispatch_ptr 0
		.amdhsa_user_sgpr_queue_ptr 0
		.amdhsa_user_sgpr_kernarg_segment_ptr 1
		.amdhsa_user_sgpr_dispatch_id 0
		.amdhsa_user_sgpr_private_segment_size 0
		.amdhsa_wavefront_size32 1
		.amdhsa_uses_dynamic_stack 0
		.amdhsa_enable_private_segment 0
		.amdhsa_system_sgpr_workgroup_id_x 1
		.amdhsa_system_sgpr_workgroup_id_y 0
		.amdhsa_system_sgpr_workgroup_id_z 0
		.amdhsa_system_sgpr_workgroup_info 0
		.amdhsa_system_vgpr_workitem_id 0
		.amdhsa_next_free_vgpr 52
		.amdhsa_next_free_sgpr 38
		.amdhsa_reserve_vcc 1
		.amdhsa_float_round_mode_32 0
		.amdhsa_float_round_mode_16_64 0
		.amdhsa_float_denorm_mode_32 3
		.amdhsa_float_denorm_mode_16_64 3
		.amdhsa_dx10_clamp 1
		.amdhsa_ieee_mode 1
		.amdhsa_fp16_overflow 0
		.amdhsa_workgroup_processor_mode 1
		.amdhsa_memory_ordered 1
		.amdhsa_forward_progress 0
		.amdhsa_shared_vgpr_count 0
		.amdhsa_exception_fp_ieee_invalid_op 0
		.amdhsa_exception_fp_denorm_src 0
		.amdhsa_exception_fp_ieee_div_zero 0
		.amdhsa_exception_fp_ieee_overflow 0
		.amdhsa_exception_fp_ieee_underflow 0
		.amdhsa_exception_fp_ieee_inexact 0
		.amdhsa_exception_int_div_zero 0
	.end_amdhsa_kernel
	.section	.text._ZN7rocprim17ROCPRIM_400000_NS6detail17trampoline_kernelINS0_14default_configENS1_25partition_config_selectorILNS1_17partition_subalgoE8ElNS0_10empty_typeEbEEZZNS1_14partition_implILS5_8ELb0ES3_jPlPS6_PKS6_NS0_5tupleIJS9_S6_EEENSD_IJSA_SA_EEENS0_18inequality_wrapperIZN2at6native12_GLOBAL__N_124unique_dim_cuda_templateIsEESt5tupleIJNSH_6TensorESM_SM_EERKSM_lbbbEUlllE0_EEPmJS6_EEE10hipError_tPvRmT3_T4_T5_T6_T7_T9_mT8_P12ihipStream_tbDpT10_ENKUlT_T0_E_clISt17integral_constantIbLb1EES1C_EEDaS17_S18_EUlS17_E_NS1_11comp_targetILNS1_3genE9ELNS1_11target_archE1100ELNS1_3gpuE3ELNS1_3repE0EEENS1_30default_config_static_selectorELNS0_4arch9wavefront6targetE0EEEvT1_,"axG",@progbits,_ZN7rocprim17ROCPRIM_400000_NS6detail17trampoline_kernelINS0_14default_configENS1_25partition_config_selectorILNS1_17partition_subalgoE8ElNS0_10empty_typeEbEEZZNS1_14partition_implILS5_8ELb0ES3_jPlPS6_PKS6_NS0_5tupleIJS9_S6_EEENSD_IJSA_SA_EEENS0_18inequality_wrapperIZN2at6native12_GLOBAL__N_124unique_dim_cuda_templateIsEESt5tupleIJNSH_6TensorESM_SM_EERKSM_lbbbEUlllE0_EEPmJS6_EEE10hipError_tPvRmT3_T4_T5_T6_T7_T9_mT8_P12ihipStream_tbDpT10_ENKUlT_T0_E_clISt17integral_constantIbLb1EES1C_EEDaS17_S18_EUlS17_E_NS1_11comp_targetILNS1_3genE9ELNS1_11target_archE1100ELNS1_3gpuE3ELNS1_3repE0EEENS1_30default_config_static_selectorELNS0_4arch9wavefront6targetE0EEEvT1_,comdat
.Lfunc_end699:
	.size	_ZN7rocprim17ROCPRIM_400000_NS6detail17trampoline_kernelINS0_14default_configENS1_25partition_config_selectorILNS1_17partition_subalgoE8ElNS0_10empty_typeEbEEZZNS1_14partition_implILS5_8ELb0ES3_jPlPS6_PKS6_NS0_5tupleIJS9_S6_EEENSD_IJSA_SA_EEENS0_18inequality_wrapperIZN2at6native12_GLOBAL__N_124unique_dim_cuda_templateIsEESt5tupleIJNSH_6TensorESM_SM_EERKSM_lbbbEUlllE0_EEPmJS6_EEE10hipError_tPvRmT3_T4_T5_T6_T7_T9_mT8_P12ihipStream_tbDpT10_ENKUlT_T0_E_clISt17integral_constantIbLb1EES1C_EEDaS17_S18_EUlS17_E_NS1_11comp_targetILNS1_3genE9ELNS1_11target_archE1100ELNS1_3gpuE3ELNS1_3repE0EEENS1_30default_config_static_selectorELNS0_4arch9wavefront6targetE0EEEvT1_, .Lfunc_end699-_ZN7rocprim17ROCPRIM_400000_NS6detail17trampoline_kernelINS0_14default_configENS1_25partition_config_selectorILNS1_17partition_subalgoE8ElNS0_10empty_typeEbEEZZNS1_14partition_implILS5_8ELb0ES3_jPlPS6_PKS6_NS0_5tupleIJS9_S6_EEENSD_IJSA_SA_EEENS0_18inequality_wrapperIZN2at6native12_GLOBAL__N_124unique_dim_cuda_templateIsEESt5tupleIJNSH_6TensorESM_SM_EERKSM_lbbbEUlllE0_EEPmJS6_EEE10hipError_tPvRmT3_T4_T5_T6_T7_T9_mT8_P12ihipStream_tbDpT10_ENKUlT_T0_E_clISt17integral_constantIbLb1EES1C_EEDaS17_S18_EUlS17_E_NS1_11comp_targetILNS1_3genE9ELNS1_11target_archE1100ELNS1_3gpuE3ELNS1_3repE0EEENS1_30default_config_static_selectorELNS0_4arch9wavefront6targetE0EEEvT1_
                                        ; -- End function
	.section	.AMDGPU.csdata,"",@progbits
; Kernel info:
; codeLenInByte = 18520
; NumSgprs: 40
; NumVgprs: 52
; ScratchSize: 0
; MemoryBound: 0
; FloatMode: 240
; IeeeMode: 1
; LDSByteSize: 33804 bytes/workgroup (compile time only)
; SGPRBlocks: 4
; VGPRBlocks: 6
; NumSGPRsForWavesPerEU: 40
; NumVGPRsForWavesPerEU: 52
; Occupancy: 12
; WaveLimiterHint : 1
; COMPUTE_PGM_RSRC2:SCRATCH_EN: 0
; COMPUTE_PGM_RSRC2:USER_SGPR: 15
; COMPUTE_PGM_RSRC2:TRAP_HANDLER: 0
; COMPUTE_PGM_RSRC2:TGID_X_EN: 1
; COMPUTE_PGM_RSRC2:TGID_Y_EN: 0
; COMPUTE_PGM_RSRC2:TGID_Z_EN: 0
; COMPUTE_PGM_RSRC2:TIDIG_COMP_CNT: 0
	.section	.text._ZN7rocprim17ROCPRIM_400000_NS6detail17trampoline_kernelINS0_14default_configENS1_25partition_config_selectorILNS1_17partition_subalgoE8ElNS0_10empty_typeEbEEZZNS1_14partition_implILS5_8ELb0ES3_jPlPS6_PKS6_NS0_5tupleIJS9_S6_EEENSD_IJSA_SA_EEENS0_18inequality_wrapperIZN2at6native12_GLOBAL__N_124unique_dim_cuda_templateIsEESt5tupleIJNSH_6TensorESM_SM_EERKSM_lbbbEUlllE0_EEPmJS6_EEE10hipError_tPvRmT3_T4_T5_T6_T7_T9_mT8_P12ihipStream_tbDpT10_ENKUlT_T0_E_clISt17integral_constantIbLb1EES1C_EEDaS17_S18_EUlS17_E_NS1_11comp_targetILNS1_3genE8ELNS1_11target_archE1030ELNS1_3gpuE2ELNS1_3repE0EEENS1_30default_config_static_selectorELNS0_4arch9wavefront6targetE0EEEvT1_,"axG",@progbits,_ZN7rocprim17ROCPRIM_400000_NS6detail17trampoline_kernelINS0_14default_configENS1_25partition_config_selectorILNS1_17partition_subalgoE8ElNS0_10empty_typeEbEEZZNS1_14partition_implILS5_8ELb0ES3_jPlPS6_PKS6_NS0_5tupleIJS9_S6_EEENSD_IJSA_SA_EEENS0_18inequality_wrapperIZN2at6native12_GLOBAL__N_124unique_dim_cuda_templateIsEESt5tupleIJNSH_6TensorESM_SM_EERKSM_lbbbEUlllE0_EEPmJS6_EEE10hipError_tPvRmT3_T4_T5_T6_T7_T9_mT8_P12ihipStream_tbDpT10_ENKUlT_T0_E_clISt17integral_constantIbLb1EES1C_EEDaS17_S18_EUlS17_E_NS1_11comp_targetILNS1_3genE8ELNS1_11target_archE1030ELNS1_3gpuE2ELNS1_3repE0EEENS1_30default_config_static_selectorELNS0_4arch9wavefront6targetE0EEEvT1_,comdat
	.globl	_ZN7rocprim17ROCPRIM_400000_NS6detail17trampoline_kernelINS0_14default_configENS1_25partition_config_selectorILNS1_17partition_subalgoE8ElNS0_10empty_typeEbEEZZNS1_14partition_implILS5_8ELb0ES3_jPlPS6_PKS6_NS0_5tupleIJS9_S6_EEENSD_IJSA_SA_EEENS0_18inequality_wrapperIZN2at6native12_GLOBAL__N_124unique_dim_cuda_templateIsEESt5tupleIJNSH_6TensorESM_SM_EERKSM_lbbbEUlllE0_EEPmJS6_EEE10hipError_tPvRmT3_T4_T5_T6_T7_T9_mT8_P12ihipStream_tbDpT10_ENKUlT_T0_E_clISt17integral_constantIbLb1EES1C_EEDaS17_S18_EUlS17_E_NS1_11comp_targetILNS1_3genE8ELNS1_11target_archE1030ELNS1_3gpuE2ELNS1_3repE0EEENS1_30default_config_static_selectorELNS0_4arch9wavefront6targetE0EEEvT1_ ; -- Begin function _ZN7rocprim17ROCPRIM_400000_NS6detail17trampoline_kernelINS0_14default_configENS1_25partition_config_selectorILNS1_17partition_subalgoE8ElNS0_10empty_typeEbEEZZNS1_14partition_implILS5_8ELb0ES3_jPlPS6_PKS6_NS0_5tupleIJS9_S6_EEENSD_IJSA_SA_EEENS0_18inequality_wrapperIZN2at6native12_GLOBAL__N_124unique_dim_cuda_templateIsEESt5tupleIJNSH_6TensorESM_SM_EERKSM_lbbbEUlllE0_EEPmJS6_EEE10hipError_tPvRmT3_T4_T5_T6_T7_T9_mT8_P12ihipStream_tbDpT10_ENKUlT_T0_E_clISt17integral_constantIbLb1EES1C_EEDaS17_S18_EUlS17_E_NS1_11comp_targetILNS1_3genE8ELNS1_11target_archE1030ELNS1_3gpuE2ELNS1_3repE0EEENS1_30default_config_static_selectorELNS0_4arch9wavefront6targetE0EEEvT1_
	.p2align	8
	.type	_ZN7rocprim17ROCPRIM_400000_NS6detail17trampoline_kernelINS0_14default_configENS1_25partition_config_selectorILNS1_17partition_subalgoE8ElNS0_10empty_typeEbEEZZNS1_14partition_implILS5_8ELb0ES3_jPlPS6_PKS6_NS0_5tupleIJS9_S6_EEENSD_IJSA_SA_EEENS0_18inequality_wrapperIZN2at6native12_GLOBAL__N_124unique_dim_cuda_templateIsEESt5tupleIJNSH_6TensorESM_SM_EERKSM_lbbbEUlllE0_EEPmJS6_EEE10hipError_tPvRmT3_T4_T5_T6_T7_T9_mT8_P12ihipStream_tbDpT10_ENKUlT_T0_E_clISt17integral_constantIbLb1EES1C_EEDaS17_S18_EUlS17_E_NS1_11comp_targetILNS1_3genE8ELNS1_11target_archE1030ELNS1_3gpuE2ELNS1_3repE0EEENS1_30default_config_static_selectorELNS0_4arch9wavefront6targetE0EEEvT1_,@function
_ZN7rocprim17ROCPRIM_400000_NS6detail17trampoline_kernelINS0_14default_configENS1_25partition_config_selectorILNS1_17partition_subalgoE8ElNS0_10empty_typeEbEEZZNS1_14partition_implILS5_8ELb0ES3_jPlPS6_PKS6_NS0_5tupleIJS9_S6_EEENSD_IJSA_SA_EEENS0_18inequality_wrapperIZN2at6native12_GLOBAL__N_124unique_dim_cuda_templateIsEESt5tupleIJNSH_6TensorESM_SM_EERKSM_lbbbEUlllE0_EEPmJS6_EEE10hipError_tPvRmT3_T4_T5_T6_T7_T9_mT8_P12ihipStream_tbDpT10_ENKUlT_T0_E_clISt17integral_constantIbLb1EES1C_EEDaS17_S18_EUlS17_E_NS1_11comp_targetILNS1_3genE8ELNS1_11target_archE1030ELNS1_3gpuE2ELNS1_3repE0EEENS1_30default_config_static_selectorELNS0_4arch9wavefront6targetE0EEEvT1_: ; @_ZN7rocprim17ROCPRIM_400000_NS6detail17trampoline_kernelINS0_14default_configENS1_25partition_config_selectorILNS1_17partition_subalgoE8ElNS0_10empty_typeEbEEZZNS1_14partition_implILS5_8ELb0ES3_jPlPS6_PKS6_NS0_5tupleIJS9_S6_EEENSD_IJSA_SA_EEENS0_18inequality_wrapperIZN2at6native12_GLOBAL__N_124unique_dim_cuda_templateIsEESt5tupleIJNSH_6TensorESM_SM_EERKSM_lbbbEUlllE0_EEPmJS6_EEE10hipError_tPvRmT3_T4_T5_T6_T7_T9_mT8_P12ihipStream_tbDpT10_ENKUlT_T0_E_clISt17integral_constantIbLb1EES1C_EEDaS17_S18_EUlS17_E_NS1_11comp_targetILNS1_3genE8ELNS1_11target_archE1030ELNS1_3gpuE2ELNS1_3repE0EEENS1_30default_config_static_selectorELNS0_4arch9wavefront6targetE0EEEvT1_
; %bb.0:
	.section	.rodata,"a",@progbits
	.p2align	6, 0x0
	.amdhsa_kernel _ZN7rocprim17ROCPRIM_400000_NS6detail17trampoline_kernelINS0_14default_configENS1_25partition_config_selectorILNS1_17partition_subalgoE8ElNS0_10empty_typeEbEEZZNS1_14partition_implILS5_8ELb0ES3_jPlPS6_PKS6_NS0_5tupleIJS9_S6_EEENSD_IJSA_SA_EEENS0_18inequality_wrapperIZN2at6native12_GLOBAL__N_124unique_dim_cuda_templateIsEESt5tupleIJNSH_6TensorESM_SM_EERKSM_lbbbEUlllE0_EEPmJS6_EEE10hipError_tPvRmT3_T4_T5_T6_T7_T9_mT8_P12ihipStream_tbDpT10_ENKUlT_T0_E_clISt17integral_constantIbLb1EES1C_EEDaS17_S18_EUlS17_E_NS1_11comp_targetILNS1_3genE8ELNS1_11target_archE1030ELNS1_3gpuE2ELNS1_3repE0EEENS1_30default_config_static_selectorELNS0_4arch9wavefront6targetE0EEEvT1_
		.amdhsa_group_segment_fixed_size 0
		.amdhsa_private_segment_fixed_size 0
		.amdhsa_kernarg_size 136
		.amdhsa_user_sgpr_count 15
		.amdhsa_user_sgpr_dispatch_ptr 0
		.amdhsa_user_sgpr_queue_ptr 0
		.amdhsa_user_sgpr_kernarg_segment_ptr 1
		.amdhsa_user_sgpr_dispatch_id 0
		.amdhsa_user_sgpr_private_segment_size 0
		.amdhsa_wavefront_size32 1
		.amdhsa_uses_dynamic_stack 0
		.amdhsa_enable_private_segment 0
		.amdhsa_system_sgpr_workgroup_id_x 1
		.amdhsa_system_sgpr_workgroup_id_y 0
		.amdhsa_system_sgpr_workgroup_id_z 0
		.amdhsa_system_sgpr_workgroup_info 0
		.amdhsa_system_vgpr_workitem_id 0
		.amdhsa_next_free_vgpr 1
		.amdhsa_next_free_sgpr 1
		.amdhsa_reserve_vcc 0
		.amdhsa_float_round_mode_32 0
		.amdhsa_float_round_mode_16_64 0
		.amdhsa_float_denorm_mode_32 3
		.amdhsa_float_denorm_mode_16_64 3
		.amdhsa_dx10_clamp 1
		.amdhsa_ieee_mode 1
		.amdhsa_fp16_overflow 0
		.amdhsa_workgroup_processor_mode 1
		.amdhsa_memory_ordered 1
		.amdhsa_forward_progress 0
		.amdhsa_shared_vgpr_count 0
		.amdhsa_exception_fp_ieee_invalid_op 0
		.amdhsa_exception_fp_denorm_src 0
		.amdhsa_exception_fp_ieee_div_zero 0
		.amdhsa_exception_fp_ieee_overflow 0
		.amdhsa_exception_fp_ieee_underflow 0
		.amdhsa_exception_fp_ieee_inexact 0
		.amdhsa_exception_int_div_zero 0
	.end_amdhsa_kernel
	.section	.text._ZN7rocprim17ROCPRIM_400000_NS6detail17trampoline_kernelINS0_14default_configENS1_25partition_config_selectorILNS1_17partition_subalgoE8ElNS0_10empty_typeEbEEZZNS1_14partition_implILS5_8ELb0ES3_jPlPS6_PKS6_NS0_5tupleIJS9_S6_EEENSD_IJSA_SA_EEENS0_18inequality_wrapperIZN2at6native12_GLOBAL__N_124unique_dim_cuda_templateIsEESt5tupleIJNSH_6TensorESM_SM_EERKSM_lbbbEUlllE0_EEPmJS6_EEE10hipError_tPvRmT3_T4_T5_T6_T7_T9_mT8_P12ihipStream_tbDpT10_ENKUlT_T0_E_clISt17integral_constantIbLb1EES1C_EEDaS17_S18_EUlS17_E_NS1_11comp_targetILNS1_3genE8ELNS1_11target_archE1030ELNS1_3gpuE2ELNS1_3repE0EEENS1_30default_config_static_selectorELNS0_4arch9wavefront6targetE0EEEvT1_,"axG",@progbits,_ZN7rocprim17ROCPRIM_400000_NS6detail17trampoline_kernelINS0_14default_configENS1_25partition_config_selectorILNS1_17partition_subalgoE8ElNS0_10empty_typeEbEEZZNS1_14partition_implILS5_8ELb0ES3_jPlPS6_PKS6_NS0_5tupleIJS9_S6_EEENSD_IJSA_SA_EEENS0_18inequality_wrapperIZN2at6native12_GLOBAL__N_124unique_dim_cuda_templateIsEESt5tupleIJNSH_6TensorESM_SM_EERKSM_lbbbEUlllE0_EEPmJS6_EEE10hipError_tPvRmT3_T4_T5_T6_T7_T9_mT8_P12ihipStream_tbDpT10_ENKUlT_T0_E_clISt17integral_constantIbLb1EES1C_EEDaS17_S18_EUlS17_E_NS1_11comp_targetILNS1_3genE8ELNS1_11target_archE1030ELNS1_3gpuE2ELNS1_3repE0EEENS1_30default_config_static_selectorELNS0_4arch9wavefront6targetE0EEEvT1_,comdat
.Lfunc_end700:
	.size	_ZN7rocprim17ROCPRIM_400000_NS6detail17trampoline_kernelINS0_14default_configENS1_25partition_config_selectorILNS1_17partition_subalgoE8ElNS0_10empty_typeEbEEZZNS1_14partition_implILS5_8ELb0ES3_jPlPS6_PKS6_NS0_5tupleIJS9_S6_EEENSD_IJSA_SA_EEENS0_18inequality_wrapperIZN2at6native12_GLOBAL__N_124unique_dim_cuda_templateIsEESt5tupleIJNSH_6TensorESM_SM_EERKSM_lbbbEUlllE0_EEPmJS6_EEE10hipError_tPvRmT3_T4_T5_T6_T7_T9_mT8_P12ihipStream_tbDpT10_ENKUlT_T0_E_clISt17integral_constantIbLb1EES1C_EEDaS17_S18_EUlS17_E_NS1_11comp_targetILNS1_3genE8ELNS1_11target_archE1030ELNS1_3gpuE2ELNS1_3repE0EEENS1_30default_config_static_selectorELNS0_4arch9wavefront6targetE0EEEvT1_, .Lfunc_end700-_ZN7rocprim17ROCPRIM_400000_NS6detail17trampoline_kernelINS0_14default_configENS1_25partition_config_selectorILNS1_17partition_subalgoE8ElNS0_10empty_typeEbEEZZNS1_14partition_implILS5_8ELb0ES3_jPlPS6_PKS6_NS0_5tupleIJS9_S6_EEENSD_IJSA_SA_EEENS0_18inequality_wrapperIZN2at6native12_GLOBAL__N_124unique_dim_cuda_templateIsEESt5tupleIJNSH_6TensorESM_SM_EERKSM_lbbbEUlllE0_EEPmJS6_EEE10hipError_tPvRmT3_T4_T5_T6_T7_T9_mT8_P12ihipStream_tbDpT10_ENKUlT_T0_E_clISt17integral_constantIbLb1EES1C_EEDaS17_S18_EUlS17_E_NS1_11comp_targetILNS1_3genE8ELNS1_11target_archE1030ELNS1_3gpuE2ELNS1_3repE0EEENS1_30default_config_static_selectorELNS0_4arch9wavefront6targetE0EEEvT1_
                                        ; -- End function
	.section	.AMDGPU.csdata,"",@progbits
; Kernel info:
; codeLenInByte = 0
; NumSgprs: 0
; NumVgprs: 0
; ScratchSize: 0
; MemoryBound: 0
; FloatMode: 240
; IeeeMode: 1
; LDSByteSize: 0 bytes/workgroup (compile time only)
; SGPRBlocks: 0
; VGPRBlocks: 0
; NumSGPRsForWavesPerEU: 1
; NumVGPRsForWavesPerEU: 1
; Occupancy: 16
; WaveLimiterHint : 0
; COMPUTE_PGM_RSRC2:SCRATCH_EN: 0
; COMPUTE_PGM_RSRC2:USER_SGPR: 15
; COMPUTE_PGM_RSRC2:TRAP_HANDLER: 0
; COMPUTE_PGM_RSRC2:TGID_X_EN: 1
; COMPUTE_PGM_RSRC2:TGID_Y_EN: 0
; COMPUTE_PGM_RSRC2:TGID_Z_EN: 0
; COMPUTE_PGM_RSRC2:TIDIG_COMP_CNT: 0
	.section	.text._ZN7rocprim17ROCPRIM_400000_NS6detail17trampoline_kernelINS0_14default_configENS1_25partition_config_selectorILNS1_17partition_subalgoE8ElNS0_10empty_typeEbEEZZNS1_14partition_implILS5_8ELb0ES3_jPlPS6_PKS6_NS0_5tupleIJS9_S6_EEENSD_IJSA_SA_EEENS0_18inequality_wrapperIZN2at6native12_GLOBAL__N_124unique_dim_cuda_templateIsEESt5tupleIJNSH_6TensorESM_SM_EERKSM_lbbbEUlllE0_EEPmJS6_EEE10hipError_tPvRmT3_T4_T5_T6_T7_T9_mT8_P12ihipStream_tbDpT10_ENKUlT_T0_E_clISt17integral_constantIbLb1EES1B_IbLb0EEEEDaS17_S18_EUlS17_E_NS1_11comp_targetILNS1_3genE0ELNS1_11target_archE4294967295ELNS1_3gpuE0ELNS1_3repE0EEENS1_30default_config_static_selectorELNS0_4arch9wavefront6targetE0EEEvT1_,"axG",@progbits,_ZN7rocprim17ROCPRIM_400000_NS6detail17trampoline_kernelINS0_14default_configENS1_25partition_config_selectorILNS1_17partition_subalgoE8ElNS0_10empty_typeEbEEZZNS1_14partition_implILS5_8ELb0ES3_jPlPS6_PKS6_NS0_5tupleIJS9_S6_EEENSD_IJSA_SA_EEENS0_18inequality_wrapperIZN2at6native12_GLOBAL__N_124unique_dim_cuda_templateIsEESt5tupleIJNSH_6TensorESM_SM_EERKSM_lbbbEUlllE0_EEPmJS6_EEE10hipError_tPvRmT3_T4_T5_T6_T7_T9_mT8_P12ihipStream_tbDpT10_ENKUlT_T0_E_clISt17integral_constantIbLb1EES1B_IbLb0EEEEDaS17_S18_EUlS17_E_NS1_11comp_targetILNS1_3genE0ELNS1_11target_archE4294967295ELNS1_3gpuE0ELNS1_3repE0EEENS1_30default_config_static_selectorELNS0_4arch9wavefront6targetE0EEEvT1_,comdat
	.globl	_ZN7rocprim17ROCPRIM_400000_NS6detail17trampoline_kernelINS0_14default_configENS1_25partition_config_selectorILNS1_17partition_subalgoE8ElNS0_10empty_typeEbEEZZNS1_14partition_implILS5_8ELb0ES3_jPlPS6_PKS6_NS0_5tupleIJS9_S6_EEENSD_IJSA_SA_EEENS0_18inequality_wrapperIZN2at6native12_GLOBAL__N_124unique_dim_cuda_templateIsEESt5tupleIJNSH_6TensorESM_SM_EERKSM_lbbbEUlllE0_EEPmJS6_EEE10hipError_tPvRmT3_T4_T5_T6_T7_T9_mT8_P12ihipStream_tbDpT10_ENKUlT_T0_E_clISt17integral_constantIbLb1EES1B_IbLb0EEEEDaS17_S18_EUlS17_E_NS1_11comp_targetILNS1_3genE0ELNS1_11target_archE4294967295ELNS1_3gpuE0ELNS1_3repE0EEENS1_30default_config_static_selectorELNS0_4arch9wavefront6targetE0EEEvT1_ ; -- Begin function _ZN7rocprim17ROCPRIM_400000_NS6detail17trampoline_kernelINS0_14default_configENS1_25partition_config_selectorILNS1_17partition_subalgoE8ElNS0_10empty_typeEbEEZZNS1_14partition_implILS5_8ELb0ES3_jPlPS6_PKS6_NS0_5tupleIJS9_S6_EEENSD_IJSA_SA_EEENS0_18inequality_wrapperIZN2at6native12_GLOBAL__N_124unique_dim_cuda_templateIsEESt5tupleIJNSH_6TensorESM_SM_EERKSM_lbbbEUlllE0_EEPmJS6_EEE10hipError_tPvRmT3_T4_T5_T6_T7_T9_mT8_P12ihipStream_tbDpT10_ENKUlT_T0_E_clISt17integral_constantIbLb1EES1B_IbLb0EEEEDaS17_S18_EUlS17_E_NS1_11comp_targetILNS1_3genE0ELNS1_11target_archE4294967295ELNS1_3gpuE0ELNS1_3repE0EEENS1_30default_config_static_selectorELNS0_4arch9wavefront6targetE0EEEvT1_
	.p2align	8
	.type	_ZN7rocprim17ROCPRIM_400000_NS6detail17trampoline_kernelINS0_14default_configENS1_25partition_config_selectorILNS1_17partition_subalgoE8ElNS0_10empty_typeEbEEZZNS1_14partition_implILS5_8ELb0ES3_jPlPS6_PKS6_NS0_5tupleIJS9_S6_EEENSD_IJSA_SA_EEENS0_18inequality_wrapperIZN2at6native12_GLOBAL__N_124unique_dim_cuda_templateIsEESt5tupleIJNSH_6TensorESM_SM_EERKSM_lbbbEUlllE0_EEPmJS6_EEE10hipError_tPvRmT3_T4_T5_T6_T7_T9_mT8_P12ihipStream_tbDpT10_ENKUlT_T0_E_clISt17integral_constantIbLb1EES1B_IbLb0EEEEDaS17_S18_EUlS17_E_NS1_11comp_targetILNS1_3genE0ELNS1_11target_archE4294967295ELNS1_3gpuE0ELNS1_3repE0EEENS1_30default_config_static_selectorELNS0_4arch9wavefront6targetE0EEEvT1_,@function
_ZN7rocprim17ROCPRIM_400000_NS6detail17trampoline_kernelINS0_14default_configENS1_25partition_config_selectorILNS1_17partition_subalgoE8ElNS0_10empty_typeEbEEZZNS1_14partition_implILS5_8ELb0ES3_jPlPS6_PKS6_NS0_5tupleIJS9_S6_EEENSD_IJSA_SA_EEENS0_18inequality_wrapperIZN2at6native12_GLOBAL__N_124unique_dim_cuda_templateIsEESt5tupleIJNSH_6TensorESM_SM_EERKSM_lbbbEUlllE0_EEPmJS6_EEE10hipError_tPvRmT3_T4_T5_T6_T7_T9_mT8_P12ihipStream_tbDpT10_ENKUlT_T0_E_clISt17integral_constantIbLb1EES1B_IbLb0EEEEDaS17_S18_EUlS17_E_NS1_11comp_targetILNS1_3genE0ELNS1_11target_archE4294967295ELNS1_3gpuE0ELNS1_3repE0EEENS1_30default_config_static_selectorELNS0_4arch9wavefront6targetE0EEEvT1_: ; @_ZN7rocprim17ROCPRIM_400000_NS6detail17trampoline_kernelINS0_14default_configENS1_25partition_config_selectorILNS1_17partition_subalgoE8ElNS0_10empty_typeEbEEZZNS1_14partition_implILS5_8ELb0ES3_jPlPS6_PKS6_NS0_5tupleIJS9_S6_EEENSD_IJSA_SA_EEENS0_18inequality_wrapperIZN2at6native12_GLOBAL__N_124unique_dim_cuda_templateIsEESt5tupleIJNSH_6TensorESM_SM_EERKSM_lbbbEUlllE0_EEPmJS6_EEE10hipError_tPvRmT3_T4_T5_T6_T7_T9_mT8_P12ihipStream_tbDpT10_ENKUlT_T0_E_clISt17integral_constantIbLb1EES1B_IbLb0EEEEDaS17_S18_EUlS17_E_NS1_11comp_targetILNS1_3genE0ELNS1_11target_archE4294967295ELNS1_3gpuE0ELNS1_3repE0EEENS1_30default_config_static_selectorELNS0_4arch9wavefront6targetE0EEEvT1_
; %bb.0:
	.section	.rodata,"a",@progbits
	.p2align	6, 0x0
	.amdhsa_kernel _ZN7rocprim17ROCPRIM_400000_NS6detail17trampoline_kernelINS0_14default_configENS1_25partition_config_selectorILNS1_17partition_subalgoE8ElNS0_10empty_typeEbEEZZNS1_14partition_implILS5_8ELb0ES3_jPlPS6_PKS6_NS0_5tupleIJS9_S6_EEENSD_IJSA_SA_EEENS0_18inequality_wrapperIZN2at6native12_GLOBAL__N_124unique_dim_cuda_templateIsEESt5tupleIJNSH_6TensorESM_SM_EERKSM_lbbbEUlllE0_EEPmJS6_EEE10hipError_tPvRmT3_T4_T5_T6_T7_T9_mT8_P12ihipStream_tbDpT10_ENKUlT_T0_E_clISt17integral_constantIbLb1EES1B_IbLb0EEEEDaS17_S18_EUlS17_E_NS1_11comp_targetILNS1_3genE0ELNS1_11target_archE4294967295ELNS1_3gpuE0ELNS1_3repE0EEENS1_30default_config_static_selectorELNS0_4arch9wavefront6targetE0EEEvT1_
		.amdhsa_group_segment_fixed_size 0
		.amdhsa_private_segment_fixed_size 0
		.amdhsa_kernarg_size 120
		.amdhsa_user_sgpr_count 15
		.amdhsa_user_sgpr_dispatch_ptr 0
		.amdhsa_user_sgpr_queue_ptr 0
		.amdhsa_user_sgpr_kernarg_segment_ptr 1
		.amdhsa_user_sgpr_dispatch_id 0
		.amdhsa_user_sgpr_private_segment_size 0
		.amdhsa_wavefront_size32 1
		.amdhsa_uses_dynamic_stack 0
		.amdhsa_enable_private_segment 0
		.amdhsa_system_sgpr_workgroup_id_x 1
		.amdhsa_system_sgpr_workgroup_id_y 0
		.amdhsa_system_sgpr_workgroup_id_z 0
		.amdhsa_system_sgpr_workgroup_info 0
		.amdhsa_system_vgpr_workitem_id 0
		.amdhsa_next_free_vgpr 1
		.amdhsa_next_free_sgpr 1
		.amdhsa_reserve_vcc 0
		.amdhsa_float_round_mode_32 0
		.amdhsa_float_round_mode_16_64 0
		.amdhsa_float_denorm_mode_32 3
		.amdhsa_float_denorm_mode_16_64 3
		.amdhsa_dx10_clamp 1
		.amdhsa_ieee_mode 1
		.amdhsa_fp16_overflow 0
		.amdhsa_workgroup_processor_mode 1
		.amdhsa_memory_ordered 1
		.amdhsa_forward_progress 0
		.amdhsa_shared_vgpr_count 0
		.amdhsa_exception_fp_ieee_invalid_op 0
		.amdhsa_exception_fp_denorm_src 0
		.amdhsa_exception_fp_ieee_div_zero 0
		.amdhsa_exception_fp_ieee_overflow 0
		.amdhsa_exception_fp_ieee_underflow 0
		.amdhsa_exception_fp_ieee_inexact 0
		.amdhsa_exception_int_div_zero 0
	.end_amdhsa_kernel
	.section	.text._ZN7rocprim17ROCPRIM_400000_NS6detail17trampoline_kernelINS0_14default_configENS1_25partition_config_selectorILNS1_17partition_subalgoE8ElNS0_10empty_typeEbEEZZNS1_14partition_implILS5_8ELb0ES3_jPlPS6_PKS6_NS0_5tupleIJS9_S6_EEENSD_IJSA_SA_EEENS0_18inequality_wrapperIZN2at6native12_GLOBAL__N_124unique_dim_cuda_templateIsEESt5tupleIJNSH_6TensorESM_SM_EERKSM_lbbbEUlllE0_EEPmJS6_EEE10hipError_tPvRmT3_T4_T5_T6_T7_T9_mT8_P12ihipStream_tbDpT10_ENKUlT_T0_E_clISt17integral_constantIbLb1EES1B_IbLb0EEEEDaS17_S18_EUlS17_E_NS1_11comp_targetILNS1_3genE0ELNS1_11target_archE4294967295ELNS1_3gpuE0ELNS1_3repE0EEENS1_30default_config_static_selectorELNS0_4arch9wavefront6targetE0EEEvT1_,"axG",@progbits,_ZN7rocprim17ROCPRIM_400000_NS6detail17trampoline_kernelINS0_14default_configENS1_25partition_config_selectorILNS1_17partition_subalgoE8ElNS0_10empty_typeEbEEZZNS1_14partition_implILS5_8ELb0ES3_jPlPS6_PKS6_NS0_5tupleIJS9_S6_EEENSD_IJSA_SA_EEENS0_18inequality_wrapperIZN2at6native12_GLOBAL__N_124unique_dim_cuda_templateIsEESt5tupleIJNSH_6TensorESM_SM_EERKSM_lbbbEUlllE0_EEPmJS6_EEE10hipError_tPvRmT3_T4_T5_T6_T7_T9_mT8_P12ihipStream_tbDpT10_ENKUlT_T0_E_clISt17integral_constantIbLb1EES1B_IbLb0EEEEDaS17_S18_EUlS17_E_NS1_11comp_targetILNS1_3genE0ELNS1_11target_archE4294967295ELNS1_3gpuE0ELNS1_3repE0EEENS1_30default_config_static_selectorELNS0_4arch9wavefront6targetE0EEEvT1_,comdat
.Lfunc_end701:
	.size	_ZN7rocprim17ROCPRIM_400000_NS6detail17trampoline_kernelINS0_14default_configENS1_25partition_config_selectorILNS1_17partition_subalgoE8ElNS0_10empty_typeEbEEZZNS1_14partition_implILS5_8ELb0ES3_jPlPS6_PKS6_NS0_5tupleIJS9_S6_EEENSD_IJSA_SA_EEENS0_18inequality_wrapperIZN2at6native12_GLOBAL__N_124unique_dim_cuda_templateIsEESt5tupleIJNSH_6TensorESM_SM_EERKSM_lbbbEUlllE0_EEPmJS6_EEE10hipError_tPvRmT3_T4_T5_T6_T7_T9_mT8_P12ihipStream_tbDpT10_ENKUlT_T0_E_clISt17integral_constantIbLb1EES1B_IbLb0EEEEDaS17_S18_EUlS17_E_NS1_11comp_targetILNS1_3genE0ELNS1_11target_archE4294967295ELNS1_3gpuE0ELNS1_3repE0EEENS1_30default_config_static_selectorELNS0_4arch9wavefront6targetE0EEEvT1_, .Lfunc_end701-_ZN7rocprim17ROCPRIM_400000_NS6detail17trampoline_kernelINS0_14default_configENS1_25partition_config_selectorILNS1_17partition_subalgoE8ElNS0_10empty_typeEbEEZZNS1_14partition_implILS5_8ELb0ES3_jPlPS6_PKS6_NS0_5tupleIJS9_S6_EEENSD_IJSA_SA_EEENS0_18inequality_wrapperIZN2at6native12_GLOBAL__N_124unique_dim_cuda_templateIsEESt5tupleIJNSH_6TensorESM_SM_EERKSM_lbbbEUlllE0_EEPmJS6_EEE10hipError_tPvRmT3_T4_T5_T6_T7_T9_mT8_P12ihipStream_tbDpT10_ENKUlT_T0_E_clISt17integral_constantIbLb1EES1B_IbLb0EEEEDaS17_S18_EUlS17_E_NS1_11comp_targetILNS1_3genE0ELNS1_11target_archE4294967295ELNS1_3gpuE0ELNS1_3repE0EEENS1_30default_config_static_selectorELNS0_4arch9wavefront6targetE0EEEvT1_
                                        ; -- End function
	.section	.AMDGPU.csdata,"",@progbits
; Kernel info:
; codeLenInByte = 0
; NumSgprs: 0
; NumVgprs: 0
; ScratchSize: 0
; MemoryBound: 0
; FloatMode: 240
; IeeeMode: 1
; LDSByteSize: 0 bytes/workgroup (compile time only)
; SGPRBlocks: 0
; VGPRBlocks: 0
; NumSGPRsForWavesPerEU: 1
; NumVGPRsForWavesPerEU: 1
; Occupancy: 16
; WaveLimiterHint : 0
; COMPUTE_PGM_RSRC2:SCRATCH_EN: 0
; COMPUTE_PGM_RSRC2:USER_SGPR: 15
; COMPUTE_PGM_RSRC2:TRAP_HANDLER: 0
; COMPUTE_PGM_RSRC2:TGID_X_EN: 1
; COMPUTE_PGM_RSRC2:TGID_Y_EN: 0
; COMPUTE_PGM_RSRC2:TGID_Z_EN: 0
; COMPUTE_PGM_RSRC2:TIDIG_COMP_CNT: 0
	.section	.text._ZN7rocprim17ROCPRIM_400000_NS6detail17trampoline_kernelINS0_14default_configENS1_25partition_config_selectorILNS1_17partition_subalgoE8ElNS0_10empty_typeEbEEZZNS1_14partition_implILS5_8ELb0ES3_jPlPS6_PKS6_NS0_5tupleIJS9_S6_EEENSD_IJSA_SA_EEENS0_18inequality_wrapperIZN2at6native12_GLOBAL__N_124unique_dim_cuda_templateIsEESt5tupleIJNSH_6TensorESM_SM_EERKSM_lbbbEUlllE0_EEPmJS6_EEE10hipError_tPvRmT3_T4_T5_T6_T7_T9_mT8_P12ihipStream_tbDpT10_ENKUlT_T0_E_clISt17integral_constantIbLb1EES1B_IbLb0EEEEDaS17_S18_EUlS17_E_NS1_11comp_targetILNS1_3genE5ELNS1_11target_archE942ELNS1_3gpuE9ELNS1_3repE0EEENS1_30default_config_static_selectorELNS0_4arch9wavefront6targetE0EEEvT1_,"axG",@progbits,_ZN7rocprim17ROCPRIM_400000_NS6detail17trampoline_kernelINS0_14default_configENS1_25partition_config_selectorILNS1_17partition_subalgoE8ElNS0_10empty_typeEbEEZZNS1_14partition_implILS5_8ELb0ES3_jPlPS6_PKS6_NS0_5tupleIJS9_S6_EEENSD_IJSA_SA_EEENS0_18inequality_wrapperIZN2at6native12_GLOBAL__N_124unique_dim_cuda_templateIsEESt5tupleIJNSH_6TensorESM_SM_EERKSM_lbbbEUlllE0_EEPmJS6_EEE10hipError_tPvRmT3_T4_T5_T6_T7_T9_mT8_P12ihipStream_tbDpT10_ENKUlT_T0_E_clISt17integral_constantIbLb1EES1B_IbLb0EEEEDaS17_S18_EUlS17_E_NS1_11comp_targetILNS1_3genE5ELNS1_11target_archE942ELNS1_3gpuE9ELNS1_3repE0EEENS1_30default_config_static_selectorELNS0_4arch9wavefront6targetE0EEEvT1_,comdat
	.globl	_ZN7rocprim17ROCPRIM_400000_NS6detail17trampoline_kernelINS0_14default_configENS1_25partition_config_selectorILNS1_17partition_subalgoE8ElNS0_10empty_typeEbEEZZNS1_14partition_implILS5_8ELb0ES3_jPlPS6_PKS6_NS0_5tupleIJS9_S6_EEENSD_IJSA_SA_EEENS0_18inequality_wrapperIZN2at6native12_GLOBAL__N_124unique_dim_cuda_templateIsEESt5tupleIJNSH_6TensorESM_SM_EERKSM_lbbbEUlllE0_EEPmJS6_EEE10hipError_tPvRmT3_T4_T5_T6_T7_T9_mT8_P12ihipStream_tbDpT10_ENKUlT_T0_E_clISt17integral_constantIbLb1EES1B_IbLb0EEEEDaS17_S18_EUlS17_E_NS1_11comp_targetILNS1_3genE5ELNS1_11target_archE942ELNS1_3gpuE9ELNS1_3repE0EEENS1_30default_config_static_selectorELNS0_4arch9wavefront6targetE0EEEvT1_ ; -- Begin function _ZN7rocprim17ROCPRIM_400000_NS6detail17trampoline_kernelINS0_14default_configENS1_25partition_config_selectorILNS1_17partition_subalgoE8ElNS0_10empty_typeEbEEZZNS1_14partition_implILS5_8ELb0ES3_jPlPS6_PKS6_NS0_5tupleIJS9_S6_EEENSD_IJSA_SA_EEENS0_18inequality_wrapperIZN2at6native12_GLOBAL__N_124unique_dim_cuda_templateIsEESt5tupleIJNSH_6TensorESM_SM_EERKSM_lbbbEUlllE0_EEPmJS6_EEE10hipError_tPvRmT3_T4_T5_T6_T7_T9_mT8_P12ihipStream_tbDpT10_ENKUlT_T0_E_clISt17integral_constantIbLb1EES1B_IbLb0EEEEDaS17_S18_EUlS17_E_NS1_11comp_targetILNS1_3genE5ELNS1_11target_archE942ELNS1_3gpuE9ELNS1_3repE0EEENS1_30default_config_static_selectorELNS0_4arch9wavefront6targetE0EEEvT1_
	.p2align	8
	.type	_ZN7rocprim17ROCPRIM_400000_NS6detail17trampoline_kernelINS0_14default_configENS1_25partition_config_selectorILNS1_17partition_subalgoE8ElNS0_10empty_typeEbEEZZNS1_14partition_implILS5_8ELb0ES3_jPlPS6_PKS6_NS0_5tupleIJS9_S6_EEENSD_IJSA_SA_EEENS0_18inequality_wrapperIZN2at6native12_GLOBAL__N_124unique_dim_cuda_templateIsEESt5tupleIJNSH_6TensorESM_SM_EERKSM_lbbbEUlllE0_EEPmJS6_EEE10hipError_tPvRmT3_T4_T5_T6_T7_T9_mT8_P12ihipStream_tbDpT10_ENKUlT_T0_E_clISt17integral_constantIbLb1EES1B_IbLb0EEEEDaS17_S18_EUlS17_E_NS1_11comp_targetILNS1_3genE5ELNS1_11target_archE942ELNS1_3gpuE9ELNS1_3repE0EEENS1_30default_config_static_selectorELNS0_4arch9wavefront6targetE0EEEvT1_,@function
_ZN7rocprim17ROCPRIM_400000_NS6detail17trampoline_kernelINS0_14default_configENS1_25partition_config_selectorILNS1_17partition_subalgoE8ElNS0_10empty_typeEbEEZZNS1_14partition_implILS5_8ELb0ES3_jPlPS6_PKS6_NS0_5tupleIJS9_S6_EEENSD_IJSA_SA_EEENS0_18inequality_wrapperIZN2at6native12_GLOBAL__N_124unique_dim_cuda_templateIsEESt5tupleIJNSH_6TensorESM_SM_EERKSM_lbbbEUlllE0_EEPmJS6_EEE10hipError_tPvRmT3_T4_T5_T6_T7_T9_mT8_P12ihipStream_tbDpT10_ENKUlT_T0_E_clISt17integral_constantIbLb1EES1B_IbLb0EEEEDaS17_S18_EUlS17_E_NS1_11comp_targetILNS1_3genE5ELNS1_11target_archE942ELNS1_3gpuE9ELNS1_3repE0EEENS1_30default_config_static_selectorELNS0_4arch9wavefront6targetE0EEEvT1_: ; @_ZN7rocprim17ROCPRIM_400000_NS6detail17trampoline_kernelINS0_14default_configENS1_25partition_config_selectorILNS1_17partition_subalgoE8ElNS0_10empty_typeEbEEZZNS1_14partition_implILS5_8ELb0ES3_jPlPS6_PKS6_NS0_5tupleIJS9_S6_EEENSD_IJSA_SA_EEENS0_18inequality_wrapperIZN2at6native12_GLOBAL__N_124unique_dim_cuda_templateIsEESt5tupleIJNSH_6TensorESM_SM_EERKSM_lbbbEUlllE0_EEPmJS6_EEE10hipError_tPvRmT3_T4_T5_T6_T7_T9_mT8_P12ihipStream_tbDpT10_ENKUlT_T0_E_clISt17integral_constantIbLb1EES1B_IbLb0EEEEDaS17_S18_EUlS17_E_NS1_11comp_targetILNS1_3genE5ELNS1_11target_archE942ELNS1_3gpuE9ELNS1_3repE0EEENS1_30default_config_static_selectorELNS0_4arch9wavefront6targetE0EEEvT1_
; %bb.0:
	.section	.rodata,"a",@progbits
	.p2align	6, 0x0
	.amdhsa_kernel _ZN7rocprim17ROCPRIM_400000_NS6detail17trampoline_kernelINS0_14default_configENS1_25partition_config_selectorILNS1_17partition_subalgoE8ElNS0_10empty_typeEbEEZZNS1_14partition_implILS5_8ELb0ES3_jPlPS6_PKS6_NS0_5tupleIJS9_S6_EEENSD_IJSA_SA_EEENS0_18inequality_wrapperIZN2at6native12_GLOBAL__N_124unique_dim_cuda_templateIsEESt5tupleIJNSH_6TensorESM_SM_EERKSM_lbbbEUlllE0_EEPmJS6_EEE10hipError_tPvRmT3_T4_T5_T6_T7_T9_mT8_P12ihipStream_tbDpT10_ENKUlT_T0_E_clISt17integral_constantIbLb1EES1B_IbLb0EEEEDaS17_S18_EUlS17_E_NS1_11comp_targetILNS1_3genE5ELNS1_11target_archE942ELNS1_3gpuE9ELNS1_3repE0EEENS1_30default_config_static_selectorELNS0_4arch9wavefront6targetE0EEEvT1_
		.amdhsa_group_segment_fixed_size 0
		.amdhsa_private_segment_fixed_size 0
		.amdhsa_kernarg_size 120
		.amdhsa_user_sgpr_count 15
		.amdhsa_user_sgpr_dispatch_ptr 0
		.amdhsa_user_sgpr_queue_ptr 0
		.amdhsa_user_sgpr_kernarg_segment_ptr 1
		.amdhsa_user_sgpr_dispatch_id 0
		.amdhsa_user_sgpr_private_segment_size 0
		.amdhsa_wavefront_size32 1
		.amdhsa_uses_dynamic_stack 0
		.amdhsa_enable_private_segment 0
		.amdhsa_system_sgpr_workgroup_id_x 1
		.amdhsa_system_sgpr_workgroup_id_y 0
		.amdhsa_system_sgpr_workgroup_id_z 0
		.amdhsa_system_sgpr_workgroup_info 0
		.amdhsa_system_vgpr_workitem_id 0
		.amdhsa_next_free_vgpr 1
		.amdhsa_next_free_sgpr 1
		.amdhsa_reserve_vcc 0
		.amdhsa_float_round_mode_32 0
		.amdhsa_float_round_mode_16_64 0
		.amdhsa_float_denorm_mode_32 3
		.amdhsa_float_denorm_mode_16_64 3
		.amdhsa_dx10_clamp 1
		.amdhsa_ieee_mode 1
		.amdhsa_fp16_overflow 0
		.amdhsa_workgroup_processor_mode 1
		.amdhsa_memory_ordered 1
		.amdhsa_forward_progress 0
		.amdhsa_shared_vgpr_count 0
		.amdhsa_exception_fp_ieee_invalid_op 0
		.amdhsa_exception_fp_denorm_src 0
		.amdhsa_exception_fp_ieee_div_zero 0
		.amdhsa_exception_fp_ieee_overflow 0
		.amdhsa_exception_fp_ieee_underflow 0
		.amdhsa_exception_fp_ieee_inexact 0
		.amdhsa_exception_int_div_zero 0
	.end_amdhsa_kernel
	.section	.text._ZN7rocprim17ROCPRIM_400000_NS6detail17trampoline_kernelINS0_14default_configENS1_25partition_config_selectorILNS1_17partition_subalgoE8ElNS0_10empty_typeEbEEZZNS1_14partition_implILS5_8ELb0ES3_jPlPS6_PKS6_NS0_5tupleIJS9_S6_EEENSD_IJSA_SA_EEENS0_18inequality_wrapperIZN2at6native12_GLOBAL__N_124unique_dim_cuda_templateIsEESt5tupleIJNSH_6TensorESM_SM_EERKSM_lbbbEUlllE0_EEPmJS6_EEE10hipError_tPvRmT3_T4_T5_T6_T7_T9_mT8_P12ihipStream_tbDpT10_ENKUlT_T0_E_clISt17integral_constantIbLb1EES1B_IbLb0EEEEDaS17_S18_EUlS17_E_NS1_11comp_targetILNS1_3genE5ELNS1_11target_archE942ELNS1_3gpuE9ELNS1_3repE0EEENS1_30default_config_static_selectorELNS0_4arch9wavefront6targetE0EEEvT1_,"axG",@progbits,_ZN7rocprim17ROCPRIM_400000_NS6detail17trampoline_kernelINS0_14default_configENS1_25partition_config_selectorILNS1_17partition_subalgoE8ElNS0_10empty_typeEbEEZZNS1_14partition_implILS5_8ELb0ES3_jPlPS6_PKS6_NS0_5tupleIJS9_S6_EEENSD_IJSA_SA_EEENS0_18inequality_wrapperIZN2at6native12_GLOBAL__N_124unique_dim_cuda_templateIsEESt5tupleIJNSH_6TensorESM_SM_EERKSM_lbbbEUlllE0_EEPmJS6_EEE10hipError_tPvRmT3_T4_T5_T6_T7_T9_mT8_P12ihipStream_tbDpT10_ENKUlT_T0_E_clISt17integral_constantIbLb1EES1B_IbLb0EEEEDaS17_S18_EUlS17_E_NS1_11comp_targetILNS1_3genE5ELNS1_11target_archE942ELNS1_3gpuE9ELNS1_3repE0EEENS1_30default_config_static_selectorELNS0_4arch9wavefront6targetE0EEEvT1_,comdat
.Lfunc_end702:
	.size	_ZN7rocprim17ROCPRIM_400000_NS6detail17trampoline_kernelINS0_14default_configENS1_25partition_config_selectorILNS1_17partition_subalgoE8ElNS0_10empty_typeEbEEZZNS1_14partition_implILS5_8ELb0ES3_jPlPS6_PKS6_NS0_5tupleIJS9_S6_EEENSD_IJSA_SA_EEENS0_18inequality_wrapperIZN2at6native12_GLOBAL__N_124unique_dim_cuda_templateIsEESt5tupleIJNSH_6TensorESM_SM_EERKSM_lbbbEUlllE0_EEPmJS6_EEE10hipError_tPvRmT3_T4_T5_T6_T7_T9_mT8_P12ihipStream_tbDpT10_ENKUlT_T0_E_clISt17integral_constantIbLb1EES1B_IbLb0EEEEDaS17_S18_EUlS17_E_NS1_11comp_targetILNS1_3genE5ELNS1_11target_archE942ELNS1_3gpuE9ELNS1_3repE0EEENS1_30default_config_static_selectorELNS0_4arch9wavefront6targetE0EEEvT1_, .Lfunc_end702-_ZN7rocprim17ROCPRIM_400000_NS6detail17trampoline_kernelINS0_14default_configENS1_25partition_config_selectorILNS1_17partition_subalgoE8ElNS0_10empty_typeEbEEZZNS1_14partition_implILS5_8ELb0ES3_jPlPS6_PKS6_NS0_5tupleIJS9_S6_EEENSD_IJSA_SA_EEENS0_18inequality_wrapperIZN2at6native12_GLOBAL__N_124unique_dim_cuda_templateIsEESt5tupleIJNSH_6TensorESM_SM_EERKSM_lbbbEUlllE0_EEPmJS6_EEE10hipError_tPvRmT3_T4_T5_T6_T7_T9_mT8_P12ihipStream_tbDpT10_ENKUlT_T0_E_clISt17integral_constantIbLb1EES1B_IbLb0EEEEDaS17_S18_EUlS17_E_NS1_11comp_targetILNS1_3genE5ELNS1_11target_archE942ELNS1_3gpuE9ELNS1_3repE0EEENS1_30default_config_static_selectorELNS0_4arch9wavefront6targetE0EEEvT1_
                                        ; -- End function
	.section	.AMDGPU.csdata,"",@progbits
; Kernel info:
; codeLenInByte = 0
; NumSgprs: 0
; NumVgprs: 0
; ScratchSize: 0
; MemoryBound: 0
; FloatMode: 240
; IeeeMode: 1
; LDSByteSize: 0 bytes/workgroup (compile time only)
; SGPRBlocks: 0
; VGPRBlocks: 0
; NumSGPRsForWavesPerEU: 1
; NumVGPRsForWavesPerEU: 1
; Occupancy: 16
; WaveLimiterHint : 0
; COMPUTE_PGM_RSRC2:SCRATCH_EN: 0
; COMPUTE_PGM_RSRC2:USER_SGPR: 15
; COMPUTE_PGM_RSRC2:TRAP_HANDLER: 0
; COMPUTE_PGM_RSRC2:TGID_X_EN: 1
; COMPUTE_PGM_RSRC2:TGID_Y_EN: 0
; COMPUTE_PGM_RSRC2:TGID_Z_EN: 0
; COMPUTE_PGM_RSRC2:TIDIG_COMP_CNT: 0
	.section	.text._ZN7rocprim17ROCPRIM_400000_NS6detail17trampoline_kernelINS0_14default_configENS1_25partition_config_selectorILNS1_17partition_subalgoE8ElNS0_10empty_typeEbEEZZNS1_14partition_implILS5_8ELb0ES3_jPlPS6_PKS6_NS0_5tupleIJS9_S6_EEENSD_IJSA_SA_EEENS0_18inequality_wrapperIZN2at6native12_GLOBAL__N_124unique_dim_cuda_templateIsEESt5tupleIJNSH_6TensorESM_SM_EERKSM_lbbbEUlllE0_EEPmJS6_EEE10hipError_tPvRmT3_T4_T5_T6_T7_T9_mT8_P12ihipStream_tbDpT10_ENKUlT_T0_E_clISt17integral_constantIbLb1EES1B_IbLb0EEEEDaS17_S18_EUlS17_E_NS1_11comp_targetILNS1_3genE4ELNS1_11target_archE910ELNS1_3gpuE8ELNS1_3repE0EEENS1_30default_config_static_selectorELNS0_4arch9wavefront6targetE0EEEvT1_,"axG",@progbits,_ZN7rocprim17ROCPRIM_400000_NS6detail17trampoline_kernelINS0_14default_configENS1_25partition_config_selectorILNS1_17partition_subalgoE8ElNS0_10empty_typeEbEEZZNS1_14partition_implILS5_8ELb0ES3_jPlPS6_PKS6_NS0_5tupleIJS9_S6_EEENSD_IJSA_SA_EEENS0_18inequality_wrapperIZN2at6native12_GLOBAL__N_124unique_dim_cuda_templateIsEESt5tupleIJNSH_6TensorESM_SM_EERKSM_lbbbEUlllE0_EEPmJS6_EEE10hipError_tPvRmT3_T4_T5_T6_T7_T9_mT8_P12ihipStream_tbDpT10_ENKUlT_T0_E_clISt17integral_constantIbLb1EES1B_IbLb0EEEEDaS17_S18_EUlS17_E_NS1_11comp_targetILNS1_3genE4ELNS1_11target_archE910ELNS1_3gpuE8ELNS1_3repE0EEENS1_30default_config_static_selectorELNS0_4arch9wavefront6targetE0EEEvT1_,comdat
	.globl	_ZN7rocprim17ROCPRIM_400000_NS6detail17trampoline_kernelINS0_14default_configENS1_25partition_config_selectorILNS1_17partition_subalgoE8ElNS0_10empty_typeEbEEZZNS1_14partition_implILS5_8ELb0ES3_jPlPS6_PKS6_NS0_5tupleIJS9_S6_EEENSD_IJSA_SA_EEENS0_18inequality_wrapperIZN2at6native12_GLOBAL__N_124unique_dim_cuda_templateIsEESt5tupleIJNSH_6TensorESM_SM_EERKSM_lbbbEUlllE0_EEPmJS6_EEE10hipError_tPvRmT3_T4_T5_T6_T7_T9_mT8_P12ihipStream_tbDpT10_ENKUlT_T0_E_clISt17integral_constantIbLb1EES1B_IbLb0EEEEDaS17_S18_EUlS17_E_NS1_11comp_targetILNS1_3genE4ELNS1_11target_archE910ELNS1_3gpuE8ELNS1_3repE0EEENS1_30default_config_static_selectorELNS0_4arch9wavefront6targetE0EEEvT1_ ; -- Begin function _ZN7rocprim17ROCPRIM_400000_NS6detail17trampoline_kernelINS0_14default_configENS1_25partition_config_selectorILNS1_17partition_subalgoE8ElNS0_10empty_typeEbEEZZNS1_14partition_implILS5_8ELb0ES3_jPlPS6_PKS6_NS0_5tupleIJS9_S6_EEENSD_IJSA_SA_EEENS0_18inequality_wrapperIZN2at6native12_GLOBAL__N_124unique_dim_cuda_templateIsEESt5tupleIJNSH_6TensorESM_SM_EERKSM_lbbbEUlllE0_EEPmJS6_EEE10hipError_tPvRmT3_T4_T5_T6_T7_T9_mT8_P12ihipStream_tbDpT10_ENKUlT_T0_E_clISt17integral_constantIbLb1EES1B_IbLb0EEEEDaS17_S18_EUlS17_E_NS1_11comp_targetILNS1_3genE4ELNS1_11target_archE910ELNS1_3gpuE8ELNS1_3repE0EEENS1_30default_config_static_selectorELNS0_4arch9wavefront6targetE0EEEvT1_
	.p2align	8
	.type	_ZN7rocprim17ROCPRIM_400000_NS6detail17trampoline_kernelINS0_14default_configENS1_25partition_config_selectorILNS1_17partition_subalgoE8ElNS0_10empty_typeEbEEZZNS1_14partition_implILS5_8ELb0ES3_jPlPS6_PKS6_NS0_5tupleIJS9_S6_EEENSD_IJSA_SA_EEENS0_18inequality_wrapperIZN2at6native12_GLOBAL__N_124unique_dim_cuda_templateIsEESt5tupleIJNSH_6TensorESM_SM_EERKSM_lbbbEUlllE0_EEPmJS6_EEE10hipError_tPvRmT3_T4_T5_T6_T7_T9_mT8_P12ihipStream_tbDpT10_ENKUlT_T0_E_clISt17integral_constantIbLb1EES1B_IbLb0EEEEDaS17_S18_EUlS17_E_NS1_11comp_targetILNS1_3genE4ELNS1_11target_archE910ELNS1_3gpuE8ELNS1_3repE0EEENS1_30default_config_static_selectorELNS0_4arch9wavefront6targetE0EEEvT1_,@function
_ZN7rocprim17ROCPRIM_400000_NS6detail17trampoline_kernelINS0_14default_configENS1_25partition_config_selectorILNS1_17partition_subalgoE8ElNS0_10empty_typeEbEEZZNS1_14partition_implILS5_8ELb0ES3_jPlPS6_PKS6_NS0_5tupleIJS9_S6_EEENSD_IJSA_SA_EEENS0_18inequality_wrapperIZN2at6native12_GLOBAL__N_124unique_dim_cuda_templateIsEESt5tupleIJNSH_6TensorESM_SM_EERKSM_lbbbEUlllE0_EEPmJS6_EEE10hipError_tPvRmT3_T4_T5_T6_T7_T9_mT8_P12ihipStream_tbDpT10_ENKUlT_T0_E_clISt17integral_constantIbLb1EES1B_IbLb0EEEEDaS17_S18_EUlS17_E_NS1_11comp_targetILNS1_3genE4ELNS1_11target_archE910ELNS1_3gpuE8ELNS1_3repE0EEENS1_30default_config_static_selectorELNS0_4arch9wavefront6targetE0EEEvT1_: ; @_ZN7rocprim17ROCPRIM_400000_NS6detail17trampoline_kernelINS0_14default_configENS1_25partition_config_selectorILNS1_17partition_subalgoE8ElNS0_10empty_typeEbEEZZNS1_14partition_implILS5_8ELb0ES3_jPlPS6_PKS6_NS0_5tupleIJS9_S6_EEENSD_IJSA_SA_EEENS0_18inequality_wrapperIZN2at6native12_GLOBAL__N_124unique_dim_cuda_templateIsEESt5tupleIJNSH_6TensorESM_SM_EERKSM_lbbbEUlllE0_EEPmJS6_EEE10hipError_tPvRmT3_T4_T5_T6_T7_T9_mT8_P12ihipStream_tbDpT10_ENKUlT_T0_E_clISt17integral_constantIbLb1EES1B_IbLb0EEEEDaS17_S18_EUlS17_E_NS1_11comp_targetILNS1_3genE4ELNS1_11target_archE910ELNS1_3gpuE8ELNS1_3repE0EEENS1_30default_config_static_selectorELNS0_4arch9wavefront6targetE0EEEvT1_
; %bb.0:
	.section	.rodata,"a",@progbits
	.p2align	6, 0x0
	.amdhsa_kernel _ZN7rocprim17ROCPRIM_400000_NS6detail17trampoline_kernelINS0_14default_configENS1_25partition_config_selectorILNS1_17partition_subalgoE8ElNS0_10empty_typeEbEEZZNS1_14partition_implILS5_8ELb0ES3_jPlPS6_PKS6_NS0_5tupleIJS9_S6_EEENSD_IJSA_SA_EEENS0_18inequality_wrapperIZN2at6native12_GLOBAL__N_124unique_dim_cuda_templateIsEESt5tupleIJNSH_6TensorESM_SM_EERKSM_lbbbEUlllE0_EEPmJS6_EEE10hipError_tPvRmT3_T4_T5_T6_T7_T9_mT8_P12ihipStream_tbDpT10_ENKUlT_T0_E_clISt17integral_constantIbLb1EES1B_IbLb0EEEEDaS17_S18_EUlS17_E_NS1_11comp_targetILNS1_3genE4ELNS1_11target_archE910ELNS1_3gpuE8ELNS1_3repE0EEENS1_30default_config_static_selectorELNS0_4arch9wavefront6targetE0EEEvT1_
		.amdhsa_group_segment_fixed_size 0
		.amdhsa_private_segment_fixed_size 0
		.amdhsa_kernarg_size 120
		.amdhsa_user_sgpr_count 15
		.amdhsa_user_sgpr_dispatch_ptr 0
		.amdhsa_user_sgpr_queue_ptr 0
		.amdhsa_user_sgpr_kernarg_segment_ptr 1
		.amdhsa_user_sgpr_dispatch_id 0
		.amdhsa_user_sgpr_private_segment_size 0
		.amdhsa_wavefront_size32 1
		.amdhsa_uses_dynamic_stack 0
		.amdhsa_enable_private_segment 0
		.amdhsa_system_sgpr_workgroup_id_x 1
		.amdhsa_system_sgpr_workgroup_id_y 0
		.amdhsa_system_sgpr_workgroup_id_z 0
		.amdhsa_system_sgpr_workgroup_info 0
		.amdhsa_system_vgpr_workitem_id 0
		.amdhsa_next_free_vgpr 1
		.amdhsa_next_free_sgpr 1
		.amdhsa_reserve_vcc 0
		.amdhsa_float_round_mode_32 0
		.amdhsa_float_round_mode_16_64 0
		.amdhsa_float_denorm_mode_32 3
		.amdhsa_float_denorm_mode_16_64 3
		.amdhsa_dx10_clamp 1
		.amdhsa_ieee_mode 1
		.amdhsa_fp16_overflow 0
		.amdhsa_workgroup_processor_mode 1
		.amdhsa_memory_ordered 1
		.amdhsa_forward_progress 0
		.amdhsa_shared_vgpr_count 0
		.amdhsa_exception_fp_ieee_invalid_op 0
		.amdhsa_exception_fp_denorm_src 0
		.amdhsa_exception_fp_ieee_div_zero 0
		.amdhsa_exception_fp_ieee_overflow 0
		.amdhsa_exception_fp_ieee_underflow 0
		.amdhsa_exception_fp_ieee_inexact 0
		.amdhsa_exception_int_div_zero 0
	.end_amdhsa_kernel
	.section	.text._ZN7rocprim17ROCPRIM_400000_NS6detail17trampoline_kernelINS0_14default_configENS1_25partition_config_selectorILNS1_17partition_subalgoE8ElNS0_10empty_typeEbEEZZNS1_14partition_implILS5_8ELb0ES3_jPlPS6_PKS6_NS0_5tupleIJS9_S6_EEENSD_IJSA_SA_EEENS0_18inequality_wrapperIZN2at6native12_GLOBAL__N_124unique_dim_cuda_templateIsEESt5tupleIJNSH_6TensorESM_SM_EERKSM_lbbbEUlllE0_EEPmJS6_EEE10hipError_tPvRmT3_T4_T5_T6_T7_T9_mT8_P12ihipStream_tbDpT10_ENKUlT_T0_E_clISt17integral_constantIbLb1EES1B_IbLb0EEEEDaS17_S18_EUlS17_E_NS1_11comp_targetILNS1_3genE4ELNS1_11target_archE910ELNS1_3gpuE8ELNS1_3repE0EEENS1_30default_config_static_selectorELNS0_4arch9wavefront6targetE0EEEvT1_,"axG",@progbits,_ZN7rocprim17ROCPRIM_400000_NS6detail17trampoline_kernelINS0_14default_configENS1_25partition_config_selectorILNS1_17partition_subalgoE8ElNS0_10empty_typeEbEEZZNS1_14partition_implILS5_8ELb0ES3_jPlPS6_PKS6_NS0_5tupleIJS9_S6_EEENSD_IJSA_SA_EEENS0_18inequality_wrapperIZN2at6native12_GLOBAL__N_124unique_dim_cuda_templateIsEESt5tupleIJNSH_6TensorESM_SM_EERKSM_lbbbEUlllE0_EEPmJS6_EEE10hipError_tPvRmT3_T4_T5_T6_T7_T9_mT8_P12ihipStream_tbDpT10_ENKUlT_T0_E_clISt17integral_constantIbLb1EES1B_IbLb0EEEEDaS17_S18_EUlS17_E_NS1_11comp_targetILNS1_3genE4ELNS1_11target_archE910ELNS1_3gpuE8ELNS1_3repE0EEENS1_30default_config_static_selectorELNS0_4arch9wavefront6targetE0EEEvT1_,comdat
.Lfunc_end703:
	.size	_ZN7rocprim17ROCPRIM_400000_NS6detail17trampoline_kernelINS0_14default_configENS1_25partition_config_selectorILNS1_17partition_subalgoE8ElNS0_10empty_typeEbEEZZNS1_14partition_implILS5_8ELb0ES3_jPlPS6_PKS6_NS0_5tupleIJS9_S6_EEENSD_IJSA_SA_EEENS0_18inequality_wrapperIZN2at6native12_GLOBAL__N_124unique_dim_cuda_templateIsEESt5tupleIJNSH_6TensorESM_SM_EERKSM_lbbbEUlllE0_EEPmJS6_EEE10hipError_tPvRmT3_T4_T5_T6_T7_T9_mT8_P12ihipStream_tbDpT10_ENKUlT_T0_E_clISt17integral_constantIbLb1EES1B_IbLb0EEEEDaS17_S18_EUlS17_E_NS1_11comp_targetILNS1_3genE4ELNS1_11target_archE910ELNS1_3gpuE8ELNS1_3repE0EEENS1_30default_config_static_selectorELNS0_4arch9wavefront6targetE0EEEvT1_, .Lfunc_end703-_ZN7rocprim17ROCPRIM_400000_NS6detail17trampoline_kernelINS0_14default_configENS1_25partition_config_selectorILNS1_17partition_subalgoE8ElNS0_10empty_typeEbEEZZNS1_14partition_implILS5_8ELb0ES3_jPlPS6_PKS6_NS0_5tupleIJS9_S6_EEENSD_IJSA_SA_EEENS0_18inequality_wrapperIZN2at6native12_GLOBAL__N_124unique_dim_cuda_templateIsEESt5tupleIJNSH_6TensorESM_SM_EERKSM_lbbbEUlllE0_EEPmJS6_EEE10hipError_tPvRmT3_T4_T5_T6_T7_T9_mT8_P12ihipStream_tbDpT10_ENKUlT_T0_E_clISt17integral_constantIbLb1EES1B_IbLb0EEEEDaS17_S18_EUlS17_E_NS1_11comp_targetILNS1_3genE4ELNS1_11target_archE910ELNS1_3gpuE8ELNS1_3repE0EEENS1_30default_config_static_selectorELNS0_4arch9wavefront6targetE0EEEvT1_
                                        ; -- End function
	.section	.AMDGPU.csdata,"",@progbits
; Kernel info:
; codeLenInByte = 0
; NumSgprs: 0
; NumVgprs: 0
; ScratchSize: 0
; MemoryBound: 0
; FloatMode: 240
; IeeeMode: 1
; LDSByteSize: 0 bytes/workgroup (compile time only)
; SGPRBlocks: 0
; VGPRBlocks: 0
; NumSGPRsForWavesPerEU: 1
; NumVGPRsForWavesPerEU: 1
; Occupancy: 16
; WaveLimiterHint : 0
; COMPUTE_PGM_RSRC2:SCRATCH_EN: 0
; COMPUTE_PGM_RSRC2:USER_SGPR: 15
; COMPUTE_PGM_RSRC2:TRAP_HANDLER: 0
; COMPUTE_PGM_RSRC2:TGID_X_EN: 1
; COMPUTE_PGM_RSRC2:TGID_Y_EN: 0
; COMPUTE_PGM_RSRC2:TGID_Z_EN: 0
; COMPUTE_PGM_RSRC2:TIDIG_COMP_CNT: 0
	.section	.text._ZN7rocprim17ROCPRIM_400000_NS6detail17trampoline_kernelINS0_14default_configENS1_25partition_config_selectorILNS1_17partition_subalgoE8ElNS0_10empty_typeEbEEZZNS1_14partition_implILS5_8ELb0ES3_jPlPS6_PKS6_NS0_5tupleIJS9_S6_EEENSD_IJSA_SA_EEENS0_18inequality_wrapperIZN2at6native12_GLOBAL__N_124unique_dim_cuda_templateIsEESt5tupleIJNSH_6TensorESM_SM_EERKSM_lbbbEUlllE0_EEPmJS6_EEE10hipError_tPvRmT3_T4_T5_T6_T7_T9_mT8_P12ihipStream_tbDpT10_ENKUlT_T0_E_clISt17integral_constantIbLb1EES1B_IbLb0EEEEDaS17_S18_EUlS17_E_NS1_11comp_targetILNS1_3genE3ELNS1_11target_archE908ELNS1_3gpuE7ELNS1_3repE0EEENS1_30default_config_static_selectorELNS0_4arch9wavefront6targetE0EEEvT1_,"axG",@progbits,_ZN7rocprim17ROCPRIM_400000_NS6detail17trampoline_kernelINS0_14default_configENS1_25partition_config_selectorILNS1_17partition_subalgoE8ElNS0_10empty_typeEbEEZZNS1_14partition_implILS5_8ELb0ES3_jPlPS6_PKS6_NS0_5tupleIJS9_S6_EEENSD_IJSA_SA_EEENS0_18inequality_wrapperIZN2at6native12_GLOBAL__N_124unique_dim_cuda_templateIsEESt5tupleIJNSH_6TensorESM_SM_EERKSM_lbbbEUlllE0_EEPmJS6_EEE10hipError_tPvRmT3_T4_T5_T6_T7_T9_mT8_P12ihipStream_tbDpT10_ENKUlT_T0_E_clISt17integral_constantIbLb1EES1B_IbLb0EEEEDaS17_S18_EUlS17_E_NS1_11comp_targetILNS1_3genE3ELNS1_11target_archE908ELNS1_3gpuE7ELNS1_3repE0EEENS1_30default_config_static_selectorELNS0_4arch9wavefront6targetE0EEEvT1_,comdat
	.globl	_ZN7rocprim17ROCPRIM_400000_NS6detail17trampoline_kernelINS0_14default_configENS1_25partition_config_selectorILNS1_17partition_subalgoE8ElNS0_10empty_typeEbEEZZNS1_14partition_implILS5_8ELb0ES3_jPlPS6_PKS6_NS0_5tupleIJS9_S6_EEENSD_IJSA_SA_EEENS0_18inequality_wrapperIZN2at6native12_GLOBAL__N_124unique_dim_cuda_templateIsEESt5tupleIJNSH_6TensorESM_SM_EERKSM_lbbbEUlllE0_EEPmJS6_EEE10hipError_tPvRmT3_T4_T5_T6_T7_T9_mT8_P12ihipStream_tbDpT10_ENKUlT_T0_E_clISt17integral_constantIbLb1EES1B_IbLb0EEEEDaS17_S18_EUlS17_E_NS1_11comp_targetILNS1_3genE3ELNS1_11target_archE908ELNS1_3gpuE7ELNS1_3repE0EEENS1_30default_config_static_selectorELNS0_4arch9wavefront6targetE0EEEvT1_ ; -- Begin function _ZN7rocprim17ROCPRIM_400000_NS6detail17trampoline_kernelINS0_14default_configENS1_25partition_config_selectorILNS1_17partition_subalgoE8ElNS0_10empty_typeEbEEZZNS1_14partition_implILS5_8ELb0ES3_jPlPS6_PKS6_NS0_5tupleIJS9_S6_EEENSD_IJSA_SA_EEENS0_18inequality_wrapperIZN2at6native12_GLOBAL__N_124unique_dim_cuda_templateIsEESt5tupleIJNSH_6TensorESM_SM_EERKSM_lbbbEUlllE0_EEPmJS6_EEE10hipError_tPvRmT3_T4_T5_T6_T7_T9_mT8_P12ihipStream_tbDpT10_ENKUlT_T0_E_clISt17integral_constantIbLb1EES1B_IbLb0EEEEDaS17_S18_EUlS17_E_NS1_11comp_targetILNS1_3genE3ELNS1_11target_archE908ELNS1_3gpuE7ELNS1_3repE0EEENS1_30default_config_static_selectorELNS0_4arch9wavefront6targetE0EEEvT1_
	.p2align	8
	.type	_ZN7rocprim17ROCPRIM_400000_NS6detail17trampoline_kernelINS0_14default_configENS1_25partition_config_selectorILNS1_17partition_subalgoE8ElNS0_10empty_typeEbEEZZNS1_14partition_implILS5_8ELb0ES3_jPlPS6_PKS6_NS0_5tupleIJS9_S6_EEENSD_IJSA_SA_EEENS0_18inequality_wrapperIZN2at6native12_GLOBAL__N_124unique_dim_cuda_templateIsEESt5tupleIJNSH_6TensorESM_SM_EERKSM_lbbbEUlllE0_EEPmJS6_EEE10hipError_tPvRmT3_T4_T5_T6_T7_T9_mT8_P12ihipStream_tbDpT10_ENKUlT_T0_E_clISt17integral_constantIbLb1EES1B_IbLb0EEEEDaS17_S18_EUlS17_E_NS1_11comp_targetILNS1_3genE3ELNS1_11target_archE908ELNS1_3gpuE7ELNS1_3repE0EEENS1_30default_config_static_selectorELNS0_4arch9wavefront6targetE0EEEvT1_,@function
_ZN7rocprim17ROCPRIM_400000_NS6detail17trampoline_kernelINS0_14default_configENS1_25partition_config_selectorILNS1_17partition_subalgoE8ElNS0_10empty_typeEbEEZZNS1_14partition_implILS5_8ELb0ES3_jPlPS6_PKS6_NS0_5tupleIJS9_S6_EEENSD_IJSA_SA_EEENS0_18inequality_wrapperIZN2at6native12_GLOBAL__N_124unique_dim_cuda_templateIsEESt5tupleIJNSH_6TensorESM_SM_EERKSM_lbbbEUlllE0_EEPmJS6_EEE10hipError_tPvRmT3_T4_T5_T6_T7_T9_mT8_P12ihipStream_tbDpT10_ENKUlT_T0_E_clISt17integral_constantIbLb1EES1B_IbLb0EEEEDaS17_S18_EUlS17_E_NS1_11comp_targetILNS1_3genE3ELNS1_11target_archE908ELNS1_3gpuE7ELNS1_3repE0EEENS1_30default_config_static_selectorELNS0_4arch9wavefront6targetE0EEEvT1_: ; @_ZN7rocprim17ROCPRIM_400000_NS6detail17trampoline_kernelINS0_14default_configENS1_25partition_config_selectorILNS1_17partition_subalgoE8ElNS0_10empty_typeEbEEZZNS1_14partition_implILS5_8ELb0ES3_jPlPS6_PKS6_NS0_5tupleIJS9_S6_EEENSD_IJSA_SA_EEENS0_18inequality_wrapperIZN2at6native12_GLOBAL__N_124unique_dim_cuda_templateIsEESt5tupleIJNSH_6TensorESM_SM_EERKSM_lbbbEUlllE0_EEPmJS6_EEE10hipError_tPvRmT3_T4_T5_T6_T7_T9_mT8_P12ihipStream_tbDpT10_ENKUlT_T0_E_clISt17integral_constantIbLb1EES1B_IbLb0EEEEDaS17_S18_EUlS17_E_NS1_11comp_targetILNS1_3genE3ELNS1_11target_archE908ELNS1_3gpuE7ELNS1_3repE0EEENS1_30default_config_static_selectorELNS0_4arch9wavefront6targetE0EEEvT1_
; %bb.0:
	.section	.rodata,"a",@progbits
	.p2align	6, 0x0
	.amdhsa_kernel _ZN7rocprim17ROCPRIM_400000_NS6detail17trampoline_kernelINS0_14default_configENS1_25partition_config_selectorILNS1_17partition_subalgoE8ElNS0_10empty_typeEbEEZZNS1_14partition_implILS5_8ELb0ES3_jPlPS6_PKS6_NS0_5tupleIJS9_S6_EEENSD_IJSA_SA_EEENS0_18inequality_wrapperIZN2at6native12_GLOBAL__N_124unique_dim_cuda_templateIsEESt5tupleIJNSH_6TensorESM_SM_EERKSM_lbbbEUlllE0_EEPmJS6_EEE10hipError_tPvRmT3_T4_T5_T6_T7_T9_mT8_P12ihipStream_tbDpT10_ENKUlT_T0_E_clISt17integral_constantIbLb1EES1B_IbLb0EEEEDaS17_S18_EUlS17_E_NS1_11comp_targetILNS1_3genE3ELNS1_11target_archE908ELNS1_3gpuE7ELNS1_3repE0EEENS1_30default_config_static_selectorELNS0_4arch9wavefront6targetE0EEEvT1_
		.amdhsa_group_segment_fixed_size 0
		.amdhsa_private_segment_fixed_size 0
		.amdhsa_kernarg_size 120
		.amdhsa_user_sgpr_count 15
		.amdhsa_user_sgpr_dispatch_ptr 0
		.amdhsa_user_sgpr_queue_ptr 0
		.amdhsa_user_sgpr_kernarg_segment_ptr 1
		.amdhsa_user_sgpr_dispatch_id 0
		.amdhsa_user_sgpr_private_segment_size 0
		.amdhsa_wavefront_size32 1
		.amdhsa_uses_dynamic_stack 0
		.amdhsa_enable_private_segment 0
		.amdhsa_system_sgpr_workgroup_id_x 1
		.amdhsa_system_sgpr_workgroup_id_y 0
		.amdhsa_system_sgpr_workgroup_id_z 0
		.amdhsa_system_sgpr_workgroup_info 0
		.amdhsa_system_vgpr_workitem_id 0
		.amdhsa_next_free_vgpr 1
		.amdhsa_next_free_sgpr 1
		.amdhsa_reserve_vcc 0
		.amdhsa_float_round_mode_32 0
		.amdhsa_float_round_mode_16_64 0
		.amdhsa_float_denorm_mode_32 3
		.amdhsa_float_denorm_mode_16_64 3
		.amdhsa_dx10_clamp 1
		.amdhsa_ieee_mode 1
		.amdhsa_fp16_overflow 0
		.amdhsa_workgroup_processor_mode 1
		.amdhsa_memory_ordered 1
		.amdhsa_forward_progress 0
		.amdhsa_shared_vgpr_count 0
		.amdhsa_exception_fp_ieee_invalid_op 0
		.amdhsa_exception_fp_denorm_src 0
		.amdhsa_exception_fp_ieee_div_zero 0
		.amdhsa_exception_fp_ieee_overflow 0
		.amdhsa_exception_fp_ieee_underflow 0
		.amdhsa_exception_fp_ieee_inexact 0
		.amdhsa_exception_int_div_zero 0
	.end_amdhsa_kernel
	.section	.text._ZN7rocprim17ROCPRIM_400000_NS6detail17trampoline_kernelINS0_14default_configENS1_25partition_config_selectorILNS1_17partition_subalgoE8ElNS0_10empty_typeEbEEZZNS1_14partition_implILS5_8ELb0ES3_jPlPS6_PKS6_NS0_5tupleIJS9_S6_EEENSD_IJSA_SA_EEENS0_18inequality_wrapperIZN2at6native12_GLOBAL__N_124unique_dim_cuda_templateIsEESt5tupleIJNSH_6TensorESM_SM_EERKSM_lbbbEUlllE0_EEPmJS6_EEE10hipError_tPvRmT3_T4_T5_T6_T7_T9_mT8_P12ihipStream_tbDpT10_ENKUlT_T0_E_clISt17integral_constantIbLb1EES1B_IbLb0EEEEDaS17_S18_EUlS17_E_NS1_11comp_targetILNS1_3genE3ELNS1_11target_archE908ELNS1_3gpuE7ELNS1_3repE0EEENS1_30default_config_static_selectorELNS0_4arch9wavefront6targetE0EEEvT1_,"axG",@progbits,_ZN7rocprim17ROCPRIM_400000_NS6detail17trampoline_kernelINS0_14default_configENS1_25partition_config_selectorILNS1_17partition_subalgoE8ElNS0_10empty_typeEbEEZZNS1_14partition_implILS5_8ELb0ES3_jPlPS6_PKS6_NS0_5tupleIJS9_S6_EEENSD_IJSA_SA_EEENS0_18inequality_wrapperIZN2at6native12_GLOBAL__N_124unique_dim_cuda_templateIsEESt5tupleIJNSH_6TensorESM_SM_EERKSM_lbbbEUlllE0_EEPmJS6_EEE10hipError_tPvRmT3_T4_T5_T6_T7_T9_mT8_P12ihipStream_tbDpT10_ENKUlT_T0_E_clISt17integral_constantIbLb1EES1B_IbLb0EEEEDaS17_S18_EUlS17_E_NS1_11comp_targetILNS1_3genE3ELNS1_11target_archE908ELNS1_3gpuE7ELNS1_3repE0EEENS1_30default_config_static_selectorELNS0_4arch9wavefront6targetE0EEEvT1_,comdat
.Lfunc_end704:
	.size	_ZN7rocprim17ROCPRIM_400000_NS6detail17trampoline_kernelINS0_14default_configENS1_25partition_config_selectorILNS1_17partition_subalgoE8ElNS0_10empty_typeEbEEZZNS1_14partition_implILS5_8ELb0ES3_jPlPS6_PKS6_NS0_5tupleIJS9_S6_EEENSD_IJSA_SA_EEENS0_18inequality_wrapperIZN2at6native12_GLOBAL__N_124unique_dim_cuda_templateIsEESt5tupleIJNSH_6TensorESM_SM_EERKSM_lbbbEUlllE0_EEPmJS6_EEE10hipError_tPvRmT3_T4_T5_T6_T7_T9_mT8_P12ihipStream_tbDpT10_ENKUlT_T0_E_clISt17integral_constantIbLb1EES1B_IbLb0EEEEDaS17_S18_EUlS17_E_NS1_11comp_targetILNS1_3genE3ELNS1_11target_archE908ELNS1_3gpuE7ELNS1_3repE0EEENS1_30default_config_static_selectorELNS0_4arch9wavefront6targetE0EEEvT1_, .Lfunc_end704-_ZN7rocprim17ROCPRIM_400000_NS6detail17trampoline_kernelINS0_14default_configENS1_25partition_config_selectorILNS1_17partition_subalgoE8ElNS0_10empty_typeEbEEZZNS1_14partition_implILS5_8ELb0ES3_jPlPS6_PKS6_NS0_5tupleIJS9_S6_EEENSD_IJSA_SA_EEENS0_18inequality_wrapperIZN2at6native12_GLOBAL__N_124unique_dim_cuda_templateIsEESt5tupleIJNSH_6TensorESM_SM_EERKSM_lbbbEUlllE0_EEPmJS6_EEE10hipError_tPvRmT3_T4_T5_T6_T7_T9_mT8_P12ihipStream_tbDpT10_ENKUlT_T0_E_clISt17integral_constantIbLb1EES1B_IbLb0EEEEDaS17_S18_EUlS17_E_NS1_11comp_targetILNS1_3genE3ELNS1_11target_archE908ELNS1_3gpuE7ELNS1_3repE0EEENS1_30default_config_static_selectorELNS0_4arch9wavefront6targetE0EEEvT1_
                                        ; -- End function
	.section	.AMDGPU.csdata,"",@progbits
; Kernel info:
; codeLenInByte = 0
; NumSgprs: 0
; NumVgprs: 0
; ScratchSize: 0
; MemoryBound: 0
; FloatMode: 240
; IeeeMode: 1
; LDSByteSize: 0 bytes/workgroup (compile time only)
; SGPRBlocks: 0
; VGPRBlocks: 0
; NumSGPRsForWavesPerEU: 1
; NumVGPRsForWavesPerEU: 1
; Occupancy: 16
; WaveLimiterHint : 0
; COMPUTE_PGM_RSRC2:SCRATCH_EN: 0
; COMPUTE_PGM_RSRC2:USER_SGPR: 15
; COMPUTE_PGM_RSRC2:TRAP_HANDLER: 0
; COMPUTE_PGM_RSRC2:TGID_X_EN: 1
; COMPUTE_PGM_RSRC2:TGID_Y_EN: 0
; COMPUTE_PGM_RSRC2:TGID_Z_EN: 0
; COMPUTE_PGM_RSRC2:TIDIG_COMP_CNT: 0
	.section	.text._ZN7rocprim17ROCPRIM_400000_NS6detail17trampoline_kernelINS0_14default_configENS1_25partition_config_selectorILNS1_17partition_subalgoE8ElNS0_10empty_typeEbEEZZNS1_14partition_implILS5_8ELb0ES3_jPlPS6_PKS6_NS0_5tupleIJS9_S6_EEENSD_IJSA_SA_EEENS0_18inequality_wrapperIZN2at6native12_GLOBAL__N_124unique_dim_cuda_templateIsEESt5tupleIJNSH_6TensorESM_SM_EERKSM_lbbbEUlllE0_EEPmJS6_EEE10hipError_tPvRmT3_T4_T5_T6_T7_T9_mT8_P12ihipStream_tbDpT10_ENKUlT_T0_E_clISt17integral_constantIbLb1EES1B_IbLb0EEEEDaS17_S18_EUlS17_E_NS1_11comp_targetILNS1_3genE2ELNS1_11target_archE906ELNS1_3gpuE6ELNS1_3repE0EEENS1_30default_config_static_selectorELNS0_4arch9wavefront6targetE0EEEvT1_,"axG",@progbits,_ZN7rocprim17ROCPRIM_400000_NS6detail17trampoline_kernelINS0_14default_configENS1_25partition_config_selectorILNS1_17partition_subalgoE8ElNS0_10empty_typeEbEEZZNS1_14partition_implILS5_8ELb0ES3_jPlPS6_PKS6_NS0_5tupleIJS9_S6_EEENSD_IJSA_SA_EEENS0_18inequality_wrapperIZN2at6native12_GLOBAL__N_124unique_dim_cuda_templateIsEESt5tupleIJNSH_6TensorESM_SM_EERKSM_lbbbEUlllE0_EEPmJS6_EEE10hipError_tPvRmT3_T4_T5_T6_T7_T9_mT8_P12ihipStream_tbDpT10_ENKUlT_T0_E_clISt17integral_constantIbLb1EES1B_IbLb0EEEEDaS17_S18_EUlS17_E_NS1_11comp_targetILNS1_3genE2ELNS1_11target_archE906ELNS1_3gpuE6ELNS1_3repE0EEENS1_30default_config_static_selectorELNS0_4arch9wavefront6targetE0EEEvT1_,comdat
	.globl	_ZN7rocprim17ROCPRIM_400000_NS6detail17trampoline_kernelINS0_14default_configENS1_25partition_config_selectorILNS1_17partition_subalgoE8ElNS0_10empty_typeEbEEZZNS1_14partition_implILS5_8ELb0ES3_jPlPS6_PKS6_NS0_5tupleIJS9_S6_EEENSD_IJSA_SA_EEENS0_18inequality_wrapperIZN2at6native12_GLOBAL__N_124unique_dim_cuda_templateIsEESt5tupleIJNSH_6TensorESM_SM_EERKSM_lbbbEUlllE0_EEPmJS6_EEE10hipError_tPvRmT3_T4_T5_T6_T7_T9_mT8_P12ihipStream_tbDpT10_ENKUlT_T0_E_clISt17integral_constantIbLb1EES1B_IbLb0EEEEDaS17_S18_EUlS17_E_NS1_11comp_targetILNS1_3genE2ELNS1_11target_archE906ELNS1_3gpuE6ELNS1_3repE0EEENS1_30default_config_static_selectorELNS0_4arch9wavefront6targetE0EEEvT1_ ; -- Begin function _ZN7rocprim17ROCPRIM_400000_NS6detail17trampoline_kernelINS0_14default_configENS1_25partition_config_selectorILNS1_17partition_subalgoE8ElNS0_10empty_typeEbEEZZNS1_14partition_implILS5_8ELb0ES3_jPlPS6_PKS6_NS0_5tupleIJS9_S6_EEENSD_IJSA_SA_EEENS0_18inequality_wrapperIZN2at6native12_GLOBAL__N_124unique_dim_cuda_templateIsEESt5tupleIJNSH_6TensorESM_SM_EERKSM_lbbbEUlllE0_EEPmJS6_EEE10hipError_tPvRmT3_T4_T5_T6_T7_T9_mT8_P12ihipStream_tbDpT10_ENKUlT_T0_E_clISt17integral_constantIbLb1EES1B_IbLb0EEEEDaS17_S18_EUlS17_E_NS1_11comp_targetILNS1_3genE2ELNS1_11target_archE906ELNS1_3gpuE6ELNS1_3repE0EEENS1_30default_config_static_selectorELNS0_4arch9wavefront6targetE0EEEvT1_
	.p2align	8
	.type	_ZN7rocprim17ROCPRIM_400000_NS6detail17trampoline_kernelINS0_14default_configENS1_25partition_config_selectorILNS1_17partition_subalgoE8ElNS0_10empty_typeEbEEZZNS1_14partition_implILS5_8ELb0ES3_jPlPS6_PKS6_NS0_5tupleIJS9_S6_EEENSD_IJSA_SA_EEENS0_18inequality_wrapperIZN2at6native12_GLOBAL__N_124unique_dim_cuda_templateIsEESt5tupleIJNSH_6TensorESM_SM_EERKSM_lbbbEUlllE0_EEPmJS6_EEE10hipError_tPvRmT3_T4_T5_T6_T7_T9_mT8_P12ihipStream_tbDpT10_ENKUlT_T0_E_clISt17integral_constantIbLb1EES1B_IbLb0EEEEDaS17_S18_EUlS17_E_NS1_11comp_targetILNS1_3genE2ELNS1_11target_archE906ELNS1_3gpuE6ELNS1_3repE0EEENS1_30default_config_static_selectorELNS0_4arch9wavefront6targetE0EEEvT1_,@function
_ZN7rocprim17ROCPRIM_400000_NS6detail17trampoline_kernelINS0_14default_configENS1_25partition_config_selectorILNS1_17partition_subalgoE8ElNS0_10empty_typeEbEEZZNS1_14partition_implILS5_8ELb0ES3_jPlPS6_PKS6_NS0_5tupleIJS9_S6_EEENSD_IJSA_SA_EEENS0_18inequality_wrapperIZN2at6native12_GLOBAL__N_124unique_dim_cuda_templateIsEESt5tupleIJNSH_6TensorESM_SM_EERKSM_lbbbEUlllE0_EEPmJS6_EEE10hipError_tPvRmT3_T4_T5_T6_T7_T9_mT8_P12ihipStream_tbDpT10_ENKUlT_T0_E_clISt17integral_constantIbLb1EES1B_IbLb0EEEEDaS17_S18_EUlS17_E_NS1_11comp_targetILNS1_3genE2ELNS1_11target_archE906ELNS1_3gpuE6ELNS1_3repE0EEENS1_30default_config_static_selectorELNS0_4arch9wavefront6targetE0EEEvT1_: ; @_ZN7rocprim17ROCPRIM_400000_NS6detail17trampoline_kernelINS0_14default_configENS1_25partition_config_selectorILNS1_17partition_subalgoE8ElNS0_10empty_typeEbEEZZNS1_14partition_implILS5_8ELb0ES3_jPlPS6_PKS6_NS0_5tupleIJS9_S6_EEENSD_IJSA_SA_EEENS0_18inequality_wrapperIZN2at6native12_GLOBAL__N_124unique_dim_cuda_templateIsEESt5tupleIJNSH_6TensorESM_SM_EERKSM_lbbbEUlllE0_EEPmJS6_EEE10hipError_tPvRmT3_T4_T5_T6_T7_T9_mT8_P12ihipStream_tbDpT10_ENKUlT_T0_E_clISt17integral_constantIbLb1EES1B_IbLb0EEEEDaS17_S18_EUlS17_E_NS1_11comp_targetILNS1_3genE2ELNS1_11target_archE906ELNS1_3gpuE6ELNS1_3repE0EEENS1_30default_config_static_selectorELNS0_4arch9wavefront6targetE0EEEvT1_
; %bb.0:
	.section	.rodata,"a",@progbits
	.p2align	6, 0x0
	.amdhsa_kernel _ZN7rocprim17ROCPRIM_400000_NS6detail17trampoline_kernelINS0_14default_configENS1_25partition_config_selectorILNS1_17partition_subalgoE8ElNS0_10empty_typeEbEEZZNS1_14partition_implILS5_8ELb0ES3_jPlPS6_PKS6_NS0_5tupleIJS9_S6_EEENSD_IJSA_SA_EEENS0_18inequality_wrapperIZN2at6native12_GLOBAL__N_124unique_dim_cuda_templateIsEESt5tupleIJNSH_6TensorESM_SM_EERKSM_lbbbEUlllE0_EEPmJS6_EEE10hipError_tPvRmT3_T4_T5_T6_T7_T9_mT8_P12ihipStream_tbDpT10_ENKUlT_T0_E_clISt17integral_constantIbLb1EES1B_IbLb0EEEEDaS17_S18_EUlS17_E_NS1_11comp_targetILNS1_3genE2ELNS1_11target_archE906ELNS1_3gpuE6ELNS1_3repE0EEENS1_30default_config_static_selectorELNS0_4arch9wavefront6targetE0EEEvT1_
		.amdhsa_group_segment_fixed_size 0
		.amdhsa_private_segment_fixed_size 0
		.amdhsa_kernarg_size 120
		.amdhsa_user_sgpr_count 15
		.amdhsa_user_sgpr_dispatch_ptr 0
		.amdhsa_user_sgpr_queue_ptr 0
		.amdhsa_user_sgpr_kernarg_segment_ptr 1
		.amdhsa_user_sgpr_dispatch_id 0
		.amdhsa_user_sgpr_private_segment_size 0
		.amdhsa_wavefront_size32 1
		.amdhsa_uses_dynamic_stack 0
		.amdhsa_enable_private_segment 0
		.amdhsa_system_sgpr_workgroup_id_x 1
		.amdhsa_system_sgpr_workgroup_id_y 0
		.amdhsa_system_sgpr_workgroup_id_z 0
		.amdhsa_system_sgpr_workgroup_info 0
		.amdhsa_system_vgpr_workitem_id 0
		.amdhsa_next_free_vgpr 1
		.amdhsa_next_free_sgpr 1
		.amdhsa_reserve_vcc 0
		.amdhsa_float_round_mode_32 0
		.amdhsa_float_round_mode_16_64 0
		.amdhsa_float_denorm_mode_32 3
		.amdhsa_float_denorm_mode_16_64 3
		.amdhsa_dx10_clamp 1
		.amdhsa_ieee_mode 1
		.amdhsa_fp16_overflow 0
		.amdhsa_workgroup_processor_mode 1
		.amdhsa_memory_ordered 1
		.amdhsa_forward_progress 0
		.amdhsa_shared_vgpr_count 0
		.amdhsa_exception_fp_ieee_invalid_op 0
		.amdhsa_exception_fp_denorm_src 0
		.amdhsa_exception_fp_ieee_div_zero 0
		.amdhsa_exception_fp_ieee_overflow 0
		.amdhsa_exception_fp_ieee_underflow 0
		.amdhsa_exception_fp_ieee_inexact 0
		.amdhsa_exception_int_div_zero 0
	.end_amdhsa_kernel
	.section	.text._ZN7rocprim17ROCPRIM_400000_NS6detail17trampoline_kernelINS0_14default_configENS1_25partition_config_selectorILNS1_17partition_subalgoE8ElNS0_10empty_typeEbEEZZNS1_14partition_implILS5_8ELb0ES3_jPlPS6_PKS6_NS0_5tupleIJS9_S6_EEENSD_IJSA_SA_EEENS0_18inequality_wrapperIZN2at6native12_GLOBAL__N_124unique_dim_cuda_templateIsEESt5tupleIJNSH_6TensorESM_SM_EERKSM_lbbbEUlllE0_EEPmJS6_EEE10hipError_tPvRmT3_T4_T5_T6_T7_T9_mT8_P12ihipStream_tbDpT10_ENKUlT_T0_E_clISt17integral_constantIbLb1EES1B_IbLb0EEEEDaS17_S18_EUlS17_E_NS1_11comp_targetILNS1_3genE2ELNS1_11target_archE906ELNS1_3gpuE6ELNS1_3repE0EEENS1_30default_config_static_selectorELNS0_4arch9wavefront6targetE0EEEvT1_,"axG",@progbits,_ZN7rocprim17ROCPRIM_400000_NS6detail17trampoline_kernelINS0_14default_configENS1_25partition_config_selectorILNS1_17partition_subalgoE8ElNS0_10empty_typeEbEEZZNS1_14partition_implILS5_8ELb0ES3_jPlPS6_PKS6_NS0_5tupleIJS9_S6_EEENSD_IJSA_SA_EEENS0_18inequality_wrapperIZN2at6native12_GLOBAL__N_124unique_dim_cuda_templateIsEESt5tupleIJNSH_6TensorESM_SM_EERKSM_lbbbEUlllE0_EEPmJS6_EEE10hipError_tPvRmT3_T4_T5_T6_T7_T9_mT8_P12ihipStream_tbDpT10_ENKUlT_T0_E_clISt17integral_constantIbLb1EES1B_IbLb0EEEEDaS17_S18_EUlS17_E_NS1_11comp_targetILNS1_3genE2ELNS1_11target_archE906ELNS1_3gpuE6ELNS1_3repE0EEENS1_30default_config_static_selectorELNS0_4arch9wavefront6targetE0EEEvT1_,comdat
.Lfunc_end705:
	.size	_ZN7rocprim17ROCPRIM_400000_NS6detail17trampoline_kernelINS0_14default_configENS1_25partition_config_selectorILNS1_17partition_subalgoE8ElNS0_10empty_typeEbEEZZNS1_14partition_implILS5_8ELb0ES3_jPlPS6_PKS6_NS0_5tupleIJS9_S6_EEENSD_IJSA_SA_EEENS0_18inequality_wrapperIZN2at6native12_GLOBAL__N_124unique_dim_cuda_templateIsEESt5tupleIJNSH_6TensorESM_SM_EERKSM_lbbbEUlllE0_EEPmJS6_EEE10hipError_tPvRmT3_T4_T5_T6_T7_T9_mT8_P12ihipStream_tbDpT10_ENKUlT_T0_E_clISt17integral_constantIbLb1EES1B_IbLb0EEEEDaS17_S18_EUlS17_E_NS1_11comp_targetILNS1_3genE2ELNS1_11target_archE906ELNS1_3gpuE6ELNS1_3repE0EEENS1_30default_config_static_selectorELNS0_4arch9wavefront6targetE0EEEvT1_, .Lfunc_end705-_ZN7rocprim17ROCPRIM_400000_NS6detail17trampoline_kernelINS0_14default_configENS1_25partition_config_selectorILNS1_17partition_subalgoE8ElNS0_10empty_typeEbEEZZNS1_14partition_implILS5_8ELb0ES3_jPlPS6_PKS6_NS0_5tupleIJS9_S6_EEENSD_IJSA_SA_EEENS0_18inequality_wrapperIZN2at6native12_GLOBAL__N_124unique_dim_cuda_templateIsEESt5tupleIJNSH_6TensorESM_SM_EERKSM_lbbbEUlllE0_EEPmJS6_EEE10hipError_tPvRmT3_T4_T5_T6_T7_T9_mT8_P12ihipStream_tbDpT10_ENKUlT_T0_E_clISt17integral_constantIbLb1EES1B_IbLb0EEEEDaS17_S18_EUlS17_E_NS1_11comp_targetILNS1_3genE2ELNS1_11target_archE906ELNS1_3gpuE6ELNS1_3repE0EEENS1_30default_config_static_selectorELNS0_4arch9wavefront6targetE0EEEvT1_
                                        ; -- End function
	.section	.AMDGPU.csdata,"",@progbits
; Kernel info:
; codeLenInByte = 0
; NumSgprs: 0
; NumVgprs: 0
; ScratchSize: 0
; MemoryBound: 0
; FloatMode: 240
; IeeeMode: 1
; LDSByteSize: 0 bytes/workgroup (compile time only)
; SGPRBlocks: 0
; VGPRBlocks: 0
; NumSGPRsForWavesPerEU: 1
; NumVGPRsForWavesPerEU: 1
; Occupancy: 16
; WaveLimiterHint : 0
; COMPUTE_PGM_RSRC2:SCRATCH_EN: 0
; COMPUTE_PGM_RSRC2:USER_SGPR: 15
; COMPUTE_PGM_RSRC2:TRAP_HANDLER: 0
; COMPUTE_PGM_RSRC2:TGID_X_EN: 1
; COMPUTE_PGM_RSRC2:TGID_Y_EN: 0
; COMPUTE_PGM_RSRC2:TGID_Z_EN: 0
; COMPUTE_PGM_RSRC2:TIDIG_COMP_CNT: 0
	.section	.text._ZN7rocprim17ROCPRIM_400000_NS6detail17trampoline_kernelINS0_14default_configENS1_25partition_config_selectorILNS1_17partition_subalgoE8ElNS0_10empty_typeEbEEZZNS1_14partition_implILS5_8ELb0ES3_jPlPS6_PKS6_NS0_5tupleIJS9_S6_EEENSD_IJSA_SA_EEENS0_18inequality_wrapperIZN2at6native12_GLOBAL__N_124unique_dim_cuda_templateIsEESt5tupleIJNSH_6TensorESM_SM_EERKSM_lbbbEUlllE0_EEPmJS6_EEE10hipError_tPvRmT3_T4_T5_T6_T7_T9_mT8_P12ihipStream_tbDpT10_ENKUlT_T0_E_clISt17integral_constantIbLb1EES1B_IbLb0EEEEDaS17_S18_EUlS17_E_NS1_11comp_targetILNS1_3genE10ELNS1_11target_archE1200ELNS1_3gpuE4ELNS1_3repE0EEENS1_30default_config_static_selectorELNS0_4arch9wavefront6targetE0EEEvT1_,"axG",@progbits,_ZN7rocprim17ROCPRIM_400000_NS6detail17trampoline_kernelINS0_14default_configENS1_25partition_config_selectorILNS1_17partition_subalgoE8ElNS0_10empty_typeEbEEZZNS1_14partition_implILS5_8ELb0ES3_jPlPS6_PKS6_NS0_5tupleIJS9_S6_EEENSD_IJSA_SA_EEENS0_18inequality_wrapperIZN2at6native12_GLOBAL__N_124unique_dim_cuda_templateIsEESt5tupleIJNSH_6TensorESM_SM_EERKSM_lbbbEUlllE0_EEPmJS6_EEE10hipError_tPvRmT3_T4_T5_T6_T7_T9_mT8_P12ihipStream_tbDpT10_ENKUlT_T0_E_clISt17integral_constantIbLb1EES1B_IbLb0EEEEDaS17_S18_EUlS17_E_NS1_11comp_targetILNS1_3genE10ELNS1_11target_archE1200ELNS1_3gpuE4ELNS1_3repE0EEENS1_30default_config_static_selectorELNS0_4arch9wavefront6targetE0EEEvT1_,comdat
	.globl	_ZN7rocprim17ROCPRIM_400000_NS6detail17trampoline_kernelINS0_14default_configENS1_25partition_config_selectorILNS1_17partition_subalgoE8ElNS0_10empty_typeEbEEZZNS1_14partition_implILS5_8ELb0ES3_jPlPS6_PKS6_NS0_5tupleIJS9_S6_EEENSD_IJSA_SA_EEENS0_18inequality_wrapperIZN2at6native12_GLOBAL__N_124unique_dim_cuda_templateIsEESt5tupleIJNSH_6TensorESM_SM_EERKSM_lbbbEUlllE0_EEPmJS6_EEE10hipError_tPvRmT3_T4_T5_T6_T7_T9_mT8_P12ihipStream_tbDpT10_ENKUlT_T0_E_clISt17integral_constantIbLb1EES1B_IbLb0EEEEDaS17_S18_EUlS17_E_NS1_11comp_targetILNS1_3genE10ELNS1_11target_archE1200ELNS1_3gpuE4ELNS1_3repE0EEENS1_30default_config_static_selectorELNS0_4arch9wavefront6targetE0EEEvT1_ ; -- Begin function _ZN7rocprim17ROCPRIM_400000_NS6detail17trampoline_kernelINS0_14default_configENS1_25partition_config_selectorILNS1_17partition_subalgoE8ElNS0_10empty_typeEbEEZZNS1_14partition_implILS5_8ELb0ES3_jPlPS6_PKS6_NS0_5tupleIJS9_S6_EEENSD_IJSA_SA_EEENS0_18inequality_wrapperIZN2at6native12_GLOBAL__N_124unique_dim_cuda_templateIsEESt5tupleIJNSH_6TensorESM_SM_EERKSM_lbbbEUlllE0_EEPmJS6_EEE10hipError_tPvRmT3_T4_T5_T6_T7_T9_mT8_P12ihipStream_tbDpT10_ENKUlT_T0_E_clISt17integral_constantIbLb1EES1B_IbLb0EEEEDaS17_S18_EUlS17_E_NS1_11comp_targetILNS1_3genE10ELNS1_11target_archE1200ELNS1_3gpuE4ELNS1_3repE0EEENS1_30default_config_static_selectorELNS0_4arch9wavefront6targetE0EEEvT1_
	.p2align	8
	.type	_ZN7rocprim17ROCPRIM_400000_NS6detail17trampoline_kernelINS0_14default_configENS1_25partition_config_selectorILNS1_17partition_subalgoE8ElNS0_10empty_typeEbEEZZNS1_14partition_implILS5_8ELb0ES3_jPlPS6_PKS6_NS0_5tupleIJS9_S6_EEENSD_IJSA_SA_EEENS0_18inequality_wrapperIZN2at6native12_GLOBAL__N_124unique_dim_cuda_templateIsEESt5tupleIJNSH_6TensorESM_SM_EERKSM_lbbbEUlllE0_EEPmJS6_EEE10hipError_tPvRmT3_T4_T5_T6_T7_T9_mT8_P12ihipStream_tbDpT10_ENKUlT_T0_E_clISt17integral_constantIbLb1EES1B_IbLb0EEEEDaS17_S18_EUlS17_E_NS1_11comp_targetILNS1_3genE10ELNS1_11target_archE1200ELNS1_3gpuE4ELNS1_3repE0EEENS1_30default_config_static_selectorELNS0_4arch9wavefront6targetE0EEEvT1_,@function
_ZN7rocprim17ROCPRIM_400000_NS6detail17trampoline_kernelINS0_14default_configENS1_25partition_config_selectorILNS1_17partition_subalgoE8ElNS0_10empty_typeEbEEZZNS1_14partition_implILS5_8ELb0ES3_jPlPS6_PKS6_NS0_5tupleIJS9_S6_EEENSD_IJSA_SA_EEENS0_18inequality_wrapperIZN2at6native12_GLOBAL__N_124unique_dim_cuda_templateIsEESt5tupleIJNSH_6TensorESM_SM_EERKSM_lbbbEUlllE0_EEPmJS6_EEE10hipError_tPvRmT3_T4_T5_T6_T7_T9_mT8_P12ihipStream_tbDpT10_ENKUlT_T0_E_clISt17integral_constantIbLb1EES1B_IbLb0EEEEDaS17_S18_EUlS17_E_NS1_11comp_targetILNS1_3genE10ELNS1_11target_archE1200ELNS1_3gpuE4ELNS1_3repE0EEENS1_30default_config_static_selectorELNS0_4arch9wavefront6targetE0EEEvT1_: ; @_ZN7rocprim17ROCPRIM_400000_NS6detail17trampoline_kernelINS0_14default_configENS1_25partition_config_selectorILNS1_17partition_subalgoE8ElNS0_10empty_typeEbEEZZNS1_14partition_implILS5_8ELb0ES3_jPlPS6_PKS6_NS0_5tupleIJS9_S6_EEENSD_IJSA_SA_EEENS0_18inequality_wrapperIZN2at6native12_GLOBAL__N_124unique_dim_cuda_templateIsEESt5tupleIJNSH_6TensorESM_SM_EERKSM_lbbbEUlllE0_EEPmJS6_EEE10hipError_tPvRmT3_T4_T5_T6_T7_T9_mT8_P12ihipStream_tbDpT10_ENKUlT_T0_E_clISt17integral_constantIbLb1EES1B_IbLb0EEEEDaS17_S18_EUlS17_E_NS1_11comp_targetILNS1_3genE10ELNS1_11target_archE1200ELNS1_3gpuE4ELNS1_3repE0EEENS1_30default_config_static_selectorELNS0_4arch9wavefront6targetE0EEEvT1_
; %bb.0:
	.section	.rodata,"a",@progbits
	.p2align	6, 0x0
	.amdhsa_kernel _ZN7rocprim17ROCPRIM_400000_NS6detail17trampoline_kernelINS0_14default_configENS1_25partition_config_selectorILNS1_17partition_subalgoE8ElNS0_10empty_typeEbEEZZNS1_14partition_implILS5_8ELb0ES3_jPlPS6_PKS6_NS0_5tupleIJS9_S6_EEENSD_IJSA_SA_EEENS0_18inequality_wrapperIZN2at6native12_GLOBAL__N_124unique_dim_cuda_templateIsEESt5tupleIJNSH_6TensorESM_SM_EERKSM_lbbbEUlllE0_EEPmJS6_EEE10hipError_tPvRmT3_T4_T5_T6_T7_T9_mT8_P12ihipStream_tbDpT10_ENKUlT_T0_E_clISt17integral_constantIbLb1EES1B_IbLb0EEEEDaS17_S18_EUlS17_E_NS1_11comp_targetILNS1_3genE10ELNS1_11target_archE1200ELNS1_3gpuE4ELNS1_3repE0EEENS1_30default_config_static_selectorELNS0_4arch9wavefront6targetE0EEEvT1_
		.amdhsa_group_segment_fixed_size 0
		.amdhsa_private_segment_fixed_size 0
		.amdhsa_kernarg_size 120
		.amdhsa_user_sgpr_count 15
		.amdhsa_user_sgpr_dispatch_ptr 0
		.amdhsa_user_sgpr_queue_ptr 0
		.amdhsa_user_sgpr_kernarg_segment_ptr 1
		.amdhsa_user_sgpr_dispatch_id 0
		.amdhsa_user_sgpr_private_segment_size 0
		.amdhsa_wavefront_size32 1
		.amdhsa_uses_dynamic_stack 0
		.amdhsa_enable_private_segment 0
		.amdhsa_system_sgpr_workgroup_id_x 1
		.amdhsa_system_sgpr_workgroup_id_y 0
		.amdhsa_system_sgpr_workgroup_id_z 0
		.amdhsa_system_sgpr_workgroup_info 0
		.amdhsa_system_vgpr_workitem_id 0
		.amdhsa_next_free_vgpr 1
		.amdhsa_next_free_sgpr 1
		.amdhsa_reserve_vcc 0
		.amdhsa_float_round_mode_32 0
		.amdhsa_float_round_mode_16_64 0
		.amdhsa_float_denorm_mode_32 3
		.amdhsa_float_denorm_mode_16_64 3
		.amdhsa_dx10_clamp 1
		.amdhsa_ieee_mode 1
		.amdhsa_fp16_overflow 0
		.amdhsa_workgroup_processor_mode 1
		.amdhsa_memory_ordered 1
		.amdhsa_forward_progress 0
		.amdhsa_shared_vgpr_count 0
		.amdhsa_exception_fp_ieee_invalid_op 0
		.amdhsa_exception_fp_denorm_src 0
		.amdhsa_exception_fp_ieee_div_zero 0
		.amdhsa_exception_fp_ieee_overflow 0
		.amdhsa_exception_fp_ieee_underflow 0
		.amdhsa_exception_fp_ieee_inexact 0
		.amdhsa_exception_int_div_zero 0
	.end_amdhsa_kernel
	.section	.text._ZN7rocprim17ROCPRIM_400000_NS6detail17trampoline_kernelINS0_14default_configENS1_25partition_config_selectorILNS1_17partition_subalgoE8ElNS0_10empty_typeEbEEZZNS1_14partition_implILS5_8ELb0ES3_jPlPS6_PKS6_NS0_5tupleIJS9_S6_EEENSD_IJSA_SA_EEENS0_18inequality_wrapperIZN2at6native12_GLOBAL__N_124unique_dim_cuda_templateIsEESt5tupleIJNSH_6TensorESM_SM_EERKSM_lbbbEUlllE0_EEPmJS6_EEE10hipError_tPvRmT3_T4_T5_T6_T7_T9_mT8_P12ihipStream_tbDpT10_ENKUlT_T0_E_clISt17integral_constantIbLb1EES1B_IbLb0EEEEDaS17_S18_EUlS17_E_NS1_11comp_targetILNS1_3genE10ELNS1_11target_archE1200ELNS1_3gpuE4ELNS1_3repE0EEENS1_30default_config_static_selectorELNS0_4arch9wavefront6targetE0EEEvT1_,"axG",@progbits,_ZN7rocprim17ROCPRIM_400000_NS6detail17trampoline_kernelINS0_14default_configENS1_25partition_config_selectorILNS1_17partition_subalgoE8ElNS0_10empty_typeEbEEZZNS1_14partition_implILS5_8ELb0ES3_jPlPS6_PKS6_NS0_5tupleIJS9_S6_EEENSD_IJSA_SA_EEENS0_18inequality_wrapperIZN2at6native12_GLOBAL__N_124unique_dim_cuda_templateIsEESt5tupleIJNSH_6TensorESM_SM_EERKSM_lbbbEUlllE0_EEPmJS6_EEE10hipError_tPvRmT3_T4_T5_T6_T7_T9_mT8_P12ihipStream_tbDpT10_ENKUlT_T0_E_clISt17integral_constantIbLb1EES1B_IbLb0EEEEDaS17_S18_EUlS17_E_NS1_11comp_targetILNS1_3genE10ELNS1_11target_archE1200ELNS1_3gpuE4ELNS1_3repE0EEENS1_30default_config_static_selectorELNS0_4arch9wavefront6targetE0EEEvT1_,comdat
.Lfunc_end706:
	.size	_ZN7rocprim17ROCPRIM_400000_NS6detail17trampoline_kernelINS0_14default_configENS1_25partition_config_selectorILNS1_17partition_subalgoE8ElNS0_10empty_typeEbEEZZNS1_14partition_implILS5_8ELb0ES3_jPlPS6_PKS6_NS0_5tupleIJS9_S6_EEENSD_IJSA_SA_EEENS0_18inequality_wrapperIZN2at6native12_GLOBAL__N_124unique_dim_cuda_templateIsEESt5tupleIJNSH_6TensorESM_SM_EERKSM_lbbbEUlllE0_EEPmJS6_EEE10hipError_tPvRmT3_T4_T5_T6_T7_T9_mT8_P12ihipStream_tbDpT10_ENKUlT_T0_E_clISt17integral_constantIbLb1EES1B_IbLb0EEEEDaS17_S18_EUlS17_E_NS1_11comp_targetILNS1_3genE10ELNS1_11target_archE1200ELNS1_3gpuE4ELNS1_3repE0EEENS1_30default_config_static_selectorELNS0_4arch9wavefront6targetE0EEEvT1_, .Lfunc_end706-_ZN7rocprim17ROCPRIM_400000_NS6detail17trampoline_kernelINS0_14default_configENS1_25partition_config_selectorILNS1_17partition_subalgoE8ElNS0_10empty_typeEbEEZZNS1_14partition_implILS5_8ELb0ES3_jPlPS6_PKS6_NS0_5tupleIJS9_S6_EEENSD_IJSA_SA_EEENS0_18inequality_wrapperIZN2at6native12_GLOBAL__N_124unique_dim_cuda_templateIsEESt5tupleIJNSH_6TensorESM_SM_EERKSM_lbbbEUlllE0_EEPmJS6_EEE10hipError_tPvRmT3_T4_T5_T6_T7_T9_mT8_P12ihipStream_tbDpT10_ENKUlT_T0_E_clISt17integral_constantIbLb1EES1B_IbLb0EEEEDaS17_S18_EUlS17_E_NS1_11comp_targetILNS1_3genE10ELNS1_11target_archE1200ELNS1_3gpuE4ELNS1_3repE0EEENS1_30default_config_static_selectorELNS0_4arch9wavefront6targetE0EEEvT1_
                                        ; -- End function
	.section	.AMDGPU.csdata,"",@progbits
; Kernel info:
; codeLenInByte = 0
; NumSgprs: 0
; NumVgprs: 0
; ScratchSize: 0
; MemoryBound: 0
; FloatMode: 240
; IeeeMode: 1
; LDSByteSize: 0 bytes/workgroup (compile time only)
; SGPRBlocks: 0
; VGPRBlocks: 0
; NumSGPRsForWavesPerEU: 1
; NumVGPRsForWavesPerEU: 1
; Occupancy: 15
; WaveLimiterHint : 0
; COMPUTE_PGM_RSRC2:SCRATCH_EN: 0
; COMPUTE_PGM_RSRC2:USER_SGPR: 15
; COMPUTE_PGM_RSRC2:TRAP_HANDLER: 0
; COMPUTE_PGM_RSRC2:TGID_X_EN: 1
; COMPUTE_PGM_RSRC2:TGID_Y_EN: 0
; COMPUTE_PGM_RSRC2:TGID_Z_EN: 0
; COMPUTE_PGM_RSRC2:TIDIG_COMP_CNT: 0
	.section	.text._ZN7rocprim17ROCPRIM_400000_NS6detail17trampoline_kernelINS0_14default_configENS1_25partition_config_selectorILNS1_17partition_subalgoE8ElNS0_10empty_typeEbEEZZNS1_14partition_implILS5_8ELb0ES3_jPlPS6_PKS6_NS0_5tupleIJS9_S6_EEENSD_IJSA_SA_EEENS0_18inequality_wrapperIZN2at6native12_GLOBAL__N_124unique_dim_cuda_templateIsEESt5tupleIJNSH_6TensorESM_SM_EERKSM_lbbbEUlllE0_EEPmJS6_EEE10hipError_tPvRmT3_T4_T5_T6_T7_T9_mT8_P12ihipStream_tbDpT10_ENKUlT_T0_E_clISt17integral_constantIbLb1EES1B_IbLb0EEEEDaS17_S18_EUlS17_E_NS1_11comp_targetILNS1_3genE9ELNS1_11target_archE1100ELNS1_3gpuE3ELNS1_3repE0EEENS1_30default_config_static_selectorELNS0_4arch9wavefront6targetE0EEEvT1_,"axG",@progbits,_ZN7rocprim17ROCPRIM_400000_NS6detail17trampoline_kernelINS0_14default_configENS1_25partition_config_selectorILNS1_17partition_subalgoE8ElNS0_10empty_typeEbEEZZNS1_14partition_implILS5_8ELb0ES3_jPlPS6_PKS6_NS0_5tupleIJS9_S6_EEENSD_IJSA_SA_EEENS0_18inequality_wrapperIZN2at6native12_GLOBAL__N_124unique_dim_cuda_templateIsEESt5tupleIJNSH_6TensorESM_SM_EERKSM_lbbbEUlllE0_EEPmJS6_EEE10hipError_tPvRmT3_T4_T5_T6_T7_T9_mT8_P12ihipStream_tbDpT10_ENKUlT_T0_E_clISt17integral_constantIbLb1EES1B_IbLb0EEEEDaS17_S18_EUlS17_E_NS1_11comp_targetILNS1_3genE9ELNS1_11target_archE1100ELNS1_3gpuE3ELNS1_3repE0EEENS1_30default_config_static_selectorELNS0_4arch9wavefront6targetE0EEEvT1_,comdat
	.globl	_ZN7rocprim17ROCPRIM_400000_NS6detail17trampoline_kernelINS0_14default_configENS1_25partition_config_selectorILNS1_17partition_subalgoE8ElNS0_10empty_typeEbEEZZNS1_14partition_implILS5_8ELb0ES3_jPlPS6_PKS6_NS0_5tupleIJS9_S6_EEENSD_IJSA_SA_EEENS0_18inequality_wrapperIZN2at6native12_GLOBAL__N_124unique_dim_cuda_templateIsEESt5tupleIJNSH_6TensorESM_SM_EERKSM_lbbbEUlllE0_EEPmJS6_EEE10hipError_tPvRmT3_T4_T5_T6_T7_T9_mT8_P12ihipStream_tbDpT10_ENKUlT_T0_E_clISt17integral_constantIbLb1EES1B_IbLb0EEEEDaS17_S18_EUlS17_E_NS1_11comp_targetILNS1_3genE9ELNS1_11target_archE1100ELNS1_3gpuE3ELNS1_3repE0EEENS1_30default_config_static_selectorELNS0_4arch9wavefront6targetE0EEEvT1_ ; -- Begin function _ZN7rocprim17ROCPRIM_400000_NS6detail17trampoline_kernelINS0_14default_configENS1_25partition_config_selectorILNS1_17partition_subalgoE8ElNS0_10empty_typeEbEEZZNS1_14partition_implILS5_8ELb0ES3_jPlPS6_PKS6_NS0_5tupleIJS9_S6_EEENSD_IJSA_SA_EEENS0_18inequality_wrapperIZN2at6native12_GLOBAL__N_124unique_dim_cuda_templateIsEESt5tupleIJNSH_6TensorESM_SM_EERKSM_lbbbEUlllE0_EEPmJS6_EEE10hipError_tPvRmT3_T4_T5_T6_T7_T9_mT8_P12ihipStream_tbDpT10_ENKUlT_T0_E_clISt17integral_constantIbLb1EES1B_IbLb0EEEEDaS17_S18_EUlS17_E_NS1_11comp_targetILNS1_3genE9ELNS1_11target_archE1100ELNS1_3gpuE3ELNS1_3repE0EEENS1_30default_config_static_selectorELNS0_4arch9wavefront6targetE0EEEvT1_
	.p2align	8
	.type	_ZN7rocprim17ROCPRIM_400000_NS6detail17trampoline_kernelINS0_14default_configENS1_25partition_config_selectorILNS1_17partition_subalgoE8ElNS0_10empty_typeEbEEZZNS1_14partition_implILS5_8ELb0ES3_jPlPS6_PKS6_NS0_5tupleIJS9_S6_EEENSD_IJSA_SA_EEENS0_18inequality_wrapperIZN2at6native12_GLOBAL__N_124unique_dim_cuda_templateIsEESt5tupleIJNSH_6TensorESM_SM_EERKSM_lbbbEUlllE0_EEPmJS6_EEE10hipError_tPvRmT3_T4_T5_T6_T7_T9_mT8_P12ihipStream_tbDpT10_ENKUlT_T0_E_clISt17integral_constantIbLb1EES1B_IbLb0EEEEDaS17_S18_EUlS17_E_NS1_11comp_targetILNS1_3genE9ELNS1_11target_archE1100ELNS1_3gpuE3ELNS1_3repE0EEENS1_30default_config_static_selectorELNS0_4arch9wavefront6targetE0EEEvT1_,@function
_ZN7rocprim17ROCPRIM_400000_NS6detail17trampoline_kernelINS0_14default_configENS1_25partition_config_selectorILNS1_17partition_subalgoE8ElNS0_10empty_typeEbEEZZNS1_14partition_implILS5_8ELb0ES3_jPlPS6_PKS6_NS0_5tupleIJS9_S6_EEENSD_IJSA_SA_EEENS0_18inequality_wrapperIZN2at6native12_GLOBAL__N_124unique_dim_cuda_templateIsEESt5tupleIJNSH_6TensorESM_SM_EERKSM_lbbbEUlllE0_EEPmJS6_EEE10hipError_tPvRmT3_T4_T5_T6_T7_T9_mT8_P12ihipStream_tbDpT10_ENKUlT_T0_E_clISt17integral_constantIbLb1EES1B_IbLb0EEEEDaS17_S18_EUlS17_E_NS1_11comp_targetILNS1_3genE9ELNS1_11target_archE1100ELNS1_3gpuE3ELNS1_3repE0EEENS1_30default_config_static_selectorELNS0_4arch9wavefront6targetE0EEEvT1_: ; @_ZN7rocprim17ROCPRIM_400000_NS6detail17trampoline_kernelINS0_14default_configENS1_25partition_config_selectorILNS1_17partition_subalgoE8ElNS0_10empty_typeEbEEZZNS1_14partition_implILS5_8ELb0ES3_jPlPS6_PKS6_NS0_5tupleIJS9_S6_EEENSD_IJSA_SA_EEENS0_18inequality_wrapperIZN2at6native12_GLOBAL__N_124unique_dim_cuda_templateIsEESt5tupleIJNSH_6TensorESM_SM_EERKSM_lbbbEUlllE0_EEPmJS6_EEE10hipError_tPvRmT3_T4_T5_T6_T7_T9_mT8_P12ihipStream_tbDpT10_ENKUlT_T0_E_clISt17integral_constantIbLb1EES1B_IbLb0EEEEDaS17_S18_EUlS17_E_NS1_11comp_targetILNS1_3genE9ELNS1_11target_archE1100ELNS1_3gpuE3ELNS1_3repE0EEENS1_30default_config_static_selectorELNS0_4arch9wavefront6targetE0EEEvT1_
; %bb.0:
	s_clause 0x3
	s_load_b128 s[4:7], s[0:1], 0x8
	s_load_b256 s[16:23], s[0:1], 0x40
	s_load_b32 s14, s[0:1], 0x70
	s_load_b128 s[8:11], s[0:1], 0x60
	s_mov_b32 s3, 0
	v_lshlrev_b32_e32 v39, 3, v0
	v_lshrrev_b32_e32 v17, 2, v0
	v_or_b32_e32 v24, 0x200, v0
	v_or_b32_e32 v22, 0x400, v0
	;; [unrolled: 1-line block ×7, first 2 shown]
	s_waitcnt lgkmcnt(0)
	s_lshl_b64 s[24:25], s[6:7], 3
	s_load_b64 s[12:13], s[18:19], 0x0
	s_add_u32 s26, s4, s24
	s_addc_u32 s5, s5, s25
	s_add_i32 s24, s14, -1
	s_lshl_b32 s14, s14, 12
	s_lshl_b32 s4, s24, 12
	;; [unrolled: 1-line block ×3, first 2 shown]
	s_add_i32 s4, s6, s4
	s_add_u32 s18, s6, s14
	s_addc_u32 s19, s7, 0
	s_cmp_eq_u32 s15, s24
	v_cmp_ge_u64_e64 s18, s[18:19], s[20:21]
	s_cselect_b32 s14, -1, 0
	s_lshl_b64 s[2:3], s[2:3], 3
	s_delay_alu instid0(VALU_DEP_1) | instskip(NEXT) | instid1(SALU_CYCLE_1)
	s_and_b32 s24, s14, s18
	s_xor_b32 s21, s24, -1
	s_add_u32 s2, s26, s2
	s_addc_u32 s3, s5, s3
	s_and_b32 vcc_lo, exec_lo, s21
	s_mov_b32 s5, -1
	s_cbranch_vccz .LBB707_2
; %bb.1:
	v_add_co_u32 v9, s5, s2, v39
	s_delay_alu instid0(VALU_DEP_1)
	v_add_co_ci_u32_e64 v10, null, s3, 0, s5
	global_load_b64 v[1:2], v39, s[2:3]
	v_add_co_u32 v3, vcc_lo, v9, 0x2000
	v_add_co_ci_u32_e32 v4, vcc_lo, 0, v10, vcc_lo
	v_add_co_u32 v5, vcc_lo, v9, 0x4000
	v_add_co_ci_u32_e32 v6, vcc_lo, 0, v10, vcc_lo
	v_add_co_u32 v7, vcc_lo, v9, 0x6000
	v_add_co_ci_u32_e32 v8, vcc_lo, 0, v10, vcc_lo
	v_add_co_u32 v9, vcc_lo, 0x7000, v9
	v_add_co_ci_u32_e32 v10, vcc_lo, 0, v10, vcc_lo
	s_clause 0x6
	global_load_b64 v[11:12], v[3:4], off offset:-4096
	global_load_b64 v[3:4], v[3:4], off
	global_load_b64 v[13:14], v[5:6], off offset:-4096
	global_load_b64 v[5:6], v[5:6], off
	;; [unrolled: 2-line block ×3, first 2 shown]
	global_load_b64 v[9:10], v[9:10], off
	v_lshrrev_b32_e32 v26, 2, v24
	v_lshrrev_b32_e32 v27, 2, v22
	;; [unrolled: 1-line block ×4, first 2 shown]
	v_and_b32_e32 v25, 0x78, v17
	v_lshrrev_b32_e32 v30, 2, v20
	v_lshrrev_b32_e32 v31, 2, v19
	;; [unrolled: 1-line block ×3, first 2 shown]
	v_and_b32_e32 v26, 0xf8, v26
	v_and_b32_e32 v27, 0x178, v27
	;; [unrolled: 1-line block ×4, first 2 shown]
	v_add_nc_u32_e32 v25, v25, v39
	v_and_b32_e32 v30, 0x2f8, v30
	v_and_b32_e32 v31, 0x378, v31
	;; [unrolled: 1-line block ×3, first 2 shown]
	v_add_nc_u32_e32 v26, v26, v39
	v_add_nc_u32_e32 v27, v27, v39
	;; [unrolled: 1-line block ×4, first 2 shown]
	s_mov_b32 s5, 0
	v_add_nc_u32_e32 v30, v30, v39
	v_add_nc_u32_e32 v31, v31, v39
	;; [unrolled: 1-line block ×3, first 2 shown]
	s_waitcnt vmcnt(7)
	ds_store_b64 v25, v[1:2]
	s_waitcnt vmcnt(6)
	ds_store_b64 v26, v[11:12] offset:4096
	s_waitcnt vmcnt(5)
	ds_store_b64 v27, v[3:4] offset:8192
	;; [unrolled: 2-line block ×7, first 2 shown]
	s_waitcnt lgkmcnt(0)
	s_barrier
.LBB707_2:
	s_and_not1_b32 vcc_lo, exec_lo, s5
	s_sub_i32 s20, s20, s4
	s_cbranch_vccnz .LBB707_13
; %bb.3:
	s_mov_b32 s4, exec_lo
                                        ; implicit-def: $vgpr1_vgpr2_vgpr3_vgpr4_vgpr5_vgpr6_vgpr7_vgpr8_vgpr9_vgpr10_vgpr11_vgpr12_vgpr13_vgpr14_vgpr15_vgpr16
	v_cmpx_gt_u32_e64 s20, v0
	s_cbranch_execnz .LBB707_23
; %bb.4:
	s_or_b32 exec_lo, exec_lo, s4
	s_delay_alu instid0(SALU_CYCLE_1)
	s_mov_b32 s4, exec_lo
	v_cmpx_gt_u32_e64 s20, v24
	s_cbranch_execnz .LBB707_24
.LBB707_5:
	s_or_b32 exec_lo, exec_lo, s4
	s_delay_alu instid0(SALU_CYCLE_1)
	s_mov_b32 s4, exec_lo
	v_cmpx_gt_u32_e64 s20, v22
	s_cbranch_execnz .LBB707_25
.LBB707_6:
	s_or_b32 exec_lo, exec_lo, s4
	s_delay_alu instid0(SALU_CYCLE_1)
	s_mov_b32 s4, exec_lo
	v_cmpx_gt_u32_e64 s20, v23
	s_cbranch_execnz .LBB707_26
.LBB707_7:
	s_or_b32 exec_lo, exec_lo, s4
	s_delay_alu instid0(SALU_CYCLE_1)
	s_mov_b32 s4, exec_lo
	v_cmpx_gt_u32_e64 s20, v21
	s_cbranch_execnz .LBB707_27
.LBB707_8:
	s_or_b32 exec_lo, exec_lo, s4
	s_delay_alu instid0(SALU_CYCLE_1)
	s_mov_b32 s4, exec_lo
	v_cmpx_gt_u32_e64 s20, v20
	s_cbranch_execnz .LBB707_28
.LBB707_9:
	s_or_b32 exec_lo, exec_lo, s4
	s_delay_alu instid0(SALU_CYCLE_1)
	s_mov_b32 s4, exec_lo
	v_cmpx_gt_u32_e64 s20, v19
	s_cbranch_execnz .LBB707_29
.LBB707_10:
	s_or_b32 exec_lo, exec_lo, s4
	s_delay_alu instid0(SALU_CYCLE_1)
	s_mov_b32 s4, exec_lo
	v_cmpx_gt_u32_e64 s20, v18
	s_cbranch_execz .LBB707_12
.LBB707_11:
	v_lshlrev_b32_e32 v15, 3, v18
	global_load_b64 v[15:16], v15, s[2:3]
.LBB707_12:
	s_or_b32 exec_lo, exec_lo, s4
	v_lshrrev_b32_e32 v24, 2, v24
	v_lshrrev_b32_e32 v22, 2, v22
	;; [unrolled: 1-line block ×4, first 2 shown]
	v_and_b32_e32 v25, 0x78, v17
	v_lshrrev_b32_e32 v20, 2, v20
	v_lshrrev_b32_e32 v19, 2, v19
	;; [unrolled: 1-line block ×3, first 2 shown]
	v_and_b32_e32 v24, 0xf8, v24
	v_and_b32_e32 v22, 0x1f8, v22
	;; [unrolled: 1-line block ×4, first 2 shown]
	v_add_nc_u32_e32 v25, v25, v39
	v_and_b32_e32 v20, 0x3f8, v20
	v_and_b32_e32 v19, 0x3f8, v19
	;; [unrolled: 1-line block ×3, first 2 shown]
	v_add_nc_u32_e32 v24, v24, v39
	v_add_nc_u32_e32 v22, v22, v39
	;; [unrolled: 1-line block ×7, first 2 shown]
	s_waitcnt vmcnt(0)
	ds_store_b64 v25, v[1:2]
	ds_store_b64 v24, v[3:4] offset:4096
	ds_store_b64 v22, v[5:6] offset:8192
	;; [unrolled: 1-line block ×7, first 2 shown]
	s_waitcnt lgkmcnt(0)
	s_barrier
.LBB707_13:
	v_add_lshl_u32 v1, v17, v39, 3
	s_waitcnt lgkmcnt(0)
	buffer_gl0_inv
	s_cmp_lg_u32 s15, 0
	v_cmp_gt_i64_e64 s26, s[22:23], 0
	s_cselect_b32 s25, -1, 0
	ds_load_2addr_b64 v[13:16], v1 offset1:1
	ds_load_2addr_b64 v[9:12], v1 offset0:2 offset1:3
	ds_load_2addr_b64 v[5:8], v1 offset0:4 offset1:5
	;; [unrolled: 1-line block ×3, first 2 shown]
	s_cmp_lg_u64 s[6:7], 0
	s_mov_b32 s18, 0
	s_cselect_b32 s4, -1, 0
	s_waitcnt lgkmcnt(0)
	s_or_b32 s4, s25, s4
	s_barrier
	s_and_b32 vcc_lo, exec_lo, s4
	buffer_gl0_inv
	s_cbranch_vccz .LBB707_22
; %bb.14:
	s_add_u32 s2, s2, -8
	s_addc_u32 s3, s3, -1
	v_cndmask_b32_e64 v25, 0, 1, s26
	s_load_b64 s[4:5], s[2:3], 0x0
	s_and_b32 vcc_lo, exec_lo, s21
	ds_store_b64 v39, v[3:4]
	v_cmp_ne_u32_e64 s2, 1, v25
	s_cbranch_vccz .LBB707_30
; %bb.15:
	v_mul_lo_u32 v19, v2, s22
	v_mul_lo_u32 v20, v1, s23
	v_mad_u64_u32 v[17:18], null, v1, s22, 0
	s_mov_b32 s3, 0
	s_and_b32 vcc_lo, exec_lo, s2
	s_mov_b32 s27, 0
	s_delay_alu instid0(VALU_DEP_1) | instskip(NEXT) | instid1(VALU_DEP_1)
	v_add3_u32 v18, v18, v20, v19
	v_lshlrev_b64 v[17:18], 1, v[17:18]
	s_cbranch_vccnz .LBB707_33
; %bb.16:
	v_mul_lo_u32 v21, v4, s22
	v_mul_lo_u32 v22, v3, s23
	v_mad_u64_u32 v[19:20], null, v3, s22, 0
	s_mov_b32 s27, -1
	s_mov_b32 s28, exec_lo
	s_delay_alu instid0(VALU_DEP_1) | instskip(SKIP_2) | instid1(VALU_DEP_3)
	v_add3_u32 v20, v20, v22, v21
	v_add_co_u32 v21, vcc_lo, s8, v17
	v_add_co_ci_u32_e32 v22, vcc_lo, s9, v18, vcc_lo
	v_lshlrev_b64 v[19:20], 1, v[19:20]
	s_delay_alu instid0(VALU_DEP_1) | instskip(NEXT) | instid1(VALU_DEP_2)
	v_add_co_u32 v19, vcc_lo, s8, v19
	v_add_co_ci_u32_e32 v20, vcc_lo, s9, v20, vcc_lo
	s_clause 0x1
	global_load_u16 v23, v[21:22], off
	global_load_u16 v24, v[19:20], off
	s_waitcnt vmcnt(0)
	v_cmpx_eq_u16_e64 v23, v24
	s_cbranch_execz .LBB707_32
; %bb.17:
	v_add_co_u32 v19, vcc_lo, v19, 2
	v_add_co_ci_u32_e32 v20, vcc_lo, 0, v20, vcc_lo
	v_add_co_u32 v21, vcc_lo, v21, 2
	v_add_co_ci_u32_e32 v22, vcc_lo, 0, v22, vcc_lo
	s_add_u32 s6, s22, -1
	s_addc_u32 s7, s23, -1
	s_mov_b64 s[18:19], 0
	s_mov_b32 s27, 0
                                        ; implicit-def: $sgpr29
	s_set_inst_prefetch_distance 0x1
	s_branch .LBB707_20
	.p2align	6
.LBB707_18:                             ;   in Loop: Header=BB707_20 Depth=1
	global_load_u16 v23, v[21:22], off
	global_load_u16 v24, v[19:20], off
	v_add_co_u32 v19, vcc_lo, v19, 2
	v_add_co_ci_u32_e32 v20, vcc_lo, 0, v20, vcc_lo
	v_add_co_u32 v21, s2, v21, 2
	s_delay_alu instid0(VALU_DEP_1)
	v_add_co_ci_u32_e64 v22, s2, 0, v22, s2
	s_add_u32 s18, s18, 1
	s_addc_u32 s19, s19, 0
	s_and_not1_b32 s2, s29, exec_lo
	s_waitcnt vmcnt(0)
	v_cmp_ne_u16_e32 vcc_lo, v23, v24
	s_and_b32 s29, vcc_lo, exec_lo
	s_delay_alu instid0(SALU_CYCLE_1)
	s_or_b32 s29, s2, s29
.LBB707_19:                             ;   in Loop: Header=BB707_20 Depth=1
	v_dual_mov_b32 v24, s19 :: v_dual_mov_b32 v23, s18
	s_and_b32 s2, exec_lo, s29
	s_delay_alu instid0(SALU_CYCLE_1) | instskip(NEXT) | instid1(SALU_CYCLE_1)
	s_or_b32 s27, s2, s27
	s_and_not1_b32 exec_lo, exec_lo, s27
	s_cbranch_execz .LBB707_31
.LBB707_20:                             ; =>This Inner Loop Header: Depth=1
	s_or_b32 s29, s29, exec_lo
	s_cmp_eq_u64 s[6:7], s[18:19]
	s_cbranch_scc0 .LBB707_18
; %bb.21:                               ;   in Loop: Header=BB707_20 Depth=1
	s_mov_b64 s[18:19], s[22:23]
                                        ; implicit-def: $vgpr19_vgpr20
                                        ; implicit-def: $vgpr21_vgpr22
	s_branch .LBB707_19
.LBB707_22:
                                        ; implicit-def: $sgpr2
                                        ; implicit-def: $vgpr18
	s_branch .LBB707_191
.LBB707_23:
	global_load_b64 v[1:2], v39, s[2:3]
	s_or_b32 exec_lo, exec_lo, s4
	s_delay_alu instid0(SALU_CYCLE_1)
	s_mov_b32 s4, exec_lo
	v_cmpx_gt_u32_e64 s20, v24
	s_cbranch_execz .LBB707_5
.LBB707_24:
	v_lshlrev_b32_e32 v3, 3, v24
	global_load_b64 v[3:4], v3, s[2:3]
	s_or_b32 exec_lo, exec_lo, s4
	s_delay_alu instid0(SALU_CYCLE_1)
	s_mov_b32 s4, exec_lo
	v_cmpx_gt_u32_e64 s20, v22
	s_cbranch_execz .LBB707_6
.LBB707_25:
	v_lshlrev_b32_e32 v5, 3, v22
	global_load_b64 v[5:6], v5, s[2:3]
	s_or_b32 exec_lo, exec_lo, s4
	s_delay_alu instid0(SALU_CYCLE_1)
	s_mov_b32 s4, exec_lo
	v_cmpx_gt_u32_e64 s20, v23
	s_cbranch_execz .LBB707_7
.LBB707_26:
	v_lshlrev_b32_e32 v7, 3, v23
	global_load_b64 v[7:8], v7, s[2:3]
	s_or_b32 exec_lo, exec_lo, s4
	s_delay_alu instid0(SALU_CYCLE_1)
	s_mov_b32 s4, exec_lo
	v_cmpx_gt_u32_e64 s20, v21
	s_cbranch_execz .LBB707_8
.LBB707_27:
	v_lshlrev_b32_e32 v9, 3, v21
	global_load_b64 v[9:10], v9, s[2:3]
	s_or_b32 exec_lo, exec_lo, s4
	s_delay_alu instid0(SALU_CYCLE_1)
	s_mov_b32 s4, exec_lo
	v_cmpx_gt_u32_e64 s20, v20
	s_cbranch_execz .LBB707_9
.LBB707_28:
	v_lshlrev_b32_e32 v11, 3, v20
	global_load_b64 v[11:12], v11, s[2:3]
	s_or_b32 exec_lo, exec_lo, s4
	s_delay_alu instid0(SALU_CYCLE_1)
	s_mov_b32 s4, exec_lo
	v_cmpx_gt_u32_e64 s20, v19
	s_cbranch_execz .LBB707_10
.LBB707_29:
	v_lshlrev_b32_e32 v13, 3, v19
	global_load_b64 v[13:14], v13, s[2:3]
	s_or_b32 exec_lo, exec_lo, s4
	s_delay_alu instid0(SALU_CYCLE_1)
	s_mov_b32 s4, exec_lo
	v_cmpx_gt_u32_e64 s20, v18
	s_cbranch_execnz .LBB707_11
	s_branch .LBB707_12
.LBB707_30:
                                        ; implicit-def: $sgpr2
                                        ; implicit-def: $vgpr18
	s_cbranch_execnz .LBB707_99
	s_branch .LBB707_190
.LBB707_31:
	s_set_inst_prefetch_distance 0x2
	s_or_b32 exec_lo, exec_lo, s27
	v_cmp_gt_i64_e32 vcc_lo, s[22:23], v[23:24]
	s_or_not1_b32 s27, vcc_lo, exec_lo
.LBB707_32:
	s_or_b32 exec_lo, exec_lo, s28
.LBB707_33:
	v_mul_lo_u32 v21, v8, s22
	v_mul_lo_u32 v22, v7, s23
	v_mad_u64_u32 v[19:20], null, v7, s22, 0
	s_and_not1_b32 vcc_lo, exec_lo, s26
	s_delay_alu instid0(VALU_DEP_1) | instskip(NEXT) | instid1(VALU_DEP_1)
	v_add3_u32 v20, v20, v22, v21
	v_lshlrev_b64 v[19:20], 1, v[19:20]
	s_cbranch_vccnz .LBB707_42
; %bb.34:
	s_delay_alu instid0(VALU_DEP_1) | instskip(NEXT) | instid1(VALU_DEP_2)
	v_add_co_u32 v21, vcc_lo, s8, v19
	v_add_co_ci_u32_e32 v22, vcc_lo, s9, v20, vcc_lo
	v_add_co_u32 v17, vcc_lo, s8, v17
	v_add_co_ci_u32_e32 v18, vcc_lo, s9, v18, vcc_lo
	s_mov_b32 s3, -1
	s_clause 0x1
	global_load_u16 v23, v[21:22], off
	global_load_u16 v24, v[17:18], off
	s_mov_b32 s28, exec_lo
	s_waitcnt vmcnt(0)
	v_cmpx_eq_u16_e64 v23, v24
	s_cbranch_execz .LBB707_41
; %bb.35:
	v_add_co_u32 v17, vcc_lo, v17, 2
	v_add_co_ci_u32_e32 v18, vcc_lo, 0, v18, vcc_lo
	v_add_co_u32 v21, vcc_lo, v21, 2
	v_add_co_ci_u32_e32 v22, vcc_lo, 0, v22, vcc_lo
	s_add_u32 s6, s22, -1
	s_addc_u32 s7, s23, -1
	s_mov_b64 s[18:19], 0
	s_mov_b32 s3, 0
                                        ; implicit-def: $sgpr29
	s_set_inst_prefetch_distance 0x1
	s_branch .LBB707_38
	.p2align	6
.LBB707_36:                             ;   in Loop: Header=BB707_38 Depth=1
	global_load_u16 v23, v[21:22], off
	global_load_u16 v24, v[17:18], off
	v_add_co_u32 v17, vcc_lo, v17, 2
	v_add_co_ci_u32_e32 v18, vcc_lo, 0, v18, vcc_lo
	v_add_co_u32 v21, s2, v21, 2
	s_delay_alu instid0(VALU_DEP_1)
	v_add_co_ci_u32_e64 v22, s2, 0, v22, s2
	s_add_u32 s18, s18, 1
	s_addc_u32 s19, s19, 0
	s_and_not1_b32 s2, s29, exec_lo
	s_waitcnt vmcnt(0)
	v_cmp_ne_u16_e32 vcc_lo, v23, v24
	s_and_b32 s29, vcc_lo, exec_lo
	s_delay_alu instid0(SALU_CYCLE_1)
	s_or_b32 s29, s2, s29
.LBB707_37:                             ;   in Loop: Header=BB707_38 Depth=1
	v_dual_mov_b32 v24, s19 :: v_dual_mov_b32 v23, s18
	s_and_b32 s2, exec_lo, s29
	s_delay_alu instid0(SALU_CYCLE_1) | instskip(NEXT) | instid1(SALU_CYCLE_1)
	s_or_b32 s3, s2, s3
	s_and_not1_b32 exec_lo, exec_lo, s3
	s_cbranch_execz .LBB707_40
.LBB707_38:                             ; =>This Inner Loop Header: Depth=1
	s_or_b32 s29, s29, exec_lo
	s_cmp_eq_u64 s[6:7], s[18:19]
	s_cbranch_scc0 .LBB707_36
; %bb.39:                               ;   in Loop: Header=BB707_38 Depth=1
	s_mov_b64 s[18:19], s[22:23]
                                        ; implicit-def: $vgpr17_vgpr18
                                        ; implicit-def: $vgpr21_vgpr22
	s_branch .LBB707_37
.LBB707_40:
	s_set_inst_prefetch_distance 0x2
	s_or_b32 exec_lo, exec_lo, s3
	v_cmp_gt_i64_e32 vcc_lo, s[22:23], v[23:24]
	s_or_not1_b32 s3, vcc_lo, exec_lo
.LBB707_41:
	s_or_b32 exec_lo, exec_lo, s28
.LBB707_42:
	v_mul_lo_u32 v21, v6, s22
	v_mul_lo_u32 v22, v5, s23
	v_mad_u64_u32 v[17:18], null, v5, s22, 0
	s_mov_b32 s28, 0
	s_and_not1_b32 vcc_lo, exec_lo, s26
	s_mov_b32 s29, 0
	s_delay_alu instid0(VALU_DEP_1) | instskip(NEXT) | instid1(VALU_DEP_1)
	v_add3_u32 v18, v18, v22, v21
	v_lshlrev_b64 v[21:22], 1, v[17:18]
	s_cbranch_vccnz .LBB707_51
; %bb.43:
	s_delay_alu instid0(VALU_DEP_1) | instskip(NEXT) | instid1(VALU_DEP_2)
	v_add_co_u32 v23, vcc_lo, s8, v21
	v_add_co_ci_u32_e32 v24, vcc_lo, s9, v22, vcc_lo
	v_add_co_u32 v17, vcc_lo, s8, v19
	v_add_co_ci_u32_e32 v18, vcc_lo, s9, v20, vcc_lo
	s_mov_b32 s29, -1
	s_clause 0x1
	global_load_u16 v19, v[23:24], off
	global_load_u16 v20, v[17:18], off
	s_mov_b32 s30, exec_lo
	s_waitcnt vmcnt(0)
	v_cmpx_eq_u16_e64 v19, v20
	s_cbranch_execz .LBB707_50
; %bb.44:
	v_add_co_u32 v17, vcc_lo, v17, 2
	v_add_co_ci_u32_e32 v18, vcc_lo, 0, v18, vcc_lo
	v_add_co_u32 v19, vcc_lo, v23, 2
	v_add_co_ci_u32_e32 v20, vcc_lo, 0, v24, vcc_lo
	s_add_u32 s6, s22, -1
	s_addc_u32 s7, s23, -1
	s_mov_b64 s[18:19], 0
	s_mov_b32 s29, 0
                                        ; implicit-def: $sgpr31
	s_set_inst_prefetch_distance 0x1
	s_branch .LBB707_47
	.p2align	6
.LBB707_45:                             ;   in Loop: Header=BB707_47 Depth=1
	global_load_u16 v23, v[19:20], off
	global_load_u16 v24, v[17:18], off
	v_add_co_u32 v17, vcc_lo, v17, 2
	v_add_co_ci_u32_e32 v18, vcc_lo, 0, v18, vcc_lo
	v_add_co_u32 v19, s2, v19, 2
	s_delay_alu instid0(VALU_DEP_1)
	v_add_co_ci_u32_e64 v20, s2, 0, v20, s2
	s_add_u32 s18, s18, 1
	s_addc_u32 s19, s19, 0
	s_and_not1_b32 s2, s31, exec_lo
	s_waitcnt vmcnt(0)
	v_cmp_ne_u16_e32 vcc_lo, v23, v24
	s_and_b32 s31, vcc_lo, exec_lo
	s_delay_alu instid0(SALU_CYCLE_1)
	s_or_b32 s31, s2, s31
.LBB707_46:                             ;   in Loop: Header=BB707_47 Depth=1
	v_dual_mov_b32 v24, s19 :: v_dual_mov_b32 v23, s18
	s_and_b32 s2, exec_lo, s31
	s_delay_alu instid0(SALU_CYCLE_1) | instskip(NEXT) | instid1(SALU_CYCLE_1)
	s_or_b32 s29, s2, s29
	s_and_not1_b32 exec_lo, exec_lo, s29
	s_cbranch_execz .LBB707_49
.LBB707_47:                             ; =>This Inner Loop Header: Depth=1
	s_or_b32 s31, s31, exec_lo
	s_cmp_eq_u64 s[6:7], s[18:19]
	s_cbranch_scc0 .LBB707_45
; %bb.48:                               ;   in Loop: Header=BB707_47 Depth=1
	s_mov_b64 s[18:19], s[22:23]
                                        ; implicit-def: $vgpr17_vgpr18
                                        ; implicit-def: $vgpr19_vgpr20
	s_branch .LBB707_46
.LBB707_49:
	s_set_inst_prefetch_distance 0x2
	s_or_b32 exec_lo, exec_lo, s29
	v_cmp_gt_i64_e32 vcc_lo, s[22:23], v[23:24]
	s_or_not1_b32 s29, vcc_lo, exec_lo
.LBB707_50:
	s_or_b32 exec_lo, exec_lo, s30
.LBB707_51:
	v_mul_lo_u32 v19, v12, s22
	v_mul_lo_u32 v20, v11, s23
	v_mad_u64_u32 v[17:18], null, v11, s22, 0
	s_and_not1_b32 vcc_lo, exec_lo, s26
	s_delay_alu instid0(VALU_DEP_1) | instskip(NEXT) | instid1(VALU_DEP_1)
	v_add3_u32 v18, v18, v20, v19
	v_lshlrev_b64 v[17:18], 1, v[17:18]
	s_cbranch_vccnz .LBB707_60
; %bb.52:
	s_delay_alu instid0(VALU_DEP_1) | instskip(NEXT) | instid1(VALU_DEP_2)
	v_add_co_u32 v23, vcc_lo, s8, v17
	v_add_co_ci_u32_e32 v24, vcc_lo, s9, v18, vcc_lo
	v_add_co_u32 v19, vcc_lo, s8, v21
	v_add_co_ci_u32_e32 v20, vcc_lo, s9, v22, vcc_lo
	s_mov_b32 s28, -1
	s_clause 0x1
	global_load_u16 v21, v[23:24], off
	global_load_u16 v22, v[19:20], off
	s_mov_b32 s30, exec_lo
	s_waitcnt vmcnt(0)
	v_cmpx_eq_u16_e64 v21, v22
	s_cbranch_execz .LBB707_59
; %bb.53:
	v_add_co_u32 v19, vcc_lo, v19, 2
	v_add_co_ci_u32_e32 v20, vcc_lo, 0, v20, vcc_lo
	v_add_co_u32 v21, vcc_lo, v23, 2
	v_add_co_ci_u32_e32 v22, vcc_lo, 0, v24, vcc_lo
	s_add_u32 s6, s22, -1
	s_addc_u32 s7, s23, -1
	s_mov_b64 s[18:19], 0
	s_mov_b32 s28, 0
                                        ; implicit-def: $sgpr31
	s_set_inst_prefetch_distance 0x1
	s_branch .LBB707_56
	.p2align	6
.LBB707_54:                             ;   in Loop: Header=BB707_56 Depth=1
	global_load_u16 v23, v[21:22], off
	global_load_u16 v24, v[19:20], off
	v_add_co_u32 v19, vcc_lo, v19, 2
	v_add_co_ci_u32_e32 v20, vcc_lo, 0, v20, vcc_lo
	v_add_co_u32 v21, s2, v21, 2
	s_delay_alu instid0(VALU_DEP_1)
	v_add_co_ci_u32_e64 v22, s2, 0, v22, s2
	s_add_u32 s18, s18, 1
	s_addc_u32 s19, s19, 0
	s_and_not1_b32 s2, s31, exec_lo
	s_waitcnt vmcnt(0)
	v_cmp_ne_u16_e32 vcc_lo, v23, v24
	s_and_b32 s31, vcc_lo, exec_lo
	s_delay_alu instid0(SALU_CYCLE_1)
	s_or_b32 s31, s2, s31
.LBB707_55:                             ;   in Loop: Header=BB707_56 Depth=1
	v_dual_mov_b32 v24, s19 :: v_dual_mov_b32 v23, s18
	s_and_b32 s2, exec_lo, s31
	s_delay_alu instid0(SALU_CYCLE_1) | instskip(NEXT) | instid1(SALU_CYCLE_1)
	s_or_b32 s28, s2, s28
	s_and_not1_b32 exec_lo, exec_lo, s28
	s_cbranch_execz .LBB707_58
.LBB707_56:                             ; =>This Inner Loop Header: Depth=1
	s_or_b32 s31, s31, exec_lo
	s_cmp_eq_u64 s[6:7], s[18:19]
	s_cbranch_scc0 .LBB707_54
; %bb.57:                               ;   in Loop: Header=BB707_56 Depth=1
	s_mov_b64 s[18:19], s[22:23]
                                        ; implicit-def: $vgpr19_vgpr20
                                        ; implicit-def: $vgpr21_vgpr22
	s_branch .LBB707_55
.LBB707_58:
	s_set_inst_prefetch_distance 0x2
	s_or_b32 exec_lo, exec_lo, s28
	v_cmp_gt_i64_e32 vcc_lo, s[22:23], v[23:24]
	s_or_not1_b32 s28, vcc_lo, exec_lo
.LBB707_59:
	s_or_b32 exec_lo, exec_lo, s30
.LBB707_60:
	v_mul_lo_u32 v21, v10, s22
	v_mul_lo_u32 v22, v9, s23
	v_mad_u64_u32 v[19:20], null, v9, s22, 0
	s_mov_b32 s30, 0
	s_and_not1_b32 vcc_lo, exec_lo, s26
	s_mov_b32 s31, 0
	s_delay_alu instid0(VALU_DEP_1) | instskip(NEXT) | instid1(VALU_DEP_1)
	v_add3_u32 v20, v20, v22, v21
	v_lshlrev_b64 v[21:22], 1, v[19:20]
	s_cbranch_vccnz .LBB707_69
; %bb.61:
	s_delay_alu instid0(VALU_DEP_1) | instskip(NEXT) | instid1(VALU_DEP_2)
	v_add_co_u32 v19, vcc_lo, s8, v21
	v_add_co_ci_u32_e32 v20, vcc_lo, s9, v22, vcc_lo
	v_add_co_u32 v17, vcc_lo, s8, v17
	v_add_co_ci_u32_e32 v18, vcc_lo, s9, v18, vcc_lo
	s_mov_b32 s31, -1
	s_clause 0x1
	global_load_u16 v23, v[19:20], off
	global_load_u16 v24, v[17:18], off
	s_mov_b32 s33, exec_lo
	s_waitcnt vmcnt(0)
	v_cmpx_eq_u16_e64 v23, v24
	s_cbranch_execz .LBB707_68
; %bb.62:
	v_add_co_u32 v17, vcc_lo, v17, 2
	v_add_co_ci_u32_e32 v18, vcc_lo, 0, v18, vcc_lo
	v_add_co_u32 v19, vcc_lo, v19, 2
	v_add_co_ci_u32_e32 v20, vcc_lo, 0, v20, vcc_lo
	s_add_u32 s6, s22, -1
	s_addc_u32 s7, s23, -1
	s_mov_b64 s[18:19], 0
	s_mov_b32 s31, 0
                                        ; implicit-def: $sgpr34
	s_set_inst_prefetch_distance 0x1
	s_branch .LBB707_65
	.p2align	6
.LBB707_63:                             ;   in Loop: Header=BB707_65 Depth=1
	global_load_u16 v23, v[19:20], off
	global_load_u16 v24, v[17:18], off
	v_add_co_u32 v17, vcc_lo, v17, 2
	v_add_co_ci_u32_e32 v18, vcc_lo, 0, v18, vcc_lo
	v_add_co_u32 v19, s2, v19, 2
	s_delay_alu instid0(VALU_DEP_1)
	v_add_co_ci_u32_e64 v20, s2, 0, v20, s2
	s_add_u32 s18, s18, 1
	s_addc_u32 s19, s19, 0
	s_and_not1_b32 s2, s34, exec_lo
	s_waitcnt vmcnt(0)
	v_cmp_ne_u16_e32 vcc_lo, v23, v24
	s_and_b32 s34, vcc_lo, exec_lo
	s_delay_alu instid0(SALU_CYCLE_1)
	s_or_b32 s34, s2, s34
.LBB707_64:                             ;   in Loop: Header=BB707_65 Depth=1
	v_dual_mov_b32 v24, s19 :: v_dual_mov_b32 v23, s18
	s_and_b32 s2, exec_lo, s34
	s_delay_alu instid0(SALU_CYCLE_1) | instskip(NEXT) | instid1(SALU_CYCLE_1)
	s_or_b32 s31, s2, s31
	s_and_not1_b32 exec_lo, exec_lo, s31
	s_cbranch_execz .LBB707_67
.LBB707_65:                             ; =>This Inner Loop Header: Depth=1
	s_or_b32 s34, s34, exec_lo
	s_cmp_eq_u64 s[6:7], s[18:19]
	s_cbranch_scc0 .LBB707_63
; %bb.66:                               ;   in Loop: Header=BB707_65 Depth=1
	s_mov_b64 s[18:19], s[22:23]
                                        ; implicit-def: $vgpr17_vgpr18
                                        ; implicit-def: $vgpr19_vgpr20
	s_branch .LBB707_64
.LBB707_67:
	s_set_inst_prefetch_distance 0x2
	s_or_b32 exec_lo, exec_lo, s31
	v_cmp_gt_i64_e32 vcc_lo, s[22:23], v[23:24]
	s_or_not1_b32 s31, vcc_lo, exec_lo
.LBB707_68:
	s_or_b32 exec_lo, exec_lo, s33
.LBB707_69:
	v_mul_lo_u32 v19, v16, s22
	v_mul_lo_u32 v20, v15, s23
	v_mad_u64_u32 v[17:18], null, v15, s22, 0
	s_and_not1_b32 vcc_lo, exec_lo, s26
	s_delay_alu instid0(VALU_DEP_1) | instskip(NEXT) | instid1(VALU_DEP_1)
	v_add3_u32 v18, v18, v20, v19
	v_lshlrev_b64 v[19:20], 1, v[17:18]
	s_cbranch_vccnz .LBB707_78
; %bb.70:
	s_delay_alu instid0(VALU_DEP_1) | instskip(NEXT) | instid1(VALU_DEP_2)
	v_add_co_u32 v23, vcc_lo, s8, v19
	v_add_co_ci_u32_e32 v24, vcc_lo, s9, v20, vcc_lo
	v_add_co_u32 v17, vcc_lo, s8, v21
	v_add_co_ci_u32_e32 v18, vcc_lo, s9, v22, vcc_lo
	s_mov_b32 s30, -1
	s_clause 0x1
	global_load_u16 v21, v[23:24], off
	global_load_u16 v22, v[17:18], off
	s_mov_b32 s33, exec_lo
	s_waitcnt vmcnt(0)
	v_cmpx_eq_u16_e64 v21, v22
	s_cbranch_execz .LBB707_77
; %bb.71:
	v_add_co_u32 v17, vcc_lo, v17, 2
	v_add_co_ci_u32_e32 v18, vcc_lo, 0, v18, vcc_lo
	v_add_co_u32 v21, vcc_lo, v23, 2
	v_add_co_ci_u32_e32 v22, vcc_lo, 0, v24, vcc_lo
	s_add_u32 s6, s22, -1
	s_addc_u32 s7, s23, -1
	s_mov_b64 s[18:19], 0
	s_mov_b32 s30, 0
                                        ; implicit-def: $sgpr34
	s_set_inst_prefetch_distance 0x1
	s_branch .LBB707_74
	.p2align	6
.LBB707_72:                             ;   in Loop: Header=BB707_74 Depth=1
	global_load_u16 v23, v[21:22], off
	global_load_u16 v24, v[17:18], off
	v_add_co_u32 v17, vcc_lo, v17, 2
	v_add_co_ci_u32_e32 v18, vcc_lo, 0, v18, vcc_lo
	v_add_co_u32 v21, s2, v21, 2
	s_delay_alu instid0(VALU_DEP_1)
	v_add_co_ci_u32_e64 v22, s2, 0, v22, s2
	s_add_u32 s18, s18, 1
	s_addc_u32 s19, s19, 0
	s_and_not1_b32 s2, s34, exec_lo
	s_waitcnt vmcnt(0)
	v_cmp_ne_u16_e32 vcc_lo, v23, v24
	s_and_b32 s34, vcc_lo, exec_lo
	s_delay_alu instid0(SALU_CYCLE_1)
	s_or_b32 s34, s2, s34
.LBB707_73:                             ;   in Loop: Header=BB707_74 Depth=1
	v_dual_mov_b32 v24, s19 :: v_dual_mov_b32 v23, s18
	s_and_b32 s2, exec_lo, s34
	s_delay_alu instid0(SALU_CYCLE_1) | instskip(NEXT) | instid1(SALU_CYCLE_1)
	s_or_b32 s30, s2, s30
	s_and_not1_b32 exec_lo, exec_lo, s30
	s_cbranch_execz .LBB707_76
.LBB707_74:                             ; =>This Inner Loop Header: Depth=1
	s_or_b32 s34, s34, exec_lo
	s_cmp_eq_u64 s[6:7], s[18:19]
	s_cbranch_scc0 .LBB707_72
; %bb.75:                               ;   in Loop: Header=BB707_74 Depth=1
	s_mov_b64 s[18:19], s[22:23]
                                        ; implicit-def: $vgpr17_vgpr18
                                        ; implicit-def: $vgpr21_vgpr22
	s_branch .LBB707_73
.LBB707_76:
	s_set_inst_prefetch_distance 0x2
	s_or_b32 exec_lo, exec_lo, s30
	v_cmp_gt_i64_e32 vcc_lo, s[22:23], v[23:24]
	s_or_not1_b32 s30, vcc_lo, exec_lo
.LBB707_77:
	s_or_b32 exec_lo, exec_lo, s33
.LBB707_78:
	v_mul_lo_u32 v21, v14, s22
	v_mul_lo_u32 v22, v13, s23
	v_mad_u64_u32 v[17:18], null, v13, s22, 0
	s_and_not1_b32 vcc_lo, exec_lo, s26
	s_mov_b32 s2, 0
	s_delay_alu instid0(VALU_DEP_1) | instskip(NEXT) | instid1(VALU_DEP_1)
	v_add3_u32 v18, v18, v22, v21
	v_lshlrev_b64 v[17:18], 1, v[17:18]
	s_cbranch_vccnz .LBB707_87
; %bb.79:
	s_delay_alu instid0(VALU_DEP_1) | instskip(NEXT) | instid1(VALU_DEP_2)
	v_add_co_u32 v21, vcc_lo, s8, v17
	v_add_co_ci_u32_e32 v22, vcc_lo, s9, v18, vcc_lo
	v_add_co_u32 v19, vcc_lo, s8, v19
	v_add_co_ci_u32_e32 v20, vcc_lo, s9, v20, vcc_lo
	s_mov_b32 s2, -1
	s_clause 0x1
	global_load_u16 v23, v[21:22], off
	global_load_u16 v24, v[19:20], off
	s_mov_b32 s33, exec_lo
	s_waitcnt vmcnt(0)
	v_cmpx_eq_u16_e64 v23, v24
	s_cbranch_execz .LBB707_86
; %bb.80:
	v_add_co_u32 v19, vcc_lo, v19, 2
	v_add_co_ci_u32_e32 v20, vcc_lo, 0, v20, vcc_lo
	v_add_co_u32 v21, vcc_lo, v21, 2
	v_add_co_ci_u32_e32 v22, vcc_lo, 0, v22, vcc_lo
	s_add_u32 s6, s22, -1
	s_addc_u32 s7, s23, -1
	s_mov_b64 s[18:19], 0
	s_mov_b32 s34, 0
                                        ; implicit-def: $sgpr35
	s_set_inst_prefetch_distance 0x1
	s_branch .LBB707_83
	.p2align	6
.LBB707_81:                             ;   in Loop: Header=BB707_83 Depth=1
	global_load_u16 v23, v[21:22], off
	global_load_u16 v24, v[19:20], off
	v_add_co_u32 v19, vcc_lo, v19, 2
	v_add_co_ci_u32_e32 v20, vcc_lo, 0, v20, vcc_lo
	v_add_co_u32 v21, s2, v21, 2
	s_delay_alu instid0(VALU_DEP_1)
	v_add_co_ci_u32_e64 v22, s2, 0, v22, s2
	s_add_u32 s18, s18, 1
	s_addc_u32 s19, s19, 0
	s_and_not1_b32 s2, s35, exec_lo
	s_waitcnt vmcnt(0)
	v_cmp_ne_u16_e32 vcc_lo, v23, v24
	s_and_b32 s35, vcc_lo, exec_lo
	s_delay_alu instid0(SALU_CYCLE_1)
	s_or_b32 s35, s2, s35
.LBB707_82:                             ;   in Loop: Header=BB707_83 Depth=1
	v_dual_mov_b32 v24, s19 :: v_dual_mov_b32 v23, s18
	s_and_b32 s2, exec_lo, s35
	s_delay_alu instid0(SALU_CYCLE_1) | instskip(NEXT) | instid1(SALU_CYCLE_1)
	s_or_b32 s34, s2, s34
	s_and_not1_b32 exec_lo, exec_lo, s34
	s_cbranch_execz .LBB707_85
.LBB707_83:                             ; =>This Inner Loop Header: Depth=1
	s_or_b32 s35, s35, exec_lo
	s_cmp_eq_u64 s[6:7], s[18:19]
	s_cbranch_scc0 .LBB707_81
; %bb.84:                               ;   in Loop: Header=BB707_83 Depth=1
	s_mov_b64 s[18:19], s[22:23]
                                        ; implicit-def: $vgpr19_vgpr20
                                        ; implicit-def: $vgpr21_vgpr22
	s_branch .LBB707_82
.LBB707_85:
	s_set_inst_prefetch_distance 0x2
	s_or_b32 exec_lo, exec_lo, s34
	v_cmp_gt_i64_e32 vcc_lo, s[22:23], v[23:24]
	s_or_not1_b32 s2, vcc_lo, exec_lo
.LBB707_86:
	s_or_b32 exec_lo, exec_lo, s33
.LBB707_87:
	s_waitcnt lgkmcnt(0)
	v_dual_mov_b32 v20, s5 :: v_dual_mov_b32 v19, s4
	s_mov_b32 s6, exec_lo
	s_barrier
	buffer_gl0_inv
	v_cmpx_ne_u32_e32 0, v0
	s_cbranch_execz .LBB707_89
; %bb.88:
	v_add_nc_u32_e32 v19, -8, v39
	ds_load_b64 v[19:20], v19
.LBB707_89:
	s_or_b32 exec_lo, exec_lo, s6
	v_cndmask_b32_e64 v22, 0, 1, s31
	v_cndmask_b32_e64 v24, 0, 1, s29
	;; [unrolled: 1-line block ×7, first 2 shown]
	v_lshlrev_b16 v22, 8, v22
	v_lshlrev_b16 v24, 8, v24
	;; [unrolled: 1-line block ×4, first 2 shown]
	s_mov_b32 s3, 0
	v_or_b32_e32 v21, v21, v22
	v_or_b32_e32 v22, v23, v24
	;; [unrolled: 1-line block ×3, first 2 shown]
	v_and_b32_e32 v23, 0xffff, v27
	s_and_not1_b32 vcc_lo, exec_lo, s26
	v_lshlrev_b32_e32 v24, 16, v21
	v_and_b32_e32 v26, 0xffff, v22
	v_lshlrev_b32_e32 v27, 16, v28
	s_mov_b32 s2, 0
	s_cbranch_vccnz .LBB707_98
; %bb.90:
	s_waitcnt lgkmcnt(0)
	v_mul_lo_u32 v22, v20, s22
	v_mul_lo_u32 v28, v19, s23
	v_mad_u64_u32 v[20:21], null, v19, s22, 0
	s_mov_b32 s2, -1
	s_mov_b32 s27, exec_lo
	s_delay_alu instid0(VALU_DEP_1) | instskip(NEXT) | instid1(VALU_DEP_1)
	v_add3_u32 v21, v21, v28, v22
	v_lshlrev_b64 v[19:20], 1, v[20:21]
	s_delay_alu instid0(VALU_DEP_1) | instskip(NEXT) | instid1(VALU_DEP_2)
	v_add_co_u32 v19, vcc_lo, s8, v19
	v_add_co_ci_u32_e32 v20, vcc_lo, s9, v20, vcc_lo
	v_add_co_u32 v17, vcc_lo, s8, v17
	v_add_co_ci_u32_e32 v18, vcc_lo, s9, v18, vcc_lo
	s_clause 0x1
	global_load_u16 v21, v[19:20], off
	global_load_u16 v22, v[17:18], off
	s_waitcnt vmcnt(0)
	v_cmpx_eq_u16_e64 v21, v22
	s_cbranch_execz .LBB707_97
; %bb.91:
	v_add_co_u32 v17, vcc_lo, v17, 2
	v_add_co_ci_u32_e32 v18, vcc_lo, 0, v18, vcc_lo
	v_add_co_u32 v19, vcc_lo, v19, 2
	v_add_co_ci_u32_e32 v20, vcc_lo, 0, v20, vcc_lo
	s_add_u32 s6, s22, -1
	s_addc_u32 s7, s23, -1
	s_mov_b64 s[18:19], 0
	s_mov_b32 s28, 0
                                        ; implicit-def: $sgpr29
	s_set_inst_prefetch_distance 0x1
	s_branch .LBB707_94
	.p2align	6
.LBB707_92:                             ;   in Loop: Header=BB707_94 Depth=1
	global_load_u16 v21, v[19:20], off
	global_load_u16 v22, v[17:18], off
	v_add_co_u32 v17, vcc_lo, v17, 2
	v_add_co_ci_u32_e32 v18, vcc_lo, 0, v18, vcc_lo
	v_add_co_u32 v19, s2, v19, 2
	s_delay_alu instid0(VALU_DEP_1)
	v_add_co_ci_u32_e64 v20, s2, 0, v20, s2
	s_add_u32 s18, s18, 1
	s_addc_u32 s19, s19, 0
	s_and_not1_b32 s2, s29, exec_lo
	s_waitcnt vmcnt(0)
	v_cmp_ne_u16_e32 vcc_lo, v21, v22
	s_and_b32 s29, vcc_lo, exec_lo
	s_delay_alu instid0(SALU_CYCLE_1)
	s_or_b32 s29, s2, s29
.LBB707_93:                             ;   in Loop: Header=BB707_94 Depth=1
	v_dual_mov_b32 v22, s19 :: v_dual_mov_b32 v21, s18
	s_and_b32 s2, exec_lo, s29
	s_delay_alu instid0(SALU_CYCLE_1) | instskip(NEXT) | instid1(SALU_CYCLE_1)
	s_or_b32 s28, s2, s28
	s_and_not1_b32 exec_lo, exec_lo, s28
	s_cbranch_execz .LBB707_96
.LBB707_94:                             ; =>This Inner Loop Header: Depth=1
	s_or_b32 s29, s29, exec_lo
	s_cmp_eq_u64 s[6:7], s[18:19]
	s_cbranch_scc0 .LBB707_92
; %bb.95:                               ;   in Loop: Header=BB707_94 Depth=1
	s_mov_b64 s[18:19], s[22:23]
                                        ; implicit-def: $vgpr17_vgpr18
                                        ; implicit-def: $vgpr19_vgpr20
	s_branch .LBB707_93
.LBB707_96:
	s_set_inst_prefetch_distance 0x2
	s_or_b32 exec_lo, exec_lo, s28
	v_cmp_gt_i64_e32 vcc_lo, s[22:23], v[21:22]
	s_or_not1_b32 s2, vcc_lo, exec_lo
.LBB707_97:
	s_or_b32 exec_lo, exec_lo, s27
.LBB707_98:
	v_or_b32_e32 v17, v23, v24
	s_delay_alu instid0(VALU_DEP_2)
	v_or_b32_e32 v18, v26, v27
	s_and_b32 vcc_lo, exec_lo, s3
	s_cbranch_vccz .LBB707_190
.LBB707_99:
	v_or_b32_e32 v17, 7, v39
	s_mov_b32 s3, 0
	s_mov_b32 s27, 0
	s_mov_b32 s28, exec_lo
	s_delay_alu instid0(VALU_DEP_1)
	v_cmpx_gt_u32_e64 s20, v17
	s_cbranch_execz .LBB707_110
; %bb.100:
	s_and_not1_b32 vcc_lo, exec_lo, s26
	s_mov_b32 s2, 0
	s_cbranch_vccnz .LBB707_109
; %bb.101:
	v_mul_lo_u32 v21, v2, s22
	v_mul_lo_u32 v22, v1, s23
	v_mad_u64_u32 v[17:18], null, v1, s22, 0
	v_mul_lo_u32 v23, v4, s22
	v_mul_lo_u32 v24, v3, s23
	s_waitcnt lgkmcnt(0)
	v_mad_u64_u32 v[19:20], null, v3, s22, 0
	s_mov_b32 s2, -1
	s_mov_b32 s26, exec_lo
	s_delay_alu instid0(VALU_DEP_4) | instskip(NEXT) | instid1(VALU_DEP_2)
	v_add3_u32 v18, v18, v22, v21
	v_add3_u32 v20, v20, v24, v23
	s_delay_alu instid0(VALU_DEP_2) | instskip(NEXT) | instid1(VALU_DEP_2)
	v_lshlrev_b64 v[17:18], 1, v[17:18]
	v_lshlrev_b64 v[21:22], 1, v[19:20]
	s_delay_alu instid0(VALU_DEP_2) | instskip(NEXT) | instid1(VALU_DEP_3)
	v_add_co_u32 v19, vcc_lo, s8, v17
	v_add_co_ci_u32_e32 v20, vcc_lo, s9, v18, vcc_lo
	s_delay_alu instid0(VALU_DEP_3) | instskip(NEXT) | instid1(VALU_DEP_4)
	v_add_co_u32 v17, vcc_lo, s8, v21
	v_add_co_ci_u32_e32 v18, vcc_lo, s9, v22, vcc_lo
	s_clause 0x1
	global_load_u16 v21, v[19:20], off
	global_load_u16 v22, v[17:18], off
	s_waitcnt vmcnt(0)
	v_cmpx_eq_u16_e64 v21, v22
	s_cbranch_execz .LBB707_108
; %bb.102:
	v_add_co_u32 v17, vcc_lo, v17, 2
	v_add_co_ci_u32_e32 v18, vcc_lo, 0, v18, vcc_lo
	v_add_co_u32 v19, vcc_lo, v19, 2
	v_add_co_ci_u32_e32 v20, vcc_lo, 0, v20, vcc_lo
	s_add_u32 s6, s22, -1
	s_addc_u32 s7, s23, -1
	s_mov_b64 s[18:19], 0
                                        ; implicit-def: $sgpr29
	s_set_inst_prefetch_distance 0x1
	s_branch .LBB707_105
	.p2align	6
.LBB707_103:                            ;   in Loop: Header=BB707_105 Depth=1
	global_load_u16 v21, v[19:20], off
	global_load_u16 v22, v[17:18], off
	v_add_co_u32 v17, vcc_lo, v17, 2
	v_add_co_ci_u32_e32 v18, vcc_lo, 0, v18, vcc_lo
	v_add_co_u32 v19, s2, v19, 2
	s_delay_alu instid0(VALU_DEP_1)
	v_add_co_ci_u32_e64 v20, s2, 0, v20, s2
	s_add_u32 s18, s18, 1
	s_addc_u32 s19, s19, 0
	s_and_not1_b32 s2, s29, exec_lo
	s_waitcnt vmcnt(0)
	v_cmp_ne_u16_e32 vcc_lo, v21, v22
	s_and_b32 s29, vcc_lo, exec_lo
	s_delay_alu instid0(SALU_CYCLE_1)
	s_or_b32 s29, s2, s29
.LBB707_104:                            ;   in Loop: Header=BB707_105 Depth=1
	v_dual_mov_b32 v22, s19 :: v_dual_mov_b32 v21, s18
	s_and_b32 s2, exec_lo, s29
	s_delay_alu instid0(SALU_CYCLE_1) | instskip(NEXT) | instid1(SALU_CYCLE_1)
	s_or_b32 s27, s2, s27
	s_and_not1_b32 exec_lo, exec_lo, s27
	s_cbranch_execz .LBB707_107
.LBB707_105:                            ; =>This Inner Loop Header: Depth=1
	s_or_b32 s29, s29, exec_lo
	s_cmp_eq_u64 s[6:7], s[18:19]
	s_cbranch_scc0 .LBB707_103
; %bb.106:                              ;   in Loop: Header=BB707_105 Depth=1
	s_mov_b64 s[18:19], s[22:23]
                                        ; implicit-def: $vgpr17_vgpr18
                                        ; implicit-def: $vgpr19_vgpr20
	s_branch .LBB707_104
.LBB707_107:
	s_set_inst_prefetch_distance 0x2
	s_or_b32 exec_lo, exec_lo, s27
	v_cmp_gt_i64_e32 vcc_lo, s[22:23], v[21:22]
	s_or_not1_b32 s2, vcc_lo, exec_lo
.LBB707_108:
	s_or_b32 exec_lo, exec_lo, s26
.LBB707_109:
	s_delay_alu instid0(SALU_CYCLE_1)
	s_and_b32 s27, s2, exec_lo
.LBB707_110:
	s_or_b32 exec_lo, exec_lo, s28
	v_or_b32_e32 v17, 6, v39
	s_mov_b32 s26, exec_lo
	s_delay_alu instid0(VALU_DEP_1)
	v_cmpx_gt_u32_e64 s20, v17
	s_cbranch_execz .LBB707_121
; %bb.111:
	v_cmp_ne_u32_e32 vcc_lo, 1, v25
	s_mov_b32 s2, 0
	s_cbranch_vccnz .LBB707_120
; %bb.112:
	v_mul_lo_u32 v21, v8, s22
	v_mul_lo_u32 v22, v7, s23
	v_mad_u64_u32 v[17:18], null, v7, s22, 0
	v_mul_lo_u32 v23, v2, s22
	v_mul_lo_u32 v24, v1, s23
	s_waitcnt lgkmcnt(0)
	v_mad_u64_u32 v[19:20], null, v1, s22, 0
	s_mov_b32 s2, -1
	s_mov_b32 s3, exec_lo
	s_delay_alu instid0(VALU_DEP_4) | instskip(NEXT) | instid1(VALU_DEP_2)
	v_add3_u32 v18, v18, v22, v21
	v_add3_u32 v20, v20, v24, v23
	s_delay_alu instid0(VALU_DEP_2) | instskip(NEXT) | instid1(VALU_DEP_2)
	v_lshlrev_b64 v[17:18], 1, v[17:18]
	v_lshlrev_b64 v[21:22], 1, v[19:20]
	s_delay_alu instid0(VALU_DEP_2) | instskip(NEXT) | instid1(VALU_DEP_3)
	v_add_co_u32 v19, vcc_lo, s8, v17
	v_add_co_ci_u32_e32 v20, vcc_lo, s9, v18, vcc_lo
	s_delay_alu instid0(VALU_DEP_3) | instskip(NEXT) | instid1(VALU_DEP_4)
	v_add_co_u32 v17, vcc_lo, s8, v21
	v_add_co_ci_u32_e32 v18, vcc_lo, s9, v22, vcc_lo
	s_clause 0x1
	global_load_u16 v21, v[19:20], off
	global_load_u16 v22, v[17:18], off
	s_waitcnt vmcnt(0)
	v_cmpx_eq_u16_e64 v21, v22
	s_cbranch_execz .LBB707_119
; %bb.113:
	v_add_co_u32 v17, vcc_lo, v17, 2
	v_add_co_ci_u32_e32 v18, vcc_lo, 0, v18, vcc_lo
	v_add_co_u32 v19, vcc_lo, v19, 2
	v_add_co_ci_u32_e32 v20, vcc_lo, 0, v20, vcc_lo
	s_add_u32 s6, s22, -1
	s_addc_u32 s7, s23, -1
	s_mov_b64 s[18:19], 0
	s_mov_b32 s28, 0
                                        ; implicit-def: $sgpr29
	s_set_inst_prefetch_distance 0x1
	s_branch .LBB707_116
	.p2align	6
.LBB707_114:                            ;   in Loop: Header=BB707_116 Depth=1
	global_load_u16 v21, v[19:20], off
	global_load_u16 v22, v[17:18], off
	v_add_co_u32 v17, vcc_lo, v17, 2
	v_add_co_ci_u32_e32 v18, vcc_lo, 0, v18, vcc_lo
	v_add_co_u32 v19, s2, v19, 2
	s_delay_alu instid0(VALU_DEP_1)
	v_add_co_ci_u32_e64 v20, s2, 0, v20, s2
	s_add_u32 s18, s18, 1
	s_addc_u32 s19, s19, 0
	s_and_not1_b32 s2, s29, exec_lo
	s_waitcnt vmcnt(0)
	v_cmp_ne_u16_e32 vcc_lo, v21, v22
	s_and_b32 s29, vcc_lo, exec_lo
	s_delay_alu instid0(SALU_CYCLE_1)
	s_or_b32 s29, s2, s29
.LBB707_115:                            ;   in Loop: Header=BB707_116 Depth=1
	v_dual_mov_b32 v22, s19 :: v_dual_mov_b32 v21, s18
	s_and_b32 s2, exec_lo, s29
	s_delay_alu instid0(SALU_CYCLE_1) | instskip(NEXT) | instid1(SALU_CYCLE_1)
	s_or_b32 s28, s2, s28
	s_and_not1_b32 exec_lo, exec_lo, s28
	s_cbranch_execz .LBB707_118
.LBB707_116:                            ; =>This Inner Loop Header: Depth=1
	s_or_b32 s29, s29, exec_lo
	s_cmp_eq_u64 s[6:7], s[18:19]
	s_cbranch_scc0 .LBB707_114
; %bb.117:                              ;   in Loop: Header=BB707_116 Depth=1
	s_mov_b64 s[18:19], s[22:23]
                                        ; implicit-def: $vgpr17_vgpr18
                                        ; implicit-def: $vgpr19_vgpr20
	s_branch .LBB707_115
.LBB707_118:
	s_set_inst_prefetch_distance 0x2
	s_or_b32 exec_lo, exec_lo, s28
	v_cmp_gt_i64_e32 vcc_lo, s[22:23], v[21:22]
	s_or_not1_b32 s2, vcc_lo, exec_lo
.LBB707_119:
	s_or_b32 exec_lo, exec_lo, s3
.LBB707_120:
	s_delay_alu instid0(SALU_CYCLE_1)
	s_and_b32 s3, s2, exec_lo
.LBB707_121:
	s_or_b32 exec_lo, exec_lo, s26
	v_or_b32_e32 v17, 5, v39
	s_mov_b32 s28, 0
	s_mov_b32 s26, 0
	s_mov_b32 s29, exec_lo
	s_delay_alu instid0(VALU_DEP_1)
	v_cmpx_gt_u32_e64 s20, v17
	s_cbranch_execz .LBB707_132
; %bb.122:
	v_cmp_ne_u32_e32 vcc_lo, 1, v25
	s_mov_b32 s2, 0
	s_cbranch_vccnz .LBB707_131
; %bb.123:
	v_mul_lo_u32 v21, v6, s22
	v_mul_lo_u32 v22, v5, s23
	v_mad_u64_u32 v[17:18], null, v5, s22, 0
	v_mul_lo_u32 v23, v8, s22
	v_mul_lo_u32 v24, v7, s23
	s_waitcnt lgkmcnt(0)
	v_mad_u64_u32 v[19:20], null, v7, s22, 0
	s_mov_b32 s2, -1
	s_mov_b32 s26, exec_lo
	s_delay_alu instid0(VALU_DEP_4) | instskip(NEXT) | instid1(VALU_DEP_2)
	v_add3_u32 v18, v18, v22, v21
	v_add3_u32 v20, v20, v24, v23
	s_delay_alu instid0(VALU_DEP_2) | instskip(NEXT) | instid1(VALU_DEP_2)
	v_lshlrev_b64 v[17:18], 1, v[17:18]
	v_lshlrev_b64 v[21:22], 1, v[19:20]
	s_delay_alu instid0(VALU_DEP_2) | instskip(NEXT) | instid1(VALU_DEP_3)
	v_add_co_u32 v19, vcc_lo, s8, v17
	v_add_co_ci_u32_e32 v20, vcc_lo, s9, v18, vcc_lo
	s_delay_alu instid0(VALU_DEP_3) | instskip(NEXT) | instid1(VALU_DEP_4)
	v_add_co_u32 v17, vcc_lo, s8, v21
	v_add_co_ci_u32_e32 v18, vcc_lo, s9, v22, vcc_lo
	s_clause 0x1
	global_load_u16 v21, v[19:20], off
	global_load_u16 v22, v[17:18], off
	s_waitcnt vmcnt(0)
	v_cmpx_eq_u16_e64 v21, v22
	s_cbranch_execz .LBB707_130
; %bb.124:
	v_add_co_u32 v17, vcc_lo, v17, 2
	v_add_co_ci_u32_e32 v18, vcc_lo, 0, v18, vcc_lo
	v_add_co_u32 v19, vcc_lo, v19, 2
	v_add_co_ci_u32_e32 v20, vcc_lo, 0, v20, vcc_lo
	s_add_u32 s6, s22, -1
	s_addc_u32 s7, s23, -1
	s_mov_b64 s[18:19], 0
	s_mov_b32 s30, 0
                                        ; implicit-def: $sgpr31
	s_set_inst_prefetch_distance 0x1
	s_branch .LBB707_127
	.p2align	6
.LBB707_125:                            ;   in Loop: Header=BB707_127 Depth=1
	global_load_u16 v21, v[19:20], off
	global_load_u16 v22, v[17:18], off
	v_add_co_u32 v17, vcc_lo, v17, 2
	v_add_co_ci_u32_e32 v18, vcc_lo, 0, v18, vcc_lo
	v_add_co_u32 v19, s2, v19, 2
	s_delay_alu instid0(VALU_DEP_1)
	v_add_co_ci_u32_e64 v20, s2, 0, v20, s2
	s_add_u32 s18, s18, 1
	s_addc_u32 s19, s19, 0
	s_and_not1_b32 s2, s31, exec_lo
	s_waitcnt vmcnt(0)
	v_cmp_ne_u16_e32 vcc_lo, v21, v22
	s_and_b32 s31, vcc_lo, exec_lo
	s_delay_alu instid0(SALU_CYCLE_1)
	s_or_b32 s31, s2, s31
.LBB707_126:                            ;   in Loop: Header=BB707_127 Depth=1
	v_dual_mov_b32 v22, s19 :: v_dual_mov_b32 v21, s18
	s_and_b32 s2, exec_lo, s31
	s_delay_alu instid0(SALU_CYCLE_1) | instskip(NEXT) | instid1(SALU_CYCLE_1)
	s_or_b32 s30, s2, s30
	s_and_not1_b32 exec_lo, exec_lo, s30
	s_cbranch_execz .LBB707_129
.LBB707_127:                            ; =>This Inner Loop Header: Depth=1
	s_or_b32 s31, s31, exec_lo
	s_cmp_eq_u64 s[6:7], s[18:19]
	s_cbranch_scc0 .LBB707_125
; %bb.128:                              ;   in Loop: Header=BB707_127 Depth=1
	s_mov_b64 s[18:19], s[22:23]
                                        ; implicit-def: $vgpr17_vgpr18
                                        ; implicit-def: $vgpr19_vgpr20
	s_branch .LBB707_126
.LBB707_129:
	s_set_inst_prefetch_distance 0x2
	s_or_b32 exec_lo, exec_lo, s30
	v_cmp_gt_i64_e32 vcc_lo, s[22:23], v[21:22]
	s_or_not1_b32 s2, vcc_lo, exec_lo
.LBB707_130:
	s_or_b32 exec_lo, exec_lo, s26
.LBB707_131:
	s_delay_alu instid0(SALU_CYCLE_1)
	s_and_b32 s26, s2, exec_lo
.LBB707_132:
	s_or_b32 exec_lo, exec_lo, s29
	v_or_b32_e32 v17, 4, v39
	s_mov_b32 s29, exec_lo
	s_delay_alu instid0(VALU_DEP_1)
	v_cmpx_gt_u32_e64 s20, v17
	s_cbranch_execz .LBB707_143
; %bb.133:
	v_cmp_ne_u32_e32 vcc_lo, 1, v25
	s_mov_b32 s2, 0
	s_cbranch_vccnz .LBB707_142
; %bb.134:
	v_mul_lo_u32 v21, v12, s22
	v_mul_lo_u32 v22, v11, s23
	v_mad_u64_u32 v[17:18], null, v11, s22, 0
	v_mul_lo_u32 v23, v6, s22
	v_mul_lo_u32 v24, v5, s23
	s_waitcnt lgkmcnt(0)
	v_mad_u64_u32 v[19:20], null, v5, s22, 0
	s_mov_b32 s2, -1
	s_mov_b32 s28, exec_lo
	s_delay_alu instid0(VALU_DEP_4) | instskip(NEXT) | instid1(VALU_DEP_2)
	v_add3_u32 v18, v18, v22, v21
	v_add3_u32 v20, v20, v24, v23
	s_delay_alu instid0(VALU_DEP_2) | instskip(NEXT) | instid1(VALU_DEP_2)
	v_lshlrev_b64 v[17:18], 1, v[17:18]
	v_lshlrev_b64 v[21:22], 1, v[19:20]
	s_delay_alu instid0(VALU_DEP_2) | instskip(NEXT) | instid1(VALU_DEP_3)
	v_add_co_u32 v19, vcc_lo, s8, v17
	v_add_co_ci_u32_e32 v20, vcc_lo, s9, v18, vcc_lo
	s_delay_alu instid0(VALU_DEP_3) | instskip(NEXT) | instid1(VALU_DEP_4)
	v_add_co_u32 v17, vcc_lo, s8, v21
	v_add_co_ci_u32_e32 v18, vcc_lo, s9, v22, vcc_lo
	s_clause 0x1
	global_load_u16 v21, v[19:20], off
	global_load_u16 v22, v[17:18], off
	s_waitcnt vmcnt(0)
	v_cmpx_eq_u16_e64 v21, v22
	s_cbranch_execz .LBB707_141
; %bb.135:
	v_add_co_u32 v17, vcc_lo, v17, 2
	v_add_co_ci_u32_e32 v18, vcc_lo, 0, v18, vcc_lo
	v_add_co_u32 v19, vcc_lo, v19, 2
	v_add_co_ci_u32_e32 v20, vcc_lo, 0, v20, vcc_lo
	s_add_u32 s6, s22, -1
	s_addc_u32 s7, s23, -1
	s_mov_b64 s[18:19], 0
	s_mov_b32 s30, 0
                                        ; implicit-def: $sgpr31
	s_set_inst_prefetch_distance 0x1
	s_branch .LBB707_138
	.p2align	6
.LBB707_136:                            ;   in Loop: Header=BB707_138 Depth=1
	global_load_u16 v21, v[19:20], off
	global_load_u16 v22, v[17:18], off
	v_add_co_u32 v17, vcc_lo, v17, 2
	v_add_co_ci_u32_e32 v18, vcc_lo, 0, v18, vcc_lo
	v_add_co_u32 v19, s2, v19, 2
	s_delay_alu instid0(VALU_DEP_1)
	v_add_co_ci_u32_e64 v20, s2, 0, v20, s2
	s_add_u32 s18, s18, 1
	s_addc_u32 s19, s19, 0
	s_and_not1_b32 s2, s31, exec_lo
	s_waitcnt vmcnt(0)
	v_cmp_ne_u16_e32 vcc_lo, v21, v22
	s_and_b32 s31, vcc_lo, exec_lo
	s_delay_alu instid0(SALU_CYCLE_1)
	s_or_b32 s31, s2, s31
.LBB707_137:                            ;   in Loop: Header=BB707_138 Depth=1
	v_dual_mov_b32 v22, s19 :: v_dual_mov_b32 v21, s18
	s_and_b32 s2, exec_lo, s31
	s_delay_alu instid0(SALU_CYCLE_1) | instskip(NEXT) | instid1(SALU_CYCLE_1)
	s_or_b32 s30, s2, s30
	s_and_not1_b32 exec_lo, exec_lo, s30
	s_cbranch_execz .LBB707_140
.LBB707_138:                            ; =>This Inner Loop Header: Depth=1
	s_or_b32 s31, s31, exec_lo
	s_cmp_eq_u64 s[6:7], s[18:19]
	s_cbranch_scc0 .LBB707_136
; %bb.139:                              ;   in Loop: Header=BB707_138 Depth=1
	s_mov_b64 s[18:19], s[22:23]
                                        ; implicit-def: $vgpr17_vgpr18
                                        ; implicit-def: $vgpr19_vgpr20
	s_branch .LBB707_137
.LBB707_140:
	s_set_inst_prefetch_distance 0x2
	s_or_b32 exec_lo, exec_lo, s30
	v_cmp_gt_i64_e32 vcc_lo, s[22:23], v[21:22]
	s_or_not1_b32 s2, vcc_lo, exec_lo
.LBB707_141:
	s_or_b32 exec_lo, exec_lo, s28
.LBB707_142:
	s_delay_alu instid0(SALU_CYCLE_1)
	s_and_b32 s28, s2, exec_lo
.LBB707_143:
	s_or_b32 exec_lo, exec_lo, s29
	v_or_b32_e32 v17, 3, v39
	s_mov_b32 s30, 0
	s_mov_b32 s29, 0
	s_mov_b32 s31, exec_lo
	s_delay_alu instid0(VALU_DEP_1)
	v_cmpx_gt_u32_e64 s20, v17
	s_cbranch_execz .LBB707_154
; %bb.144:
	v_cmp_ne_u32_e32 vcc_lo, 1, v25
	s_mov_b32 s2, 0
	s_cbranch_vccnz .LBB707_153
; %bb.145:
	v_mul_lo_u32 v21, v10, s22
	v_mul_lo_u32 v22, v9, s23
	v_mad_u64_u32 v[17:18], null, v9, s22, 0
	v_mul_lo_u32 v23, v12, s22
	v_mul_lo_u32 v24, v11, s23
	s_waitcnt lgkmcnt(0)
	v_mad_u64_u32 v[19:20], null, v11, s22, 0
	s_mov_b32 s2, -1
	s_mov_b32 s29, exec_lo
	s_delay_alu instid0(VALU_DEP_4) | instskip(NEXT) | instid1(VALU_DEP_2)
	v_add3_u32 v18, v18, v22, v21
	v_add3_u32 v20, v20, v24, v23
	s_delay_alu instid0(VALU_DEP_2) | instskip(NEXT) | instid1(VALU_DEP_2)
	v_lshlrev_b64 v[17:18], 1, v[17:18]
	v_lshlrev_b64 v[21:22], 1, v[19:20]
	s_delay_alu instid0(VALU_DEP_2) | instskip(NEXT) | instid1(VALU_DEP_3)
	v_add_co_u32 v19, vcc_lo, s8, v17
	v_add_co_ci_u32_e32 v20, vcc_lo, s9, v18, vcc_lo
	s_delay_alu instid0(VALU_DEP_3) | instskip(NEXT) | instid1(VALU_DEP_4)
	v_add_co_u32 v17, vcc_lo, s8, v21
	v_add_co_ci_u32_e32 v18, vcc_lo, s9, v22, vcc_lo
	s_clause 0x1
	global_load_u16 v21, v[19:20], off
	global_load_u16 v22, v[17:18], off
	s_waitcnt vmcnt(0)
	v_cmpx_eq_u16_e64 v21, v22
	s_cbranch_execz .LBB707_152
; %bb.146:
	v_add_co_u32 v17, vcc_lo, v17, 2
	v_add_co_ci_u32_e32 v18, vcc_lo, 0, v18, vcc_lo
	v_add_co_u32 v19, vcc_lo, v19, 2
	v_add_co_ci_u32_e32 v20, vcc_lo, 0, v20, vcc_lo
	s_add_u32 s6, s22, -1
	s_addc_u32 s7, s23, -1
	s_mov_b64 s[18:19], 0
	s_mov_b32 s33, 0
                                        ; implicit-def: $sgpr34
	s_set_inst_prefetch_distance 0x1
	s_branch .LBB707_149
	.p2align	6
.LBB707_147:                            ;   in Loop: Header=BB707_149 Depth=1
	global_load_u16 v21, v[19:20], off
	global_load_u16 v22, v[17:18], off
	v_add_co_u32 v17, vcc_lo, v17, 2
	v_add_co_ci_u32_e32 v18, vcc_lo, 0, v18, vcc_lo
	v_add_co_u32 v19, s2, v19, 2
	s_delay_alu instid0(VALU_DEP_1)
	v_add_co_ci_u32_e64 v20, s2, 0, v20, s2
	s_add_u32 s18, s18, 1
	s_addc_u32 s19, s19, 0
	s_and_not1_b32 s2, s34, exec_lo
	s_waitcnt vmcnt(0)
	v_cmp_ne_u16_e32 vcc_lo, v21, v22
	s_and_b32 s34, vcc_lo, exec_lo
	s_delay_alu instid0(SALU_CYCLE_1)
	s_or_b32 s34, s2, s34
.LBB707_148:                            ;   in Loop: Header=BB707_149 Depth=1
	v_dual_mov_b32 v22, s19 :: v_dual_mov_b32 v21, s18
	s_and_b32 s2, exec_lo, s34
	s_delay_alu instid0(SALU_CYCLE_1) | instskip(NEXT) | instid1(SALU_CYCLE_1)
	s_or_b32 s33, s2, s33
	s_and_not1_b32 exec_lo, exec_lo, s33
	s_cbranch_execz .LBB707_151
.LBB707_149:                            ; =>This Inner Loop Header: Depth=1
	s_or_b32 s34, s34, exec_lo
	s_cmp_eq_u64 s[6:7], s[18:19]
	s_cbranch_scc0 .LBB707_147
; %bb.150:                              ;   in Loop: Header=BB707_149 Depth=1
	s_mov_b64 s[18:19], s[22:23]
                                        ; implicit-def: $vgpr17_vgpr18
                                        ; implicit-def: $vgpr19_vgpr20
	s_branch .LBB707_148
.LBB707_151:
	s_set_inst_prefetch_distance 0x2
	s_or_b32 exec_lo, exec_lo, s33
	v_cmp_gt_i64_e32 vcc_lo, s[22:23], v[21:22]
	s_or_not1_b32 s2, vcc_lo, exec_lo
.LBB707_152:
	s_or_b32 exec_lo, exec_lo, s29
.LBB707_153:
	s_delay_alu instid0(SALU_CYCLE_1)
	s_and_b32 s29, s2, exec_lo
.LBB707_154:
	s_or_b32 exec_lo, exec_lo, s31
	v_or_b32_e32 v17, 2, v39
	s_mov_b32 s31, exec_lo
	s_delay_alu instid0(VALU_DEP_1)
	v_cmpx_gt_u32_e64 s20, v17
	s_cbranch_execz .LBB707_165
; %bb.155:
	v_cmp_ne_u32_e32 vcc_lo, 1, v25
	s_mov_b32 s2, 0
	s_cbranch_vccnz .LBB707_164
; %bb.156:
	v_mul_lo_u32 v21, v16, s22
	v_mul_lo_u32 v22, v15, s23
	v_mad_u64_u32 v[17:18], null, v15, s22, 0
	v_mul_lo_u32 v23, v10, s22
	v_mul_lo_u32 v24, v9, s23
	s_waitcnt lgkmcnt(0)
	v_mad_u64_u32 v[19:20], null, v9, s22, 0
	s_mov_b32 s2, -1
	s_mov_b32 s30, exec_lo
	s_delay_alu instid0(VALU_DEP_4) | instskip(NEXT) | instid1(VALU_DEP_2)
	v_add3_u32 v18, v18, v22, v21
	v_add3_u32 v20, v20, v24, v23
	s_delay_alu instid0(VALU_DEP_2) | instskip(NEXT) | instid1(VALU_DEP_2)
	v_lshlrev_b64 v[17:18], 1, v[17:18]
	v_lshlrev_b64 v[21:22], 1, v[19:20]
	s_delay_alu instid0(VALU_DEP_2) | instskip(NEXT) | instid1(VALU_DEP_3)
	v_add_co_u32 v19, vcc_lo, s8, v17
	v_add_co_ci_u32_e32 v20, vcc_lo, s9, v18, vcc_lo
	s_delay_alu instid0(VALU_DEP_3) | instskip(NEXT) | instid1(VALU_DEP_4)
	v_add_co_u32 v17, vcc_lo, s8, v21
	v_add_co_ci_u32_e32 v18, vcc_lo, s9, v22, vcc_lo
	s_clause 0x1
	global_load_u16 v21, v[19:20], off
	global_load_u16 v22, v[17:18], off
	s_waitcnt vmcnt(0)
	v_cmpx_eq_u16_e64 v21, v22
	s_cbranch_execz .LBB707_163
; %bb.157:
	v_add_co_u32 v17, vcc_lo, v17, 2
	v_add_co_ci_u32_e32 v18, vcc_lo, 0, v18, vcc_lo
	v_add_co_u32 v19, vcc_lo, v19, 2
	v_add_co_ci_u32_e32 v20, vcc_lo, 0, v20, vcc_lo
	s_add_u32 s6, s22, -1
	s_addc_u32 s7, s23, -1
	s_mov_b64 s[18:19], 0
	s_mov_b32 s33, 0
                                        ; implicit-def: $sgpr34
	s_set_inst_prefetch_distance 0x1
	s_branch .LBB707_160
	.p2align	6
.LBB707_158:                            ;   in Loop: Header=BB707_160 Depth=1
	global_load_u16 v21, v[19:20], off
	global_load_u16 v22, v[17:18], off
	v_add_co_u32 v17, vcc_lo, v17, 2
	v_add_co_ci_u32_e32 v18, vcc_lo, 0, v18, vcc_lo
	v_add_co_u32 v19, s2, v19, 2
	s_delay_alu instid0(VALU_DEP_1)
	v_add_co_ci_u32_e64 v20, s2, 0, v20, s2
	s_add_u32 s18, s18, 1
	s_addc_u32 s19, s19, 0
	s_and_not1_b32 s2, s34, exec_lo
	s_waitcnt vmcnt(0)
	v_cmp_ne_u16_e32 vcc_lo, v21, v22
	s_and_b32 s34, vcc_lo, exec_lo
	s_delay_alu instid0(SALU_CYCLE_1)
	s_or_b32 s34, s2, s34
.LBB707_159:                            ;   in Loop: Header=BB707_160 Depth=1
	v_dual_mov_b32 v22, s19 :: v_dual_mov_b32 v21, s18
	s_and_b32 s2, exec_lo, s34
	s_delay_alu instid0(SALU_CYCLE_1) | instskip(NEXT) | instid1(SALU_CYCLE_1)
	s_or_b32 s33, s2, s33
	s_and_not1_b32 exec_lo, exec_lo, s33
	s_cbranch_execz .LBB707_162
.LBB707_160:                            ; =>This Inner Loop Header: Depth=1
	s_or_b32 s34, s34, exec_lo
	s_cmp_eq_u64 s[6:7], s[18:19]
	s_cbranch_scc0 .LBB707_158
; %bb.161:                              ;   in Loop: Header=BB707_160 Depth=1
	s_mov_b64 s[18:19], s[22:23]
                                        ; implicit-def: $vgpr17_vgpr18
                                        ; implicit-def: $vgpr19_vgpr20
	s_branch .LBB707_159
.LBB707_162:
	s_set_inst_prefetch_distance 0x2
	s_or_b32 exec_lo, exec_lo, s33
	v_cmp_gt_i64_e32 vcc_lo, s[22:23], v[21:22]
	s_or_not1_b32 s2, vcc_lo, exec_lo
.LBB707_163:
	s_or_b32 exec_lo, exec_lo, s30
.LBB707_164:
	s_delay_alu instid0(SALU_CYCLE_1)
	s_and_b32 s30, s2, exec_lo
.LBB707_165:
	s_or_b32 exec_lo, exec_lo, s31
	v_or_b32_e32 v17, 1, v39
	s_mov_b32 s2, 0
	s_mov_b32 s31, exec_lo
	s_delay_alu instid0(VALU_DEP_1)
	v_cmpx_gt_u32_e64 s20, v17
	s_cbranch_execz .LBB707_176
; %bb.166:
	v_cmp_ne_u32_e32 vcc_lo, 1, v25
	s_cbranch_vccnz .LBB707_175
; %bb.167:
	v_mul_lo_u32 v21, v14, s22
	v_mul_lo_u32 v22, v13, s23
	v_mad_u64_u32 v[17:18], null, v13, s22, 0
	v_mul_lo_u32 v23, v16, s22
	v_mul_lo_u32 v24, v15, s23
	s_waitcnt lgkmcnt(0)
	v_mad_u64_u32 v[19:20], null, v15, s22, 0
	s_mov_b32 s2, -1
	s_mov_b32 s33, exec_lo
	s_delay_alu instid0(VALU_DEP_4) | instskip(NEXT) | instid1(VALU_DEP_2)
	v_add3_u32 v18, v18, v22, v21
	v_add3_u32 v20, v20, v24, v23
	s_delay_alu instid0(VALU_DEP_2) | instskip(NEXT) | instid1(VALU_DEP_2)
	v_lshlrev_b64 v[17:18], 1, v[17:18]
	v_lshlrev_b64 v[21:22], 1, v[19:20]
	s_delay_alu instid0(VALU_DEP_2) | instskip(NEXT) | instid1(VALU_DEP_3)
	v_add_co_u32 v19, vcc_lo, s8, v17
	v_add_co_ci_u32_e32 v20, vcc_lo, s9, v18, vcc_lo
	s_delay_alu instid0(VALU_DEP_3) | instskip(NEXT) | instid1(VALU_DEP_4)
	v_add_co_u32 v17, vcc_lo, s8, v21
	v_add_co_ci_u32_e32 v18, vcc_lo, s9, v22, vcc_lo
	s_clause 0x1
	global_load_u16 v21, v[19:20], off
	global_load_u16 v22, v[17:18], off
	s_waitcnt vmcnt(0)
	v_cmpx_eq_u16_e64 v21, v22
	s_cbranch_execz .LBB707_174
; %bb.168:
	v_add_co_u32 v17, vcc_lo, v17, 2
	v_add_co_ci_u32_e32 v18, vcc_lo, 0, v18, vcc_lo
	v_add_co_u32 v19, vcc_lo, v19, 2
	v_add_co_ci_u32_e32 v20, vcc_lo, 0, v20, vcc_lo
	s_add_u32 s6, s22, -1
	s_addc_u32 s7, s23, -1
	s_mov_b64 s[18:19], 0
	s_mov_b32 s34, 0
                                        ; implicit-def: $sgpr35
	s_set_inst_prefetch_distance 0x1
	s_branch .LBB707_171
	.p2align	6
.LBB707_169:                            ;   in Loop: Header=BB707_171 Depth=1
	global_load_u16 v21, v[19:20], off
	global_load_u16 v22, v[17:18], off
	v_add_co_u32 v17, vcc_lo, v17, 2
	v_add_co_ci_u32_e32 v18, vcc_lo, 0, v18, vcc_lo
	v_add_co_u32 v19, s2, v19, 2
	s_delay_alu instid0(VALU_DEP_1)
	v_add_co_ci_u32_e64 v20, s2, 0, v20, s2
	s_add_u32 s18, s18, 1
	s_addc_u32 s19, s19, 0
	s_and_not1_b32 s2, s35, exec_lo
	s_waitcnt vmcnt(0)
	v_cmp_ne_u16_e32 vcc_lo, v21, v22
	s_and_b32 s35, vcc_lo, exec_lo
	s_delay_alu instid0(SALU_CYCLE_1)
	s_or_b32 s35, s2, s35
.LBB707_170:                            ;   in Loop: Header=BB707_171 Depth=1
	v_dual_mov_b32 v22, s19 :: v_dual_mov_b32 v21, s18
	s_and_b32 s2, exec_lo, s35
	s_delay_alu instid0(SALU_CYCLE_1) | instskip(NEXT) | instid1(SALU_CYCLE_1)
	s_or_b32 s34, s2, s34
	s_and_not1_b32 exec_lo, exec_lo, s34
	s_cbranch_execz .LBB707_173
.LBB707_171:                            ; =>This Inner Loop Header: Depth=1
	s_or_b32 s35, s35, exec_lo
	s_cmp_eq_u64 s[6:7], s[18:19]
	s_cbranch_scc0 .LBB707_169
; %bb.172:                              ;   in Loop: Header=BB707_171 Depth=1
	s_mov_b64 s[18:19], s[22:23]
                                        ; implicit-def: $vgpr17_vgpr18
                                        ; implicit-def: $vgpr19_vgpr20
	s_branch .LBB707_170
.LBB707_173:
	s_set_inst_prefetch_distance 0x2
	s_or_b32 exec_lo, exec_lo, s34
	v_cmp_gt_i64_e32 vcc_lo, s[22:23], v[21:22]
	s_or_not1_b32 s2, vcc_lo, exec_lo
.LBB707_174:
	s_or_b32 exec_lo, exec_lo, s33
.LBB707_175:
	s_delay_alu instid0(SALU_CYCLE_1)
	s_and_b32 s2, s2, exec_lo
.LBB707_176:
	s_or_b32 exec_lo, exec_lo, s31
	s_waitcnt lgkmcnt(0)
	v_dual_mov_b32 v18, s5 :: v_dual_mov_b32 v17, s4
	s_mov_b32 s4, exec_lo
	s_barrier
	buffer_gl0_inv
	v_cmpx_ne_u32_e32 0, v0
	s_cbranch_execz .LBB707_178
; %bb.177:
	v_add_nc_u32_e32 v17, -8, v39
	ds_load_b64 v[17:18], v17
.LBB707_178:
	s_or_b32 exec_lo, exec_lo, s4
	v_cndmask_b32_e64 v20, 0, 1, s29
	v_cndmask_b32_e64 v22, 0, 1, s26
	v_cndmask_b32_e64 v23, 0, 1, s27
	v_cndmask_b32_e64 v19, 0, 1, s30
	v_cndmask_b32_e64 v21, 0, 1, s28
	v_cndmask_b32_e64 v24, 0, 1, s3
	v_cndmask_b32_e64 v26, 0, 1, s2
	v_lshlrev_b16 v20, 8, v20
	v_lshlrev_b16 v22, 8, v22
	;; [unrolled: 1-line block ×3, first 2 shown]
	s_mov_b32 s2, 0
	v_lshlrev_b16 v26, 8, v26
	v_or_b32_e32 v19, v19, v20
	v_or_b32_e32 v20, v21, v22
	;; [unrolled: 1-line block ×3, first 2 shown]
	s_mov_b32 s3, exec_lo
	v_and_b32_e32 v23, 0xffff, v26
	v_lshlrev_b32_e32 v24, 16, v19
	v_and_b32_e32 v26, 0xffff, v20
	v_lshlrev_b32_e32 v27, 16, v21
	v_cmpx_gt_u32_e64 s20, v39
	s_cbranch_execz .LBB707_189
; %bb.179:
	v_cmp_ne_u32_e32 vcc_lo, 1, v25
	s_cbranch_vccnz .LBB707_188
; %bb.180:
	s_waitcnt lgkmcnt(0)
	v_mul_lo_u32 v22, v18, s22
	v_mul_lo_u32 v25, v17, s23
	v_mad_u64_u32 v[18:19], null, v17, s22, 0
	v_mul_lo_u32 v17, v14, s22
	v_mul_lo_u32 v28, v13, s23
	v_mad_u64_u32 v[20:21], null, v13, s22, 0
	s_mov_b32 s2, -1
	s_mov_b32 s18, exec_lo
	s_delay_alu instid0(VALU_DEP_4) | instskip(NEXT) | instid1(VALU_DEP_2)
	v_add3_u32 v19, v19, v25, v22
	v_add3_u32 v21, v21, v28, v17
	s_delay_alu instid0(VALU_DEP_2) | instskip(NEXT) | instid1(VALU_DEP_2)
	v_lshlrev_b64 v[17:18], 1, v[18:19]
	v_lshlrev_b64 v[21:22], 1, v[20:21]
	s_delay_alu instid0(VALU_DEP_2) | instskip(NEXT) | instid1(VALU_DEP_3)
	v_add_co_u32 v19, vcc_lo, s8, v17
	v_add_co_ci_u32_e32 v20, vcc_lo, s9, v18, vcc_lo
	s_delay_alu instid0(VALU_DEP_3) | instskip(NEXT) | instid1(VALU_DEP_4)
	v_add_co_u32 v17, vcc_lo, s8, v21
	v_add_co_ci_u32_e32 v18, vcc_lo, s9, v22, vcc_lo
	s_clause 0x1
	global_load_u16 v21, v[19:20], off
	global_load_u16 v22, v[17:18], off
	s_waitcnt vmcnt(0)
	v_cmpx_eq_u16_e64 v21, v22
	s_cbranch_execz .LBB707_187
; %bb.181:
	v_add_co_u32 v17, vcc_lo, v17, 2
	v_add_co_ci_u32_e32 v18, vcc_lo, 0, v18, vcc_lo
	v_add_co_u32 v19, vcc_lo, v19, 2
	v_add_co_ci_u32_e32 v20, vcc_lo, 0, v20, vcc_lo
	s_add_u32 s4, s22, -1
	s_addc_u32 s5, s23, -1
	s_mov_b64 s[6:7], 0
	s_mov_b32 s19, 0
                                        ; implicit-def: $sgpr26
	s_set_inst_prefetch_distance 0x1
	s_branch .LBB707_184
	.p2align	6
.LBB707_182:                            ;   in Loop: Header=BB707_184 Depth=1
	global_load_u16 v21, v[19:20], off
	global_load_u16 v22, v[17:18], off
	v_add_co_u32 v17, vcc_lo, v17, 2
	v_add_co_ci_u32_e32 v18, vcc_lo, 0, v18, vcc_lo
	v_add_co_u32 v19, s2, v19, 2
	s_delay_alu instid0(VALU_DEP_1)
	v_add_co_ci_u32_e64 v20, s2, 0, v20, s2
	s_add_u32 s6, s6, 1
	s_addc_u32 s7, s7, 0
	s_and_not1_b32 s2, s26, exec_lo
	s_waitcnt vmcnt(0)
	v_cmp_ne_u16_e32 vcc_lo, v21, v22
	s_and_b32 s26, vcc_lo, exec_lo
	s_delay_alu instid0(SALU_CYCLE_1)
	s_or_b32 s26, s2, s26
.LBB707_183:                            ;   in Loop: Header=BB707_184 Depth=1
	v_dual_mov_b32 v22, s7 :: v_dual_mov_b32 v21, s6
	s_and_b32 s2, exec_lo, s26
	s_delay_alu instid0(SALU_CYCLE_1) | instskip(NEXT) | instid1(SALU_CYCLE_1)
	s_or_b32 s19, s2, s19
	s_and_not1_b32 exec_lo, exec_lo, s19
	s_cbranch_execz .LBB707_186
.LBB707_184:                            ; =>This Inner Loop Header: Depth=1
	s_or_b32 s26, s26, exec_lo
	s_cmp_eq_u64 s[4:5], s[6:7]
	s_cbranch_scc0 .LBB707_182
; %bb.185:                              ;   in Loop: Header=BB707_184 Depth=1
	s_mov_b64 s[6:7], s[22:23]
                                        ; implicit-def: $vgpr17_vgpr18
                                        ; implicit-def: $vgpr19_vgpr20
	s_branch .LBB707_183
.LBB707_186:
	s_set_inst_prefetch_distance 0x2
	s_or_b32 exec_lo, exec_lo, s19
	v_cmp_gt_i64_e32 vcc_lo, s[22:23], v[21:22]
	s_or_not1_b32 s2, vcc_lo, exec_lo
.LBB707_187:
	s_or_b32 exec_lo, exec_lo, s18
.LBB707_188:
	s_delay_alu instid0(SALU_CYCLE_1)
	s_and_b32 s2, s2, exec_lo
.LBB707_189:
	s_or_b32 exec_lo, exec_lo, s3
	s_waitcnt lgkmcnt(0)
	v_or_b32_e32 v17, v23, v24
	v_or_b32_e32 v18, v26, v27
.LBB707_190:
	s_mov_b32 s18, -1
	s_cbranch_execnz .LBB707_359
.LBB707_191:
	v_cmp_gt_i64_e64 s3, s[22:23], 0
	s_and_b32 vcc_lo, exec_lo, s21
	ds_store_b64 v39, v[3:4]
	s_cbranch_vccz .LBB707_199
; %bb.192:
	s_waitcnt lgkmcnt(0)
	v_mul_lo_u32 v19, v2, s22
	v_mul_lo_u32 v20, v1, s23
	v_mad_u64_u32 v[17:18], null, v1, s22, 0
	s_mov_b32 s19, 0
	s_and_not1_b32 vcc_lo, exec_lo, s3
	s_mov_b32 s26, 0
	s_delay_alu instid0(VALU_DEP_1) | instskip(NEXT) | instid1(VALU_DEP_1)
	v_add3_u32 v18, v18, v20, v19
	v_lshlrev_b64 v[17:18], 1, v[17:18]
	s_cbranch_vccnz .LBB707_202
; %bb.193:
	v_mul_lo_u32 v21, v4, s22
	v_mul_lo_u32 v22, v3, s23
	v_mad_u64_u32 v[19:20], null, v3, s22, 0
	s_mov_b32 s26, -1
	s_mov_b32 s27, exec_lo
	s_delay_alu instid0(VALU_DEP_1) | instskip(SKIP_2) | instid1(VALU_DEP_3)
	v_add3_u32 v20, v20, v22, v21
	v_add_co_u32 v21, vcc_lo, s8, v17
	v_add_co_ci_u32_e32 v22, vcc_lo, s9, v18, vcc_lo
	v_lshlrev_b64 v[19:20], 1, v[19:20]
	s_delay_alu instid0(VALU_DEP_1) | instskip(NEXT) | instid1(VALU_DEP_2)
	v_add_co_u32 v19, vcc_lo, s8, v19
	v_add_co_ci_u32_e32 v20, vcc_lo, s9, v20, vcc_lo
	s_clause 0x1
	global_load_u16 v23, v[21:22], off
	global_load_u16 v24, v[19:20], off
	s_waitcnt vmcnt(0)
	v_cmpx_eq_u16_e64 v23, v24
	s_cbranch_execz .LBB707_201
; %bb.194:
	v_add_co_u32 v19, vcc_lo, v19, 2
	v_add_co_ci_u32_e32 v20, vcc_lo, 0, v20, vcc_lo
	v_add_co_u32 v21, vcc_lo, v21, 2
	v_add_co_ci_u32_e32 v22, vcc_lo, 0, v22, vcc_lo
	s_add_u32 s4, s22, -1
	s_addc_u32 s5, s23, -1
	s_mov_b64 s[6:7], 0
	s_mov_b32 s26, 0
                                        ; implicit-def: $sgpr28
	s_set_inst_prefetch_distance 0x1
	s_branch .LBB707_197
	.p2align	6
.LBB707_195:                            ;   in Loop: Header=BB707_197 Depth=1
	global_load_u16 v23, v[21:22], off
	global_load_u16 v24, v[19:20], off
	v_add_co_u32 v19, vcc_lo, v19, 2
	v_add_co_ci_u32_e32 v20, vcc_lo, 0, v20, vcc_lo
	v_add_co_u32 v21, s2, v21, 2
	s_delay_alu instid0(VALU_DEP_1)
	v_add_co_ci_u32_e64 v22, s2, 0, v22, s2
	s_add_u32 s6, s6, 1
	s_addc_u32 s7, s7, 0
	s_and_not1_b32 s2, s28, exec_lo
	s_waitcnt vmcnt(0)
	v_cmp_ne_u16_e32 vcc_lo, v23, v24
	s_and_b32 s28, vcc_lo, exec_lo
	s_delay_alu instid0(SALU_CYCLE_1)
	s_or_b32 s28, s2, s28
.LBB707_196:                            ;   in Loop: Header=BB707_197 Depth=1
	v_dual_mov_b32 v24, s7 :: v_dual_mov_b32 v23, s6
	s_and_b32 s2, exec_lo, s28
	s_delay_alu instid0(SALU_CYCLE_1) | instskip(NEXT) | instid1(SALU_CYCLE_1)
	s_or_b32 s26, s2, s26
	s_and_not1_b32 exec_lo, exec_lo, s26
	s_cbranch_execz .LBB707_200
.LBB707_197:                            ; =>This Inner Loop Header: Depth=1
	s_or_b32 s28, s28, exec_lo
	s_cmp_eq_u64 s[4:5], s[6:7]
	s_cbranch_scc0 .LBB707_195
; %bb.198:                              ;   in Loop: Header=BB707_197 Depth=1
	s_mov_b64 s[6:7], s[22:23]
                                        ; implicit-def: $vgpr19_vgpr20
                                        ; implicit-def: $vgpr21_vgpr22
	s_branch .LBB707_196
.LBB707_199:
	s_waitcnt lgkmcnt(0)
                                        ; implicit-def: $sgpr2
                                        ; implicit-def: $vgpr18
	s_cbranch_execnz .LBB707_268
	s_branch .LBB707_359
.LBB707_200:
	s_set_inst_prefetch_distance 0x2
	s_or_b32 exec_lo, exec_lo, s26
	v_cmp_gt_i64_e32 vcc_lo, s[22:23], v[23:24]
	s_or_not1_b32 s26, vcc_lo, exec_lo
.LBB707_201:
	s_or_b32 exec_lo, exec_lo, s27
.LBB707_202:
	v_mul_lo_u32 v21, v8, s22
	v_mul_lo_u32 v22, v7, s23
	v_mad_u64_u32 v[19:20], null, v7, s22, 0
	s_and_not1_b32 vcc_lo, exec_lo, s3
	s_delay_alu instid0(VALU_DEP_1) | instskip(NEXT) | instid1(VALU_DEP_1)
	v_add3_u32 v20, v20, v22, v21
	v_lshlrev_b64 v[19:20], 1, v[19:20]
	s_cbranch_vccnz .LBB707_211
; %bb.203:
	s_delay_alu instid0(VALU_DEP_1) | instskip(NEXT) | instid1(VALU_DEP_2)
	v_add_co_u32 v21, vcc_lo, s8, v19
	v_add_co_ci_u32_e32 v22, vcc_lo, s9, v20, vcc_lo
	v_add_co_u32 v17, vcc_lo, s8, v17
	v_add_co_ci_u32_e32 v18, vcc_lo, s9, v18, vcc_lo
	s_mov_b32 s19, -1
	s_clause 0x1
	global_load_u16 v23, v[21:22], off
	global_load_u16 v24, v[17:18], off
	s_mov_b32 s27, exec_lo
	s_waitcnt vmcnt(0)
	v_cmpx_eq_u16_e64 v23, v24
	s_cbranch_execz .LBB707_210
; %bb.204:
	v_add_co_u32 v17, vcc_lo, v17, 2
	v_add_co_ci_u32_e32 v18, vcc_lo, 0, v18, vcc_lo
	v_add_co_u32 v21, vcc_lo, v21, 2
	v_add_co_ci_u32_e32 v22, vcc_lo, 0, v22, vcc_lo
	s_add_u32 s4, s22, -1
	s_addc_u32 s5, s23, -1
	s_mov_b64 s[6:7], 0
	s_mov_b32 s19, 0
                                        ; implicit-def: $sgpr28
	s_set_inst_prefetch_distance 0x1
	s_branch .LBB707_207
	.p2align	6
.LBB707_205:                            ;   in Loop: Header=BB707_207 Depth=1
	global_load_u16 v23, v[21:22], off
	global_load_u16 v24, v[17:18], off
	v_add_co_u32 v17, vcc_lo, v17, 2
	v_add_co_ci_u32_e32 v18, vcc_lo, 0, v18, vcc_lo
	v_add_co_u32 v21, s2, v21, 2
	s_delay_alu instid0(VALU_DEP_1)
	v_add_co_ci_u32_e64 v22, s2, 0, v22, s2
	s_add_u32 s6, s6, 1
	s_addc_u32 s7, s7, 0
	s_and_not1_b32 s2, s28, exec_lo
	s_waitcnt vmcnt(0)
	v_cmp_ne_u16_e32 vcc_lo, v23, v24
	s_and_b32 s28, vcc_lo, exec_lo
	s_delay_alu instid0(SALU_CYCLE_1)
	s_or_b32 s28, s2, s28
.LBB707_206:                            ;   in Loop: Header=BB707_207 Depth=1
	v_dual_mov_b32 v24, s7 :: v_dual_mov_b32 v23, s6
	s_and_b32 s2, exec_lo, s28
	s_delay_alu instid0(SALU_CYCLE_1) | instskip(NEXT) | instid1(SALU_CYCLE_1)
	s_or_b32 s19, s2, s19
	s_and_not1_b32 exec_lo, exec_lo, s19
	s_cbranch_execz .LBB707_209
.LBB707_207:                            ; =>This Inner Loop Header: Depth=1
	s_or_b32 s28, s28, exec_lo
	s_cmp_eq_u64 s[4:5], s[6:7]
	s_cbranch_scc0 .LBB707_205
; %bb.208:                              ;   in Loop: Header=BB707_207 Depth=1
	s_mov_b64 s[6:7], s[22:23]
                                        ; implicit-def: $vgpr17_vgpr18
                                        ; implicit-def: $vgpr21_vgpr22
	s_branch .LBB707_206
.LBB707_209:
	s_set_inst_prefetch_distance 0x2
	s_or_b32 exec_lo, exec_lo, s19
	v_cmp_gt_i64_e32 vcc_lo, s[22:23], v[23:24]
	s_or_not1_b32 s19, vcc_lo, exec_lo
.LBB707_210:
	s_or_b32 exec_lo, exec_lo, s27
.LBB707_211:
	v_mul_lo_u32 v21, v6, s22
	v_mul_lo_u32 v22, v5, s23
	v_mad_u64_u32 v[17:18], null, v5, s22, 0
	s_mov_b32 s27, 0
	s_and_not1_b32 vcc_lo, exec_lo, s3
	s_mov_b32 s28, 0
	s_delay_alu instid0(VALU_DEP_1) | instskip(NEXT) | instid1(VALU_DEP_1)
	v_add3_u32 v18, v18, v22, v21
	v_lshlrev_b64 v[21:22], 1, v[17:18]
	s_cbranch_vccnz .LBB707_220
; %bb.212:
	s_delay_alu instid0(VALU_DEP_1) | instskip(NEXT) | instid1(VALU_DEP_2)
	v_add_co_u32 v23, vcc_lo, s8, v21
	v_add_co_ci_u32_e32 v24, vcc_lo, s9, v22, vcc_lo
	v_add_co_u32 v17, vcc_lo, s8, v19
	v_add_co_ci_u32_e32 v18, vcc_lo, s9, v20, vcc_lo
	s_mov_b32 s28, -1
	s_clause 0x1
	global_load_u16 v19, v[23:24], off
	global_load_u16 v20, v[17:18], off
	s_mov_b32 s29, exec_lo
	s_waitcnt vmcnt(0)
	v_cmpx_eq_u16_e64 v19, v20
	s_cbranch_execz .LBB707_219
; %bb.213:
	v_add_co_u32 v17, vcc_lo, v17, 2
	v_add_co_ci_u32_e32 v18, vcc_lo, 0, v18, vcc_lo
	v_add_co_u32 v19, vcc_lo, v23, 2
	v_add_co_ci_u32_e32 v20, vcc_lo, 0, v24, vcc_lo
	s_add_u32 s4, s22, -1
	s_addc_u32 s5, s23, -1
	s_mov_b64 s[6:7], 0
	s_mov_b32 s28, 0
                                        ; implicit-def: $sgpr30
	s_set_inst_prefetch_distance 0x1
	s_branch .LBB707_216
	.p2align	6
.LBB707_214:                            ;   in Loop: Header=BB707_216 Depth=1
	global_load_u16 v23, v[19:20], off
	global_load_u16 v24, v[17:18], off
	v_add_co_u32 v17, vcc_lo, v17, 2
	v_add_co_ci_u32_e32 v18, vcc_lo, 0, v18, vcc_lo
	v_add_co_u32 v19, s2, v19, 2
	s_delay_alu instid0(VALU_DEP_1)
	v_add_co_ci_u32_e64 v20, s2, 0, v20, s2
	s_add_u32 s6, s6, 1
	s_addc_u32 s7, s7, 0
	s_and_not1_b32 s2, s30, exec_lo
	s_waitcnt vmcnt(0)
	v_cmp_ne_u16_e32 vcc_lo, v23, v24
	s_and_b32 s30, vcc_lo, exec_lo
	s_delay_alu instid0(SALU_CYCLE_1)
	s_or_b32 s30, s2, s30
.LBB707_215:                            ;   in Loop: Header=BB707_216 Depth=1
	v_dual_mov_b32 v24, s7 :: v_dual_mov_b32 v23, s6
	s_and_b32 s2, exec_lo, s30
	s_delay_alu instid0(SALU_CYCLE_1) | instskip(NEXT) | instid1(SALU_CYCLE_1)
	s_or_b32 s28, s2, s28
	s_and_not1_b32 exec_lo, exec_lo, s28
	s_cbranch_execz .LBB707_218
.LBB707_216:                            ; =>This Inner Loop Header: Depth=1
	s_or_b32 s30, s30, exec_lo
	s_cmp_eq_u64 s[4:5], s[6:7]
	s_cbranch_scc0 .LBB707_214
; %bb.217:                              ;   in Loop: Header=BB707_216 Depth=1
	s_mov_b64 s[6:7], s[22:23]
                                        ; implicit-def: $vgpr17_vgpr18
                                        ; implicit-def: $vgpr19_vgpr20
	s_branch .LBB707_215
.LBB707_218:
	s_set_inst_prefetch_distance 0x2
	s_or_b32 exec_lo, exec_lo, s28
	v_cmp_gt_i64_e32 vcc_lo, s[22:23], v[23:24]
	s_or_not1_b32 s28, vcc_lo, exec_lo
.LBB707_219:
	s_or_b32 exec_lo, exec_lo, s29
.LBB707_220:
	v_mul_lo_u32 v19, v12, s22
	v_mul_lo_u32 v20, v11, s23
	v_mad_u64_u32 v[17:18], null, v11, s22, 0
	s_and_not1_b32 vcc_lo, exec_lo, s3
	s_delay_alu instid0(VALU_DEP_1) | instskip(NEXT) | instid1(VALU_DEP_1)
	v_add3_u32 v18, v18, v20, v19
	v_lshlrev_b64 v[17:18], 1, v[17:18]
	s_cbranch_vccnz .LBB707_229
; %bb.221:
	s_delay_alu instid0(VALU_DEP_1) | instskip(NEXT) | instid1(VALU_DEP_2)
	v_add_co_u32 v23, vcc_lo, s8, v17
	v_add_co_ci_u32_e32 v24, vcc_lo, s9, v18, vcc_lo
	v_add_co_u32 v19, vcc_lo, s8, v21
	v_add_co_ci_u32_e32 v20, vcc_lo, s9, v22, vcc_lo
	s_mov_b32 s27, -1
	s_clause 0x1
	global_load_u16 v21, v[23:24], off
	global_load_u16 v22, v[19:20], off
	s_mov_b32 s29, exec_lo
	s_waitcnt vmcnt(0)
	v_cmpx_eq_u16_e64 v21, v22
	s_cbranch_execz .LBB707_228
; %bb.222:
	v_add_co_u32 v19, vcc_lo, v19, 2
	v_add_co_ci_u32_e32 v20, vcc_lo, 0, v20, vcc_lo
	v_add_co_u32 v21, vcc_lo, v23, 2
	v_add_co_ci_u32_e32 v22, vcc_lo, 0, v24, vcc_lo
	s_add_u32 s4, s22, -1
	s_addc_u32 s5, s23, -1
	s_mov_b64 s[6:7], 0
	s_mov_b32 s27, 0
                                        ; implicit-def: $sgpr30
	s_set_inst_prefetch_distance 0x1
	s_branch .LBB707_225
	.p2align	6
.LBB707_223:                            ;   in Loop: Header=BB707_225 Depth=1
	global_load_u16 v23, v[21:22], off
	global_load_u16 v24, v[19:20], off
	v_add_co_u32 v19, vcc_lo, v19, 2
	v_add_co_ci_u32_e32 v20, vcc_lo, 0, v20, vcc_lo
	v_add_co_u32 v21, s2, v21, 2
	s_delay_alu instid0(VALU_DEP_1)
	v_add_co_ci_u32_e64 v22, s2, 0, v22, s2
	s_add_u32 s6, s6, 1
	s_addc_u32 s7, s7, 0
	s_and_not1_b32 s2, s30, exec_lo
	s_waitcnt vmcnt(0)
	v_cmp_ne_u16_e32 vcc_lo, v23, v24
	s_and_b32 s30, vcc_lo, exec_lo
	s_delay_alu instid0(SALU_CYCLE_1)
	s_or_b32 s30, s2, s30
.LBB707_224:                            ;   in Loop: Header=BB707_225 Depth=1
	v_dual_mov_b32 v24, s7 :: v_dual_mov_b32 v23, s6
	s_and_b32 s2, exec_lo, s30
	s_delay_alu instid0(SALU_CYCLE_1) | instskip(NEXT) | instid1(SALU_CYCLE_1)
	s_or_b32 s27, s2, s27
	s_and_not1_b32 exec_lo, exec_lo, s27
	s_cbranch_execz .LBB707_227
.LBB707_225:                            ; =>This Inner Loop Header: Depth=1
	s_or_b32 s30, s30, exec_lo
	s_cmp_eq_u64 s[4:5], s[6:7]
	s_cbranch_scc0 .LBB707_223
; %bb.226:                              ;   in Loop: Header=BB707_225 Depth=1
	s_mov_b64 s[6:7], s[22:23]
                                        ; implicit-def: $vgpr19_vgpr20
                                        ; implicit-def: $vgpr21_vgpr22
	s_branch .LBB707_224
.LBB707_227:
	s_set_inst_prefetch_distance 0x2
	s_or_b32 exec_lo, exec_lo, s27
	v_cmp_gt_i64_e32 vcc_lo, s[22:23], v[23:24]
	s_or_not1_b32 s27, vcc_lo, exec_lo
.LBB707_228:
	s_or_b32 exec_lo, exec_lo, s29
.LBB707_229:
	v_mul_lo_u32 v21, v10, s22
	v_mul_lo_u32 v22, v9, s23
	v_mad_u64_u32 v[19:20], null, v9, s22, 0
	s_mov_b32 s29, 0
	s_and_not1_b32 vcc_lo, exec_lo, s3
	s_mov_b32 s30, 0
	s_delay_alu instid0(VALU_DEP_1) | instskip(NEXT) | instid1(VALU_DEP_1)
	v_add3_u32 v20, v20, v22, v21
	v_lshlrev_b64 v[19:20], 1, v[19:20]
	s_cbranch_vccnz .LBB707_238
; %bb.230:
	s_delay_alu instid0(VALU_DEP_1) | instskip(NEXT) | instid1(VALU_DEP_2)
	v_add_co_u32 v21, vcc_lo, s8, v19
	v_add_co_ci_u32_e32 v22, vcc_lo, s9, v20, vcc_lo
	v_add_co_u32 v17, vcc_lo, s8, v17
	v_add_co_ci_u32_e32 v18, vcc_lo, s9, v18, vcc_lo
	s_mov_b32 s30, -1
	s_clause 0x1
	global_load_u16 v23, v[21:22], off
	global_load_u16 v24, v[17:18], off
	s_mov_b32 s31, exec_lo
	s_waitcnt vmcnt(0)
	v_cmpx_eq_u16_e64 v23, v24
	s_cbranch_execz .LBB707_237
; %bb.231:
	v_add_co_u32 v17, vcc_lo, v17, 2
	v_add_co_ci_u32_e32 v18, vcc_lo, 0, v18, vcc_lo
	v_add_co_u32 v21, vcc_lo, v21, 2
	v_add_co_ci_u32_e32 v22, vcc_lo, 0, v22, vcc_lo
	s_add_u32 s4, s22, -1
	s_addc_u32 s5, s23, -1
	s_mov_b64 s[6:7], 0
	s_mov_b32 s30, 0
                                        ; implicit-def: $sgpr33
	s_set_inst_prefetch_distance 0x1
	s_branch .LBB707_234
	.p2align	6
.LBB707_232:                            ;   in Loop: Header=BB707_234 Depth=1
	global_load_u16 v23, v[21:22], off
	global_load_u16 v24, v[17:18], off
	v_add_co_u32 v17, vcc_lo, v17, 2
	v_add_co_ci_u32_e32 v18, vcc_lo, 0, v18, vcc_lo
	v_add_co_u32 v21, s2, v21, 2
	s_delay_alu instid0(VALU_DEP_1)
	v_add_co_ci_u32_e64 v22, s2, 0, v22, s2
	s_add_u32 s6, s6, 1
	s_addc_u32 s7, s7, 0
	s_and_not1_b32 s2, s33, exec_lo
	s_waitcnt vmcnt(0)
	v_cmp_ne_u16_e32 vcc_lo, v23, v24
	s_and_b32 s33, vcc_lo, exec_lo
	s_delay_alu instid0(SALU_CYCLE_1)
	s_or_b32 s33, s2, s33
.LBB707_233:                            ;   in Loop: Header=BB707_234 Depth=1
	v_dual_mov_b32 v24, s7 :: v_dual_mov_b32 v23, s6
	s_and_b32 s2, exec_lo, s33
	s_delay_alu instid0(SALU_CYCLE_1) | instskip(NEXT) | instid1(SALU_CYCLE_1)
	s_or_b32 s30, s2, s30
	s_and_not1_b32 exec_lo, exec_lo, s30
	s_cbranch_execz .LBB707_236
.LBB707_234:                            ; =>This Inner Loop Header: Depth=1
	s_or_b32 s33, s33, exec_lo
	s_cmp_eq_u64 s[4:5], s[6:7]
	s_cbranch_scc0 .LBB707_232
; %bb.235:                              ;   in Loop: Header=BB707_234 Depth=1
	s_mov_b64 s[6:7], s[22:23]
                                        ; implicit-def: $vgpr17_vgpr18
                                        ; implicit-def: $vgpr21_vgpr22
	s_branch .LBB707_233
.LBB707_236:
	s_set_inst_prefetch_distance 0x2
	s_or_b32 exec_lo, exec_lo, s30
	v_cmp_gt_i64_e32 vcc_lo, s[22:23], v[23:24]
	s_or_not1_b32 s30, vcc_lo, exec_lo
.LBB707_237:
	s_or_b32 exec_lo, exec_lo, s31
.LBB707_238:
	v_mul_lo_u32 v21, v16, s22
	v_mul_lo_u32 v22, v15, s23
	v_mad_u64_u32 v[17:18], null, v15, s22, 0
	s_and_not1_b32 vcc_lo, exec_lo, s3
	s_delay_alu instid0(VALU_DEP_1) | instskip(NEXT) | instid1(VALU_DEP_1)
	v_add3_u32 v18, v18, v22, v21
	v_lshlrev_b64 v[17:18], 1, v[17:18]
	s_cbranch_vccnz .LBB707_247
; %bb.239:
	s_delay_alu instid0(VALU_DEP_1) | instskip(NEXT) | instid1(VALU_DEP_2)
	v_add_co_u32 v21, vcc_lo, s8, v17
	v_add_co_ci_u32_e32 v22, vcc_lo, s9, v18, vcc_lo
	v_add_co_u32 v19, vcc_lo, s8, v19
	v_add_co_ci_u32_e32 v20, vcc_lo, s9, v20, vcc_lo
	s_mov_b32 s29, -1
	s_clause 0x1
	global_load_u16 v23, v[21:22], off
	global_load_u16 v24, v[19:20], off
	s_mov_b32 s31, exec_lo
	s_waitcnt vmcnt(0)
	v_cmpx_eq_u16_e64 v23, v24
	s_cbranch_execz .LBB707_246
; %bb.240:
	v_add_co_u32 v19, vcc_lo, v19, 2
	v_add_co_ci_u32_e32 v20, vcc_lo, 0, v20, vcc_lo
	v_add_co_u32 v21, vcc_lo, v21, 2
	v_add_co_ci_u32_e32 v22, vcc_lo, 0, v22, vcc_lo
	s_add_u32 s4, s22, -1
	s_addc_u32 s5, s23, -1
	s_mov_b64 s[6:7], 0
	s_mov_b32 s29, 0
                                        ; implicit-def: $sgpr33
	s_set_inst_prefetch_distance 0x1
	s_branch .LBB707_243
	.p2align	6
.LBB707_241:                            ;   in Loop: Header=BB707_243 Depth=1
	global_load_u16 v23, v[21:22], off
	global_load_u16 v24, v[19:20], off
	v_add_co_u32 v19, vcc_lo, v19, 2
	v_add_co_ci_u32_e32 v20, vcc_lo, 0, v20, vcc_lo
	v_add_co_u32 v21, s2, v21, 2
	s_delay_alu instid0(VALU_DEP_1)
	v_add_co_ci_u32_e64 v22, s2, 0, v22, s2
	s_add_u32 s6, s6, 1
	s_addc_u32 s7, s7, 0
	s_and_not1_b32 s2, s33, exec_lo
	s_waitcnt vmcnt(0)
	v_cmp_ne_u16_e32 vcc_lo, v23, v24
	s_and_b32 s33, vcc_lo, exec_lo
	s_delay_alu instid0(SALU_CYCLE_1)
	s_or_b32 s33, s2, s33
.LBB707_242:                            ;   in Loop: Header=BB707_243 Depth=1
	v_dual_mov_b32 v24, s7 :: v_dual_mov_b32 v23, s6
	s_and_b32 s2, exec_lo, s33
	s_delay_alu instid0(SALU_CYCLE_1) | instskip(NEXT) | instid1(SALU_CYCLE_1)
	s_or_b32 s29, s2, s29
	s_and_not1_b32 exec_lo, exec_lo, s29
	s_cbranch_execz .LBB707_245
.LBB707_243:                            ; =>This Inner Loop Header: Depth=1
	s_or_b32 s33, s33, exec_lo
	s_cmp_eq_u64 s[4:5], s[6:7]
	s_cbranch_scc0 .LBB707_241
; %bb.244:                              ;   in Loop: Header=BB707_243 Depth=1
	s_mov_b64 s[6:7], s[22:23]
                                        ; implicit-def: $vgpr19_vgpr20
                                        ; implicit-def: $vgpr21_vgpr22
	s_branch .LBB707_242
.LBB707_245:
	s_set_inst_prefetch_distance 0x2
	s_or_b32 exec_lo, exec_lo, s29
	v_cmp_gt_i64_e32 vcc_lo, s[22:23], v[23:24]
	s_or_not1_b32 s29, vcc_lo, exec_lo
.LBB707_246:
	s_or_b32 exec_lo, exec_lo, s31
.LBB707_247:
	v_mul_lo_u32 v21, v14, s22
	v_mul_lo_u32 v22, v13, s23
	v_mad_u64_u32 v[19:20], null, v13, s22, 0
	s_and_not1_b32 vcc_lo, exec_lo, s3
	s_mov_b32 s2, 0
	s_delay_alu instid0(VALU_DEP_1)
	v_add3_u32 v20, v20, v22, v21
	s_cbranch_vccnz .LBB707_256
; %bb.248:
	s_delay_alu instid0(VALU_DEP_1) | instskip(SKIP_2) | instid1(VALU_DEP_1)
	v_lshlrev_b64 v[21:22], 1, v[19:20]
	s_mov_b32 s2, -1
	s_mov_b32 s31, exec_lo
	v_add_co_u32 v21, vcc_lo, s8, v21
	s_delay_alu instid0(VALU_DEP_2)
	v_add_co_ci_u32_e32 v22, vcc_lo, s9, v22, vcc_lo
	v_add_co_u32 v17, vcc_lo, s8, v17
	v_add_co_ci_u32_e32 v18, vcc_lo, s9, v18, vcc_lo
	s_clause 0x1
	global_load_u16 v23, v[21:22], off
	global_load_u16 v24, v[17:18], off
	s_waitcnt vmcnt(0)
	v_cmpx_eq_u16_e64 v23, v24
	s_cbranch_execz .LBB707_255
; %bb.249:
	v_add_co_u32 v17, vcc_lo, v17, 2
	v_add_co_ci_u32_e32 v18, vcc_lo, 0, v18, vcc_lo
	v_add_co_u32 v21, vcc_lo, v21, 2
	v_add_co_ci_u32_e32 v22, vcc_lo, 0, v22, vcc_lo
	s_add_u32 s4, s22, -1
	s_addc_u32 s5, s23, -1
	s_mov_b64 s[6:7], 0
	s_mov_b32 s33, 0
                                        ; implicit-def: $sgpr34
	s_set_inst_prefetch_distance 0x1
	s_branch .LBB707_252
	.p2align	6
.LBB707_250:                            ;   in Loop: Header=BB707_252 Depth=1
	global_load_u16 v23, v[21:22], off
	global_load_u16 v24, v[17:18], off
	v_add_co_u32 v17, vcc_lo, v17, 2
	v_add_co_ci_u32_e32 v18, vcc_lo, 0, v18, vcc_lo
	v_add_co_u32 v21, s2, v21, 2
	s_delay_alu instid0(VALU_DEP_1)
	v_add_co_ci_u32_e64 v22, s2, 0, v22, s2
	s_add_u32 s6, s6, 1
	s_addc_u32 s7, s7, 0
	s_and_not1_b32 s2, s34, exec_lo
	s_waitcnt vmcnt(0)
	v_cmp_ne_u16_e32 vcc_lo, v23, v24
	s_and_b32 s34, vcc_lo, exec_lo
	s_delay_alu instid0(SALU_CYCLE_1)
	s_or_b32 s34, s2, s34
.LBB707_251:                            ;   in Loop: Header=BB707_252 Depth=1
	v_dual_mov_b32 v24, s7 :: v_dual_mov_b32 v23, s6
	s_and_b32 s2, exec_lo, s34
	s_delay_alu instid0(SALU_CYCLE_1) | instskip(NEXT) | instid1(SALU_CYCLE_1)
	s_or_b32 s33, s2, s33
	s_and_not1_b32 exec_lo, exec_lo, s33
	s_cbranch_execz .LBB707_254
.LBB707_252:                            ; =>This Inner Loop Header: Depth=1
	s_or_b32 s34, s34, exec_lo
	s_cmp_eq_u64 s[4:5], s[6:7]
	s_cbranch_scc0 .LBB707_250
; %bb.253:                              ;   in Loop: Header=BB707_252 Depth=1
	s_mov_b64 s[6:7], s[22:23]
                                        ; implicit-def: $vgpr17_vgpr18
                                        ; implicit-def: $vgpr21_vgpr22
	s_branch .LBB707_251
.LBB707_254:
	s_set_inst_prefetch_distance 0x2
	s_or_b32 exec_lo, exec_lo, s33
	v_cmp_gt_i64_e32 vcc_lo, s[22:23], v[23:24]
	s_or_not1_b32 s2, vcc_lo, exec_lo
.LBB707_255:
	s_or_b32 exec_lo, exec_lo, s31
.LBB707_256:
	v_cndmask_b32_e64 v18, 0, 1, s30
	v_cndmask_b32_e64 v21, 0, 1, s28
	;; [unrolled: 1-line block ×7, first 2 shown]
	v_lshlrev_b16 v21, 8, v21
	v_lshlrev_b16 v22, 8, v22
	;; [unrolled: 1-line block ×4, first 2 shown]
	s_delay_alu instid0(VALU_DEP_4) | instskip(NEXT) | instid1(VALU_DEP_4)
	v_or_b32_e32 v21, v24, v21
	v_or_b32_e32 v22, v25, v22
	s_delay_alu instid0(VALU_DEP_4) | instskip(NEXT) | instid1(VALU_DEP_4)
	v_or_b32_e32 v23, 1, v23
	v_or_b32_e32 v17, v17, v18
	s_barrier
	v_and_b32_e32 v18, 0xffff, v21
	v_lshlrev_b32_e32 v21, 16, v22
	v_and_b32_e32 v22, 0xffff, v23
	v_lshlrev_b32_e32 v17, 16, v17
	buffer_gl0_inv
                                        ; implicit-def: $sgpr2
	s_mov_b32 s4, exec_lo
	v_or_b32_e32 v18, v18, v21
	v_or_b32_e32 v17, v22, v17
	v_cmpx_ne_u32_e32 0, v0
	s_xor_b32 s19, exec_lo, s4
	s_cbranch_execz .LBB707_267
; %bb.257:
	s_and_not1_b32 vcc_lo, exec_lo, s3
	s_mov_b32 s2, 0
	s_cbranch_vccnz .LBB707_266
; %bb.258:
	v_add_nc_u32_e32 v21, -8, v39
	v_lshlrev_b64 v[19:20], 1, v[19:20]
	s_mov_b32 s2, -1
	s_mov_b32 s26, exec_lo
	ds_load_b64 v[21:22], v21
	s_waitcnt lgkmcnt(0)
	v_mul_lo_u32 v24, v22, s22
	v_mul_lo_u32 v25, v21, s23
	v_mad_u64_u32 v[22:23], null, v21, s22, 0
	s_delay_alu instid0(VALU_DEP_1) | instskip(NEXT) | instid1(VALU_DEP_1)
	v_add3_u32 v23, v23, v25, v24
	v_lshlrev_b64 v[21:22], 1, v[22:23]
	s_delay_alu instid0(VALU_DEP_1) | instskip(NEXT) | instid1(VALU_DEP_2)
	v_add_co_u32 v21, vcc_lo, s8, v21
	v_add_co_ci_u32_e32 v22, vcc_lo, s9, v22, vcc_lo
	v_add_co_u32 v19, vcc_lo, s8, v19
	v_add_co_ci_u32_e32 v20, vcc_lo, s9, v20, vcc_lo
	s_clause 0x1
	global_load_u16 v23, v[21:22], off
	global_load_u16 v24, v[19:20], off
	s_waitcnt vmcnt(0)
	v_cmpx_eq_u16_e64 v23, v24
	s_cbranch_execz .LBB707_265
; %bb.259:
	v_add_co_u32 v19, vcc_lo, v19, 2
	v_add_co_ci_u32_e32 v20, vcc_lo, 0, v20, vcc_lo
	v_add_co_u32 v21, vcc_lo, v21, 2
	v_add_co_ci_u32_e32 v22, vcc_lo, 0, v22, vcc_lo
	s_add_u32 s4, s22, -1
	s_addc_u32 s5, s23, -1
	s_mov_b64 s[6:7], 0
	s_mov_b32 s27, 0
                                        ; implicit-def: $sgpr28
	s_set_inst_prefetch_distance 0x1
	s_branch .LBB707_262
	.p2align	6
.LBB707_260:                            ;   in Loop: Header=BB707_262 Depth=1
	global_load_u16 v23, v[21:22], off
	global_load_u16 v24, v[19:20], off
	v_add_co_u32 v19, vcc_lo, v19, 2
	v_add_co_ci_u32_e32 v20, vcc_lo, 0, v20, vcc_lo
	v_add_co_u32 v21, s2, v21, 2
	s_delay_alu instid0(VALU_DEP_1)
	v_add_co_ci_u32_e64 v22, s2, 0, v22, s2
	s_add_u32 s6, s6, 1
	s_addc_u32 s7, s7, 0
	s_and_not1_b32 s2, s28, exec_lo
	s_waitcnt vmcnt(0)
	v_cmp_ne_u16_e32 vcc_lo, v23, v24
	s_and_b32 s28, vcc_lo, exec_lo
	s_delay_alu instid0(SALU_CYCLE_1)
	s_or_b32 s28, s2, s28
.LBB707_261:                            ;   in Loop: Header=BB707_262 Depth=1
	v_dual_mov_b32 v24, s7 :: v_dual_mov_b32 v23, s6
	s_and_b32 s2, exec_lo, s28
	s_delay_alu instid0(SALU_CYCLE_1) | instskip(NEXT) | instid1(SALU_CYCLE_1)
	s_or_b32 s27, s2, s27
	s_and_not1_b32 exec_lo, exec_lo, s27
	s_cbranch_execz .LBB707_264
.LBB707_262:                            ; =>This Inner Loop Header: Depth=1
	s_or_b32 s28, s28, exec_lo
	s_cmp_eq_u64 s[4:5], s[6:7]
	s_cbranch_scc0 .LBB707_260
; %bb.263:                              ;   in Loop: Header=BB707_262 Depth=1
	s_mov_b64 s[6:7], s[22:23]
                                        ; implicit-def: $vgpr19_vgpr20
                                        ; implicit-def: $vgpr21_vgpr22
	s_branch .LBB707_261
.LBB707_264:
	s_set_inst_prefetch_distance 0x2
	s_or_b32 exec_lo, exec_lo, s27
	v_cmp_gt_i64_e32 vcc_lo, s[22:23], v[23:24]
	s_or_not1_b32 s2, vcc_lo, exec_lo
.LBB707_265:
	s_or_b32 exec_lo, exec_lo, s26
.LBB707_266:
	s_delay_alu instid0(SALU_CYCLE_1)
	s_and_b32 s2, s2, exec_lo
	s_or_b32 s18, s18, exec_lo
.LBB707_267:
	s_or_b32 exec_lo, exec_lo, s19
	s_branch .LBB707_359
.LBB707_268:
	v_or_b32_e32 v17, 7, v39
	s_mov_b32 s19, 0
	s_mov_b32 s26, 0
	s_mov_b32 s27, exec_lo
	s_delay_alu instid0(VALU_DEP_1)
	v_cmpx_gt_u32_e64 s20, v17
	s_cbranch_execz .LBB707_279
; %bb.269:
	s_and_not1_b32 vcc_lo, exec_lo, s3
	s_mov_b32 s2, 0
	s_cbranch_vccnz .LBB707_278
; %bb.270:
	v_mul_lo_u32 v21, v2, s22
	v_mul_lo_u32 v22, v1, s23
	v_mad_u64_u32 v[17:18], null, v1, s22, 0
	v_mul_lo_u32 v23, v4, s22
	v_mul_lo_u32 v24, v3, s23
	v_mad_u64_u32 v[19:20], null, v3, s22, 0
	s_mov_b32 s2, -1
	s_mov_b32 s26, exec_lo
	s_delay_alu instid0(VALU_DEP_4) | instskip(NEXT) | instid1(VALU_DEP_2)
	v_add3_u32 v18, v18, v22, v21
	v_add3_u32 v20, v20, v24, v23
	s_delay_alu instid0(VALU_DEP_2) | instskip(NEXT) | instid1(VALU_DEP_2)
	v_lshlrev_b64 v[17:18], 1, v[17:18]
	v_lshlrev_b64 v[21:22], 1, v[19:20]
	s_delay_alu instid0(VALU_DEP_2) | instskip(NEXT) | instid1(VALU_DEP_3)
	v_add_co_u32 v19, vcc_lo, s8, v17
	v_add_co_ci_u32_e32 v20, vcc_lo, s9, v18, vcc_lo
	s_delay_alu instid0(VALU_DEP_3) | instskip(NEXT) | instid1(VALU_DEP_4)
	v_add_co_u32 v17, vcc_lo, s8, v21
	v_add_co_ci_u32_e32 v18, vcc_lo, s9, v22, vcc_lo
	s_clause 0x1
	global_load_u16 v21, v[19:20], off
	global_load_u16 v22, v[17:18], off
	s_waitcnt vmcnt(0)
	v_cmpx_eq_u16_e64 v21, v22
	s_cbranch_execz .LBB707_277
; %bb.271:
	v_add_co_u32 v17, vcc_lo, v17, 2
	v_add_co_ci_u32_e32 v18, vcc_lo, 0, v18, vcc_lo
	v_add_co_u32 v19, vcc_lo, v19, 2
	v_add_co_ci_u32_e32 v20, vcc_lo, 0, v20, vcc_lo
	s_add_u32 s4, s22, -1
	s_addc_u32 s5, s23, -1
	s_mov_b64 s[6:7], 0
	s_mov_b32 s28, 0
                                        ; implicit-def: $sgpr29
	s_set_inst_prefetch_distance 0x1
	s_branch .LBB707_274
	.p2align	6
.LBB707_272:                            ;   in Loop: Header=BB707_274 Depth=1
	global_load_u16 v21, v[19:20], off
	global_load_u16 v22, v[17:18], off
	v_add_co_u32 v17, vcc_lo, v17, 2
	v_add_co_ci_u32_e32 v18, vcc_lo, 0, v18, vcc_lo
	v_add_co_u32 v19, s2, v19, 2
	s_delay_alu instid0(VALU_DEP_1)
	v_add_co_ci_u32_e64 v20, s2, 0, v20, s2
	s_add_u32 s6, s6, 1
	s_addc_u32 s7, s7, 0
	s_and_not1_b32 s2, s29, exec_lo
	s_waitcnt vmcnt(0)
	v_cmp_ne_u16_e32 vcc_lo, v21, v22
	s_and_b32 s29, vcc_lo, exec_lo
	s_delay_alu instid0(SALU_CYCLE_1)
	s_or_b32 s29, s2, s29
.LBB707_273:                            ;   in Loop: Header=BB707_274 Depth=1
	v_dual_mov_b32 v22, s7 :: v_dual_mov_b32 v21, s6
	s_and_b32 s2, exec_lo, s29
	s_delay_alu instid0(SALU_CYCLE_1) | instskip(NEXT) | instid1(SALU_CYCLE_1)
	s_or_b32 s28, s2, s28
	s_and_not1_b32 exec_lo, exec_lo, s28
	s_cbranch_execz .LBB707_276
.LBB707_274:                            ; =>This Inner Loop Header: Depth=1
	s_or_b32 s29, s29, exec_lo
	s_cmp_eq_u64 s[4:5], s[6:7]
	s_cbranch_scc0 .LBB707_272
; %bb.275:                              ;   in Loop: Header=BB707_274 Depth=1
	s_mov_b64 s[6:7], s[22:23]
                                        ; implicit-def: $vgpr17_vgpr18
                                        ; implicit-def: $vgpr19_vgpr20
	s_branch .LBB707_273
.LBB707_276:
	s_set_inst_prefetch_distance 0x2
	s_or_b32 exec_lo, exec_lo, s28
	v_cmp_gt_i64_e32 vcc_lo, s[22:23], v[21:22]
	s_or_not1_b32 s2, vcc_lo, exec_lo
.LBB707_277:
	s_or_b32 exec_lo, exec_lo, s26
.LBB707_278:
	s_delay_alu instid0(SALU_CYCLE_1)
	s_and_b32 s26, s2, exec_lo
.LBB707_279:
	s_or_b32 exec_lo, exec_lo, s27
	v_or_b32_e32 v17, 6, v39
	s_mov_b32 s27, exec_lo
	s_delay_alu instid0(VALU_DEP_1)
	v_cmpx_gt_u32_e64 s20, v17
	s_cbranch_execz .LBB707_290
; %bb.280:
	s_and_not1_b32 vcc_lo, exec_lo, s3
	s_mov_b32 s2, 0
	s_cbranch_vccnz .LBB707_289
; %bb.281:
	v_mul_lo_u32 v21, v8, s22
	v_mul_lo_u32 v22, v7, s23
	v_mad_u64_u32 v[17:18], null, v7, s22, 0
	v_mul_lo_u32 v23, v2, s22
	v_mul_lo_u32 v24, v1, s23
	v_mad_u64_u32 v[19:20], null, v1, s22, 0
	s_mov_b32 s2, -1
	s_mov_b32 s19, exec_lo
	s_delay_alu instid0(VALU_DEP_4) | instskip(NEXT) | instid1(VALU_DEP_2)
	v_add3_u32 v18, v18, v22, v21
	v_add3_u32 v20, v20, v24, v23
	s_delay_alu instid0(VALU_DEP_2) | instskip(NEXT) | instid1(VALU_DEP_2)
	v_lshlrev_b64 v[17:18], 1, v[17:18]
	v_lshlrev_b64 v[21:22], 1, v[19:20]
	s_delay_alu instid0(VALU_DEP_2) | instskip(NEXT) | instid1(VALU_DEP_3)
	v_add_co_u32 v19, vcc_lo, s8, v17
	v_add_co_ci_u32_e32 v20, vcc_lo, s9, v18, vcc_lo
	s_delay_alu instid0(VALU_DEP_3) | instskip(NEXT) | instid1(VALU_DEP_4)
	v_add_co_u32 v17, vcc_lo, s8, v21
	v_add_co_ci_u32_e32 v18, vcc_lo, s9, v22, vcc_lo
	s_clause 0x1
	global_load_u16 v21, v[19:20], off
	global_load_u16 v22, v[17:18], off
	s_waitcnt vmcnt(0)
	v_cmpx_eq_u16_e64 v21, v22
	s_cbranch_execz .LBB707_288
; %bb.282:
	v_add_co_u32 v17, vcc_lo, v17, 2
	v_add_co_ci_u32_e32 v18, vcc_lo, 0, v18, vcc_lo
	v_add_co_u32 v19, vcc_lo, v19, 2
	v_add_co_ci_u32_e32 v20, vcc_lo, 0, v20, vcc_lo
	s_add_u32 s4, s22, -1
	s_addc_u32 s5, s23, -1
	s_mov_b64 s[6:7], 0
	s_mov_b32 s28, 0
                                        ; implicit-def: $sgpr29
	s_set_inst_prefetch_distance 0x1
	s_branch .LBB707_285
	.p2align	6
.LBB707_283:                            ;   in Loop: Header=BB707_285 Depth=1
	global_load_u16 v21, v[19:20], off
	global_load_u16 v22, v[17:18], off
	v_add_co_u32 v17, vcc_lo, v17, 2
	v_add_co_ci_u32_e32 v18, vcc_lo, 0, v18, vcc_lo
	v_add_co_u32 v19, s2, v19, 2
	s_delay_alu instid0(VALU_DEP_1)
	v_add_co_ci_u32_e64 v20, s2, 0, v20, s2
	s_add_u32 s6, s6, 1
	s_addc_u32 s7, s7, 0
	s_and_not1_b32 s2, s29, exec_lo
	s_waitcnt vmcnt(0)
	v_cmp_ne_u16_e32 vcc_lo, v21, v22
	s_and_b32 s29, vcc_lo, exec_lo
	s_delay_alu instid0(SALU_CYCLE_1)
	s_or_b32 s29, s2, s29
.LBB707_284:                            ;   in Loop: Header=BB707_285 Depth=1
	v_dual_mov_b32 v22, s7 :: v_dual_mov_b32 v21, s6
	s_and_b32 s2, exec_lo, s29
	s_delay_alu instid0(SALU_CYCLE_1) | instskip(NEXT) | instid1(SALU_CYCLE_1)
	s_or_b32 s28, s2, s28
	s_and_not1_b32 exec_lo, exec_lo, s28
	s_cbranch_execz .LBB707_287
.LBB707_285:                            ; =>This Inner Loop Header: Depth=1
	s_or_b32 s29, s29, exec_lo
	s_cmp_eq_u64 s[4:5], s[6:7]
	s_cbranch_scc0 .LBB707_283
; %bb.286:                              ;   in Loop: Header=BB707_285 Depth=1
	s_mov_b64 s[6:7], s[22:23]
                                        ; implicit-def: $vgpr17_vgpr18
                                        ; implicit-def: $vgpr19_vgpr20
	s_branch .LBB707_284
.LBB707_287:
	s_set_inst_prefetch_distance 0x2
	s_or_b32 exec_lo, exec_lo, s28
	v_cmp_gt_i64_e32 vcc_lo, s[22:23], v[21:22]
	s_or_not1_b32 s2, vcc_lo, exec_lo
.LBB707_288:
	s_or_b32 exec_lo, exec_lo, s19
.LBB707_289:
	s_delay_alu instid0(SALU_CYCLE_1)
	s_and_b32 s19, s2, exec_lo
.LBB707_290:
	s_or_b32 exec_lo, exec_lo, s27
	v_or_b32_e32 v17, 5, v39
	s_mov_b32 s27, 0
	s_mov_b32 s28, 0
	s_mov_b32 s29, exec_lo
	s_delay_alu instid0(VALU_DEP_1)
	v_cmpx_gt_u32_e64 s20, v17
	s_cbranch_execz .LBB707_301
; %bb.291:
	s_and_not1_b32 vcc_lo, exec_lo, s3
	s_mov_b32 s2, 0
	s_cbranch_vccnz .LBB707_300
; %bb.292:
	v_mul_lo_u32 v21, v6, s22
	v_mul_lo_u32 v22, v5, s23
	v_mad_u64_u32 v[17:18], null, v5, s22, 0
	v_mul_lo_u32 v23, v8, s22
	v_mul_lo_u32 v24, v7, s23
	v_mad_u64_u32 v[19:20], null, v7, s22, 0
	s_mov_b32 s2, -1
	s_mov_b32 s28, exec_lo
	s_delay_alu instid0(VALU_DEP_4) | instskip(NEXT) | instid1(VALU_DEP_2)
	v_add3_u32 v18, v18, v22, v21
	v_add3_u32 v20, v20, v24, v23
	s_delay_alu instid0(VALU_DEP_2) | instskip(NEXT) | instid1(VALU_DEP_2)
	v_lshlrev_b64 v[17:18], 1, v[17:18]
	v_lshlrev_b64 v[21:22], 1, v[19:20]
	s_delay_alu instid0(VALU_DEP_2) | instskip(NEXT) | instid1(VALU_DEP_3)
	v_add_co_u32 v19, vcc_lo, s8, v17
	v_add_co_ci_u32_e32 v20, vcc_lo, s9, v18, vcc_lo
	s_delay_alu instid0(VALU_DEP_3) | instskip(NEXT) | instid1(VALU_DEP_4)
	v_add_co_u32 v17, vcc_lo, s8, v21
	v_add_co_ci_u32_e32 v18, vcc_lo, s9, v22, vcc_lo
	s_clause 0x1
	global_load_u16 v21, v[19:20], off
	global_load_u16 v22, v[17:18], off
	s_waitcnt vmcnt(0)
	v_cmpx_eq_u16_e64 v21, v22
	s_cbranch_execz .LBB707_299
; %bb.293:
	v_add_co_u32 v17, vcc_lo, v17, 2
	v_add_co_ci_u32_e32 v18, vcc_lo, 0, v18, vcc_lo
	v_add_co_u32 v19, vcc_lo, v19, 2
	v_add_co_ci_u32_e32 v20, vcc_lo, 0, v20, vcc_lo
	s_add_u32 s4, s22, -1
	s_addc_u32 s5, s23, -1
	s_mov_b64 s[6:7], 0
	s_mov_b32 s30, 0
                                        ; implicit-def: $sgpr31
	s_set_inst_prefetch_distance 0x1
	s_branch .LBB707_296
	.p2align	6
.LBB707_294:                            ;   in Loop: Header=BB707_296 Depth=1
	global_load_u16 v21, v[19:20], off
	global_load_u16 v22, v[17:18], off
	v_add_co_u32 v17, vcc_lo, v17, 2
	v_add_co_ci_u32_e32 v18, vcc_lo, 0, v18, vcc_lo
	v_add_co_u32 v19, s2, v19, 2
	s_delay_alu instid0(VALU_DEP_1)
	v_add_co_ci_u32_e64 v20, s2, 0, v20, s2
	s_add_u32 s6, s6, 1
	s_addc_u32 s7, s7, 0
	s_and_not1_b32 s2, s31, exec_lo
	s_waitcnt vmcnt(0)
	v_cmp_ne_u16_e32 vcc_lo, v21, v22
	s_and_b32 s31, vcc_lo, exec_lo
	s_delay_alu instid0(SALU_CYCLE_1)
	s_or_b32 s31, s2, s31
.LBB707_295:                            ;   in Loop: Header=BB707_296 Depth=1
	v_dual_mov_b32 v22, s7 :: v_dual_mov_b32 v21, s6
	s_and_b32 s2, exec_lo, s31
	s_delay_alu instid0(SALU_CYCLE_1) | instskip(NEXT) | instid1(SALU_CYCLE_1)
	s_or_b32 s30, s2, s30
	s_and_not1_b32 exec_lo, exec_lo, s30
	s_cbranch_execz .LBB707_298
.LBB707_296:                            ; =>This Inner Loop Header: Depth=1
	s_or_b32 s31, s31, exec_lo
	s_cmp_eq_u64 s[4:5], s[6:7]
	s_cbranch_scc0 .LBB707_294
; %bb.297:                              ;   in Loop: Header=BB707_296 Depth=1
	s_mov_b64 s[6:7], s[22:23]
                                        ; implicit-def: $vgpr17_vgpr18
                                        ; implicit-def: $vgpr19_vgpr20
	s_branch .LBB707_295
.LBB707_298:
	s_set_inst_prefetch_distance 0x2
	s_or_b32 exec_lo, exec_lo, s30
	v_cmp_gt_i64_e32 vcc_lo, s[22:23], v[21:22]
	s_or_not1_b32 s2, vcc_lo, exec_lo
.LBB707_299:
	s_or_b32 exec_lo, exec_lo, s28
.LBB707_300:
	s_delay_alu instid0(SALU_CYCLE_1)
	s_and_b32 s28, s2, exec_lo
.LBB707_301:
	s_or_b32 exec_lo, exec_lo, s29
	v_or_b32_e32 v17, 4, v39
	s_mov_b32 s29, exec_lo
	s_delay_alu instid0(VALU_DEP_1)
	v_cmpx_gt_u32_e64 s20, v17
	s_cbranch_execz .LBB707_312
; %bb.302:
	s_and_not1_b32 vcc_lo, exec_lo, s3
	s_mov_b32 s2, 0
	s_cbranch_vccnz .LBB707_311
; %bb.303:
	v_mul_lo_u32 v21, v12, s22
	v_mul_lo_u32 v22, v11, s23
	v_mad_u64_u32 v[17:18], null, v11, s22, 0
	v_mul_lo_u32 v23, v6, s22
	v_mul_lo_u32 v24, v5, s23
	v_mad_u64_u32 v[19:20], null, v5, s22, 0
	s_mov_b32 s2, -1
	s_mov_b32 s27, exec_lo
	s_delay_alu instid0(VALU_DEP_4) | instskip(NEXT) | instid1(VALU_DEP_2)
	v_add3_u32 v18, v18, v22, v21
	v_add3_u32 v20, v20, v24, v23
	s_delay_alu instid0(VALU_DEP_2) | instskip(NEXT) | instid1(VALU_DEP_2)
	v_lshlrev_b64 v[17:18], 1, v[17:18]
	v_lshlrev_b64 v[21:22], 1, v[19:20]
	s_delay_alu instid0(VALU_DEP_2) | instskip(NEXT) | instid1(VALU_DEP_3)
	v_add_co_u32 v19, vcc_lo, s8, v17
	v_add_co_ci_u32_e32 v20, vcc_lo, s9, v18, vcc_lo
	s_delay_alu instid0(VALU_DEP_3) | instskip(NEXT) | instid1(VALU_DEP_4)
	v_add_co_u32 v17, vcc_lo, s8, v21
	v_add_co_ci_u32_e32 v18, vcc_lo, s9, v22, vcc_lo
	s_clause 0x1
	global_load_u16 v21, v[19:20], off
	global_load_u16 v22, v[17:18], off
	s_waitcnt vmcnt(0)
	v_cmpx_eq_u16_e64 v21, v22
	s_cbranch_execz .LBB707_310
; %bb.304:
	v_add_co_u32 v17, vcc_lo, v17, 2
	v_add_co_ci_u32_e32 v18, vcc_lo, 0, v18, vcc_lo
	v_add_co_u32 v19, vcc_lo, v19, 2
	v_add_co_ci_u32_e32 v20, vcc_lo, 0, v20, vcc_lo
	s_add_u32 s4, s22, -1
	s_addc_u32 s5, s23, -1
	s_mov_b64 s[6:7], 0
	s_mov_b32 s30, 0
                                        ; implicit-def: $sgpr31
	s_set_inst_prefetch_distance 0x1
	s_branch .LBB707_307
	.p2align	6
.LBB707_305:                            ;   in Loop: Header=BB707_307 Depth=1
	global_load_u16 v21, v[19:20], off
	global_load_u16 v22, v[17:18], off
	v_add_co_u32 v17, vcc_lo, v17, 2
	v_add_co_ci_u32_e32 v18, vcc_lo, 0, v18, vcc_lo
	v_add_co_u32 v19, s2, v19, 2
	s_delay_alu instid0(VALU_DEP_1)
	v_add_co_ci_u32_e64 v20, s2, 0, v20, s2
	s_add_u32 s6, s6, 1
	s_addc_u32 s7, s7, 0
	s_and_not1_b32 s2, s31, exec_lo
	s_waitcnt vmcnt(0)
	v_cmp_ne_u16_e32 vcc_lo, v21, v22
	s_and_b32 s31, vcc_lo, exec_lo
	s_delay_alu instid0(SALU_CYCLE_1)
	s_or_b32 s31, s2, s31
.LBB707_306:                            ;   in Loop: Header=BB707_307 Depth=1
	v_dual_mov_b32 v22, s7 :: v_dual_mov_b32 v21, s6
	s_and_b32 s2, exec_lo, s31
	s_delay_alu instid0(SALU_CYCLE_1) | instskip(NEXT) | instid1(SALU_CYCLE_1)
	s_or_b32 s30, s2, s30
	s_and_not1_b32 exec_lo, exec_lo, s30
	s_cbranch_execz .LBB707_309
.LBB707_307:                            ; =>This Inner Loop Header: Depth=1
	s_or_b32 s31, s31, exec_lo
	s_cmp_eq_u64 s[4:5], s[6:7]
	s_cbranch_scc0 .LBB707_305
; %bb.308:                              ;   in Loop: Header=BB707_307 Depth=1
	s_mov_b64 s[6:7], s[22:23]
                                        ; implicit-def: $vgpr17_vgpr18
                                        ; implicit-def: $vgpr19_vgpr20
	s_branch .LBB707_306
.LBB707_309:
	s_set_inst_prefetch_distance 0x2
	s_or_b32 exec_lo, exec_lo, s30
	v_cmp_gt_i64_e32 vcc_lo, s[22:23], v[21:22]
	s_or_not1_b32 s2, vcc_lo, exec_lo
.LBB707_310:
	s_or_b32 exec_lo, exec_lo, s27
.LBB707_311:
	s_delay_alu instid0(SALU_CYCLE_1)
	s_and_b32 s27, s2, exec_lo
.LBB707_312:
	s_or_b32 exec_lo, exec_lo, s29
	v_or_b32_e32 v17, 3, v39
	s_mov_b32 s30, 0
	s_mov_b32 s29, 0
	s_mov_b32 s31, exec_lo
	s_delay_alu instid0(VALU_DEP_1)
	v_cmpx_gt_u32_e64 s20, v17
	s_cbranch_execz .LBB707_323
; %bb.313:
	s_and_not1_b32 vcc_lo, exec_lo, s3
	s_mov_b32 s2, 0
	s_cbranch_vccnz .LBB707_322
; %bb.314:
	v_mul_lo_u32 v21, v10, s22
	v_mul_lo_u32 v22, v9, s23
	v_mad_u64_u32 v[17:18], null, v9, s22, 0
	v_mul_lo_u32 v23, v12, s22
	v_mul_lo_u32 v24, v11, s23
	v_mad_u64_u32 v[19:20], null, v11, s22, 0
	s_mov_b32 s2, -1
	s_mov_b32 s29, exec_lo
	s_delay_alu instid0(VALU_DEP_4) | instskip(NEXT) | instid1(VALU_DEP_2)
	v_add3_u32 v18, v18, v22, v21
	v_add3_u32 v20, v20, v24, v23
	s_delay_alu instid0(VALU_DEP_2) | instskip(NEXT) | instid1(VALU_DEP_2)
	v_lshlrev_b64 v[17:18], 1, v[17:18]
	v_lshlrev_b64 v[21:22], 1, v[19:20]
	s_delay_alu instid0(VALU_DEP_2) | instskip(NEXT) | instid1(VALU_DEP_3)
	v_add_co_u32 v19, vcc_lo, s8, v17
	v_add_co_ci_u32_e32 v20, vcc_lo, s9, v18, vcc_lo
	s_delay_alu instid0(VALU_DEP_3) | instskip(NEXT) | instid1(VALU_DEP_4)
	v_add_co_u32 v17, vcc_lo, s8, v21
	v_add_co_ci_u32_e32 v18, vcc_lo, s9, v22, vcc_lo
	s_clause 0x1
	global_load_u16 v21, v[19:20], off
	global_load_u16 v22, v[17:18], off
	s_waitcnt vmcnt(0)
	v_cmpx_eq_u16_e64 v21, v22
	s_cbranch_execz .LBB707_321
; %bb.315:
	v_add_co_u32 v17, vcc_lo, v17, 2
	v_add_co_ci_u32_e32 v18, vcc_lo, 0, v18, vcc_lo
	v_add_co_u32 v19, vcc_lo, v19, 2
	v_add_co_ci_u32_e32 v20, vcc_lo, 0, v20, vcc_lo
	s_add_u32 s4, s22, -1
	s_addc_u32 s5, s23, -1
	s_mov_b64 s[6:7], 0
	s_mov_b32 s33, 0
                                        ; implicit-def: $sgpr34
	s_set_inst_prefetch_distance 0x1
	s_branch .LBB707_318
	.p2align	6
.LBB707_316:                            ;   in Loop: Header=BB707_318 Depth=1
	global_load_u16 v21, v[19:20], off
	global_load_u16 v22, v[17:18], off
	v_add_co_u32 v17, vcc_lo, v17, 2
	v_add_co_ci_u32_e32 v18, vcc_lo, 0, v18, vcc_lo
	v_add_co_u32 v19, s2, v19, 2
	s_delay_alu instid0(VALU_DEP_1)
	v_add_co_ci_u32_e64 v20, s2, 0, v20, s2
	s_add_u32 s6, s6, 1
	s_addc_u32 s7, s7, 0
	s_and_not1_b32 s2, s34, exec_lo
	s_waitcnt vmcnt(0)
	v_cmp_ne_u16_e32 vcc_lo, v21, v22
	s_and_b32 s34, vcc_lo, exec_lo
	s_delay_alu instid0(SALU_CYCLE_1)
	s_or_b32 s34, s2, s34
.LBB707_317:                            ;   in Loop: Header=BB707_318 Depth=1
	v_dual_mov_b32 v22, s7 :: v_dual_mov_b32 v21, s6
	s_and_b32 s2, exec_lo, s34
	s_delay_alu instid0(SALU_CYCLE_1) | instskip(NEXT) | instid1(SALU_CYCLE_1)
	s_or_b32 s33, s2, s33
	s_and_not1_b32 exec_lo, exec_lo, s33
	s_cbranch_execz .LBB707_320
.LBB707_318:                            ; =>This Inner Loop Header: Depth=1
	s_or_b32 s34, s34, exec_lo
	s_cmp_eq_u64 s[4:5], s[6:7]
	s_cbranch_scc0 .LBB707_316
; %bb.319:                              ;   in Loop: Header=BB707_318 Depth=1
	s_mov_b64 s[6:7], s[22:23]
                                        ; implicit-def: $vgpr17_vgpr18
                                        ; implicit-def: $vgpr19_vgpr20
	s_branch .LBB707_317
.LBB707_320:
	s_set_inst_prefetch_distance 0x2
	s_or_b32 exec_lo, exec_lo, s33
	v_cmp_gt_i64_e32 vcc_lo, s[22:23], v[21:22]
	s_or_not1_b32 s2, vcc_lo, exec_lo
.LBB707_321:
	s_or_b32 exec_lo, exec_lo, s29
.LBB707_322:
	s_delay_alu instid0(SALU_CYCLE_1)
	s_and_b32 s29, s2, exec_lo
.LBB707_323:
	s_or_b32 exec_lo, exec_lo, s31
	v_or_b32_e32 v17, 2, v39
	s_mov_b32 s31, exec_lo
	s_delay_alu instid0(VALU_DEP_1)
	v_cmpx_gt_u32_e64 s20, v17
	s_cbranch_execz .LBB707_334
; %bb.324:
	s_and_not1_b32 vcc_lo, exec_lo, s3
	s_mov_b32 s2, 0
	s_cbranch_vccnz .LBB707_333
; %bb.325:
	v_mul_lo_u32 v21, v16, s22
	v_mul_lo_u32 v22, v15, s23
	v_mad_u64_u32 v[17:18], null, v15, s22, 0
	v_mul_lo_u32 v23, v10, s22
	v_mul_lo_u32 v24, v9, s23
	v_mad_u64_u32 v[19:20], null, v9, s22, 0
	s_mov_b32 s2, -1
	s_mov_b32 s30, exec_lo
	s_delay_alu instid0(VALU_DEP_4) | instskip(NEXT) | instid1(VALU_DEP_2)
	v_add3_u32 v18, v18, v22, v21
	v_add3_u32 v20, v20, v24, v23
	s_delay_alu instid0(VALU_DEP_2) | instskip(NEXT) | instid1(VALU_DEP_2)
	v_lshlrev_b64 v[17:18], 1, v[17:18]
	v_lshlrev_b64 v[21:22], 1, v[19:20]
	s_delay_alu instid0(VALU_DEP_2) | instskip(NEXT) | instid1(VALU_DEP_3)
	v_add_co_u32 v19, vcc_lo, s8, v17
	v_add_co_ci_u32_e32 v20, vcc_lo, s9, v18, vcc_lo
	s_delay_alu instid0(VALU_DEP_3) | instskip(NEXT) | instid1(VALU_DEP_4)
	v_add_co_u32 v17, vcc_lo, s8, v21
	v_add_co_ci_u32_e32 v18, vcc_lo, s9, v22, vcc_lo
	s_clause 0x1
	global_load_u16 v21, v[19:20], off
	global_load_u16 v22, v[17:18], off
	s_waitcnt vmcnt(0)
	v_cmpx_eq_u16_e64 v21, v22
	s_cbranch_execz .LBB707_332
; %bb.326:
	v_add_co_u32 v17, vcc_lo, v17, 2
	v_add_co_ci_u32_e32 v18, vcc_lo, 0, v18, vcc_lo
	v_add_co_u32 v19, vcc_lo, v19, 2
	v_add_co_ci_u32_e32 v20, vcc_lo, 0, v20, vcc_lo
	s_add_u32 s4, s22, -1
	s_addc_u32 s5, s23, -1
	s_mov_b64 s[6:7], 0
	s_mov_b32 s33, 0
                                        ; implicit-def: $sgpr34
	s_set_inst_prefetch_distance 0x1
	s_branch .LBB707_329
	.p2align	6
.LBB707_327:                            ;   in Loop: Header=BB707_329 Depth=1
	global_load_u16 v21, v[19:20], off
	global_load_u16 v22, v[17:18], off
	v_add_co_u32 v17, vcc_lo, v17, 2
	v_add_co_ci_u32_e32 v18, vcc_lo, 0, v18, vcc_lo
	v_add_co_u32 v19, s2, v19, 2
	s_delay_alu instid0(VALU_DEP_1)
	v_add_co_ci_u32_e64 v20, s2, 0, v20, s2
	s_add_u32 s6, s6, 1
	s_addc_u32 s7, s7, 0
	s_and_not1_b32 s2, s34, exec_lo
	s_waitcnt vmcnt(0)
	v_cmp_ne_u16_e32 vcc_lo, v21, v22
	s_and_b32 s34, vcc_lo, exec_lo
	s_delay_alu instid0(SALU_CYCLE_1)
	s_or_b32 s34, s2, s34
.LBB707_328:                            ;   in Loop: Header=BB707_329 Depth=1
	v_dual_mov_b32 v22, s7 :: v_dual_mov_b32 v21, s6
	s_and_b32 s2, exec_lo, s34
	s_delay_alu instid0(SALU_CYCLE_1) | instskip(NEXT) | instid1(SALU_CYCLE_1)
	s_or_b32 s33, s2, s33
	s_and_not1_b32 exec_lo, exec_lo, s33
	s_cbranch_execz .LBB707_331
.LBB707_329:                            ; =>This Inner Loop Header: Depth=1
	s_or_b32 s34, s34, exec_lo
	s_cmp_eq_u64 s[4:5], s[6:7]
	s_cbranch_scc0 .LBB707_327
; %bb.330:                              ;   in Loop: Header=BB707_329 Depth=1
	s_mov_b64 s[6:7], s[22:23]
                                        ; implicit-def: $vgpr17_vgpr18
                                        ; implicit-def: $vgpr19_vgpr20
	s_branch .LBB707_328
.LBB707_331:
	s_set_inst_prefetch_distance 0x2
	s_or_b32 exec_lo, exec_lo, s33
	v_cmp_gt_i64_e32 vcc_lo, s[22:23], v[21:22]
	s_or_not1_b32 s2, vcc_lo, exec_lo
.LBB707_332:
	s_or_b32 exec_lo, exec_lo, s30
.LBB707_333:
	s_delay_alu instid0(SALU_CYCLE_1)
	s_and_b32 s30, s2, exec_lo
.LBB707_334:
	s_or_b32 exec_lo, exec_lo, s31
	v_or_b32_e32 v17, 1, v39
	s_mov_b32 s2, 0
	s_mov_b32 s31, exec_lo
	s_delay_alu instid0(VALU_DEP_1)
	v_cmpx_gt_u32_e64 s20, v17
	s_cbranch_execz .LBB707_345
; %bb.335:
	s_and_not1_b32 vcc_lo, exec_lo, s3
	s_cbranch_vccnz .LBB707_344
; %bb.336:
	v_mul_lo_u32 v21, v14, s22
	v_mul_lo_u32 v22, v13, s23
	v_mad_u64_u32 v[17:18], null, v13, s22, 0
	v_mul_lo_u32 v23, v16, s22
	v_mul_lo_u32 v24, v15, s23
	v_mad_u64_u32 v[19:20], null, v15, s22, 0
	s_mov_b32 s2, -1
	s_mov_b32 s33, exec_lo
	s_delay_alu instid0(VALU_DEP_4) | instskip(NEXT) | instid1(VALU_DEP_2)
	v_add3_u32 v18, v18, v22, v21
	v_add3_u32 v20, v20, v24, v23
	s_delay_alu instid0(VALU_DEP_2) | instskip(NEXT) | instid1(VALU_DEP_2)
	v_lshlrev_b64 v[17:18], 1, v[17:18]
	v_lshlrev_b64 v[21:22], 1, v[19:20]
	s_delay_alu instid0(VALU_DEP_2) | instskip(NEXT) | instid1(VALU_DEP_3)
	v_add_co_u32 v19, vcc_lo, s8, v17
	v_add_co_ci_u32_e32 v20, vcc_lo, s9, v18, vcc_lo
	s_delay_alu instid0(VALU_DEP_3) | instskip(NEXT) | instid1(VALU_DEP_4)
	v_add_co_u32 v17, vcc_lo, s8, v21
	v_add_co_ci_u32_e32 v18, vcc_lo, s9, v22, vcc_lo
	s_clause 0x1
	global_load_u16 v21, v[19:20], off
	global_load_u16 v22, v[17:18], off
	s_waitcnt vmcnt(0)
	v_cmpx_eq_u16_e64 v21, v22
	s_cbranch_execz .LBB707_343
; %bb.337:
	v_add_co_u32 v17, vcc_lo, v17, 2
	v_add_co_ci_u32_e32 v18, vcc_lo, 0, v18, vcc_lo
	v_add_co_u32 v19, vcc_lo, v19, 2
	v_add_co_ci_u32_e32 v20, vcc_lo, 0, v20, vcc_lo
	s_add_u32 s4, s22, -1
	s_addc_u32 s5, s23, -1
	s_mov_b64 s[6:7], 0
	s_mov_b32 s34, 0
                                        ; implicit-def: $sgpr35
	s_set_inst_prefetch_distance 0x1
	s_branch .LBB707_340
	.p2align	6
.LBB707_338:                            ;   in Loop: Header=BB707_340 Depth=1
	global_load_u16 v21, v[19:20], off
	global_load_u16 v22, v[17:18], off
	v_add_co_u32 v17, vcc_lo, v17, 2
	v_add_co_ci_u32_e32 v18, vcc_lo, 0, v18, vcc_lo
	v_add_co_u32 v19, s2, v19, 2
	s_delay_alu instid0(VALU_DEP_1)
	v_add_co_ci_u32_e64 v20, s2, 0, v20, s2
	s_add_u32 s6, s6, 1
	s_addc_u32 s7, s7, 0
	s_and_not1_b32 s2, s35, exec_lo
	s_waitcnt vmcnt(0)
	v_cmp_ne_u16_e32 vcc_lo, v21, v22
	s_and_b32 s35, vcc_lo, exec_lo
	s_delay_alu instid0(SALU_CYCLE_1)
	s_or_b32 s35, s2, s35
.LBB707_339:                            ;   in Loop: Header=BB707_340 Depth=1
	v_dual_mov_b32 v22, s7 :: v_dual_mov_b32 v21, s6
	s_and_b32 s2, exec_lo, s35
	s_delay_alu instid0(SALU_CYCLE_1) | instskip(NEXT) | instid1(SALU_CYCLE_1)
	s_or_b32 s34, s2, s34
	s_and_not1_b32 exec_lo, exec_lo, s34
	s_cbranch_execz .LBB707_342
.LBB707_340:                            ; =>This Inner Loop Header: Depth=1
	s_or_b32 s35, s35, exec_lo
	s_cmp_eq_u64 s[4:5], s[6:7]
	s_cbranch_scc0 .LBB707_338
; %bb.341:                              ;   in Loop: Header=BB707_340 Depth=1
	s_mov_b64 s[6:7], s[22:23]
                                        ; implicit-def: $vgpr17_vgpr18
                                        ; implicit-def: $vgpr19_vgpr20
	s_branch .LBB707_339
.LBB707_342:
	s_set_inst_prefetch_distance 0x2
	s_or_b32 exec_lo, exec_lo, s34
	v_cmp_gt_i64_e32 vcc_lo, s[22:23], v[21:22]
	s_or_not1_b32 s2, vcc_lo, exec_lo
.LBB707_343:
	s_or_b32 exec_lo, exec_lo, s33
.LBB707_344:
	s_delay_alu instid0(SALU_CYCLE_1)
	s_and_b32 s2, s2, exec_lo
.LBB707_345:
	s_or_b32 exec_lo, exec_lo, s31
	v_cndmask_b32_e64 v18, 0, 1, s29
	v_cndmask_b32_e64 v19, 0, 1, s28
	;; [unrolled: 1-line block ×7, first 2 shown]
	v_lshlrev_b16 v19, 8, v19
	v_lshlrev_b16 v20, 8, v20
	;; [unrolled: 1-line block ×4, first 2 shown]
	s_mov_b32 s19, exec_lo
	v_or_b32_e32 v19, v22, v19
	v_or_b32_e32 v20, v23, v20
	;; [unrolled: 1-line block ×4, first 2 shown]
	s_delay_alu instid0(VALU_DEP_4) | instskip(NEXT) | instid1(VALU_DEP_4)
	v_and_b32_e32 v18, 0xffff, v19
	v_lshlrev_b32_e32 v19, 16, v20
	s_delay_alu instid0(VALU_DEP_4) | instskip(NEXT) | instid1(VALU_DEP_4)
	v_and_b32_e32 v20, 0xffff, v21
	v_lshlrev_b32_e32 v17, 16, v17
	s_barrier
	buffer_gl0_inv
	v_or_b32_e32 v18, v18, v19
                                        ; implicit-def: $sgpr2
	v_or_b32_e32 v17, v20, v17
	v_cmpx_ne_u32_e32 0, v0
	s_cbranch_execz .LBB707_358
; %bb.346:
	s_mov_b32 s2, 0
	s_mov_b32 s26, exec_lo
	v_cmpx_gt_u32_e64 s20, v39
	s_cbranch_execz .LBB707_357
; %bb.347:
	s_and_not1_b32 vcc_lo, exec_lo, s3
	s_cbranch_vccnz .LBB707_356
; %bb.348:
	v_add_nc_u32_e32 v19, -8, v39
	v_mul_lo_u32 v26, v13, s23
	v_mad_u64_u32 v[22:23], null, v13, s22, 0
	s_mov_b32 s2, -1
	ds_load_b64 v[19:20], v19
	s_mov_b32 s3, exec_lo
	s_waitcnt lgkmcnt(0)
	v_mul_lo_u32 v24, v20, s22
	v_mul_lo_u32 v25, v19, s23
	v_mad_u64_u32 v[20:21], null, v19, s22, 0
	v_mul_lo_u32 v19, v14, s22
	s_delay_alu instid0(VALU_DEP_2) | instskip(NEXT) | instid1(VALU_DEP_2)
	v_add3_u32 v21, v21, v25, v24
	v_add3_u32 v23, v23, v26, v19
	s_delay_alu instid0(VALU_DEP_2) | instskip(NEXT) | instid1(VALU_DEP_2)
	v_lshlrev_b64 v[19:20], 1, v[20:21]
	v_lshlrev_b64 v[23:24], 1, v[22:23]
	s_delay_alu instid0(VALU_DEP_2) | instskip(NEXT) | instid1(VALU_DEP_3)
	v_add_co_u32 v21, vcc_lo, s8, v19
	v_add_co_ci_u32_e32 v22, vcc_lo, s9, v20, vcc_lo
	s_delay_alu instid0(VALU_DEP_3) | instskip(NEXT) | instid1(VALU_DEP_4)
	v_add_co_u32 v19, vcc_lo, s8, v23
	v_add_co_ci_u32_e32 v20, vcc_lo, s9, v24, vcc_lo
	s_clause 0x1
	global_load_u16 v23, v[21:22], off
	global_load_u16 v24, v[19:20], off
	s_waitcnt vmcnt(0)
	v_cmpx_eq_u16_e64 v23, v24
	s_cbranch_execz .LBB707_355
; %bb.349:
	v_add_co_u32 v19, vcc_lo, v19, 2
	v_add_co_ci_u32_e32 v20, vcc_lo, 0, v20, vcc_lo
	v_add_co_u32 v21, vcc_lo, v21, 2
	v_add_co_ci_u32_e32 v22, vcc_lo, 0, v22, vcc_lo
	s_add_u32 s4, s22, -1
	s_addc_u32 s5, s23, -1
	s_mov_b64 s[6:7], 0
	s_mov_b32 s8, 0
                                        ; implicit-def: $sgpr9
	s_set_inst_prefetch_distance 0x1
	s_branch .LBB707_352
	.p2align	6
.LBB707_350:                            ;   in Loop: Header=BB707_352 Depth=1
	global_load_u16 v23, v[21:22], off
	global_load_u16 v24, v[19:20], off
	v_add_co_u32 v19, vcc_lo, v19, 2
	v_add_co_ci_u32_e32 v20, vcc_lo, 0, v20, vcc_lo
	v_add_co_u32 v21, s2, v21, 2
	s_delay_alu instid0(VALU_DEP_1)
	v_add_co_ci_u32_e64 v22, s2, 0, v22, s2
	s_add_u32 s6, s6, 1
	s_addc_u32 s7, s7, 0
	s_and_not1_b32 s2, s9, exec_lo
	s_waitcnt vmcnt(0)
	v_cmp_ne_u16_e32 vcc_lo, v23, v24
	s_and_b32 s9, vcc_lo, exec_lo
	s_delay_alu instid0(SALU_CYCLE_1)
	s_or_b32 s9, s2, s9
.LBB707_351:                            ;   in Loop: Header=BB707_352 Depth=1
	v_dual_mov_b32 v24, s7 :: v_dual_mov_b32 v23, s6
	s_and_b32 s2, exec_lo, s9
	s_delay_alu instid0(SALU_CYCLE_1) | instskip(NEXT) | instid1(SALU_CYCLE_1)
	s_or_b32 s8, s2, s8
	s_and_not1_b32 exec_lo, exec_lo, s8
	s_cbranch_execz .LBB707_354
.LBB707_352:                            ; =>This Inner Loop Header: Depth=1
	s_or_b32 s9, s9, exec_lo
	s_cmp_eq_u64 s[4:5], s[6:7]
	s_cbranch_scc0 .LBB707_350
; %bb.353:                              ;   in Loop: Header=BB707_352 Depth=1
	s_mov_b64 s[6:7], s[22:23]
                                        ; implicit-def: $vgpr19_vgpr20
                                        ; implicit-def: $vgpr21_vgpr22
	s_branch .LBB707_351
.LBB707_354:
	s_set_inst_prefetch_distance 0x2
	s_or_b32 exec_lo, exec_lo, s8
	v_cmp_gt_i64_e32 vcc_lo, s[22:23], v[23:24]
	s_or_not1_b32 s2, vcc_lo, exec_lo
.LBB707_355:
	s_or_b32 exec_lo, exec_lo, s3
.LBB707_356:
	s_delay_alu instid0(SALU_CYCLE_1)
	s_and_b32 s2, s2, exec_lo
.LBB707_357:
	s_or_b32 exec_lo, exec_lo, s26
	s_delay_alu instid0(SALU_CYCLE_1)
	s_and_b32 s2, s2, exec_lo
	s_or_b32 s18, s18, exec_lo
.LBB707_358:
	s_or_b32 exec_lo, exec_lo, s19
.LBB707_359:
	s_and_saveexec_b32 s3, s18
	s_cbranch_execz .LBB707_361
; %bb.360:
	s_waitcnt lgkmcnt(0)
	v_and_b32_e32 v19, 0xffffff00, v17
	v_cndmask_b32_e64 v20, 0, 1, s2
	s_delay_alu instid0(VALU_DEP_1) | instskip(NEXT) | instid1(VALU_DEP_1)
	v_or_b32_e32 v19, v20, v19
	v_and_b32_e32 v19, 0xffff, v19
	s_delay_alu instid0(VALU_DEP_1)
	v_and_or_b32 v17, 0xffff0000, v17, v19
.LBB707_361:
	s_or_b32 exec_lo, exec_lo, s3
	s_delay_alu instid0(SALU_CYCLE_1)
	s_and_not1_b32 vcc_lo, exec_lo, s24
	s_cbranch_vccnz .LBB707_363
; %bb.362:
	v_cmp_gt_u32_e32 vcc_lo, s20, v39
	s_waitcnt lgkmcnt(0)
	v_or_b32_e32 v20, 1, v39
	v_and_b32_e32 v21, 0xffffff00, v18
	v_or_b32_e32 v22, 2, v39
	v_cndmask_b32_e32 v19, 0, v17, vcc_lo
	s_delay_alu instid0(VALU_DEP_4) | instskip(SKIP_1) | instid1(VALU_DEP_4)
	v_cmp_gt_u32_e32 vcc_lo, s20, v20
	v_or_b32_e32 v20, 4, v39
	v_cmp_gt_u32_e64 s2, s20, v22
	v_or_b32_e32 v22, 3, v39
	v_and_b32_e32 v19, 0xff, v19
	s_delay_alu instid0(VALU_DEP_2) | instskip(NEXT) | instid1(VALU_DEP_2)
	v_cmp_gt_u32_e64 s3, s20, v22
	v_cndmask_b32_e32 v19, v19, v17, vcc_lo
	v_cmp_gt_u32_e32 vcc_lo, s20, v20
	v_cndmask_b32_e32 v20, v21, v18, vcc_lo
	v_or_b32_e32 v21, 5, v39
	s_delay_alu instid0(VALU_DEP_2) | instskip(SKIP_1) | instid1(VALU_DEP_1)
	v_and_b32_e32 v20, 0xffff00ff, v20
	v_and_b32_e32 v19, 0xffff, v19
	v_cndmask_b32_e64 v19, v19, v17, s2
	s_delay_alu instid0(VALU_DEP_4) | instskip(SKIP_1) | instid1(VALU_DEP_3)
	v_cmp_gt_u32_e64 s2, s20, v21
	v_or_b32_e32 v21, 6, v39
	v_and_b32_e32 v19, 0xffffff, v19
	s_delay_alu instid0(VALU_DEP_3) | instskip(NEXT) | instid1(VALU_DEP_2)
	v_cndmask_b32_e64 v20, v20, v18, s2
	v_cndmask_b32_e64 v19, v19, v17, s3
	s_delay_alu instid0(VALU_DEP_1) | instskip(SKIP_2) | instid1(VALU_DEP_3)
	v_dual_cndmask_b32 v19, v19, v17 :: v_dual_and_b32 v20, 0xff00ffff, v20
	v_cmp_gt_u32_e32 vcc_lo, s20, v21
	v_or_b32_e32 v21, 7, v39
	v_cndmask_b32_e64 v19, v19, v17, s2
	s_delay_alu instid0(VALU_DEP_1) | instskip(NEXT) | instid1(VALU_DEP_1)
	v_dual_cndmask_b32 v20, v20, v18 :: v_dual_cndmask_b32 v19, v19, v17
	v_and_b32_e32 v20, 0xffffff, v20
	s_delay_alu instid0(VALU_DEP_4) | instskip(NEXT) | instid1(VALU_DEP_2)
	v_cmp_gt_u32_e32 vcc_lo, s20, v21
	v_dual_cndmask_b32 v18, v20, v18 :: v_dual_cndmask_b32 v17, v19, v17
.LBB707_363:
	s_delay_alu instid0(VALU_DEP_1) | instskip(SKIP_1) | instid1(VALU_DEP_2)
	v_and_b32_e32 v26, 0xff, v17
	s_waitcnt lgkmcnt(0)
	v_alignbit_b32 v19, v18, v17, 24
	v_bfe_u32 v28, v17, 8, 8
	v_bfe_u32 v30, v17, 16, 8
	v_and_b32_e32 v34, 0xff, v18
	v_bfe_u32 v36, v18, 8, 8
	v_and_b32_e32 v32, 0xff, v19
	v_add_nc_u32_e32 v19, v28, v26
	v_mbcnt_lo_u32_b32 v41, -1, 0
	v_bfe_u32 v38, v18, 16, 8
	v_lshrrev_b32_e32 v40, 24, v18
	v_lshrrev_b32_e32 v42, 5, v0
	v_add3_u32 v19, v19, v30, v32
	v_and_b32_e32 v20, 15, v41
	v_and_b32_e32 v21, 16, v41
	s_and_b32 vcc_lo, exec_lo, s25
	s_mov_b32 s18, -1
	v_add3_u32 v19, v19, v34, v36
	v_cmp_eq_u32_e64 s4, 0, v20
	v_cmp_lt_u32_e64 s2, 1, v20
	v_cmp_lt_u32_e64 s5, 3, v20
	;; [unrolled: 1-line block ×3, first 2 shown]
	v_add3_u32 v43, v19, v38, v40
	v_or_b32_e32 v19, 31, v0
	v_cmp_eq_u32_e64 s7, 0, v21
	s_barrier
	buffer_gl0_inv
	v_cmp_eq_u32_e64 s6, v19, v0
	s_cbranch_vccz .LBB707_394
; %bb.364:
	v_mov_b32_dpp v19, v43 row_shr:1 row_mask:0xf bank_mask:0xf
	s_delay_alu instid0(VALU_DEP_1) | instskip(NEXT) | instid1(VALU_DEP_1)
	v_cndmask_b32_e64 v19, v19, 0, s4
	v_add_nc_u32_e32 v19, v19, v43
	s_delay_alu instid0(VALU_DEP_1) | instskip(NEXT) | instid1(VALU_DEP_1)
	v_mov_b32_dpp v20, v19 row_shr:2 row_mask:0xf bank_mask:0xf
	v_cndmask_b32_e64 v20, 0, v20, s2
	s_delay_alu instid0(VALU_DEP_1) | instskip(NEXT) | instid1(VALU_DEP_1)
	v_add_nc_u32_e32 v19, v19, v20
	v_mov_b32_dpp v20, v19 row_shr:4 row_mask:0xf bank_mask:0xf
	s_delay_alu instid0(VALU_DEP_1) | instskip(NEXT) | instid1(VALU_DEP_1)
	v_cndmask_b32_e64 v20, 0, v20, s5
	v_add_nc_u32_e32 v19, v19, v20
	s_delay_alu instid0(VALU_DEP_1) | instskip(NEXT) | instid1(VALU_DEP_1)
	v_mov_b32_dpp v20, v19 row_shr:8 row_mask:0xf bank_mask:0xf
	v_cndmask_b32_e64 v20, 0, v20, s3
	s_delay_alu instid0(VALU_DEP_1) | instskip(SKIP_3) | instid1(VALU_DEP_1)
	v_add_nc_u32_e32 v19, v19, v20
	ds_swizzle_b32 v20, v19 offset:swizzle(BROADCAST,32,15)
	s_waitcnt lgkmcnt(0)
	v_cndmask_b32_e64 v20, v20, 0, s7
	v_add_nc_u32_e32 v19, v19, v20
	s_and_saveexec_b32 s8, s6
	s_cbranch_execz .LBB707_366
; %bb.365:
	v_lshlrev_b32_e32 v20, 2, v42
	ds_store_b32 v20, v19
.LBB707_366:
	s_or_b32 exec_lo, exec_lo, s8
	s_delay_alu instid0(SALU_CYCLE_1)
	s_mov_b32 s8, exec_lo
	s_waitcnt lgkmcnt(0)
	s_barrier
	buffer_gl0_inv
	v_cmpx_gt_u32_e32 16, v0
	s_cbranch_execz .LBB707_368
; %bb.367:
	v_lshlrev_b32_e32 v20, 2, v0
	ds_load_b32 v21, v20
	s_waitcnt lgkmcnt(0)
	v_mov_b32_dpp v22, v21 row_shr:1 row_mask:0xf bank_mask:0xf
	s_delay_alu instid0(VALU_DEP_1) | instskip(NEXT) | instid1(VALU_DEP_1)
	v_cndmask_b32_e64 v22, v22, 0, s4
	v_add_nc_u32_e32 v21, v22, v21
	s_delay_alu instid0(VALU_DEP_1) | instskip(NEXT) | instid1(VALU_DEP_1)
	v_mov_b32_dpp v22, v21 row_shr:2 row_mask:0xf bank_mask:0xf
	v_cndmask_b32_e64 v22, 0, v22, s2
	s_delay_alu instid0(VALU_DEP_1) | instskip(NEXT) | instid1(VALU_DEP_1)
	v_add_nc_u32_e32 v21, v21, v22
	v_mov_b32_dpp v22, v21 row_shr:4 row_mask:0xf bank_mask:0xf
	s_delay_alu instid0(VALU_DEP_1) | instskip(NEXT) | instid1(VALU_DEP_1)
	v_cndmask_b32_e64 v22, 0, v22, s5
	v_add_nc_u32_e32 v21, v21, v22
	s_delay_alu instid0(VALU_DEP_1) | instskip(NEXT) | instid1(VALU_DEP_1)
	v_mov_b32_dpp v22, v21 row_shr:8 row_mask:0xf bank_mask:0xf
	v_cndmask_b32_e64 v22, 0, v22, s3
	s_delay_alu instid0(VALU_DEP_1)
	v_add_nc_u32_e32 v21, v21, v22
	ds_store_b32 v20, v21
.LBB707_368:
	s_or_b32 exec_lo, exec_lo, s8
	v_cmp_gt_u32_e32 vcc_lo, 32, v0
	s_mov_b32 s9, exec_lo
	s_waitcnt lgkmcnt(0)
	s_barrier
	buffer_gl0_inv
                                        ; implicit-def: $vgpr27
	v_cmpx_lt_u32_e32 31, v0
	s_cbranch_execz .LBB707_370
; %bb.369:
	v_lshl_add_u32 v20, v42, 2, -4
	ds_load_b32 v27, v20
	s_waitcnt lgkmcnt(0)
	v_add_nc_u32_e32 v19, v27, v19
.LBB707_370:
	s_or_b32 exec_lo, exec_lo, s9
	v_add_nc_u32_e32 v20, -1, v41
	s_delay_alu instid0(VALU_DEP_1) | instskip(NEXT) | instid1(VALU_DEP_1)
	v_cmp_gt_i32_e64 s8, 0, v20
	v_cndmask_b32_e64 v20, v20, v41, s8
	v_cmp_eq_u32_e64 s8, 0, v41
	s_delay_alu instid0(VALU_DEP_2)
	v_lshlrev_b32_e32 v20, 2, v20
	ds_bpermute_b32 v29, v20, v19
	s_and_saveexec_b32 s9, vcc_lo
	s_cbranch_execz .LBB707_393
; %bb.371:
	v_mov_b32_e32 v22, 0
	ds_load_b32 v19, v22 offset:60
	s_and_saveexec_b32 s18, s8
	s_cbranch_execz .LBB707_373
; %bb.372:
	s_add_i32 s22, s15, 32
	s_mov_b32 s23, 0
	v_mov_b32_e32 v20, 1
	s_lshl_b64 s[22:23], s[22:23], 3
	s_delay_alu instid0(SALU_CYCLE_1)
	s_add_u32 s22, s10, s22
	s_addc_u32 s23, s11, s23
	s_waitcnt lgkmcnt(0)
	global_store_b64 v22, v[19:20], s[22:23]
.LBB707_373:
	s_or_b32 exec_lo, exec_lo, s18
	v_xad_u32 v20, v41, -1, s15
	s_mov_b32 s19, 0
	s_mov_b32 s18, exec_lo
	s_delay_alu instid0(VALU_DEP_1) | instskip(NEXT) | instid1(VALU_DEP_1)
	v_add_nc_u32_e32 v21, 32, v20
	v_lshlrev_b64 v[21:22], 3, v[21:22]
	s_delay_alu instid0(VALU_DEP_1) | instskip(NEXT) | instid1(VALU_DEP_2)
	v_add_co_u32 v24, vcc_lo, s10, v21
	v_add_co_ci_u32_e32 v25, vcc_lo, s11, v22, vcc_lo
	global_load_b64 v[22:23], v[24:25], off glc
	s_waitcnt vmcnt(0)
	v_and_b32_e32 v21, 0xff, v23
	s_delay_alu instid0(VALU_DEP_1)
	v_cmpx_eq_u16_e32 0, v21
	s_cbranch_execz .LBB707_379
; %bb.374:
	s_mov_b32 s20, 1
	.p2align	6
.LBB707_375:                            ; =>This Loop Header: Depth=1
                                        ;     Child Loop BB707_376 Depth 2
	s_delay_alu instid0(SALU_CYCLE_1)
	s_max_u32 s22, s20, 1
.LBB707_376:                            ;   Parent Loop BB707_375 Depth=1
                                        ; =>  This Inner Loop Header: Depth=2
	s_delay_alu instid0(SALU_CYCLE_1)
	s_add_i32 s22, s22, -1
	s_sleep 1
	s_cmp_eq_u32 s22, 0
	s_cbranch_scc0 .LBB707_376
; %bb.377:                              ;   in Loop: Header=BB707_375 Depth=1
	global_load_b64 v[22:23], v[24:25], off glc
	s_cmp_lt_u32 s20, 32
	s_cselect_b32 s22, -1, 0
	s_delay_alu instid0(SALU_CYCLE_1) | instskip(SKIP_3) | instid1(VALU_DEP_1)
	s_cmp_lg_u32 s22, 0
	s_addc_u32 s20, s20, 0
	s_waitcnt vmcnt(0)
	v_and_b32_e32 v21, 0xff, v23
	v_cmp_ne_u16_e32 vcc_lo, 0, v21
	s_or_b32 s19, vcc_lo, s19
	s_delay_alu instid0(SALU_CYCLE_1)
	s_and_not1_b32 exec_lo, exec_lo, s19
	s_cbranch_execnz .LBB707_375
; %bb.378:
	s_or_b32 exec_lo, exec_lo, s19
.LBB707_379:
	s_delay_alu instid0(SALU_CYCLE_1)
	s_or_b32 exec_lo, exec_lo, s18
	v_cmp_ne_u32_e32 vcc_lo, 31, v41
	v_lshlrev_b32_e64 v33, v41, -1
	v_add_nc_u32_e32 v37, 2, v41
	v_add_nc_u32_e32 v46, 4, v41
	v_add_nc_u32_e32 v48, 8, v41
	v_add_co_ci_u32_e32 v21, vcc_lo, 0, v41, vcc_lo
	v_add_nc_u32_e32 v50, 16, v41
	s_delay_alu instid0(VALU_DEP_2)
	v_lshlrev_b32_e32 v31, 2, v21
	v_and_b32_e32 v21, 0xff, v23
	ds_bpermute_b32 v24, v31, v22
	v_cmp_eq_u16_e32 vcc_lo, 2, v21
	v_and_or_b32 v21, vcc_lo, v33, 0x80000000
	v_cmp_gt_u32_e32 vcc_lo, 30, v41
	s_delay_alu instid0(VALU_DEP_2) | instskip(SKIP_1) | instid1(VALU_DEP_2)
	v_ctz_i32_b32_e32 v21, v21
	v_cndmask_b32_e64 v25, 0, 1, vcc_lo
	v_cmp_lt_u32_e32 vcc_lo, v41, v21
	s_waitcnt lgkmcnt(0)
	s_delay_alu instid0(VALU_DEP_2) | instskip(NEXT) | instid1(VALU_DEP_1)
	v_dual_cndmask_b32 v24, 0, v24 :: v_dual_lshlrev_b32 v25, 1, v25
	v_add_lshl_u32 v35, v25, v41, 2
	v_cmp_gt_u32_e32 vcc_lo, 28, v41
	s_delay_alu instid0(VALU_DEP_3) | instskip(SKIP_4) | instid1(VALU_DEP_1)
	v_add_nc_u32_e32 v22, v24, v22
	v_cndmask_b32_e64 v25, 0, 1, vcc_lo
	v_cmp_le_u32_e32 vcc_lo, v37, v21
	ds_bpermute_b32 v24, v35, v22
	v_lshlrev_b32_e32 v25, 2, v25
	v_add_lshl_u32 v44, v25, v41, 2
	s_waitcnt lgkmcnt(0)
	v_cndmask_b32_e32 v24, 0, v24, vcc_lo
	v_cmp_gt_u32_e32 vcc_lo, 24, v41
	s_delay_alu instid0(VALU_DEP_2) | instskip(SKIP_4) | instid1(VALU_DEP_1)
	v_add_nc_u32_e32 v22, v22, v24
	v_cndmask_b32_e64 v25, 0, 1, vcc_lo
	v_cmp_le_u32_e32 vcc_lo, v46, v21
	ds_bpermute_b32 v24, v44, v22
	v_lshlrev_b32_e32 v25, 3, v25
	v_add_lshl_u32 v47, v25, v41, 2
	s_waitcnt lgkmcnt(0)
	v_cndmask_b32_e32 v24, 0, v24, vcc_lo
	v_cmp_gt_u32_e32 vcc_lo, 16, v41
	s_delay_alu instid0(VALU_DEP_2) | instskip(SKIP_4) | instid1(VALU_DEP_1)
	v_add_nc_u32_e32 v22, v22, v24
	v_cndmask_b32_e64 v25, 0, 1, vcc_lo
	v_cmp_le_u32_e32 vcc_lo, v48, v21
	ds_bpermute_b32 v24, v47, v22
	v_lshlrev_b32_e32 v25, 4, v25
	v_add_lshl_u32 v49, v25, v41, 2
	s_waitcnt lgkmcnt(0)
	v_cndmask_b32_e32 v24, 0, v24, vcc_lo
	v_cmp_le_u32_e32 vcc_lo, v50, v21
	s_delay_alu instid0(VALU_DEP_2) | instskip(SKIP_3) | instid1(VALU_DEP_1)
	v_add_nc_u32_e32 v22, v22, v24
	ds_bpermute_b32 v24, v49, v22
	s_waitcnt lgkmcnt(0)
	v_cndmask_b32_e32 v21, 0, v24, vcc_lo
	v_dual_mov_b32 v21, 0 :: v_dual_add_nc_u32 v22, v22, v21
	s_branch .LBB707_381
.LBB707_380:                            ;   in Loop: Header=BB707_381 Depth=1
	s_or_b32 exec_lo, exec_lo, s18
	ds_bpermute_b32 v25, v31, v22
	v_and_b32_e32 v24, 0xff, v23
	v_subrev_nc_u32_e32 v20, 32, v20
	s_delay_alu instid0(VALU_DEP_2) | instskip(SKIP_1) | instid1(VALU_DEP_1)
	v_cmp_eq_u16_e32 vcc_lo, 2, v24
	v_and_or_b32 v24, vcc_lo, v33, 0x80000000
	v_ctz_i32_b32_e32 v24, v24
	s_delay_alu instid0(VALU_DEP_1) | instskip(SKIP_3) | instid1(VALU_DEP_2)
	v_cmp_lt_u32_e32 vcc_lo, v41, v24
	s_waitcnt lgkmcnt(0)
	v_cndmask_b32_e32 v25, 0, v25, vcc_lo
	v_cmp_le_u32_e32 vcc_lo, v37, v24
	v_add_nc_u32_e32 v22, v25, v22
	ds_bpermute_b32 v25, v35, v22
	s_waitcnt lgkmcnt(0)
	v_cndmask_b32_e32 v25, 0, v25, vcc_lo
	v_cmp_le_u32_e32 vcc_lo, v46, v24
	s_delay_alu instid0(VALU_DEP_2) | instskip(SKIP_4) | instid1(VALU_DEP_2)
	v_add_nc_u32_e32 v22, v22, v25
	ds_bpermute_b32 v25, v44, v22
	s_waitcnt lgkmcnt(0)
	v_cndmask_b32_e32 v25, 0, v25, vcc_lo
	v_cmp_le_u32_e32 vcc_lo, v48, v24
	v_add_nc_u32_e32 v22, v22, v25
	ds_bpermute_b32 v25, v47, v22
	s_waitcnt lgkmcnt(0)
	v_cndmask_b32_e32 v25, 0, v25, vcc_lo
	v_cmp_le_u32_e32 vcc_lo, v50, v24
	s_delay_alu instid0(VALU_DEP_2) | instskip(SKIP_3) | instid1(VALU_DEP_1)
	v_add_nc_u32_e32 v22, v22, v25
	ds_bpermute_b32 v25, v49, v22
	s_waitcnt lgkmcnt(0)
	v_cndmask_b32_e32 v24, 0, v25, vcc_lo
	v_add3_u32 v22, v24, v45, v22
.LBB707_381:                            ; =>This Loop Header: Depth=1
                                        ;     Child Loop BB707_384 Depth 2
                                        ;       Child Loop BB707_385 Depth 3
	v_and_b32_e32 v23, 0xff, v23
	s_delay_alu instid0(VALU_DEP_2) | instskip(NEXT) | instid1(VALU_DEP_2)
	v_mov_b32_e32 v45, v22
	v_cmp_ne_u16_e32 vcc_lo, 2, v23
	v_cndmask_b32_e64 v23, 0, 1, vcc_lo
	;;#ASMSTART
	;;#ASMEND
	s_delay_alu instid0(VALU_DEP_1)
	v_cmp_ne_u32_e32 vcc_lo, 0, v23
	s_cmp_lg_u32 vcc_lo, exec_lo
	s_cbranch_scc1 .LBB707_388
; %bb.382:                              ;   in Loop: Header=BB707_381 Depth=1
	v_lshlrev_b64 v[22:23], 3, v[20:21]
	s_mov_b32 s18, exec_lo
	s_delay_alu instid0(VALU_DEP_1) | instskip(NEXT) | instid1(VALU_DEP_2)
	v_add_co_u32 v24, vcc_lo, s10, v22
	v_add_co_ci_u32_e32 v25, vcc_lo, s11, v23, vcc_lo
	global_load_b64 v[22:23], v[24:25], off glc
	s_waitcnt vmcnt(0)
	v_and_b32_e32 v51, 0xff, v23
	s_delay_alu instid0(VALU_DEP_1)
	v_cmpx_eq_u16_e32 0, v51
	s_cbranch_execz .LBB707_380
; %bb.383:                              ;   in Loop: Header=BB707_381 Depth=1
	s_mov_b32 s20, 1
	s_mov_b32 s19, 0
	.p2align	6
.LBB707_384:                            ;   Parent Loop BB707_381 Depth=1
                                        ; =>  This Loop Header: Depth=2
                                        ;       Child Loop BB707_385 Depth 3
	s_max_u32 s22, s20, 1
.LBB707_385:                            ;   Parent Loop BB707_381 Depth=1
                                        ;     Parent Loop BB707_384 Depth=2
                                        ; =>    This Inner Loop Header: Depth=3
	s_delay_alu instid0(SALU_CYCLE_1)
	s_add_i32 s22, s22, -1
	s_sleep 1
	s_cmp_eq_u32 s22, 0
	s_cbranch_scc0 .LBB707_385
; %bb.386:                              ;   in Loop: Header=BB707_384 Depth=2
	global_load_b64 v[22:23], v[24:25], off glc
	s_cmp_lt_u32 s20, 32
	s_cselect_b32 s22, -1, 0
	s_delay_alu instid0(SALU_CYCLE_1) | instskip(SKIP_3) | instid1(VALU_DEP_1)
	s_cmp_lg_u32 s22, 0
	s_addc_u32 s20, s20, 0
	s_waitcnt vmcnt(0)
	v_and_b32_e32 v51, 0xff, v23
	v_cmp_ne_u16_e32 vcc_lo, 0, v51
	s_or_b32 s19, vcc_lo, s19
	s_delay_alu instid0(SALU_CYCLE_1)
	s_and_not1_b32 exec_lo, exec_lo, s19
	s_cbranch_execnz .LBB707_384
; %bb.387:                              ;   in Loop: Header=BB707_381 Depth=1
	s_or_b32 exec_lo, exec_lo, s19
	s_branch .LBB707_380
.LBB707_388:                            ;   in Loop: Header=BB707_381 Depth=1
                                        ; implicit-def: $vgpr22
                                        ; implicit-def: $vgpr23
	s_cbranch_execz .LBB707_381
; %bb.389:
	s_and_saveexec_b32 s18, s8
	s_cbranch_execz .LBB707_391
; %bb.390:
	s_add_i32 s22, s15, 32
	s_mov_b32 s23, 0
	v_dual_mov_b32 v21, 2 :: v_dual_add_nc_u32 v20, v45, v19
	s_lshl_b64 s[22:23], s[22:23], 3
	v_mov_b32_e32 v22, 0
	v_add_nc_u32_e64 v23, 0x8400, 0
	s_add_u32 s22, s10, s22
	s_addc_u32 s23, s11, s23
	global_store_b64 v22, v[20:21], s[22:23]
	ds_store_2addr_b32 v23, v19, v45 offset1:2
.LBB707_391:
	s_or_b32 exec_lo, exec_lo, s18
	v_cmp_eq_u32_e32 vcc_lo, 0, v0
	s_and_b32 exec_lo, exec_lo, vcc_lo
	s_cbranch_execz .LBB707_393
; %bb.392:
	v_mov_b32_e32 v19, 0
	ds_store_b32 v19, v45 offset:60
.LBB707_393:
	s_or_b32 exec_lo, exec_lo, s9
	s_waitcnt lgkmcnt(0)
	v_cndmask_b32_e64 v20, v29, v27, s8
	v_cmp_ne_u32_e32 vcc_lo, 0, v0
	v_mov_b32_e32 v19, 0
	s_waitcnt_vscnt null, 0x0
	s_barrier
	buffer_gl0_inv
	v_cndmask_b32_e32 v20, 0, v20, vcc_lo
	ds_load_b32 v19, v19 offset:60
	s_waitcnt lgkmcnt(0)
	s_barrier
	buffer_gl0_inv
	v_add_nc_u32_e32 v37, v19, v20
	v_add_nc_u32_e64 v19, 0x8400, 0
	s_delay_alu instid0(VALU_DEP_2) | instskip(SKIP_2) | instid1(VALU_DEP_1)
	v_add_nc_u32_e32 v35, v37, v26
	ds_load_2addr_b32 v[19:20], v19 offset1:2
	v_add_nc_u32_e32 v33, v35, v28
	v_add_nc_u32_e32 v31, v33, v30
	s_delay_alu instid0(VALU_DEP_1) | instskip(NEXT) | instid1(VALU_DEP_1)
	v_add_nc_u32_e32 v29, v31, v32
	v_add_nc_u32_e32 v27, v29, v34
	s_delay_alu instid0(VALU_DEP_1) | instskip(NEXT) | instid1(VALU_DEP_1)
	v_add_nc_u32_e32 v25, v27, v36
	v_add_nc_u32_e32 v23, v25, v38
	s_load_b64 s[8:9], s[0:1], 0x28
	v_lshrrev_b64 v[21:22], 24, v[17:18]
	s_branch .LBB707_404
.LBB707_394:
                                        ; implicit-def: $vgpr23
                                        ; implicit-def: $vgpr25
                                        ; implicit-def: $vgpr27
                                        ; implicit-def: $vgpr29
                                        ; implicit-def: $vgpr31
                                        ; implicit-def: $vgpr33
                                        ; implicit-def: $vgpr35
                                        ; implicit-def: $vgpr37
                                        ; implicit-def: $vgpr20
	s_load_b64 s[8:9], s[0:1], 0x28
	v_lshrrev_b64 v[21:22], 24, v[17:18]
	s_and_b32 vcc_lo, exec_lo, s18
	s_cbranch_vccz .LBB707_404
; %bb.395:
	s_waitcnt lgkmcnt(0)
	v_mov_b32_dpp v19, v43 row_shr:1 row_mask:0xf bank_mask:0xf
	s_delay_alu instid0(VALU_DEP_1) | instskip(NEXT) | instid1(VALU_DEP_1)
	v_cndmask_b32_e64 v19, v19, 0, s4
	v_add_nc_u32_e32 v19, v19, v43
	s_delay_alu instid0(VALU_DEP_1) | instskip(NEXT) | instid1(VALU_DEP_1)
	v_mov_b32_dpp v20, v19 row_shr:2 row_mask:0xf bank_mask:0xf
	v_cndmask_b32_e64 v20, 0, v20, s2
	s_delay_alu instid0(VALU_DEP_1) | instskip(NEXT) | instid1(VALU_DEP_1)
	v_add_nc_u32_e32 v19, v19, v20
	v_mov_b32_dpp v20, v19 row_shr:4 row_mask:0xf bank_mask:0xf
	s_delay_alu instid0(VALU_DEP_1) | instskip(NEXT) | instid1(VALU_DEP_1)
	v_cndmask_b32_e64 v20, 0, v20, s5
	v_add_nc_u32_e32 v19, v19, v20
	s_delay_alu instid0(VALU_DEP_1) | instskip(NEXT) | instid1(VALU_DEP_1)
	v_mov_b32_dpp v20, v19 row_shr:8 row_mask:0xf bank_mask:0xf
	v_cndmask_b32_e64 v20, 0, v20, s3
	s_delay_alu instid0(VALU_DEP_1) | instskip(SKIP_3) | instid1(VALU_DEP_1)
	v_add_nc_u32_e32 v19, v19, v20
	ds_swizzle_b32 v20, v19 offset:swizzle(BROADCAST,32,15)
	s_waitcnt lgkmcnt(0)
	v_cndmask_b32_e64 v20, v20, 0, s7
	v_add_nc_u32_e32 v19, v19, v20
	s_and_saveexec_b32 s0, s6
	s_cbranch_execz .LBB707_397
; %bb.396:
	v_lshlrev_b32_e32 v20, 2, v42
	ds_store_b32 v20, v19
.LBB707_397:
	s_or_b32 exec_lo, exec_lo, s0
	s_delay_alu instid0(SALU_CYCLE_1)
	s_mov_b32 s0, exec_lo
	s_waitcnt lgkmcnt(0)
	s_barrier
	buffer_gl0_inv
	v_cmpx_gt_u32_e32 16, v0
	s_cbranch_execz .LBB707_399
; %bb.398:
	v_lshlrev_b32_e32 v20, 2, v0
	ds_load_b32 v22, v20
	s_waitcnt lgkmcnt(0)
	v_mov_b32_dpp v23, v22 row_shr:1 row_mask:0xf bank_mask:0xf
	s_delay_alu instid0(VALU_DEP_1) | instskip(NEXT) | instid1(VALU_DEP_1)
	v_cndmask_b32_e64 v23, v23, 0, s4
	v_add_nc_u32_e32 v22, v23, v22
	s_delay_alu instid0(VALU_DEP_1) | instskip(NEXT) | instid1(VALU_DEP_1)
	v_mov_b32_dpp v23, v22 row_shr:2 row_mask:0xf bank_mask:0xf
	v_cndmask_b32_e64 v23, 0, v23, s2
	s_delay_alu instid0(VALU_DEP_1) | instskip(NEXT) | instid1(VALU_DEP_1)
	v_add_nc_u32_e32 v22, v22, v23
	v_mov_b32_dpp v23, v22 row_shr:4 row_mask:0xf bank_mask:0xf
	s_delay_alu instid0(VALU_DEP_1) | instskip(NEXT) | instid1(VALU_DEP_1)
	v_cndmask_b32_e64 v23, 0, v23, s5
	v_add_nc_u32_e32 v22, v22, v23
	s_delay_alu instid0(VALU_DEP_1) | instskip(NEXT) | instid1(VALU_DEP_1)
	v_mov_b32_dpp v23, v22 row_shr:8 row_mask:0xf bank_mask:0xf
	v_cndmask_b32_e64 v23, 0, v23, s3
	s_delay_alu instid0(VALU_DEP_1)
	v_add_nc_u32_e32 v22, v22, v23
	ds_store_b32 v20, v22
.LBB707_399:
	s_or_b32 exec_lo, exec_lo, s0
	v_mov_b32_e32 v20, 0
	v_mov_b32_e32 v22, 0
	s_mov_b32 s0, exec_lo
	s_waitcnt lgkmcnt(0)
	s_barrier
	buffer_gl0_inv
	v_cmpx_lt_u32_e32 31, v0
	s_cbranch_execz .LBB707_401
; %bb.400:
	v_lshl_add_u32 v22, v42, 2, -4
	ds_load_b32 v22, v22
.LBB707_401:
	s_or_b32 exec_lo, exec_lo, s0
	v_add_nc_u32_e32 v23, -1, v41
	s_waitcnt lgkmcnt(0)
	v_add_nc_u32_e32 v19, v22, v19
	s_delay_alu instid0(VALU_DEP_2) | instskip(SKIP_2) | instid1(VALU_DEP_2)
	v_cmp_gt_i32_e32 vcc_lo, 0, v23
	v_cndmask_b32_e32 v23, v23, v41, vcc_lo
	v_cmp_eq_u32_e32 vcc_lo, 0, v0
	v_lshlrev_b32_e32 v23, 2, v23
	ds_bpermute_b32 v23, v23, v19
	ds_load_b32 v19, v20 offset:60
	s_and_saveexec_b32 s0, vcc_lo
	s_cbranch_execz .LBB707_403
; %bb.402:
	v_mov_b32_e32 v24, 0
	v_mov_b32_e32 v20, 2
	s_waitcnt lgkmcnt(0)
	global_store_b64 v24, v[19:20], s[10:11] offset:256
.LBB707_403:
	s_or_b32 exec_lo, exec_lo, s0
	v_cmp_eq_u32_e64 s0, 0, v41
	s_waitcnt lgkmcnt(0)
	s_waitcnt_vscnt null, 0x0
	s_barrier
	buffer_gl0_inv
	v_cndmask_b32_e64 v20, v23, v22, s0
	s_delay_alu instid0(VALU_DEP_1) | instskip(NEXT) | instid1(VALU_DEP_1)
	v_cndmask_b32_e64 v37, v20, 0, vcc_lo
	v_dual_mov_b32 v20, 0 :: v_dual_add_nc_u32 v35, v37, v26
	s_delay_alu instid0(VALU_DEP_1) | instskip(NEXT) | instid1(VALU_DEP_1)
	v_add_nc_u32_e32 v33, v35, v28
	v_add_nc_u32_e32 v31, v33, v30
	s_delay_alu instid0(VALU_DEP_1) | instskip(NEXT) | instid1(VALU_DEP_1)
	v_add_nc_u32_e32 v29, v31, v32
	v_add_nc_u32_e32 v27, v29, v34
	;; [unrolled: 3-line block ×3, first 2 shown]
.LBB707_404:
	s_waitcnt lgkmcnt(0)
	v_cmp_gt_u32_e32 vcc_lo, 0x201, v19
	v_lshrrev_b32_e32 v43, 8, v17
	v_lshrrev_b32_e32 v42, 16, v17
	;; [unrolled: 1-line block ×4, first 2 shown]
	s_mov_b32 s0, -1
	s_cbranch_vccnz .LBB707_408
; %bb.405:
	s_and_b32 vcc_lo, exec_lo, s0
	s_cbranch_vccnz .LBB707_433
.LBB707_406:
	v_cmp_eq_u32_e32 vcc_lo, 0, v0
	s_and_b32 s0, vcc_lo, s14
	s_delay_alu instid0(SALU_CYCLE_1)
	s_and_saveexec_b32 s1, s0
	s_cbranch_execnz .LBB707_453
.LBB707_407:
	s_nop 0
	s_sendmsg sendmsg(MSG_DEALLOC_VGPRS)
	s_endpgm
.LBB707_408:
	v_add_nc_u32_e32 v24, v20, v19
	s_delay_alu instid0(VALU_DEP_1) | instskip(SKIP_1) | instid1(SALU_CYCLE_1)
	v_cmp_lt_u32_e32 vcc_lo, v37, v24
	s_or_b32 s1, s21, vcc_lo
	s_and_saveexec_b32 s0, s1
	s_cbranch_execz .LBB707_411
; %bb.409:
	v_and_b32_e32 v26, 1, v17
	s_delay_alu instid0(VALU_DEP_1)
	v_cmp_eq_u32_e32 vcc_lo, 1, v26
	s_and_b32 exec_lo, exec_lo, vcc_lo
	s_cbranch_execz .LBB707_411
; %bb.410:
	v_mov_b32_e32 v38, 0
	s_lshl_b64 s[2:3], s[12:13], 3
	s_delay_alu instid0(SALU_CYCLE_1) | instskip(SKIP_1) | instid1(VALU_DEP_1)
	s_add_u32 s1, s8, s2
	s_addc_u32 s2, s9, s3
	v_lshlrev_b64 v[44:45], 3, v[37:38]
	s_delay_alu instid0(VALU_DEP_1) | instskip(NEXT) | instid1(VALU_DEP_2)
	v_add_co_u32 v44, vcc_lo, s1, v44
	v_add_co_ci_u32_e32 v45, vcc_lo, s2, v45, vcc_lo
	global_store_b64 v[44:45], v[13:14], off
.LBB707_411:
	s_or_b32 exec_lo, exec_lo, s0
	v_cmp_lt_u32_e32 vcc_lo, v35, v24
	s_or_b32 s1, s21, vcc_lo
	s_delay_alu instid0(SALU_CYCLE_1)
	s_and_saveexec_b32 s0, s1
	s_cbranch_execz .LBB707_414
; %bb.412:
	v_and_b32_e32 v26, 1, v43
	s_delay_alu instid0(VALU_DEP_1)
	v_cmp_eq_u32_e32 vcc_lo, 1, v26
	s_and_b32 exec_lo, exec_lo, vcc_lo
	s_cbranch_execz .LBB707_414
; %bb.413:
	v_mov_b32_e32 v36, 0
	s_lshl_b64 s[2:3], s[12:13], 3
	s_delay_alu instid0(SALU_CYCLE_1) | instskip(SKIP_1) | instid1(VALU_DEP_1)
	s_add_u32 s1, s8, s2
	s_addc_u32 s2, s9, s3
	v_lshlrev_b64 v[44:45], 3, v[35:36]
	s_delay_alu instid0(VALU_DEP_1) | instskip(NEXT) | instid1(VALU_DEP_2)
	v_add_co_u32 v44, vcc_lo, s1, v44
	v_add_co_ci_u32_e32 v45, vcc_lo, s2, v45, vcc_lo
	global_store_b64 v[44:45], v[15:16], off
.LBB707_414:
	s_or_b32 exec_lo, exec_lo, s0
	v_cmp_lt_u32_e32 vcc_lo, v33, v24
	s_or_b32 s1, s21, vcc_lo
	s_delay_alu instid0(SALU_CYCLE_1)
	;; [unrolled: 24-line block ×7, first 2 shown]
	s_and_saveexec_b32 s0, s1
	s_cbranch_execz .LBB707_432
; %bb.430:
	v_and_b32_e32 v24, 1, v40
	s_delay_alu instid0(VALU_DEP_1)
	v_cmp_eq_u32_e32 vcc_lo, 1, v24
	s_and_b32 exec_lo, exec_lo, vcc_lo
	s_cbranch_execz .LBB707_432
; %bb.431:
	v_mov_b32_e32 v24, 0
	s_lshl_b64 s[2:3], s[12:13], 3
	s_delay_alu instid0(SALU_CYCLE_1) | instskip(SKIP_1) | instid1(VALU_DEP_1)
	s_add_u32 s1, s8, s2
	s_addc_u32 s2, s9, s3
	v_lshlrev_b64 v[44:45], 3, v[23:24]
	s_delay_alu instid0(VALU_DEP_1) | instskip(NEXT) | instid1(VALU_DEP_2)
	v_add_co_u32 v44, vcc_lo, s1, v44
	v_add_co_ci_u32_e32 v45, vcc_lo, s2, v45, vcc_lo
	global_store_b64 v[44:45], v[3:4], off
.LBB707_432:
	s_or_b32 exec_lo, exec_lo, s0
	s_branch .LBB707_406
.LBB707_433:
	v_and_b32_e32 v17, 1, v17
	s_mov_b32 s0, exec_lo
	s_delay_alu instid0(VALU_DEP_1)
	v_cmpx_eq_u32_e32 1, v17
	s_cbranch_execz .LBB707_435
; %bb.434:
	v_sub_nc_u32_e32 v17, v37, v20
	s_delay_alu instid0(VALU_DEP_1)
	v_lshlrev_b32_e32 v17, 3, v17
	ds_store_b64 v17, v[13:14]
.LBB707_435:
	s_or_b32 exec_lo, exec_lo, s0
	v_and_b32_e32 v13, 1, v43
	s_mov_b32 s0, exec_lo
	s_delay_alu instid0(VALU_DEP_1)
	v_cmpx_eq_u32_e32 1, v13
	s_cbranch_execz .LBB707_437
; %bb.436:
	v_sub_nc_u32_e32 v13, v35, v20
	s_delay_alu instid0(VALU_DEP_1)
	v_lshlrev_b32_e32 v13, 3, v13
	ds_store_b64 v13, v[15:16]
.LBB707_437:
	s_or_b32 exec_lo, exec_lo, s0
	;; [unrolled: 12-line block ×8, first 2 shown]
	s_delay_alu instid0(SALU_CYCLE_1)
	s_mov_b32 s1, exec_lo
	s_waitcnt lgkmcnt(0)
	s_waitcnt_vscnt null, 0x0
	s_barrier
	buffer_gl0_inv
	v_cmpx_lt_u32_e64 v0, v19
	s_cbranch_execz .LBB707_452
; %bb.450:
	v_dual_mov_b32 v2, 0 :: v_dual_mov_b32 v1, v20
	s_lshl_b64 s[2:3], s[12:13], 3
	v_mov_b32_e32 v3, v0
	s_delay_alu instid0(VALU_DEP_2) | instskip(NEXT) | instid1(VALU_DEP_1)
	v_lshlrev_b64 v[1:2], 3, v[1:2]
	v_add_co_u32 v1, vcc_lo, s2, v1
	s_delay_alu instid0(VALU_DEP_2) | instskip(SKIP_1) | instid1(VALU_DEP_2)
	v_add_co_ci_u32_e32 v2, vcc_lo, s3, v2, vcc_lo
	s_mov_b32 s2, 0
	v_add_co_u32 v1, vcc_lo, s8, v1
	s_delay_alu instid0(VALU_DEP_2) | instskip(NEXT) | instid1(VALU_DEP_2)
	v_add_co_ci_u32_e32 v2, vcc_lo, s9, v2, vcc_lo
	v_add_co_u32 v1, vcc_lo, v1, v39
	s_delay_alu instid0(VALU_DEP_2)
	v_add_co_ci_u32_e32 v2, vcc_lo, 0, v2, vcc_lo
	.p2align	6
.LBB707_451:                            ; =>This Inner Loop Header: Depth=1
	ds_load_b64 v[4:5], v39
	v_add_nc_u32_e32 v3, 0x200, v3
	v_add_nc_u32_e32 v39, 0x1000, v39
	s_delay_alu instid0(VALU_DEP_2) | instskip(SKIP_4) | instid1(VALU_DEP_1)
	v_cmp_ge_u32_e32 vcc_lo, v3, v19
	s_or_b32 s2, vcc_lo, s2
	s_waitcnt lgkmcnt(0)
	global_store_b64 v[1:2], v[4:5], off
	v_add_co_u32 v1, s0, 0x1000, v1
	v_add_co_ci_u32_e64 v2, s0, 0, v2, s0
	s_and_not1_b32 exec_lo, exec_lo, s2
	s_cbranch_execnz .LBB707_451
.LBB707_452:
	s_or_b32 exec_lo, exec_lo, s1
	v_cmp_eq_u32_e32 vcc_lo, 0, v0
	s_and_b32 s0, vcc_lo, s14
	s_delay_alu instid0(SALU_CYCLE_1)
	s_and_saveexec_b32 s1, s0
	s_cbranch_execz .LBB707_407
.LBB707_453:
	v_add_co_u32 v0, s0, s12, v19
	s_delay_alu instid0(VALU_DEP_1) | instskip(SKIP_1) | instid1(VALU_DEP_3)
	v_add_co_ci_u32_e64 v1, null, s13, 0, s0
	v_mov_b32_e32 v2, 0
	v_add_co_u32 v0, vcc_lo, v0, v20
	s_delay_alu instid0(VALU_DEP_3)
	v_add_co_ci_u32_e32 v1, vcc_lo, 0, v1, vcc_lo
	global_store_b64 v2, v[0:1], s[16:17]
	s_nop 0
	s_sendmsg sendmsg(MSG_DEALLOC_VGPRS)
	s_endpgm
	.section	.rodata,"a",@progbits
	.p2align	6, 0x0
	.amdhsa_kernel _ZN7rocprim17ROCPRIM_400000_NS6detail17trampoline_kernelINS0_14default_configENS1_25partition_config_selectorILNS1_17partition_subalgoE8ElNS0_10empty_typeEbEEZZNS1_14partition_implILS5_8ELb0ES3_jPlPS6_PKS6_NS0_5tupleIJS9_S6_EEENSD_IJSA_SA_EEENS0_18inequality_wrapperIZN2at6native12_GLOBAL__N_124unique_dim_cuda_templateIsEESt5tupleIJNSH_6TensorESM_SM_EERKSM_lbbbEUlllE0_EEPmJS6_EEE10hipError_tPvRmT3_T4_T5_T6_T7_T9_mT8_P12ihipStream_tbDpT10_ENKUlT_T0_E_clISt17integral_constantIbLb1EES1B_IbLb0EEEEDaS17_S18_EUlS17_E_NS1_11comp_targetILNS1_3genE9ELNS1_11target_archE1100ELNS1_3gpuE3ELNS1_3repE0EEENS1_30default_config_static_selectorELNS0_4arch9wavefront6targetE0EEEvT1_
		.amdhsa_group_segment_fixed_size 33804
		.amdhsa_private_segment_fixed_size 0
		.amdhsa_kernarg_size 120
		.amdhsa_user_sgpr_count 15
		.amdhsa_user_sgpr_dispatch_ptr 0
		.amdhsa_user_sgpr_queue_ptr 0
		.amdhsa_user_sgpr_kernarg_segment_ptr 1
		.amdhsa_user_sgpr_dispatch_id 0
		.amdhsa_user_sgpr_private_segment_size 0
		.amdhsa_wavefront_size32 1
		.amdhsa_uses_dynamic_stack 0
		.amdhsa_enable_private_segment 0
		.amdhsa_system_sgpr_workgroup_id_x 1
		.amdhsa_system_sgpr_workgroup_id_y 0
		.amdhsa_system_sgpr_workgroup_id_z 0
		.amdhsa_system_sgpr_workgroup_info 0
		.amdhsa_system_vgpr_workitem_id 0
		.amdhsa_next_free_vgpr 52
		.amdhsa_next_free_sgpr 36
		.amdhsa_reserve_vcc 1
		.amdhsa_float_round_mode_32 0
		.amdhsa_float_round_mode_16_64 0
		.amdhsa_float_denorm_mode_32 3
		.amdhsa_float_denorm_mode_16_64 3
		.amdhsa_dx10_clamp 1
		.amdhsa_ieee_mode 1
		.amdhsa_fp16_overflow 0
		.amdhsa_workgroup_processor_mode 1
		.amdhsa_memory_ordered 1
		.amdhsa_forward_progress 0
		.amdhsa_shared_vgpr_count 0
		.amdhsa_exception_fp_ieee_invalid_op 0
		.amdhsa_exception_fp_denorm_src 0
		.amdhsa_exception_fp_ieee_div_zero 0
		.amdhsa_exception_fp_ieee_overflow 0
		.amdhsa_exception_fp_ieee_underflow 0
		.amdhsa_exception_fp_ieee_inexact 0
		.amdhsa_exception_int_div_zero 0
	.end_amdhsa_kernel
	.section	.text._ZN7rocprim17ROCPRIM_400000_NS6detail17trampoline_kernelINS0_14default_configENS1_25partition_config_selectorILNS1_17partition_subalgoE8ElNS0_10empty_typeEbEEZZNS1_14partition_implILS5_8ELb0ES3_jPlPS6_PKS6_NS0_5tupleIJS9_S6_EEENSD_IJSA_SA_EEENS0_18inequality_wrapperIZN2at6native12_GLOBAL__N_124unique_dim_cuda_templateIsEESt5tupleIJNSH_6TensorESM_SM_EERKSM_lbbbEUlllE0_EEPmJS6_EEE10hipError_tPvRmT3_T4_T5_T6_T7_T9_mT8_P12ihipStream_tbDpT10_ENKUlT_T0_E_clISt17integral_constantIbLb1EES1B_IbLb0EEEEDaS17_S18_EUlS17_E_NS1_11comp_targetILNS1_3genE9ELNS1_11target_archE1100ELNS1_3gpuE3ELNS1_3repE0EEENS1_30default_config_static_selectorELNS0_4arch9wavefront6targetE0EEEvT1_,"axG",@progbits,_ZN7rocprim17ROCPRIM_400000_NS6detail17trampoline_kernelINS0_14default_configENS1_25partition_config_selectorILNS1_17partition_subalgoE8ElNS0_10empty_typeEbEEZZNS1_14partition_implILS5_8ELb0ES3_jPlPS6_PKS6_NS0_5tupleIJS9_S6_EEENSD_IJSA_SA_EEENS0_18inequality_wrapperIZN2at6native12_GLOBAL__N_124unique_dim_cuda_templateIsEESt5tupleIJNSH_6TensorESM_SM_EERKSM_lbbbEUlllE0_EEPmJS6_EEE10hipError_tPvRmT3_T4_T5_T6_T7_T9_mT8_P12ihipStream_tbDpT10_ENKUlT_T0_E_clISt17integral_constantIbLb1EES1B_IbLb0EEEEDaS17_S18_EUlS17_E_NS1_11comp_targetILNS1_3genE9ELNS1_11target_archE1100ELNS1_3gpuE3ELNS1_3repE0EEENS1_30default_config_static_selectorELNS0_4arch9wavefront6targetE0EEEvT1_,comdat
.Lfunc_end707:
	.size	_ZN7rocprim17ROCPRIM_400000_NS6detail17trampoline_kernelINS0_14default_configENS1_25partition_config_selectorILNS1_17partition_subalgoE8ElNS0_10empty_typeEbEEZZNS1_14partition_implILS5_8ELb0ES3_jPlPS6_PKS6_NS0_5tupleIJS9_S6_EEENSD_IJSA_SA_EEENS0_18inequality_wrapperIZN2at6native12_GLOBAL__N_124unique_dim_cuda_templateIsEESt5tupleIJNSH_6TensorESM_SM_EERKSM_lbbbEUlllE0_EEPmJS6_EEE10hipError_tPvRmT3_T4_T5_T6_T7_T9_mT8_P12ihipStream_tbDpT10_ENKUlT_T0_E_clISt17integral_constantIbLb1EES1B_IbLb0EEEEDaS17_S18_EUlS17_E_NS1_11comp_targetILNS1_3genE9ELNS1_11target_archE1100ELNS1_3gpuE3ELNS1_3repE0EEENS1_30default_config_static_selectorELNS0_4arch9wavefront6targetE0EEEvT1_, .Lfunc_end707-_ZN7rocprim17ROCPRIM_400000_NS6detail17trampoline_kernelINS0_14default_configENS1_25partition_config_selectorILNS1_17partition_subalgoE8ElNS0_10empty_typeEbEEZZNS1_14partition_implILS5_8ELb0ES3_jPlPS6_PKS6_NS0_5tupleIJS9_S6_EEENSD_IJSA_SA_EEENS0_18inequality_wrapperIZN2at6native12_GLOBAL__N_124unique_dim_cuda_templateIsEESt5tupleIJNSH_6TensorESM_SM_EERKSM_lbbbEUlllE0_EEPmJS6_EEE10hipError_tPvRmT3_T4_T5_T6_T7_T9_mT8_P12ihipStream_tbDpT10_ENKUlT_T0_E_clISt17integral_constantIbLb1EES1B_IbLb0EEEEDaS17_S18_EUlS17_E_NS1_11comp_targetILNS1_3genE9ELNS1_11target_archE1100ELNS1_3gpuE3ELNS1_3repE0EEENS1_30default_config_static_selectorELNS0_4arch9wavefront6targetE0EEEvT1_
                                        ; -- End function
	.section	.AMDGPU.csdata,"",@progbits
; Kernel info:
; codeLenInByte = 18332
; NumSgprs: 38
; NumVgprs: 52
; ScratchSize: 0
; MemoryBound: 0
; FloatMode: 240
; IeeeMode: 1
; LDSByteSize: 33804 bytes/workgroup (compile time only)
; SGPRBlocks: 4
; VGPRBlocks: 6
; NumSGPRsForWavesPerEU: 38
; NumVGPRsForWavesPerEU: 52
; Occupancy: 12
; WaveLimiterHint : 1
; COMPUTE_PGM_RSRC2:SCRATCH_EN: 0
; COMPUTE_PGM_RSRC2:USER_SGPR: 15
; COMPUTE_PGM_RSRC2:TRAP_HANDLER: 0
; COMPUTE_PGM_RSRC2:TGID_X_EN: 1
; COMPUTE_PGM_RSRC2:TGID_Y_EN: 0
; COMPUTE_PGM_RSRC2:TGID_Z_EN: 0
; COMPUTE_PGM_RSRC2:TIDIG_COMP_CNT: 0
	.section	.text._ZN7rocprim17ROCPRIM_400000_NS6detail17trampoline_kernelINS0_14default_configENS1_25partition_config_selectorILNS1_17partition_subalgoE8ElNS0_10empty_typeEbEEZZNS1_14partition_implILS5_8ELb0ES3_jPlPS6_PKS6_NS0_5tupleIJS9_S6_EEENSD_IJSA_SA_EEENS0_18inequality_wrapperIZN2at6native12_GLOBAL__N_124unique_dim_cuda_templateIsEESt5tupleIJNSH_6TensorESM_SM_EERKSM_lbbbEUlllE0_EEPmJS6_EEE10hipError_tPvRmT3_T4_T5_T6_T7_T9_mT8_P12ihipStream_tbDpT10_ENKUlT_T0_E_clISt17integral_constantIbLb1EES1B_IbLb0EEEEDaS17_S18_EUlS17_E_NS1_11comp_targetILNS1_3genE8ELNS1_11target_archE1030ELNS1_3gpuE2ELNS1_3repE0EEENS1_30default_config_static_selectorELNS0_4arch9wavefront6targetE0EEEvT1_,"axG",@progbits,_ZN7rocprim17ROCPRIM_400000_NS6detail17trampoline_kernelINS0_14default_configENS1_25partition_config_selectorILNS1_17partition_subalgoE8ElNS0_10empty_typeEbEEZZNS1_14partition_implILS5_8ELb0ES3_jPlPS6_PKS6_NS0_5tupleIJS9_S6_EEENSD_IJSA_SA_EEENS0_18inequality_wrapperIZN2at6native12_GLOBAL__N_124unique_dim_cuda_templateIsEESt5tupleIJNSH_6TensorESM_SM_EERKSM_lbbbEUlllE0_EEPmJS6_EEE10hipError_tPvRmT3_T4_T5_T6_T7_T9_mT8_P12ihipStream_tbDpT10_ENKUlT_T0_E_clISt17integral_constantIbLb1EES1B_IbLb0EEEEDaS17_S18_EUlS17_E_NS1_11comp_targetILNS1_3genE8ELNS1_11target_archE1030ELNS1_3gpuE2ELNS1_3repE0EEENS1_30default_config_static_selectorELNS0_4arch9wavefront6targetE0EEEvT1_,comdat
	.globl	_ZN7rocprim17ROCPRIM_400000_NS6detail17trampoline_kernelINS0_14default_configENS1_25partition_config_selectorILNS1_17partition_subalgoE8ElNS0_10empty_typeEbEEZZNS1_14partition_implILS5_8ELb0ES3_jPlPS6_PKS6_NS0_5tupleIJS9_S6_EEENSD_IJSA_SA_EEENS0_18inequality_wrapperIZN2at6native12_GLOBAL__N_124unique_dim_cuda_templateIsEESt5tupleIJNSH_6TensorESM_SM_EERKSM_lbbbEUlllE0_EEPmJS6_EEE10hipError_tPvRmT3_T4_T5_T6_T7_T9_mT8_P12ihipStream_tbDpT10_ENKUlT_T0_E_clISt17integral_constantIbLb1EES1B_IbLb0EEEEDaS17_S18_EUlS17_E_NS1_11comp_targetILNS1_3genE8ELNS1_11target_archE1030ELNS1_3gpuE2ELNS1_3repE0EEENS1_30default_config_static_selectorELNS0_4arch9wavefront6targetE0EEEvT1_ ; -- Begin function _ZN7rocprim17ROCPRIM_400000_NS6detail17trampoline_kernelINS0_14default_configENS1_25partition_config_selectorILNS1_17partition_subalgoE8ElNS0_10empty_typeEbEEZZNS1_14partition_implILS5_8ELb0ES3_jPlPS6_PKS6_NS0_5tupleIJS9_S6_EEENSD_IJSA_SA_EEENS0_18inequality_wrapperIZN2at6native12_GLOBAL__N_124unique_dim_cuda_templateIsEESt5tupleIJNSH_6TensorESM_SM_EERKSM_lbbbEUlllE0_EEPmJS6_EEE10hipError_tPvRmT3_T4_T5_T6_T7_T9_mT8_P12ihipStream_tbDpT10_ENKUlT_T0_E_clISt17integral_constantIbLb1EES1B_IbLb0EEEEDaS17_S18_EUlS17_E_NS1_11comp_targetILNS1_3genE8ELNS1_11target_archE1030ELNS1_3gpuE2ELNS1_3repE0EEENS1_30default_config_static_selectorELNS0_4arch9wavefront6targetE0EEEvT1_
	.p2align	8
	.type	_ZN7rocprim17ROCPRIM_400000_NS6detail17trampoline_kernelINS0_14default_configENS1_25partition_config_selectorILNS1_17partition_subalgoE8ElNS0_10empty_typeEbEEZZNS1_14partition_implILS5_8ELb0ES3_jPlPS6_PKS6_NS0_5tupleIJS9_S6_EEENSD_IJSA_SA_EEENS0_18inequality_wrapperIZN2at6native12_GLOBAL__N_124unique_dim_cuda_templateIsEESt5tupleIJNSH_6TensorESM_SM_EERKSM_lbbbEUlllE0_EEPmJS6_EEE10hipError_tPvRmT3_T4_T5_T6_T7_T9_mT8_P12ihipStream_tbDpT10_ENKUlT_T0_E_clISt17integral_constantIbLb1EES1B_IbLb0EEEEDaS17_S18_EUlS17_E_NS1_11comp_targetILNS1_3genE8ELNS1_11target_archE1030ELNS1_3gpuE2ELNS1_3repE0EEENS1_30default_config_static_selectorELNS0_4arch9wavefront6targetE0EEEvT1_,@function
_ZN7rocprim17ROCPRIM_400000_NS6detail17trampoline_kernelINS0_14default_configENS1_25partition_config_selectorILNS1_17partition_subalgoE8ElNS0_10empty_typeEbEEZZNS1_14partition_implILS5_8ELb0ES3_jPlPS6_PKS6_NS0_5tupleIJS9_S6_EEENSD_IJSA_SA_EEENS0_18inequality_wrapperIZN2at6native12_GLOBAL__N_124unique_dim_cuda_templateIsEESt5tupleIJNSH_6TensorESM_SM_EERKSM_lbbbEUlllE0_EEPmJS6_EEE10hipError_tPvRmT3_T4_T5_T6_T7_T9_mT8_P12ihipStream_tbDpT10_ENKUlT_T0_E_clISt17integral_constantIbLb1EES1B_IbLb0EEEEDaS17_S18_EUlS17_E_NS1_11comp_targetILNS1_3genE8ELNS1_11target_archE1030ELNS1_3gpuE2ELNS1_3repE0EEENS1_30default_config_static_selectorELNS0_4arch9wavefront6targetE0EEEvT1_: ; @_ZN7rocprim17ROCPRIM_400000_NS6detail17trampoline_kernelINS0_14default_configENS1_25partition_config_selectorILNS1_17partition_subalgoE8ElNS0_10empty_typeEbEEZZNS1_14partition_implILS5_8ELb0ES3_jPlPS6_PKS6_NS0_5tupleIJS9_S6_EEENSD_IJSA_SA_EEENS0_18inequality_wrapperIZN2at6native12_GLOBAL__N_124unique_dim_cuda_templateIsEESt5tupleIJNSH_6TensorESM_SM_EERKSM_lbbbEUlllE0_EEPmJS6_EEE10hipError_tPvRmT3_T4_T5_T6_T7_T9_mT8_P12ihipStream_tbDpT10_ENKUlT_T0_E_clISt17integral_constantIbLb1EES1B_IbLb0EEEEDaS17_S18_EUlS17_E_NS1_11comp_targetILNS1_3genE8ELNS1_11target_archE1030ELNS1_3gpuE2ELNS1_3repE0EEENS1_30default_config_static_selectorELNS0_4arch9wavefront6targetE0EEEvT1_
; %bb.0:
	.section	.rodata,"a",@progbits
	.p2align	6, 0x0
	.amdhsa_kernel _ZN7rocprim17ROCPRIM_400000_NS6detail17trampoline_kernelINS0_14default_configENS1_25partition_config_selectorILNS1_17partition_subalgoE8ElNS0_10empty_typeEbEEZZNS1_14partition_implILS5_8ELb0ES3_jPlPS6_PKS6_NS0_5tupleIJS9_S6_EEENSD_IJSA_SA_EEENS0_18inequality_wrapperIZN2at6native12_GLOBAL__N_124unique_dim_cuda_templateIsEESt5tupleIJNSH_6TensorESM_SM_EERKSM_lbbbEUlllE0_EEPmJS6_EEE10hipError_tPvRmT3_T4_T5_T6_T7_T9_mT8_P12ihipStream_tbDpT10_ENKUlT_T0_E_clISt17integral_constantIbLb1EES1B_IbLb0EEEEDaS17_S18_EUlS17_E_NS1_11comp_targetILNS1_3genE8ELNS1_11target_archE1030ELNS1_3gpuE2ELNS1_3repE0EEENS1_30default_config_static_selectorELNS0_4arch9wavefront6targetE0EEEvT1_
		.amdhsa_group_segment_fixed_size 0
		.amdhsa_private_segment_fixed_size 0
		.amdhsa_kernarg_size 120
		.amdhsa_user_sgpr_count 15
		.amdhsa_user_sgpr_dispatch_ptr 0
		.amdhsa_user_sgpr_queue_ptr 0
		.amdhsa_user_sgpr_kernarg_segment_ptr 1
		.amdhsa_user_sgpr_dispatch_id 0
		.amdhsa_user_sgpr_private_segment_size 0
		.amdhsa_wavefront_size32 1
		.amdhsa_uses_dynamic_stack 0
		.amdhsa_enable_private_segment 0
		.amdhsa_system_sgpr_workgroup_id_x 1
		.amdhsa_system_sgpr_workgroup_id_y 0
		.amdhsa_system_sgpr_workgroup_id_z 0
		.amdhsa_system_sgpr_workgroup_info 0
		.amdhsa_system_vgpr_workitem_id 0
		.amdhsa_next_free_vgpr 1
		.amdhsa_next_free_sgpr 1
		.amdhsa_reserve_vcc 0
		.amdhsa_float_round_mode_32 0
		.amdhsa_float_round_mode_16_64 0
		.amdhsa_float_denorm_mode_32 3
		.amdhsa_float_denorm_mode_16_64 3
		.amdhsa_dx10_clamp 1
		.amdhsa_ieee_mode 1
		.amdhsa_fp16_overflow 0
		.amdhsa_workgroup_processor_mode 1
		.amdhsa_memory_ordered 1
		.amdhsa_forward_progress 0
		.amdhsa_shared_vgpr_count 0
		.amdhsa_exception_fp_ieee_invalid_op 0
		.amdhsa_exception_fp_denorm_src 0
		.amdhsa_exception_fp_ieee_div_zero 0
		.amdhsa_exception_fp_ieee_overflow 0
		.amdhsa_exception_fp_ieee_underflow 0
		.amdhsa_exception_fp_ieee_inexact 0
		.amdhsa_exception_int_div_zero 0
	.end_amdhsa_kernel
	.section	.text._ZN7rocprim17ROCPRIM_400000_NS6detail17trampoline_kernelINS0_14default_configENS1_25partition_config_selectorILNS1_17partition_subalgoE8ElNS0_10empty_typeEbEEZZNS1_14partition_implILS5_8ELb0ES3_jPlPS6_PKS6_NS0_5tupleIJS9_S6_EEENSD_IJSA_SA_EEENS0_18inequality_wrapperIZN2at6native12_GLOBAL__N_124unique_dim_cuda_templateIsEESt5tupleIJNSH_6TensorESM_SM_EERKSM_lbbbEUlllE0_EEPmJS6_EEE10hipError_tPvRmT3_T4_T5_T6_T7_T9_mT8_P12ihipStream_tbDpT10_ENKUlT_T0_E_clISt17integral_constantIbLb1EES1B_IbLb0EEEEDaS17_S18_EUlS17_E_NS1_11comp_targetILNS1_3genE8ELNS1_11target_archE1030ELNS1_3gpuE2ELNS1_3repE0EEENS1_30default_config_static_selectorELNS0_4arch9wavefront6targetE0EEEvT1_,"axG",@progbits,_ZN7rocprim17ROCPRIM_400000_NS6detail17trampoline_kernelINS0_14default_configENS1_25partition_config_selectorILNS1_17partition_subalgoE8ElNS0_10empty_typeEbEEZZNS1_14partition_implILS5_8ELb0ES3_jPlPS6_PKS6_NS0_5tupleIJS9_S6_EEENSD_IJSA_SA_EEENS0_18inequality_wrapperIZN2at6native12_GLOBAL__N_124unique_dim_cuda_templateIsEESt5tupleIJNSH_6TensorESM_SM_EERKSM_lbbbEUlllE0_EEPmJS6_EEE10hipError_tPvRmT3_T4_T5_T6_T7_T9_mT8_P12ihipStream_tbDpT10_ENKUlT_T0_E_clISt17integral_constantIbLb1EES1B_IbLb0EEEEDaS17_S18_EUlS17_E_NS1_11comp_targetILNS1_3genE8ELNS1_11target_archE1030ELNS1_3gpuE2ELNS1_3repE0EEENS1_30default_config_static_selectorELNS0_4arch9wavefront6targetE0EEEvT1_,comdat
.Lfunc_end708:
	.size	_ZN7rocprim17ROCPRIM_400000_NS6detail17trampoline_kernelINS0_14default_configENS1_25partition_config_selectorILNS1_17partition_subalgoE8ElNS0_10empty_typeEbEEZZNS1_14partition_implILS5_8ELb0ES3_jPlPS6_PKS6_NS0_5tupleIJS9_S6_EEENSD_IJSA_SA_EEENS0_18inequality_wrapperIZN2at6native12_GLOBAL__N_124unique_dim_cuda_templateIsEESt5tupleIJNSH_6TensorESM_SM_EERKSM_lbbbEUlllE0_EEPmJS6_EEE10hipError_tPvRmT3_T4_T5_T6_T7_T9_mT8_P12ihipStream_tbDpT10_ENKUlT_T0_E_clISt17integral_constantIbLb1EES1B_IbLb0EEEEDaS17_S18_EUlS17_E_NS1_11comp_targetILNS1_3genE8ELNS1_11target_archE1030ELNS1_3gpuE2ELNS1_3repE0EEENS1_30default_config_static_selectorELNS0_4arch9wavefront6targetE0EEEvT1_, .Lfunc_end708-_ZN7rocprim17ROCPRIM_400000_NS6detail17trampoline_kernelINS0_14default_configENS1_25partition_config_selectorILNS1_17partition_subalgoE8ElNS0_10empty_typeEbEEZZNS1_14partition_implILS5_8ELb0ES3_jPlPS6_PKS6_NS0_5tupleIJS9_S6_EEENSD_IJSA_SA_EEENS0_18inequality_wrapperIZN2at6native12_GLOBAL__N_124unique_dim_cuda_templateIsEESt5tupleIJNSH_6TensorESM_SM_EERKSM_lbbbEUlllE0_EEPmJS6_EEE10hipError_tPvRmT3_T4_T5_T6_T7_T9_mT8_P12ihipStream_tbDpT10_ENKUlT_T0_E_clISt17integral_constantIbLb1EES1B_IbLb0EEEEDaS17_S18_EUlS17_E_NS1_11comp_targetILNS1_3genE8ELNS1_11target_archE1030ELNS1_3gpuE2ELNS1_3repE0EEENS1_30default_config_static_selectorELNS0_4arch9wavefront6targetE0EEEvT1_
                                        ; -- End function
	.section	.AMDGPU.csdata,"",@progbits
; Kernel info:
; codeLenInByte = 0
; NumSgprs: 0
; NumVgprs: 0
; ScratchSize: 0
; MemoryBound: 0
; FloatMode: 240
; IeeeMode: 1
; LDSByteSize: 0 bytes/workgroup (compile time only)
; SGPRBlocks: 0
; VGPRBlocks: 0
; NumSGPRsForWavesPerEU: 1
; NumVGPRsForWavesPerEU: 1
; Occupancy: 16
; WaveLimiterHint : 0
; COMPUTE_PGM_RSRC2:SCRATCH_EN: 0
; COMPUTE_PGM_RSRC2:USER_SGPR: 15
; COMPUTE_PGM_RSRC2:TRAP_HANDLER: 0
; COMPUTE_PGM_RSRC2:TGID_X_EN: 1
; COMPUTE_PGM_RSRC2:TGID_Y_EN: 0
; COMPUTE_PGM_RSRC2:TGID_Z_EN: 0
; COMPUTE_PGM_RSRC2:TIDIG_COMP_CNT: 0
	.section	.text._ZN7rocprim17ROCPRIM_400000_NS6detail17trampoline_kernelINS0_14default_configENS1_25partition_config_selectorILNS1_17partition_subalgoE8ElNS0_10empty_typeEbEEZZNS1_14partition_implILS5_8ELb0ES3_jPlPS6_PKS6_NS0_5tupleIJS9_S6_EEENSD_IJSA_SA_EEENS0_18inequality_wrapperIZN2at6native12_GLOBAL__N_124unique_dim_cuda_templateIsEESt5tupleIJNSH_6TensorESM_SM_EERKSM_lbbbEUlllE0_EEPmJS6_EEE10hipError_tPvRmT3_T4_T5_T6_T7_T9_mT8_P12ihipStream_tbDpT10_ENKUlT_T0_E_clISt17integral_constantIbLb0EES1B_IbLb1EEEEDaS17_S18_EUlS17_E_NS1_11comp_targetILNS1_3genE0ELNS1_11target_archE4294967295ELNS1_3gpuE0ELNS1_3repE0EEENS1_30default_config_static_selectorELNS0_4arch9wavefront6targetE0EEEvT1_,"axG",@progbits,_ZN7rocprim17ROCPRIM_400000_NS6detail17trampoline_kernelINS0_14default_configENS1_25partition_config_selectorILNS1_17partition_subalgoE8ElNS0_10empty_typeEbEEZZNS1_14partition_implILS5_8ELb0ES3_jPlPS6_PKS6_NS0_5tupleIJS9_S6_EEENSD_IJSA_SA_EEENS0_18inequality_wrapperIZN2at6native12_GLOBAL__N_124unique_dim_cuda_templateIsEESt5tupleIJNSH_6TensorESM_SM_EERKSM_lbbbEUlllE0_EEPmJS6_EEE10hipError_tPvRmT3_T4_T5_T6_T7_T9_mT8_P12ihipStream_tbDpT10_ENKUlT_T0_E_clISt17integral_constantIbLb0EES1B_IbLb1EEEEDaS17_S18_EUlS17_E_NS1_11comp_targetILNS1_3genE0ELNS1_11target_archE4294967295ELNS1_3gpuE0ELNS1_3repE0EEENS1_30default_config_static_selectorELNS0_4arch9wavefront6targetE0EEEvT1_,comdat
	.globl	_ZN7rocprim17ROCPRIM_400000_NS6detail17trampoline_kernelINS0_14default_configENS1_25partition_config_selectorILNS1_17partition_subalgoE8ElNS0_10empty_typeEbEEZZNS1_14partition_implILS5_8ELb0ES3_jPlPS6_PKS6_NS0_5tupleIJS9_S6_EEENSD_IJSA_SA_EEENS0_18inequality_wrapperIZN2at6native12_GLOBAL__N_124unique_dim_cuda_templateIsEESt5tupleIJNSH_6TensorESM_SM_EERKSM_lbbbEUlllE0_EEPmJS6_EEE10hipError_tPvRmT3_T4_T5_T6_T7_T9_mT8_P12ihipStream_tbDpT10_ENKUlT_T0_E_clISt17integral_constantIbLb0EES1B_IbLb1EEEEDaS17_S18_EUlS17_E_NS1_11comp_targetILNS1_3genE0ELNS1_11target_archE4294967295ELNS1_3gpuE0ELNS1_3repE0EEENS1_30default_config_static_selectorELNS0_4arch9wavefront6targetE0EEEvT1_ ; -- Begin function _ZN7rocprim17ROCPRIM_400000_NS6detail17trampoline_kernelINS0_14default_configENS1_25partition_config_selectorILNS1_17partition_subalgoE8ElNS0_10empty_typeEbEEZZNS1_14partition_implILS5_8ELb0ES3_jPlPS6_PKS6_NS0_5tupleIJS9_S6_EEENSD_IJSA_SA_EEENS0_18inequality_wrapperIZN2at6native12_GLOBAL__N_124unique_dim_cuda_templateIsEESt5tupleIJNSH_6TensorESM_SM_EERKSM_lbbbEUlllE0_EEPmJS6_EEE10hipError_tPvRmT3_T4_T5_T6_T7_T9_mT8_P12ihipStream_tbDpT10_ENKUlT_T0_E_clISt17integral_constantIbLb0EES1B_IbLb1EEEEDaS17_S18_EUlS17_E_NS1_11comp_targetILNS1_3genE0ELNS1_11target_archE4294967295ELNS1_3gpuE0ELNS1_3repE0EEENS1_30default_config_static_selectorELNS0_4arch9wavefront6targetE0EEEvT1_
	.p2align	8
	.type	_ZN7rocprim17ROCPRIM_400000_NS6detail17trampoline_kernelINS0_14default_configENS1_25partition_config_selectorILNS1_17partition_subalgoE8ElNS0_10empty_typeEbEEZZNS1_14partition_implILS5_8ELb0ES3_jPlPS6_PKS6_NS0_5tupleIJS9_S6_EEENSD_IJSA_SA_EEENS0_18inequality_wrapperIZN2at6native12_GLOBAL__N_124unique_dim_cuda_templateIsEESt5tupleIJNSH_6TensorESM_SM_EERKSM_lbbbEUlllE0_EEPmJS6_EEE10hipError_tPvRmT3_T4_T5_T6_T7_T9_mT8_P12ihipStream_tbDpT10_ENKUlT_T0_E_clISt17integral_constantIbLb0EES1B_IbLb1EEEEDaS17_S18_EUlS17_E_NS1_11comp_targetILNS1_3genE0ELNS1_11target_archE4294967295ELNS1_3gpuE0ELNS1_3repE0EEENS1_30default_config_static_selectorELNS0_4arch9wavefront6targetE0EEEvT1_,@function
_ZN7rocprim17ROCPRIM_400000_NS6detail17trampoline_kernelINS0_14default_configENS1_25partition_config_selectorILNS1_17partition_subalgoE8ElNS0_10empty_typeEbEEZZNS1_14partition_implILS5_8ELb0ES3_jPlPS6_PKS6_NS0_5tupleIJS9_S6_EEENSD_IJSA_SA_EEENS0_18inequality_wrapperIZN2at6native12_GLOBAL__N_124unique_dim_cuda_templateIsEESt5tupleIJNSH_6TensorESM_SM_EERKSM_lbbbEUlllE0_EEPmJS6_EEE10hipError_tPvRmT3_T4_T5_T6_T7_T9_mT8_P12ihipStream_tbDpT10_ENKUlT_T0_E_clISt17integral_constantIbLb0EES1B_IbLb1EEEEDaS17_S18_EUlS17_E_NS1_11comp_targetILNS1_3genE0ELNS1_11target_archE4294967295ELNS1_3gpuE0ELNS1_3repE0EEENS1_30default_config_static_selectorELNS0_4arch9wavefront6targetE0EEEvT1_: ; @_ZN7rocprim17ROCPRIM_400000_NS6detail17trampoline_kernelINS0_14default_configENS1_25partition_config_selectorILNS1_17partition_subalgoE8ElNS0_10empty_typeEbEEZZNS1_14partition_implILS5_8ELb0ES3_jPlPS6_PKS6_NS0_5tupleIJS9_S6_EEENSD_IJSA_SA_EEENS0_18inequality_wrapperIZN2at6native12_GLOBAL__N_124unique_dim_cuda_templateIsEESt5tupleIJNSH_6TensorESM_SM_EERKSM_lbbbEUlllE0_EEPmJS6_EEE10hipError_tPvRmT3_T4_T5_T6_T7_T9_mT8_P12ihipStream_tbDpT10_ENKUlT_T0_E_clISt17integral_constantIbLb0EES1B_IbLb1EEEEDaS17_S18_EUlS17_E_NS1_11comp_targetILNS1_3genE0ELNS1_11target_archE4294967295ELNS1_3gpuE0ELNS1_3repE0EEENS1_30default_config_static_selectorELNS0_4arch9wavefront6targetE0EEEvT1_
; %bb.0:
	.section	.rodata,"a",@progbits
	.p2align	6, 0x0
	.amdhsa_kernel _ZN7rocprim17ROCPRIM_400000_NS6detail17trampoline_kernelINS0_14default_configENS1_25partition_config_selectorILNS1_17partition_subalgoE8ElNS0_10empty_typeEbEEZZNS1_14partition_implILS5_8ELb0ES3_jPlPS6_PKS6_NS0_5tupleIJS9_S6_EEENSD_IJSA_SA_EEENS0_18inequality_wrapperIZN2at6native12_GLOBAL__N_124unique_dim_cuda_templateIsEESt5tupleIJNSH_6TensorESM_SM_EERKSM_lbbbEUlllE0_EEPmJS6_EEE10hipError_tPvRmT3_T4_T5_T6_T7_T9_mT8_P12ihipStream_tbDpT10_ENKUlT_T0_E_clISt17integral_constantIbLb0EES1B_IbLb1EEEEDaS17_S18_EUlS17_E_NS1_11comp_targetILNS1_3genE0ELNS1_11target_archE4294967295ELNS1_3gpuE0ELNS1_3repE0EEENS1_30default_config_static_selectorELNS0_4arch9wavefront6targetE0EEEvT1_
		.amdhsa_group_segment_fixed_size 0
		.amdhsa_private_segment_fixed_size 0
		.amdhsa_kernarg_size 136
		.amdhsa_user_sgpr_count 15
		.amdhsa_user_sgpr_dispatch_ptr 0
		.amdhsa_user_sgpr_queue_ptr 0
		.amdhsa_user_sgpr_kernarg_segment_ptr 1
		.amdhsa_user_sgpr_dispatch_id 0
		.amdhsa_user_sgpr_private_segment_size 0
		.amdhsa_wavefront_size32 1
		.amdhsa_uses_dynamic_stack 0
		.amdhsa_enable_private_segment 0
		.amdhsa_system_sgpr_workgroup_id_x 1
		.amdhsa_system_sgpr_workgroup_id_y 0
		.amdhsa_system_sgpr_workgroup_id_z 0
		.amdhsa_system_sgpr_workgroup_info 0
		.amdhsa_system_vgpr_workitem_id 0
		.amdhsa_next_free_vgpr 1
		.amdhsa_next_free_sgpr 1
		.amdhsa_reserve_vcc 0
		.amdhsa_float_round_mode_32 0
		.amdhsa_float_round_mode_16_64 0
		.amdhsa_float_denorm_mode_32 3
		.amdhsa_float_denorm_mode_16_64 3
		.amdhsa_dx10_clamp 1
		.amdhsa_ieee_mode 1
		.amdhsa_fp16_overflow 0
		.amdhsa_workgroup_processor_mode 1
		.amdhsa_memory_ordered 1
		.amdhsa_forward_progress 0
		.amdhsa_shared_vgpr_count 0
		.amdhsa_exception_fp_ieee_invalid_op 0
		.amdhsa_exception_fp_denorm_src 0
		.amdhsa_exception_fp_ieee_div_zero 0
		.amdhsa_exception_fp_ieee_overflow 0
		.amdhsa_exception_fp_ieee_underflow 0
		.amdhsa_exception_fp_ieee_inexact 0
		.amdhsa_exception_int_div_zero 0
	.end_amdhsa_kernel
	.section	.text._ZN7rocprim17ROCPRIM_400000_NS6detail17trampoline_kernelINS0_14default_configENS1_25partition_config_selectorILNS1_17partition_subalgoE8ElNS0_10empty_typeEbEEZZNS1_14partition_implILS5_8ELb0ES3_jPlPS6_PKS6_NS0_5tupleIJS9_S6_EEENSD_IJSA_SA_EEENS0_18inequality_wrapperIZN2at6native12_GLOBAL__N_124unique_dim_cuda_templateIsEESt5tupleIJNSH_6TensorESM_SM_EERKSM_lbbbEUlllE0_EEPmJS6_EEE10hipError_tPvRmT3_T4_T5_T6_T7_T9_mT8_P12ihipStream_tbDpT10_ENKUlT_T0_E_clISt17integral_constantIbLb0EES1B_IbLb1EEEEDaS17_S18_EUlS17_E_NS1_11comp_targetILNS1_3genE0ELNS1_11target_archE4294967295ELNS1_3gpuE0ELNS1_3repE0EEENS1_30default_config_static_selectorELNS0_4arch9wavefront6targetE0EEEvT1_,"axG",@progbits,_ZN7rocprim17ROCPRIM_400000_NS6detail17trampoline_kernelINS0_14default_configENS1_25partition_config_selectorILNS1_17partition_subalgoE8ElNS0_10empty_typeEbEEZZNS1_14partition_implILS5_8ELb0ES3_jPlPS6_PKS6_NS0_5tupleIJS9_S6_EEENSD_IJSA_SA_EEENS0_18inequality_wrapperIZN2at6native12_GLOBAL__N_124unique_dim_cuda_templateIsEESt5tupleIJNSH_6TensorESM_SM_EERKSM_lbbbEUlllE0_EEPmJS6_EEE10hipError_tPvRmT3_T4_T5_T6_T7_T9_mT8_P12ihipStream_tbDpT10_ENKUlT_T0_E_clISt17integral_constantIbLb0EES1B_IbLb1EEEEDaS17_S18_EUlS17_E_NS1_11comp_targetILNS1_3genE0ELNS1_11target_archE4294967295ELNS1_3gpuE0ELNS1_3repE0EEENS1_30default_config_static_selectorELNS0_4arch9wavefront6targetE0EEEvT1_,comdat
.Lfunc_end709:
	.size	_ZN7rocprim17ROCPRIM_400000_NS6detail17trampoline_kernelINS0_14default_configENS1_25partition_config_selectorILNS1_17partition_subalgoE8ElNS0_10empty_typeEbEEZZNS1_14partition_implILS5_8ELb0ES3_jPlPS6_PKS6_NS0_5tupleIJS9_S6_EEENSD_IJSA_SA_EEENS0_18inequality_wrapperIZN2at6native12_GLOBAL__N_124unique_dim_cuda_templateIsEESt5tupleIJNSH_6TensorESM_SM_EERKSM_lbbbEUlllE0_EEPmJS6_EEE10hipError_tPvRmT3_T4_T5_T6_T7_T9_mT8_P12ihipStream_tbDpT10_ENKUlT_T0_E_clISt17integral_constantIbLb0EES1B_IbLb1EEEEDaS17_S18_EUlS17_E_NS1_11comp_targetILNS1_3genE0ELNS1_11target_archE4294967295ELNS1_3gpuE0ELNS1_3repE0EEENS1_30default_config_static_selectorELNS0_4arch9wavefront6targetE0EEEvT1_, .Lfunc_end709-_ZN7rocprim17ROCPRIM_400000_NS6detail17trampoline_kernelINS0_14default_configENS1_25partition_config_selectorILNS1_17partition_subalgoE8ElNS0_10empty_typeEbEEZZNS1_14partition_implILS5_8ELb0ES3_jPlPS6_PKS6_NS0_5tupleIJS9_S6_EEENSD_IJSA_SA_EEENS0_18inequality_wrapperIZN2at6native12_GLOBAL__N_124unique_dim_cuda_templateIsEESt5tupleIJNSH_6TensorESM_SM_EERKSM_lbbbEUlllE0_EEPmJS6_EEE10hipError_tPvRmT3_T4_T5_T6_T7_T9_mT8_P12ihipStream_tbDpT10_ENKUlT_T0_E_clISt17integral_constantIbLb0EES1B_IbLb1EEEEDaS17_S18_EUlS17_E_NS1_11comp_targetILNS1_3genE0ELNS1_11target_archE4294967295ELNS1_3gpuE0ELNS1_3repE0EEENS1_30default_config_static_selectorELNS0_4arch9wavefront6targetE0EEEvT1_
                                        ; -- End function
	.section	.AMDGPU.csdata,"",@progbits
; Kernel info:
; codeLenInByte = 0
; NumSgprs: 0
; NumVgprs: 0
; ScratchSize: 0
; MemoryBound: 0
; FloatMode: 240
; IeeeMode: 1
; LDSByteSize: 0 bytes/workgroup (compile time only)
; SGPRBlocks: 0
; VGPRBlocks: 0
; NumSGPRsForWavesPerEU: 1
; NumVGPRsForWavesPerEU: 1
; Occupancy: 16
; WaveLimiterHint : 0
; COMPUTE_PGM_RSRC2:SCRATCH_EN: 0
; COMPUTE_PGM_RSRC2:USER_SGPR: 15
; COMPUTE_PGM_RSRC2:TRAP_HANDLER: 0
; COMPUTE_PGM_RSRC2:TGID_X_EN: 1
; COMPUTE_PGM_RSRC2:TGID_Y_EN: 0
; COMPUTE_PGM_RSRC2:TGID_Z_EN: 0
; COMPUTE_PGM_RSRC2:TIDIG_COMP_CNT: 0
	.section	.text._ZN7rocprim17ROCPRIM_400000_NS6detail17trampoline_kernelINS0_14default_configENS1_25partition_config_selectorILNS1_17partition_subalgoE8ElNS0_10empty_typeEbEEZZNS1_14partition_implILS5_8ELb0ES3_jPlPS6_PKS6_NS0_5tupleIJS9_S6_EEENSD_IJSA_SA_EEENS0_18inequality_wrapperIZN2at6native12_GLOBAL__N_124unique_dim_cuda_templateIsEESt5tupleIJNSH_6TensorESM_SM_EERKSM_lbbbEUlllE0_EEPmJS6_EEE10hipError_tPvRmT3_T4_T5_T6_T7_T9_mT8_P12ihipStream_tbDpT10_ENKUlT_T0_E_clISt17integral_constantIbLb0EES1B_IbLb1EEEEDaS17_S18_EUlS17_E_NS1_11comp_targetILNS1_3genE5ELNS1_11target_archE942ELNS1_3gpuE9ELNS1_3repE0EEENS1_30default_config_static_selectorELNS0_4arch9wavefront6targetE0EEEvT1_,"axG",@progbits,_ZN7rocprim17ROCPRIM_400000_NS6detail17trampoline_kernelINS0_14default_configENS1_25partition_config_selectorILNS1_17partition_subalgoE8ElNS0_10empty_typeEbEEZZNS1_14partition_implILS5_8ELb0ES3_jPlPS6_PKS6_NS0_5tupleIJS9_S6_EEENSD_IJSA_SA_EEENS0_18inequality_wrapperIZN2at6native12_GLOBAL__N_124unique_dim_cuda_templateIsEESt5tupleIJNSH_6TensorESM_SM_EERKSM_lbbbEUlllE0_EEPmJS6_EEE10hipError_tPvRmT3_T4_T5_T6_T7_T9_mT8_P12ihipStream_tbDpT10_ENKUlT_T0_E_clISt17integral_constantIbLb0EES1B_IbLb1EEEEDaS17_S18_EUlS17_E_NS1_11comp_targetILNS1_3genE5ELNS1_11target_archE942ELNS1_3gpuE9ELNS1_3repE0EEENS1_30default_config_static_selectorELNS0_4arch9wavefront6targetE0EEEvT1_,comdat
	.globl	_ZN7rocprim17ROCPRIM_400000_NS6detail17trampoline_kernelINS0_14default_configENS1_25partition_config_selectorILNS1_17partition_subalgoE8ElNS0_10empty_typeEbEEZZNS1_14partition_implILS5_8ELb0ES3_jPlPS6_PKS6_NS0_5tupleIJS9_S6_EEENSD_IJSA_SA_EEENS0_18inequality_wrapperIZN2at6native12_GLOBAL__N_124unique_dim_cuda_templateIsEESt5tupleIJNSH_6TensorESM_SM_EERKSM_lbbbEUlllE0_EEPmJS6_EEE10hipError_tPvRmT3_T4_T5_T6_T7_T9_mT8_P12ihipStream_tbDpT10_ENKUlT_T0_E_clISt17integral_constantIbLb0EES1B_IbLb1EEEEDaS17_S18_EUlS17_E_NS1_11comp_targetILNS1_3genE5ELNS1_11target_archE942ELNS1_3gpuE9ELNS1_3repE0EEENS1_30default_config_static_selectorELNS0_4arch9wavefront6targetE0EEEvT1_ ; -- Begin function _ZN7rocprim17ROCPRIM_400000_NS6detail17trampoline_kernelINS0_14default_configENS1_25partition_config_selectorILNS1_17partition_subalgoE8ElNS0_10empty_typeEbEEZZNS1_14partition_implILS5_8ELb0ES3_jPlPS6_PKS6_NS0_5tupleIJS9_S6_EEENSD_IJSA_SA_EEENS0_18inequality_wrapperIZN2at6native12_GLOBAL__N_124unique_dim_cuda_templateIsEESt5tupleIJNSH_6TensorESM_SM_EERKSM_lbbbEUlllE0_EEPmJS6_EEE10hipError_tPvRmT3_T4_T5_T6_T7_T9_mT8_P12ihipStream_tbDpT10_ENKUlT_T0_E_clISt17integral_constantIbLb0EES1B_IbLb1EEEEDaS17_S18_EUlS17_E_NS1_11comp_targetILNS1_3genE5ELNS1_11target_archE942ELNS1_3gpuE9ELNS1_3repE0EEENS1_30default_config_static_selectorELNS0_4arch9wavefront6targetE0EEEvT1_
	.p2align	8
	.type	_ZN7rocprim17ROCPRIM_400000_NS6detail17trampoline_kernelINS0_14default_configENS1_25partition_config_selectorILNS1_17partition_subalgoE8ElNS0_10empty_typeEbEEZZNS1_14partition_implILS5_8ELb0ES3_jPlPS6_PKS6_NS0_5tupleIJS9_S6_EEENSD_IJSA_SA_EEENS0_18inequality_wrapperIZN2at6native12_GLOBAL__N_124unique_dim_cuda_templateIsEESt5tupleIJNSH_6TensorESM_SM_EERKSM_lbbbEUlllE0_EEPmJS6_EEE10hipError_tPvRmT3_T4_T5_T6_T7_T9_mT8_P12ihipStream_tbDpT10_ENKUlT_T0_E_clISt17integral_constantIbLb0EES1B_IbLb1EEEEDaS17_S18_EUlS17_E_NS1_11comp_targetILNS1_3genE5ELNS1_11target_archE942ELNS1_3gpuE9ELNS1_3repE0EEENS1_30default_config_static_selectorELNS0_4arch9wavefront6targetE0EEEvT1_,@function
_ZN7rocprim17ROCPRIM_400000_NS6detail17trampoline_kernelINS0_14default_configENS1_25partition_config_selectorILNS1_17partition_subalgoE8ElNS0_10empty_typeEbEEZZNS1_14partition_implILS5_8ELb0ES3_jPlPS6_PKS6_NS0_5tupleIJS9_S6_EEENSD_IJSA_SA_EEENS0_18inequality_wrapperIZN2at6native12_GLOBAL__N_124unique_dim_cuda_templateIsEESt5tupleIJNSH_6TensorESM_SM_EERKSM_lbbbEUlllE0_EEPmJS6_EEE10hipError_tPvRmT3_T4_T5_T6_T7_T9_mT8_P12ihipStream_tbDpT10_ENKUlT_T0_E_clISt17integral_constantIbLb0EES1B_IbLb1EEEEDaS17_S18_EUlS17_E_NS1_11comp_targetILNS1_3genE5ELNS1_11target_archE942ELNS1_3gpuE9ELNS1_3repE0EEENS1_30default_config_static_selectorELNS0_4arch9wavefront6targetE0EEEvT1_: ; @_ZN7rocprim17ROCPRIM_400000_NS6detail17trampoline_kernelINS0_14default_configENS1_25partition_config_selectorILNS1_17partition_subalgoE8ElNS0_10empty_typeEbEEZZNS1_14partition_implILS5_8ELb0ES3_jPlPS6_PKS6_NS0_5tupleIJS9_S6_EEENSD_IJSA_SA_EEENS0_18inequality_wrapperIZN2at6native12_GLOBAL__N_124unique_dim_cuda_templateIsEESt5tupleIJNSH_6TensorESM_SM_EERKSM_lbbbEUlllE0_EEPmJS6_EEE10hipError_tPvRmT3_T4_T5_T6_T7_T9_mT8_P12ihipStream_tbDpT10_ENKUlT_T0_E_clISt17integral_constantIbLb0EES1B_IbLb1EEEEDaS17_S18_EUlS17_E_NS1_11comp_targetILNS1_3genE5ELNS1_11target_archE942ELNS1_3gpuE9ELNS1_3repE0EEENS1_30default_config_static_selectorELNS0_4arch9wavefront6targetE0EEEvT1_
; %bb.0:
	.section	.rodata,"a",@progbits
	.p2align	6, 0x0
	.amdhsa_kernel _ZN7rocprim17ROCPRIM_400000_NS6detail17trampoline_kernelINS0_14default_configENS1_25partition_config_selectorILNS1_17partition_subalgoE8ElNS0_10empty_typeEbEEZZNS1_14partition_implILS5_8ELb0ES3_jPlPS6_PKS6_NS0_5tupleIJS9_S6_EEENSD_IJSA_SA_EEENS0_18inequality_wrapperIZN2at6native12_GLOBAL__N_124unique_dim_cuda_templateIsEESt5tupleIJNSH_6TensorESM_SM_EERKSM_lbbbEUlllE0_EEPmJS6_EEE10hipError_tPvRmT3_T4_T5_T6_T7_T9_mT8_P12ihipStream_tbDpT10_ENKUlT_T0_E_clISt17integral_constantIbLb0EES1B_IbLb1EEEEDaS17_S18_EUlS17_E_NS1_11comp_targetILNS1_3genE5ELNS1_11target_archE942ELNS1_3gpuE9ELNS1_3repE0EEENS1_30default_config_static_selectorELNS0_4arch9wavefront6targetE0EEEvT1_
		.amdhsa_group_segment_fixed_size 0
		.amdhsa_private_segment_fixed_size 0
		.amdhsa_kernarg_size 136
		.amdhsa_user_sgpr_count 15
		.amdhsa_user_sgpr_dispatch_ptr 0
		.amdhsa_user_sgpr_queue_ptr 0
		.amdhsa_user_sgpr_kernarg_segment_ptr 1
		.amdhsa_user_sgpr_dispatch_id 0
		.amdhsa_user_sgpr_private_segment_size 0
		.amdhsa_wavefront_size32 1
		.amdhsa_uses_dynamic_stack 0
		.amdhsa_enable_private_segment 0
		.amdhsa_system_sgpr_workgroup_id_x 1
		.amdhsa_system_sgpr_workgroup_id_y 0
		.amdhsa_system_sgpr_workgroup_id_z 0
		.amdhsa_system_sgpr_workgroup_info 0
		.amdhsa_system_vgpr_workitem_id 0
		.amdhsa_next_free_vgpr 1
		.amdhsa_next_free_sgpr 1
		.amdhsa_reserve_vcc 0
		.amdhsa_float_round_mode_32 0
		.amdhsa_float_round_mode_16_64 0
		.amdhsa_float_denorm_mode_32 3
		.amdhsa_float_denorm_mode_16_64 3
		.amdhsa_dx10_clamp 1
		.amdhsa_ieee_mode 1
		.amdhsa_fp16_overflow 0
		.amdhsa_workgroup_processor_mode 1
		.amdhsa_memory_ordered 1
		.amdhsa_forward_progress 0
		.amdhsa_shared_vgpr_count 0
		.amdhsa_exception_fp_ieee_invalid_op 0
		.amdhsa_exception_fp_denorm_src 0
		.amdhsa_exception_fp_ieee_div_zero 0
		.amdhsa_exception_fp_ieee_overflow 0
		.amdhsa_exception_fp_ieee_underflow 0
		.amdhsa_exception_fp_ieee_inexact 0
		.amdhsa_exception_int_div_zero 0
	.end_amdhsa_kernel
	.section	.text._ZN7rocprim17ROCPRIM_400000_NS6detail17trampoline_kernelINS0_14default_configENS1_25partition_config_selectorILNS1_17partition_subalgoE8ElNS0_10empty_typeEbEEZZNS1_14partition_implILS5_8ELb0ES3_jPlPS6_PKS6_NS0_5tupleIJS9_S6_EEENSD_IJSA_SA_EEENS0_18inequality_wrapperIZN2at6native12_GLOBAL__N_124unique_dim_cuda_templateIsEESt5tupleIJNSH_6TensorESM_SM_EERKSM_lbbbEUlllE0_EEPmJS6_EEE10hipError_tPvRmT3_T4_T5_T6_T7_T9_mT8_P12ihipStream_tbDpT10_ENKUlT_T0_E_clISt17integral_constantIbLb0EES1B_IbLb1EEEEDaS17_S18_EUlS17_E_NS1_11comp_targetILNS1_3genE5ELNS1_11target_archE942ELNS1_3gpuE9ELNS1_3repE0EEENS1_30default_config_static_selectorELNS0_4arch9wavefront6targetE0EEEvT1_,"axG",@progbits,_ZN7rocprim17ROCPRIM_400000_NS6detail17trampoline_kernelINS0_14default_configENS1_25partition_config_selectorILNS1_17partition_subalgoE8ElNS0_10empty_typeEbEEZZNS1_14partition_implILS5_8ELb0ES3_jPlPS6_PKS6_NS0_5tupleIJS9_S6_EEENSD_IJSA_SA_EEENS0_18inequality_wrapperIZN2at6native12_GLOBAL__N_124unique_dim_cuda_templateIsEESt5tupleIJNSH_6TensorESM_SM_EERKSM_lbbbEUlllE0_EEPmJS6_EEE10hipError_tPvRmT3_T4_T5_T6_T7_T9_mT8_P12ihipStream_tbDpT10_ENKUlT_T0_E_clISt17integral_constantIbLb0EES1B_IbLb1EEEEDaS17_S18_EUlS17_E_NS1_11comp_targetILNS1_3genE5ELNS1_11target_archE942ELNS1_3gpuE9ELNS1_3repE0EEENS1_30default_config_static_selectorELNS0_4arch9wavefront6targetE0EEEvT1_,comdat
.Lfunc_end710:
	.size	_ZN7rocprim17ROCPRIM_400000_NS6detail17trampoline_kernelINS0_14default_configENS1_25partition_config_selectorILNS1_17partition_subalgoE8ElNS0_10empty_typeEbEEZZNS1_14partition_implILS5_8ELb0ES3_jPlPS6_PKS6_NS0_5tupleIJS9_S6_EEENSD_IJSA_SA_EEENS0_18inequality_wrapperIZN2at6native12_GLOBAL__N_124unique_dim_cuda_templateIsEESt5tupleIJNSH_6TensorESM_SM_EERKSM_lbbbEUlllE0_EEPmJS6_EEE10hipError_tPvRmT3_T4_T5_T6_T7_T9_mT8_P12ihipStream_tbDpT10_ENKUlT_T0_E_clISt17integral_constantIbLb0EES1B_IbLb1EEEEDaS17_S18_EUlS17_E_NS1_11comp_targetILNS1_3genE5ELNS1_11target_archE942ELNS1_3gpuE9ELNS1_3repE0EEENS1_30default_config_static_selectorELNS0_4arch9wavefront6targetE0EEEvT1_, .Lfunc_end710-_ZN7rocprim17ROCPRIM_400000_NS6detail17trampoline_kernelINS0_14default_configENS1_25partition_config_selectorILNS1_17partition_subalgoE8ElNS0_10empty_typeEbEEZZNS1_14partition_implILS5_8ELb0ES3_jPlPS6_PKS6_NS0_5tupleIJS9_S6_EEENSD_IJSA_SA_EEENS0_18inequality_wrapperIZN2at6native12_GLOBAL__N_124unique_dim_cuda_templateIsEESt5tupleIJNSH_6TensorESM_SM_EERKSM_lbbbEUlllE0_EEPmJS6_EEE10hipError_tPvRmT3_T4_T5_T6_T7_T9_mT8_P12ihipStream_tbDpT10_ENKUlT_T0_E_clISt17integral_constantIbLb0EES1B_IbLb1EEEEDaS17_S18_EUlS17_E_NS1_11comp_targetILNS1_3genE5ELNS1_11target_archE942ELNS1_3gpuE9ELNS1_3repE0EEENS1_30default_config_static_selectorELNS0_4arch9wavefront6targetE0EEEvT1_
                                        ; -- End function
	.section	.AMDGPU.csdata,"",@progbits
; Kernel info:
; codeLenInByte = 0
; NumSgprs: 0
; NumVgprs: 0
; ScratchSize: 0
; MemoryBound: 0
; FloatMode: 240
; IeeeMode: 1
; LDSByteSize: 0 bytes/workgroup (compile time only)
; SGPRBlocks: 0
; VGPRBlocks: 0
; NumSGPRsForWavesPerEU: 1
; NumVGPRsForWavesPerEU: 1
; Occupancy: 16
; WaveLimiterHint : 0
; COMPUTE_PGM_RSRC2:SCRATCH_EN: 0
; COMPUTE_PGM_RSRC2:USER_SGPR: 15
; COMPUTE_PGM_RSRC2:TRAP_HANDLER: 0
; COMPUTE_PGM_RSRC2:TGID_X_EN: 1
; COMPUTE_PGM_RSRC2:TGID_Y_EN: 0
; COMPUTE_PGM_RSRC2:TGID_Z_EN: 0
; COMPUTE_PGM_RSRC2:TIDIG_COMP_CNT: 0
	.section	.text._ZN7rocprim17ROCPRIM_400000_NS6detail17trampoline_kernelINS0_14default_configENS1_25partition_config_selectorILNS1_17partition_subalgoE8ElNS0_10empty_typeEbEEZZNS1_14partition_implILS5_8ELb0ES3_jPlPS6_PKS6_NS0_5tupleIJS9_S6_EEENSD_IJSA_SA_EEENS0_18inequality_wrapperIZN2at6native12_GLOBAL__N_124unique_dim_cuda_templateIsEESt5tupleIJNSH_6TensorESM_SM_EERKSM_lbbbEUlllE0_EEPmJS6_EEE10hipError_tPvRmT3_T4_T5_T6_T7_T9_mT8_P12ihipStream_tbDpT10_ENKUlT_T0_E_clISt17integral_constantIbLb0EES1B_IbLb1EEEEDaS17_S18_EUlS17_E_NS1_11comp_targetILNS1_3genE4ELNS1_11target_archE910ELNS1_3gpuE8ELNS1_3repE0EEENS1_30default_config_static_selectorELNS0_4arch9wavefront6targetE0EEEvT1_,"axG",@progbits,_ZN7rocprim17ROCPRIM_400000_NS6detail17trampoline_kernelINS0_14default_configENS1_25partition_config_selectorILNS1_17partition_subalgoE8ElNS0_10empty_typeEbEEZZNS1_14partition_implILS5_8ELb0ES3_jPlPS6_PKS6_NS0_5tupleIJS9_S6_EEENSD_IJSA_SA_EEENS0_18inequality_wrapperIZN2at6native12_GLOBAL__N_124unique_dim_cuda_templateIsEESt5tupleIJNSH_6TensorESM_SM_EERKSM_lbbbEUlllE0_EEPmJS6_EEE10hipError_tPvRmT3_T4_T5_T6_T7_T9_mT8_P12ihipStream_tbDpT10_ENKUlT_T0_E_clISt17integral_constantIbLb0EES1B_IbLb1EEEEDaS17_S18_EUlS17_E_NS1_11comp_targetILNS1_3genE4ELNS1_11target_archE910ELNS1_3gpuE8ELNS1_3repE0EEENS1_30default_config_static_selectorELNS0_4arch9wavefront6targetE0EEEvT1_,comdat
	.globl	_ZN7rocprim17ROCPRIM_400000_NS6detail17trampoline_kernelINS0_14default_configENS1_25partition_config_selectorILNS1_17partition_subalgoE8ElNS0_10empty_typeEbEEZZNS1_14partition_implILS5_8ELb0ES3_jPlPS6_PKS6_NS0_5tupleIJS9_S6_EEENSD_IJSA_SA_EEENS0_18inequality_wrapperIZN2at6native12_GLOBAL__N_124unique_dim_cuda_templateIsEESt5tupleIJNSH_6TensorESM_SM_EERKSM_lbbbEUlllE0_EEPmJS6_EEE10hipError_tPvRmT3_T4_T5_T6_T7_T9_mT8_P12ihipStream_tbDpT10_ENKUlT_T0_E_clISt17integral_constantIbLb0EES1B_IbLb1EEEEDaS17_S18_EUlS17_E_NS1_11comp_targetILNS1_3genE4ELNS1_11target_archE910ELNS1_3gpuE8ELNS1_3repE0EEENS1_30default_config_static_selectorELNS0_4arch9wavefront6targetE0EEEvT1_ ; -- Begin function _ZN7rocprim17ROCPRIM_400000_NS6detail17trampoline_kernelINS0_14default_configENS1_25partition_config_selectorILNS1_17partition_subalgoE8ElNS0_10empty_typeEbEEZZNS1_14partition_implILS5_8ELb0ES3_jPlPS6_PKS6_NS0_5tupleIJS9_S6_EEENSD_IJSA_SA_EEENS0_18inequality_wrapperIZN2at6native12_GLOBAL__N_124unique_dim_cuda_templateIsEESt5tupleIJNSH_6TensorESM_SM_EERKSM_lbbbEUlllE0_EEPmJS6_EEE10hipError_tPvRmT3_T4_T5_T6_T7_T9_mT8_P12ihipStream_tbDpT10_ENKUlT_T0_E_clISt17integral_constantIbLb0EES1B_IbLb1EEEEDaS17_S18_EUlS17_E_NS1_11comp_targetILNS1_3genE4ELNS1_11target_archE910ELNS1_3gpuE8ELNS1_3repE0EEENS1_30default_config_static_selectorELNS0_4arch9wavefront6targetE0EEEvT1_
	.p2align	8
	.type	_ZN7rocprim17ROCPRIM_400000_NS6detail17trampoline_kernelINS0_14default_configENS1_25partition_config_selectorILNS1_17partition_subalgoE8ElNS0_10empty_typeEbEEZZNS1_14partition_implILS5_8ELb0ES3_jPlPS6_PKS6_NS0_5tupleIJS9_S6_EEENSD_IJSA_SA_EEENS0_18inequality_wrapperIZN2at6native12_GLOBAL__N_124unique_dim_cuda_templateIsEESt5tupleIJNSH_6TensorESM_SM_EERKSM_lbbbEUlllE0_EEPmJS6_EEE10hipError_tPvRmT3_T4_T5_T6_T7_T9_mT8_P12ihipStream_tbDpT10_ENKUlT_T0_E_clISt17integral_constantIbLb0EES1B_IbLb1EEEEDaS17_S18_EUlS17_E_NS1_11comp_targetILNS1_3genE4ELNS1_11target_archE910ELNS1_3gpuE8ELNS1_3repE0EEENS1_30default_config_static_selectorELNS0_4arch9wavefront6targetE0EEEvT1_,@function
_ZN7rocprim17ROCPRIM_400000_NS6detail17trampoline_kernelINS0_14default_configENS1_25partition_config_selectorILNS1_17partition_subalgoE8ElNS0_10empty_typeEbEEZZNS1_14partition_implILS5_8ELb0ES3_jPlPS6_PKS6_NS0_5tupleIJS9_S6_EEENSD_IJSA_SA_EEENS0_18inequality_wrapperIZN2at6native12_GLOBAL__N_124unique_dim_cuda_templateIsEESt5tupleIJNSH_6TensorESM_SM_EERKSM_lbbbEUlllE0_EEPmJS6_EEE10hipError_tPvRmT3_T4_T5_T6_T7_T9_mT8_P12ihipStream_tbDpT10_ENKUlT_T0_E_clISt17integral_constantIbLb0EES1B_IbLb1EEEEDaS17_S18_EUlS17_E_NS1_11comp_targetILNS1_3genE4ELNS1_11target_archE910ELNS1_3gpuE8ELNS1_3repE0EEENS1_30default_config_static_selectorELNS0_4arch9wavefront6targetE0EEEvT1_: ; @_ZN7rocprim17ROCPRIM_400000_NS6detail17trampoline_kernelINS0_14default_configENS1_25partition_config_selectorILNS1_17partition_subalgoE8ElNS0_10empty_typeEbEEZZNS1_14partition_implILS5_8ELb0ES3_jPlPS6_PKS6_NS0_5tupleIJS9_S6_EEENSD_IJSA_SA_EEENS0_18inequality_wrapperIZN2at6native12_GLOBAL__N_124unique_dim_cuda_templateIsEESt5tupleIJNSH_6TensorESM_SM_EERKSM_lbbbEUlllE0_EEPmJS6_EEE10hipError_tPvRmT3_T4_T5_T6_T7_T9_mT8_P12ihipStream_tbDpT10_ENKUlT_T0_E_clISt17integral_constantIbLb0EES1B_IbLb1EEEEDaS17_S18_EUlS17_E_NS1_11comp_targetILNS1_3genE4ELNS1_11target_archE910ELNS1_3gpuE8ELNS1_3repE0EEENS1_30default_config_static_selectorELNS0_4arch9wavefront6targetE0EEEvT1_
; %bb.0:
	.section	.rodata,"a",@progbits
	.p2align	6, 0x0
	.amdhsa_kernel _ZN7rocprim17ROCPRIM_400000_NS6detail17trampoline_kernelINS0_14default_configENS1_25partition_config_selectorILNS1_17partition_subalgoE8ElNS0_10empty_typeEbEEZZNS1_14partition_implILS5_8ELb0ES3_jPlPS6_PKS6_NS0_5tupleIJS9_S6_EEENSD_IJSA_SA_EEENS0_18inequality_wrapperIZN2at6native12_GLOBAL__N_124unique_dim_cuda_templateIsEESt5tupleIJNSH_6TensorESM_SM_EERKSM_lbbbEUlllE0_EEPmJS6_EEE10hipError_tPvRmT3_T4_T5_T6_T7_T9_mT8_P12ihipStream_tbDpT10_ENKUlT_T0_E_clISt17integral_constantIbLb0EES1B_IbLb1EEEEDaS17_S18_EUlS17_E_NS1_11comp_targetILNS1_3genE4ELNS1_11target_archE910ELNS1_3gpuE8ELNS1_3repE0EEENS1_30default_config_static_selectorELNS0_4arch9wavefront6targetE0EEEvT1_
		.amdhsa_group_segment_fixed_size 0
		.amdhsa_private_segment_fixed_size 0
		.amdhsa_kernarg_size 136
		.amdhsa_user_sgpr_count 15
		.amdhsa_user_sgpr_dispatch_ptr 0
		.amdhsa_user_sgpr_queue_ptr 0
		.amdhsa_user_sgpr_kernarg_segment_ptr 1
		.amdhsa_user_sgpr_dispatch_id 0
		.amdhsa_user_sgpr_private_segment_size 0
		.amdhsa_wavefront_size32 1
		.amdhsa_uses_dynamic_stack 0
		.amdhsa_enable_private_segment 0
		.amdhsa_system_sgpr_workgroup_id_x 1
		.amdhsa_system_sgpr_workgroup_id_y 0
		.amdhsa_system_sgpr_workgroup_id_z 0
		.amdhsa_system_sgpr_workgroup_info 0
		.amdhsa_system_vgpr_workitem_id 0
		.amdhsa_next_free_vgpr 1
		.amdhsa_next_free_sgpr 1
		.amdhsa_reserve_vcc 0
		.amdhsa_float_round_mode_32 0
		.amdhsa_float_round_mode_16_64 0
		.amdhsa_float_denorm_mode_32 3
		.amdhsa_float_denorm_mode_16_64 3
		.amdhsa_dx10_clamp 1
		.amdhsa_ieee_mode 1
		.amdhsa_fp16_overflow 0
		.amdhsa_workgroup_processor_mode 1
		.amdhsa_memory_ordered 1
		.amdhsa_forward_progress 0
		.amdhsa_shared_vgpr_count 0
		.amdhsa_exception_fp_ieee_invalid_op 0
		.amdhsa_exception_fp_denorm_src 0
		.amdhsa_exception_fp_ieee_div_zero 0
		.amdhsa_exception_fp_ieee_overflow 0
		.amdhsa_exception_fp_ieee_underflow 0
		.amdhsa_exception_fp_ieee_inexact 0
		.amdhsa_exception_int_div_zero 0
	.end_amdhsa_kernel
	.section	.text._ZN7rocprim17ROCPRIM_400000_NS6detail17trampoline_kernelINS0_14default_configENS1_25partition_config_selectorILNS1_17partition_subalgoE8ElNS0_10empty_typeEbEEZZNS1_14partition_implILS5_8ELb0ES3_jPlPS6_PKS6_NS0_5tupleIJS9_S6_EEENSD_IJSA_SA_EEENS0_18inequality_wrapperIZN2at6native12_GLOBAL__N_124unique_dim_cuda_templateIsEESt5tupleIJNSH_6TensorESM_SM_EERKSM_lbbbEUlllE0_EEPmJS6_EEE10hipError_tPvRmT3_T4_T5_T6_T7_T9_mT8_P12ihipStream_tbDpT10_ENKUlT_T0_E_clISt17integral_constantIbLb0EES1B_IbLb1EEEEDaS17_S18_EUlS17_E_NS1_11comp_targetILNS1_3genE4ELNS1_11target_archE910ELNS1_3gpuE8ELNS1_3repE0EEENS1_30default_config_static_selectorELNS0_4arch9wavefront6targetE0EEEvT1_,"axG",@progbits,_ZN7rocprim17ROCPRIM_400000_NS6detail17trampoline_kernelINS0_14default_configENS1_25partition_config_selectorILNS1_17partition_subalgoE8ElNS0_10empty_typeEbEEZZNS1_14partition_implILS5_8ELb0ES3_jPlPS6_PKS6_NS0_5tupleIJS9_S6_EEENSD_IJSA_SA_EEENS0_18inequality_wrapperIZN2at6native12_GLOBAL__N_124unique_dim_cuda_templateIsEESt5tupleIJNSH_6TensorESM_SM_EERKSM_lbbbEUlllE0_EEPmJS6_EEE10hipError_tPvRmT3_T4_T5_T6_T7_T9_mT8_P12ihipStream_tbDpT10_ENKUlT_T0_E_clISt17integral_constantIbLb0EES1B_IbLb1EEEEDaS17_S18_EUlS17_E_NS1_11comp_targetILNS1_3genE4ELNS1_11target_archE910ELNS1_3gpuE8ELNS1_3repE0EEENS1_30default_config_static_selectorELNS0_4arch9wavefront6targetE0EEEvT1_,comdat
.Lfunc_end711:
	.size	_ZN7rocprim17ROCPRIM_400000_NS6detail17trampoline_kernelINS0_14default_configENS1_25partition_config_selectorILNS1_17partition_subalgoE8ElNS0_10empty_typeEbEEZZNS1_14partition_implILS5_8ELb0ES3_jPlPS6_PKS6_NS0_5tupleIJS9_S6_EEENSD_IJSA_SA_EEENS0_18inequality_wrapperIZN2at6native12_GLOBAL__N_124unique_dim_cuda_templateIsEESt5tupleIJNSH_6TensorESM_SM_EERKSM_lbbbEUlllE0_EEPmJS6_EEE10hipError_tPvRmT3_T4_T5_T6_T7_T9_mT8_P12ihipStream_tbDpT10_ENKUlT_T0_E_clISt17integral_constantIbLb0EES1B_IbLb1EEEEDaS17_S18_EUlS17_E_NS1_11comp_targetILNS1_3genE4ELNS1_11target_archE910ELNS1_3gpuE8ELNS1_3repE0EEENS1_30default_config_static_selectorELNS0_4arch9wavefront6targetE0EEEvT1_, .Lfunc_end711-_ZN7rocprim17ROCPRIM_400000_NS6detail17trampoline_kernelINS0_14default_configENS1_25partition_config_selectorILNS1_17partition_subalgoE8ElNS0_10empty_typeEbEEZZNS1_14partition_implILS5_8ELb0ES3_jPlPS6_PKS6_NS0_5tupleIJS9_S6_EEENSD_IJSA_SA_EEENS0_18inequality_wrapperIZN2at6native12_GLOBAL__N_124unique_dim_cuda_templateIsEESt5tupleIJNSH_6TensorESM_SM_EERKSM_lbbbEUlllE0_EEPmJS6_EEE10hipError_tPvRmT3_T4_T5_T6_T7_T9_mT8_P12ihipStream_tbDpT10_ENKUlT_T0_E_clISt17integral_constantIbLb0EES1B_IbLb1EEEEDaS17_S18_EUlS17_E_NS1_11comp_targetILNS1_3genE4ELNS1_11target_archE910ELNS1_3gpuE8ELNS1_3repE0EEENS1_30default_config_static_selectorELNS0_4arch9wavefront6targetE0EEEvT1_
                                        ; -- End function
	.section	.AMDGPU.csdata,"",@progbits
; Kernel info:
; codeLenInByte = 0
; NumSgprs: 0
; NumVgprs: 0
; ScratchSize: 0
; MemoryBound: 0
; FloatMode: 240
; IeeeMode: 1
; LDSByteSize: 0 bytes/workgroup (compile time only)
; SGPRBlocks: 0
; VGPRBlocks: 0
; NumSGPRsForWavesPerEU: 1
; NumVGPRsForWavesPerEU: 1
; Occupancy: 16
; WaveLimiterHint : 0
; COMPUTE_PGM_RSRC2:SCRATCH_EN: 0
; COMPUTE_PGM_RSRC2:USER_SGPR: 15
; COMPUTE_PGM_RSRC2:TRAP_HANDLER: 0
; COMPUTE_PGM_RSRC2:TGID_X_EN: 1
; COMPUTE_PGM_RSRC2:TGID_Y_EN: 0
; COMPUTE_PGM_RSRC2:TGID_Z_EN: 0
; COMPUTE_PGM_RSRC2:TIDIG_COMP_CNT: 0
	.section	.text._ZN7rocprim17ROCPRIM_400000_NS6detail17trampoline_kernelINS0_14default_configENS1_25partition_config_selectorILNS1_17partition_subalgoE8ElNS0_10empty_typeEbEEZZNS1_14partition_implILS5_8ELb0ES3_jPlPS6_PKS6_NS0_5tupleIJS9_S6_EEENSD_IJSA_SA_EEENS0_18inequality_wrapperIZN2at6native12_GLOBAL__N_124unique_dim_cuda_templateIsEESt5tupleIJNSH_6TensorESM_SM_EERKSM_lbbbEUlllE0_EEPmJS6_EEE10hipError_tPvRmT3_T4_T5_T6_T7_T9_mT8_P12ihipStream_tbDpT10_ENKUlT_T0_E_clISt17integral_constantIbLb0EES1B_IbLb1EEEEDaS17_S18_EUlS17_E_NS1_11comp_targetILNS1_3genE3ELNS1_11target_archE908ELNS1_3gpuE7ELNS1_3repE0EEENS1_30default_config_static_selectorELNS0_4arch9wavefront6targetE0EEEvT1_,"axG",@progbits,_ZN7rocprim17ROCPRIM_400000_NS6detail17trampoline_kernelINS0_14default_configENS1_25partition_config_selectorILNS1_17partition_subalgoE8ElNS0_10empty_typeEbEEZZNS1_14partition_implILS5_8ELb0ES3_jPlPS6_PKS6_NS0_5tupleIJS9_S6_EEENSD_IJSA_SA_EEENS0_18inequality_wrapperIZN2at6native12_GLOBAL__N_124unique_dim_cuda_templateIsEESt5tupleIJNSH_6TensorESM_SM_EERKSM_lbbbEUlllE0_EEPmJS6_EEE10hipError_tPvRmT3_T4_T5_T6_T7_T9_mT8_P12ihipStream_tbDpT10_ENKUlT_T0_E_clISt17integral_constantIbLb0EES1B_IbLb1EEEEDaS17_S18_EUlS17_E_NS1_11comp_targetILNS1_3genE3ELNS1_11target_archE908ELNS1_3gpuE7ELNS1_3repE0EEENS1_30default_config_static_selectorELNS0_4arch9wavefront6targetE0EEEvT1_,comdat
	.globl	_ZN7rocprim17ROCPRIM_400000_NS6detail17trampoline_kernelINS0_14default_configENS1_25partition_config_selectorILNS1_17partition_subalgoE8ElNS0_10empty_typeEbEEZZNS1_14partition_implILS5_8ELb0ES3_jPlPS6_PKS6_NS0_5tupleIJS9_S6_EEENSD_IJSA_SA_EEENS0_18inequality_wrapperIZN2at6native12_GLOBAL__N_124unique_dim_cuda_templateIsEESt5tupleIJNSH_6TensorESM_SM_EERKSM_lbbbEUlllE0_EEPmJS6_EEE10hipError_tPvRmT3_T4_T5_T6_T7_T9_mT8_P12ihipStream_tbDpT10_ENKUlT_T0_E_clISt17integral_constantIbLb0EES1B_IbLb1EEEEDaS17_S18_EUlS17_E_NS1_11comp_targetILNS1_3genE3ELNS1_11target_archE908ELNS1_3gpuE7ELNS1_3repE0EEENS1_30default_config_static_selectorELNS0_4arch9wavefront6targetE0EEEvT1_ ; -- Begin function _ZN7rocprim17ROCPRIM_400000_NS6detail17trampoline_kernelINS0_14default_configENS1_25partition_config_selectorILNS1_17partition_subalgoE8ElNS0_10empty_typeEbEEZZNS1_14partition_implILS5_8ELb0ES3_jPlPS6_PKS6_NS0_5tupleIJS9_S6_EEENSD_IJSA_SA_EEENS0_18inequality_wrapperIZN2at6native12_GLOBAL__N_124unique_dim_cuda_templateIsEESt5tupleIJNSH_6TensorESM_SM_EERKSM_lbbbEUlllE0_EEPmJS6_EEE10hipError_tPvRmT3_T4_T5_T6_T7_T9_mT8_P12ihipStream_tbDpT10_ENKUlT_T0_E_clISt17integral_constantIbLb0EES1B_IbLb1EEEEDaS17_S18_EUlS17_E_NS1_11comp_targetILNS1_3genE3ELNS1_11target_archE908ELNS1_3gpuE7ELNS1_3repE0EEENS1_30default_config_static_selectorELNS0_4arch9wavefront6targetE0EEEvT1_
	.p2align	8
	.type	_ZN7rocprim17ROCPRIM_400000_NS6detail17trampoline_kernelINS0_14default_configENS1_25partition_config_selectorILNS1_17partition_subalgoE8ElNS0_10empty_typeEbEEZZNS1_14partition_implILS5_8ELb0ES3_jPlPS6_PKS6_NS0_5tupleIJS9_S6_EEENSD_IJSA_SA_EEENS0_18inequality_wrapperIZN2at6native12_GLOBAL__N_124unique_dim_cuda_templateIsEESt5tupleIJNSH_6TensorESM_SM_EERKSM_lbbbEUlllE0_EEPmJS6_EEE10hipError_tPvRmT3_T4_T5_T6_T7_T9_mT8_P12ihipStream_tbDpT10_ENKUlT_T0_E_clISt17integral_constantIbLb0EES1B_IbLb1EEEEDaS17_S18_EUlS17_E_NS1_11comp_targetILNS1_3genE3ELNS1_11target_archE908ELNS1_3gpuE7ELNS1_3repE0EEENS1_30default_config_static_selectorELNS0_4arch9wavefront6targetE0EEEvT1_,@function
_ZN7rocprim17ROCPRIM_400000_NS6detail17trampoline_kernelINS0_14default_configENS1_25partition_config_selectorILNS1_17partition_subalgoE8ElNS0_10empty_typeEbEEZZNS1_14partition_implILS5_8ELb0ES3_jPlPS6_PKS6_NS0_5tupleIJS9_S6_EEENSD_IJSA_SA_EEENS0_18inequality_wrapperIZN2at6native12_GLOBAL__N_124unique_dim_cuda_templateIsEESt5tupleIJNSH_6TensorESM_SM_EERKSM_lbbbEUlllE0_EEPmJS6_EEE10hipError_tPvRmT3_T4_T5_T6_T7_T9_mT8_P12ihipStream_tbDpT10_ENKUlT_T0_E_clISt17integral_constantIbLb0EES1B_IbLb1EEEEDaS17_S18_EUlS17_E_NS1_11comp_targetILNS1_3genE3ELNS1_11target_archE908ELNS1_3gpuE7ELNS1_3repE0EEENS1_30default_config_static_selectorELNS0_4arch9wavefront6targetE0EEEvT1_: ; @_ZN7rocprim17ROCPRIM_400000_NS6detail17trampoline_kernelINS0_14default_configENS1_25partition_config_selectorILNS1_17partition_subalgoE8ElNS0_10empty_typeEbEEZZNS1_14partition_implILS5_8ELb0ES3_jPlPS6_PKS6_NS0_5tupleIJS9_S6_EEENSD_IJSA_SA_EEENS0_18inequality_wrapperIZN2at6native12_GLOBAL__N_124unique_dim_cuda_templateIsEESt5tupleIJNSH_6TensorESM_SM_EERKSM_lbbbEUlllE0_EEPmJS6_EEE10hipError_tPvRmT3_T4_T5_T6_T7_T9_mT8_P12ihipStream_tbDpT10_ENKUlT_T0_E_clISt17integral_constantIbLb0EES1B_IbLb1EEEEDaS17_S18_EUlS17_E_NS1_11comp_targetILNS1_3genE3ELNS1_11target_archE908ELNS1_3gpuE7ELNS1_3repE0EEENS1_30default_config_static_selectorELNS0_4arch9wavefront6targetE0EEEvT1_
; %bb.0:
	.section	.rodata,"a",@progbits
	.p2align	6, 0x0
	.amdhsa_kernel _ZN7rocprim17ROCPRIM_400000_NS6detail17trampoline_kernelINS0_14default_configENS1_25partition_config_selectorILNS1_17partition_subalgoE8ElNS0_10empty_typeEbEEZZNS1_14partition_implILS5_8ELb0ES3_jPlPS6_PKS6_NS0_5tupleIJS9_S6_EEENSD_IJSA_SA_EEENS0_18inequality_wrapperIZN2at6native12_GLOBAL__N_124unique_dim_cuda_templateIsEESt5tupleIJNSH_6TensorESM_SM_EERKSM_lbbbEUlllE0_EEPmJS6_EEE10hipError_tPvRmT3_T4_T5_T6_T7_T9_mT8_P12ihipStream_tbDpT10_ENKUlT_T0_E_clISt17integral_constantIbLb0EES1B_IbLb1EEEEDaS17_S18_EUlS17_E_NS1_11comp_targetILNS1_3genE3ELNS1_11target_archE908ELNS1_3gpuE7ELNS1_3repE0EEENS1_30default_config_static_selectorELNS0_4arch9wavefront6targetE0EEEvT1_
		.amdhsa_group_segment_fixed_size 0
		.amdhsa_private_segment_fixed_size 0
		.amdhsa_kernarg_size 136
		.amdhsa_user_sgpr_count 15
		.amdhsa_user_sgpr_dispatch_ptr 0
		.amdhsa_user_sgpr_queue_ptr 0
		.amdhsa_user_sgpr_kernarg_segment_ptr 1
		.amdhsa_user_sgpr_dispatch_id 0
		.amdhsa_user_sgpr_private_segment_size 0
		.amdhsa_wavefront_size32 1
		.amdhsa_uses_dynamic_stack 0
		.amdhsa_enable_private_segment 0
		.amdhsa_system_sgpr_workgroup_id_x 1
		.amdhsa_system_sgpr_workgroup_id_y 0
		.amdhsa_system_sgpr_workgroup_id_z 0
		.amdhsa_system_sgpr_workgroup_info 0
		.amdhsa_system_vgpr_workitem_id 0
		.amdhsa_next_free_vgpr 1
		.amdhsa_next_free_sgpr 1
		.amdhsa_reserve_vcc 0
		.amdhsa_float_round_mode_32 0
		.amdhsa_float_round_mode_16_64 0
		.amdhsa_float_denorm_mode_32 3
		.amdhsa_float_denorm_mode_16_64 3
		.amdhsa_dx10_clamp 1
		.amdhsa_ieee_mode 1
		.amdhsa_fp16_overflow 0
		.amdhsa_workgroup_processor_mode 1
		.amdhsa_memory_ordered 1
		.amdhsa_forward_progress 0
		.amdhsa_shared_vgpr_count 0
		.amdhsa_exception_fp_ieee_invalid_op 0
		.amdhsa_exception_fp_denorm_src 0
		.amdhsa_exception_fp_ieee_div_zero 0
		.amdhsa_exception_fp_ieee_overflow 0
		.amdhsa_exception_fp_ieee_underflow 0
		.amdhsa_exception_fp_ieee_inexact 0
		.amdhsa_exception_int_div_zero 0
	.end_amdhsa_kernel
	.section	.text._ZN7rocprim17ROCPRIM_400000_NS6detail17trampoline_kernelINS0_14default_configENS1_25partition_config_selectorILNS1_17partition_subalgoE8ElNS0_10empty_typeEbEEZZNS1_14partition_implILS5_8ELb0ES3_jPlPS6_PKS6_NS0_5tupleIJS9_S6_EEENSD_IJSA_SA_EEENS0_18inequality_wrapperIZN2at6native12_GLOBAL__N_124unique_dim_cuda_templateIsEESt5tupleIJNSH_6TensorESM_SM_EERKSM_lbbbEUlllE0_EEPmJS6_EEE10hipError_tPvRmT3_T4_T5_T6_T7_T9_mT8_P12ihipStream_tbDpT10_ENKUlT_T0_E_clISt17integral_constantIbLb0EES1B_IbLb1EEEEDaS17_S18_EUlS17_E_NS1_11comp_targetILNS1_3genE3ELNS1_11target_archE908ELNS1_3gpuE7ELNS1_3repE0EEENS1_30default_config_static_selectorELNS0_4arch9wavefront6targetE0EEEvT1_,"axG",@progbits,_ZN7rocprim17ROCPRIM_400000_NS6detail17trampoline_kernelINS0_14default_configENS1_25partition_config_selectorILNS1_17partition_subalgoE8ElNS0_10empty_typeEbEEZZNS1_14partition_implILS5_8ELb0ES3_jPlPS6_PKS6_NS0_5tupleIJS9_S6_EEENSD_IJSA_SA_EEENS0_18inequality_wrapperIZN2at6native12_GLOBAL__N_124unique_dim_cuda_templateIsEESt5tupleIJNSH_6TensorESM_SM_EERKSM_lbbbEUlllE0_EEPmJS6_EEE10hipError_tPvRmT3_T4_T5_T6_T7_T9_mT8_P12ihipStream_tbDpT10_ENKUlT_T0_E_clISt17integral_constantIbLb0EES1B_IbLb1EEEEDaS17_S18_EUlS17_E_NS1_11comp_targetILNS1_3genE3ELNS1_11target_archE908ELNS1_3gpuE7ELNS1_3repE0EEENS1_30default_config_static_selectorELNS0_4arch9wavefront6targetE0EEEvT1_,comdat
.Lfunc_end712:
	.size	_ZN7rocprim17ROCPRIM_400000_NS6detail17trampoline_kernelINS0_14default_configENS1_25partition_config_selectorILNS1_17partition_subalgoE8ElNS0_10empty_typeEbEEZZNS1_14partition_implILS5_8ELb0ES3_jPlPS6_PKS6_NS0_5tupleIJS9_S6_EEENSD_IJSA_SA_EEENS0_18inequality_wrapperIZN2at6native12_GLOBAL__N_124unique_dim_cuda_templateIsEESt5tupleIJNSH_6TensorESM_SM_EERKSM_lbbbEUlllE0_EEPmJS6_EEE10hipError_tPvRmT3_T4_T5_T6_T7_T9_mT8_P12ihipStream_tbDpT10_ENKUlT_T0_E_clISt17integral_constantIbLb0EES1B_IbLb1EEEEDaS17_S18_EUlS17_E_NS1_11comp_targetILNS1_3genE3ELNS1_11target_archE908ELNS1_3gpuE7ELNS1_3repE0EEENS1_30default_config_static_selectorELNS0_4arch9wavefront6targetE0EEEvT1_, .Lfunc_end712-_ZN7rocprim17ROCPRIM_400000_NS6detail17trampoline_kernelINS0_14default_configENS1_25partition_config_selectorILNS1_17partition_subalgoE8ElNS0_10empty_typeEbEEZZNS1_14partition_implILS5_8ELb0ES3_jPlPS6_PKS6_NS0_5tupleIJS9_S6_EEENSD_IJSA_SA_EEENS0_18inequality_wrapperIZN2at6native12_GLOBAL__N_124unique_dim_cuda_templateIsEESt5tupleIJNSH_6TensorESM_SM_EERKSM_lbbbEUlllE0_EEPmJS6_EEE10hipError_tPvRmT3_T4_T5_T6_T7_T9_mT8_P12ihipStream_tbDpT10_ENKUlT_T0_E_clISt17integral_constantIbLb0EES1B_IbLb1EEEEDaS17_S18_EUlS17_E_NS1_11comp_targetILNS1_3genE3ELNS1_11target_archE908ELNS1_3gpuE7ELNS1_3repE0EEENS1_30default_config_static_selectorELNS0_4arch9wavefront6targetE0EEEvT1_
                                        ; -- End function
	.section	.AMDGPU.csdata,"",@progbits
; Kernel info:
; codeLenInByte = 0
; NumSgprs: 0
; NumVgprs: 0
; ScratchSize: 0
; MemoryBound: 0
; FloatMode: 240
; IeeeMode: 1
; LDSByteSize: 0 bytes/workgroup (compile time only)
; SGPRBlocks: 0
; VGPRBlocks: 0
; NumSGPRsForWavesPerEU: 1
; NumVGPRsForWavesPerEU: 1
; Occupancy: 16
; WaveLimiterHint : 0
; COMPUTE_PGM_RSRC2:SCRATCH_EN: 0
; COMPUTE_PGM_RSRC2:USER_SGPR: 15
; COMPUTE_PGM_RSRC2:TRAP_HANDLER: 0
; COMPUTE_PGM_RSRC2:TGID_X_EN: 1
; COMPUTE_PGM_RSRC2:TGID_Y_EN: 0
; COMPUTE_PGM_RSRC2:TGID_Z_EN: 0
; COMPUTE_PGM_RSRC2:TIDIG_COMP_CNT: 0
	.section	.text._ZN7rocprim17ROCPRIM_400000_NS6detail17trampoline_kernelINS0_14default_configENS1_25partition_config_selectorILNS1_17partition_subalgoE8ElNS0_10empty_typeEbEEZZNS1_14partition_implILS5_8ELb0ES3_jPlPS6_PKS6_NS0_5tupleIJS9_S6_EEENSD_IJSA_SA_EEENS0_18inequality_wrapperIZN2at6native12_GLOBAL__N_124unique_dim_cuda_templateIsEESt5tupleIJNSH_6TensorESM_SM_EERKSM_lbbbEUlllE0_EEPmJS6_EEE10hipError_tPvRmT3_T4_T5_T6_T7_T9_mT8_P12ihipStream_tbDpT10_ENKUlT_T0_E_clISt17integral_constantIbLb0EES1B_IbLb1EEEEDaS17_S18_EUlS17_E_NS1_11comp_targetILNS1_3genE2ELNS1_11target_archE906ELNS1_3gpuE6ELNS1_3repE0EEENS1_30default_config_static_selectorELNS0_4arch9wavefront6targetE0EEEvT1_,"axG",@progbits,_ZN7rocprim17ROCPRIM_400000_NS6detail17trampoline_kernelINS0_14default_configENS1_25partition_config_selectorILNS1_17partition_subalgoE8ElNS0_10empty_typeEbEEZZNS1_14partition_implILS5_8ELb0ES3_jPlPS6_PKS6_NS0_5tupleIJS9_S6_EEENSD_IJSA_SA_EEENS0_18inequality_wrapperIZN2at6native12_GLOBAL__N_124unique_dim_cuda_templateIsEESt5tupleIJNSH_6TensorESM_SM_EERKSM_lbbbEUlllE0_EEPmJS6_EEE10hipError_tPvRmT3_T4_T5_T6_T7_T9_mT8_P12ihipStream_tbDpT10_ENKUlT_T0_E_clISt17integral_constantIbLb0EES1B_IbLb1EEEEDaS17_S18_EUlS17_E_NS1_11comp_targetILNS1_3genE2ELNS1_11target_archE906ELNS1_3gpuE6ELNS1_3repE0EEENS1_30default_config_static_selectorELNS0_4arch9wavefront6targetE0EEEvT1_,comdat
	.globl	_ZN7rocprim17ROCPRIM_400000_NS6detail17trampoline_kernelINS0_14default_configENS1_25partition_config_selectorILNS1_17partition_subalgoE8ElNS0_10empty_typeEbEEZZNS1_14partition_implILS5_8ELb0ES3_jPlPS6_PKS6_NS0_5tupleIJS9_S6_EEENSD_IJSA_SA_EEENS0_18inequality_wrapperIZN2at6native12_GLOBAL__N_124unique_dim_cuda_templateIsEESt5tupleIJNSH_6TensorESM_SM_EERKSM_lbbbEUlllE0_EEPmJS6_EEE10hipError_tPvRmT3_T4_T5_T6_T7_T9_mT8_P12ihipStream_tbDpT10_ENKUlT_T0_E_clISt17integral_constantIbLb0EES1B_IbLb1EEEEDaS17_S18_EUlS17_E_NS1_11comp_targetILNS1_3genE2ELNS1_11target_archE906ELNS1_3gpuE6ELNS1_3repE0EEENS1_30default_config_static_selectorELNS0_4arch9wavefront6targetE0EEEvT1_ ; -- Begin function _ZN7rocprim17ROCPRIM_400000_NS6detail17trampoline_kernelINS0_14default_configENS1_25partition_config_selectorILNS1_17partition_subalgoE8ElNS0_10empty_typeEbEEZZNS1_14partition_implILS5_8ELb0ES3_jPlPS6_PKS6_NS0_5tupleIJS9_S6_EEENSD_IJSA_SA_EEENS0_18inequality_wrapperIZN2at6native12_GLOBAL__N_124unique_dim_cuda_templateIsEESt5tupleIJNSH_6TensorESM_SM_EERKSM_lbbbEUlllE0_EEPmJS6_EEE10hipError_tPvRmT3_T4_T5_T6_T7_T9_mT8_P12ihipStream_tbDpT10_ENKUlT_T0_E_clISt17integral_constantIbLb0EES1B_IbLb1EEEEDaS17_S18_EUlS17_E_NS1_11comp_targetILNS1_3genE2ELNS1_11target_archE906ELNS1_3gpuE6ELNS1_3repE0EEENS1_30default_config_static_selectorELNS0_4arch9wavefront6targetE0EEEvT1_
	.p2align	8
	.type	_ZN7rocprim17ROCPRIM_400000_NS6detail17trampoline_kernelINS0_14default_configENS1_25partition_config_selectorILNS1_17partition_subalgoE8ElNS0_10empty_typeEbEEZZNS1_14partition_implILS5_8ELb0ES3_jPlPS6_PKS6_NS0_5tupleIJS9_S6_EEENSD_IJSA_SA_EEENS0_18inequality_wrapperIZN2at6native12_GLOBAL__N_124unique_dim_cuda_templateIsEESt5tupleIJNSH_6TensorESM_SM_EERKSM_lbbbEUlllE0_EEPmJS6_EEE10hipError_tPvRmT3_T4_T5_T6_T7_T9_mT8_P12ihipStream_tbDpT10_ENKUlT_T0_E_clISt17integral_constantIbLb0EES1B_IbLb1EEEEDaS17_S18_EUlS17_E_NS1_11comp_targetILNS1_3genE2ELNS1_11target_archE906ELNS1_3gpuE6ELNS1_3repE0EEENS1_30default_config_static_selectorELNS0_4arch9wavefront6targetE0EEEvT1_,@function
_ZN7rocprim17ROCPRIM_400000_NS6detail17trampoline_kernelINS0_14default_configENS1_25partition_config_selectorILNS1_17partition_subalgoE8ElNS0_10empty_typeEbEEZZNS1_14partition_implILS5_8ELb0ES3_jPlPS6_PKS6_NS0_5tupleIJS9_S6_EEENSD_IJSA_SA_EEENS0_18inequality_wrapperIZN2at6native12_GLOBAL__N_124unique_dim_cuda_templateIsEESt5tupleIJNSH_6TensorESM_SM_EERKSM_lbbbEUlllE0_EEPmJS6_EEE10hipError_tPvRmT3_T4_T5_T6_T7_T9_mT8_P12ihipStream_tbDpT10_ENKUlT_T0_E_clISt17integral_constantIbLb0EES1B_IbLb1EEEEDaS17_S18_EUlS17_E_NS1_11comp_targetILNS1_3genE2ELNS1_11target_archE906ELNS1_3gpuE6ELNS1_3repE0EEENS1_30default_config_static_selectorELNS0_4arch9wavefront6targetE0EEEvT1_: ; @_ZN7rocprim17ROCPRIM_400000_NS6detail17trampoline_kernelINS0_14default_configENS1_25partition_config_selectorILNS1_17partition_subalgoE8ElNS0_10empty_typeEbEEZZNS1_14partition_implILS5_8ELb0ES3_jPlPS6_PKS6_NS0_5tupleIJS9_S6_EEENSD_IJSA_SA_EEENS0_18inequality_wrapperIZN2at6native12_GLOBAL__N_124unique_dim_cuda_templateIsEESt5tupleIJNSH_6TensorESM_SM_EERKSM_lbbbEUlllE0_EEPmJS6_EEE10hipError_tPvRmT3_T4_T5_T6_T7_T9_mT8_P12ihipStream_tbDpT10_ENKUlT_T0_E_clISt17integral_constantIbLb0EES1B_IbLb1EEEEDaS17_S18_EUlS17_E_NS1_11comp_targetILNS1_3genE2ELNS1_11target_archE906ELNS1_3gpuE6ELNS1_3repE0EEENS1_30default_config_static_selectorELNS0_4arch9wavefront6targetE0EEEvT1_
; %bb.0:
	.section	.rodata,"a",@progbits
	.p2align	6, 0x0
	.amdhsa_kernel _ZN7rocprim17ROCPRIM_400000_NS6detail17trampoline_kernelINS0_14default_configENS1_25partition_config_selectorILNS1_17partition_subalgoE8ElNS0_10empty_typeEbEEZZNS1_14partition_implILS5_8ELb0ES3_jPlPS6_PKS6_NS0_5tupleIJS9_S6_EEENSD_IJSA_SA_EEENS0_18inequality_wrapperIZN2at6native12_GLOBAL__N_124unique_dim_cuda_templateIsEESt5tupleIJNSH_6TensorESM_SM_EERKSM_lbbbEUlllE0_EEPmJS6_EEE10hipError_tPvRmT3_T4_T5_T6_T7_T9_mT8_P12ihipStream_tbDpT10_ENKUlT_T0_E_clISt17integral_constantIbLb0EES1B_IbLb1EEEEDaS17_S18_EUlS17_E_NS1_11comp_targetILNS1_3genE2ELNS1_11target_archE906ELNS1_3gpuE6ELNS1_3repE0EEENS1_30default_config_static_selectorELNS0_4arch9wavefront6targetE0EEEvT1_
		.amdhsa_group_segment_fixed_size 0
		.amdhsa_private_segment_fixed_size 0
		.amdhsa_kernarg_size 136
		.amdhsa_user_sgpr_count 15
		.amdhsa_user_sgpr_dispatch_ptr 0
		.amdhsa_user_sgpr_queue_ptr 0
		.amdhsa_user_sgpr_kernarg_segment_ptr 1
		.amdhsa_user_sgpr_dispatch_id 0
		.amdhsa_user_sgpr_private_segment_size 0
		.amdhsa_wavefront_size32 1
		.amdhsa_uses_dynamic_stack 0
		.amdhsa_enable_private_segment 0
		.amdhsa_system_sgpr_workgroup_id_x 1
		.amdhsa_system_sgpr_workgroup_id_y 0
		.amdhsa_system_sgpr_workgroup_id_z 0
		.amdhsa_system_sgpr_workgroup_info 0
		.amdhsa_system_vgpr_workitem_id 0
		.amdhsa_next_free_vgpr 1
		.amdhsa_next_free_sgpr 1
		.amdhsa_reserve_vcc 0
		.amdhsa_float_round_mode_32 0
		.amdhsa_float_round_mode_16_64 0
		.amdhsa_float_denorm_mode_32 3
		.amdhsa_float_denorm_mode_16_64 3
		.amdhsa_dx10_clamp 1
		.amdhsa_ieee_mode 1
		.amdhsa_fp16_overflow 0
		.amdhsa_workgroup_processor_mode 1
		.amdhsa_memory_ordered 1
		.amdhsa_forward_progress 0
		.amdhsa_shared_vgpr_count 0
		.amdhsa_exception_fp_ieee_invalid_op 0
		.amdhsa_exception_fp_denorm_src 0
		.amdhsa_exception_fp_ieee_div_zero 0
		.amdhsa_exception_fp_ieee_overflow 0
		.amdhsa_exception_fp_ieee_underflow 0
		.amdhsa_exception_fp_ieee_inexact 0
		.amdhsa_exception_int_div_zero 0
	.end_amdhsa_kernel
	.section	.text._ZN7rocprim17ROCPRIM_400000_NS6detail17trampoline_kernelINS0_14default_configENS1_25partition_config_selectorILNS1_17partition_subalgoE8ElNS0_10empty_typeEbEEZZNS1_14partition_implILS5_8ELb0ES3_jPlPS6_PKS6_NS0_5tupleIJS9_S6_EEENSD_IJSA_SA_EEENS0_18inequality_wrapperIZN2at6native12_GLOBAL__N_124unique_dim_cuda_templateIsEESt5tupleIJNSH_6TensorESM_SM_EERKSM_lbbbEUlllE0_EEPmJS6_EEE10hipError_tPvRmT3_T4_T5_T6_T7_T9_mT8_P12ihipStream_tbDpT10_ENKUlT_T0_E_clISt17integral_constantIbLb0EES1B_IbLb1EEEEDaS17_S18_EUlS17_E_NS1_11comp_targetILNS1_3genE2ELNS1_11target_archE906ELNS1_3gpuE6ELNS1_3repE0EEENS1_30default_config_static_selectorELNS0_4arch9wavefront6targetE0EEEvT1_,"axG",@progbits,_ZN7rocprim17ROCPRIM_400000_NS6detail17trampoline_kernelINS0_14default_configENS1_25partition_config_selectorILNS1_17partition_subalgoE8ElNS0_10empty_typeEbEEZZNS1_14partition_implILS5_8ELb0ES3_jPlPS6_PKS6_NS0_5tupleIJS9_S6_EEENSD_IJSA_SA_EEENS0_18inequality_wrapperIZN2at6native12_GLOBAL__N_124unique_dim_cuda_templateIsEESt5tupleIJNSH_6TensorESM_SM_EERKSM_lbbbEUlllE0_EEPmJS6_EEE10hipError_tPvRmT3_T4_T5_T6_T7_T9_mT8_P12ihipStream_tbDpT10_ENKUlT_T0_E_clISt17integral_constantIbLb0EES1B_IbLb1EEEEDaS17_S18_EUlS17_E_NS1_11comp_targetILNS1_3genE2ELNS1_11target_archE906ELNS1_3gpuE6ELNS1_3repE0EEENS1_30default_config_static_selectorELNS0_4arch9wavefront6targetE0EEEvT1_,comdat
.Lfunc_end713:
	.size	_ZN7rocprim17ROCPRIM_400000_NS6detail17trampoline_kernelINS0_14default_configENS1_25partition_config_selectorILNS1_17partition_subalgoE8ElNS0_10empty_typeEbEEZZNS1_14partition_implILS5_8ELb0ES3_jPlPS6_PKS6_NS0_5tupleIJS9_S6_EEENSD_IJSA_SA_EEENS0_18inequality_wrapperIZN2at6native12_GLOBAL__N_124unique_dim_cuda_templateIsEESt5tupleIJNSH_6TensorESM_SM_EERKSM_lbbbEUlllE0_EEPmJS6_EEE10hipError_tPvRmT3_T4_T5_T6_T7_T9_mT8_P12ihipStream_tbDpT10_ENKUlT_T0_E_clISt17integral_constantIbLb0EES1B_IbLb1EEEEDaS17_S18_EUlS17_E_NS1_11comp_targetILNS1_3genE2ELNS1_11target_archE906ELNS1_3gpuE6ELNS1_3repE0EEENS1_30default_config_static_selectorELNS0_4arch9wavefront6targetE0EEEvT1_, .Lfunc_end713-_ZN7rocprim17ROCPRIM_400000_NS6detail17trampoline_kernelINS0_14default_configENS1_25partition_config_selectorILNS1_17partition_subalgoE8ElNS0_10empty_typeEbEEZZNS1_14partition_implILS5_8ELb0ES3_jPlPS6_PKS6_NS0_5tupleIJS9_S6_EEENSD_IJSA_SA_EEENS0_18inequality_wrapperIZN2at6native12_GLOBAL__N_124unique_dim_cuda_templateIsEESt5tupleIJNSH_6TensorESM_SM_EERKSM_lbbbEUlllE0_EEPmJS6_EEE10hipError_tPvRmT3_T4_T5_T6_T7_T9_mT8_P12ihipStream_tbDpT10_ENKUlT_T0_E_clISt17integral_constantIbLb0EES1B_IbLb1EEEEDaS17_S18_EUlS17_E_NS1_11comp_targetILNS1_3genE2ELNS1_11target_archE906ELNS1_3gpuE6ELNS1_3repE0EEENS1_30default_config_static_selectorELNS0_4arch9wavefront6targetE0EEEvT1_
                                        ; -- End function
	.section	.AMDGPU.csdata,"",@progbits
; Kernel info:
; codeLenInByte = 0
; NumSgprs: 0
; NumVgprs: 0
; ScratchSize: 0
; MemoryBound: 0
; FloatMode: 240
; IeeeMode: 1
; LDSByteSize: 0 bytes/workgroup (compile time only)
; SGPRBlocks: 0
; VGPRBlocks: 0
; NumSGPRsForWavesPerEU: 1
; NumVGPRsForWavesPerEU: 1
; Occupancy: 16
; WaveLimiterHint : 0
; COMPUTE_PGM_RSRC2:SCRATCH_EN: 0
; COMPUTE_PGM_RSRC2:USER_SGPR: 15
; COMPUTE_PGM_RSRC2:TRAP_HANDLER: 0
; COMPUTE_PGM_RSRC2:TGID_X_EN: 1
; COMPUTE_PGM_RSRC2:TGID_Y_EN: 0
; COMPUTE_PGM_RSRC2:TGID_Z_EN: 0
; COMPUTE_PGM_RSRC2:TIDIG_COMP_CNT: 0
	.section	.text._ZN7rocprim17ROCPRIM_400000_NS6detail17trampoline_kernelINS0_14default_configENS1_25partition_config_selectorILNS1_17partition_subalgoE8ElNS0_10empty_typeEbEEZZNS1_14partition_implILS5_8ELb0ES3_jPlPS6_PKS6_NS0_5tupleIJS9_S6_EEENSD_IJSA_SA_EEENS0_18inequality_wrapperIZN2at6native12_GLOBAL__N_124unique_dim_cuda_templateIsEESt5tupleIJNSH_6TensorESM_SM_EERKSM_lbbbEUlllE0_EEPmJS6_EEE10hipError_tPvRmT3_T4_T5_T6_T7_T9_mT8_P12ihipStream_tbDpT10_ENKUlT_T0_E_clISt17integral_constantIbLb0EES1B_IbLb1EEEEDaS17_S18_EUlS17_E_NS1_11comp_targetILNS1_3genE10ELNS1_11target_archE1200ELNS1_3gpuE4ELNS1_3repE0EEENS1_30default_config_static_selectorELNS0_4arch9wavefront6targetE0EEEvT1_,"axG",@progbits,_ZN7rocprim17ROCPRIM_400000_NS6detail17trampoline_kernelINS0_14default_configENS1_25partition_config_selectorILNS1_17partition_subalgoE8ElNS0_10empty_typeEbEEZZNS1_14partition_implILS5_8ELb0ES3_jPlPS6_PKS6_NS0_5tupleIJS9_S6_EEENSD_IJSA_SA_EEENS0_18inequality_wrapperIZN2at6native12_GLOBAL__N_124unique_dim_cuda_templateIsEESt5tupleIJNSH_6TensorESM_SM_EERKSM_lbbbEUlllE0_EEPmJS6_EEE10hipError_tPvRmT3_T4_T5_T6_T7_T9_mT8_P12ihipStream_tbDpT10_ENKUlT_T0_E_clISt17integral_constantIbLb0EES1B_IbLb1EEEEDaS17_S18_EUlS17_E_NS1_11comp_targetILNS1_3genE10ELNS1_11target_archE1200ELNS1_3gpuE4ELNS1_3repE0EEENS1_30default_config_static_selectorELNS0_4arch9wavefront6targetE0EEEvT1_,comdat
	.globl	_ZN7rocprim17ROCPRIM_400000_NS6detail17trampoline_kernelINS0_14default_configENS1_25partition_config_selectorILNS1_17partition_subalgoE8ElNS0_10empty_typeEbEEZZNS1_14partition_implILS5_8ELb0ES3_jPlPS6_PKS6_NS0_5tupleIJS9_S6_EEENSD_IJSA_SA_EEENS0_18inequality_wrapperIZN2at6native12_GLOBAL__N_124unique_dim_cuda_templateIsEESt5tupleIJNSH_6TensorESM_SM_EERKSM_lbbbEUlllE0_EEPmJS6_EEE10hipError_tPvRmT3_T4_T5_T6_T7_T9_mT8_P12ihipStream_tbDpT10_ENKUlT_T0_E_clISt17integral_constantIbLb0EES1B_IbLb1EEEEDaS17_S18_EUlS17_E_NS1_11comp_targetILNS1_3genE10ELNS1_11target_archE1200ELNS1_3gpuE4ELNS1_3repE0EEENS1_30default_config_static_selectorELNS0_4arch9wavefront6targetE0EEEvT1_ ; -- Begin function _ZN7rocprim17ROCPRIM_400000_NS6detail17trampoline_kernelINS0_14default_configENS1_25partition_config_selectorILNS1_17partition_subalgoE8ElNS0_10empty_typeEbEEZZNS1_14partition_implILS5_8ELb0ES3_jPlPS6_PKS6_NS0_5tupleIJS9_S6_EEENSD_IJSA_SA_EEENS0_18inequality_wrapperIZN2at6native12_GLOBAL__N_124unique_dim_cuda_templateIsEESt5tupleIJNSH_6TensorESM_SM_EERKSM_lbbbEUlllE0_EEPmJS6_EEE10hipError_tPvRmT3_T4_T5_T6_T7_T9_mT8_P12ihipStream_tbDpT10_ENKUlT_T0_E_clISt17integral_constantIbLb0EES1B_IbLb1EEEEDaS17_S18_EUlS17_E_NS1_11comp_targetILNS1_3genE10ELNS1_11target_archE1200ELNS1_3gpuE4ELNS1_3repE0EEENS1_30default_config_static_selectorELNS0_4arch9wavefront6targetE0EEEvT1_
	.p2align	8
	.type	_ZN7rocprim17ROCPRIM_400000_NS6detail17trampoline_kernelINS0_14default_configENS1_25partition_config_selectorILNS1_17partition_subalgoE8ElNS0_10empty_typeEbEEZZNS1_14partition_implILS5_8ELb0ES3_jPlPS6_PKS6_NS0_5tupleIJS9_S6_EEENSD_IJSA_SA_EEENS0_18inequality_wrapperIZN2at6native12_GLOBAL__N_124unique_dim_cuda_templateIsEESt5tupleIJNSH_6TensorESM_SM_EERKSM_lbbbEUlllE0_EEPmJS6_EEE10hipError_tPvRmT3_T4_T5_T6_T7_T9_mT8_P12ihipStream_tbDpT10_ENKUlT_T0_E_clISt17integral_constantIbLb0EES1B_IbLb1EEEEDaS17_S18_EUlS17_E_NS1_11comp_targetILNS1_3genE10ELNS1_11target_archE1200ELNS1_3gpuE4ELNS1_3repE0EEENS1_30default_config_static_selectorELNS0_4arch9wavefront6targetE0EEEvT1_,@function
_ZN7rocprim17ROCPRIM_400000_NS6detail17trampoline_kernelINS0_14default_configENS1_25partition_config_selectorILNS1_17partition_subalgoE8ElNS0_10empty_typeEbEEZZNS1_14partition_implILS5_8ELb0ES3_jPlPS6_PKS6_NS0_5tupleIJS9_S6_EEENSD_IJSA_SA_EEENS0_18inequality_wrapperIZN2at6native12_GLOBAL__N_124unique_dim_cuda_templateIsEESt5tupleIJNSH_6TensorESM_SM_EERKSM_lbbbEUlllE0_EEPmJS6_EEE10hipError_tPvRmT3_T4_T5_T6_T7_T9_mT8_P12ihipStream_tbDpT10_ENKUlT_T0_E_clISt17integral_constantIbLb0EES1B_IbLb1EEEEDaS17_S18_EUlS17_E_NS1_11comp_targetILNS1_3genE10ELNS1_11target_archE1200ELNS1_3gpuE4ELNS1_3repE0EEENS1_30default_config_static_selectorELNS0_4arch9wavefront6targetE0EEEvT1_: ; @_ZN7rocprim17ROCPRIM_400000_NS6detail17trampoline_kernelINS0_14default_configENS1_25partition_config_selectorILNS1_17partition_subalgoE8ElNS0_10empty_typeEbEEZZNS1_14partition_implILS5_8ELb0ES3_jPlPS6_PKS6_NS0_5tupleIJS9_S6_EEENSD_IJSA_SA_EEENS0_18inequality_wrapperIZN2at6native12_GLOBAL__N_124unique_dim_cuda_templateIsEESt5tupleIJNSH_6TensorESM_SM_EERKSM_lbbbEUlllE0_EEPmJS6_EEE10hipError_tPvRmT3_T4_T5_T6_T7_T9_mT8_P12ihipStream_tbDpT10_ENKUlT_T0_E_clISt17integral_constantIbLb0EES1B_IbLb1EEEEDaS17_S18_EUlS17_E_NS1_11comp_targetILNS1_3genE10ELNS1_11target_archE1200ELNS1_3gpuE4ELNS1_3repE0EEENS1_30default_config_static_selectorELNS0_4arch9wavefront6targetE0EEEvT1_
; %bb.0:
	.section	.rodata,"a",@progbits
	.p2align	6, 0x0
	.amdhsa_kernel _ZN7rocprim17ROCPRIM_400000_NS6detail17trampoline_kernelINS0_14default_configENS1_25partition_config_selectorILNS1_17partition_subalgoE8ElNS0_10empty_typeEbEEZZNS1_14partition_implILS5_8ELb0ES3_jPlPS6_PKS6_NS0_5tupleIJS9_S6_EEENSD_IJSA_SA_EEENS0_18inequality_wrapperIZN2at6native12_GLOBAL__N_124unique_dim_cuda_templateIsEESt5tupleIJNSH_6TensorESM_SM_EERKSM_lbbbEUlllE0_EEPmJS6_EEE10hipError_tPvRmT3_T4_T5_T6_T7_T9_mT8_P12ihipStream_tbDpT10_ENKUlT_T0_E_clISt17integral_constantIbLb0EES1B_IbLb1EEEEDaS17_S18_EUlS17_E_NS1_11comp_targetILNS1_3genE10ELNS1_11target_archE1200ELNS1_3gpuE4ELNS1_3repE0EEENS1_30default_config_static_selectorELNS0_4arch9wavefront6targetE0EEEvT1_
		.amdhsa_group_segment_fixed_size 0
		.amdhsa_private_segment_fixed_size 0
		.amdhsa_kernarg_size 136
		.amdhsa_user_sgpr_count 15
		.amdhsa_user_sgpr_dispatch_ptr 0
		.amdhsa_user_sgpr_queue_ptr 0
		.amdhsa_user_sgpr_kernarg_segment_ptr 1
		.amdhsa_user_sgpr_dispatch_id 0
		.amdhsa_user_sgpr_private_segment_size 0
		.amdhsa_wavefront_size32 1
		.amdhsa_uses_dynamic_stack 0
		.amdhsa_enable_private_segment 0
		.amdhsa_system_sgpr_workgroup_id_x 1
		.amdhsa_system_sgpr_workgroup_id_y 0
		.amdhsa_system_sgpr_workgroup_id_z 0
		.amdhsa_system_sgpr_workgroup_info 0
		.amdhsa_system_vgpr_workitem_id 0
		.amdhsa_next_free_vgpr 1
		.amdhsa_next_free_sgpr 1
		.amdhsa_reserve_vcc 0
		.amdhsa_float_round_mode_32 0
		.amdhsa_float_round_mode_16_64 0
		.amdhsa_float_denorm_mode_32 3
		.amdhsa_float_denorm_mode_16_64 3
		.amdhsa_dx10_clamp 1
		.amdhsa_ieee_mode 1
		.amdhsa_fp16_overflow 0
		.amdhsa_workgroup_processor_mode 1
		.amdhsa_memory_ordered 1
		.amdhsa_forward_progress 0
		.amdhsa_shared_vgpr_count 0
		.amdhsa_exception_fp_ieee_invalid_op 0
		.amdhsa_exception_fp_denorm_src 0
		.amdhsa_exception_fp_ieee_div_zero 0
		.amdhsa_exception_fp_ieee_overflow 0
		.amdhsa_exception_fp_ieee_underflow 0
		.amdhsa_exception_fp_ieee_inexact 0
		.amdhsa_exception_int_div_zero 0
	.end_amdhsa_kernel
	.section	.text._ZN7rocprim17ROCPRIM_400000_NS6detail17trampoline_kernelINS0_14default_configENS1_25partition_config_selectorILNS1_17partition_subalgoE8ElNS0_10empty_typeEbEEZZNS1_14partition_implILS5_8ELb0ES3_jPlPS6_PKS6_NS0_5tupleIJS9_S6_EEENSD_IJSA_SA_EEENS0_18inequality_wrapperIZN2at6native12_GLOBAL__N_124unique_dim_cuda_templateIsEESt5tupleIJNSH_6TensorESM_SM_EERKSM_lbbbEUlllE0_EEPmJS6_EEE10hipError_tPvRmT3_T4_T5_T6_T7_T9_mT8_P12ihipStream_tbDpT10_ENKUlT_T0_E_clISt17integral_constantIbLb0EES1B_IbLb1EEEEDaS17_S18_EUlS17_E_NS1_11comp_targetILNS1_3genE10ELNS1_11target_archE1200ELNS1_3gpuE4ELNS1_3repE0EEENS1_30default_config_static_selectorELNS0_4arch9wavefront6targetE0EEEvT1_,"axG",@progbits,_ZN7rocprim17ROCPRIM_400000_NS6detail17trampoline_kernelINS0_14default_configENS1_25partition_config_selectorILNS1_17partition_subalgoE8ElNS0_10empty_typeEbEEZZNS1_14partition_implILS5_8ELb0ES3_jPlPS6_PKS6_NS0_5tupleIJS9_S6_EEENSD_IJSA_SA_EEENS0_18inequality_wrapperIZN2at6native12_GLOBAL__N_124unique_dim_cuda_templateIsEESt5tupleIJNSH_6TensorESM_SM_EERKSM_lbbbEUlllE0_EEPmJS6_EEE10hipError_tPvRmT3_T4_T5_T6_T7_T9_mT8_P12ihipStream_tbDpT10_ENKUlT_T0_E_clISt17integral_constantIbLb0EES1B_IbLb1EEEEDaS17_S18_EUlS17_E_NS1_11comp_targetILNS1_3genE10ELNS1_11target_archE1200ELNS1_3gpuE4ELNS1_3repE0EEENS1_30default_config_static_selectorELNS0_4arch9wavefront6targetE0EEEvT1_,comdat
.Lfunc_end714:
	.size	_ZN7rocprim17ROCPRIM_400000_NS6detail17trampoline_kernelINS0_14default_configENS1_25partition_config_selectorILNS1_17partition_subalgoE8ElNS0_10empty_typeEbEEZZNS1_14partition_implILS5_8ELb0ES3_jPlPS6_PKS6_NS0_5tupleIJS9_S6_EEENSD_IJSA_SA_EEENS0_18inequality_wrapperIZN2at6native12_GLOBAL__N_124unique_dim_cuda_templateIsEESt5tupleIJNSH_6TensorESM_SM_EERKSM_lbbbEUlllE0_EEPmJS6_EEE10hipError_tPvRmT3_T4_T5_T6_T7_T9_mT8_P12ihipStream_tbDpT10_ENKUlT_T0_E_clISt17integral_constantIbLb0EES1B_IbLb1EEEEDaS17_S18_EUlS17_E_NS1_11comp_targetILNS1_3genE10ELNS1_11target_archE1200ELNS1_3gpuE4ELNS1_3repE0EEENS1_30default_config_static_selectorELNS0_4arch9wavefront6targetE0EEEvT1_, .Lfunc_end714-_ZN7rocprim17ROCPRIM_400000_NS6detail17trampoline_kernelINS0_14default_configENS1_25partition_config_selectorILNS1_17partition_subalgoE8ElNS0_10empty_typeEbEEZZNS1_14partition_implILS5_8ELb0ES3_jPlPS6_PKS6_NS0_5tupleIJS9_S6_EEENSD_IJSA_SA_EEENS0_18inequality_wrapperIZN2at6native12_GLOBAL__N_124unique_dim_cuda_templateIsEESt5tupleIJNSH_6TensorESM_SM_EERKSM_lbbbEUlllE0_EEPmJS6_EEE10hipError_tPvRmT3_T4_T5_T6_T7_T9_mT8_P12ihipStream_tbDpT10_ENKUlT_T0_E_clISt17integral_constantIbLb0EES1B_IbLb1EEEEDaS17_S18_EUlS17_E_NS1_11comp_targetILNS1_3genE10ELNS1_11target_archE1200ELNS1_3gpuE4ELNS1_3repE0EEENS1_30default_config_static_selectorELNS0_4arch9wavefront6targetE0EEEvT1_
                                        ; -- End function
	.section	.AMDGPU.csdata,"",@progbits
; Kernel info:
; codeLenInByte = 0
; NumSgprs: 0
; NumVgprs: 0
; ScratchSize: 0
; MemoryBound: 0
; FloatMode: 240
; IeeeMode: 1
; LDSByteSize: 0 bytes/workgroup (compile time only)
; SGPRBlocks: 0
; VGPRBlocks: 0
; NumSGPRsForWavesPerEU: 1
; NumVGPRsForWavesPerEU: 1
; Occupancy: 15
; WaveLimiterHint : 0
; COMPUTE_PGM_RSRC2:SCRATCH_EN: 0
; COMPUTE_PGM_RSRC2:USER_SGPR: 15
; COMPUTE_PGM_RSRC2:TRAP_HANDLER: 0
; COMPUTE_PGM_RSRC2:TGID_X_EN: 1
; COMPUTE_PGM_RSRC2:TGID_Y_EN: 0
; COMPUTE_PGM_RSRC2:TGID_Z_EN: 0
; COMPUTE_PGM_RSRC2:TIDIG_COMP_CNT: 0
	.section	.text._ZN7rocprim17ROCPRIM_400000_NS6detail17trampoline_kernelINS0_14default_configENS1_25partition_config_selectorILNS1_17partition_subalgoE8ElNS0_10empty_typeEbEEZZNS1_14partition_implILS5_8ELb0ES3_jPlPS6_PKS6_NS0_5tupleIJS9_S6_EEENSD_IJSA_SA_EEENS0_18inequality_wrapperIZN2at6native12_GLOBAL__N_124unique_dim_cuda_templateIsEESt5tupleIJNSH_6TensorESM_SM_EERKSM_lbbbEUlllE0_EEPmJS6_EEE10hipError_tPvRmT3_T4_T5_T6_T7_T9_mT8_P12ihipStream_tbDpT10_ENKUlT_T0_E_clISt17integral_constantIbLb0EES1B_IbLb1EEEEDaS17_S18_EUlS17_E_NS1_11comp_targetILNS1_3genE9ELNS1_11target_archE1100ELNS1_3gpuE3ELNS1_3repE0EEENS1_30default_config_static_selectorELNS0_4arch9wavefront6targetE0EEEvT1_,"axG",@progbits,_ZN7rocprim17ROCPRIM_400000_NS6detail17trampoline_kernelINS0_14default_configENS1_25partition_config_selectorILNS1_17partition_subalgoE8ElNS0_10empty_typeEbEEZZNS1_14partition_implILS5_8ELb0ES3_jPlPS6_PKS6_NS0_5tupleIJS9_S6_EEENSD_IJSA_SA_EEENS0_18inequality_wrapperIZN2at6native12_GLOBAL__N_124unique_dim_cuda_templateIsEESt5tupleIJNSH_6TensorESM_SM_EERKSM_lbbbEUlllE0_EEPmJS6_EEE10hipError_tPvRmT3_T4_T5_T6_T7_T9_mT8_P12ihipStream_tbDpT10_ENKUlT_T0_E_clISt17integral_constantIbLb0EES1B_IbLb1EEEEDaS17_S18_EUlS17_E_NS1_11comp_targetILNS1_3genE9ELNS1_11target_archE1100ELNS1_3gpuE3ELNS1_3repE0EEENS1_30default_config_static_selectorELNS0_4arch9wavefront6targetE0EEEvT1_,comdat
	.globl	_ZN7rocprim17ROCPRIM_400000_NS6detail17trampoline_kernelINS0_14default_configENS1_25partition_config_selectorILNS1_17partition_subalgoE8ElNS0_10empty_typeEbEEZZNS1_14partition_implILS5_8ELb0ES3_jPlPS6_PKS6_NS0_5tupleIJS9_S6_EEENSD_IJSA_SA_EEENS0_18inequality_wrapperIZN2at6native12_GLOBAL__N_124unique_dim_cuda_templateIsEESt5tupleIJNSH_6TensorESM_SM_EERKSM_lbbbEUlllE0_EEPmJS6_EEE10hipError_tPvRmT3_T4_T5_T6_T7_T9_mT8_P12ihipStream_tbDpT10_ENKUlT_T0_E_clISt17integral_constantIbLb0EES1B_IbLb1EEEEDaS17_S18_EUlS17_E_NS1_11comp_targetILNS1_3genE9ELNS1_11target_archE1100ELNS1_3gpuE3ELNS1_3repE0EEENS1_30default_config_static_selectorELNS0_4arch9wavefront6targetE0EEEvT1_ ; -- Begin function _ZN7rocprim17ROCPRIM_400000_NS6detail17trampoline_kernelINS0_14default_configENS1_25partition_config_selectorILNS1_17partition_subalgoE8ElNS0_10empty_typeEbEEZZNS1_14partition_implILS5_8ELb0ES3_jPlPS6_PKS6_NS0_5tupleIJS9_S6_EEENSD_IJSA_SA_EEENS0_18inequality_wrapperIZN2at6native12_GLOBAL__N_124unique_dim_cuda_templateIsEESt5tupleIJNSH_6TensorESM_SM_EERKSM_lbbbEUlllE0_EEPmJS6_EEE10hipError_tPvRmT3_T4_T5_T6_T7_T9_mT8_P12ihipStream_tbDpT10_ENKUlT_T0_E_clISt17integral_constantIbLb0EES1B_IbLb1EEEEDaS17_S18_EUlS17_E_NS1_11comp_targetILNS1_3genE9ELNS1_11target_archE1100ELNS1_3gpuE3ELNS1_3repE0EEENS1_30default_config_static_selectorELNS0_4arch9wavefront6targetE0EEEvT1_
	.p2align	8
	.type	_ZN7rocprim17ROCPRIM_400000_NS6detail17trampoline_kernelINS0_14default_configENS1_25partition_config_selectorILNS1_17partition_subalgoE8ElNS0_10empty_typeEbEEZZNS1_14partition_implILS5_8ELb0ES3_jPlPS6_PKS6_NS0_5tupleIJS9_S6_EEENSD_IJSA_SA_EEENS0_18inequality_wrapperIZN2at6native12_GLOBAL__N_124unique_dim_cuda_templateIsEESt5tupleIJNSH_6TensorESM_SM_EERKSM_lbbbEUlllE0_EEPmJS6_EEE10hipError_tPvRmT3_T4_T5_T6_T7_T9_mT8_P12ihipStream_tbDpT10_ENKUlT_T0_E_clISt17integral_constantIbLb0EES1B_IbLb1EEEEDaS17_S18_EUlS17_E_NS1_11comp_targetILNS1_3genE9ELNS1_11target_archE1100ELNS1_3gpuE3ELNS1_3repE0EEENS1_30default_config_static_selectorELNS0_4arch9wavefront6targetE0EEEvT1_,@function
_ZN7rocprim17ROCPRIM_400000_NS6detail17trampoline_kernelINS0_14default_configENS1_25partition_config_selectorILNS1_17partition_subalgoE8ElNS0_10empty_typeEbEEZZNS1_14partition_implILS5_8ELb0ES3_jPlPS6_PKS6_NS0_5tupleIJS9_S6_EEENSD_IJSA_SA_EEENS0_18inequality_wrapperIZN2at6native12_GLOBAL__N_124unique_dim_cuda_templateIsEESt5tupleIJNSH_6TensorESM_SM_EERKSM_lbbbEUlllE0_EEPmJS6_EEE10hipError_tPvRmT3_T4_T5_T6_T7_T9_mT8_P12ihipStream_tbDpT10_ENKUlT_T0_E_clISt17integral_constantIbLb0EES1B_IbLb1EEEEDaS17_S18_EUlS17_E_NS1_11comp_targetILNS1_3genE9ELNS1_11target_archE1100ELNS1_3gpuE3ELNS1_3repE0EEENS1_30default_config_static_selectorELNS0_4arch9wavefront6targetE0EEEvT1_: ; @_ZN7rocprim17ROCPRIM_400000_NS6detail17trampoline_kernelINS0_14default_configENS1_25partition_config_selectorILNS1_17partition_subalgoE8ElNS0_10empty_typeEbEEZZNS1_14partition_implILS5_8ELb0ES3_jPlPS6_PKS6_NS0_5tupleIJS9_S6_EEENSD_IJSA_SA_EEENS0_18inequality_wrapperIZN2at6native12_GLOBAL__N_124unique_dim_cuda_templateIsEESt5tupleIJNSH_6TensorESM_SM_EERKSM_lbbbEUlllE0_EEPmJS6_EEE10hipError_tPvRmT3_T4_T5_T6_T7_T9_mT8_P12ihipStream_tbDpT10_ENKUlT_T0_E_clISt17integral_constantIbLb0EES1B_IbLb1EEEEDaS17_S18_EUlS17_E_NS1_11comp_targetILNS1_3genE9ELNS1_11target_archE1100ELNS1_3gpuE3ELNS1_3repE0EEENS1_30default_config_static_selectorELNS0_4arch9wavefront6targetE0EEEvT1_
; %bb.0:
	s_clause 0x2
	s_load_b64 s[20:21], s[0:1], 0x28
	s_load_b256 s[8:15], s[0:1], 0x40
	s_load_b128 s[16:19], s[0:1], 0x60
	v_cmp_ne_u32_e64 s3, 0, v0
	v_cmp_eq_u32_e64 s2, 0, v0
	s_delay_alu instid0(VALU_DEP_1)
	s_and_saveexec_b32 s4, s2
	s_cbranch_execz .LBB715_4
; %bb.1:
	s_mov_b32 s6, exec_lo
	s_mov_b32 s5, exec_lo
	v_mbcnt_lo_u32_b32 v1, s6, 0
                                        ; implicit-def: $vgpr2
	s_delay_alu instid0(VALU_DEP_1)
	v_cmpx_eq_u32_e32 0, v1
	s_cbranch_execz .LBB715_3
; %bb.2:
	s_load_b64 s[22:23], s[0:1], 0x78
	s_bcnt1_i32_b32 s6, s6
	s_delay_alu instid0(SALU_CYCLE_1)
	v_dual_mov_b32 v2, 0 :: v_dual_mov_b32 v3, s6
	s_waitcnt lgkmcnt(0)
	global_atomic_add_u32 v2, v2, v3, s[22:23] glc
.LBB715_3:
	s_or_b32 exec_lo, exec_lo, s5
	s_waitcnt vmcnt(0)
	v_readfirstlane_b32 s5, v2
	s_delay_alu instid0(VALU_DEP_1)
	v_dual_mov_b32 v2, 0 :: v_dual_add_nc_u32 v1, s5, v1
	ds_store_b32 v2, v1
.LBB715_4:
	s_or_b32 exec_lo, exec_lo, s4
	v_dual_mov_b32 v2, 0 :: v_dual_lshlrev_b32 v39, 3, v0
	s_clause 0x1
	s_load_b128 s[4:7], s[0:1], 0x8
	s_load_b32 s0, s[0:1], 0x70
	s_waitcnt lgkmcnt(0)
	s_barrier
	buffer_gl0_inv
	ds_load_b32 v1, v2
	s_waitcnt lgkmcnt(0)
	s_barrier
	buffer_gl0_inv
	global_load_b64 v[3:4], v2, s[10:11]
	v_lshrrev_b32_e32 v19, 2, v0
	v_or_b32_e32 v26, 0x200, v0
	v_or_b32_e32 v25, 0x400, v0
	;; [unrolled: 1-line block ×7, first 2 shown]
	s_lshl_b64 s[10:11], s[6:7], 3
	s_delay_alu instid0(SALU_CYCLE_1)
	s_add_u32 s10, s4, s10
	s_addc_u32 s11, s5, s11
	s_add_i32 s1, s0, -1
	v_readfirstlane_b32 s23, v1
	s_lshl_b32 s4, s1, 12
	v_lshlrev_b32_e32 v1, 12, v1
	s_lshl_b32 s5, s0, 12
	s_add_i32 s0, s6, s4
	s_add_u32 s4, s6, s5
	s_addc_u32 s5, s7, 0
	v_lshlrev_b64 v[1:2], 3, v[1:2]
	v_cmp_ge_u64_e64 s4, s[4:5], s[12:13]
	s_cmp_eq_u32 s23, s1
	s_cselect_b32 s13, -1, 0
	s_delay_alu instid0(VALU_DEP_2) | instskip(NEXT) | instid1(VALU_DEP_2)
	v_add_co_u32 v17, vcc_lo, s10, v1
	s_and_b32 s1, s4, s13
	v_add_co_ci_u32_e32 v18, vcc_lo, s11, v2, vcc_lo
	s_xor_b32 s22, s1, -1
	s_mov_b32 s4, -1
	s_and_b32 vcc_lo, exec_lo, s22
	s_waitcnt vmcnt(0)
	v_readfirstlane_b32 s10, v3
	v_readfirstlane_b32 s11, v4
	s_cbranch_vccz .LBB715_6
; %bb.5:
	v_add_co_u32 v9, vcc_lo, v17, v39
	v_add_co_ci_u32_e32 v10, vcc_lo, 0, v18, vcc_lo
	v_readfirstlane_b32 s4, v17
	s_delay_alu instid0(VALU_DEP_3) | instskip(NEXT) | instid1(VALU_DEP_3)
	v_add_co_u32 v3, vcc_lo, v9, 0x2000
	v_add_co_ci_u32_e32 v4, vcc_lo, 0, v10, vcc_lo
	v_add_co_u32 v5, vcc_lo, v9, 0x4000
	v_add_co_ci_u32_e32 v6, vcc_lo, 0, v10, vcc_lo
	v_add_co_u32 v7, vcc_lo, v9, 0x6000
	v_readfirstlane_b32 s5, v18
	v_add_co_ci_u32_e32 v8, vcc_lo, 0, v10, vcc_lo
	v_add_co_u32 v9, vcc_lo, 0x7000, v9
	v_add_co_ci_u32_e32 v10, vcc_lo, 0, v10, vcc_lo
	s_clause 0x7
	global_load_b64 v[1:2], v39, s[4:5]
	global_load_b64 v[11:12], v[3:4], off offset:-4096
	global_load_b64 v[3:4], v[3:4], off
	global_load_b64 v[13:14], v[5:6], off offset:-4096
	global_load_b64 v[5:6], v[5:6], off
	global_load_b64 v[15:16], v[7:8], off offset:-4096
	global_load_b64 v[7:8], v[7:8], off
	global_load_b64 v[9:10], v[9:10], off
	v_lshrrev_b32_e32 v28, 2, v26
	v_lshrrev_b32_e32 v29, 2, v25
	;; [unrolled: 1-line block ×4, first 2 shown]
	v_and_b32_e32 v27, 0x78, v19
	v_lshrrev_b32_e32 v32, 2, v22
	v_lshrrev_b32_e32 v33, 2, v21
	;; [unrolled: 1-line block ×3, first 2 shown]
	v_and_b32_e32 v28, 0xf8, v28
	v_and_b32_e32 v29, 0x178, v29
	;; [unrolled: 1-line block ×4, first 2 shown]
	v_add_nc_u32_e32 v27, v27, v39
	v_and_b32_e32 v32, 0x2f8, v32
	v_and_b32_e32 v33, 0x378, v33
	;; [unrolled: 1-line block ×3, first 2 shown]
	v_add_nc_u32_e32 v28, v28, v39
	v_add_nc_u32_e32 v29, v29, v39
	;; [unrolled: 1-line block ×4, first 2 shown]
	s_mov_b32 s4, 0
	v_add_nc_u32_e32 v32, v32, v39
	v_add_nc_u32_e32 v33, v33, v39
	v_add_nc_u32_e32 v34, v34, v39
	s_waitcnt vmcnt(7)
	ds_store_b64 v27, v[1:2]
	s_waitcnt vmcnt(6)
	ds_store_b64 v28, v[11:12] offset:4096
	s_waitcnt vmcnt(5)
	ds_store_b64 v29, v[3:4] offset:8192
	;; [unrolled: 2-line block ×7, first 2 shown]
	s_waitcnt lgkmcnt(0)
	s_barrier
.LBB715_6:
	s_and_not1_b32 vcc_lo, exec_lo, s4
	s_sub_i32 s12, s12, s0
	s_cbranch_vccnz .LBB715_17
; %bb.7:
	s_mov_b32 s0, exec_lo
                                        ; implicit-def: $vgpr1_vgpr2_vgpr3_vgpr4_vgpr5_vgpr6_vgpr7_vgpr8_vgpr9_vgpr10_vgpr11_vgpr12_vgpr13_vgpr14_vgpr15_vgpr16
	v_cmpx_gt_u32_e64 s12, v0
	s_cbranch_execnz .LBB715_27
; %bb.8:
	s_or_b32 exec_lo, exec_lo, s0
	s_delay_alu instid0(SALU_CYCLE_1)
	s_mov_b32 s0, exec_lo
	v_cmpx_gt_u32_e64 s12, v26
	s_cbranch_execnz .LBB715_28
.LBB715_9:
	s_or_b32 exec_lo, exec_lo, s0
	s_delay_alu instid0(SALU_CYCLE_1)
	s_mov_b32 s0, exec_lo
	v_cmpx_gt_u32_e64 s12, v25
	s_cbranch_execnz .LBB715_29
.LBB715_10:
	s_or_b32 exec_lo, exec_lo, s0
	s_delay_alu instid0(SALU_CYCLE_1)
	s_mov_b32 s0, exec_lo
	v_cmpx_gt_u32_e64 s12, v24
	s_cbranch_execnz .LBB715_30
.LBB715_11:
	s_or_b32 exec_lo, exec_lo, s0
	s_delay_alu instid0(SALU_CYCLE_1)
	s_mov_b32 s0, exec_lo
	v_cmpx_gt_u32_e64 s12, v23
	s_cbranch_execnz .LBB715_31
.LBB715_12:
	s_or_b32 exec_lo, exec_lo, s0
	s_delay_alu instid0(SALU_CYCLE_1)
	s_mov_b32 s0, exec_lo
	v_cmpx_gt_u32_e64 s12, v22
	s_cbranch_execnz .LBB715_32
.LBB715_13:
	s_or_b32 exec_lo, exec_lo, s0
	s_delay_alu instid0(SALU_CYCLE_1)
	s_mov_b32 s0, exec_lo
	v_cmpx_gt_u32_e64 s12, v21
	s_cbranch_execnz .LBB715_33
.LBB715_14:
	s_or_b32 exec_lo, exec_lo, s0
	s_delay_alu instid0(SALU_CYCLE_1)
	s_mov_b32 s0, exec_lo
	v_cmpx_gt_u32_e64 s12, v20
	s_cbranch_execz .LBB715_16
.LBB715_15:
	v_lshlrev_b32_e32 v15, 3, v20
	v_readfirstlane_b32 s4, v17
	v_readfirstlane_b32 s5, v18
	global_load_b64 v[15:16], v15, s[4:5]
.LBB715_16:
	s_or_b32 exec_lo, exec_lo, s0
	v_lshrrev_b32_e32 v26, 2, v26
	v_lshrrev_b32_e32 v25, 2, v25
	;; [unrolled: 1-line block ×4, first 2 shown]
	v_and_b32_e32 v27, 0x78, v19
	v_lshrrev_b32_e32 v22, 2, v22
	v_lshrrev_b32_e32 v21, 2, v21
	v_lshrrev_b32_e32 v20, 2, v20
	v_and_b32_e32 v26, 0xf8, v26
	v_and_b32_e32 v25, 0x1f8, v25
	;; [unrolled: 1-line block ×4, first 2 shown]
	v_add_nc_u32_e32 v27, v27, v39
	v_and_b32_e32 v22, 0x3f8, v22
	v_and_b32_e32 v21, 0x3f8, v21
	;; [unrolled: 1-line block ×3, first 2 shown]
	v_add_nc_u32_e32 v26, v26, v39
	v_add_nc_u32_e32 v25, v25, v39
	;; [unrolled: 1-line block ×7, first 2 shown]
	s_waitcnt vmcnt(0)
	ds_store_b64 v27, v[1:2]
	ds_store_b64 v26, v[3:4] offset:4096
	ds_store_b64 v25, v[5:6] offset:8192
	;; [unrolled: 1-line block ×7, first 2 shown]
	s_waitcnt lgkmcnt(0)
	s_barrier
.LBB715_17:
	v_add_lshl_u32 v1, v19, v39, 3
	buffer_gl0_inv
	s_cmp_lg_u32 s23, 0
	v_cmp_gt_i64_e64 s26, s[14:15], 0
	s_cselect_b32 s24, -1, 0
	ds_load_2addr_b64 v[13:16], v1 offset1:1
	ds_load_2addr_b64 v[9:12], v1 offset0:2 offset1:3
	ds_load_2addr_b64 v[5:8], v1 offset0:4 offset1:5
	ds_load_2addr_b64 v[1:4], v1 offset0:6 offset1:7
	s_cmp_lg_u64 s[6:7], 0
	s_mov_b32 s25, 0
	s_cselect_b32 s0, -1, 0
	s_waitcnt lgkmcnt(0)
	s_or_b32 s0, s0, s24
	s_barrier
	s_and_b32 vcc_lo, exec_lo, s0
	buffer_gl0_inv
	s_cbranch_vccz .LBB715_26
; %bb.18:
	global_load_b64 v[17:18], v[17:18], off offset:-8
	v_cndmask_b32_e64 v27, 0, 1, s26
	s_and_b32 vcc_lo, exec_lo, s22
	ds_store_b64 v39, v[3:4]
	v_cmp_ne_u32_e64 s0, 1, v27
	s_cbranch_vccz .LBB715_34
; %bb.19:
	v_mul_lo_u32 v21, v2, s14
	v_mul_lo_u32 v22, v1, s15
	v_mad_u64_u32 v[19:20], null, v1, s14, 0
	s_and_b32 vcc_lo, exec_lo, s0
	s_mov_b32 s27, 0
	s_delay_alu instid0(VALU_DEP_1) | instskip(NEXT) | instid1(VALU_DEP_1)
	v_add3_u32 v20, v20, v22, v21
	v_lshlrev_b64 v[19:20], 1, v[19:20]
	s_cbranch_vccnz .LBB715_37
; %bb.20:
	v_mul_lo_u32 v23, v4, s14
	v_mul_lo_u32 v24, v3, s15
	v_mad_u64_u32 v[21:22], null, v3, s14, 0
	s_mov_b32 s27, -1
	s_mov_b32 s28, exec_lo
	s_delay_alu instid0(VALU_DEP_1) | instskip(SKIP_2) | instid1(VALU_DEP_3)
	v_add3_u32 v22, v22, v24, v23
	v_add_co_u32 v23, vcc_lo, s16, v19
	v_add_co_ci_u32_e32 v24, vcc_lo, s17, v20, vcc_lo
	v_lshlrev_b64 v[21:22], 1, v[21:22]
	s_delay_alu instid0(VALU_DEP_1) | instskip(NEXT) | instid1(VALU_DEP_2)
	v_add_co_u32 v21, vcc_lo, s16, v21
	v_add_co_ci_u32_e32 v22, vcc_lo, s17, v22, vcc_lo
	s_clause 0x1
	global_load_u16 v25, v[23:24], off
	global_load_u16 v26, v[21:22], off
	s_waitcnt vmcnt(0)
	v_cmpx_eq_u16_e64 v25, v26
	s_cbranch_execz .LBB715_36
; %bb.21:
	v_add_co_u32 v21, vcc_lo, v21, 2
	v_add_co_ci_u32_e32 v22, vcc_lo, 0, v22, vcc_lo
	v_add_co_u32 v23, vcc_lo, v23, 2
	v_add_co_ci_u32_e32 v24, vcc_lo, 0, v24, vcc_lo
	s_add_u32 s4, s14, -1
	s_addc_u32 s5, s15, -1
	s_mov_b64 s[6:7], 0
	s_mov_b32 s27, 0
                                        ; implicit-def: $sgpr29
	s_set_inst_prefetch_distance 0x1
	s_branch .LBB715_24
	.p2align	6
.LBB715_22:                             ;   in Loop: Header=BB715_24 Depth=1
	global_load_u16 v25, v[23:24], off
	global_load_u16 v26, v[21:22], off
	v_add_co_u32 v21, vcc_lo, v21, 2
	v_add_co_ci_u32_e32 v22, vcc_lo, 0, v22, vcc_lo
	v_add_co_u32 v23, s0, v23, 2
	s_delay_alu instid0(VALU_DEP_1)
	v_add_co_ci_u32_e64 v24, s0, 0, v24, s0
	s_add_u32 s6, s6, 1
	s_addc_u32 s7, s7, 0
	s_and_not1_b32 s0, s29, exec_lo
	s_waitcnt vmcnt(0)
	v_cmp_ne_u16_e32 vcc_lo, v25, v26
	s_and_b32 s29, vcc_lo, exec_lo
	s_delay_alu instid0(SALU_CYCLE_1)
	s_or_b32 s29, s0, s29
.LBB715_23:                             ;   in Loop: Header=BB715_24 Depth=1
	v_dual_mov_b32 v26, s7 :: v_dual_mov_b32 v25, s6
	s_and_b32 s0, exec_lo, s29
	s_delay_alu instid0(SALU_CYCLE_1) | instskip(NEXT) | instid1(SALU_CYCLE_1)
	s_or_b32 s27, s0, s27
	s_and_not1_b32 exec_lo, exec_lo, s27
	s_cbranch_execz .LBB715_35
.LBB715_24:                             ; =>This Inner Loop Header: Depth=1
	s_or_b32 s29, s29, exec_lo
	s_cmp_eq_u64 s[4:5], s[6:7]
	s_cbranch_scc0 .LBB715_22
; %bb.25:                               ;   in Loop: Header=BB715_24 Depth=1
	s_mov_b64 s[6:7], s[14:15]
                                        ; implicit-def: $vgpr21_vgpr22
                                        ; implicit-def: $vgpr23_vgpr24
	s_branch .LBB715_23
.LBB715_26:
                                        ; implicit-def: $sgpr0
                                        ; implicit-def: $vgpr20
	s_branch .LBB715_195
.LBB715_27:
	v_readfirstlane_b32 s4, v17
	v_readfirstlane_b32 s5, v18
	global_load_b64 v[1:2], v39, s[4:5]
	s_or_b32 exec_lo, exec_lo, s0
	s_delay_alu instid0(SALU_CYCLE_1)
	s_mov_b32 s0, exec_lo
	v_cmpx_gt_u32_e64 s12, v26
	s_cbranch_execz .LBB715_9
.LBB715_28:
	v_lshlrev_b32_e32 v3, 3, v26
	v_readfirstlane_b32 s4, v17
	v_readfirstlane_b32 s5, v18
	global_load_b64 v[3:4], v3, s[4:5]
	s_or_b32 exec_lo, exec_lo, s0
	s_delay_alu instid0(SALU_CYCLE_1)
	s_mov_b32 s0, exec_lo
	v_cmpx_gt_u32_e64 s12, v25
	s_cbranch_execz .LBB715_10
.LBB715_29:
	v_lshlrev_b32_e32 v5, 3, v25
	v_readfirstlane_b32 s4, v17
	v_readfirstlane_b32 s5, v18
	global_load_b64 v[5:6], v5, s[4:5]
	s_or_b32 exec_lo, exec_lo, s0
	s_delay_alu instid0(SALU_CYCLE_1)
	s_mov_b32 s0, exec_lo
	v_cmpx_gt_u32_e64 s12, v24
	s_cbranch_execz .LBB715_11
.LBB715_30:
	v_lshlrev_b32_e32 v7, 3, v24
	v_readfirstlane_b32 s4, v17
	v_readfirstlane_b32 s5, v18
	global_load_b64 v[7:8], v7, s[4:5]
	s_or_b32 exec_lo, exec_lo, s0
	s_delay_alu instid0(SALU_CYCLE_1)
	s_mov_b32 s0, exec_lo
	v_cmpx_gt_u32_e64 s12, v23
	s_cbranch_execz .LBB715_12
.LBB715_31:
	v_lshlrev_b32_e32 v9, 3, v23
	v_readfirstlane_b32 s4, v17
	v_readfirstlane_b32 s5, v18
	global_load_b64 v[9:10], v9, s[4:5]
	s_or_b32 exec_lo, exec_lo, s0
	s_delay_alu instid0(SALU_CYCLE_1)
	s_mov_b32 s0, exec_lo
	v_cmpx_gt_u32_e64 s12, v22
	s_cbranch_execz .LBB715_13
.LBB715_32:
	v_lshlrev_b32_e32 v11, 3, v22
	v_readfirstlane_b32 s4, v17
	v_readfirstlane_b32 s5, v18
	global_load_b64 v[11:12], v11, s[4:5]
	s_or_b32 exec_lo, exec_lo, s0
	s_delay_alu instid0(SALU_CYCLE_1)
	s_mov_b32 s0, exec_lo
	v_cmpx_gt_u32_e64 s12, v21
	s_cbranch_execz .LBB715_14
.LBB715_33:
	v_lshlrev_b32_e32 v13, 3, v21
	v_readfirstlane_b32 s4, v17
	v_readfirstlane_b32 s5, v18
	global_load_b64 v[13:14], v13, s[4:5]
	s_or_b32 exec_lo, exec_lo, s0
	s_delay_alu instid0(SALU_CYCLE_1)
	s_mov_b32 s0, exec_lo
	v_cmpx_gt_u32_e64 s12, v20
	s_cbranch_execnz .LBB715_15
	s_branch .LBB715_16
.LBB715_34:
                                        ; implicit-def: $sgpr0
                                        ; implicit-def: $vgpr20
	s_cbranch_execnz .LBB715_103
	s_branch .LBB715_194
.LBB715_35:
	s_set_inst_prefetch_distance 0x2
	s_or_b32 exec_lo, exec_lo, s27
	v_cmp_gt_i64_e32 vcc_lo, s[14:15], v[25:26]
	s_or_not1_b32 s27, vcc_lo, exec_lo
.LBB715_36:
	s_or_b32 exec_lo, exec_lo, s28
.LBB715_37:
	v_mul_lo_u32 v23, v8, s14
	v_mul_lo_u32 v24, v7, s15
	v_mad_u64_u32 v[21:22], null, v7, s14, 0
	s_and_not1_b32 vcc_lo, exec_lo, s26
	s_delay_alu instid0(VALU_DEP_1) | instskip(NEXT) | instid1(VALU_DEP_1)
	v_add3_u32 v22, v22, v24, v23
	v_lshlrev_b64 v[21:22], 1, v[21:22]
	s_cbranch_vccnz .LBB715_46
; %bb.38:
	s_delay_alu instid0(VALU_DEP_1) | instskip(NEXT) | instid1(VALU_DEP_2)
	v_add_co_u32 v23, vcc_lo, s16, v21
	v_add_co_ci_u32_e32 v24, vcc_lo, s17, v22, vcc_lo
	v_add_co_u32 v19, vcc_lo, s16, v19
	v_add_co_ci_u32_e32 v20, vcc_lo, s17, v20, vcc_lo
	s_mov_b32 s25, -1
	s_clause 0x1
	global_load_u16 v25, v[23:24], off
	global_load_u16 v26, v[19:20], off
	s_mov_b32 s28, exec_lo
	s_waitcnt vmcnt(0)
	v_cmpx_eq_u16_e64 v25, v26
	s_cbranch_execz .LBB715_45
; %bb.39:
	v_add_co_u32 v19, vcc_lo, v19, 2
	v_add_co_ci_u32_e32 v20, vcc_lo, 0, v20, vcc_lo
	v_add_co_u32 v23, vcc_lo, v23, 2
	v_add_co_ci_u32_e32 v24, vcc_lo, 0, v24, vcc_lo
	s_add_u32 s4, s14, -1
	s_addc_u32 s5, s15, -1
	s_mov_b64 s[6:7], 0
	s_mov_b32 s25, 0
                                        ; implicit-def: $sgpr29
	s_set_inst_prefetch_distance 0x1
	s_branch .LBB715_42
	.p2align	6
.LBB715_40:                             ;   in Loop: Header=BB715_42 Depth=1
	global_load_u16 v25, v[23:24], off
	global_load_u16 v26, v[19:20], off
	v_add_co_u32 v19, vcc_lo, v19, 2
	v_add_co_ci_u32_e32 v20, vcc_lo, 0, v20, vcc_lo
	v_add_co_u32 v23, s0, v23, 2
	s_delay_alu instid0(VALU_DEP_1)
	v_add_co_ci_u32_e64 v24, s0, 0, v24, s0
	s_add_u32 s6, s6, 1
	s_addc_u32 s7, s7, 0
	s_and_not1_b32 s0, s29, exec_lo
	s_waitcnt vmcnt(0)
	v_cmp_ne_u16_e32 vcc_lo, v25, v26
	s_and_b32 s29, vcc_lo, exec_lo
	s_delay_alu instid0(SALU_CYCLE_1)
	s_or_b32 s29, s0, s29
.LBB715_41:                             ;   in Loop: Header=BB715_42 Depth=1
	v_dual_mov_b32 v26, s7 :: v_dual_mov_b32 v25, s6
	s_and_b32 s0, exec_lo, s29
	s_delay_alu instid0(SALU_CYCLE_1) | instskip(NEXT) | instid1(SALU_CYCLE_1)
	s_or_b32 s25, s0, s25
	s_and_not1_b32 exec_lo, exec_lo, s25
	s_cbranch_execz .LBB715_44
.LBB715_42:                             ; =>This Inner Loop Header: Depth=1
	s_or_b32 s29, s29, exec_lo
	s_cmp_eq_u64 s[4:5], s[6:7]
	s_cbranch_scc0 .LBB715_40
; %bb.43:                               ;   in Loop: Header=BB715_42 Depth=1
	s_mov_b64 s[6:7], s[14:15]
                                        ; implicit-def: $vgpr19_vgpr20
                                        ; implicit-def: $vgpr23_vgpr24
	s_branch .LBB715_41
.LBB715_44:
	s_set_inst_prefetch_distance 0x2
	s_or_b32 exec_lo, exec_lo, s25
	v_cmp_gt_i64_e32 vcc_lo, s[14:15], v[25:26]
	s_or_not1_b32 s25, vcc_lo, exec_lo
.LBB715_45:
	s_or_b32 exec_lo, exec_lo, s28
.LBB715_46:
	v_mul_lo_u32 v23, v6, s14
	v_mul_lo_u32 v24, v5, s15
	v_mad_u64_u32 v[19:20], null, v5, s14, 0
	s_mov_b32 s28, 0
	s_and_not1_b32 vcc_lo, exec_lo, s26
	s_mov_b32 s29, 0
	s_delay_alu instid0(VALU_DEP_1) | instskip(NEXT) | instid1(VALU_DEP_1)
	v_add3_u32 v20, v20, v24, v23
	v_lshlrev_b64 v[23:24], 1, v[19:20]
	s_cbranch_vccnz .LBB715_55
; %bb.47:
	s_delay_alu instid0(VALU_DEP_1) | instskip(NEXT) | instid1(VALU_DEP_2)
	v_add_co_u32 v25, vcc_lo, s16, v23
	v_add_co_ci_u32_e32 v26, vcc_lo, s17, v24, vcc_lo
	v_add_co_u32 v19, vcc_lo, s16, v21
	v_add_co_ci_u32_e32 v20, vcc_lo, s17, v22, vcc_lo
	s_mov_b32 s29, -1
	s_clause 0x1
	global_load_u16 v21, v[25:26], off
	global_load_u16 v22, v[19:20], off
	s_mov_b32 s30, exec_lo
	s_waitcnt vmcnt(0)
	v_cmpx_eq_u16_e64 v21, v22
	s_cbranch_execz .LBB715_54
; %bb.48:
	v_add_co_u32 v19, vcc_lo, v19, 2
	v_add_co_ci_u32_e32 v20, vcc_lo, 0, v20, vcc_lo
	v_add_co_u32 v21, vcc_lo, v25, 2
	v_add_co_ci_u32_e32 v22, vcc_lo, 0, v26, vcc_lo
	s_add_u32 s4, s14, -1
	s_addc_u32 s5, s15, -1
	s_mov_b64 s[6:7], 0
	s_mov_b32 s29, 0
                                        ; implicit-def: $sgpr31
	s_set_inst_prefetch_distance 0x1
	s_branch .LBB715_51
	.p2align	6
.LBB715_49:                             ;   in Loop: Header=BB715_51 Depth=1
	global_load_u16 v25, v[21:22], off
	global_load_u16 v26, v[19:20], off
	v_add_co_u32 v19, vcc_lo, v19, 2
	v_add_co_ci_u32_e32 v20, vcc_lo, 0, v20, vcc_lo
	v_add_co_u32 v21, s0, v21, 2
	s_delay_alu instid0(VALU_DEP_1)
	v_add_co_ci_u32_e64 v22, s0, 0, v22, s0
	s_add_u32 s6, s6, 1
	s_addc_u32 s7, s7, 0
	s_and_not1_b32 s0, s31, exec_lo
	s_waitcnt vmcnt(0)
	v_cmp_ne_u16_e32 vcc_lo, v25, v26
	s_and_b32 s31, vcc_lo, exec_lo
	s_delay_alu instid0(SALU_CYCLE_1)
	s_or_b32 s31, s0, s31
.LBB715_50:                             ;   in Loop: Header=BB715_51 Depth=1
	v_dual_mov_b32 v26, s7 :: v_dual_mov_b32 v25, s6
	s_and_b32 s0, exec_lo, s31
	s_delay_alu instid0(SALU_CYCLE_1) | instskip(NEXT) | instid1(SALU_CYCLE_1)
	s_or_b32 s29, s0, s29
	s_and_not1_b32 exec_lo, exec_lo, s29
	s_cbranch_execz .LBB715_53
.LBB715_51:                             ; =>This Inner Loop Header: Depth=1
	s_or_b32 s31, s31, exec_lo
	s_cmp_eq_u64 s[4:5], s[6:7]
	s_cbranch_scc0 .LBB715_49
; %bb.52:                               ;   in Loop: Header=BB715_51 Depth=1
	s_mov_b64 s[6:7], s[14:15]
                                        ; implicit-def: $vgpr19_vgpr20
                                        ; implicit-def: $vgpr21_vgpr22
	s_branch .LBB715_50
.LBB715_53:
	s_set_inst_prefetch_distance 0x2
	s_or_b32 exec_lo, exec_lo, s29
	v_cmp_gt_i64_e32 vcc_lo, s[14:15], v[25:26]
	s_or_not1_b32 s29, vcc_lo, exec_lo
.LBB715_54:
	s_or_b32 exec_lo, exec_lo, s30
.LBB715_55:
	v_mul_lo_u32 v21, v12, s14
	v_mul_lo_u32 v22, v11, s15
	v_mad_u64_u32 v[19:20], null, v11, s14, 0
	s_and_not1_b32 vcc_lo, exec_lo, s26
	s_delay_alu instid0(VALU_DEP_1) | instskip(NEXT) | instid1(VALU_DEP_1)
	v_add3_u32 v20, v20, v22, v21
	v_lshlrev_b64 v[19:20], 1, v[19:20]
	s_cbranch_vccnz .LBB715_64
; %bb.56:
	s_delay_alu instid0(VALU_DEP_1) | instskip(NEXT) | instid1(VALU_DEP_2)
	v_add_co_u32 v25, vcc_lo, s16, v19
	v_add_co_ci_u32_e32 v26, vcc_lo, s17, v20, vcc_lo
	v_add_co_u32 v21, vcc_lo, s16, v23
	v_add_co_ci_u32_e32 v22, vcc_lo, s17, v24, vcc_lo
	s_mov_b32 s28, -1
	s_clause 0x1
	global_load_u16 v23, v[25:26], off
	global_load_u16 v24, v[21:22], off
	s_mov_b32 s30, exec_lo
	s_waitcnt vmcnt(0)
	v_cmpx_eq_u16_e64 v23, v24
	s_cbranch_execz .LBB715_63
; %bb.57:
	v_add_co_u32 v21, vcc_lo, v21, 2
	v_add_co_ci_u32_e32 v22, vcc_lo, 0, v22, vcc_lo
	v_add_co_u32 v23, vcc_lo, v25, 2
	v_add_co_ci_u32_e32 v24, vcc_lo, 0, v26, vcc_lo
	s_add_u32 s4, s14, -1
	s_addc_u32 s5, s15, -1
	s_mov_b64 s[6:7], 0
	s_mov_b32 s28, 0
                                        ; implicit-def: $sgpr31
	s_set_inst_prefetch_distance 0x1
	s_branch .LBB715_60
	.p2align	6
.LBB715_58:                             ;   in Loop: Header=BB715_60 Depth=1
	global_load_u16 v25, v[23:24], off
	global_load_u16 v26, v[21:22], off
	v_add_co_u32 v21, vcc_lo, v21, 2
	v_add_co_ci_u32_e32 v22, vcc_lo, 0, v22, vcc_lo
	v_add_co_u32 v23, s0, v23, 2
	s_delay_alu instid0(VALU_DEP_1)
	v_add_co_ci_u32_e64 v24, s0, 0, v24, s0
	s_add_u32 s6, s6, 1
	s_addc_u32 s7, s7, 0
	s_and_not1_b32 s0, s31, exec_lo
	s_waitcnt vmcnt(0)
	v_cmp_ne_u16_e32 vcc_lo, v25, v26
	s_and_b32 s31, vcc_lo, exec_lo
	s_delay_alu instid0(SALU_CYCLE_1)
	s_or_b32 s31, s0, s31
.LBB715_59:                             ;   in Loop: Header=BB715_60 Depth=1
	v_dual_mov_b32 v26, s7 :: v_dual_mov_b32 v25, s6
	s_and_b32 s0, exec_lo, s31
	s_delay_alu instid0(SALU_CYCLE_1) | instskip(NEXT) | instid1(SALU_CYCLE_1)
	s_or_b32 s28, s0, s28
	s_and_not1_b32 exec_lo, exec_lo, s28
	s_cbranch_execz .LBB715_62
.LBB715_60:                             ; =>This Inner Loop Header: Depth=1
	s_or_b32 s31, s31, exec_lo
	s_cmp_eq_u64 s[4:5], s[6:7]
	s_cbranch_scc0 .LBB715_58
; %bb.61:                               ;   in Loop: Header=BB715_60 Depth=1
	s_mov_b64 s[6:7], s[14:15]
                                        ; implicit-def: $vgpr21_vgpr22
                                        ; implicit-def: $vgpr23_vgpr24
	s_branch .LBB715_59
.LBB715_62:
	s_set_inst_prefetch_distance 0x2
	s_or_b32 exec_lo, exec_lo, s28
	v_cmp_gt_i64_e32 vcc_lo, s[14:15], v[25:26]
	s_or_not1_b32 s28, vcc_lo, exec_lo
.LBB715_63:
	s_or_b32 exec_lo, exec_lo, s30
.LBB715_64:
	v_mul_lo_u32 v23, v10, s14
	v_mul_lo_u32 v24, v9, s15
	v_mad_u64_u32 v[21:22], null, v9, s14, 0
	s_mov_b32 s30, 0
	s_and_not1_b32 vcc_lo, exec_lo, s26
	s_mov_b32 s31, 0
	s_delay_alu instid0(VALU_DEP_1) | instskip(NEXT) | instid1(VALU_DEP_1)
	v_add3_u32 v22, v22, v24, v23
	v_lshlrev_b64 v[23:24], 1, v[21:22]
	s_cbranch_vccnz .LBB715_73
; %bb.65:
	s_delay_alu instid0(VALU_DEP_1) | instskip(NEXT) | instid1(VALU_DEP_2)
	v_add_co_u32 v21, vcc_lo, s16, v23
	v_add_co_ci_u32_e32 v22, vcc_lo, s17, v24, vcc_lo
	v_add_co_u32 v19, vcc_lo, s16, v19
	v_add_co_ci_u32_e32 v20, vcc_lo, s17, v20, vcc_lo
	s_mov_b32 s31, -1
	s_clause 0x1
	global_load_u16 v25, v[21:22], off
	global_load_u16 v26, v[19:20], off
	s_mov_b32 s33, exec_lo
	s_waitcnt vmcnt(0)
	v_cmpx_eq_u16_e64 v25, v26
	s_cbranch_execz .LBB715_72
; %bb.66:
	v_add_co_u32 v19, vcc_lo, v19, 2
	v_add_co_ci_u32_e32 v20, vcc_lo, 0, v20, vcc_lo
	v_add_co_u32 v21, vcc_lo, v21, 2
	v_add_co_ci_u32_e32 v22, vcc_lo, 0, v22, vcc_lo
	s_add_u32 s4, s14, -1
	s_addc_u32 s5, s15, -1
	s_mov_b64 s[6:7], 0
	s_mov_b32 s31, 0
                                        ; implicit-def: $sgpr34
	s_set_inst_prefetch_distance 0x1
	s_branch .LBB715_69
	.p2align	6
.LBB715_67:                             ;   in Loop: Header=BB715_69 Depth=1
	global_load_u16 v25, v[21:22], off
	global_load_u16 v26, v[19:20], off
	v_add_co_u32 v19, vcc_lo, v19, 2
	v_add_co_ci_u32_e32 v20, vcc_lo, 0, v20, vcc_lo
	v_add_co_u32 v21, s0, v21, 2
	s_delay_alu instid0(VALU_DEP_1)
	v_add_co_ci_u32_e64 v22, s0, 0, v22, s0
	s_add_u32 s6, s6, 1
	s_addc_u32 s7, s7, 0
	s_and_not1_b32 s0, s34, exec_lo
	s_waitcnt vmcnt(0)
	v_cmp_ne_u16_e32 vcc_lo, v25, v26
	s_and_b32 s34, vcc_lo, exec_lo
	s_delay_alu instid0(SALU_CYCLE_1)
	s_or_b32 s34, s0, s34
.LBB715_68:                             ;   in Loop: Header=BB715_69 Depth=1
	v_dual_mov_b32 v26, s7 :: v_dual_mov_b32 v25, s6
	s_and_b32 s0, exec_lo, s34
	s_delay_alu instid0(SALU_CYCLE_1) | instskip(NEXT) | instid1(SALU_CYCLE_1)
	s_or_b32 s31, s0, s31
	s_and_not1_b32 exec_lo, exec_lo, s31
	s_cbranch_execz .LBB715_71
.LBB715_69:                             ; =>This Inner Loop Header: Depth=1
	s_or_b32 s34, s34, exec_lo
	s_cmp_eq_u64 s[4:5], s[6:7]
	s_cbranch_scc0 .LBB715_67
; %bb.70:                               ;   in Loop: Header=BB715_69 Depth=1
	s_mov_b64 s[6:7], s[14:15]
                                        ; implicit-def: $vgpr19_vgpr20
                                        ; implicit-def: $vgpr21_vgpr22
	s_branch .LBB715_68
.LBB715_71:
	s_set_inst_prefetch_distance 0x2
	s_or_b32 exec_lo, exec_lo, s31
	v_cmp_gt_i64_e32 vcc_lo, s[14:15], v[25:26]
	s_or_not1_b32 s31, vcc_lo, exec_lo
.LBB715_72:
	s_or_b32 exec_lo, exec_lo, s33
.LBB715_73:
	v_mul_lo_u32 v21, v16, s14
	v_mul_lo_u32 v22, v15, s15
	v_mad_u64_u32 v[19:20], null, v15, s14, 0
	s_and_not1_b32 vcc_lo, exec_lo, s26
	s_delay_alu instid0(VALU_DEP_1) | instskip(NEXT) | instid1(VALU_DEP_1)
	v_add3_u32 v20, v20, v22, v21
	v_lshlrev_b64 v[21:22], 1, v[19:20]
	s_cbranch_vccnz .LBB715_82
; %bb.74:
	s_delay_alu instid0(VALU_DEP_1) | instskip(NEXT) | instid1(VALU_DEP_2)
	v_add_co_u32 v25, vcc_lo, s16, v21
	v_add_co_ci_u32_e32 v26, vcc_lo, s17, v22, vcc_lo
	v_add_co_u32 v19, vcc_lo, s16, v23
	v_add_co_ci_u32_e32 v20, vcc_lo, s17, v24, vcc_lo
	s_mov_b32 s30, -1
	s_clause 0x1
	global_load_u16 v23, v[25:26], off
	global_load_u16 v24, v[19:20], off
	s_mov_b32 s33, exec_lo
	s_waitcnt vmcnt(0)
	v_cmpx_eq_u16_e64 v23, v24
	s_cbranch_execz .LBB715_81
; %bb.75:
	v_add_co_u32 v19, vcc_lo, v19, 2
	v_add_co_ci_u32_e32 v20, vcc_lo, 0, v20, vcc_lo
	v_add_co_u32 v23, vcc_lo, v25, 2
	v_add_co_ci_u32_e32 v24, vcc_lo, 0, v26, vcc_lo
	s_add_u32 s4, s14, -1
	s_addc_u32 s5, s15, -1
	s_mov_b64 s[6:7], 0
	s_mov_b32 s30, 0
                                        ; implicit-def: $sgpr34
	s_set_inst_prefetch_distance 0x1
	s_branch .LBB715_78
	.p2align	6
.LBB715_76:                             ;   in Loop: Header=BB715_78 Depth=1
	global_load_u16 v25, v[23:24], off
	global_load_u16 v26, v[19:20], off
	v_add_co_u32 v19, vcc_lo, v19, 2
	v_add_co_ci_u32_e32 v20, vcc_lo, 0, v20, vcc_lo
	v_add_co_u32 v23, s0, v23, 2
	s_delay_alu instid0(VALU_DEP_1)
	v_add_co_ci_u32_e64 v24, s0, 0, v24, s0
	s_add_u32 s6, s6, 1
	s_addc_u32 s7, s7, 0
	s_and_not1_b32 s0, s34, exec_lo
	s_waitcnt vmcnt(0)
	v_cmp_ne_u16_e32 vcc_lo, v25, v26
	s_and_b32 s34, vcc_lo, exec_lo
	s_delay_alu instid0(SALU_CYCLE_1)
	s_or_b32 s34, s0, s34
.LBB715_77:                             ;   in Loop: Header=BB715_78 Depth=1
	v_dual_mov_b32 v26, s7 :: v_dual_mov_b32 v25, s6
	s_and_b32 s0, exec_lo, s34
	s_delay_alu instid0(SALU_CYCLE_1) | instskip(NEXT) | instid1(SALU_CYCLE_1)
	s_or_b32 s30, s0, s30
	s_and_not1_b32 exec_lo, exec_lo, s30
	s_cbranch_execz .LBB715_80
.LBB715_78:                             ; =>This Inner Loop Header: Depth=1
	s_or_b32 s34, s34, exec_lo
	s_cmp_eq_u64 s[4:5], s[6:7]
	s_cbranch_scc0 .LBB715_76
; %bb.79:                               ;   in Loop: Header=BB715_78 Depth=1
	s_mov_b64 s[6:7], s[14:15]
                                        ; implicit-def: $vgpr19_vgpr20
                                        ; implicit-def: $vgpr23_vgpr24
	s_branch .LBB715_77
.LBB715_80:
	s_set_inst_prefetch_distance 0x2
	s_or_b32 exec_lo, exec_lo, s30
	v_cmp_gt_i64_e32 vcc_lo, s[14:15], v[25:26]
	s_or_not1_b32 s30, vcc_lo, exec_lo
.LBB715_81:
	s_or_b32 exec_lo, exec_lo, s33
.LBB715_82:
	v_mul_lo_u32 v23, v14, s14
	v_mul_lo_u32 v24, v13, s15
	v_mad_u64_u32 v[19:20], null, v13, s14, 0
	s_and_not1_b32 vcc_lo, exec_lo, s26
	s_mov_b32 s0, 0
	s_delay_alu instid0(VALU_DEP_1) | instskip(NEXT) | instid1(VALU_DEP_1)
	v_add3_u32 v20, v20, v24, v23
	v_lshlrev_b64 v[19:20], 1, v[19:20]
	s_cbranch_vccnz .LBB715_91
; %bb.83:
	s_delay_alu instid0(VALU_DEP_1) | instskip(NEXT) | instid1(VALU_DEP_2)
	v_add_co_u32 v23, vcc_lo, s16, v19
	v_add_co_ci_u32_e32 v24, vcc_lo, s17, v20, vcc_lo
	v_add_co_u32 v21, vcc_lo, s16, v21
	v_add_co_ci_u32_e32 v22, vcc_lo, s17, v22, vcc_lo
	s_mov_b32 s0, -1
	s_clause 0x1
	global_load_u16 v25, v[23:24], off
	global_load_u16 v26, v[21:22], off
	s_mov_b32 s33, exec_lo
	s_waitcnt vmcnt(0)
	v_cmpx_eq_u16_e64 v25, v26
	s_cbranch_execz .LBB715_90
; %bb.84:
	v_add_co_u32 v21, vcc_lo, v21, 2
	v_add_co_ci_u32_e32 v22, vcc_lo, 0, v22, vcc_lo
	v_add_co_u32 v23, vcc_lo, v23, 2
	v_add_co_ci_u32_e32 v24, vcc_lo, 0, v24, vcc_lo
	s_add_u32 s4, s14, -1
	s_addc_u32 s5, s15, -1
	s_mov_b64 s[6:7], 0
	s_mov_b32 s34, 0
                                        ; implicit-def: $sgpr35
	s_set_inst_prefetch_distance 0x1
	s_branch .LBB715_87
	.p2align	6
.LBB715_85:                             ;   in Loop: Header=BB715_87 Depth=1
	global_load_u16 v25, v[23:24], off
	global_load_u16 v26, v[21:22], off
	v_add_co_u32 v21, vcc_lo, v21, 2
	v_add_co_ci_u32_e32 v22, vcc_lo, 0, v22, vcc_lo
	v_add_co_u32 v23, s0, v23, 2
	s_delay_alu instid0(VALU_DEP_1)
	v_add_co_ci_u32_e64 v24, s0, 0, v24, s0
	s_add_u32 s6, s6, 1
	s_addc_u32 s7, s7, 0
	s_and_not1_b32 s0, s35, exec_lo
	s_waitcnt vmcnt(0)
	v_cmp_ne_u16_e32 vcc_lo, v25, v26
	s_and_b32 s35, vcc_lo, exec_lo
	s_delay_alu instid0(SALU_CYCLE_1)
	s_or_b32 s35, s0, s35
.LBB715_86:                             ;   in Loop: Header=BB715_87 Depth=1
	v_dual_mov_b32 v26, s7 :: v_dual_mov_b32 v25, s6
	s_and_b32 s0, exec_lo, s35
	s_delay_alu instid0(SALU_CYCLE_1) | instskip(NEXT) | instid1(SALU_CYCLE_1)
	s_or_b32 s34, s0, s34
	s_and_not1_b32 exec_lo, exec_lo, s34
	s_cbranch_execz .LBB715_89
.LBB715_87:                             ; =>This Inner Loop Header: Depth=1
	s_or_b32 s35, s35, exec_lo
	s_cmp_eq_u64 s[4:5], s[6:7]
	s_cbranch_scc0 .LBB715_85
; %bb.88:                               ;   in Loop: Header=BB715_87 Depth=1
	s_mov_b64 s[6:7], s[14:15]
                                        ; implicit-def: $vgpr21_vgpr22
                                        ; implicit-def: $vgpr23_vgpr24
	s_branch .LBB715_86
.LBB715_89:
	s_set_inst_prefetch_distance 0x2
	s_or_b32 exec_lo, exec_lo, s34
	v_cmp_gt_i64_e32 vcc_lo, s[14:15], v[25:26]
	s_or_not1_b32 s0, vcc_lo, exec_lo
.LBB715_90:
	s_or_b32 exec_lo, exec_lo, s33
.LBB715_91:
	s_waitcnt vmcnt(0)
	v_dual_mov_b32 v22, v18 :: v_dual_mov_b32 v21, v17
	s_waitcnt lgkmcnt(0)
	s_barrier
	buffer_gl0_inv
	s_and_saveexec_b32 s4, s3
	s_cbranch_execz .LBB715_93
; %bb.92:
	v_add_nc_u32_e32 v21, -8, v39
	ds_load_b64 v[21:22], v21
.LBB715_93:
	s_or_b32 exec_lo, exec_lo, s4
	v_cndmask_b32_e64 v24, 0, 1, s31
	v_cndmask_b32_e64 v26, 0, 1, s29
	v_cndmask_b32_e64 v28, 0, 1, s27
	v_cndmask_b32_e64 v23, 0, 1, s30
	v_cndmask_b32_e64 v25, 0, 1, s28
	v_cndmask_b32_e64 v29, 0, 1, s0
	v_cndmask_b32_e64 v30, 0, 1, s25
	v_lshlrev_b16 v24, 8, v24
	v_lshlrev_b16 v26, 8, v26
	;; [unrolled: 1-line block ×4, first 2 shown]
	s_mov_b32 s25, 0
	v_or_b32_e32 v23, v23, v24
	v_or_b32_e32 v24, v25, v26
	;; [unrolled: 1-line block ×3, first 2 shown]
	v_and_b32_e32 v25, 0xffff, v29
	s_and_not1_b32 vcc_lo, exec_lo, s26
	v_lshlrev_b32_e32 v26, 16, v23
	v_and_b32_e32 v28, 0xffff, v24
	v_lshlrev_b32_e32 v29, 16, v30
	s_mov_b32 s0, 0
	s_cbranch_vccnz .LBB715_102
; %bb.94:
	s_waitcnt lgkmcnt(0)
	v_mul_lo_u32 v24, v22, s14
	v_mul_lo_u32 v30, v21, s15
	v_mad_u64_u32 v[22:23], null, v21, s14, 0
	s_mov_b32 s0, -1
	s_mov_b32 s27, exec_lo
	s_delay_alu instid0(VALU_DEP_1) | instskip(NEXT) | instid1(VALU_DEP_1)
	v_add3_u32 v23, v23, v30, v24
	v_lshlrev_b64 v[21:22], 1, v[22:23]
	s_delay_alu instid0(VALU_DEP_1) | instskip(NEXT) | instid1(VALU_DEP_2)
	v_add_co_u32 v21, vcc_lo, s16, v21
	v_add_co_ci_u32_e32 v22, vcc_lo, s17, v22, vcc_lo
	v_add_co_u32 v19, vcc_lo, s16, v19
	v_add_co_ci_u32_e32 v20, vcc_lo, s17, v20, vcc_lo
	s_clause 0x1
	global_load_u16 v23, v[21:22], off
	global_load_u16 v24, v[19:20], off
	s_waitcnt vmcnt(0)
	v_cmpx_eq_u16_e64 v23, v24
	s_cbranch_execz .LBB715_101
; %bb.95:
	v_add_co_u32 v19, vcc_lo, v19, 2
	v_add_co_ci_u32_e32 v20, vcc_lo, 0, v20, vcc_lo
	v_add_co_u32 v21, vcc_lo, v21, 2
	v_add_co_ci_u32_e32 v22, vcc_lo, 0, v22, vcc_lo
	s_add_u32 s4, s14, -1
	s_addc_u32 s5, s15, -1
	s_mov_b64 s[6:7], 0
	s_mov_b32 s28, 0
                                        ; implicit-def: $sgpr29
	s_set_inst_prefetch_distance 0x1
	s_branch .LBB715_98
	.p2align	6
.LBB715_96:                             ;   in Loop: Header=BB715_98 Depth=1
	global_load_u16 v23, v[21:22], off
	global_load_u16 v24, v[19:20], off
	v_add_co_u32 v19, vcc_lo, v19, 2
	v_add_co_ci_u32_e32 v20, vcc_lo, 0, v20, vcc_lo
	v_add_co_u32 v21, s0, v21, 2
	s_delay_alu instid0(VALU_DEP_1)
	v_add_co_ci_u32_e64 v22, s0, 0, v22, s0
	s_add_u32 s6, s6, 1
	s_addc_u32 s7, s7, 0
	s_and_not1_b32 s0, s29, exec_lo
	s_waitcnt vmcnt(0)
	v_cmp_ne_u16_e32 vcc_lo, v23, v24
	s_and_b32 s29, vcc_lo, exec_lo
	s_delay_alu instid0(SALU_CYCLE_1)
	s_or_b32 s29, s0, s29
.LBB715_97:                             ;   in Loop: Header=BB715_98 Depth=1
	v_dual_mov_b32 v24, s7 :: v_dual_mov_b32 v23, s6
	s_and_b32 s0, exec_lo, s29
	s_delay_alu instid0(SALU_CYCLE_1) | instskip(NEXT) | instid1(SALU_CYCLE_1)
	s_or_b32 s28, s0, s28
	s_and_not1_b32 exec_lo, exec_lo, s28
	s_cbranch_execz .LBB715_100
.LBB715_98:                             ; =>This Inner Loop Header: Depth=1
	s_or_b32 s29, s29, exec_lo
	s_cmp_eq_u64 s[4:5], s[6:7]
	s_cbranch_scc0 .LBB715_96
; %bb.99:                               ;   in Loop: Header=BB715_98 Depth=1
	s_mov_b64 s[6:7], s[14:15]
                                        ; implicit-def: $vgpr19_vgpr20
                                        ; implicit-def: $vgpr21_vgpr22
	s_branch .LBB715_97
.LBB715_100:
	s_set_inst_prefetch_distance 0x2
	s_or_b32 exec_lo, exec_lo, s28
	v_cmp_gt_i64_e32 vcc_lo, s[14:15], v[23:24]
	s_or_not1_b32 s0, vcc_lo, exec_lo
.LBB715_101:
	s_or_b32 exec_lo, exec_lo, s27
.LBB715_102:
	v_or_b32_e32 v19, v25, v26
	s_delay_alu instid0(VALU_DEP_2)
	v_or_b32_e32 v20, v28, v29
	s_and_b32 vcc_lo, exec_lo, s25
	s_cbranch_vccz .LBB715_194
.LBB715_103:
	v_or_b32_e32 v19, 7, v39
	s_mov_b32 s25, 0
	s_mov_b32 s27, 0
	s_mov_b32 s28, exec_lo
	s_delay_alu instid0(VALU_DEP_1)
	v_cmpx_gt_u32_e64 s12, v19
	s_cbranch_execz .LBB715_114
; %bb.104:
	s_and_not1_b32 vcc_lo, exec_lo, s26
	s_mov_b32 s0, 0
	s_cbranch_vccnz .LBB715_113
; %bb.105:
	v_mul_lo_u32 v23, v2, s14
	v_mul_lo_u32 v24, v1, s15
	v_mad_u64_u32 v[19:20], null, v1, s14, 0
	v_mul_lo_u32 v25, v4, s14
	v_mul_lo_u32 v26, v3, s15
	s_waitcnt lgkmcnt(0)
	v_mad_u64_u32 v[21:22], null, v3, s14, 0
	s_mov_b32 s0, -1
	s_mov_b32 s26, exec_lo
	s_delay_alu instid0(VALU_DEP_4) | instskip(NEXT) | instid1(VALU_DEP_2)
	v_add3_u32 v20, v20, v24, v23
	v_add3_u32 v22, v22, v26, v25
	s_delay_alu instid0(VALU_DEP_2) | instskip(NEXT) | instid1(VALU_DEP_2)
	v_lshlrev_b64 v[19:20], 1, v[19:20]
	v_lshlrev_b64 v[23:24], 1, v[21:22]
	s_delay_alu instid0(VALU_DEP_2) | instskip(NEXT) | instid1(VALU_DEP_3)
	v_add_co_u32 v21, vcc_lo, s16, v19
	v_add_co_ci_u32_e32 v22, vcc_lo, s17, v20, vcc_lo
	s_delay_alu instid0(VALU_DEP_3) | instskip(NEXT) | instid1(VALU_DEP_4)
	v_add_co_u32 v19, vcc_lo, s16, v23
	v_add_co_ci_u32_e32 v20, vcc_lo, s17, v24, vcc_lo
	s_clause 0x1
	global_load_u16 v23, v[21:22], off
	global_load_u16 v24, v[19:20], off
	s_waitcnt vmcnt(0)
	v_cmpx_eq_u16_e64 v23, v24
	s_cbranch_execz .LBB715_112
; %bb.106:
	v_add_co_u32 v19, vcc_lo, v19, 2
	v_add_co_ci_u32_e32 v20, vcc_lo, 0, v20, vcc_lo
	v_add_co_u32 v21, vcc_lo, v21, 2
	v_add_co_ci_u32_e32 v22, vcc_lo, 0, v22, vcc_lo
	s_add_u32 s4, s14, -1
	s_addc_u32 s5, s15, -1
	s_mov_b64 s[6:7], 0
                                        ; implicit-def: $sgpr29
	s_set_inst_prefetch_distance 0x1
	s_branch .LBB715_109
	.p2align	6
.LBB715_107:                            ;   in Loop: Header=BB715_109 Depth=1
	global_load_u16 v23, v[21:22], off
	global_load_u16 v24, v[19:20], off
	v_add_co_u32 v19, vcc_lo, v19, 2
	v_add_co_ci_u32_e32 v20, vcc_lo, 0, v20, vcc_lo
	v_add_co_u32 v21, s0, v21, 2
	s_delay_alu instid0(VALU_DEP_1)
	v_add_co_ci_u32_e64 v22, s0, 0, v22, s0
	s_add_u32 s6, s6, 1
	s_addc_u32 s7, s7, 0
	s_and_not1_b32 s0, s29, exec_lo
	s_waitcnt vmcnt(0)
	v_cmp_ne_u16_e32 vcc_lo, v23, v24
	s_and_b32 s29, vcc_lo, exec_lo
	s_delay_alu instid0(SALU_CYCLE_1)
	s_or_b32 s29, s0, s29
.LBB715_108:                            ;   in Loop: Header=BB715_109 Depth=1
	v_dual_mov_b32 v24, s7 :: v_dual_mov_b32 v23, s6
	s_and_b32 s0, exec_lo, s29
	s_delay_alu instid0(SALU_CYCLE_1) | instskip(NEXT) | instid1(SALU_CYCLE_1)
	s_or_b32 s27, s0, s27
	s_and_not1_b32 exec_lo, exec_lo, s27
	s_cbranch_execz .LBB715_111
.LBB715_109:                            ; =>This Inner Loop Header: Depth=1
	s_or_b32 s29, s29, exec_lo
	s_cmp_eq_u64 s[4:5], s[6:7]
	s_cbranch_scc0 .LBB715_107
; %bb.110:                              ;   in Loop: Header=BB715_109 Depth=1
	s_mov_b64 s[6:7], s[14:15]
                                        ; implicit-def: $vgpr19_vgpr20
                                        ; implicit-def: $vgpr21_vgpr22
	s_branch .LBB715_108
.LBB715_111:
	s_set_inst_prefetch_distance 0x2
	s_or_b32 exec_lo, exec_lo, s27
	v_cmp_gt_i64_e32 vcc_lo, s[14:15], v[23:24]
	s_or_not1_b32 s0, vcc_lo, exec_lo
.LBB715_112:
	s_or_b32 exec_lo, exec_lo, s26
.LBB715_113:
	s_delay_alu instid0(SALU_CYCLE_1)
	s_and_b32 s27, s0, exec_lo
.LBB715_114:
	s_or_b32 exec_lo, exec_lo, s28
	v_or_b32_e32 v19, 6, v39
	s_mov_b32 s26, exec_lo
	s_delay_alu instid0(VALU_DEP_1)
	v_cmpx_gt_u32_e64 s12, v19
	s_cbranch_execz .LBB715_125
; %bb.115:
	v_cmp_ne_u32_e32 vcc_lo, 1, v27
	s_mov_b32 s0, 0
	s_cbranch_vccnz .LBB715_124
; %bb.116:
	v_mul_lo_u32 v23, v8, s14
	v_mul_lo_u32 v24, v7, s15
	v_mad_u64_u32 v[19:20], null, v7, s14, 0
	v_mul_lo_u32 v25, v2, s14
	v_mul_lo_u32 v26, v1, s15
	s_waitcnt lgkmcnt(0)
	v_mad_u64_u32 v[21:22], null, v1, s14, 0
	s_mov_b32 s0, -1
	s_mov_b32 s25, exec_lo
	s_delay_alu instid0(VALU_DEP_4) | instskip(NEXT) | instid1(VALU_DEP_2)
	v_add3_u32 v20, v20, v24, v23
	v_add3_u32 v22, v22, v26, v25
	s_delay_alu instid0(VALU_DEP_2) | instskip(NEXT) | instid1(VALU_DEP_2)
	v_lshlrev_b64 v[19:20], 1, v[19:20]
	v_lshlrev_b64 v[23:24], 1, v[21:22]
	s_delay_alu instid0(VALU_DEP_2) | instskip(NEXT) | instid1(VALU_DEP_3)
	v_add_co_u32 v21, vcc_lo, s16, v19
	v_add_co_ci_u32_e32 v22, vcc_lo, s17, v20, vcc_lo
	s_delay_alu instid0(VALU_DEP_3) | instskip(NEXT) | instid1(VALU_DEP_4)
	v_add_co_u32 v19, vcc_lo, s16, v23
	v_add_co_ci_u32_e32 v20, vcc_lo, s17, v24, vcc_lo
	s_clause 0x1
	global_load_u16 v23, v[21:22], off
	global_load_u16 v24, v[19:20], off
	s_waitcnt vmcnt(0)
	v_cmpx_eq_u16_e64 v23, v24
	s_cbranch_execz .LBB715_123
; %bb.117:
	v_add_co_u32 v19, vcc_lo, v19, 2
	v_add_co_ci_u32_e32 v20, vcc_lo, 0, v20, vcc_lo
	v_add_co_u32 v21, vcc_lo, v21, 2
	v_add_co_ci_u32_e32 v22, vcc_lo, 0, v22, vcc_lo
	s_add_u32 s4, s14, -1
	s_addc_u32 s5, s15, -1
	s_mov_b64 s[6:7], 0
	s_mov_b32 s28, 0
                                        ; implicit-def: $sgpr29
	s_set_inst_prefetch_distance 0x1
	s_branch .LBB715_120
	.p2align	6
.LBB715_118:                            ;   in Loop: Header=BB715_120 Depth=1
	global_load_u16 v23, v[21:22], off
	global_load_u16 v24, v[19:20], off
	v_add_co_u32 v19, vcc_lo, v19, 2
	v_add_co_ci_u32_e32 v20, vcc_lo, 0, v20, vcc_lo
	v_add_co_u32 v21, s0, v21, 2
	s_delay_alu instid0(VALU_DEP_1)
	v_add_co_ci_u32_e64 v22, s0, 0, v22, s0
	s_add_u32 s6, s6, 1
	s_addc_u32 s7, s7, 0
	s_and_not1_b32 s0, s29, exec_lo
	s_waitcnt vmcnt(0)
	v_cmp_ne_u16_e32 vcc_lo, v23, v24
	s_and_b32 s29, vcc_lo, exec_lo
	s_delay_alu instid0(SALU_CYCLE_1)
	s_or_b32 s29, s0, s29
.LBB715_119:                            ;   in Loop: Header=BB715_120 Depth=1
	v_dual_mov_b32 v24, s7 :: v_dual_mov_b32 v23, s6
	s_and_b32 s0, exec_lo, s29
	s_delay_alu instid0(SALU_CYCLE_1) | instskip(NEXT) | instid1(SALU_CYCLE_1)
	s_or_b32 s28, s0, s28
	s_and_not1_b32 exec_lo, exec_lo, s28
	s_cbranch_execz .LBB715_122
.LBB715_120:                            ; =>This Inner Loop Header: Depth=1
	s_or_b32 s29, s29, exec_lo
	s_cmp_eq_u64 s[4:5], s[6:7]
	s_cbranch_scc0 .LBB715_118
; %bb.121:                              ;   in Loop: Header=BB715_120 Depth=1
	s_mov_b64 s[6:7], s[14:15]
                                        ; implicit-def: $vgpr19_vgpr20
                                        ; implicit-def: $vgpr21_vgpr22
	s_branch .LBB715_119
.LBB715_122:
	s_set_inst_prefetch_distance 0x2
	s_or_b32 exec_lo, exec_lo, s28
	v_cmp_gt_i64_e32 vcc_lo, s[14:15], v[23:24]
	s_or_not1_b32 s0, vcc_lo, exec_lo
.LBB715_123:
	s_or_b32 exec_lo, exec_lo, s25
.LBB715_124:
	s_delay_alu instid0(SALU_CYCLE_1)
	s_and_b32 s25, s0, exec_lo
.LBB715_125:
	s_or_b32 exec_lo, exec_lo, s26
	v_or_b32_e32 v19, 5, v39
	s_mov_b32 s28, 0
	s_mov_b32 s26, 0
	s_mov_b32 s29, exec_lo
	s_delay_alu instid0(VALU_DEP_1)
	v_cmpx_gt_u32_e64 s12, v19
	s_cbranch_execz .LBB715_136
; %bb.126:
	v_cmp_ne_u32_e32 vcc_lo, 1, v27
	s_mov_b32 s0, 0
	s_cbranch_vccnz .LBB715_135
; %bb.127:
	v_mul_lo_u32 v23, v6, s14
	v_mul_lo_u32 v24, v5, s15
	v_mad_u64_u32 v[19:20], null, v5, s14, 0
	v_mul_lo_u32 v25, v8, s14
	v_mul_lo_u32 v26, v7, s15
	s_waitcnt lgkmcnt(0)
	v_mad_u64_u32 v[21:22], null, v7, s14, 0
	s_mov_b32 s0, -1
	s_mov_b32 s26, exec_lo
	s_delay_alu instid0(VALU_DEP_4) | instskip(NEXT) | instid1(VALU_DEP_2)
	v_add3_u32 v20, v20, v24, v23
	v_add3_u32 v22, v22, v26, v25
	s_delay_alu instid0(VALU_DEP_2) | instskip(NEXT) | instid1(VALU_DEP_2)
	v_lshlrev_b64 v[19:20], 1, v[19:20]
	v_lshlrev_b64 v[23:24], 1, v[21:22]
	s_delay_alu instid0(VALU_DEP_2) | instskip(NEXT) | instid1(VALU_DEP_3)
	v_add_co_u32 v21, vcc_lo, s16, v19
	v_add_co_ci_u32_e32 v22, vcc_lo, s17, v20, vcc_lo
	s_delay_alu instid0(VALU_DEP_3) | instskip(NEXT) | instid1(VALU_DEP_4)
	v_add_co_u32 v19, vcc_lo, s16, v23
	v_add_co_ci_u32_e32 v20, vcc_lo, s17, v24, vcc_lo
	s_clause 0x1
	global_load_u16 v23, v[21:22], off
	global_load_u16 v24, v[19:20], off
	s_waitcnt vmcnt(0)
	v_cmpx_eq_u16_e64 v23, v24
	s_cbranch_execz .LBB715_134
; %bb.128:
	v_add_co_u32 v19, vcc_lo, v19, 2
	v_add_co_ci_u32_e32 v20, vcc_lo, 0, v20, vcc_lo
	v_add_co_u32 v21, vcc_lo, v21, 2
	v_add_co_ci_u32_e32 v22, vcc_lo, 0, v22, vcc_lo
	s_add_u32 s4, s14, -1
	s_addc_u32 s5, s15, -1
	s_mov_b64 s[6:7], 0
	s_mov_b32 s30, 0
                                        ; implicit-def: $sgpr31
	s_set_inst_prefetch_distance 0x1
	s_branch .LBB715_131
	.p2align	6
.LBB715_129:                            ;   in Loop: Header=BB715_131 Depth=1
	global_load_u16 v23, v[21:22], off
	global_load_u16 v24, v[19:20], off
	v_add_co_u32 v19, vcc_lo, v19, 2
	v_add_co_ci_u32_e32 v20, vcc_lo, 0, v20, vcc_lo
	v_add_co_u32 v21, s0, v21, 2
	s_delay_alu instid0(VALU_DEP_1)
	v_add_co_ci_u32_e64 v22, s0, 0, v22, s0
	s_add_u32 s6, s6, 1
	s_addc_u32 s7, s7, 0
	s_and_not1_b32 s0, s31, exec_lo
	s_waitcnt vmcnt(0)
	v_cmp_ne_u16_e32 vcc_lo, v23, v24
	s_and_b32 s31, vcc_lo, exec_lo
	s_delay_alu instid0(SALU_CYCLE_1)
	s_or_b32 s31, s0, s31
.LBB715_130:                            ;   in Loop: Header=BB715_131 Depth=1
	v_dual_mov_b32 v24, s7 :: v_dual_mov_b32 v23, s6
	s_and_b32 s0, exec_lo, s31
	s_delay_alu instid0(SALU_CYCLE_1) | instskip(NEXT) | instid1(SALU_CYCLE_1)
	s_or_b32 s30, s0, s30
	s_and_not1_b32 exec_lo, exec_lo, s30
	s_cbranch_execz .LBB715_133
.LBB715_131:                            ; =>This Inner Loop Header: Depth=1
	s_or_b32 s31, s31, exec_lo
	s_cmp_eq_u64 s[4:5], s[6:7]
	s_cbranch_scc0 .LBB715_129
; %bb.132:                              ;   in Loop: Header=BB715_131 Depth=1
	s_mov_b64 s[6:7], s[14:15]
                                        ; implicit-def: $vgpr19_vgpr20
                                        ; implicit-def: $vgpr21_vgpr22
	s_branch .LBB715_130
.LBB715_133:
	s_set_inst_prefetch_distance 0x2
	s_or_b32 exec_lo, exec_lo, s30
	v_cmp_gt_i64_e32 vcc_lo, s[14:15], v[23:24]
	s_or_not1_b32 s0, vcc_lo, exec_lo
.LBB715_134:
	s_or_b32 exec_lo, exec_lo, s26
.LBB715_135:
	s_delay_alu instid0(SALU_CYCLE_1)
	s_and_b32 s26, s0, exec_lo
.LBB715_136:
	s_or_b32 exec_lo, exec_lo, s29
	v_or_b32_e32 v19, 4, v39
	s_mov_b32 s29, exec_lo
	s_delay_alu instid0(VALU_DEP_1)
	v_cmpx_gt_u32_e64 s12, v19
	s_cbranch_execz .LBB715_147
; %bb.137:
	v_cmp_ne_u32_e32 vcc_lo, 1, v27
	s_mov_b32 s0, 0
	s_cbranch_vccnz .LBB715_146
; %bb.138:
	v_mul_lo_u32 v23, v12, s14
	v_mul_lo_u32 v24, v11, s15
	v_mad_u64_u32 v[19:20], null, v11, s14, 0
	v_mul_lo_u32 v25, v6, s14
	v_mul_lo_u32 v26, v5, s15
	s_waitcnt lgkmcnt(0)
	v_mad_u64_u32 v[21:22], null, v5, s14, 0
	s_mov_b32 s0, -1
	s_mov_b32 s28, exec_lo
	s_delay_alu instid0(VALU_DEP_4) | instskip(NEXT) | instid1(VALU_DEP_2)
	v_add3_u32 v20, v20, v24, v23
	v_add3_u32 v22, v22, v26, v25
	s_delay_alu instid0(VALU_DEP_2) | instskip(NEXT) | instid1(VALU_DEP_2)
	v_lshlrev_b64 v[19:20], 1, v[19:20]
	v_lshlrev_b64 v[23:24], 1, v[21:22]
	s_delay_alu instid0(VALU_DEP_2) | instskip(NEXT) | instid1(VALU_DEP_3)
	v_add_co_u32 v21, vcc_lo, s16, v19
	v_add_co_ci_u32_e32 v22, vcc_lo, s17, v20, vcc_lo
	s_delay_alu instid0(VALU_DEP_3) | instskip(NEXT) | instid1(VALU_DEP_4)
	v_add_co_u32 v19, vcc_lo, s16, v23
	v_add_co_ci_u32_e32 v20, vcc_lo, s17, v24, vcc_lo
	s_clause 0x1
	global_load_u16 v23, v[21:22], off
	global_load_u16 v24, v[19:20], off
	s_waitcnt vmcnt(0)
	v_cmpx_eq_u16_e64 v23, v24
	s_cbranch_execz .LBB715_145
; %bb.139:
	v_add_co_u32 v19, vcc_lo, v19, 2
	v_add_co_ci_u32_e32 v20, vcc_lo, 0, v20, vcc_lo
	v_add_co_u32 v21, vcc_lo, v21, 2
	v_add_co_ci_u32_e32 v22, vcc_lo, 0, v22, vcc_lo
	s_add_u32 s4, s14, -1
	s_addc_u32 s5, s15, -1
	s_mov_b64 s[6:7], 0
	s_mov_b32 s30, 0
                                        ; implicit-def: $sgpr31
	s_set_inst_prefetch_distance 0x1
	s_branch .LBB715_142
	.p2align	6
.LBB715_140:                            ;   in Loop: Header=BB715_142 Depth=1
	global_load_u16 v23, v[21:22], off
	global_load_u16 v24, v[19:20], off
	v_add_co_u32 v19, vcc_lo, v19, 2
	v_add_co_ci_u32_e32 v20, vcc_lo, 0, v20, vcc_lo
	v_add_co_u32 v21, s0, v21, 2
	s_delay_alu instid0(VALU_DEP_1)
	v_add_co_ci_u32_e64 v22, s0, 0, v22, s0
	s_add_u32 s6, s6, 1
	s_addc_u32 s7, s7, 0
	s_and_not1_b32 s0, s31, exec_lo
	s_waitcnt vmcnt(0)
	v_cmp_ne_u16_e32 vcc_lo, v23, v24
	s_and_b32 s31, vcc_lo, exec_lo
	s_delay_alu instid0(SALU_CYCLE_1)
	s_or_b32 s31, s0, s31
.LBB715_141:                            ;   in Loop: Header=BB715_142 Depth=1
	v_dual_mov_b32 v24, s7 :: v_dual_mov_b32 v23, s6
	s_and_b32 s0, exec_lo, s31
	s_delay_alu instid0(SALU_CYCLE_1) | instskip(NEXT) | instid1(SALU_CYCLE_1)
	s_or_b32 s30, s0, s30
	s_and_not1_b32 exec_lo, exec_lo, s30
	s_cbranch_execz .LBB715_144
.LBB715_142:                            ; =>This Inner Loop Header: Depth=1
	s_or_b32 s31, s31, exec_lo
	s_cmp_eq_u64 s[4:5], s[6:7]
	s_cbranch_scc0 .LBB715_140
; %bb.143:                              ;   in Loop: Header=BB715_142 Depth=1
	s_mov_b64 s[6:7], s[14:15]
                                        ; implicit-def: $vgpr19_vgpr20
                                        ; implicit-def: $vgpr21_vgpr22
	s_branch .LBB715_141
.LBB715_144:
	s_set_inst_prefetch_distance 0x2
	s_or_b32 exec_lo, exec_lo, s30
	v_cmp_gt_i64_e32 vcc_lo, s[14:15], v[23:24]
	s_or_not1_b32 s0, vcc_lo, exec_lo
.LBB715_145:
	s_or_b32 exec_lo, exec_lo, s28
.LBB715_146:
	s_delay_alu instid0(SALU_CYCLE_1)
	s_and_b32 s28, s0, exec_lo
.LBB715_147:
	s_or_b32 exec_lo, exec_lo, s29
	v_or_b32_e32 v19, 3, v39
	s_mov_b32 s30, 0
	s_mov_b32 s29, 0
	s_mov_b32 s31, exec_lo
	s_delay_alu instid0(VALU_DEP_1)
	v_cmpx_gt_u32_e64 s12, v19
	s_cbranch_execz .LBB715_158
; %bb.148:
	v_cmp_ne_u32_e32 vcc_lo, 1, v27
	s_mov_b32 s0, 0
	s_cbranch_vccnz .LBB715_157
; %bb.149:
	v_mul_lo_u32 v23, v10, s14
	v_mul_lo_u32 v24, v9, s15
	v_mad_u64_u32 v[19:20], null, v9, s14, 0
	v_mul_lo_u32 v25, v12, s14
	v_mul_lo_u32 v26, v11, s15
	s_waitcnt lgkmcnt(0)
	v_mad_u64_u32 v[21:22], null, v11, s14, 0
	s_mov_b32 s0, -1
	s_mov_b32 s29, exec_lo
	s_delay_alu instid0(VALU_DEP_4) | instskip(NEXT) | instid1(VALU_DEP_2)
	v_add3_u32 v20, v20, v24, v23
	v_add3_u32 v22, v22, v26, v25
	s_delay_alu instid0(VALU_DEP_2) | instskip(NEXT) | instid1(VALU_DEP_2)
	v_lshlrev_b64 v[19:20], 1, v[19:20]
	v_lshlrev_b64 v[23:24], 1, v[21:22]
	s_delay_alu instid0(VALU_DEP_2) | instskip(NEXT) | instid1(VALU_DEP_3)
	v_add_co_u32 v21, vcc_lo, s16, v19
	v_add_co_ci_u32_e32 v22, vcc_lo, s17, v20, vcc_lo
	s_delay_alu instid0(VALU_DEP_3) | instskip(NEXT) | instid1(VALU_DEP_4)
	v_add_co_u32 v19, vcc_lo, s16, v23
	v_add_co_ci_u32_e32 v20, vcc_lo, s17, v24, vcc_lo
	s_clause 0x1
	global_load_u16 v23, v[21:22], off
	global_load_u16 v24, v[19:20], off
	s_waitcnt vmcnt(0)
	v_cmpx_eq_u16_e64 v23, v24
	s_cbranch_execz .LBB715_156
; %bb.150:
	v_add_co_u32 v19, vcc_lo, v19, 2
	v_add_co_ci_u32_e32 v20, vcc_lo, 0, v20, vcc_lo
	v_add_co_u32 v21, vcc_lo, v21, 2
	v_add_co_ci_u32_e32 v22, vcc_lo, 0, v22, vcc_lo
	s_add_u32 s4, s14, -1
	s_addc_u32 s5, s15, -1
	s_mov_b64 s[6:7], 0
	s_mov_b32 s33, 0
                                        ; implicit-def: $sgpr34
	s_set_inst_prefetch_distance 0x1
	s_branch .LBB715_153
	.p2align	6
.LBB715_151:                            ;   in Loop: Header=BB715_153 Depth=1
	global_load_u16 v23, v[21:22], off
	global_load_u16 v24, v[19:20], off
	v_add_co_u32 v19, vcc_lo, v19, 2
	v_add_co_ci_u32_e32 v20, vcc_lo, 0, v20, vcc_lo
	v_add_co_u32 v21, s0, v21, 2
	s_delay_alu instid0(VALU_DEP_1)
	v_add_co_ci_u32_e64 v22, s0, 0, v22, s0
	s_add_u32 s6, s6, 1
	s_addc_u32 s7, s7, 0
	s_and_not1_b32 s0, s34, exec_lo
	s_waitcnt vmcnt(0)
	v_cmp_ne_u16_e32 vcc_lo, v23, v24
	s_and_b32 s34, vcc_lo, exec_lo
	s_delay_alu instid0(SALU_CYCLE_1)
	s_or_b32 s34, s0, s34
.LBB715_152:                            ;   in Loop: Header=BB715_153 Depth=1
	v_dual_mov_b32 v24, s7 :: v_dual_mov_b32 v23, s6
	s_and_b32 s0, exec_lo, s34
	s_delay_alu instid0(SALU_CYCLE_1) | instskip(NEXT) | instid1(SALU_CYCLE_1)
	s_or_b32 s33, s0, s33
	s_and_not1_b32 exec_lo, exec_lo, s33
	s_cbranch_execz .LBB715_155
.LBB715_153:                            ; =>This Inner Loop Header: Depth=1
	s_or_b32 s34, s34, exec_lo
	s_cmp_eq_u64 s[4:5], s[6:7]
	s_cbranch_scc0 .LBB715_151
; %bb.154:                              ;   in Loop: Header=BB715_153 Depth=1
	s_mov_b64 s[6:7], s[14:15]
                                        ; implicit-def: $vgpr19_vgpr20
                                        ; implicit-def: $vgpr21_vgpr22
	s_branch .LBB715_152
.LBB715_155:
	s_set_inst_prefetch_distance 0x2
	s_or_b32 exec_lo, exec_lo, s33
	v_cmp_gt_i64_e32 vcc_lo, s[14:15], v[23:24]
	s_or_not1_b32 s0, vcc_lo, exec_lo
.LBB715_156:
	s_or_b32 exec_lo, exec_lo, s29
.LBB715_157:
	s_delay_alu instid0(SALU_CYCLE_1)
	s_and_b32 s29, s0, exec_lo
.LBB715_158:
	s_or_b32 exec_lo, exec_lo, s31
	v_or_b32_e32 v19, 2, v39
	s_mov_b32 s31, exec_lo
	s_delay_alu instid0(VALU_DEP_1)
	v_cmpx_gt_u32_e64 s12, v19
	s_cbranch_execz .LBB715_169
; %bb.159:
	v_cmp_ne_u32_e32 vcc_lo, 1, v27
	s_mov_b32 s0, 0
	s_cbranch_vccnz .LBB715_168
; %bb.160:
	v_mul_lo_u32 v23, v16, s14
	v_mul_lo_u32 v24, v15, s15
	v_mad_u64_u32 v[19:20], null, v15, s14, 0
	v_mul_lo_u32 v25, v10, s14
	v_mul_lo_u32 v26, v9, s15
	s_waitcnt lgkmcnt(0)
	v_mad_u64_u32 v[21:22], null, v9, s14, 0
	s_mov_b32 s0, -1
	s_mov_b32 s30, exec_lo
	s_delay_alu instid0(VALU_DEP_4) | instskip(NEXT) | instid1(VALU_DEP_2)
	v_add3_u32 v20, v20, v24, v23
	v_add3_u32 v22, v22, v26, v25
	s_delay_alu instid0(VALU_DEP_2) | instskip(NEXT) | instid1(VALU_DEP_2)
	v_lshlrev_b64 v[19:20], 1, v[19:20]
	v_lshlrev_b64 v[23:24], 1, v[21:22]
	s_delay_alu instid0(VALU_DEP_2) | instskip(NEXT) | instid1(VALU_DEP_3)
	v_add_co_u32 v21, vcc_lo, s16, v19
	v_add_co_ci_u32_e32 v22, vcc_lo, s17, v20, vcc_lo
	s_delay_alu instid0(VALU_DEP_3) | instskip(NEXT) | instid1(VALU_DEP_4)
	v_add_co_u32 v19, vcc_lo, s16, v23
	v_add_co_ci_u32_e32 v20, vcc_lo, s17, v24, vcc_lo
	s_clause 0x1
	global_load_u16 v23, v[21:22], off
	global_load_u16 v24, v[19:20], off
	s_waitcnt vmcnt(0)
	v_cmpx_eq_u16_e64 v23, v24
	s_cbranch_execz .LBB715_167
; %bb.161:
	v_add_co_u32 v19, vcc_lo, v19, 2
	v_add_co_ci_u32_e32 v20, vcc_lo, 0, v20, vcc_lo
	v_add_co_u32 v21, vcc_lo, v21, 2
	v_add_co_ci_u32_e32 v22, vcc_lo, 0, v22, vcc_lo
	s_add_u32 s4, s14, -1
	s_addc_u32 s5, s15, -1
	s_mov_b64 s[6:7], 0
	s_mov_b32 s33, 0
                                        ; implicit-def: $sgpr34
	s_set_inst_prefetch_distance 0x1
	s_branch .LBB715_164
	.p2align	6
.LBB715_162:                            ;   in Loop: Header=BB715_164 Depth=1
	global_load_u16 v23, v[21:22], off
	global_load_u16 v24, v[19:20], off
	v_add_co_u32 v19, vcc_lo, v19, 2
	v_add_co_ci_u32_e32 v20, vcc_lo, 0, v20, vcc_lo
	v_add_co_u32 v21, s0, v21, 2
	s_delay_alu instid0(VALU_DEP_1)
	v_add_co_ci_u32_e64 v22, s0, 0, v22, s0
	s_add_u32 s6, s6, 1
	s_addc_u32 s7, s7, 0
	s_and_not1_b32 s0, s34, exec_lo
	s_waitcnt vmcnt(0)
	v_cmp_ne_u16_e32 vcc_lo, v23, v24
	s_and_b32 s34, vcc_lo, exec_lo
	s_delay_alu instid0(SALU_CYCLE_1)
	s_or_b32 s34, s0, s34
.LBB715_163:                            ;   in Loop: Header=BB715_164 Depth=1
	v_dual_mov_b32 v24, s7 :: v_dual_mov_b32 v23, s6
	s_and_b32 s0, exec_lo, s34
	s_delay_alu instid0(SALU_CYCLE_1) | instskip(NEXT) | instid1(SALU_CYCLE_1)
	s_or_b32 s33, s0, s33
	s_and_not1_b32 exec_lo, exec_lo, s33
	s_cbranch_execz .LBB715_166
.LBB715_164:                            ; =>This Inner Loop Header: Depth=1
	s_or_b32 s34, s34, exec_lo
	s_cmp_eq_u64 s[4:5], s[6:7]
	s_cbranch_scc0 .LBB715_162
; %bb.165:                              ;   in Loop: Header=BB715_164 Depth=1
	s_mov_b64 s[6:7], s[14:15]
                                        ; implicit-def: $vgpr19_vgpr20
                                        ; implicit-def: $vgpr21_vgpr22
	s_branch .LBB715_163
.LBB715_166:
	s_set_inst_prefetch_distance 0x2
	s_or_b32 exec_lo, exec_lo, s33
	v_cmp_gt_i64_e32 vcc_lo, s[14:15], v[23:24]
	s_or_not1_b32 s0, vcc_lo, exec_lo
.LBB715_167:
	s_or_b32 exec_lo, exec_lo, s30
.LBB715_168:
	s_delay_alu instid0(SALU_CYCLE_1)
	s_and_b32 s30, s0, exec_lo
.LBB715_169:
	s_or_b32 exec_lo, exec_lo, s31
	v_or_b32_e32 v19, 1, v39
	s_mov_b32 s0, 0
	s_mov_b32 s31, exec_lo
	s_delay_alu instid0(VALU_DEP_1)
	v_cmpx_gt_u32_e64 s12, v19
	s_cbranch_execz .LBB715_180
; %bb.170:
	v_cmp_ne_u32_e32 vcc_lo, 1, v27
	s_cbranch_vccnz .LBB715_179
; %bb.171:
	v_mul_lo_u32 v23, v14, s14
	v_mul_lo_u32 v24, v13, s15
	v_mad_u64_u32 v[19:20], null, v13, s14, 0
	v_mul_lo_u32 v25, v16, s14
	v_mul_lo_u32 v26, v15, s15
	s_waitcnt lgkmcnt(0)
	v_mad_u64_u32 v[21:22], null, v15, s14, 0
	s_mov_b32 s0, -1
	s_mov_b32 s33, exec_lo
	s_delay_alu instid0(VALU_DEP_4) | instskip(NEXT) | instid1(VALU_DEP_2)
	v_add3_u32 v20, v20, v24, v23
	v_add3_u32 v22, v22, v26, v25
	s_delay_alu instid0(VALU_DEP_2) | instskip(NEXT) | instid1(VALU_DEP_2)
	v_lshlrev_b64 v[19:20], 1, v[19:20]
	v_lshlrev_b64 v[23:24], 1, v[21:22]
	s_delay_alu instid0(VALU_DEP_2) | instskip(NEXT) | instid1(VALU_DEP_3)
	v_add_co_u32 v21, vcc_lo, s16, v19
	v_add_co_ci_u32_e32 v22, vcc_lo, s17, v20, vcc_lo
	s_delay_alu instid0(VALU_DEP_3) | instskip(NEXT) | instid1(VALU_DEP_4)
	v_add_co_u32 v19, vcc_lo, s16, v23
	v_add_co_ci_u32_e32 v20, vcc_lo, s17, v24, vcc_lo
	s_clause 0x1
	global_load_u16 v23, v[21:22], off
	global_load_u16 v24, v[19:20], off
	s_waitcnt vmcnt(0)
	v_cmpx_eq_u16_e64 v23, v24
	s_cbranch_execz .LBB715_178
; %bb.172:
	v_add_co_u32 v19, vcc_lo, v19, 2
	v_add_co_ci_u32_e32 v20, vcc_lo, 0, v20, vcc_lo
	v_add_co_u32 v21, vcc_lo, v21, 2
	v_add_co_ci_u32_e32 v22, vcc_lo, 0, v22, vcc_lo
	s_add_u32 s4, s14, -1
	s_addc_u32 s5, s15, -1
	s_mov_b64 s[6:7], 0
	s_mov_b32 s34, 0
                                        ; implicit-def: $sgpr35
	s_set_inst_prefetch_distance 0x1
	s_branch .LBB715_175
	.p2align	6
.LBB715_173:                            ;   in Loop: Header=BB715_175 Depth=1
	global_load_u16 v23, v[21:22], off
	global_load_u16 v24, v[19:20], off
	v_add_co_u32 v19, vcc_lo, v19, 2
	v_add_co_ci_u32_e32 v20, vcc_lo, 0, v20, vcc_lo
	v_add_co_u32 v21, s0, v21, 2
	s_delay_alu instid0(VALU_DEP_1)
	v_add_co_ci_u32_e64 v22, s0, 0, v22, s0
	s_add_u32 s6, s6, 1
	s_addc_u32 s7, s7, 0
	s_and_not1_b32 s0, s35, exec_lo
	s_waitcnt vmcnt(0)
	v_cmp_ne_u16_e32 vcc_lo, v23, v24
	s_and_b32 s35, vcc_lo, exec_lo
	s_delay_alu instid0(SALU_CYCLE_1)
	s_or_b32 s35, s0, s35
.LBB715_174:                            ;   in Loop: Header=BB715_175 Depth=1
	v_dual_mov_b32 v24, s7 :: v_dual_mov_b32 v23, s6
	s_and_b32 s0, exec_lo, s35
	s_delay_alu instid0(SALU_CYCLE_1) | instskip(NEXT) | instid1(SALU_CYCLE_1)
	s_or_b32 s34, s0, s34
	s_and_not1_b32 exec_lo, exec_lo, s34
	s_cbranch_execz .LBB715_177
.LBB715_175:                            ; =>This Inner Loop Header: Depth=1
	s_or_b32 s35, s35, exec_lo
	s_cmp_eq_u64 s[4:5], s[6:7]
	s_cbranch_scc0 .LBB715_173
; %bb.176:                              ;   in Loop: Header=BB715_175 Depth=1
	s_mov_b64 s[6:7], s[14:15]
                                        ; implicit-def: $vgpr19_vgpr20
                                        ; implicit-def: $vgpr21_vgpr22
	s_branch .LBB715_174
.LBB715_177:
	s_set_inst_prefetch_distance 0x2
	s_or_b32 exec_lo, exec_lo, s34
	v_cmp_gt_i64_e32 vcc_lo, s[14:15], v[23:24]
	s_or_not1_b32 s0, vcc_lo, exec_lo
.LBB715_178:
	s_or_b32 exec_lo, exec_lo, s33
.LBB715_179:
	s_delay_alu instid0(SALU_CYCLE_1)
	s_and_b32 s0, s0, exec_lo
.LBB715_180:
	s_or_b32 exec_lo, exec_lo, s31
	s_waitcnt vmcnt(0) lgkmcnt(0)
	s_barrier
	buffer_gl0_inv
	s_and_saveexec_b32 s4, s3
	s_cbranch_execz .LBB715_182
; %bb.181:
	v_add_nc_u32_e32 v17, -8, v39
	ds_load_b64 v[17:18], v17
.LBB715_182:
	s_or_b32 exec_lo, exec_lo, s4
	v_cndmask_b32_e64 v20, 0, 1, s29
	v_cndmask_b32_e64 v22, 0, 1, s26
	v_cndmask_b32_e64 v23, 0, 1, s27
	v_cndmask_b32_e64 v19, 0, 1, s30
	v_cndmask_b32_e64 v21, 0, 1, s28
	v_cndmask_b32_e64 v24, 0, 1, s25
	v_cndmask_b32_e64 v25, 0, 1, s0
	v_lshlrev_b16 v20, 8, v20
	v_lshlrev_b16 v22, 8, v22
	;; [unrolled: 1-line block ×3, first 2 shown]
	s_mov_b32 s0, 0
	v_lshlrev_b16 v25, 8, v25
	v_or_b32_e32 v19, v19, v20
	v_or_b32_e32 v20, v21, v22
	;; [unrolled: 1-line block ×3, first 2 shown]
	s_mov_b32 s25, exec_lo
	v_and_b32_e32 v23, 0xffff, v25
	v_lshlrev_b32_e32 v24, 16, v19
	v_and_b32_e32 v25, 0xffff, v20
	v_lshlrev_b32_e32 v26, 16, v21
	v_cmpx_gt_u32_e64 s12, v39
	s_cbranch_execz .LBB715_193
; %bb.183:
	v_cmp_ne_u32_e32 vcc_lo, 1, v27
	s_cbranch_vccnz .LBB715_192
; %bb.184:
	s_waitcnt lgkmcnt(0)
	v_mul_lo_u32 v22, v18, s14
	v_mul_lo_u32 v27, v17, s15
	v_mad_u64_u32 v[18:19], null, v17, s14, 0
	v_mul_lo_u32 v17, v14, s14
	v_mul_lo_u32 v28, v13, s15
	v_mad_u64_u32 v[20:21], null, v13, s14, 0
	s_mov_b32 s0, -1
	s_mov_b32 s26, exec_lo
	s_delay_alu instid0(VALU_DEP_4) | instskip(NEXT) | instid1(VALU_DEP_2)
	v_add3_u32 v19, v19, v27, v22
	v_add3_u32 v21, v21, v28, v17
	s_delay_alu instid0(VALU_DEP_2) | instskip(NEXT) | instid1(VALU_DEP_2)
	v_lshlrev_b64 v[17:18], 1, v[18:19]
	v_lshlrev_b64 v[21:22], 1, v[20:21]
	s_delay_alu instid0(VALU_DEP_2) | instskip(NEXT) | instid1(VALU_DEP_3)
	v_add_co_u32 v19, vcc_lo, s16, v17
	v_add_co_ci_u32_e32 v20, vcc_lo, s17, v18, vcc_lo
	s_delay_alu instid0(VALU_DEP_3) | instskip(NEXT) | instid1(VALU_DEP_4)
	v_add_co_u32 v17, vcc_lo, s16, v21
	v_add_co_ci_u32_e32 v18, vcc_lo, s17, v22, vcc_lo
	s_clause 0x1
	global_load_u16 v21, v[19:20], off
	global_load_u16 v22, v[17:18], off
	s_waitcnt vmcnt(0)
	v_cmpx_eq_u16_e64 v21, v22
	s_cbranch_execz .LBB715_191
; %bb.185:
	v_add_co_u32 v17, vcc_lo, v17, 2
	v_add_co_ci_u32_e32 v18, vcc_lo, 0, v18, vcc_lo
	v_add_co_u32 v19, vcc_lo, v19, 2
	v_add_co_ci_u32_e32 v20, vcc_lo, 0, v20, vcc_lo
	s_add_u32 s4, s14, -1
	s_addc_u32 s5, s15, -1
	s_mov_b64 s[6:7], 0
	s_mov_b32 s27, 0
                                        ; implicit-def: $sgpr28
	s_set_inst_prefetch_distance 0x1
	s_branch .LBB715_188
	.p2align	6
.LBB715_186:                            ;   in Loop: Header=BB715_188 Depth=1
	global_load_u16 v21, v[19:20], off
	global_load_u16 v22, v[17:18], off
	v_add_co_u32 v17, vcc_lo, v17, 2
	v_add_co_ci_u32_e32 v18, vcc_lo, 0, v18, vcc_lo
	v_add_co_u32 v19, s0, v19, 2
	s_delay_alu instid0(VALU_DEP_1)
	v_add_co_ci_u32_e64 v20, s0, 0, v20, s0
	s_add_u32 s6, s6, 1
	s_addc_u32 s7, s7, 0
	s_and_not1_b32 s0, s28, exec_lo
	s_waitcnt vmcnt(0)
	v_cmp_ne_u16_e32 vcc_lo, v21, v22
	s_and_b32 s28, vcc_lo, exec_lo
	s_delay_alu instid0(SALU_CYCLE_1)
	s_or_b32 s28, s0, s28
.LBB715_187:                            ;   in Loop: Header=BB715_188 Depth=1
	v_dual_mov_b32 v22, s7 :: v_dual_mov_b32 v21, s6
	s_and_b32 s0, exec_lo, s28
	s_delay_alu instid0(SALU_CYCLE_1) | instskip(NEXT) | instid1(SALU_CYCLE_1)
	s_or_b32 s27, s0, s27
	s_and_not1_b32 exec_lo, exec_lo, s27
	s_cbranch_execz .LBB715_190
.LBB715_188:                            ; =>This Inner Loop Header: Depth=1
	s_or_b32 s28, s28, exec_lo
	s_cmp_eq_u64 s[4:5], s[6:7]
	s_cbranch_scc0 .LBB715_186
; %bb.189:                              ;   in Loop: Header=BB715_188 Depth=1
	s_mov_b64 s[6:7], s[14:15]
                                        ; implicit-def: $vgpr17_vgpr18
                                        ; implicit-def: $vgpr19_vgpr20
	s_branch .LBB715_187
.LBB715_190:
	s_set_inst_prefetch_distance 0x2
	s_or_b32 exec_lo, exec_lo, s27
	v_cmp_gt_i64_e32 vcc_lo, s[14:15], v[21:22]
	s_or_not1_b32 s0, vcc_lo, exec_lo
.LBB715_191:
	s_or_b32 exec_lo, exec_lo, s26
.LBB715_192:
	s_delay_alu instid0(SALU_CYCLE_1)
	s_and_b32 s0, s0, exec_lo
.LBB715_193:
	s_or_b32 exec_lo, exec_lo, s25
	v_or_b32_e32 v19, v23, v24
	v_or_b32_e32 v20, v25, v26
.LBB715_194:
	s_mov_b32 s25, -1
	s_cbranch_execnz .LBB715_363
.LBB715_195:
	v_cmp_gt_i64_e64 s26, s[14:15], 0
	s_and_b32 vcc_lo, exec_lo, s22
	ds_store_b64 v39, v[3:4]
	s_cbranch_vccz .LBB715_203
; %bb.196:
	v_mul_lo_u32 v19, v2, s14
	v_mul_lo_u32 v20, v1, s15
	s_waitcnt vmcnt(0) lgkmcnt(1)
	v_mad_u64_u32 v[17:18], null, v1, s14, 0
	s_mov_b32 s27, 0
	s_and_not1_b32 vcc_lo, exec_lo, s26
	s_mov_b32 s28, 0
	s_delay_alu instid0(VALU_DEP_1) | instskip(NEXT) | instid1(VALU_DEP_1)
	v_add3_u32 v18, v18, v20, v19
	v_lshlrev_b64 v[17:18], 1, v[17:18]
	s_cbranch_vccnz .LBB715_206
; %bb.197:
	v_mul_lo_u32 v21, v4, s14
	v_mul_lo_u32 v22, v3, s15
	v_mad_u64_u32 v[19:20], null, v3, s14, 0
	s_mov_b32 s28, -1
	s_mov_b32 s29, exec_lo
	s_delay_alu instid0(VALU_DEP_1) | instskip(SKIP_2) | instid1(VALU_DEP_3)
	v_add3_u32 v20, v20, v22, v21
	v_add_co_u32 v21, vcc_lo, s16, v17
	v_add_co_ci_u32_e32 v22, vcc_lo, s17, v18, vcc_lo
	v_lshlrev_b64 v[19:20], 1, v[19:20]
	s_delay_alu instid0(VALU_DEP_1) | instskip(NEXT) | instid1(VALU_DEP_2)
	v_add_co_u32 v19, vcc_lo, s16, v19
	v_add_co_ci_u32_e32 v20, vcc_lo, s17, v20, vcc_lo
	s_clause 0x1
	global_load_u16 v23, v[21:22], off
	global_load_u16 v24, v[19:20], off
	s_waitcnt vmcnt(0)
	v_cmpx_eq_u16_e64 v23, v24
	s_cbranch_execz .LBB715_205
; %bb.198:
	v_add_co_u32 v19, vcc_lo, v19, 2
	v_add_co_ci_u32_e32 v20, vcc_lo, 0, v20, vcc_lo
	v_add_co_u32 v21, vcc_lo, v21, 2
	v_add_co_ci_u32_e32 v22, vcc_lo, 0, v22, vcc_lo
	s_add_u32 s4, s14, -1
	s_addc_u32 s5, s15, -1
	s_mov_b64 s[6:7], 0
	s_mov_b32 s28, 0
                                        ; implicit-def: $sgpr30
	s_set_inst_prefetch_distance 0x1
	s_branch .LBB715_201
	.p2align	6
.LBB715_199:                            ;   in Loop: Header=BB715_201 Depth=1
	global_load_u16 v23, v[21:22], off
	global_load_u16 v24, v[19:20], off
	v_add_co_u32 v19, vcc_lo, v19, 2
	v_add_co_ci_u32_e32 v20, vcc_lo, 0, v20, vcc_lo
	v_add_co_u32 v21, s0, v21, 2
	s_delay_alu instid0(VALU_DEP_1)
	v_add_co_ci_u32_e64 v22, s0, 0, v22, s0
	s_add_u32 s6, s6, 1
	s_addc_u32 s7, s7, 0
	s_and_not1_b32 s0, s30, exec_lo
	s_waitcnt vmcnt(0)
	v_cmp_ne_u16_e32 vcc_lo, v23, v24
	s_and_b32 s30, vcc_lo, exec_lo
	s_delay_alu instid0(SALU_CYCLE_1)
	s_or_b32 s30, s0, s30
.LBB715_200:                            ;   in Loop: Header=BB715_201 Depth=1
	v_dual_mov_b32 v24, s7 :: v_dual_mov_b32 v23, s6
	s_and_b32 s0, exec_lo, s30
	s_delay_alu instid0(SALU_CYCLE_1) | instskip(NEXT) | instid1(SALU_CYCLE_1)
	s_or_b32 s28, s0, s28
	s_and_not1_b32 exec_lo, exec_lo, s28
	s_cbranch_execz .LBB715_204
.LBB715_201:                            ; =>This Inner Loop Header: Depth=1
	s_or_b32 s30, s30, exec_lo
	s_cmp_eq_u64 s[4:5], s[6:7]
	s_cbranch_scc0 .LBB715_199
; %bb.202:                              ;   in Loop: Header=BB715_201 Depth=1
	s_mov_b64 s[6:7], s[14:15]
                                        ; implicit-def: $vgpr19_vgpr20
                                        ; implicit-def: $vgpr21_vgpr22
	s_branch .LBB715_200
.LBB715_203:
                                        ; implicit-def: $sgpr0
                                        ; implicit-def: $vgpr20
	s_cbranch_execnz .LBB715_272
	s_branch .LBB715_363
.LBB715_204:
	s_set_inst_prefetch_distance 0x2
	s_or_b32 exec_lo, exec_lo, s28
	v_cmp_gt_i64_e32 vcc_lo, s[14:15], v[23:24]
	s_or_not1_b32 s28, vcc_lo, exec_lo
.LBB715_205:
	s_or_b32 exec_lo, exec_lo, s29
.LBB715_206:
	v_mul_lo_u32 v21, v8, s14
	v_mul_lo_u32 v22, v7, s15
	v_mad_u64_u32 v[19:20], null, v7, s14, 0
	s_and_not1_b32 vcc_lo, exec_lo, s26
	s_delay_alu instid0(VALU_DEP_1) | instskip(NEXT) | instid1(VALU_DEP_1)
	v_add3_u32 v20, v20, v22, v21
	v_lshlrev_b64 v[19:20], 1, v[19:20]
	s_cbranch_vccnz .LBB715_215
; %bb.207:
	s_delay_alu instid0(VALU_DEP_1) | instskip(NEXT) | instid1(VALU_DEP_2)
	v_add_co_u32 v21, vcc_lo, s16, v19
	v_add_co_ci_u32_e32 v22, vcc_lo, s17, v20, vcc_lo
	v_add_co_u32 v17, vcc_lo, s16, v17
	v_add_co_ci_u32_e32 v18, vcc_lo, s17, v18, vcc_lo
	s_mov_b32 s27, -1
	s_clause 0x1
	global_load_u16 v23, v[21:22], off
	global_load_u16 v24, v[17:18], off
	s_mov_b32 s29, exec_lo
	s_waitcnt vmcnt(0)
	v_cmpx_eq_u16_e64 v23, v24
	s_cbranch_execz .LBB715_214
; %bb.208:
	v_add_co_u32 v17, vcc_lo, v17, 2
	v_add_co_ci_u32_e32 v18, vcc_lo, 0, v18, vcc_lo
	v_add_co_u32 v21, vcc_lo, v21, 2
	v_add_co_ci_u32_e32 v22, vcc_lo, 0, v22, vcc_lo
	s_add_u32 s4, s14, -1
	s_addc_u32 s5, s15, -1
	s_mov_b64 s[6:7], 0
	s_mov_b32 s27, 0
                                        ; implicit-def: $sgpr30
	s_set_inst_prefetch_distance 0x1
	s_branch .LBB715_211
	.p2align	6
.LBB715_209:                            ;   in Loop: Header=BB715_211 Depth=1
	global_load_u16 v23, v[21:22], off
	global_load_u16 v24, v[17:18], off
	v_add_co_u32 v17, vcc_lo, v17, 2
	v_add_co_ci_u32_e32 v18, vcc_lo, 0, v18, vcc_lo
	v_add_co_u32 v21, s0, v21, 2
	s_delay_alu instid0(VALU_DEP_1)
	v_add_co_ci_u32_e64 v22, s0, 0, v22, s0
	s_add_u32 s6, s6, 1
	s_addc_u32 s7, s7, 0
	s_and_not1_b32 s0, s30, exec_lo
	s_waitcnt vmcnt(0)
	v_cmp_ne_u16_e32 vcc_lo, v23, v24
	s_and_b32 s30, vcc_lo, exec_lo
	s_delay_alu instid0(SALU_CYCLE_1)
	s_or_b32 s30, s0, s30
.LBB715_210:                            ;   in Loop: Header=BB715_211 Depth=1
	v_dual_mov_b32 v24, s7 :: v_dual_mov_b32 v23, s6
	s_and_b32 s0, exec_lo, s30
	s_delay_alu instid0(SALU_CYCLE_1) | instskip(NEXT) | instid1(SALU_CYCLE_1)
	s_or_b32 s27, s0, s27
	s_and_not1_b32 exec_lo, exec_lo, s27
	s_cbranch_execz .LBB715_213
.LBB715_211:                            ; =>This Inner Loop Header: Depth=1
	s_or_b32 s30, s30, exec_lo
	s_cmp_eq_u64 s[4:5], s[6:7]
	s_cbranch_scc0 .LBB715_209
; %bb.212:                              ;   in Loop: Header=BB715_211 Depth=1
	s_mov_b64 s[6:7], s[14:15]
                                        ; implicit-def: $vgpr17_vgpr18
                                        ; implicit-def: $vgpr21_vgpr22
	s_branch .LBB715_210
.LBB715_213:
	s_set_inst_prefetch_distance 0x2
	s_or_b32 exec_lo, exec_lo, s27
	v_cmp_gt_i64_e32 vcc_lo, s[14:15], v[23:24]
	s_or_not1_b32 s27, vcc_lo, exec_lo
.LBB715_214:
	s_or_b32 exec_lo, exec_lo, s29
.LBB715_215:
	v_mul_lo_u32 v21, v6, s14
	v_mul_lo_u32 v22, v5, s15
	v_mad_u64_u32 v[17:18], null, v5, s14, 0
	s_mov_b32 s29, 0
	s_and_not1_b32 vcc_lo, exec_lo, s26
	s_mov_b32 s30, 0
	s_delay_alu instid0(VALU_DEP_1) | instskip(NEXT) | instid1(VALU_DEP_1)
	v_add3_u32 v18, v18, v22, v21
	v_lshlrev_b64 v[21:22], 1, v[17:18]
	s_cbranch_vccnz .LBB715_224
; %bb.216:
	s_delay_alu instid0(VALU_DEP_1) | instskip(NEXT) | instid1(VALU_DEP_2)
	v_add_co_u32 v23, vcc_lo, s16, v21
	v_add_co_ci_u32_e32 v24, vcc_lo, s17, v22, vcc_lo
	v_add_co_u32 v17, vcc_lo, s16, v19
	v_add_co_ci_u32_e32 v18, vcc_lo, s17, v20, vcc_lo
	s_mov_b32 s30, -1
	s_clause 0x1
	global_load_u16 v19, v[23:24], off
	global_load_u16 v20, v[17:18], off
	s_mov_b32 s31, exec_lo
	s_waitcnt vmcnt(0)
	v_cmpx_eq_u16_e64 v19, v20
	s_cbranch_execz .LBB715_223
; %bb.217:
	v_add_co_u32 v17, vcc_lo, v17, 2
	v_add_co_ci_u32_e32 v18, vcc_lo, 0, v18, vcc_lo
	v_add_co_u32 v19, vcc_lo, v23, 2
	v_add_co_ci_u32_e32 v20, vcc_lo, 0, v24, vcc_lo
	s_add_u32 s4, s14, -1
	s_addc_u32 s5, s15, -1
	s_mov_b64 s[6:7], 0
	s_mov_b32 s30, 0
                                        ; implicit-def: $sgpr33
	s_set_inst_prefetch_distance 0x1
	s_branch .LBB715_220
	.p2align	6
.LBB715_218:                            ;   in Loop: Header=BB715_220 Depth=1
	global_load_u16 v23, v[19:20], off
	global_load_u16 v24, v[17:18], off
	v_add_co_u32 v17, vcc_lo, v17, 2
	v_add_co_ci_u32_e32 v18, vcc_lo, 0, v18, vcc_lo
	v_add_co_u32 v19, s0, v19, 2
	s_delay_alu instid0(VALU_DEP_1)
	v_add_co_ci_u32_e64 v20, s0, 0, v20, s0
	s_add_u32 s6, s6, 1
	s_addc_u32 s7, s7, 0
	s_and_not1_b32 s0, s33, exec_lo
	s_waitcnt vmcnt(0)
	v_cmp_ne_u16_e32 vcc_lo, v23, v24
	s_and_b32 s33, vcc_lo, exec_lo
	s_delay_alu instid0(SALU_CYCLE_1)
	s_or_b32 s33, s0, s33
.LBB715_219:                            ;   in Loop: Header=BB715_220 Depth=1
	v_dual_mov_b32 v24, s7 :: v_dual_mov_b32 v23, s6
	s_and_b32 s0, exec_lo, s33
	s_delay_alu instid0(SALU_CYCLE_1) | instskip(NEXT) | instid1(SALU_CYCLE_1)
	s_or_b32 s30, s0, s30
	s_and_not1_b32 exec_lo, exec_lo, s30
	s_cbranch_execz .LBB715_222
.LBB715_220:                            ; =>This Inner Loop Header: Depth=1
	s_or_b32 s33, s33, exec_lo
	s_cmp_eq_u64 s[4:5], s[6:7]
	s_cbranch_scc0 .LBB715_218
; %bb.221:                              ;   in Loop: Header=BB715_220 Depth=1
	s_mov_b64 s[6:7], s[14:15]
                                        ; implicit-def: $vgpr17_vgpr18
                                        ; implicit-def: $vgpr19_vgpr20
	s_branch .LBB715_219
.LBB715_222:
	s_set_inst_prefetch_distance 0x2
	s_or_b32 exec_lo, exec_lo, s30
	v_cmp_gt_i64_e32 vcc_lo, s[14:15], v[23:24]
	s_or_not1_b32 s30, vcc_lo, exec_lo
.LBB715_223:
	s_or_b32 exec_lo, exec_lo, s31
.LBB715_224:
	v_mul_lo_u32 v19, v12, s14
	v_mul_lo_u32 v20, v11, s15
	v_mad_u64_u32 v[17:18], null, v11, s14, 0
	s_and_not1_b32 vcc_lo, exec_lo, s26
	s_delay_alu instid0(VALU_DEP_1) | instskip(NEXT) | instid1(VALU_DEP_1)
	v_add3_u32 v18, v18, v20, v19
	v_lshlrev_b64 v[17:18], 1, v[17:18]
	s_cbranch_vccnz .LBB715_233
; %bb.225:
	s_delay_alu instid0(VALU_DEP_1) | instskip(NEXT) | instid1(VALU_DEP_2)
	v_add_co_u32 v23, vcc_lo, s16, v17
	v_add_co_ci_u32_e32 v24, vcc_lo, s17, v18, vcc_lo
	v_add_co_u32 v19, vcc_lo, s16, v21
	v_add_co_ci_u32_e32 v20, vcc_lo, s17, v22, vcc_lo
	s_mov_b32 s29, -1
	s_clause 0x1
	global_load_u16 v21, v[23:24], off
	global_load_u16 v22, v[19:20], off
	s_mov_b32 s31, exec_lo
	s_waitcnt vmcnt(0)
	v_cmpx_eq_u16_e64 v21, v22
	s_cbranch_execz .LBB715_232
; %bb.226:
	v_add_co_u32 v19, vcc_lo, v19, 2
	v_add_co_ci_u32_e32 v20, vcc_lo, 0, v20, vcc_lo
	v_add_co_u32 v21, vcc_lo, v23, 2
	v_add_co_ci_u32_e32 v22, vcc_lo, 0, v24, vcc_lo
	s_add_u32 s4, s14, -1
	s_addc_u32 s5, s15, -1
	s_mov_b64 s[6:7], 0
	s_mov_b32 s29, 0
                                        ; implicit-def: $sgpr33
	s_set_inst_prefetch_distance 0x1
	s_branch .LBB715_229
	.p2align	6
.LBB715_227:                            ;   in Loop: Header=BB715_229 Depth=1
	global_load_u16 v23, v[21:22], off
	global_load_u16 v24, v[19:20], off
	v_add_co_u32 v19, vcc_lo, v19, 2
	v_add_co_ci_u32_e32 v20, vcc_lo, 0, v20, vcc_lo
	v_add_co_u32 v21, s0, v21, 2
	s_delay_alu instid0(VALU_DEP_1)
	v_add_co_ci_u32_e64 v22, s0, 0, v22, s0
	s_add_u32 s6, s6, 1
	s_addc_u32 s7, s7, 0
	s_and_not1_b32 s0, s33, exec_lo
	s_waitcnt vmcnt(0)
	v_cmp_ne_u16_e32 vcc_lo, v23, v24
	s_and_b32 s33, vcc_lo, exec_lo
	s_delay_alu instid0(SALU_CYCLE_1)
	s_or_b32 s33, s0, s33
.LBB715_228:                            ;   in Loop: Header=BB715_229 Depth=1
	v_dual_mov_b32 v24, s7 :: v_dual_mov_b32 v23, s6
	s_and_b32 s0, exec_lo, s33
	s_delay_alu instid0(SALU_CYCLE_1) | instskip(NEXT) | instid1(SALU_CYCLE_1)
	s_or_b32 s29, s0, s29
	s_and_not1_b32 exec_lo, exec_lo, s29
	s_cbranch_execz .LBB715_231
.LBB715_229:                            ; =>This Inner Loop Header: Depth=1
	s_or_b32 s33, s33, exec_lo
	s_cmp_eq_u64 s[4:5], s[6:7]
	s_cbranch_scc0 .LBB715_227
; %bb.230:                              ;   in Loop: Header=BB715_229 Depth=1
	s_mov_b64 s[6:7], s[14:15]
                                        ; implicit-def: $vgpr19_vgpr20
                                        ; implicit-def: $vgpr21_vgpr22
	s_branch .LBB715_228
.LBB715_231:
	s_set_inst_prefetch_distance 0x2
	s_or_b32 exec_lo, exec_lo, s29
	v_cmp_gt_i64_e32 vcc_lo, s[14:15], v[23:24]
	s_or_not1_b32 s29, vcc_lo, exec_lo
.LBB715_232:
	s_or_b32 exec_lo, exec_lo, s31
.LBB715_233:
	v_mul_lo_u32 v21, v10, s14
	v_mul_lo_u32 v22, v9, s15
	v_mad_u64_u32 v[19:20], null, v9, s14, 0
	s_mov_b32 s31, 0
	s_and_not1_b32 vcc_lo, exec_lo, s26
	s_mov_b32 s33, 0
	s_delay_alu instid0(VALU_DEP_1) | instskip(NEXT) | instid1(VALU_DEP_1)
	v_add3_u32 v20, v20, v22, v21
	v_lshlrev_b64 v[21:22], 1, v[19:20]
	s_cbranch_vccnz .LBB715_242
; %bb.234:
	s_delay_alu instid0(VALU_DEP_1) | instskip(NEXT) | instid1(VALU_DEP_2)
	v_add_co_u32 v19, vcc_lo, s16, v21
	v_add_co_ci_u32_e32 v20, vcc_lo, s17, v22, vcc_lo
	v_add_co_u32 v17, vcc_lo, s16, v17
	v_add_co_ci_u32_e32 v18, vcc_lo, s17, v18, vcc_lo
	s_mov_b32 s33, -1
	s_clause 0x1
	global_load_u16 v23, v[19:20], off
	global_load_u16 v24, v[17:18], off
	s_mov_b32 s34, exec_lo
	s_waitcnt vmcnt(0)
	v_cmpx_eq_u16_e64 v23, v24
	s_cbranch_execz .LBB715_241
; %bb.235:
	v_add_co_u32 v17, vcc_lo, v17, 2
	v_add_co_ci_u32_e32 v18, vcc_lo, 0, v18, vcc_lo
	v_add_co_u32 v19, vcc_lo, v19, 2
	v_add_co_ci_u32_e32 v20, vcc_lo, 0, v20, vcc_lo
	s_add_u32 s4, s14, -1
	s_addc_u32 s5, s15, -1
	s_mov_b64 s[6:7], 0
	s_mov_b32 s33, 0
                                        ; implicit-def: $sgpr35
	s_set_inst_prefetch_distance 0x1
	s_branch .LBB715_238
	.p2align	6
.LBB715_236:                            ;   in Loop: Header=BB715_238 Depth=1
	global_load_u16 v23, v[19:20], off
	global_load_u16 v24, v[17:18], off
	v_add_co_u32 v17, vcc_lo, v17, 2
	v_add_co_ci_u32_e32 v18, vcc_lo, 0, v18, vcc_lo
	v_add_co_u32 v19, s0, v19, 2
	s_delay_alu instid0(VALU_DEP_1)
	v_add_co_ci_u32_e64 v20, s0, 0, v20, s0
	s_add_u32 s6, s6, 1
	s_addc_u32 s7, s7, 0
	s_and_not1_b32 s0, s35, exec_lo
	s_waitcnt vmcnt(0)
	v_cmp_ne_u16_e32 vcc_lo, v23, v24
	s_and_b32 s35, vcc_lo, exec_lo
	s_delay_alu instid0(SALU_CYCLE_1)
	s_or_b32 s35, s0, s35
.LBB715_237:                            ;   in Loop: Header=BB715_238 Depth=1
	v_dual_mov_b32 v24, s7 :: v_dual_mov_b32 v23, s6
	s_and_b32 s0, exec_lo, s35
	s_delay_alu instid0(SALU_CYCLE_1) | instskip(NEXT) | instid1(SALU_CYCLE_1)
	s_or_b32 s33, s0, s33
	s_and_not1_b32 exec_lo, exec_lo, s33
	s_cbranch_execz .LBB715_240
.LBB715_238:                            ; =>This Inner Loop Header: Depth=1
	s_or_b32 s35, s35, exec_lo
	s_cmp_eq_u64 s[4:5], s[6:7]
	s_cbranch_scc0 .LBB715_236
; %bb.239:                              ;   in Loop: Header=BB715_238 Depth=1
	s_mov_b64 s[6:7], s[14:15]
                                        ; implicit-def: $vgpr17_vgpr18
                                        ; implicit-def: $vgpr19_vgpr20
	s_branch .LBB715_237
.LBB715_240:
	s_set_inst_prefetch_distance 0x2
	s_or_b32 exec_lo, exec_lo, s33
	v_cmp_gt_i64_e32 vcc_lo, s[14:15], v[23:24]
	s_or_not1_b32 s33, vcc_lo, exec_lo
.LBB715_241:
	s_or_b32 exec_lo, exec_lo, s34
.LBB715_242:
	v_mul_lo_u32 v19, v16, s14
	v_mul_lo_u32 v20, v15, s15
	v_mad_u64_u32 v[17:18], null, v15, s14, 0
	s_and_not1_b32 vcc_lo, exec_lo, s26
	s_delay_alu instid0(VALU_DEP_1) | instskip(NEXT) | instid1(VALU_DEP_1)
	v_add3_u32 v18, v18, v20, v19
	v_lshlrev_b64 v[19:20], 1, v[17:18]
	s_cbranch_vccnz .LBB715_251
; %bb.243:
	s_delay_alu instid0(VALU_DEP_1) | instskip(NEXT) | instid1(VALU_DEP_2)
	v_add_co_u32 v23, vcc_lo, s16, v19
	v_add_co_ci_u32_e32 v24, vcc_lo, s17, v20, vcc_lo
	v_add_co_u32 v17, vcc_lo, s16, v21
	v_add_co_ci_u32_e32 v18, vcc_lo, s17, v22, vcc_lo
	s_mov_b32 s31, -1
	s_clause 0x1
	global_load_u16 v21, v[23:24], off
	global_load_u16 v22, v[17:18], off
	s_mov_b32 s34, exec_lo
	s_waitcnt vmcnt(0)
	v_cmpx_eq_u16_e64 v21, v22
	s_cbranch_execz .LBB715_250
; %bb.244:
	v_add_co_u32 v17, vcc_lo, v17, 2
	v_add_co_ci_u32_e32 v18, vcc_lo, 0, v18, vcc_lo
	v_add_co_u32 v21, vcc_lo, v23, 2
	v_add_co_ci_u32_e32 v22, vcc_lo, 0, v24, vcc_lo
	s_add_u32 s4, s14, -1
	s_addc_u32 s5, s15, -1
	s_mov_b64 s[6:7], 0
	s_mov_b32 s31, 0
                                        ; implicit-def: $sgpr35
	s_set_inst_prefetch_distance 0x1
	s_branch .LBB715_247
	.p2align	6
.LBB715_245:                            ;   in Loop: Header=BB715_247 Depth=1
	global_load_u16 v23, v[21:22], off
	global_load_u16 v24, v[17:18], off
	v_add_co_u32 v17, vcc_lo, v17, 2
	v_add_co_ci_u32_e32 v18, vcc_lo, 0, v18, vcc_lo
	v_add_co_u32 v21, s0, v21, 2
	s_delay_alu instid0(VALU_DEP_1)
	v_add_co_ci_u32_e64 v22, s0, 0, v22, s0
	s_add_u32 s6, s6, 1
	s_addc_u32 s7, s7, 0
	s_and_not1_b32 s0, s35, exec_lo
	s_waitcnt vmcnt(0)
	v_cmp_ne_u16_e32 vcc_lo, v23, v24
	s_and_b32 s35, vcc_lo, exec_lo
	s_delay_alu instid0(SALU_CYCLE_1)
	s_or_b32 s35, s0, s35
.LBB715_246:                            ;   in Loop: Header=BB715_247 Depth=1
	v_dual_mov_b32 v24, s7 :: v_dual_mov_b32 v23, s6
	s_and_b32 s0, exec_lo, s35
	s_delay_alu instid0(SALU_CYCLE_1) | instskip(NEXT) | instid1(SALU_CYCLE_1)
	s_or_b32 s31, s0, s31
	s_and_not1_b32 exec_lo, exec_lo, s31
	s_cbranch_execz .LBB715_249
.LBB715_247:                            ; =>This Inner Loop Header: Depth=1
	s_or_b32 s35, s35, exec_lo
	s_cmp_eq_u64 s[4:5], s[6:7]
	s_cbranch_scc0 .LBB715_245
; %bb.248:                              ;   in Loop: Header=BB715_247 Depth=1
	s_mov_b64 s[6:7], s[14:15]
                                        ; implicit-def: $vgpr17_vgpr18
                                        ; implicit-def: $vgpr21_vgpr22
	s_branch .LBB715_246
.LBB715_249:
	s_set_inst_prefetch_distance 0x2
	s_or_b32 exec_lo, exec_lo, s31
	v_cmp_gt_i64_e32 vcc_lo, s[14:15], v[23:24]
	s_or_not1_b32 s31, vcc_lo, exec_lo
.LBB715_250:
	s_or_b32 exec_lo, exec_lo, s34
.LBB715_251:
	v_mul_lo_u32 v21, v14, s14
	v_mul_lo_u32 v22, v13, s15
	v_mad_u64_u32 v[17:18], null, v13, s14, 0
	s_and_not1_b32 vcc_lo, exec_lo, s26
	s_mov_b32 s0, 0
	s_delay_alu instid0(VALU_DEP_1)
	v_add3_u32 v18, v18, v22, v21
	s_cbranch_vccnz .LBB715_260
; %bb.252:
	s_delay_alu instid0(VALU_DEP_1) | instskip(SKIP_2) | instid1(VALU_DEP_1)
	v_lshlrev_b64 v[21:22], 1, v[17:18]
	s_mov_b32 s0, -1
	s_mov_b32 s34, exec_lo
	v_add_co_u32 v21, vcc_lo, s16, v21
	s_delay_alu instid0(VALU_DEP_2)
	v_add_co_ci_u32_e32 v22, vcc_lo, s17, v22, vcc_lo
	v_add_co_u32 v19, vcc_lo, s16, v19
	v_add_co_ci_u32_e32 v20, vcc_lo, s17, v20, vcc_lo
	s_clause 0x1
	global_load_u16 v23, v[21:22], off
	global_load_u16 v24, v[19:20], off
	s_waitcnt vmcnt(0)
	v_cmpx_eq_u16_e64 v23, v24
	s_cbranch_execz .LBB715_259
; %bb.253:
	v_add_co_u32 v19, vcc_lo, v19, 2
	v_add_co_ci_u32_e32 v20, vcc_lo, 0, v20, vcc_lo
	v_add_co_u32 v21, vcc_lo, v21, 2
	v_add_co_ci_u32_e32 v22, vcc_lo, 0, v22, vcc_lo
	s_add_u32 s4, s14, -1
	s_addc_u32 s5, s15, -1
	s_mov_b64 s[6:7], 0
	s_mov_b32 s35, 0
                                        ; implicit-def: $sgpr36
	s_set_inst_prefetch_distance 0x1
	s_branch .LBB715_256
	.p2align	6
.LBB715_254:                            ;   in Loop: Header=BB715_256 Depth=1
	global_load_u16 v23, v[21:22], off
	global_load_u16 v24, v[19:20], off
	v_add_co_u32 v19, vcc_lo, v19, 2
	v_add_co_ci_u32_e32 v20, vcc_lo, 0, v20, vcc_lo
	v_add_co_u32 v21, s0, v21, 2
	s_delay_alu instid0(VALU_DEP_1)
	v_add_co_ci_u32_e64 v22, s0, 0, v22, s0
	s_add_u32 s6, s6, 1
	s_addc_u32 s7, s7, 0
	s_and_not1_b32 s0, s36, exec_lo
	s_waitcnt vmcnt(0)
	v_cmp_ne_u16_e32 vcc_lo, v23, v24
	s_and_b32 s36, vcc_lo, exec_lo
	s_delay_alu instid0(SALU_CYCLE_1)
	s_or_b32 s36, s0, s36
.LBB715_255:                            ;   in Loop: Header=BB715_256 Depth=1
	v_dual_mov_b32 v24, s7 :: v_dual_mov_b32 v23, s6
	s_and_b32 s0, exec_lo, s36
	s_delay_alu instid0(SALU_CYCLE_1) | instskip(NEXT) | instid1(SALU_CYCLE_1)
	s_or_b32 s35, s0, s35
	s_and_not1_b32 exec_lo, exec_lo, s35
	s_cbranch_execz .LBB715_258
.LBB715_256:                            ; =>This Inner Loop Header: Depth=1
	s_or_b32 s36, s36, exec_lo
	s_cmp_eq_u64 s[4:5], s[6:7]
	s_cbranch_scc0 .LBB715_254
; %bb.257:                              ;   in Loop: Header=BB715_256 Depth=1
	s_mov_b64 s[6:7], s[14:15]
                                        ; implicit-def: $vgpr19_vgpr20
                                        ; implicit-def: $vgpr21_vgpr22
	s_branch .LBB715_255
.LBB715_258:
	s_set_inst_prefetch_distance 0x2
	s_or_b32 exec_lo, exec_lo, s35
	v_cmp_gt_i64_e32 vcc_lo, s[14:15], v[23:24]
	s_or_not1_b32 s0, vcc_lo, exec_lo
.LBB715_259:
	s_or_b32 exec_lo, exec_lo, s34
.LBB715_260:
	v_cndmask_b32_e64 v20, 0, 1, s33
	v_cndmask_b32_e64 v21, 0, 1, s30
	;; [unrolled: 1-line block ×7, first 2 shown]
	v_lshlrev_b16 v21, 8, v21
	v_lshlrev_b16 v22, 8, v22
	v_lshlrev_b16 v23, 8, v23
	v_lshlrev_b16 v20, 8, v20
	s_waitcnt lgkmcnt(0)
	v_or_b32_e32 v21, v24, v21
	v_or_b32_e32 v22, v25, v22
	;; [unrolled: 1-line block ×4, first 2 shown]
	s_barrier
	v_and_b32_e32 v20, 0xffff, v21
	v_lshlrev_b32_e32 v21, 16, v22
	v_and_b32_e32 v22, 0xffff, v23
	v_lshlrev_b32_e32 v19, 16, v19
	buffer_gl0_inv
                                        ; implicit-def: $sgpr0
	v_or_b32_e32 v20, v20, v21
	v_or_b32_e32 v19, v22, v19
	s_and_saveexec_b32 s4, s3
	s_delay_alu instid0(SALU_CYCLE_1)
	s_xor_b32 s27, exec_lo, s4
	s_cbranch_execz .LBB715_271
; %bb.261:
	s_and_not1_b32 vcc_lo, exec_lo, s26
	s_mov_b32 s0, 0
	s_cbranch_vccnz .LBB715_270
; %bb.262:
	v_add_nc_u32_e32 v21, -8, v39
	v_lshlrev_b64 v[17:18], 1, v[17:18]
	s_mov_b32 s0, -1
	s_mov_b32 s28, exec_lo
	ds_load_b64 v[21:22], v21
	s_waitcnt lgkmcnt(0)
	v_mul_lo_u32 v24, v22, s14
	v_mul_lo_u32 v25, v21, s15
	v_mad_u64_u32 v[22:23], null, v21, s14, 0
	s_delay_alu instid0(VALU_DEP_1) | instskip(NEXT) | instid1(VALU_DEP_1)
	v_add3_u32 v23, v23, v25, v24
	v_lshlrev_b64 v[21:22], 1, v[22:23]
	s_delay_alu instid0(VALU_DEP_1) | instskip(NEXT) | instid1(VALU_DEP_2)
	v_add_co_u32 v21, vcc_lo, s16, v21
	v_add_co_ci_u32_e32 v22, vcc_lo, s17, v22, vcc_lo
	v_add_co_u32 v17, vcc_lo, s16, v17
	v_add_co_ci_u32_e32 v18, vcc_lo, s17, v18, vcc_lo
	s_clause 0x1
	global_load_u16 v23, v[21:22], off
	global_load_u16 v24, v[17:18], off
	s_waitcnt vmcnt(0)
	v_cmpx_eq_u16_e64 v23, v24
	s_cbranch_execz .LBB715_269
; %bb.263:
	v_add_co_u32 v17, vcc_lo, v17, 2
	v_add_co_ci_u32_e32 v18, vcc_lo, 0, v18, vcc_lo
	v_add_co_u32 v21, vcc_lo, v21, 2
	v_add_co_ci_u32_e32 v22, vcc_lo, 0, v22, vcc_lo
	s_add_u32 s4, s14, -1
	s_addc_u32 s5, s15, -1
	s_mov_b64 s[6:7], 0
	s_mov_b32 s29, 0
                                        ; implicit-def: $sgpr30
	s_set_inst_prefetch_distance 0x1
	s_branch .LBB715_266
	.p2align	6
.LBB715_264:                            ;   in Loop: Header=BB715_266 Depth=1
	global_load_u16 v23, v[21:22], off
	global_load_u16 v24, v[17:18], off
	v_add_co_u32 v17, vcc_lo, v17, 2
	v_add_co_ci_u32_e32 v18, vcc_lo, 0, v18, vcc_lo
	v_add_co_u32 v21, s0, v21, 2
	s_delay_alu instid0(VALU_DEP_1)
	v_add_co_ci_u32_e64 v22, s0, 0, v22, s0
	s_add_u32 s6, s6, 1
	s_addc_u32 s7, s7, 0
	s_and_not1_b32 s0, s30, exec_lo
	s_waitcnt vmcnt(0)
	v_cmp_ne_u16_e32 vcc_lo, v23, v24
	s_and_b32 s30, vcc_lo, exec_lo
	s_delay_alu instid0(SALU_CYCLE_1)
	s_or_b32 s30, s0, s30
.LBB715_265:                            ;   in Loop: Header=BB715_266 Depth=1
	v_dual_mov_b32 v24, s7 :: v_dual_mov_b32 v23, s6
	s_and_b32 s0, exec_lo, s30
	s_delay_alu instid0(SALU_CYCLE_1) | instskip(NEXT) | instid1(SALU_CYCLE_1)
	s_or_b32 s29, s0, s29
	s_and_not1_b32 exec_lo, exec_lo, s29
	s_cbranch_execz .LBB715_268
.LBB715_266:                            ; =>This Inner Loop Header: Depth=1
	s_or_b32 s30, s30, exec_lo
	s_cmp_eq_u64 s[4:5], s[6:7]
	s_cbranch_scc0 .LBB715_264
; %bb.267:                              ;   in Loop: Header=BB715_266 Depth=1
	s_mov_b64 s[6:7], s[14:15]
                                        ; implicit-def: $vgpr17_vgpr18
                                        ; implicit-def: $vgpr21_vgpr22
	s_branch .LBB715_265
.LBB715_268:
	s_set_inst_prefetch_distance 0x2
	s_or_b32 exec_lo, exec_lo, s29
	v_cmp_gt_i64_e32 vcc_lo, s[14:15], v[23:24]
	s_or_not1_b32 s0, vcc_lo, exec_lo
.LBB715_269:
	s_or_b32 exec_lo, exec_lo, s28
.LBB715_270:
	s_delay_alu instid0(SALU_CYCLE_1)
	s_and_b32 s0, s0, exec_lo
	s_or_b32 s25, s25, exec_lo
.LBB715_271:
	s_or_b32 exec_lo, exec_lo, s27
	s_branch .LBB715_363
.LBB715_272:
	s_waitcnt vmcnt(0) lgkmcnt(1)
	v_or_b32_e32 v17, 7, v39
	s_mov_b32 s27, 0
	s_mov_b32 s28, 0
	s_mov_b32 s29, exec_lo
	s_delay_alu instid0(VALU_DEP_1)
	v_cmpx_gt_u32_e64 s12, v17
	s_cbranch_execz .LBB715_283
; %bb.273:
	s_and_not1_b32 vcc_lo, exec_lo, s26
	s_mov_b32 s0, 0
	s_cbranch_vccnz .LBB715_282
; %bb.274:
	v_mul_lo_u32 v21, v2, s14
	v_mul_lo_u32 v22, v1, s15
	v_mad_u64_u32 v[17:18], null, v1, s14, 0
	v_mul_lo_u32 v23, v4, s14
	v_mul_lo_u32 v24, v3, s15
	v_mad_u64_u32 v[19:20], null, v3, s14, 0
	s_mov_b32 s0, -1
	s_mov_b32 s28, exec_lo
	s_delay_alu instid0(VALU_DEP_4) | instskip(NEXT) | instid1(VALU_DEP_2)
	v_add3_u32 v18, v18, v22, v21
	v_add3_u32 v20, v20, v24, v23
	s_delay_alu instid0(VALU_DEP_2) | instskip(NEXT) | instid1(VALU_DEP_2)
	v_lshlrev_b64 v[17:18], 1, v[17:18]
	v_lshlrev_b64 v[21:22], 1, v[19:20]
	s_delay_alu instid0(VALU_DEP_2) | instskip(NEXT) | instid1(VALU_DEP_3)
	v_add_co_u32 v19, vcc_lo, s16, v17
	v_add_co_ci_u32_e32 v20, vcc_lo, s17, v18, vcc_lo
	s_delay_alu instid0(VALU_DEP_3) | instskip(NEXT) | instid1(VALU_DEP_4)
	v_add_co_u32 v17, vcc_lo, s16, v21
	v_add_co_ci_u32_e32 v18, vcc_lo, s17, v22, vcc_lo
	s_clause 0x1
	global_load_u16 v21, v[19:20], off
	global_load_u16 v22, v[17:18], off
	s_waitcnt vmcnt(0)
	v_cmpx_eq_u16_e64 v21, v22
	s_cbranch_execz .LBB715_281
; %bb.275:
	v_add_co_u32 v17, vcc_lo, v17, 2
	v_add_co_ci_u32_e32 v18, vcc_lo, 0, v18, vcc_lo
	v_add_co_u32 v19, vcc_lo, v19, 2
	v_add_co_ci_u32_e32 v20, vcc_lo, 0, v20, vcc_lo
	s_add_u32 s4, s14, -1
	s_addc_u32 s5, s15, -1
	s_mov_b64 s[6:7], 0
	s_mov_b32 s30, 0
                                        ; implicit-def: $sgpr31
	s_set_inst_prefetch_distance 0x1
	s_branch .LBB715_278
	.p2align	6
.LBB715_276:                            ;   in Loop: Header=BB715_278 Depth=1
	global_load_u16 v21, v[19:20], off
	global_load_u16 v22, v[17:18], off
	v_add_co_u32 v17, vcc_lo, v17, 2
	v_add_co_ci_u32_e32 v18, vcc_lo, 0, v18, vcc_lo
	v_add_co_u32 v19, s0, v19, 2
	s_delay_alu instid0(VALU_DEP_1)
	v_add_co_ci_u32_e64 v20, s0, 0, v20, s0
	s_add_u32 s6, s6, 1
	s_addc_u32 s7, s7, 0
	s_and_not1_b32 s0, s31, exec_lo
	s_waitcnt vmcnt(0)
	v_cmp_ne_u16_e32 vcc_lo, v21, v22
	s_and_b32 s31, vcc_lo, exec_lo
	s_delay_alu instid0(SALU_CYCLE_1)
	s_or_b32 s31, s0, s31
.LBB715_277:                            ;   in Loop: Header=BB715_278 Depth=1
	v_dual_mov_b32 v22, s7 :: v_dual_mov_b32 v21, s6
	s_and_b32 s0, exec_lo, s31
	s_delay_alu instid0(SALU_CYCLE_1) | instskip(NEXT) | instid1(SALU_CYCLE_1)
	s_or_b32 s30, s0, s30
	s_and_not1_b32 exec_lo, exec_lo, s30
	s_cbranch_execz .LBB715_280
.LBB715_278:                            ; =>This Inner Loop Header: Depth=1
	s_or_b32 s31, s31, exec_lo
	s_cmp_eq_u64 s[4:5], s[6:7]
	s_cbranch_scc0 .LBB715_276
; %bb.279:                              ;   in Loop: Header=BB715_278 Depth=1
	s_mov_b64 s[6:7], s[14:15]
                                        ; implicit-def: $vgpr17_vgpr18
                                        ; implicit-def: $vgpr19_vgpr20
	s_branch .LBB715_277
.LBB715_280:
	s_set_inst_prefetch_distance 0x2
	s_or_b32 exec_lo, exec_lo, s30
	v_cmp_gt_i64_e32 vcc_lo, s[14:15], v[21:22]
	s_or_not1_b32 s0, vcc_lo, exec_lo
.LBB715_281:
	s_or_b32 exec_lo, exec_lo, s28
.LBB715_282:
	s_delay_alu instid0(SALU_CYCLE_1)
	s_and_b32 s28, s0, exec_lo
.LBB715_283:
	s_or_b32 exec_lo, exec_lo, s29
	v_or_b32_e32 v17, 6, v39
	s_mov_b32 s29, exec_lo
	s_delay_alu instid0(VALU_DEP_1)
	v_cmpx_gt_u32_e64 s12, v17
	s_cbranch_execz .LBB715_294
; %bb.284:
	s_and_not1_b32 vcc_lo, exec_lo, s26
	s_mov_b32 s0, 0
	s_cbranch_vccnz .LBB715_293
; %bb.285:
	v_mul_lo_u32 v21, v8, s14
	v_mul_lo_u32 v22, v7, s15
	v_mad_u64_u32 v[17:18], null, v7, s14, 0
	v_mul_lo_u32 v23, v2, s14
	v_mul_lo_u32 v24, v1, s15
	v_mad_u64_u32 v[19:20], null, v1, s14, 0
	s_mov_b32 s0, -1
	s_mov_b32 s27, exec_lo
	s_delay_alu instid0(VALU_DEP_4) | instskip(NEXT) | instid1(VALU_DEP_2)
	v_add3_u32 v18, v18, v22, v21
	v_add3_u32 v20, v20, v24, v23
	s_delay_alu instid0(VALU_DEP_2) | instskip(NEXT) | instid1(VALU_DEP_2)
	v_lshlrev_b64 v[17:18], 1, v[17:18]
	v_lshlrev_b64 v[21:22], 1, v[19:20]
	s_delay_alu instid0(VALU_DEP_2) | instskip(NEXT) | instid1(VALU_DEP_3)
	v_add_co_u32 v19, vcc_lo, s16, v17
	v_add_co_ci_u32_e32 v20, vcc_lo, s17, v18, vcc_lo
	s_delay_alu instid0(VALU_DEP_3) | instskip(NEXT) | instid1(VALU_DEP_4)
	v_add_co_u32 v17, vcc_lo, s16, v21
	v_add_co_ci_u32_e32 v18, vcc_lo, s17, v22, vcc_lo
	s_clause 0x1
	global_load_u16 v21, v[19:20], off
	global_load_u16 v22, v[17:18], off
	s_waitcnt vmcnt(0)
	v_cmpx_eq_u16_e64 v21, v22
	s_cbranch_execz .LBB715_292
; %bb.286:
	v_add_co_u32 v17, vcc_lo, v17, 2
	v_add_co_ci_u32_e32 v18, vcc_lo, 0, v18, vcc_lo
	v_add_co_u32 v19, vcc_lo, v19, 2
	v_add_co_ci_u32_e32 v20, vcc_lo, 0, v20, vcc_lo
	s_add_u32 s4, s14, -1
	s_addc_u32 s5, s15, -1
	s_mov_b64 s[6:7], 0
	s_mov_b32 s30, 0
                                        ; implicit-def: $sgpr31
	s_set_inst_prefetch_distance 0x1
	s_branch .LBB715_289
	.p2align	6
.LBB715_287:                            ;   in Loop: Header=BB715_289 Depth=1
	global_load_u16 v21, v[19:20], off
	global_load_u16 v22, v[17:18], off
	v_add_co_u32 v17, vcc_lo, v17, 2
	v_add_co_ci_u32_e32 v18, vcc_lo, 0, v18, vcc_lo
	v_add_co_u32 v19, s0, v19, 2
	s_delay_alu instid0(VALU_DEP_1)
	v_add_co_ci_u32_e64 v20, s0, 0, v20, s0
	s_add_u32 s6, s6, 1
	s_addc_u32 s7, s7, 0
	s_and_not1_b32 s0, s31, exec_lo
	s_waitcnt vmcnt(0)
	v_cmp_ne_u16_e32 vcc_lo, v21, v22
	s_and_b32 s31, vcc_lo, exec_lo
	s_delay_alu instid0(SALU_CYCLE_1)
	s_or_b32 s31, s0, s31
.LBB715_288:                            ;   in Loop: Header=BB715_289 Depth=1
	v_dual_mov_b32 v22, s7 :: v_dual_mov_b32 v21, s6
	s_and_b32 s0, exec_lo, s31
	s_delay_alu instid0(SALU_CYCLE_1) | instskip(NEXT) | instid1(SALU_CYCLE_1)
	s_or_b32 s30, s0, s30
	s_and_not1_b32 exec_lo, exec_lo, s30
	s_cbranch_execz .LBB715_291
.LBB715_289:                            ; =>This Inner Loop Header: Depth=1
	s_or_b32 s31, s31, exec_lo
	s_cmp_eq_u64 s[4:5], s[6:7]
	s_cbranch_scc0 .LBB715_287
; %bb.290:                              ;   in Loop: Header=BB715_289 Depth=1
	s_mov_b64 s[6:7], s[14:15]
                                        ; implicit-def: $vgpr17_vgpr18
                                        ; implicit-def: $vgpr19_vgpr20
	s_branch .LBB715_288
.LBB715_291:
	s_set_inst_prefetch_distance 0x2
	s_or_b32 exec_lo, exec_lo, s30
	v_cmp_gt_i64_e32 vcc_lo, s[14:15], v[21:22]
	s_or_not1_b32 s0, vcc_lo, exec_lo
.LBB715_292:
	s_or_b32 exec_lo, exec_lo, s27
.LBB715_293:
	s_delay_alu instid0(SALU_CYCLE_1)
	s_and_b32 s27, s0, exec_lo
.LBB715_294:
	s_or_b32 exec_lo, exec_lo, s29
	v_or_b32_e32 v17, 5, v39
	s_mov_b32 s29, 0
	s_mov_b32 s30, 0
	s_mov_b32 s31, exec_lo
	s_delay_alu instid0(VALU_DEP_1)
	v_cmpx_gt_u32_e64 s12, v17
	s_cbranch_execz .LBB715_305
; %bb.295:
	s_and_not1_b32 vcc_lo, exec_lo, s26
	s_mov_b32 s0, 0
	s_cbranch_vccnz .LBB715_304
; %bb.296:
	v_mul_lo_u32 v21, v6, s14
	v_mul_lo_u32 v22, v5, s15
	v_mad_u64_u32 v[17:18], null, v5, s14, 0
	v_mul_lo_u32 v23, v8, s14
	v_mul_lo_u32 v24, v7, s15
	v_mad_u64_u32 v[19:20], null, v7, s14, 0
	s_mov_b32 s0, -1
	s_mov_b32 s30, exec_lo
	s_delay_alu instid0(VALU_DEP_4) | instskip(NEXT) | instid1(VALU_DEP_2)
	v_add3_u32 v18, v18, v22, v21
	v_add3_u32 v20, v20, v24, v23
	s_delay_alu instid0(VALU_DEP_2) | instskip(NEXT) | instid1(VALU_DEP_2)
	v_lshlrev_b64 v[17:18], 1, v[17:18]
	v_lshlrev_b64 v[21:22], 1, v[19:20]
	s_delay_alu instid0(VALU_DEP_2) | instskip(NEXT) | instid1(VALU_DEP_3)
	v_add_co_u32 v19, vcc_lo, s16, v17
	v_add_co_ci_u32_e32 v20, vcc_lo, s17, v18, vcc_lo
	s_delay_alu instid0(VALU_DEP_3) | instskip(NEXT) | instid1(VALU_DEP_4)
	v_add_co_u32 v17, vcc_lo, s16, v21
	v_add_co_ci_u32_e32 v18, vcc_lo, s17, v22, vcc_lo
	s_clause 0x1
	global_load_u16 v21, v[19:20], off
	global_load_u16 v22, v[17:18], off
	s_waitcnt vmcnt(0)
	v_cmpx_eq_u16_e64 v21, v22
	s_cbranch_execz .LBB715_303
; %bb.297:
	v_add_co_u32 v17, vcc_lo, v17, 2
	v_add_co_ci_u32_e32 v18, vcc_lo, 0, v18, vcc_lo
	v_add_co_u32 v19, vcc_lo, v19, 2
	v_add_co_ci_u32_e32 v20, vcc_lo, 0, v20, vcc_lo
	s_add_u32 s4, s14, -1
	s_addc_u32 s5, s15, -1
	s_mov_b64 s[6:7], 0
	s_mov_b32 s33, 0
                                        ; implicit-def: $sgpr34
	s_set_inst_prefetch_distance 0x1
	s_branch .LBB715_300
	.p2align	6
.LBB715_298:                            ;   in Loop: Header=BB715_300 Depth=1
	global_load_u16 v21, v[19:20], off
	global_load_u16 v22, v[17:18], off
	v_add_co_u32 v17, vcc_lo, v17, 2
	v_add_co_ci_u32_e32 v18, vcc_lo, 0, v18, vcc_lo
	v_add_co_u32 v19, s0, v19, 2
	s_delay_alu instid0(VALU_DEP_1)
	v_add_co_ci_u32_e64 v20, s0, 0, v20, s0
	s_add_u32 s6, s6, 1
	s_addc_u32 s7, s7, 0
	s_and_not1_b32 s0, s34, exec_lo
	s_waitcnt vmcnt(0)
	v_cmp_ne_u16_e32 vcc_lo, v21, v22
	s_and_b32 s34, vcc_lo, exec_lo
	s_delay_alu instid0(SALU_CYCLE_1)
	s_or_b32 s34, s0, s34
.LBB715_299:                            ;   in Loop: Header=BB715_300 Depth=1
	v_dual_mov_b32 v22, s7 :: v_dual_mov_b32 v21, s6
	s_and_b32 s0, exec_lo, s34
	s_delay_alu instid0(SALU_CYCLE_1) | instskip(NEXT) | instid1(SALU_CYCLE_1)
	s_or_b32 s33, s0, s33
	s_and_not1_b32 exec_lo, exec_lo, s33
	s_cbranch_execz .LBB715_302
.LBB715_300:                            ; =>This Inner Loop Header: Depth=1
	s_or_b32 s34, s34, exec_lo
	s_cmp_eq_u64 s[4:5], s[6:7]
	s_cbranch_scc0 .LBB715_298
; %bb.301:                              ;   in Loop: Header=BB715_300 Depth=1
	s_mov_b64 s[6:7], s[14:15]
                                        ; implicit-def: $vgpr17_vgpr18
                                        ; implicit-def: $vgpr19_vgpr20
	s_branch .LBB715_299
.LBB715_302:
	s_set_inst_prefetch_distance 0x2
	s_or_b32 exec_lo, exec_lo, s33
	v_cmp_gt_i64_e32 vcc_lo, s[14:15], v[21:22]
	s_or_not1_b32 s0, vcc_lo, exec_lo
.LBB715_303:
	s_or_b32 exec_lo, exec_lo, s30
.LBB715_304:
	s_delay_alu instid0(SALU_CYCLE_1)
	s_and_b32 s30, s0, exec_lo
.LBB715_305:
	s_or_b32 exec_lo, exec_lo, s31
	v_or_b32_e32 v17, 4, v39
	s_mov_b32 s31, exec_lo
	s_delay_alu instid0(VALU_DEP_1)
	v_cmpx_gt_u32_e64 s12, v17
	s_cbranch_execz .LBB715_316
; %bb.306:
	s_and_not1_b32 vcc_lo, exec_lo, s26
	s_mov_b32 s0, 0
	s_cbranch_vccnz .LBB715_315
; %bb.307:
	v_mul_lo_u32 v21, v12, s14
	v_mul_lo_u32 v22, v11, s15
	v_mad_u64_u32 v[17:18], null, v11, s14, 0
	v_mul_lo_u32 v23, v6, s14
	v_mul_lo_u32 v24, v5, s15
	v_mad_u64_u32 v[19:20], null, v5, s14, 0
	s_mov_b32 s0, -1
	s_mov_b32 s29, exec_lo
	s_delay_alu instid0(VALU_DEP_4) | instskip(NEXT) | instid1(VALU_DEP_2)
	v_add3_u32 v18, v18, v22, v21
	v_add3_u32 v20, v20, v24, v23
	s_delay_alu instid0(VALU_DEP_2) | instskip(NEXT) | instid1(VALU_DEP_2)
	v_lshlrev_b64 v[17:18], 1, v[17:18]
	v_lshlrev_b64 v[21:22], 1, v[19:20]
	s_delay_alu instid0(VALU_DEP_2) | instskip(NEXT) | instid1(VALU_DEP_3)
	v_add_co_u32 v19, vcc_lo, s16, v17
	v_add_co_ci_u32_e32 v20, vcc_lo, s17, v18, vcc_lo
	s_delay_alu instid0(VALU_DEP_3) | instskip(NEXT) | instid1(VALU_DEP_4)
	v_add_co_u32 v17, vcc_lo, s16, v21
	v_add_co_ci_u32_e32 v18, vcc_lo, s17, v22, vcc_lo
	s_clause 0x1
	global_load_u16 v21, v[19:20], off
	global_load_u16 v22, v[17:18], off
	s_waitcnt vmcnt(0)
	v_cmpx_eq_u16_e64 v21, v22
	s_cbranch_execz .LBB715_314
; %bb.308:
	v_add_co_u32 v17, vcc_lo, v17, 2
	v_add_co_ci_u32_e32 v18, vcc_lo, 0, v18, vcc_lo
	v_add_co_u32 v19, vcc_lo, v19, 2
	v_add_co_ci_u32_e32 v20, vcc_lo, 0, v20, vcc_lo
	s_add_u32 s4, s14, -1
	s_addc_u32 s5, s15, -1
	s_mov_b64 s[6:7], 0
	s_mov_b32 s33, 0
                                        ; implicit-def: $sgpr34
	s_set_inst_prefetch_distance 0x1
	s_branch .LBB715_311
	.p2align	6
.LBB715_309:                            ;   in Loop: Header=BB715_311 Depth=1
	global_load_u16 v21, v[19:20], off
	global_load_u16 v22, v[17:18], off
	v_add_co_u32 v17, vcc_lo, v17, 2
	v_add_co_ci_u32_e32 v18, vcc_lo, 0, v18, vcc_lo
	v_add_co_u32 v19, s0, v19, 2
	s_delay_alu instid0(VALU_DEP_1)
	v_add_co_ci_u32_e64 v20, s0, 0, v20, s0
	s_add_u32 s6, s6, 1
	s_addc_u32 s7, s7, 0
	s_and_not1_b32 s0, s34, exec_lo
	s_waitcnt vmcnt(0)
	v_cmp_ne_u16_e32 vcc_lo, v21, v22
	s_and_b32 s34, vcc_lo, exec_lo
	s_delay_alu instid0(SALU_CYCLE_1)
	s_or_b32 s34, s0, s34
.LBB715_310:                            ;   in Loop: Header=BB715_311 Depth=1
	v_dual_mov_b32 v22, s7 :: v_dual_mov_b32 v21, s6
	s_and_b32 s0, exec_lo, s34
	s_delay_alu instid0(SALU_CYCLE_1) | instskip(NEXT) | instid1(SALU_CYCLE_1)
	s_or_b32 s33, s0, s33
	s_and_not1_b32 exec_lo, exec_lo, s33
	s_cbranch_execz .LBB715_313
.LBB715_311:                            ; =>This Inner Loop Header: Depth=1
	s_or_b32 s34, s34, exec_lo
	s_cmp_eq_u64 s[4:5], s[6:7]
	s_cbranch_scc0 .LBB715_309
; %bb.312:                              ;   in Loop: Header=BB715_311 Depth=1
	s_mov_b64 s[6:7], s[14:15]
                                        ; implicit-def: $vgpr17_vgpr18
                                        ; implicit-def: $vgpr19_vgpr20
	s_branch .LBB715_310
.LBB715_313:
	s_set_inst_prefetch_distance 0x2
	s_or_b32 exec_lo, exec_lo, s33
	v_cmp_gt_i64_e32 vcc_lo, s[14:15], v[21:22]
	s_or_not1_b32 s0, vcc_lo, exec_lo
.LBB715_314:
	s_or_b32 exec_lo, exec_lo, s29
.LBB715_315:
	s_delay_alu instid0(SALU_CYCLE_1)
	s_and_b32 s29, s0, exec_lo
.LBB715_316:
	s_or_b32 exec_lo, exec_lo, s31
	v_or_b32_e32 v17, 3, v39
	s_mov_b32 s33, 0
	s_mov_b32 s31, 0
	s_mov_b32 s34, exec_lo
	s_delay_alu instid0(VALU_DEP_1)
	v_cmpx_gt_u32_e64 s12, v17
	s_cbranch_execz .LBB715_327
; %bb.317:
	s_and_not1_b32 vcc_lo, exec_lo, s26
	s_mov_b32 s0, 0
	s_cbranch_vccnz .LBB715_326
; %bb.318:
	v_mul_lo_u32 v21, v10, s14
	v_mul_lo_u32 v22, v9, s15
	v_mad_u64_u32 v[17:18], null, v9, s14, 0
	v_mul_lo_u32 v23, v12, s14
	v_mul_lo_u32 v24, v11, s15
	v_mad_u64_u32 v[19:20], null, v11, s14, 0
	s_mov_b32 s0, -1
	s_mov_b32 s31, exec_lo
	s_delay_alu instid0(VALU_DEP_4) | instskip(NEXT) | instid1(VALU_DEP_2)
	v_add3_u32 v18, v18, v22, v21
	v_add3_u32 v20, v20, v24, v23
	s_delay_alu instid0(VALU_DEP_2) | instskip(NEXT) | instid1(VALU_DEP_2)
	v_lshlrev_b64 v[17:18], 1, v[17:18]
	v_lshlrev_b64 v[21:22], 1, v[19:20]
	s_delay_alu instid0(VALU_DEP_2) | instskip(NEXT) | instid1(VALU_DEP_3)
	v_add_co_u32 v19, vcc_lo, s16, v17
	v_add_co_ci_u32_e32 v20, vcc_lo, s17, v18, vcc_lo
	s_delay_alu instid0(VALU_DEP_3) | instskip(NEXT) | instid1(VALU_DEP_4)
	v_add_co_u32 v17, vcc_lo, s16, v21
	v_add_co_ci_u32_e32 v18, vcc_lo, s17, v22, vcc_lo
	s_clause 0x1
	global_load_u16 v21, v[19:20], off
	global_load_u16 v22, v[17:18], off
	s_waitcnt vmcnt(0)
	v_cmpx_eq_u16_e64 v21, v22
	s_cbranch_execz .LBB715_325
; %bb.319:
	v_add_co_u32 v17, vcc_lo, v17, 2
	v_add_co_ci_u32_e32 v18, vcc_lo, 0, v18, vcc_lo
	v_add_co_u32 v19, vcc_lo, v19, 2
	v_add_co_ci_u32_e32 v20, vcc_lo, 0, v20, vcc_lo
	s_add_u32 s4, s14, -1
	s_addc_u32 s5, s15, -1
	s_mov_b64 s[6:7], 0
	s_mov_b32 s35, 0
                                        ; implicit-def: $sgpr36
	s_set_inst_prefetch_distance 0x1
	s_branch .LBB715_322
	.p2align	6
.LBB715_320:                            ;   in Loop: Header=BB715_322 Depth=1
	global_load_u16 v21, v[19:20], off
	global_load_u16 v22, v[17:18], off
	v_add_co_u32 v17, vcc_lo, v17, 2
	v_add_co_ci_u32_e32 v18, vcc_lo, 0, v18, vcc_lo
	v_add_co_u32 v19, s0, v19, 2
	s_delay_alu instid0(VALU_DEP_1)
	v_add_co_ci_u32_e64 v20, s0, 0, v20, s0
	s_add_u32 s6, s6, 1
	s_addc_u32 s7, s7, 0
	s_and_not1_b32 s0, s36, exec_lo
	s_waitcnt vmcnt(0)
	v_cmp_ne_u16_e32 vcc_lo, v21, v22
	s_and_b32 s36, vcc_lo, exec_lo
	s_delay_alu instid0(SALU_CYCLE_1)
	s_or_b32 s36, s0, s36
.LBB715_321:                            ;   in Loop: Header=BB715_322 Depth=1
	v_dual_mov_b32 v22, s7 :: v_dual_mov_b32 v21, s6
	s_and_b32 s0, exec_lo, s36
	s_delay_alu instid0(SALU_CYCLE_1) | instskip(NEXT) | instid1(SALU_CYCLE_1)
	s_or_b32 s35, s0, s35
	s_and_not1_b32 exec_lo, exec_lo, s35
	s_cbranch_execz .LBB715_324
.LBB715_322:                            ; =>This Inner Loop Header: Depth=1
	s_or_b32 s36, s36, exec_lo
	s_cmp_eq_u64 s[4:5], s[6:7]
	s_cbranch_scc0 .LBB715_320
; %bb.323:                              ;   in Loop: Header=BB715_322 Depth=1
	s_mov_b64 s[6:7], s[14:15]
                                        ; implicit-def: $vgpr17_vgpr18
                                        ; implicit-def: $vgpr19_vgpr20
	s_branch .LBB715_321
.LBB715_324:
	s_set_inst_prefetch_distance 0x2
	s_or_b32 exec_lo, exec_lo, s35
	v_cmp_gt_i64_e32 vcc_lo, s[14:15], v[21:22]
	s_or_not1_b32 s0, vcc_lo, exec_lo
.LBB715_325:
	s_or_b32 exec_lo, exec_lo, s31
.LBB715_326:
	s_delay_alu instid0(SALU_CYCLE_1)
	s_and_b32 s31, s0, exec_lo
.LBB715_327:
	s_or_b32 exec_lo, exec_lo, s34
	v_or_b32_e32 v17, 2, v39
	s_mov_b32 s34, exec_lo
	s_delay_alu instid0(VALU_DEP_1)
	v_cmpx_gt_u32_e64 s12, v17
	s_cbranch_execz .LBB715_338
; %bb.328:
	s_and_not1_b32 vcc_lo, exec_lo, s26
	s_mov_b32 s0, 0
	s_cbranch_vccnz .LBB715_337
; %bb.329:
	v_mul_lo_u32 v21, v16, s14
	v_mul_lo_u32 v22, v15, s15
	v_mad_u64_u32 v[17:18], null, v15, s14, 0
	v_mul_lo_u32 v23, v10, s14
	v_mul_lo_u32 v24, v9, s15
	v_mad_u64_u32 v[19:20], null, v9, s14, 0
	s_mov_b32 s0, -1
	s_mov_b32 s33, exec_lo
	s_delay_alu instid0(VALU_DEP_4) | instskip(NEXT) | instid1(VALU_DEP_2)
	v_add3_u32 v18, v18, v22, v21
	v_add3_u32 v20, v20, v24, v23
	s_delay_alu instid0(VALU_DEP_2) | instskip(NEXT) | instid1(VALU_DEP_2)
	v_lshlrev_b64 v[17:18], 1, v[17:18]
	v_lshlrev_b64 v[21:22], 1, v[19:20]
	s_delay_alu instid0(VALU_DEP_2) | instskip(NEXT) | instid1(VALU_DEP_3)
	v_add_co_u32 v19, vcc_lo, s16, v17
	v_add_co_ci_u32_e32 v20, vcc_lo, s17, v18, vcc_lo
	s_delay_alu instid0(VALU_DEP_3) | instskip(NEXT) | instid1(VALU_DEP_4)
	v_add_co_u32 v17, vcc_lo, s16, v21
	v_add_co_ci_u32_e32 v18, vcc_lo, s17, v22, vcc_lo
	s_clause 0x1
	global_load_u16 v21, v[19:20], off
	global_load_u16 v22, v[17:18], off
	s_waitcnt vmcnt(0)
	v_cmpx_eq_u16_e64 v21, v22
	s_cbranch_execz .LBB715_336
; %bb.330:
	v_add_co_u32 v17, vcc_lo, v17, 2
	v_add_co_ci_u32_e32 v18, vcc_lo, 0, v18, vcc_lo
	v_add_co_u32 v19, vcc_lo, v19, 2
	v_add_co_ci_u32_e32 v20, vcc_lo, 0, v20, vcc_lo
	s_add_u32 s4, s14, -1
	s_addc_u32 s5, s15, -1
	s_mov_b64 s[6:7], 0
	s_mov_b32 s35, 0
                                        ; implicit-def: $sgpr36
	s_set_inst_prefetch_distance 0x1
	s_branch .LBB715_333
	.p2align	6
.LBB715_331:                            ;   in Loop: Header=BB715_333 Depth=1
	global_load_u16 v21, v[19:20], off
	global_load_u16 v22, v[17:18], off
	v_add_co_u32 v17, vcc_lo, v17, 2
	v_add_co_ci_u32_e32 v18, vcc_lo, 0, v18, vcc_lo
	v_add_co_u32 v19, s0, v19, 2
	s_delay_alu instid0(VALU_DEP_1)
	v_add_co_ci_u32_e64 v20, s0, 0, v20, s0
	s_add_u32 s6, s6, 1
	s_addc_u32 s7, s7, 0
	s_and_not1_b32 s0, s36, exec_lo
	s_waitcnt vmcnt(0)
	v_cmp_ne_u16_e32 vcc_lo, v21, v22
	s_and_b32 s36, vcc_lo, exec_lo
	s_delay_alu instid0(SALU_CYCLE_1)
	s_or_b32 s36, s0, s36
.LBB715_332:                            ;   in Loop: Header=BB715_333 Depth=1
	v_dual_mov_b32 v22, s7 :: v_dual_mov_b32 v21, s6
	s_and_b32 s0, exec_lo, s36
	s_delay_alu instid0(SALU_CYCLE_1) | instskip(NEXT) | instid1(SALU_CYCLE_1)
	s_or_b32 s35, s0, s35
	s_and_not1_b32 exec_lo, exec_lo, s35
	s_cbranch_execz .LBB715_335
.LBB715_333:                            ; =>This Inner Loop Header: Depth=1
	s_or_b32 s36, s36, exec_lo
	s_cmp_eq_u64 s[4:5], s[6:7]
	s_cbranch_scc0 .LBB715_331
; %bb.334:                              ;   in Loop: Header=BB715_333 Depth=1
	s_mov_b64 s[6:7], s[14:15]
                                        ; implicit-def: $vgpr17_vgpr18
                                        ; implicit-def: $vgpr19_vgpr20
	s_branch .LBB715_332
.LBB715_335:
	s_set_inst_prefetch_distance 0x2
	s_or_b32 exec_lo, exec_lo, s35
	v_cmp_gt_i64_e32 vcc_lo, s[14:15], v[21:22]
	s_or_not1_b32 s0, vcc_lo, exec_lo
.LBB715_336:
	s_or_b32 exec_lo, exec_lo, s33
.LBB715_337:
	s_delay_alu instid0(SALU_CYCLE_1)
	s_and_b32 s33, s0, exec_lo
.LBB715_338:
	s_or_b32 exec_lo, exec_lo, s34
	v_or_b32_e32 v17, 1, v39
	s_mov_b32 s0, 0
	s_mov_b32 s34, exec_lo
	s_delay_alu instid0(VALU_DEP_1)
	v_cmpx_gt_u32_e64 s12, v17
	s_cbranch_execz .LBB715_349
; %bb.339:
	s_and_not1_b32 vcc_lo, exec_lo, s26
	s_cbranch_vccnz .LBB715_348
; %bb.340:
	v_mul_lo_u32 v21, v14, s14
	v_mul_lo_u32 v22, v13, s15
	v_mad_u64_u32 v[17:18], null, v13, s14, 0
	v_mul_lo_u32 v23, v16, s14
	v_mul_lo_u32 v24, v15, s15
	v_mad_u64_u32 v[19:20], null, v15, s14, 0
	s_mov_b32 s0, -1
	s_mov_b32 s35, exec_lo
	s_delay_alu instid0(VALU_DEP_4) | instskip(NEXT) | instid1(VALU_DEP_2)
	v_add3_u32 v18, v18, v22, v21
	v_add3_u32 v20, v20, v24, v23
	s_delay_alu instid0(VALU_DEP_2) | instskip(NEXT) | instid1(VALU_DEP_2)
	v_lshlrev_b64 v[17:18], 1, v[17:18]
	v_lshlrev_b64 v[21:22], 1, v[19:20]
	s_delay_alu instid0(VALU_DEP_2) | instskip(NEXT) | instid1(VALU_DEP_3)
	v_add_co_u32 v19, vcc_lo, s16, v17
	v_add_co_ci_u32_e32 v20, vcc_lo, s17, v18, vcc_lo
	s_delay_alu instid0(VALU_DEP_3) | instskip(NEXT) | instid1(VALU_DEP_4)
	v_add_co_u32 v17, vcc_lo, s16, v21
	v_add_co_ci_u32_e32 v18, vcc_lo, s17, v22, vcc_lo
	s_clause 0x1
	global_load_u16 v21, v[19:20], off
	global_load_u16 v22, v[17:18], off
	s_waitcnt vmcnt(0)
	v_cmpx_eq_u16_e64 v21, v22
	s_cbranch_execz .LBB715_347
; %bb.341:
	v_add_co_u32 v17, vcc_lo, v17, 2
	v_add_co_ci_u32_e32 v18, vcc_lo, 0, v18, vcc_lo
	v_add_co_u32 v19, vcc_lo, v19, 2
	v_add_co_ci_u32_e32 v20, vcc_lo, 0, v20, vcc_lo
	s_add_u32 s4, s14, -1
	s_addc_u32 s5, s15, -1
	s_mov_b64 s[6:7], 0
	s_mov_b32 s36, 0
                                        ; implicit-def: $sgpr37
	s_set_inst_prefetch_distance 0x1
	s_branch .LBB715_344
	.p2align	6
.LBB715_342:                            ;   in Loop: Header=BB715_344 Depth=1
	global_load_u16 v21, v[19:20], off
	global_load_u16 v22, v[17:18], off
	v_add_co_u32 v17, vcc_lo, v17, 2
	v_add_co_ci_u32_e32 v18, vcc_lo, 0, v18, vcc_lo
	v_add_co_u32 v19, s0, v19, 2
	s_delay_alu instid0(VALU_DEP_1)
	v_add_co_ci_u32_e64 v20, s0, 0, v20, s0
	s_add_u32 s6, s6, 1
	s_addc_u32 s7, s7, 0
	s_and_not1_b32 s0, s37, exec_lo
	s_waitcnt vmcnt(0)
	v_cmp_ne_u16_e32 vcc_lo, v21, v22
	s_and_b32 s37, vcc_lo, exec_lo
	s_delay_alu instid0(SALU_CYCLE_1)
	s_or_b32 s37, s0, s37
.LBB715_343:                            ;   in Loop: Header=BB715_344 Depth=1
	v_dual_mov_b32 v22, s7 :: v_dual_mov_b32 v21, s6
	s_and_b32 s0, exec_lo, s37
	s_delay_alu instid0(SALU_CYCLE_1) | instskip(NEXT) | instid1(SALU_CYCLE_1)
	s_or_b32 s36, s0, s36
	s_and_not1_b32 exec_lo, exec_lo, s36
	s_cbranch_execz .LBB715_346
.LBB715_344:                            ; =>This Inner Loop Header: Depth=1
	s_or_b32 s37, s37, exec_lo
	s_cmp_eq_u64 s[4:5], s[6:7]
	s_cbranch_scc0 .LBB715_342
; %bb.345:                              ;   in Loop: Header=BB715_344 Depth=1
	s_mov_b64 s[6:7], s[14:15]
                                        ; implicit-def: $vgpr17_vgpr18
                                        ; implicit-def: $vgpr19_vgpr20
	s_branch .LBB715_343
.LBB715_346:
	s_set_inst_prefetch_distance 0x2
	s_or_b32 exec_lo, exec_lo, s36
	v_cmp_gt_i64_e32 vcc_lo, s[14:15], v[21:22]
	s_or_not1_b32 s0, vcc_lo, exec_lo
.LBB715_347:
	s_or_b32 exec_lo, exec_lo, s35
.LBB715_348:
	s_delay_alu instid0(SALU_CYCLE_1)
	s_and_b32 s0, s0, exec_lo
.LBB715_349:
	s_or_b32 exec_lo, exec_lo, s34
	v_cndmask_b32_e64 v18, 0, 1, s31
	v_cndmask_b32_e64 v19, 0, 1, s30
	;; [unrolled: 1-line block ×7, first 2 shown]
	v_lshlrev_b16 v19, 8, v19
	v_lshlrev_b16 v20, 8, v20
	;; [unrolled: 1-line block ×4, first 2 shown]
	s_waitcnt lgkmcnt(0)
	v_or_b32_e32 v19, v22, v19
	v_or_b32_e32 v20, v23, v20
	;; [unrolled: 1-line block ×4, first 2 shown]
	s_barrier
	v_and_b32_e32 v18, 0xffff, v19
	v_lshlrev_b32_e32 v19, 16, v20
	v_and_b32_e32 v21, 0xffff, v21
	v_lshlrev_b32_e32 v17, 16, v17
	buffer_gl0_inv
                                        ; implicit-def: $sgpr0
	v_or_b32_e32 v20, v18, v19
	v_or_b32_e32 v19, v21, v17
	s_and_saveexec_b32 s27, s3
	s_cbranch_execz .LBB715_362
; %bb.350:
	s_mov_b32 s0, 0
	s_mov_b32 s3, exec_lo
	v_cmpx_gt_u32_e64 s12, v39
	s_cbranch_execz .LBB715_361
; %bb.351:
	s_and_not1_b32 vcc_lo, exec_lo, s26
	s_cbranch_vccnz .LBB715_360
; %bb.352:
	v_add_nc_u32_e32 v17, -8, v39
	v_mul_lo_u32 v25, v14, s14
	v_mul_lo_u32 v26, v13, s15
	s_mov_b32 s0, -1
	ds_load_b64 v[17:18], v17
	s_waitcnt lgkmcnt(0)
	v_mul_lo_u32 v23, v18, s14
	v_mul_lo_u32 v24, v17, s15
	v_mad_u64_u32 v[21:22], null, v17, s14, 0
	v_mad_u64_u32 v[17:18], null, v13, s14, 0
	s_delay_alu instid0(VALU_DEP_2) | instskip(NEXT) | instid1(VALU_DEP_2)
	v_add3_u32 v22, v22, v24, v23
	v_add3_u32 v18, v18, v26, v25
	s_delay_alu instid0(VALU_DEP_2) | instskip(NEXT) | instid1(VALU_DEP_2)
	v_lshlrev_b64 v[21:22], 1, v[21:22]
	v_lshlrev_b64 v[17:18], 1, v[17:18]
	s_delay_alu instid0(VALU_DEP_2) | instskip(NEXT) | instid1(VALU_DEP_3)
	v_add_co_u32 v21, vcc_lo, s16, v21
	v_add_co_ci_u32_e32 v22, vcc_lo, s17, v22, vcc_lo
	s_delay_alu instid0(VALU_DEP_3) | instskip(NEXT) | instid1(VALU_DEP_4)
	v_add_co_u32 v17, vcc_lo, s16, v17
	v_add_co_ci_u32_e32 v18, vcc_lo, s17, v18, vcc_lo
	s_clause 0x1
	global_load_u16 v23, v[21:22], off
	global_load_u16 v24, v[17:18], off
	s_mov_b32 s16, exec_lo
	s_waitcnt vmcnt(0)
	v_cmpx_eq_u16_e64 v23, v24
	s_cbranch_execz .LBB715_359
; %bb.353:
	v_add_co_u32 v17, vcc_lo, v17, 2
	v_add_co_ci_u32_e32 v18, vcc_lo, 0, v18, vcc_lo
	v_add_co_u32 v21, vcc_lo, v21, 2
	v_add_co_ci_u32_e32 v22, vcc_lo, 0, v22, vcc_lo
	s_add_u32 s4, s14, -1
	s_addc_u32 s5, s15, -1
	s_mov_b64 s[6:7], 0
	s_mov_b32 s17, 0
                                        ; implicit-def: $sgpr26
	s_set_inst_prefetch_distance 0x1
	s_branch .LBB715_356
	.p2align	6
.LBB715_354:                            ;   in Loop: Header=BB715_356 Depth=1
	global_load_u16 v23, v[21:22], off
	global_load_u16 v24, v[17:18], off
	v_add_co_u32 v17, vcc_lo, v17, 2
	v_add_co_ci_u32_e32 v18, vcc_lo, 0, v18, vcc_lo
	v_add_co_u32 v21, s0, v21, 2
	s_delay_alu instid0(VALU_DEP_1)
	v_add_co_ci_u32_e64 v22, s0, 0, v22, s0
	s_add_u32 s6, s6, 1
	s_addc_u32 s7, s7, 0
	s_and_not1_b32 s0, s26, exec_lo
	s_waitcnt vmcnt(0)
	v_cmp_ne_u16_e32 vcc_lo, v23, v24
	s_and_b32 s26, vcc_lo, exec_lo
	s_delay_alu instid0(SALU_CYCLE_1)
	s_or_b32 s26, s0, s26
.LBB715_355:                            ;   in Loop: Header=BB715_356 Depth=1
	v_dual_mov_b32 v24, s7 :: v_dual_mov_b32 v23, s6
	s_and_b32 s0, exec_lo, s26
	s_delay_alu instid0(SALU_CYCLE_1) | instskip(NEXT) | instid1(SALU_CYCLE_1)
	s_or_b32 s17, s0, s17
	s_and_not1_b32 exec_lo, exec_lo, s17
	s_cbranch_execz .LBB715_358
.LBB715_356:                            ; =>This Inner Loop Header: Depth=1
	s_or_b32 s26, s26, exec_lo
	s_cmp_eq_u64 s[4:5], s[6:7]
	s_cbranch_scc0 .LBB715_354
; %bb.357:                              ;   in Loop: Header=BB715_356 Depth=1
	s_mov_b64 s[6:7], s[14:15]
                                        ; implicit-def: $vgpr17_vgpr18
                                        ; implicit-def: $vgpr21_vgpr22
	s_branch .LBB715_355
.LBB715_358:
	s_set_inst_prefetch_distance 0x2
	s_or_b32 exec_lo, exec_lo, s17
	v_cmp_gt_i64_e32 vcc_lo, s[14:15], v[23:24]
	s_or_not1_b32 s0, vcc_lo, exec_lo
.LBB715_359:
	s_or_b32 exec_lo, exec_lo, s16
.LBB715_360:
	s_delay_alu instid0(SALU_CYCLE_1)
	s_and_b32 s0, s0, exec_lo
.LBB715_361:
	s_or_b32 exec_lo, exec_lo, s3
	s_delay_alu instid0(SALU_CYCLE_1)
	s_and_b32 s0, s0, exec_lo
	s_or_b32 s25, s25, exec_lo
.LBB715_362:
	s_or_b32 exec_lo, exec_lo, s27
.LBB715_363:
	s_and_saveexec_b32 s3, s25
	s_cbranch_execz .LBB715_365
; %bb.364:
	s_waitcnt vmcnt(0) lgkmcnt(0)
	v_and_b32_e32 v17, 0xffffff00, v19
	v_cndmask_b32_e64 v18, 0, 1, s0
	s_delay_alu instid0(VALU_DEP_1) | instskip(NEXT) | instid1(VALU_DEP_1)
	v_or_b32_e32 v17, v18, v17
	v_and_b32_e32 v17, 0xffff, v17
	s_delay_alu instid0(VALU_DEP_1)
	v_and_or_b32 v19, 0xffff0000, v19, v17
.LBB715_365:
	s_or_b32 exec_lo, exec_lo, s3
	s_delay_alu instid0(SALU_CYCLE_1)
	s_and_not1_b32 vcc_lo, exec_lo, s1
	s_cbranch_vccnz .LBB715_367
; %bb.366:
	v_cmp_gt_u32_e32 vcc_lo, s12, v39
	s_waitcnt vmcnt(0) lgkmcnt(0)
	v_or_b32_e32 v18, 1, v39
	v_and_b32_e32 v21, 0xffffff00, v20
	v_or_b32_e32 v22, 2, v39
	v_cndmask_b32_e32 v17, 0, v19, vcc_lo
	s_delay_alu instid0(VALU_DEP_4) | instskip(SKIP_1) | instid1(VALU_DEP_4)
	v_cmp_gt_u32_e32 vcc_lo, s12, v18
	v_or_b32_e32 v18, 4, v39
	v_cmp_gt_u32_e64 s0, s12, v22
	v_or_b32_e32 v22, 3, v39
	v_and_b32_e32 v17, 0xff, v17
	s_delay_alu instid0(VALU_DEP_2) | instskip(NEXT) | instid1(VALU_DEP_2)
	v_cmp_gt_u32_e64 s1, s12, v22
	v_cndmask_b32_e32 v17, v17, v19, vcc_lo
	v_cmp_gt_u32_e32 vcc_lo, s12, v18
	v_cndmask_b32_e32 v18, v21, v20, vcc_lo
	v_or_b32_e32 v21, 5, v39
	s_delay_alu instid0(VALU_DEP_2) | instskip(SKIP_1) | instid1(VALU_DEP_1)
	v_and_b32_e32 v18, 0xffff00ff, v18
	v_and_b32_e32 v17, 0xffff, v17
	v_cndmask_b32_e64 v17, v17, v19, s0
	s_delay_alu instid0(VALU_DEP_4) | instskip(SKIP_1) | instid1(VALU_DEP_3)
	v_cmp_gt_u32_e64 s0, s12, v21
	v_or_b32_e32 v21, 6, v39
	v_and_b32_e32 v17, 0xffffff, v17
	s_delay_alu instid0(VALU_DEP_3) | instskip(NEXT) | instid1(VALU_DEP_2)
	v_cndmask_b32_e64 v18, v18, v20, s0
	v_cndmask_b32_e64 v17, v17, v19, s1
	s_delay_alu instid0(VALU_DEP_1) | instskip(SKIP_2) | instid1(VALU_DEP_3)
	v_dual_cndmask_b32 v17, v17, v19 :: v_dual_and_b32 v18, 0xff00ffff, v18
	v_cmp_gt_u32_e32 vcc_lo, s12, v21
	v_or_b32_e32 v21, 7, v39
	v_cndmask_b32_e64 v17, v17, v19, s0
	s_delay_alu instid0(VALU_DEP_1) | instskip(NEXT) | instid1(VALU_DEP_1)
	v_dual_cndmask_b32 v18, v18, v20 :: v_dual_cndmask_b32 v17, v17, v19
	v_and_b32_e32 v18, 0xffffff, v18
	s_delay_alu instid0(VALU_DEP_4) | instskip(NEXT) | instid1(VALU_DEP_2)
	v_cmp_gt_u32_e32 vcc_lo, s12, v21
	v_dual_cndmask_b32 v20, v18, v20 :: v_dual_cndmask_b32 v19, v17, v19
.LBB715_367:
	s_delay_alu instid0(VALU_DEP_1) | instskip(SKIP_1) | instid1(VALU_DEP_2)
	v_and_b32_e32 v28, 0xff, v19
	s_waitcnt vmcnt(0) lgkmcnt(0)
	v_alignbit_b32 v17, v20, v19, 24
	v_bfe_u32 v30, v19, 8, 8
	v_bfe_u32 v32, v19, 16, 8
	v_and_b32_e32 v36, 0xff, v20
	v_bfe_u32 v38, v20, 8, 8
	v_and_b32_e32 v34, 0xff, v17
	v_add_nc_u32_e32 v17, v30, v28
	v_mbcnt_lo_u32_b32 v42, -1, 0
	v_bfe_u32 v41, v20, 16, 8
	v_lshrrev_b32_e32 v40, 24, v20
	v_lshrrev_b32_e32 v43, 5, v0
	v_add3_u32 v17, v17, v32, v34
	v_and_b32_e32 v18, 15, v42
	v_and_b32_e32 v21, 16, v42
	s_and_b32 vcc_lo, exec_lo, s24
	s_mov_b32 s7, -1
	v_add3_u32 v17, v17, v36, v38
	v_cmp_eq_u32_e64 s3, 0, v18
	v_cmp_lt_u32_e64 s0, 1, v18
	v_cmp_lt_u32_e64 s4, 3, v18
	;; [unrolled: 1-line block ×3, first 2 shown]
	v_add3_u32 v44, v17, v41, v40
	v_or_b32_e32 v17, 31, v0
	v_cmp_eq_u32_e64 s6, 0, v21
	s_barrier
	buffer_gl0_inv
	v_cmp_eq_u32_e64 s5, v17, v0
	s_cbranch_vccz .LBB715_393
; %bb.368:
	v_mov_b32_dpp v17, v44 row_shr:1 row_mask:0xf bank_mask:0xf
	s_delay_alu instid0(VALU_DEP_1) | instskip(NEXT) | instid1(VALU_DEP_1)
	v_cndmask_b32_e64 v17, v17, 0, s3
	v_add_nc_u32_e32 v17, v17, v44
	s_delay_alu instid0(VALU_DEP_1) | instskip(NEXT) | instid1(VALU_DEP_1)
	v_mov_b32_dpp v18, v17 row_shr:2 row_mask:0xf bank_mask:0xf
	v_cndmask_b32_e64 v18, 0, v18, s0
	s_delay_alu instid0(VALU_DEP_1) | instskip(NEXT) | instid1(VALU_DEP_1)
	v_add_nc_u32_e32 v17, v17, v18
	v_mov_b32_dpp v18, v17 row_shr:4 row_mask:0xf bank_mask:0xf
	s_delay_alu instid0(VALU_DEP_1) | instskip(NEXT) | instid1(VALU_DEP_1)
	v_cndmask_b32_e64 v18, 0, v18, s4
	v_add_nc_u32_e32 v17, v17, v18
	s_delay_alu instid0(VALU_DEP_1) | instskip(NEXT) | instid1(VALU_DEP_1)
	v_mov_b32_dpp v18, v17 row_shr:8 row_mask:0xf bank_mask:0xf
	v_cndmask_b32_e64 v18, 0, v18, s1
	s_delay_alu instid0(VALU_DEP_1) | instskip(SKIP_3) | instid1(VALU_DEP_1)
	v_add_nc_u32_e32 v17, v17, v18
	ds_swizzle_b32 v18, v17 offset:swizzle(BROADCAST,32,15)
	s_waitcnt lgkmcnt(0)
	v_cndmask_b32_e64 v18, v18, 0, s6
	v_add_nc_u32_e32 v17, v17, v18
	s_and_saveexec_b32 s7, s5
	s_cbranch_execz .LBB715_370
; %bb.369:
	v_lshlrev_b32_e32 v18, 2, v43
	ds_store_b32 v18, v17
.LBB715_370:
	s_or_b32 exec_lo, exec_lo, s7
	s_delay_alu instid0(SALU_CYCLE_1)
	s_mov_b32 s7, exec_lo
	s_waitcnt lgkmcnt(0)
	s_barrier
	buffer_gl0_inv
	v_cmpx_gt_u32_e32 16, v0
	s_cbranch_execz .LBB715_372
; %bb.371:
	v_lshlrev_b32_e32 v18, 2, v0
	ds_load_b32 v21, v18
	s_waitcnt lgkmcnt(0)
	v_mov_b32_dpp v22, v21 row_shr:1 row_mask:0xf bank_mask:0xf
	s_delay_alu instid0(VALU_DEP_1) | instskip(NEXT) | instid1(VALU_DEP_1)
	v_cndmask_b32_e64 v22, v22, 0, s3
	v_add_nc_u32_e32 v21, v22, v21
	s_delay_alu instid0(VALU_DEP_1) | instskip(NEXT) | instid1(VALU_DEP_1)
	v_mov_b32_dpp v22, v21 row_shr:2 row_mask:0xf bank_mask:0xf
	v_cndmask_b32_e64 v22, 0, v22, s0
	s_delay_alu instid0(VALU_DEP_1) | instskip(NEXT) | instid1(VALU_DEP_1)
	v_add_nc_u32_e32 v21, v21, v22
	v_mov_b32_dpp v22, v21 row_shr:4 row_mask:0xf bank_mask:0xf
	s_delay_alu instid0(VALU_DEP_1) | instskip(NEXT) | instid1(VALU_DEP_1)
	v_cndmask_b32_e64 v22, 0, v22, s4
	v_add_nc_u32_e32 v21, v21, v22
	s_delay_alu instid0(VALU_DEP_1) | instskip(NEXT) | instid1(VALU_DEP_1)
	v_mov_b32_dpp v22, v21 row_shr:8 row_mask:0xf bank_mask:0xf
	v_cndmask_b32_e64 v22, 0, v22, s1
	s_delay_alu instid0(VALU_DEP_1)
	v_add_nc_u32_e32 v21, v21, v22
	ds_store_b32 v18, v21
.LBB715_372:
	s_or_b32 exec_lo, exec_lo, s7
	v_cmp_gt_u32_e32 vcc_lo, 32, v0
	s_mov_b32 s12, exec_lo
	s_waitcnt lgkmcnt(0)
	s_barrier
	buffer_gl0_inv
                                        ; implicit-def: $vgpr27
	v_cmpx_lt_u32_e32 31, v0
	s_cbranch_execz .LBB715_374
; %bb.373:
	v_lshl_add_u32 v18, v43, 2, -4
	ds_load_b32 v27, v18
	s_waitcnt lgkmcnt(0)
	v_add_nc_u32_e32 v17, v27, v17
.LBB715_374:
	s_or_b32 exec_lo, exec_lo, s12
	v_add_nc_u32_e32 v18, -1, v42
	s_delay_alu instid0(VALU_DEP_1) | instskip(NEXT) | instid1(VALU_DEP_1)
	v_cmp_gt_i32_e64 s7, 0, v18
	v_cndmask_b32_e64 v18, v18, v42, s7
	v_cmp_eq_u32_e64 s7, 0, v42
	s_delay_alu instid0(VALU_DEP_2)
	v_lshlrev_b32_e32 v18, 2, v18
	ds_bpermute_b32 v29, v18, v17
	s_and_saveexec_b32 s12, vcc_lo
	s_cbranch_execz .LBB715_392
; %bb.375:
	v_mov_b32_e32 v23, 0
	ds_load_b32 v17, v23 offset:60
	s_and_saveexec_b32 s14, s7
	s_cbranch_execz .LBB715_377
; %bb.376:
	s_add_i32 s16, s23, 32
	s_mov_b32 s17, 0
	v_mov_b32_e32 v18, 1
	s_lshl_b64 s[16:17], s[16:17], 3
	s_delay_alu instid0(SALU_CYCLE_1)
	s_add_u32 s16, s18, s16
	s_addc_u32 s17, s19, s17
	s_waitcnt lgkmcnt(0)
	global_store_b64 v23, v[17:18], s[16:17]
.LBB715_377:
	s_or_b32 exec_lo, exec_lo, s14
	v_xad_u32 v21, v42, -1, s23
	s_mov_b32 s15, 0
	s_mov_b32 s14, exec_lo
	s_delay_alu instid0(VALU_DEP_1) | instskip(NEXT) | instid1(VALU_DEP_1)
	v_add_nc_u32_e32 v22, 32, v21
	v_lshlrev_b64 v[22:23], 3, v[22:23]
	s_delay_alu instid0(VALU_DEP_1) | instskip(NEXT) | instid1(VALU_DEP_2)
	v_add_co_u32 v25, vcc_lo, s18, v22
	v_add_co_ci_u32_e32 v26, vcc_lo, s19, v23, vcc_lo
	global_load_b64 v[23:24], v[25:26], off glc
	s_waitcnt vmcnt(0)
	v_and_b32_e32 v18, 0xff, v24
	s_delay_alu instid0(VALU_DEP_1)
	v_cmpx_eq_u16_e32 0, v18
	s_cbranch_execz .LBB715_380
.LBB715_378:                            ; =>This Inner Loop Header: Depth=1
	global_load_b64 v[23:24], v[25:26], off glc
	s_waitcnt vmcnt(0)
	v_and_b32_e32 v18, 0xff, v24
	s_delay_alu instid0(VALU_DEP_1) | instskip(SKIP_1) | instid1(SALU_CYCLE_1)
	v_cmp_ne_u16_e32 vcc_lo, 0, v18
	s_or_b32 s15, vcc_lo, s15
	s_and_not1_b32 exec_lo, exec_lo, s15
	s_cbranch_execnz .LBB715_378
; %bb.379:
	s_or_b32 exec_lo, exec_lo, s15
.LBB715_380:
	s_delay_alu instid0(SALU_CYCLE_1)
	s_or_b32 exec_lo, exec_lo, s14
	v_cmp_ne_u32_e32 vcc_lo, 31, v42
	v_and_b32_e32 v22, 0xff, v24
	v_lshlrev_b32_e64 v31, v42, -1
	v_add_nc_u32_e32 v35, 2, v42
	v_add_nc_u32_e32 v45, 4, v42
	v_add_co_ci_u32_e32 v18, vcc_lo, 0, v42, vcc_lo
	v_cmp_eq_u16_e32 vcc_lo, 2, v22
	v_add_nc_u32_e32 v48, 8, v42
	v_add_nc_u32_e32 v50, 16, v42
	v_and_or_b32 v22, vcc_lo, v31, 0x80000000
	v_cmp_gt_u32_e32 vcc_lo, 30, v42
	s_delay_alu instid0(VALU_DEP_2) | instskip(SKIP_1) | instid1(VALU_DEP_2)
	v_ctz_i32_b32_e32 v22, v22
	v_cndmask_b32_e64 v26, 0, 1, vcc_lo
	v_cmp_lt_u32_e32 vcc_lo, v42, v22
	v_lshlrev_b32_e32 v18, 2, v18
	s_delay_alu instid0(VALU_DEP_3)
	v_lshlrev_b32_e32 v26, 1, v26
	ds_bpermute_b32 v25, v18, v23
	v_add_lshl_u32 v33, v26, v42, 2
	s_waitcnt lgkmcnt(0)
	v_cndmask_b32_e32 v25, 0, v25, vcc_lo
	v_cmp_gt_u32_e32 vcc_lo, 28, v42
	s_delay_alu instid0(VALU_DEP_2) | instskip(SKIP_4) | instid1(VALU_DEP_1)
	v_add_nc_u32_e32 v23, v25, v23
	v_cndmask_b32_e64 v26, 0, 1, vcc_lo
	v_cmp_le_u32_e32 vcc_lo, v35, v22
	ds_bpermute_b32 v25, v33, v23
	v_lshlrev_b32_e32 v26, 2, v26
	v_add_lshl_u32 v37, v26, v42, 2
	s_waitcnt lgkmcnt(0)
	v_cndmask_b32_e32 v25, 0, v25, vcc_lo
	v_cmp_gt_u32_e32 vcc_lo, 24, v42
	s_delay_alu instid0(VALU_DEP_2) | instskip(SKIP_4) | instid1(VALU_DEP_1)
	v_add_nc_u32_e32 v23, v23, v25
	v_cndmask_b32_e64 v26, 0, 1, vcc_lo
	v_cmp_le_u32_e32 vcc_lo, v45, v22
	ds_bpermute_b32 v25, v37, v23
	v_lshlrev_b32_e32 v26, 3, v26
	;; [unrolled: 10-line block ×3, first 2 shown]
	v_add_lshl_u32 v49, v26, v42, 2
	s_waitcnt lgkmcnt(0)
	v_cndmask_b32_e32 v25, 0, v25, vcc_lo
	v_cmp_le_u32_e32 vcc_lo, v50, v22
	s_delay_alu instid0(VALU_DEP_2) | instskip(SKIP_3) | instid1(VALU_DEP_1)
	v_add_nc_u32_e32 v23, v23, v25
	ds_bpermute_b32 v25, v49, v23
	s_waitcnt lgkmcnt(0)
	v_cndmask_b32_e32 v22, 0, v25, vcc_lo
	v_dual_mov_b32 v22, 0 :: v_dual_add_nc_u32 v23, v23, v22
	s_branch .LBB715_382
.LBB715_381:                            ;   in Loop: Header=BB715_382 Depth=1
	s_or_b32 exec_lo, exec_lo, s14
	ds_bpermute_b32 v26, v18, v23
	v_and_b32_e32 v25, 0xff, v24
	v_subrev_nc_u32_e32 v21, 32, v21
	s_delay_alu instid0(VALU_DEP_2) | instskip(SKIP_1) | instid1(VALU_DEP_1)
	v_cmp_eq_u16_e32 vcc_lo, 2, v25
	v_and_or_b32 v25, vcc_lo, v31, 0x80000000
	v_ctz_i32_b32_e32 v25, v25
	s_delay_alu instid0(VALU_DEP_1) | instskip(SKIP_3) | instid1(VALU_DEP_2)
	v_cmp_lt_u32_e32 vcc_lo, v42, v25
	s_waitcnt lgkmcnt(0)
	v_cndmask_b32_e32 v26, 0, v26, vcc_lo
	v_cmp_le_u32_e32 vcc_lo, v35, v25
	v_add_nc_u32_e32 v23, v26, v23
	ds_bpermute_b32 v26, v33, v23
	s_waitcnt lgkmcnt(0)
	v_cndmask_b32_e32 v26, 0, v26, vcc_lo
	v_cmp_le_u32_e32 vcc_lo, v45, v25
	s_delay_alu instid0(VALU_DEP_2) | instskip(SKIP_4) | instid1(VALU_DEP_2)
	v_add_nc_u32_e32 v23, v23, v26
	ds_bpermute_b32 v26, v37, v23
	s_waitcnt lgkmcnt(0)
	v_cndmask_b32_e32 v26, 0, v26, vcc_lo
	v_cmp_le_u32_e32 vcc_lo, v48, v25
	v_add_nc_u32_e32 v23, v23, v26
	ds_bpermute_b32 v26, v47, v23
	s_waitcnt lgkmcnt(0)
	v_cndmask_b32_e32 v26, 0, v26, vcc_lo
	v_cmp_le_u32_e32 vcc_lo, v50, v25
	s_delay_alu instid0(VALU_DEP_2) | instskip(SKIP_3) | instid1(VALU_DEP_1)
	v_add_nc_u32_e32 v23, v23, v26
	ds_bpermute_b32 v26, v49, v23
	s_waitcnt lgkmcnt(0)
	v_cndmask_b32_e32 v25, 0, v26, vcc_lo
	v_add3_u32 v23, v25, v46, v23
.LBB715_382:                            ; =>This Loop Header: Depth=1
                                        ;     Child Loop BB715_385 Depth 2
	v_and_b32_e32 v24, 0xff, v24
	s_delay_alu instid0(VALU_DEP_2) | instskip(NEXT) | instid1(VALU_DEP_2)
	v_mov_b32_e32 v46, v23
	v_cmp_ne_u16_e32 vcc_lo, 2, v24
	v_cndmask_b32_e64 v24, 0, 1, vcc_lo
	;;#ASMSTART
	;;#ASMEND
	s_delay_alu instid0(VALU_DEP_1)
	v_cmp_ne_u32_e32 vcc_lo, 0, v24
	s_cmp_lg_u32 vcc_lo, exec_lo
	s_cbranch_scc1 .LBB715_387
; %bb.383:                              ;   in Loop: Header=BB715_382 Depth=1
	v_lshlrev_b64 v[23:24], 3, v[21:22]
	s_mov_b32 s14, exec_lo
	s_delay_alu instid0(VALU_DEP_1) | instskip(NEXT) | instid1(VALU_DEP_2)
	v_add_co_u32 v25, vcc_lo, s18, v23
	v_add_co_ci_u32_e32 v26, vcc_lo, s19, v24, vcc_lo
	global_load_b64 v[23:24], v[25:26], off glc
	s_waitcnt vmcnt(0)
	v_and_b32_e32 v51, 0xff, v24
	s_delay_alu instid0(VALU_DEP_1)
	v_cmpx_eq_u16_e32 0, v51
	s_cbranch_execz .LBB715_381
; %bb.384:                              ;   in Loop: Header=BB715_382 Depth=1
	s_mov_b32 s15, 0
.LBB715_385:                            ;   Parent Loop BB715_382 Depth=1
                                        ; =>  This Inner Loop Header: Depth=2
	global_load_b64 v[23:24], v[25:26], off glc
	s_waitcnt vmcnt(0)
	v_and_b32_e32 v51, 0xff, v24
	s_delay_alu instid0(VALU_DEP_1) | instskip(SKIP_1) | instid1(SALU_CYCLE_1)
	v_cmp_ne_u16_e32 vcc_lo, 0, v51
	s_or_b32 s15, vcc_lo, s15
	s_and_not1_b32 exec_lo, exec_lo, s15
	s_cbranch_execnz .LBB715_385
; %bb.386:                              ;   in Loop: Header=BB715_382 Depth=1
	s_or_b32 exec_lo, exec_lo, s15
	s_branch .LBB715_381
.LBB715_387:                            ;   in Loop: Header=BB715_382 Depth=1
                                        ; implicit-def: $vgpr23
                                        ; implicit-def: $vgpr24
	s_cbranch_execz .LBB715_382
; %bb.388:
	s_and_saveexec_b32 s14, s7
	s_cbranch_execz .LBB715_390
; %bb.389:
	s_add_i32 s16, s23, 32
	s_mov_b32 s17, 0
	v_dual_mov_b32 v22, 2 :: v_dual_add_nc_u32 v21, v46, v17
	s_lshl_b64 s[16:17], s[16:17], 3
	v_mov_b32_e32 v18, 0
	v_add_nc_u32_e64 v23, 0x8400, 0
	s_add_u32 s16, s18, s16
	s_addc_u32 s17, s19, s17
	global_store_b64 v18, v[21:22], s[16:17]
	ds_store_2addr_b32 v23, v17, v46 offset1:2
.LBB715_390:
	s_or_b32 exec_lo, exec_lo, s14
	s_delay_alu instid0(SALU_CYCLE_1)
	s_and_b32 exec_lo, exec_lo, s2
	s_cbranch_execz .LBB715_392
; %bb.391:
	v_mov_b32_e32 v17, 0
	ds_store_b32 v17, v46 offset:60
.LBB715_392:
	s_or_b32 exec_lo, exec_lo, s12
	v_mov_b32_e32 v17, 0
	s_waitcnt lgkmcnt(0)
	s_waitcnt_vscnt null, 0x0
	s_barrier
	buffer_gl0_inv
	v_cndmask_b32_e64 v18, v29, v27, s7
	ds_load_b32 v17, v17 offset:60
	s_waitcnt lgkmcnt(0)
	s_barrier
	buffer_gl0_inv
	v_cndmask_b32_e64 v18, v18, 0, s2
	s_delay_alu instid0(VALU_DEP_1) | instskip(SKIP_1) | instid1(VALU_DEP_2)
	v_add_nc_u32_e32 v37, v17, v18
	v_add_nc_u32_e64 v17, 0x8400, 0
	v_add_nc_u32_e32 v35, v37, v28
	ds_load_2addr_b32 v[17:18], v17 offset1:2
	v_add_nc_u32_e32 v33, v35, v30
	s_delay_alu instid0(VALU_DEP_1) | instskip(NEXT) | instid1(VALU_DEP_1)
	v_add_nc_u32_e32 v31, v33, v32
	v_add_nc_u32_e32 v29, v31, v34
	s_delay_alu instid0(VALU_DEP_1) | instskip(NEXT) | instid1(VALU_DEP_1)
	v_add_nc_u32_e32 v27, v29, v36
	v_add_nc_u32_e32 v25, v27, v38
	s_delay_alu instid0(VALU_DEP_1)
	v_add_nc_u32_e32 v23, v25, v41
	v_lshrrev_b64 v[21:22], 24, v[19:20]
	s_branch .LBB715_403
.LBB715_393:
                                        ; implicit-def: $vgpr23
                                        ; implicit-def: $vgpr25
                                        ; implicit-def: $vgpr27
                                        ; implicit-def: $vgpr29
                                        ; implicit-def: $vgpr31
                                        ; implicit-def: $vgpr33
                                        ; implicit-def: $vgpr35
                                        ; implicit-def: $vgpr37
                                        ; implicit-def: $vgpr18
	v_lshrrev_b64 v[21:22], 24, v[19:20]
	s_and_b32 vcc_lo, exec_lo, s7
	s_cbranch_vccz .LBB715_403
; %bb.394:
	s_waitcnt lgkmcnt(0)
	v_mov_b32_dpp v17, v44 row_shr:1 row_mask:0xf bank_mask:0xf
	s_delay_alu instid0(VALU_DEP_1) | instskip(NEXT) | instid1(VALU_DEP_1)
	v_cndmask_b32_e64 v17, v17, 0, s3
	v_add_nc_u32_e32 v17, v17, v44
	s_delay_alu instid0(VALU_DEP_1) | instskip(NEXT) | instid1(VALU_DEP_1)
	v_mov_b32_dpp v18, v17 row_shr:2 row_mask:0xf bank_mask:0xf
	v_cndmask_b32_e64 v18, 0, v18, s0
	s_delay_alu instid0(VALU_DEP_1) | instskip(NEXT) | instid1(VALU_DEP_1)
	v_add_nc_u32_e32 v17, v17, v18
	v_mov_b32_dpp v18, v17 row_shr:4 row_mask:0xf bank_mask:0xf
	s_delay_alu instid0(VALU_DEP_1) | instskip(NEXT) | instid1(VALU_DEP_1)
	v_cndmask_b32_e64 v18, 0, v18, s4
	v_add_nc_u32_e32 v17, v17, v18
	s_delay_alu instid0(VALU_DEP_1) | instskip(NEXT) | instid1(VALU_DEP_1)
	v_mov_b32_dpp v18, v17 row_shr:8 row_mask:0xf bank_mask:0xf
	v_cndmask_b32_e64 v18, 0, v18, s1
	s_delay_alu instid0(VALU_DEP_1) | instskip(SKIP_3) | instid1(VALU_DEP_1)
	v_add_nc_u32_e32 v17, v17, v18
	ds_swizzle_b32 v18, v17 offset:swizzle(BROADCAST,32,15)
	s_waitcnt lgkmcnt(0)
	v_cndmask_b32_e64 v18, v18, 0, s6
	v_add_nc_u32_e32 v17, v17, v18
	s_and_saveexec_b32 s6, s5
	s_cbranch_execz .LBB715_396
; %bb.395:
	v_lshlrev_b32_e32 v18, 2, v43
	ds_store_b32 v18, v17
.LBB715_396:
	s_or_b32 exec_lo, exec_lo, s6
	s_delay_alu instid0(SALU_CYCLE_1)
	s_mov_b32 s5, exec_lo
	s_waitcnt lgkmcnt(0)
	s_barrier
	buffer_gl0_inv
	v_cmpx_gt_u32_e32 16, v0
	s_cbranch_execz .LBB715_398
; %bb.397:
	v_lshlrev_b32_e32 v18, 2, v0
	ds_load_b32 v22, v18
	s_waitcnt lgkmcnt(0)
	v_mov_b32_dpp v23, v22 row_shr:1 row_mask:0xf bank_mask:0xf
	s_delay_alu instid0(VALU_DEP_1) | instskip(NEXT) | instid1(VALU_DEP_1)
	v_cndmask_b32_e64 v23, v23, 0, s3
	v_add_nc_u32_e32 v22, v23, v22
	s_delay_alu instid0(VALU_DEP_1) | instskip(NEXT) | instid1(VALU_DEP_1)
	v_mov_b32_dpp v23, v22 row_shr:2 row_mask:0xf bank_mask:0xf
	v_cndmask_b32_e64 v23, 0, v23, s0
	s_delay_alu instid0(VALU_DEP_1) | instskip(NEXT) | instid1(VALU_DEP_1)
	v_add_nc_u32_e32 v22, v22, v23
	v_mov_b32_dpp v23, v22 row_shr:4 row_mask:0xf bank_mask:0xf
	s_delay_alu instid0(VALU_DEP_1) | instskip(NEXT) | instid1(VALU_DEP_1)
	v_cndmask_b32_e64 v23, 0, v23, s4
	v_add_nc_u32_e32 v22, v22, v23
	s_delay_alu instid0(VALU_DEP_1) | instskip(NEXT) | instid1(VALU_DEP_1)
	v_mov_b32_dpp v23, v22 row_shr:8 row_mask:0xf bank_mask:0xf
	v_cndmask_b32_e64 v23, 0, v23, s1
	s_delay_alu instid0(VALU_DEP_1)
	v_add_nc_u32_e32 v22, v22, v23
	ds_store_b32 v18, v22
.LBB715_398:
	s_or_b32 exec_lo, exec_lo, s5
	v_mov_b32_e32 v18, 0
	v_mov_b32_e32 v22, 0
	s_mov_b32 s0, exec_lo
	s_waitcnt lgkmcnt(0)
	s_barrier
	buffer_gl0_inv
	v_cmpx_lt_u32_e32 31, v0
	s_cbranch_execz .LBB715_400
; %bb.399:
	v_lshl_add_u32 v22, v43, 2, -4
	ds_load_b32 v22, v22
.LBB715_400:
	s_or_b32 exec_lo, exec_lo, s0
	v_add_nc_u32_e32 v23, -1, v42
	s_waitcnt lgkmcnt(0)
	v_add_nc_u32_e32 v17, v22, v17
	s_delay_alu instid0(VALU_DEP_2) | instskip(SKIP_1) | instid1(VALU_DEP_1)
	v_cmp_gt_i32_e32 vcc_lo, 0, v23
	v_cndmask_b32_e32 v23, v23, v42, vcc_lo
	v_lshlrev_b32_e32 v23, 2, v23
	ds_bpermute_b32 v23, v23, v17
	ds_load_b32 v17, v18 offset:60
	s_and_saveexec_b32 s0, s2
	s_cbranch_execz .LBB715_402
; %bb.401:
	v_mov_b32_e32 v24, 0
	v_mov_b32_e32 v18, 2
	s_waitcnt lgkmcnt(0)
	global_store_b64 v24, v[17:18], s[18:19] offset:256
.LBB715_402:
	s_or_b32 exec_lo, exec_lo, s0
	v_cmp_eq_u32_e32 vcc_lo, 0, v42
	s_waitcnt lgkmcnt(0)
	s_waitcnt_vscnt null, 0x0
	s_barrier
	buffer_gl0_inv
	v_cndmask_b32_e32 v18, v23, v22, vcc_lo
	s_delay_alu instid0(VALU_DEP_1) | instskip(NEXT) | instid1(VALU_DEP_1)
	v_cndmask_b32_e64 v37, v18, 0, s2
	v_dual_mov_b32 v18, 0 :: v_dual_add_nc_u32 v35, v37, v28
	s_delay_alu instid0(VALU_DEP_1) | instskip(NEXT) | instid1(VALU_DEP_1)
	v_add_nc_u32_e32 v33, v35, v30
	v_add_nc_u32_e32 v31, v33, v32
	s_delay_alu instid0(VALU_DEP_1) | instskip(NEXT) | instid1(VALU_DEP_1)
	v_add_nc_u32_e32 v29, v31, v34
	v_add_nc_u32_e32 v27, v29, v36
	;; [unrolled: 3-line block ×3, first 2 shown]
.LBB715_403:
	s_waitcnt lgkmcnt(0)
	v_cmp_gt_u32_e32 vcc_lo, 0x201, v17
	v_lshrrev_b32_e32 v43, 8, v19
	v_lshrrev_b32_e32 v42, 16, v19
	;; [unrolled: 1-line block ×4, first 2 shown]
	s_mov_b32 s0, -1
	s_cbranch_vccnz .LBB715_407
; %bb.404:
	s_and_b32 vcc_lo, exec_lo, s0
	s_cbranch_vccnz .LBB715_432
.LBB715_405:
	s_and_b32 s0, s2, s13
	s_delay_alu instid0(SALU_CYCLE_1)
	s_and_saveexec_b32 s1, s0
	s_cbranch_execnz .LBB715_452
.LBB715_406:
	s_nop 0
	s_sendmsg sendmsg(MSG_DEALLOC_VGPRS)
	s_endpgm
.LBB715_407:
	v_add_nc_u32_e32 v24, v18, v17
	s_delay_alu instid0(VALU_DEP_1) | instskip(SKIP_1) | instid1(SALU_CYCLE_1)
	v_cmp_lt_u32_e32 vcc_lo, v37, v24
	s_or_b32 s1, s22, vcc_lo
	s_and_saveexec_b32 s0, s1
	s_cbranch_execz .LBB715_410
; %bb.408:
	v_and_b32_e32 v26, 1, v19
	s_delay_alu instid0(VALU_DEP_1)
	v_cmp_eq_u32_e32 vcc_lo, 1, v26
	s_and_b32 exec_lo, exec_lo, vcc_lo
	s_cbranch_execz .LBB715_410
; %bb.409:
	v_mov_b32_e32 v38, 0
	s_lshl_b64 s[4:5], s[10:11], 3
	s_delay_alu instid0(SALU_CYCLE_1) | instskip(SKIP_1) | instid1(VALU_DEP_1)
	s_add_u32 s1, s20, s4
	s_addc_u32 s3, s21, s5
	v_lshlrev_b64 v[44:45], 3, v[37:38]
	s_delay_alu instid0(VALU_DEP_1) | instskip(NEXT) | instid1(VALU_DEP_2)
	v_add_co_u32 v44, vcc_lo, s1, v44
	v_add_co_ci_u32_e32 v45, vcc_lo, s3, v45, vcc_lo
	global_store_b64 v[44:45], v[13:14], off
.LBB715_410:
	s_or_b32 exec_lo, exec_lo, s0
	v_cmp_lt_u32_e32 vcc_lo, v35, v24
	s_or_b32 s1, s22, vcc_lo
	s_delay_alu instid0(SALU_CYCLE_1)
	s_and_saveexec_b32 s0, s1
	s_cbranch_execz .LBB715_413
; %bb.411:
	v_and_b32_e32 v26, 1, v43
	s_delay_alu instid0(VALU_DEP_1)
	v_cmp_eq_u32_e32 vcc_lo, 1, v26
	s_and_b32 exec_lo, exec_lo, vcc_lo
	s_cbranch_execz .LBB715_413
; %bb.412:
	v_mov_b32_e32 v36, 0
	s_lshl_b64 s[4:5], s[10:11], 3
	s_delay_alu instid0(SALU_CYCLE_1) | instskip(SKIP_1) | instid1(VALU_DEP_1)
	s_add_u32 s1, s20, s4
	s_addc_u32 s3, s21, s5
	v_lshlrev_b64 v[44:45], 3, v[35:36]
	s_delay_alu instid0(VALU_DEP_1) | instskip(NEXT) | instid1(VALU_DEP_2)
	v_add_co_u32 v44, vcc_lo, s1, v44
	v_add_co_ci_u32_e32 v45, vcc_lo, s3, v45, vcc_lo
	global_store_b64 v[44:45], v[15:16], off
.LBB715_413:
	s_or_b32 exec_lo, exec_lo, s0
	v_cmp_lt_u32_e32 vcc_lo, v33, v24
	s_or_b32 s1, s22, vcc_lo
	s_delay_alu instid0(SALU_CYCLE_1)
	;; [unrolled: 24-line block ×7, first 2 shown]
	s_and_saveexec_b32 s0, s1
	s_cbranch_execz .LBB715_431
; %bb.429:
	v_and_b32_e32 v24, 1, v40
	s_delay_alu instid0(VALU_DEP_1)
	v_cmp_eq_u32_e32 vcc_lo, 1, v24
	s_and_b32 exec_lo, exec_lo, vcc_lo
	s_cbranch_execz .LBB715_431
; %bb.430:
	v_mov_b32_e32 v24, 0
	s_lshl_b64 s[4:5], s[10:11], 3
	s_delay_alu instid0(SALU_CYCLE_1) | instskip(SKIP_1) | instid1(VALU_DEP_1)
	s_add_u32 s1, s20, s4
	s_addc_u32 s3, s21, s5
	v_lshlrev_b64 v[44:45], 3, v[23:24]
	s_delay_alu instid0(VALU_DEP_1) | instskip(NEXT) | instid1(VALU_DEP_2)
	v_add_co_u32 v44, vcc_lo, s1, v44
	v_add_co_ci_u32_e32 v45, vcc_lo, s3, v45, vcc_lo
	global_store_b64 v[44:45], v[3:4], off
.LBB715_431:
	s_or_b32 exec_lo, exec_lo, s0
	s_branch .LBB715_405
.LBB715_432:
	v_and_b32_e32 v19, 1, v19
	s_mov_b32 s0, exec_lo
	s_delay_alu instid0(VALU_DEP_1)
	v_cmpx_eq_u32_e32 1, v19
	s_cbranch_execz .LBB715_434
; %bb.433:
	v_sub_nc_u32_e32 v19, v37, v18
	s_delay_alu instid0(VALU_DEP_1)
	v_lshlrev_b32_e32 v19, 3, v19
	ds_store_b64 v19, v[13:14]
.LBB715_434:
	s_or_b32 exec_lo, exec_lo, s0
	v_and_b32_e32 v13, 1, v43
	s_mov_b32 s0, exec_lo
	s_delay_alu instid0(VALU_DEP_1)
	v_cmpx_eq_u32_e32 1, v13
	s_cbranch_execz .LBB715_436
; %bb.435:
	v_sub_nc_u32_e32 v13, v35, v18
	s_delay_alu instid0(VALU_DEP_1)
	v_lshlrev_b32_e32 v13, 3, v13
	ds_store_b64 v13, v[15:16]
.LBB715_436:
	s_or_b32 exec_lo, exec_lo, s0
	;; [unrolled: 12-line block ×8, first 2 shown]
	s_delay_alu instid0(SALU_CYCLE_1)
	s_mov_b32 s1, exec_lo
	s_waitcnt lgkmcnt(0)
	s_waitcnt_vscnt null, 0x0
	s_barrier
	buffer_gl0_inv
	v_cmpx_lt_u32_e64 v0, v17
	s_cbranch_execz .LBB715_451
; %bb.449:
	v_dual_mov_b32 v2, 0 :: v_dual_mov_b32 v1, v18
	s_lshl_b64 s[4:5], s[10:11], 3
	s_mov_b32 s3, 0
	s_delay_alu instid0(VALU_DEP_1) | instskip(NEXT) | instid1(VALU_DEP_1)
	v_lshlrev_b64 v[1:2], 3, v[1:2]
	v_add_co_u32 v1, vcc_lo, s4, v1
	s_delay_alu instid0(VALU_DEP_2) | instskip(NEXT) | instid1(VALU_DEP_2)
	v_add_co_ci_u32_e32 v2, vcc_lo, s5, v2, vcc_lo
	v_add_co_u32 v1, vcc_lo, s20, v1
	s_delay_alu instid0(VALU_DEP_2) | instskip(NEXT) | instid1(VALU_DEP_2)
	v_add_co_ci_u32_e32 v2, vcc_lo, s21, v2, vcc_lo
	v_add_co_u32 v1, vcc_lo, v1, v39
	s_delay_alu instid0(VALU_DEP_2)
	v_add_co_ci_u32_e32 v2, vcc_lo, 0, v2, vcc_lo
	.p2align	6
.LBB715_450:                            ; =>This Inner Loop Header: Depth=1
	ds_load_b64 v[3:4], v39
	v_add_nc_u32_e32 v0, 0x200, v0
	v_add_nc_u32_e32 v39, 0x1000, v39
	s_delay_alu instid0(VALU_DEP_2) | instskip(SKIP_4) | instid1(VALU_DEP_1)
	v_cmp_ge_u32_e32 vcc_lo, v0, v17
	s_or_b32 s3, vcc_lo, s3
	s_waitcnt lgkmcnt(0)
	global_store_b64 v[1:2], v[3:4], off
	v_add_co_u32 v1, s0, 0x1000, v1
	v_add_co_ci_u32_e64 v2, s0, 0, v2, s0
	s_and_not1_b32 exec_lo, exec_lo, s3
	s_cbranch_execnz .LBB715_450
.LBB715_451:
	s_or_b32 exec_lo, exec_lo, s1
	s_and_b32 s0, s2, s13
	s_delay_alu instid0(SALU_CYCLE_1)
	s_and_saveexec_b32 s1, s0
	s_cbranch_execz .LBB715_406
.LBB715_452:
	v_add_co_u32 v0, s0, s10, v17
	s_delay_alu instid0(VALU_DEP_1) | instskip(SKIP_1) | instid1(VALU_DEP_3)
	v_add_co_ci_u32_e64 v1, null, s11, 0, s0
	v_mov_b32_e32 v2, 0
	v_add_co_u32 v0, vcc_lo, v0, v18
	s_delay_alu instid0(VALU_DEP_3)
	v_add_co_ci_u32_e32 v1, vcc_lo, 0, v1, vcc_lo
	global_store_b64 v2, v[0:1], s[8:9]
	s_nop 0
	s_sendmsg sendmsg(MSG_DEALLOC_VGPRS)
	s_endpgm
	.section	.rodata,"a",@progbits
	.p2align	6, 0x0
	.amdhsa_kernel _ZN7rocprim17ROCPRIM_400000_NS6detail17trampoline_kernelINS0_14default_configENS1_25partition_config_selectorILNS1_17partition_subalgoE8ElNS0_10empty_typeEbEEZZNS1_14partition_implILS5_8ELb0ES3_jPlPS6_PKS6_NS0_5tupleIJS9_S6_EEENSD_IJSA_SA_EEENS0_18inequality_wrapperIZN2at6native12_GLOBAL__N_124unique_dim_cuda_templateIsEESt5tupleIJNSH_6TensorESM_SM_EERKSM_lbbbEUlllE0_EEPmJS6_EEE10hipError_tPvRmT3_T4_T5_T6_T7_T9_mT8_P12ihipStream_tbDpT10_ENKUlT_T0_E_clISt17integral_constantIbLb0EES1B_IbLb1EEEEDaS17_S18_EUlS17_E_NS1_11comp_targetILNS1_3genE9ELNS1_11target_archE1100ELNS1_3gpuE3ELNS1_3repE0EEENS1_30default_config_static_selectorELNS0_4arch9wavefront6targetE0EEEvT1_
		.amdhsa_group_segment_fixed_size 33804
		.amdhsa_private_segment_fixed_size 0
		.amdhsa_kernarg_size 136
		.amdhsa_user_sgpr_count 15
		.amdhsa_user_sgpr_dispatch_ptr 0
		.amdhsa_user_sgpr_queue_ptr 0
		.amdhsa_user_sgpr_kernarg_segment_ptr 1
		.amdhsa_user_sgpr_dispatch_id 0
		.amdhsa_user_sgpr_private_segment_size 0
		.amdhsa_wavefront_size32 1
		.amdhsa_uses_dynamic_stack 0
		.amdhsa_enable_private_segment 0
		.amdhsa_system_sgpr_workgroup_id_x 1
		.amdhsa_system_sgpr_workgroup_id_y 0
		.amdhsa_system_sgpr_workgroup_id_z 0
		.amdhsa_system_sgpr_workgroup_info 0
		.amdhsa_system_vgpr_workitem_id 0
		.amdhsa_next_free_vgpr 52
		.amdhsa_next_free_sgpr 38
		.amdhsa_reserve_vcc 1
		.amdhsa_float_round_mode_32 0
		.amdhsa_float_round_mode_16_64 0
		.amdhsa_float_denorm_mode_32 3
		.amdhsa_float_denorm_mode_16_64 3
		.amdhsa_dx10_clamp 1
		.amdhsa_ieee_mode 1
		.amdhsa_fp16_overflow 0
		.amdhsa_workgroup_processor_mode 1
		.amdhsa_memory_ordered 1
		.amdhsa_forward_progress 0
		.amdhsa_shared_vgpr_count 0
		.amdhsa_exception_fp_ieee_invalid_op 0
		.amdhsa_exception_fp_denorm_src 0
		.amdhsa_exception_fp_ieee_div_zero 0
		.amdhsa_exception_fp_ieee_overflow 0
		.amdhsa_exception_fp_ieee_underflow 0
		.amdhsa_exception_fp_ieee_inexact 0
		.amdhsa_exception_int_div_zero 0
	.end_amdhsa_kernel
	.section	.text._ZN7rocprim17ROCPRIM_400000_NS6detail17trampoline_kernelINS0_14default_configENS1_25partition_config_selectorILNS1_17partition_subalgoE8ElNS0_10empty_typeEbEEZZNS1_14partition_implILS5_8ELb0ES3_jPlPS6_PKS6_NS0_5tupleIJS9_S6_EEENSD_IJSA_SA_EEENS0_18inequality_wrapperIZN2at6native12_GLOBAL__N_124unique_dim_cuda_templateIsEESt5tupleIJNSH_6TensorESM_SM_EERKSM_lbbbEUlllE0_EEPmJS6_EEE10hipError_tPvRmT3_T4_T5_T6_T7_T9_mT8_P12ihipStream_tbDpT10_ENKUlT_T0_E_clISt17integral_constantIbLb0EES1B_IbLb1EEEEDaS17_S18_EUlS17_E_NS1_11comp_targetILNS1_3genE9ELNS1_11target_archE1100ELNS1_3gpuE3ELNS1_3repE0EEENS1_30default_config_static_selectorELNS0_4arch9wavefront6targetE0EEEvT1_,"axG",@progbits,_ZN7rocprim17ROCPRIM_400000_NS6detail17trampoline_kernelINS0_14default_configENS1_25partition_config_selectorILNS1_17partition_subalgoE8ElNS0_10empty_typeEbEEZZNS1_14partition_implILS5_8ELb0ES3_jPlPS6_PKS6_NS0_5tupleIJS9_S6_EEENSD_IJSA_SA_EEENS0_18inequality_wrapperIZN2at6native12_GLOBAL__N_124unique_dim_cuda_templateIsEESt5tupleIJNSH_6TensorESM_SM_EERKSM_lbbbEUlllE0_EEPmJS6_EEE10hipError_tPvRmT3_T4_T5_T6_T7_T9_mT8_P12ihipStream_tbDpT10_ENKUlT_T0_E_clISt17integral_constantIbLb0EES1B_IbLb1EEEEDaS17_S18_EUlS17_E_NS1_11comp_targetILNS1_3genE9ELNS1_11target_archE1100ELNS1_3gpuE3ELNS1_3repE0EEENS1_30default_config_static_selectorELNS0_4arch9wavefront6targetE0EEEvT1_,comdat
.Lfunc_end715:
	.size	_ZN7rocprim17ROCPRIM_400000_NS6detail17trampoline_kernelINS0_14default_configENS1_25partition_config_selectorILNS1_17partition_subalgoE8ElNS0_10empty_typeEbEEZZNS1_14partition_implILS5_8ELb0ES3_jPlPS6_PKS6_NS0_5tupleIJS9_S6_EEENSD_IJSA_SA_EEENS0_18inequality_wrapperIZN2at6native12_GLOBAL__N_124unique_dim_cuda_templateIsEESt5tupleIJNSH_6TensorESM_SM_EERKSM_lbbbEUlllE0_EEPmJS6_EEE10hipError_tPvRmT3_T4_T5_T6_T7_T9_mT8_P12ihipStream_tbDpT10_ENKUlT_T0_E_clISt17integral_constantIbLb0EES1B_IbLb1EEEEDaS17_S18_EUlS17_E_NS1_11comp_targetILNS1_3genE9ELNS1_11target_archE1100ELNS1_3gpuE3ELNS1_3repE0EEENS1_30default_config_static_selectorELNS0_4arch9wavefront6targetE0EEEvT1_, .Lfunc_end715-_ZN7rocprim17ROCPRIM_400000_NS6detail17trampoline_kernelINS0_14default_configENS1_25partition_config_selectorILNS1_17partition_subalgoE8ElNS0_10empty_typeEbEEZZNS1_14partition_implILS5_8ELb0ES3_jPlPS6_PKS6_NS0_5tupleIJS9_S6_EEENSD_IJSA_SA_EEENS0_18inequality_wrapperIZN2at6native12_GLOBAL__N_124unique_dim_cuda_templateIsEESt5tupleIJNSH_6TensorESM_SM_EERKSM_lbbbEUlllE0_EEPmJS6_EEE10hipError_tPvRmT3_T4_T5_T6_T7_T9_mT8_P12ihipStream_tbDpT10_ENKUlT_T0_E_clISt17integral_constantIbLb0EES1B_IbLb1EEEEDaS17_S18_EUlS17_E_NS1_11comp_targetILNS1_3genE9ELNS1_11target_archE1100ELNS1_3gpuE3ELNS1_3repE0EEENS1_30default_config_static_selectorELNS0_4arch9wavefront6targetE0EEEvT1_
                                        ; -- End function
	.section	.AMDGPU.csdata,"",@progbits
; Kernel info:
; codeLenInByte = 18420
; NumSgprs: 40
; NumVgprs: 52
; ScratchSize: 0
; MemoryBound: 0
; FloatMode: 240
; IeeeMode: 1
; LDSByteSize: 33804 bytes/workgroup (compile time only)
; SGPRBlocks: 4
; VGPRBlocks: 6
; NumSGPRsForWavesPerEU: 40
; NumVGPRsForWavesPerEU: 52
; Occupancy: 12
; WaveLimiterHint : 1
; COMPUTE_PGM_RSRC2:SCRATCH_EN: 0
; COMPUTE_PGM_RSRC2:USER_SGPR: 15
; COMPUTE_PGM_RSRC2:TRAP_HANDLER: 0
; COMPUTE_PGM_RSRC2:TGID_X_EN: 1
; COMPUTE_PGM_RSRC2:TGID_Y_EN: 0
; COMPUTE_PGM_RSRC2:TGID_Z_EN: 0
; COMPUTE_PGM_RSRC2:TIDIG_COMP_CNT: 0
	.section	.text._ZN7rocprim17ROCPRIM_400000_NS6detail17trampoline_kernelINS0_14default_configENS1_25partition_config_selectorILNS1_17partition_subalgoE8ElNS0_10empty_typeEbEEZZNS1_14partition_implILS5_8ELb0ES3_jPlPS6_PKS6_NS0_5tupleIJS9_S6_EEENSD_IJSA_SA_EEENS0_18inequality_wrapperIZN2at6native12_GLOBAL__N_124unique_dim_cuda_templateIsEESt5tupleIJNSH_6TensorESM_SM_EERKSM_lbbbEUlllE0_EEPmJS6_EEE10hipError_tPvRmT3_T4_T5_T6_T7_T9_mT8_P12ihipStream_tbDpT10_ENKUlT_T0_E_clISt17integral_constantIbLb0EES1B_IbLb1EEEEDaS17_S18_EUlS17_E_NS1_11comp_targetILNS1_3genE8ELNS1_11target_archE1030ELNS1_3gpuE2ELNS1_3repE0EEENS1_30default_config_static_selectorELNS0_4arch9wavefront6targetE0EEEvT1_,"axG",@progbits,_ZN7rocprim17ROCPRIM_400000_NS6detail17trampoline_kernelINS0_14default_configENS1_25partition_config_selectorILNS1_17partition_subalgoE8ElNS0_10empty_typeEbEEZZNS1_14partition_implILS5_8ELb0ES3_jPlPS6_PKS6_NS0_5tupleIJS9_S6_EEENSD_IJSA_SA_EEENS0_18inequality_wrapperIZN2at6native12_GLOBAL__N_124unique_dim_cuda_templateIsEESt5tupleIJNSH_6TensorESM_SM_EERKSM_lbbbEUlllE0_EEPmJS6_EEE10hipError_tPvRmT3_T4_T5_T6_T7_T9_mT8_P12ihipStream_tbDpT10_ENKUlT_T0_E_clISt17integral_constantIbLb0EES1B_IbLb1EEEEDaS17_S18_EUlS17_E_NS1_11comp_targetILNS1_3genE8ELNS1_11target_archE1030ELNS1_3gpuE2ELNS1_3repE0EEENS1_30default_config_static_selectorELNS0_4arch9wavefront6targetE0EEEvT1_,comdat
	.globl	_ZN7rocprim17ROCPRIM_400000_NS6detail17trampoline_kernelINS0_14default_configENS1_25partition_config_selectorILNS1_17partition_subalgoE8ElNS0_10empty_typeEbEEZZNS1_14partition_implILS5_8ELb0ES3_jPlPS6_PKS6_NS0_5tupleIJS9_S6_EEENSD_IJSA_SA_EEENS0_18inequality_wrapperIZN2at6native12_GLOBAL__N_124unique_dim_cuda_templateIsEESt5tupleIJNSH_6TensorESM_SM_EERKSM_lbbbEUlllE0_EEPmJS6_EEE10hipError_tPvRmT3_T4_T5_T6_T7_T9_mT8_P12ihipStream_tbDpT10_ENKUlT_T0_E_clISt17integral_constantIbLb0EES1B_IbLb1EEEEDaS17_S18_EUlS17_E_NS1_11comp_targetILNS1_3genE8ELNS1_11target_archE1030ELNS1_3gpuE2ELNS1_3repE0EEENS1_30default_config_static_selectorELNS0_4arch9wavefront6targetE0EEEvT1_ ; -- Begin function _ZN7rocprim17ROCPRIM_400000_NS6detail17trampoline_kernelINS0_14default_configENS1_25partition_config_selectorILNS1_17partition_subalgoE8ElNS0_10empty_typeEbEEZZNS1_14partition_implILS5_8ELb0ES3_jPlPS6_PKS6_NS0_5tupleIJS9_S6_EEENSD_IJSA_SA_EEENS0_18inequality_wrapperIZN2at6native12_GLOBAL__N_124unique_dim_cuda_templateIsEESt5tupleIJNSH_6TensorESM_SM_EERKSM_lbbbEUlllE0_EEPmJS6_EEE10hipError_tPvRmT3_T4_T5_T6_T7_T9_mT8_P12ihipStream_tbDpT10_ENKUlT_T0_E_clISt17integral_constantIbLb0EES1B_IbLb1EEEEDaS17_S18_EUlS17_E_NS1_11comp_targetILNS1_3genE8ELNS1_11target_archE1030ELNS1_3gpuE2ELNS1_3repE0EEENS1_30default_config_static_selectorELNS0_4arch9wavefront6targetE0EEEvT1_
	.p2align	8
	.type	_ZN7rocprim17ROCPRIM_400000_NS6detail17trampoline_kernelINS0_14default_configENS1_25partition_config_selectorILNS1_17partition_subalgoE8ElNS0_10empty_typeEbEEZZNS1_14partition_implILS5_8ELb0ES3_jPlPS6_PKS6_NS0_5tupleIJS9_S6_EEENSD_IJSA_SA_EEENS0_18inequality_wrapperIZN2at6native12_GLOBAL__N_124unique_dim_cuda_templateIsEESt5tupleIJNSH_6TensorESM_SM_EERKSM_lbbbEUlllE0_EEPmJS6_EEE10hipError_tPvRmT3_T4_T5_T6_T7_T9_mT8_P12ihipStream_tbDpT10_ENKUlT_T0_E_clISt17integral_constantIbLb0EES1B_IbLb1EEEEDaS17_S18_EUlS17_E_NS1_11comp_targetILNS1_3genE8ELNS1_11target_archE1030ELNS1_3gpuE2ELNS1_3repE0EEENS1_30default_config_static_selectorELNS0_4arch9wavefront6targetE0EEEvT1_,@function
_ZN7rocprim17ROCPRIM_400000_NS6detail17trampoline_kernelINS0_14default_configENS1_25partition_config_selectorILNS1_17partition_subalgoE8ElNS0_10empty_typeEbEEZZNS1_14partition_implILS5_8ELb0ES3_jPlPS6_PKS6_NS0_5tupleIJS9_S6_EEENSD_IJSA_SA_EEENS0_18inequality_wrapperIZN2at6native12_GLOBAL__N_124unique_dim_cuda_templateIsEESt5tupleIJNSH_6TensorESM_SM_EERKSM_lbbbEUlllE0_EEPmJS6_EEE10hipError_tPvRmT3_T4_T5_T6_T7_T9_mT8_P12ihipStream_tbDpT10_ENKUlT_T0_E_clISt17integral_constantIbLb0EES1B_IbLb1EEEEDaS17_S18_EUlS17_E_NS1_11comp_targetILNS1_3genE8ELNS1_11target_archE1030ELNS1_3gpuE2ELNS1_3repE0EEENS1_30default_config_static_selectorELNS0_4arch9wavefront6targetE0EEEvT1_: ; @_ZN7rocprim17ROCPRIM_400000_NS6detail17trampoline_kernelINS0_14default_configENS1_25partition_config_selectorILNS1_17partition_subalgoE8ElNS0_10empty_typeEbEEZZNS1_14partition_implILS5_8ELb0ES3_jPlPS6_PKS6_NS0_5tupleIJS9_S6_EEENSD_IJSA_SA_EEENS0_18inequality_wrapperIZN2at6native12_GLOBAL__N_124unique_dim_cuda_templateIsEESt5tupleIJNSH_6TensorESM_SM_EERKSM_lbbbEUlllE0_EEPmJS6_EEE10hipError_tPvRmT3_T4_T5_T6_T7_T9_mT8_P12ihipStream_tbDpT10_ENKUlT_T0_E_clISt17integral_constantIbLb0EES1B_IbLb1EEEEDaS17_S18_EUlS17_E_NS1_11comp_targetILNS1_3genE8ELNS1_11target_archE1030ELNS1_3gpuE2ELNS1_3repE0EEENS1_30default_config_static_selectorELNS0_4arch9wavefront6targetE0EEEvT1_
; %bb.0:
	.section	.rodata,"a",@progbits
	.p2align	6, 0x0
	.amdhsa_kernel _ZN7rocprim17ROCPRIM_400000_NS6detail17trampoline_kernelINS0_14default_configENS1_25partition_config_selectorILNS1_17partition_subalgoE8ElNS0_10empty_typeEbEEZZNS1_14partition_implILS5_8ELb0ES3_jPlPS6_PKS6_NS0_5tupleIJS9_S6_EEENSD_IJSA_SA_EEENS0_18inequality_wrapperIZN2at6native12_GLOBAL__N_124unique_dim_cuda_templateIsEESt5tupleIJNSH_6TensorESM_SM_EERKSM_lbbbEUlllE0_EEPmJS6_EEE10hipError_tPvRmT3_T4_T5_T6_T7_T9_mT8_P12ihipStream_tbDpT10_ENKUlT_T0_E_clISt17integral_constantIbLb0EES1B_IbLb1EEEEDaS17_S18_EUlS17_E_NS1_11comp_targetILNS1_3genE8ELNS1_11target_archE1030ELNS1_3gpuE2ELNS1_3repE0EEENS1_30default_config_static_selectorELNS0_4arch9wavefront6targetE0EEEvT1_
		.amdhsa_group_segment_fixed_size 0
		.amdhsa_private_segment_fixed_size 0
		.amdhsa_kernarg_size 136
		.amdhsa_user_sgpr_count 15
		.amdhsa_user_sgpr_dispatch_ptr 0
		.amdhsa_user_sgpr_queue_ptr 0
		.amdhsa_user_sgpr_kernarg_segment_ptr 1
		.amdhsa_user_sgpr_dispatch_id 0
		.amdhsa_user_sgpr_private_segment_size 0
		.amdhsa_wavefront_size32 1
		.amdhsa_uses_dynamic_stack 0
		.amdhsa_enable_private_segment 0
		.amdhsa_system_sgpr_workgroup_id_x 1
		.amdhsa_system_sgpr_workgroup_id_y 0
		.amdhsa_system_sgpr_workgroup_id_z 0
		.amdhsa_system_sgpr_workgroup_info 0
		.amdhsa_system_vgpr_workitem_id 0
		.amdhsa_next_free_vgpr 1
		.amdhsa_next_free_sgpr 1
		.amdhsa_reserve_vcc 0
		.amdhsa_float_round_mode_32 0
		.amdhsa_float_round_mode_16_64 0
		.amdhsa_float_denorm_mode_32 3
		.amdhsa_float_denorm_mode_16_64 3
		.amdhsa_dx10_clamp 1
		.amdhsa_ieee_mode 1
		.amdhsa_fp16_overflow 0
		.amdhsa_workgroup_processor_mode 1
		.amdhsa_memory_ordered 1
		.amdhsa_forward_progress 0
		.amdhsa_shared_vgpr_count 0
		.amdhsa_exception_fp_ieee_invalid_op 0
		.amdhsa_exception_fp_denorm_src 0
		.amdhsa_exception_fp_ieee_div_zero 0
		.amdhsa_exception_fp_ieee_overflow 0
		.amdhsa_exception_fp_ieee_underflow 0
		.amdhsa_exception_fp_ieee_inexact 0
		.amdhsa_exception_int_div_zero 0
	.end_amdhsa_kernel
	.section	.text._ZN7rocprim17ROCPRIM_400000_NS6detail17trampoline_kernelINS0_14default_configENS1_25partition_config_selectorILNS1_17partition_subalgoE8ElNS0_10empty_typeEbEEZZNS1_14partition_implILS5_8ELb0ES3_jPlPS6_PKS6_NS0_5tupleIJS9_S6_EEENSD_IJSA_SA_EEENS0_18inequality_wrapperIZN2at6native12_GLOBAL__N_124unique_dim_cuda_templateIsEESt5tupleIJNSH_6TensorESM_SM_EERKSM_lbbbEUlllE0_EEPmJS6_EEE10hipError_tPvRmT3_T4_T5_T6_T7_T9_mT8_P12ihipStream_tbDpT10_ENKUlT_T0_E_clISt17integral_constantIbLb0EES1B_IbLb1EEEEDaS17_S18_EUlS17_E_NS1_11comp_targetILNS1_3genE8ELNS1_11target_archE1030ELNS1_3gpuE2ELNS1_3repE0EEENS1_30default_config_static_selectorELNS0_4arch9wavefront6targetE0EEEvT1_,"axG",@progbits,_ZN7rocprim17ROCPRIM_400000_NS6detail17trampoline_kernelINS0_14default_configENS1_25partition_config_selectorILNS1_17partition_subalgoE8ElNS0_10empty_typeEbEEZZNS1_14partition_implILS5_8ELb0ES3_jPlPS6_PKS6_NS0_5tupleIJS9_S6_EEENSD_IJSA_SA_EEENS0_18inequality_wrapperIZN2at6native12_GLOBAL__N_124unique_dim_cuda_templateIsEESt5tupleIJNSH_6TensorESM_SM_EERKSM_lbbbEUlllE0_EEPmJS6_EEE10hipError_tPvRmT3_T4_T5_T6_T7_T9_mT8_P12ihipStream_tbDpT10_ENKUlT_T0_E_clISt17integral_constantIbLb0EES1B_IbLb1EEEEDaS17_S18_EUlS17_E_NS1_11comp_targetILNS1_3genE8ELNS1_11target_archE1030ELNS1_3gpuE2ELNS1_3repE0EEENS1_30default_config_static_selectorELNS0_4arch9wavefront6targetE0EEEvT1_,comdat
.Lfunc_end716:
	.size	_ZN7rocprim17ROCPRIM_400000_NS6detail17trampoline_kernelINS0_14default_configENS1_25partition_config_selectorILNS1_17partition_subalgoE8ElNS0_10empty_typeEbEEZZNS1_14partition_implILS5_8ELb0ES3_jPlPS6_PKS6_NS0_5tupleIJS9_S6_EEENSD_IJSA_SA_EEENS0_18inequality_wrapperIZN2at6native12_GLOBAL__N_124unique_dim_cuda_templateIsEESt5tupleIJNSH_6TensorESM_SM_EERKSM_lbbbEUlllE0_EEPmJS6_EEE10hipError_tPvRmT3_T4_T5_T6_T7_T9_mT8_P12ihipStream_tbDpT10_ENKUlT_T0_E_clISt17integral_constantIbLb0EES1B_IbLb1EEEEDaS17_S18_EUlS17_E_NS1_11comp_targetILNS1_3genE8ELNS1_11target_archE1030ELNS1_3gpuE2ELNS1_3repE0EEENS1_30default_config_static_selectorELNS0_4arch9wavefront6targetE0EEEvT1_, .Lfunc_end716-_ZN7rocprim17ROCPRIM_400000_NS6detail17trampoline_kernelINS0_14default_configENS1_25partition_config_selectorILNS1_17partition_subalgoE8ElNS0_10empty_typeEbEEZZNS1_14partition_implILS5_8ELb0ES3_jPlPS6_PKS6_NS0_5tupleIJS9_S6_EEENSD_IJSA_SA_EEENS0_18inequality_wrapperIZN2at6native12_GLOBAL__N_124unique_dim_cuda_templateIsEESt5tupleIJNSH_6TensorESM_SM_EERKSM_lbbbEUlllE0_EEPmJS6_EEE10hipError_tPvRmT3_T4_T5_T6_T7_T9_mT8_P12ihipStream_tbDpT10_ENKUlT_T0_E_clISt17integral_constantIbLb0EES1B_IbLb1EEEEDaS17_S18_EUlS17_E_NS1_11comp_targetILNS1_3genE8ELNS1_11target_archE1030ELNS1_3gpuE2ELNS1_3repE0EEENS1_30default_config_static_selectorELNS0_4arch9wavefront6targetE0EEEvT1_
                                        ; -- End function
	.section	.AMDGPU.csdata,"",@progbits
; Kernel info:
; codeLenInByte = 0
; NumSgprs: 0
; NumVgprs: 0
; ScratchSize: 0
; MemoryBound: 0
; FloatMode: 240
; IeeeMode: 1
; LDSByteSize: 0 bytes/workgroup (compile time only)
; SGPRBlocks: 0
; VGPRBlocks: 0
; NumSGPRsForWavesPerEU: 1
; NumVGPRsForWavesPerEU: 1
; Occupancy: 16
; WaveLimiterHint : 0
; COMPUTE_PGM_RSRC2:SCRATCH_EN: 0
; COMPUTE_PGM_RSRC2:USER_SGPR: 15
; COMPUTE_PGM_RSRC2:TRAP_HANDLER: 0
; COMPUTE_PGM_RSRC2:TGID_X_EN: 1
; COMPUTE_PGM_RSRC2:TGID_Y_EN: 0
; COMPUTE_PGM_RSRC2:TGID_Z_EN: 0
; COMPUTE_PGM_RSRC2:TIDIG_COMP_CNT: 0
	.section	.text._ZN7rocprim17ROCPRIM_400000_NS6detail17trampoline_kernelINS0_14default_configENS1_25partition_config_selectorILNS1_17partition_subalgoE9EllbEEZZNS1_14partition_implILS5_9ELb0ES3_jPlS8_PNS0_10empty_typeENS0_5tupleIJS8_S9_EEENSB_IJS8_SA_EEENS0_18inequality_wrapperIZN2at6native12_GLOBAL__N_124unique_dim_cuda_templateIsEESt5tupleIJNSF_6TensorESK_SK_EERKSK_lbbbEUlllE0_EEPmJS9_EEE10hipError_tPvRmT3_T4_T5_T6_T7_T9_mT8_P12ihipStream_tbDpT10_ENKUlT_T0_E_clISt17integral_constantIbLb0EES1A_EEDaS15_S16_EUlS15_E_NS1_11comp_targetILNS1_3genE0ELNS1_11target_archE4294967295ELNS1_3gpuE0ELNS1_3repE0EEENS1_30default_config_static_selectorELNS0_4arch9wavefront6targetE0EEEvT1_,"axG",@progbits,_ZN7rocprim17ROCPRIM_400000_NS6detail17trampoline_kernelINS0_14default_configENS1_25partition_config_selectorILNS1_17partition_subalgoE9EllbEEZZNS1_14partition_implILS5_9ELb0ES3_jPlS8_PNS0_10empty_typeENS0_5tupleIJS8_S9_EEENSB_IJS8_SA_EEENS0_18inequality_wrapperIZN2at6native12_GLOBAL__N_124unique_dim_cuda_templateIsEESt5tupleIJNSF_6TensorESK_SK_EERKSK_lbbbEUlllE0_EEPmJS9_EEE10hipError_tPvRmT3_T4_T5_T6_T7_T9_mT8_P12ihipStream_tbDpT10_ENKUlT_T0_E_clISt17integral_constantIbLb0EES1A_EEDaS15_S16_EUlS15_E_NS1_11comp_targetILNS1_3genE0ELNS1_11target_archE4294967295ELNS1_3gpuE0ELNS1_3repE0EEENS1_30default_config_static_selectorELNS0_4arch9wavefront6targetE0EEEvT1_,comdat
	.globl	_ZN7rocprim17ROCPRIM_400000_NS6detail17trampoline_kernelINS0_14default_configENS1_25partition_config_selectorILNS1_17partition_subalgoE9EllbEEZZNS1_14partition_implILS5_9ELb0ES3_jPlS8_PNS0_10empty_typeENS0_5tupleIJS8_S9_EEENSB_IJS8_SA_EEENS0_18inequality_wrapperIZN2at6native12_GLOBAL__N_124unique_dim_cuda_templateIsEESt5tupleIJNSF_6TensorESK_SK_EERKSK_lbbbEUlllE0_EEPmJS9_EEE10hipError_tPvRmT3_T4_T5_T6_T7_T9_mT8_P12ihipStream_tbDpT10_ENKUlT_T0_E_clISt17integral_constantIbLb0EES1A_EEDaS15_S16_EUlS15_E_NS1_11comp_targetILNS1_3genE0ELNS1_11target_archE4294967295ELNS1_3gpuE0ELNS1_3repE0EEENS1_30default_config_static_selectorELNS0_4arch9wavefront6targetE0EEEvT1_ ; -- Begin function _ZN7rocprim17ROCPRIM_400000_NS6detail17trampoline_kernelINS0_14default_configENS1_25partition_config_selectorILNS1_17partition_subalgoE9EllbEEZZNS1_14partition_implILS5_9ELb0ES3_jPlS8_PNS0_10empty_typeENS0_5tupleIJS8_S9_EEENSB_IJS8_SA_EEENS0_18inequality_wrapperIZN2at6native12_GLOBAL__N_124unique_dim_cuda_templateIsEESt5tupleIJNSF_6TensorESK_SK_EERKSK_lbbbEUlllE0_EEPmJS9_EEE10hipError_tPvRmT3_T4_T5_T6_T7_T9_mT8_P12ihipStream_tbDpT10_ENKUlT_T0_E_clISt17integral_constantIbLb0EES1A_EEDaS15_S16_EUlS15_E_NS1_11comp_targetILNS1_3genE0ELNS1_11target_archE4294967295ELNS1_3gpuE0ELNS1_3repE0EEENS1_30default_config_static_selectorELNS0_4arch9wavefront6targetE0EEEvT1_
	.p2align	8
	.type	_ZN7rocprim17ROCPRIM_400000_NS6detail17trampoline_kernelINS0_14default_configENS1_25partition_config_selectorILNS1_17partition_subalgoE9EllbEEZZNS1_14partition_implILS5_9ELb0ES3_jPlS8_PNS0_10empty_typeENS0_5tupleIJS8_S9_EEENSB_IJS8_SA_EEENS0_18inequality_wrapperIZN2at6native12_GLOBAL__N_124unique_dim_cuda_templateIsEESt5tupleIJNSF_6TensorESK_SK_EERKSK_lbbbEUlllE0_EEPmJS9_EEE10hipError_tPvRmT3_T4_T5_T6_T7_T9_mT8_P12ihipStream_tbDpT10_ENKUlT_T0_E_clISt17integral_constantIbLb0EES1A_EEDaS15_S16_EUlS15_E_NS1_11comp_targetILNS1_3genE0ELNS1_11target_archE4294967295ELNS1_3gpuE0ELNS1_3repE0EEENS1_30default_config_static_selectorELNS0_4arch9wavefront6targetE0EEEvT1_,@function
_ZN7rocprim17ROCPRIM_400000_NS6detail17trampoline_kernelINS0_14default_configENS1_25partition_config_selectorILNS1_17partition_subalgoE9EllbEEZZNS1_14partition_implILS5_9ELb0ES3_jPlS8_PNS0_10empty_typeENS0_5tupleIJS8_S9_EEENSB_IJS8_SA_EEENS0_18inequality_wrapperIZN2at6native12_GLOBAL__N_124unique_dim_cuda_templateIsEESt5tupleIJNSF_6TensorESK_SK_EERKSK_lbbbEUlllE0_EEPmJS9_EEE10hipError_tPvRmT3_T4_T5_T6_T7_T9_mT8_P12ihipStream_tbDpT10_ENKUlT_T0_E_clISt17integral_constantIbLb0EES1A_EEDaS15_S16_EUlS15_E_NS1_11comp_targetILNS1_3genE0ELNS1_11target_archE4294967295ELNS1_3gpuE0ELNS1_3repE0EEENS1_30default_config_static_selectorELNS0_4arch9wavefront6targetE0EEEvT1_: ; @_ZN7rocprim17ROCPRIM_400000_NS6detail17trampoline_kernelINS0_14default_configENS1_25partition_config_selectorILNS1_17partition_subalgoE9EllbEEZZNS1_14partition_implILS5_9ELb0ES3_jPlS8_PNS0_10empty_typeENS0_5tupleIJS8_S9_EEENSB_IJS8_SA_EEENS0_18inequality_wrapperIZN2at6native12_GLOBAL__N_124unique_dim_cuda_templateIsEESt5tupleIJNSF_6TensorESK_SK_EERKSK_lbbbEUlllE0_EEPmJS9_EEE10hipError_tPvRmT3_T4_T5_T6_T7_T9_mT8_P12ihipStream_tbDpT10_ENKUlT_T0_E_clISt17integral_constantIbLb0EES1A_EEDaS15_S16_EUlS15_E_NS1_11comp_targetILNS1_3genE0ELNS1_11target_archE4294967295ELNS1_3gpuE0ELNS1_3repE0EEENS1_30default_config_static_selectorELNS0_4arch9wavefront6targetE0EEEvT1_
; %bb.0:
	.section	.rodata,"a",@progbits
	.p2align	6, 0x0
	.amdhsa_kernel _ZN7rocprim17ROCPRIM_400000_NS6detail17trampoline_kernelINS0_14default_configENS1_25partition_config_selectorILNS1_17partition_subalgoE9EllbEEZZNS1_14partition_implILS5_9ELb0ES3_jPlS8_PNS0_10empty_typeENS0_5tupleIJS8_S9_EEENSB_IJS8_SA_EEENS0_18inequality_wrapperIZN2at6native12_GLOBAL__N_124unique_dim_cuda_templateIsEESt5tupleIJNSF_6TensorESK_SK_EERKSK_lbbbEUlllE0_EEPmJS9_EEE10hipError_tPvRmT3_T4_T5_T6_T7_T9_mT8_P12ihipStream_tbDpT10_ENKUlT_T0_E_clISt17integral_constantIbLb0EES1A_EEDaS15_S16_EUlS15_E_NS1_11comp_targetILNS1_3genE0ELNS1_11target_archE4294967295ELNS1_3gpuE0ELNS1_3repE0EEENS1_30default_config_static_selectorELNS0_4arch9wavefront6targetE0EEEvT1_
		.amdhsa_group_segment_fixed_size 0
		.amdhsa_private_segment_fixed_size 0
		.amdhsa_kernarg_size 120
		.amdhsa_user_sgpr_count 15
		.amdhsa_user_sgpr_dispatch_ptr 0
		.amdhsa_user_sgpr_queue_ptr 0
		.amdhsa_user_sgpr_kernarg_segment_ptr 1
		.amdhsa_user_sgpr_dispatch_id 0
		.amdhsa_user_sgpr_private_segment_size 0
		.amdhsa_wavefront_size32 1
		.amdhsa_uses_dynamic_stack 0
		.amdhsa_enable_private_segment 0
		.amdhsa_system_sgpr_workgroup_id_x 1
		.amdhsa_system_sgpr_workgroup_id_y 0
		.amdhsa_system_sgpr_workgroup_id_z 0
		.amdhsa_system_sgpr_workgroup_info 0
		.amdhsa_system_vgpr_workitem_id 0
		.amdhsa_next_free_vgpr 1
		.amdhsa_next_free_sgpr 1
		.amdhsa_reserve_vcc 0
		.amdhsa_float_round_mode_32 0
		.amdhsa_float_round_mode_16_64 0
		.amdhsa_float_denorm_mode_32 3
		.amdhsa_float_denorm_mode_16_64 3
		.amdhsa_dx10_clamp 1
		.amdhsa_ieee_mode 1
		.amdhsa_fp16_overflow 0
		.amdhsa_workgroup_processor_mode 1
		.amdhsa_memory_ordered 1
		.amdhsa_forward_progress 0
		.amdhsa_shared_vgpr_count 0
		.amdhsa_exception_fp_ieee_invalid_op 0
		.amdhsa_exception_fp_denorm_src 0
		.amdhsa_exception_fp_ieee_div_zero 0
		.amdhsa_exception_fp_ieee_overflow 0
		.amdhsa_exception_fp_ieee_underflow 0
		.amdhsa_exception_fp_ieee_inexact 0
		.amdhsa_exception_int_div_zero 0
	.end_amdhsa_kernel
	.section	.text._ZN7rocprim17ROCPRIM_400000_NS6detail17trampoline_kernelINS0_14default_configENS1_25partition_config_selectorILNS1_17partition_subalgoE9EllbEEZZNS1_14partition_implILS5_9ELb0ES3_jPlS8_PNS0_10empty_typeENS0_5tupleIJS8_S9_EEENSB_IJS8_SA_EEENS0_18inequality_wrapperIZN2at6native12_GLOBAL__N_124unique_dim_cuda_templateIsEESt5tupleIJNSF_6TensorESK_SK_EERKSK_lbbbEUlllE0_EEPmJS9_EEE10hipError_tPvRmT3_T4_T5_T6_T7_T9_mT8_P12ihipStream_tbDpT10_ENKUlT_T0_E_clISt17integral_constantIbLb0EES1A_EEDaS15_S16_EUlS15_E_NS1_11comp_targetILNS1_3genE0ELNS1_11target_archE4294967295ELNS1_3gpuE0ELNS1_3repE0EEENS1_30default_config_static_selectorELNS0_4arch9wavefront6targetE0EEEvT1_,"axG",@progbits,_ZN7rocprim17ROCPRIM_400000_NS6detail17trampoline_kernelINS0_14default_configENS1_25partition_config_selectorILNS1_17partition_subalgoE9EllbEEZZNS1_14partition_implILS5_9ELb0ES3_jPlS8_PNS0_10empty_typeENS0_5tupleIJS8_S9_EEENSB_IJS8_SA_EEENS0_18inequality_wrapperIZN2at6native12_GLOBAL__N_124unique_dim_cuda_templateIsEESt5tupleIJNSF_6TensorESK_SK_EERKSK_lbbbEUlllE0_EEPmJS9_EEE10hipError_tPvRmT3_T4_T5_T6_T7_T9_mT8_P12ihipStream_tbDpT10_ENKUlT_T0_E_clISt17integral_constantIbLb0EES1A_EEDaS15_S16_EUlS15_E_NS1_11comp_targetILNS1_3genE0ELNS1_11target_archE4294967295ELNS1_3gpuE0ELNS1_3repE0EEENS1_30default_config_static_selectorELNS0_4arch9wavefront6targetE0EEEvT1_,comdat
.Lfunc_end717:
	.size	_ZN7rocprim17ROCPRIM_400000_NS6detail17trampoline_kernelINS0_14default_configENS1_25partition_config_selectorILNS1_17partition_subalgoE9EllbEEZZNS1_14partition_implILS5_9ELb0ES3_jPlS8_PNS0_10empty_typeENS0_5tupleIJS8_S9_EEENSB_IJS8_SA_EEENS0_18inequality_wrapperIZN2at6native12_GLOBAL__N_124unique_dim_cuda_templateIsEESt5tupleIJNSF_6TensorESK_SK_EERKSK_lbbbEUlllE0_EEPmJS9_EEE10hipError_tPvRmT3_T4_T5_T6_T7_T9_mT8_P12ihipStream_tbDpT10_ENKUlT_T0_E_clISt17integral_constantIbLb0EES1A_EEDaS15_S16_EUlS15_E_NS1_11comp_targetILNS1_3genE0ELNS1_11target_archE4294967295ELNS1_3gpuE0ELNS1_3repE0EEENS1_30default_config_static_selectorELNS0_4arch9wavefront6targetE0EEEvT1_, .Lfunc_end717-_ZN7rocprim17ROCPRIM_400000_NS6detail17trampoline_kernelINS0_14default_configENS1_25partition_config_selectorILNS1_17partition_subalgoE9EllbEEZZNS1_14partition_implILS5_9ELb0ES3_jPlS8_PNS0_10empty_typeENS0_5tupleIJS8_S9_EEENSB_IJS8_SA_EEENS0_18inequality_wrapperIZN2at6native12_GLOBAL__N_124unique_dim_cuda_templateIsEESt5tupleIJNSF_6TensorESK_SK_EERKSK_lbbbEUlllE0_EEPmJS9_EEE10hipError_tPvRmT3_T4_T5_T6_T7_T9_mT8_P12ihipStream_tbDpT10_ENKUlT_T0_E_clISt17integral_constantIbLb0EES1A_EEDaS15_S16_EUlS15_E_NS1_11comp_targetILNS1_3genE0ELNS1_11target_archE4294967295ELNS1_3gpuE0ELNS1_3repE0EEENS1_30default_config_static_selectorELNS0_4arch9wavefront6targetE0EEEvT1_
                                        ; -- End function
	.section	.AMDGPU.csdata,"",@progbits
; Kernel info:
; codeLenInByte = 0
; NumSgprs: 0
; NumVgprs: 0
; ScratchSize: 0
; MemoryBound: 0
; FloatMode: 240
; IeeeMode: 1
; LDSByteSize: 0 bytes/workgroup (compile time only)
; SGPRBlocks: 0
; VGPRBlocks: 0
; NumSGPRsForWavesPerEU: 1
; NumVGPRsForWavesPerEU: 1
; Occupancy: 16
; WaveLimiterHint : 0
; COMPUTE_PGM_RSRC2:SCRATCH_EN: 0
; COMPUTE_PGM_RSRC2:USER_SGPR: 15
; COMPUTE_PGM_RSRC2:TRAP_HANDLER: 0
; COMPUTE_PGM_RSRC2:TGID_X_EN: 1
; COMPUTE_PGM_RSRC2:TGID_Y_EN: 0
; COMPUTE_PGM_RSRC2:TGID_Z_EN: 0
; COMPUTE_PGM_RSRC2:TIDIG_COMP_CNT: 0
	.section	.text._ZN7rocprim17ROCPRIM_400000_NS6detail17trampoline_kernelINS0_14default_configENS1_25partition_config_selectorILNS1_17partition_subalgoE9EllbEEZZNS1_14partition_implILS5_9ELb0ES3_jPlS8_PNS0_10empty_typeENS0_5tupleIJS8_S9_EEENSB_IJS8_SA_EEENS0_18inequality_wrapperIZN2at6native12_GLOBAL__N_124unique_dim_cuda_templateIsEESt5tupleIJNSF_6TensorESK_SK_EERKSK_lbbbEUlllE0_EEPmJS9_EEE10hipError_tPvRmT3_T4_T5_T6_T7_T9_mT8_P12ihipStream_tbDpT10_ENKUlT_T0_E_clISt17integral_constantIbLb0EES1A_EEDaS15_S16_EUlS15_E_NS1_11comp_targetILNS1_3genE5ELNS1_11target_archE942ELNS1_3gpuE9ELNS1_3repE0EEENS1_30default_config_static_selectorELNS0_4arch9wavefront6targetE0EEEvT1_,"axG",@progbits,_ZN7rocprim17ROCPRIM_400000_NS6detail17trampoline_kernelINS0_14default_configENS1_25partition_config_selectorILNS1_17partition_subalgoE9EllbEEZZNS1_14partition_implILS5_9ELb0ES3_jPlS8_PNS0_10empty_typeENS0_5tupleIJS8_S9_EEENSB_IJS8_SA_EEENS0_18inequality_wrapperIZN2at6native12_GLOBAL__N_124unique_dim_cuda_templateIsEESt5tupleIJNSF_6TensorESK_SK_EERKSK_lbbbEUlllE0_EEPmJS9_EEE10hipError_tPvRmT3_T4_T5_T6_T7_T9_mT8_P12ihipStream_tbDpT10_ENKUlT_T0_E_clISt17integral_constantIbLb0EES1A_EEDaS15_S16_EUlS15_E_NS1_11comp_targetILNS1_3genE5ELNS1_11target_archE942ELNS1_3gpuE9ELNS1_3repE0EEENS1_30default_config_static_selectorELNS0_4arch9wavefront6targetE0EEEvT1_,comdat
	.globl	_ZN7rocprim17ROCPRIM_400000_NS6detail17trampoline_kernelINS0_14default_configENS1_25partition_config_selectorILNS1_17partition_subalgoE9EllbEEZZNS1_14partition_implILS5_9ELb0ES3_jPlS8_PNS0_10empty_typeENS0_5tupleIJS8_S9_EEENSB_IJS8_SA_EEENS0_18inequality_wrapperIZN2at6native12_GLOBAL__N_124unique_dim_cuda_templateIsEESt5tupleIJNSF_6TensorESK_SK_EERKSK_lbbbEUlllE0_EEPmJS9_EEE10hipError_tPvRmT3_T4_T5_T6_T7_T9_mT8_P12ihipStream_tbDpT10_ENKUlT_T0_E_clISt17integral_constantIbLb0EES1A_EEDaS15_S16_EUlS15_E_NS1_11comp_targetILNS1_3genE5ELNS1_11target_archE942ELNS1_3gpuE9ELNS1_3repE0EEENS1_30default_config_static_selectorELNS0_4arch9wavefront6targetE0EEEvT1_ ; -- Begin function _ZN7rocprim17ROCPRIM_400000_NS6detail17trampoline_kernelINS0_14default_configENS1_25partition_config_selectorILNS1_17partition_subalgoE9EllbEEZZNS1_14partition_implILS5_9ELb0ES3_jPlS8_PNS0_10empty_typeENS0_5tupleIJS8_S9_EEENSB_IJS8_SA_EEENS0_18inequality_wrapperIZN2at6native12_GLOBAL__N_124unique_dim_cuda_templateIsEESt5tupleIJNSF_6TensorESK_SK_EERKSK_lbbbEUlllE0_EEPmJS9_EEE10hipError_tPvRmT3_T4_T5_T6_T7_T9_mT8_P12ihipStream_tbDpT10_ENKUlT_T0_E_clISt17integral_constantIbLb0EES1A_EEDaS15_S16_EUlS15_E_NS1_11comp_targetILNS1_3genE5ELNS1_11target_archE942ELNS1_3gpuE9ELNS1_3repE0EEENS1_30default_config_static_selectorELNS0_4arch9wavefront6targetE0EEEvT1_
	.p2align	8
	.type	_ZN7rocprim17ROCPRIM_400000_NS6detail17trampoline_kernelINS0_14default_configENS1_25partition_config_selectorILNS1_17partition_subalgoE9EllbEEZZNS1_14partition_implILS5_9ELb0ES3_jPlS8_PNS0_10empty_typeENS0_5tupleIJS8_S9_EEENSB_IJS8_SA_EEENS0_18inequality_wrapperIZN2at6native12_GLOBAL__N_124unique_dim_cuda_templateIsEESt5tupleIJNSF_6TensorESK_SK_EERKSK_lbbbEUlllE0_EEPmJS9_EEE10hipError_tPvRmT3_T4_T5_T6_T7_T9_mT8_P12ihipStream_tbDpT10_ENKUlT_T0_E_clISt17integral_constantIbLb0EES1A_EEDaS15_S16_EUlS15_E_NS1_11comp_targetILNS1_3genE5ELNS1_11target_archE942ELNS1_3gpuE9ELNS1_3repE0EEENS1_30default_config_static_selectorELNS0_4arch9wavefront6targetE0EEEvT1_,@function
_ZN7rocprim17ROCPRIM_400000_NS6detail17trampoline_kernelINS0_14default_configENS1_25partition_config_selectorILNS1_17partition_subalgoE9EllbEEZZNS1_14partition_implILS5_9ELb0ES3_jPlS8_PNS0_10empty_typeENS0_5tupleIJS8_S9_EEENSB_IJS8_SA_EEENS0_18inequality_wrapperIZN2at6native12_GLOBAL__N_124unique_dim_cuda_templateIsEESt5tupleIJNSF_6TensorESK_SK_EERKSK_lbbbEUlllE0_EEPmJS9_EEE10hipError_tPvRmT3_T4_T5_T6_T7_T9_mT8_P12ihipStream_tbDpT10_ENKUlT_T0_E_clISt17integral_constantIbLb0EES1A_EEDaS15_S16_EUlS15_E_NS1_11comp_targetILNS1_3genE5ELNS1_11target_archE942ELNS1_3gpuE9ELNS1_3repE0EEENS1_30default_config_static_selectorELNS0_4arch9wavefront6targetE0EEEvT1_: ; @_ZN7rocprim17ROCPRIM_400000_NS6detail17trampoline_kernelINS0_14default_configENS1_25partition_config_selectorILNS1_17partition_subalgoE9EllbEEZZNS1_14partition_implILS5_9ELb0ES3_jPlS8_PNS0_10empty_typeENS0_5tupleIJS8_S9_EEENSB_IJS8_SA_EEENS0_18inequality_wrapperIZN2at6native12_GLOBAL__N_124unique_dim_cuda_templateIsEESt5tupleIJNSF_6TensorESK_SK_EERKSK_lbbbEUlllE0_EEPmJS9_EEE10hipError_tPvRmT3_T4_T5_T6_T7_T9_mT8_P12ihipStream_tbDpT10_ENKUlT_T0_E_clISt17integral_constantIbLb0EES1A_EEDaS15_S16_EUlS15_E_NS1_11comp_targetILNS1_3genE5ELNS1_11target_archE942ELNS1_3gpuE9ELNS1_3repE0EEENS1_30default_config_static_selectorELNS0_4arch9wavefront6targetE0EEEvT1_
; %bb.0:
	.section	.rodata,"a",@progbits
	.p2align	6, 0x0
	.amdhsa_kernel _ZN7rocprim17ROCPRIM_400000_NS6detail17trampoline_kernelINS0_14default_configENS1_25partition_config_selectorILNS1_17partition_subalgoE9EllbEEZZNS1_14partition_implILS5_9ELb0ES3_jPlS8_PNS0_10empty_typeENS0_5tupleIJS8_S9_EEENSB_IJS8_SA_EEENS0_18inequality_wrapperIZN2at6native12_GLOBAL__N_124unique_dim_cuda_templateIsEESt5tupleIJNSF_6TensorESK_SK_EERKSK_lbbbEUlllE0_EEPmJS9_EEE10hipError_tPvRmT3_T4_T5_T6_T7_T9_mT8_P12ihipStream_tbDpT10_ENKUlT_T0_E_clISt17integral_constantIbLb0EES1A_EEDaS15_S16_EUlS15_E_NS1_11comp_targetILNS1_3genE5ELNS1_11target_archE942ELNS1_3gpuE9ELNS1_3repE0EEENS1_30default_config_static_selectorELNS0_4arch9wavefront6targetE0EEEvT1_
		.amdhsa_group_segment_fixed_size 0
		.amdhsa_private_segment_fixed_size 0
		.amdhsa_kernarg_size 120
		.amdhsa_user_sgpr_count 15
		.amdhsa_user_sgpr_dispatch_ptr 0
		.amdhsa_user_sgpr_queue_ptr 0
		.amdhsa_user_sgpr_kernarg_segment_ptr 1
		.amdhsa_user_sgpr_dispatch_id 0
		.amdhsa_user_sgpr_private_segment_size 0
		.amdhsa_wavefront_size32 1
		.amdhsa_uses_dynamic_stack 0
		.amdhsa_enable_private_segment 0
		.amdhsa_system_sgpr_workgroup_id_x 1
		.amdhsa_system_sgpr_workgroup_id_y 0
		.amdhsa_system_sgpr_workgroup_id_z 0
		.amdhsa_system_sgpr_workgroup_info 0
		.amdhsa_system_vgpr_workitem_id 0
		.amdhsa_next_free_vgpr 1
		.amdhsa_next_free_sgpr 1
		.amdhsa_reserve_vcc 0
		.amdhsa_float_round_mode_32 0
		.amdhsa_float_round_mode_16_64 0
		.amdhsa_float_denorm_mode_32 3
		.amdhsa_float_denorm_mode_16_64 3
		.amdhsa_dx10_clamp 1
		.amdhsa_ieee_mode 1
		.amdhsa_fp16_overflow 0
		.amdhsa_workgroup_processor_mode 1
		.amdhsa_memory_ordered 1
		.amdhsa_forward_progress 0
		.amdhsa_shared_vgpr_count 0
		.amdhsa_exception_fp_ieee_invalid_op 0
		.amdhsa_exception_fp_denorm_src 0
		.amdhsa_exception_fp_ieee_div_zero 0
		.amdhsa_exception_fp_ieee_overflow 0
		.amdhsa_exception_fp_ieee_underflow 0
		.amdhsa_exception_fp_ieee_inexact 0
		.amdhsa_exception_int_div_zero 0
	.end_amdhsa_kernel
	.section	.text._ZN7rocprim17ROCPRIM_400000_NS6detail17trampoline_kernelINS0_14default_configENS1_25partition_config_selectorILNS1_17partition_subalgoE9EllbEEZZNS1_14partition_implILS5_9ELb0ES3_jPlS8_PNS0_10empty_typeENS0_5tupleIJS8_S9_EEENSB_IJS8_SA_EEENS0_18inequality_wrapperIZN2at6native12_GLOBAL__N_124unique_dim_cuda_templateIsEESt5tupleIJNSF_6TensorESK_SK_EERKSK_lbbbEUlllE0_EEPmJS9_EEE10hipError_tPvRmT3_T4_T5_T6_T7_T9_mT8_P12ihipStream_tbDpT10_ENKUlT_T0_E_clISt17integral_constantIbLb0EES1A_EEDaS15_S16_EUlS15_E_NS1_11comp_targetILNS1_3genE5ELNS1_11target_archE942ELNS1_3gpuE9ELNS1_3repE0EEENS1_30default_config_static_selectorELNS0_4arch9wavefront6targetE0EEEvT1_,"axG",@progbits,_ZN7rocprim17ROCPRIM_400000_NS6detail17trampoline_kernelINS0_14default_configENS1_25partition_config_selectorILNS1_17partition_subalgoE9EllbEEZZNS1_14partition_implILS5_9ELb0ES3_jPlS8_PNS0_10empty_typeENS0_5tupleIJS8_S9_EEENSB_IJS8_SA_EEENS0_18inequality_wrapperIZN2at6native12_GLOBAL__N_124unique_dim_cuda_templateIsEESt5tupleIJNSF_6TensorESK_SK_EERKSK_lbbbEUlllE0_EEPmJS9_EEE10hipError_tPvRmT3_T4_T5_T6_T7_T9_mT8_P12ihipStream_tbDpT10_ENKUlT_T0_E_clISt17integral_constantIbLb0EES1A_EEDaS15_S16_EUlS15_E_NS1_11comp_targetILNS1_3genE5ELNS1_11target_archE942ELNS1_3gpuE9ELNS1_3repE0EEENS1_30default_config_static_selectorELNS0_4arch9wavefront6targetE0EEEvT1_,comdat
.Lfunc_end718:
	.size	_ZN7rocprim17ROCPRIM_400000_NS6detail17trampoline_kernelINS0_14default_configENS1_25partition_config_selectorILNS1_17partition_subalgoE9EllbEEZZNS1_14partition_implILS5_9ELb0ES3_jPlS8_PNS0_10empty_typeENS0_5tupleIJS8_S9_EEENSB_IJS8_SA_EEENS0_18inequality_wrapperIZN2at6native12_GLOBAL__N_124unique_dim_cuda_templateIsEESt5tupleIJNSF_6TensorESK_SK_EERKSK_lbbbEUlllE0_EEPmJS9_EEE10hipError_tPvRmT3_T4_T5_T6_T7_T9_mT8_P12ihipStream_tbDpT10_ENKUlT_T0_E_clISt17integral_constantIbLb0EES1A_EEDaS15_S16_EUlS15_E_NS1_11comp_targetILNS1_3genE5ELNS1_11target_archE942ELNS1_3gpuE9ELNS1_3repE0EEENS1_30default_config_static_selectorELNS0_4arch9wavefront6targetE0EEEvT1_, .Lfunc_end718-_ZN7rocprim17ROCPRIM_400000_NS6detail17trampoline_kernelINS0_14default_configENS1_25partition_config_selectorILNS1_17partition_subalgoE9EllbEEZZNS1_14partition_implILS5_9ELb0ES3_jPlS8_PNS0_10empty_typeENS0_5tupleIJS8_S9_EEENSB_IJS8_SA_EEENS0_18inequality_wrapperIZN2at6native12_GLOBAL__N_124unique_dim_cuda_templateIsEESt5tupleIJNSF_6TensorESK_SK_EERKSK_lbbbEUlllE0_EEPmJS9_EEE10hipError_tPvRmT3_T4_T5_T6_T7_T9_mT8_P12ihipStream_tbDpT10_ENKUlT_T0_E_clISt17integral_constantIbLb0EES1A_EEDaS15_S16_EUlS15_E_NS1_11comp_targetILNS1_3genE5ELNS1_11target_archE942ELNS1_3gpuE9ELNS1_3repE0EEENS1_30default_config_static_selectorELNS0_4arch9wavefront6targetE0EEEvT1_
                                        ; -- End function
	.section	.AMDGPU.csdata,"",@progbits
; Kernel info:
; codeLenInByte = 0
; NumSgprs: 0
; NumVgprs: 0
; ScratchSize: 0
; MemoryBound: 0
; FloatMode: 240
; IeeeMode: 1
; LDSByteSize: 0 bytes/workgroup (compile time only)
; SGPRBlocks: 0
; VGPRBlocks: 0
; NumSGPRsForWavesPerEU: 1
; NumVGPRsForWavesPerEU: 1
; Occupancy: 16
; WaveLimiterHint : 0
; COMPUTE_PGM_RSRC2:SCRATCH_EN: 0
; COMPUTE_PGM_RSRC2:USER_SGPR: 15
; COMPUTE_PGM_RSRC2:TRAP_HANDLER: 0
; COMPUTE_PGM_RSRC2:TGID_X_EN: 1
; COMPUTE_PGM_RSRC2:TGID_Y_EN: 0
; COMPUTE_PGM_RSRC2:TGID_Z_EN: 0
; COMPUTE_PGM_RSRC2:TIDIG_COMP_CNT: 0
	.section	.text._ZN7rocprim17ROCPRIM_400000_NS6detail17trampoline_kernelINS0_14default_configENS1_25partition_config_selectorILNS1_17partition_subalgoE9EllbEEZZNS1_14partition_implILS5_9ELb0ES3_jPlS8_PNS0_10empty_typeENS0_5tupleIJS8_S9_EEENSB_IJS8_SA_EEENS0_18inequality_wrapperIZN2at6native12_GLOBAL__N_124unique_dim_cuda_templateIsEESt5tupleIJNSF_6TensorESK_SK_EERKSK_lbbbEUlllE0_EEPmJS9_EEE10hipError_tPvRmT3_T4_T5_T6_T7_T9_mT8_P12ihipStream_tbDpT10_ENKUlT_T0_E_clISt17integral_constantIbLb0EES1A_EEDaS15_S16_EUlS15_E_NS1_11comp_targetILNS1_3genE4ELNS1_11target_archE910ELNS1_3gpuE8ELNS1_3repE0EEENS1_30default_config_static_selectorELNS0_4arch9wavefront6targetE0EEEvT1_,"axG",@progbits,_ZN7rocprim17ROCPRIM_400000_NS6detail17trampoline_kernelINS0_14default_configENS1_25partition_config_selectorILNS1_17partition_subalgoE9EllbEEZZNS1_14partition_implILS5_9ELb0ES3_jPlS8_PNS0_10empty_typeENS0_5tupleIJS8_S9_EEENSB_IJS8_SA_EEENS0_18inequality_wrapperIZN2at6native12_GLOBAL__N_124unique_dim_cuda_templateIsEESt5tupleIJNSF_6TensorESK_SK_EERKSK_lbbbEUlllE0_EEPmJS9_EEE10hipError_tPvRmT3_T4_T5_T6_T7_T9_mT8_P12ihipStream_tbDpT10_ENKUlT_T0_E_clISt17integral_constantIbLb0EES1A_EEDaS15_S16_EUlS15_E_NS1_11comp_targetILNS1_3genE4ELNS1_11target_archE910ELNS1_3gpuE8ELNS1_3repE0EEENS1_30default_config_static_selectorELNS0_4arch9wavefront6targetE0EEEvT1_,comdat
	.globl	_ZN7rocprim17ROCPRIM_400000_NS6detail17trampoline_kernelINS0_14default_configENS1_25partition_config_selectorILNS1_17partition_subalgoE9EllbEEZZNS1_14partition_implILS5_9ELb0ES3_jPlS8_PNS0_10empty_typeENS0_5tupleIJS8_S9_EEENSB_IJS8_SA_EEENS0_18inequality_wrapperIZN2at6native12_GLOBAL__N_124unique_dim_cuda_templateIsEESt5tupleIJNSF_6TensorESK_SK_EERKSK_lbbbEUlllE0_EEPmJS9_EEE10hipError_tPvRmT3_T4_T5_T6_T7_T9_mT8_P12ihipStream_tbDpT10_ENKUlT_T0_E_clISt17integral_constantIbLb0EES1A_EEDaS15_S16_EUlS15_E_NS1_11comp_targetILNS1_3genE4ELNS1_11target_archE910ELNS1_3gpuE8ELNS1_3repE0EEENS1_30default_config_static_selectorELNS0_4arch9wavefront6targetE0EEEvT1_ ; -- Begin function _ZN7rocprim17ROCPRIM_400000_NS6detail17trampoline_kernelINS0_14default_configENS1_25partition_config_selectorILNS1_17partition_subalgoE9EllbEEZZNS1_14partition_implILS5_9ELb0ES3_jPlS8_PNS0_10empty_typeENS0_5tupleIJS8_S9_EEENSB_IJS8_SA_EEENS0_18inequality_wrapperIZN2at6native12_GLOBAL__N_124unique_dim_cuda_templateIsEESt5tupleIJNSF_6TensorESK_SK_EERKSK_lbbbEUlllE0_EEPmJS9_EEE10hipError_tPvRmT3_T4_T5_T6_T7_T9_mT8_P12ihipStream_tbDpT10_ENKUlT_T0_E_clISt17integral_constantIbLb0EES1A_EEDaS15_S16_EUlS15_E_NS1_11comp_targetILNS1_3genE4ELNS1_11target_archE910ELNS1_3gpuE8ELNS1_3repE0EEENS1_30default_config_static_selectorELNS0_4arch9wavefront6targetE0EEEvT1_
	.p2align	8
	.type	_ZN7rocprim17ROCPRIM_400000_NS6detail17trampoline_kernelINS0_14default_configENS1_25partition_config_selectorILNS1_17partition_subalgoE9EllbEEZZNS1_14partition_implILS5_9ELb0ES3_jPlS8_PNS0_10empty_typeENS0_5tupleIJS8_S9_EEENSB_IJS8_SA_EEENS0_18inequality_wrapperIZN2at6native12_GLOBAL__N_124unique_dim_cuda_templateIsEESt5tupleIJNSF_6TensorESK_SK_EERKSK_lbbbEUlllE0_EEPmJS9_EEE10hipError_tPvRmT3_T4_T5_T6_T7_T9_mT8_P12ihipStream_tbDpT10_ENKUlT_T0_E_clISt17integral_constantIbLb0EES1A_EEDaS15_S16_EUlS15_E_NS1_11comp_targetILNS1_3genE4ELNS1_11target_archE910ELNS1_3gpuE8ELNS1_3repE0EEENS1_30default_config_static_selectorELNS0_4arch9wavefront6targetE0EEEvT1_,@function
_ZN7rocprim17ROCPRIM_400000_NS6detail17trampoline_kernelINS0_14default_configENS1_25partition_config_selectorILNS1_17partition_subalgoE9EllbEEZZNS1_14partition_implILS5_9ELb0ES3_jPlS8_PNS0_10empty_typeENS0_5tupleIJS8_S9_EEENSB_IJS8_SA_EEENS0_18inequality_wrapperIZN2at6native12_GLOBAL__N_124unique_dim_cuda_templateIsEESt5tupleIJNSF_6TensorESK_SK_EERKSK_lbbbEUlllE0_EEPmJS9_EEE10hipError_tPvRmT3_T4_T5_T6_T7_T9_mT8_P12ihipStream_tbDpT10_ENKUlT_T0_E_clISt17integral_constantIbLb0EES1A_EEDaS15_S16_EUlS15_E_NS1_11comp_targetILNS1_3genE4ELNS1_11target_archE910ELNS1_3gpuE8ELNS1_3repE0EEENS1_30default_config_static_selectorELNS0_4arch9wavefront6targetE0EEEvT1_: ; @_ZN7rocprim17ROCPRIM_400000_NS6detail17trampoline_kernelINS0_14default_configENS1_25partition_config_selectorILNS1_17partition_subalgoE9EllbEEZZNS1_14partition_implILS5_9ELb0ES3_jPlS8_PNS0_10empty_typeENS0_5tupleIJS8_S9_EEENSB_IJS8_SA_EEENS0_18inequality_wrapperIZN2at6native12_GLOBAL__N_124unique_dim_cuda_templateIsEESt5tupleIJNSF_6TensorESK_SK_EERKSK_lbbbEUlllE0_EEPmJS9_EEE10hipError_tPvRmT3_T4_T5_T6_T7_T9_mT8_P12ihipStream_tbDpT10_ENKUlT_T0_E_clISt17integral_constantIbLb0EES1A_EEDaS15_S16_EUlS15_E_NS1_11comp_targetILNS1_3genE4ELNS1_11target_archE910ELNS1_3gpuE8ELNS1_3repE0EEENS1_30default_config_static_selectorELNS0_4arch9wavefront6targetE0EEEvT1_
; %bb.0:
	.section	.rodata,"a",@progbits
	.p2align	6, 0x0
	.amdhsa_kernel _ZN7rocprim17ROCPRIM_400000_NS6detail17trampoline_kernelINS0_14default_configENS1_25partition_config_selectorILNS1_17partition_subalgoE9EllbEEZZNS1_14partition_implILS5_9ELb0ES3_jPlS8_PNS0_10empty_typeENS0_5tupleIJS8_S9_EEENSB_IJS8_SA_EEENS0_18inequality_wrapperIZN2at6native12_GLOBAL__N_124unique_dim_cuda_templateIsEESt5tupleIJNSF_6TensorESK_SK_EERKSK_lbbbEUlllE0_EEPmJS9_EEE10hipError_tPvRmT3_T4_T5_T6_T7_T9_mT8_P12ihipStream_tbDpT10_ENKUlT_T0_E_clISt17integral_constantIbLb0EES1A_EEDaS15_S16_EUlS15_E_NS1_11comp_targetILNS1_3genE4ELNS1_11target_archE910ELNS1_3gpuE8ELNS1_3repE0EEENS1_30default_config_static_selectorELNS0_4arch9wavefront6targetE0EEEvT1_
		.amdhsa_group_segment_fixed_size 0
		.amdhsa_private_segment_fixed_size 0
		.amdhsa_kernarg_size 120
		.amdhsa_user_sgpr_count 15
		.amdhsa_user_sgpr_dispatch_ptr 0
		.amdhsa_user_sgpr_queue_ptr 0
		.amdhsa_user_sgpr_kernarg_segment_ptr 1
		.amdhsa_user_sgpr_dispatch_id 0
		.amdhsa_user_sgpr_private_segment_size 0
		.amdhsa_wavefront_size32 1
		.amdhsa_uses_dynamic_stack 0
		.amdhsa_enable_private_segment 0
		.amdhsa_system_sgpr_workgroup_id_x 1
		.amdhsa_system_sgpr_workgroup_id_y 0
		.amdhsa_system_sgpr_workgroup_id_z 0
		.amdhsa_system_sgpr_workgroup_info 0
		.amdhsa_system_vgpr_workitem_id 0
		.amdhsa_next_free_vgpr 1
		.amdhsa_next_free_sgpr 1
		.amdhsa_reserve_vcc 0
		.amdhsa_float_round_mode_32 0
		.amdhsa_float_round_mode_16_64 0
		.amdhsa_float_denorm_mode_32 3
		.amdhsa_float_denorm_mode_16_64 3
		.amdhsa_dx10_clamp 1
		.amdhsa_ieee_mode 1
		.amdhsa_fp16_overflow 0
		.amdhsa_workgroup_processor_mode 1
		.amdhsa_memory_ordered 1
		.amdhsa_forward_progress 0
		.amdhsa_shared_vgpr_count 0
		.amdhsa_exception_fp_ieee_invalid_op 0
		.amdhsa_exception_fp_denorm_src 0
		.amdhsa_exception_fp_ieee_div_zero 0
		.amdhsa_exception_fp_ieee_overflow 0
		.amdhsa_exception_fp_ieee_underflow 0
		.amdhsa_exception_fp_ieee_inexact 0
		.amdhsa_exception_int_div_zero 0
	.end_amdhsa_kernel
	.section	.text._ZN7rocprim17ROCPRIM_400000_NS6detail17trampoline_kernelINS0_14default_configENS1_25partition_config_selectorILNS1_17partition_subalgoE9EllbEEZZNS1_14partition_implILS5_9ELb0ES3_jPlS8_PNS0_10empty_typeENS0_5tupleIJS8_S9_EEENSB_IJS8_SA_EEENS0_18inequality_wrapperIZN2at6native12_GLOBAL__N_124unique_dim_cuda_templateIsEESt5tupleIJNSF_6TensorESK_SK_EERKSK_lbbbEUlllE0_EEPmJS9_EEE10hipError_tPvRmT3_T4_T5_T6_T7_T9_mT8_P12ihipStream_tbDpT10_ENKUlT_T0_E_clISt17integral_constantIbLb0EES1A_EEDaS15_S16_EUlS15_E_NS1_11comp_targetILNS1_3genE4ELNS1_11target_archE910ELNS1_3gpuE8ELNS1_3repE0EEENS1_30default_config_static_selectorELNS0_4arch9wavefront6targetE0EEEvT1_,"axG",@progbits,_ZN7rocprim17ROCPRIM_400000_NS6detail17trampoline_kernelINS0_14default_configENS1_25partition_config_selectorILNS1_17partition_subalgoE9EllbEEZZNS1_14partition_implILS5_9ELb0ES3_jPlS8_PNS0_10empty_typeENS0_5tupleIJS8_S9_EEENSB_IJS8_SA_EEENS0_18inequality_wrapperIZN2at6native12_GLOBAL__N_124unique_dim_cuda_templateIsEESt5tupleIJNSF_6TensorESK_SK_EERKSK_lbbbEUlllE0_EEPmJS9_EEE10hipError_tPvRmT3_T4_T5_T6_T7_T9_mT8_P12ihipStream_tbDpT10_ENKUlT_T0_E_clISt17integral_constantIbLb0EES1A_EEDaS15_S16_EUlS15_E_NS1_11comp_targetILNS1_3genE4ELNS1_11target_archE910ELNS1_3gpuE8ELNS1_3repE0EEENS1_30default_config_static_selectorELNS0_4arch9wavefront6targetE0EEEvT1_,comdat
.Lfunc_end719:
	.size	_ZN7rocprim17ROCPRIM_400000_NS6detail17trampoline_kernelINS0_14default_configENS1_25partition_config_selectorILNS1_17partition_subalgoE9EllbEEZZNS1_14partition_implILS5_9ELb0ES3_jPlS8_PNS0_10empty_typeENS0_5tupleIJS8_S9_EEENSB_IJS8_SA_EEENS0_18inequality_wrapperIZN2at6native12_GLOBAL__N_124unique_dim_cuda_templateIsEESt5tupleIJNSF_6TensorESK_SK_EERKSK_lbbbEUlllE0_EEPmJS9_EEE10hipError_tPvRmT3_T4_T5_T6_T7_T9_mT8_P12ihipStream_tbDpT10_ENKUlT_T0_E_clISt17integral_constantIbLb0EES1A_EEDaS15_S16_EUlS15_E_NS1_11comp_targetILNS1_3genE4ELNS1_11target_archE910ELNS1_3gpuE8ELNS1_3repE0EEENS1_30default_config_static_selectorELNS0_4arch9wavefront6targetE0EEEvT1_, .Lfunc_end719-_ZN7rocprim17ROCPRIM_400000_NS6detail17trampoline_kernelINS0_14default_configENS1_25partition_config_selectorILNS1_17partition_subalgoE9EllbEEZZNS1_14partition_implILS5_9ELb0ES3_jPlS8_PNS0_10empty_typeENS0_5tupleIJS8_S9_EEENSB_IJS8_SA_EEENS0_18inequality_wrapperIZN2at6native12_GLOBAL__N_124unique_dim_cuda_templateIsEESt5tupleIJNSF_6TensorESK_SK_EERKSK_lbbbEUlllE0_EEPmJS9_EEE10hipError_tPvRmT3_T4_T5_T6_T7_T9_mT8_P12ihipStream_tbDpT10_ENKUlT_T0_E_clISt17integral_constantIbLb0EES1A_EEDaS15_S16_EUlS15_E_NS1_11comp_targetILNS1_3genE4ELNS1_11target_archE910ELNS1_3gpuE8ELNS1_3repE0EEENS1_30default_config_static_selectorELNS0_4arch9wavefront6targetE0EEEvT1_
                                        ; -- End function
	.section	.AMDGPU.csdata,"",@progbits
; Kernel info:
; codeLenInByte = 0
; NumSgprs: 0
; NumVgprs: 0
; ScratchSize: 0
; MemoryBound: 0
; FloatMode: 240
; IeeeMode: 1
; LDSByteSize: 0 bytes/workgroup (compile time only)
; SGPRBlocks: 0
; VGPRBlocks: 0
; NumSGPRsForWavesPerEU: 1
; NumVGPRsForWavesPerEU: 1
; Occupancy: 16
; WaveLimiterHint : 0
; COMPUTE_PGM_RSRC2:SCRATCH_EN: 0
; COMPUTE_PGM_RSRC2:USER_SGPR: 15
; COMPUTE_PGM_RSRC2:TRAP_HANDLER: 0
; COMPUTE_PGM_RSRC2:TGID_X_EN: 1
; COMPUTE_PGM_RSRC2:TGID_Y_EN: 0
; COMPUTE_PGM_RSRC2:TGID_Z_EN: 0
; COMPUTE_PGM_RSRC2:TIDIG_COMP_CNT: 0
	.section	.text._ZN7rocprim17ROCPRIM_400000_NS6detail17trampoline_kernelINS0_14default_configENS1_25partition_config_selectorILNS1_17partition_subalgoE9EllbEEZZNS1_14partition_implILS5_9ELb0ES3_jPlS8_PNS0_10empty_typeENS0_5tupleIJS8_S9_EEENSB_IJS8_SA_EEENS0_18inequality_wrapperIZN2at6native12_GLOBAL__N_124unique_dim_cuda_templateIsEESt5tupleIJNSF_6TensorESK_SK_EERKSK_lbbbEUlllE0_EEPmJS9_EEE10hipError_tPvRmT3_T4_T5_T6_T7_T9_mT8_P12ihipStream_tbDpT10_ENKUlT_T0_E_clISt17integral_constantIbLb0EES1A_EEDaS15_S16_EUlS15_E_NS1_11comp_targetILNS1_3genE3ELNS1_11target_archE908ELNS1_3gpuE7ELNS1_3repE0EEENS1_30default_config_static_selectorELNS0_4arch9wavefront6targetE0EEEvT1_,"axG",@progbits,_ZN7rocprim17ROCPRIM_400000_NS6detail17trampoline_kernelINS0_14default_configENS1_25partition_config_selectorILNS1_17partition_subalgoE9EllbEEZZNS1_14partition_implILS5_9ELb0ES3_jPlS8_PNS0_10empty_typeENS0_5tupleIJS8_S9_EEENSB_IJS8_SA_EEENS0_18inequality_wrapperIZN2at6native12_GLOBAL__N_124unique_dim_cuda_templateIsEESt5tupleIJNSF_6TensorESK_SK_EERKSK_lbbbEUlllE0_EEPmJS9_EEE10hipError_tPvRmT3_T4_T5_T6_T7_T9_mT8_P12ihipStream_tbDpT10_ENKUlT_T0_E_clISt17integral_constantIbLb0EES1A_EEDaS15_S16_EUlS15_E_NS1_11comp_targetILNS1_3genE3ELNS1_11target_archE908ELNS1_3gpuE7ELNS1_3repE0EEENS1_30default_config_static_selectorELNS0_4arch9wavefront6targetE0EEEvT1_,comdat
	.globl	_ZN7rocprim17ROCPRIM_400000_NS6detail17trampoline_kernelINS0_14default_configENS1_25partition_config_selectorILNS1_17partition_subalgoE9EllbEEZZNS1_14partition_implILS5_9ELb0ES3_jPlS8_PNS0_10empty_typeENS0_5tupleIJS8_S9_EEENSB_IJS8_SA_EEENS0_18inequality_wrapperIZN2at6native12_GLOBAL__N_124unique_dim_cuda_templateIsEESt5tupleIJNSF_6TensorESK_SK_EERKSK_lbbbEUlllE0_EEPmJS9_EEE10hipError_tPvRmT3_T4_T5_T6_T7_T9_mT8_P12ihipStream_tbDpT10_ENKUlT_T0_E_clISt17integral_constantIbLb0EES1A_EEDaS15_S16_EUlS15_E_NS1_11comp_targetILNS1_3genE3ELNS1_11target_archE908ELNS1_3gpuE7ELNS1_3repE0EEENS1_30default_config_static_selectorELNS0_4arch9wavefront6targetE0EEEvT1_ ; -- Begin function _ZN7rocprim17ROCPRIM_400000_NS6detail17trampoline_kernelINS0_14default_configENS1_25partition_config_selectorILNS1_17partition_subalgoE9EllbEEZZNS1_14partition_implILS5_9ELb0ES3_jPlS8_PNS0_10empty_typeENS0_5tupleIJS8_S9_EEENSB_IJS8_SA_EEENS0_18inequality_wrapperIZN2at6native12_GLOBAL__N_124unique_dim_cuda_templateIsEESt5tupleIJNSF_6TensorESK_SK_EERKSK_lbbbEUlllE0_EEPmJS9_EEE10hipError_tPvRmT3_T4_T5_T6_T7_T9_mT8_P12ihipStream_tbDpT10_ENKUlT_T0_E_clISt17integral_constantIbLb0EES1A_EEDaS15_S16_EUlS15_E_NS1_11comp_targetILNS1_3genE3ELNS1_11target_archE908ELNS1_3gpuE7ELNS1_3repE0EEENS1_30default_config_static_selectorELNS0_4arch9wavefront6targetE0EEEvT1_
	.p2align	8
	.type	_ZN7rocprim17ROCPRIM_400000_NS6detail17trampoline_kernelINS0_14default_configENS1_25partition_config_selectorILNS1_17partition_subalgoE9EllbEEZZNS1_14partition_implILS5_9ELb0ES3_jPlS8_PNS0_10empty_typeENS0_5tupleIJS8_S9_EEENSB_IJS8_SA_EEENS0_18inequality_wrapperIZN2at6native12_GLOBAL__N_124unique_dim_cuda_templateIsEESt5tupleIJNSF_6TensorESK_SK_EERKSK_lbbbEUlllE0_EEPmJS9_EEE10hipError_tPvRmT3_T4_T5_T6_T7_T9_mT8_P12ihipStream_tbDpT10_ENKUlT_T0_E_clISt17integral_constantIbLb0EES1A_EEDaS15_S16_EUlS15_E_NS1_11comp_targetILNS1_3genE3ELNS1_11target_archE908ELNS1_3gpuE7ELNS1_3repE0EEENS1_30default_config_static_selectorELNS0_4arch9wavefront6targetE0EEEvT1_,@function
_ZN7rocprim17ROCPRIM_400000_NS6detail17trampoline_kernelINS0_14default_configENS1_25partition_config_selectorILNS1_17partition_subalgoE9EllbEEZZNS1_14partition_implILS5_9ELb0ES3_jPlS8_PNS0_10empty_typeENS0_5tupleIJS8_S9_EEENSB_IJS8_SA_EEENS0_18inequality_wrapperIZN2at6native12_GLOBAL__N_124unique_dim_cuda_templateIsEESt5tupleIJNSF_6TensorESK_SK_EERKSK_lbbbEUlllE0_EEPmJS9_EEE10hipError_tPvRmT3_T4_T5_T6_T7_T9_mT8_P12ihipStream_tbDpT10_ENKUlT_T0_E_clISt17integral_constantIbLb0EES1A_EEDaS15_S16_EUlS15_E_NS1_11comp_targetILNS1_3genE3ELNS1_11target_archE908ELNS1_3gpuE7ELNS1_3repE0EEENS1_30default_config_static_selectorELNS0_4arch9wavefront6targetE0EEEvT1_: ; @_ZN7rocprim17ROCPRIM_400000_NS6detail17trampoline_kernelINS0_14default_configENS1_25partition_config_selectorILNS1_17partition_subalgoE9EllbEEZZNS1_14partition_implILS5_9ELb0ES3_jPlS8_PNS0_10empty_typeENS0_5tupleIJS8_S9_EEENSB_IJS8_SA_EEENS0_18inequality_wrapperIZN2at6native12_GLOBAL__N_124unique_dim_cuda_templateIsEESt5tupleIJNSF_6TensorESK_SK_EERKSK_lbbbEUlllE0_EEPmJS9_EEE10hipError_tPvRmT3_T4_T5_T6_T7_T9_mT8_P12ihipStream_tbDpT10_ENKUlT_T0_E_clISt17integral_constantIbLb0EES1A_EEDaS15_S16_EUlS15_E_NS1_11comp_targetILNS1_3genE3ELNS1_11target_archE908ELNS1_3gpuE7ELNS1_3repE0EEENS1_30default_config_static_selectorELNS0_4arch9wavefront6targetE0EEEvT1_
; %bb.0:
	.section	.rodata,"a",@progbits
	.p2align	6, 0x0
	.amdhsa_kernel _ZN7rocprim17ROCPRIM_400000_NS6detail17trampoline_kernelINS0_14default_configENS1_25partition_config_selectorILNS1_17partition_subalgoE9EllbEEZZNS1_14partition_implILS5_9ELb0ES3_jPlS8_PNS0_10empty_typeENS0_5tupleIJS8_S9_EEENSB_IJS8_SA_EEENS0_18inequality_wrapperIZN2at6native12_GLOBAL__N_124unique_dim_cuda_templateIsEESt5tupleIJNSF_6TensorESK_SK_EERKSK_lbbbEUlllE0_EEPmJS9_EEE10hipError_tPvRmT3_T4_T5_T6_T7_T9_mT8_P12ihipStream_tbDpT10_ENKUlT_T0_E_clISt17integral_constantIbLb0EES1A_EEDaS15_S16_EUlS15_E_NS1_11comp_targetILNS1_3genE3ELNS1_11target_archE908ELNS1_3gpuE7ELNS1_3repE0EEENS1_30default_config_static_selectorELNS0_4arch9wavefront6targetE0EEEvT1_
		.amdhsa_group_segment_fixed_size 0
		.amdhsa_private_segment_fixed_size 0
		.amdhsa_kernarg_size 120
		.amdhsa_user_sgpr_count 15
		.amdhsa_user_sgpr_dispatch_ptr 0
		.amdhsa_user_sgpr_queue_ptr 0
		.amdhsa_user_sgpr_kernarg_segment_ptr 1
		.amdhsa_user_sgpr_dispatch_id 0
		.amdhsa_user_sgpr_private_segment_size 0
		.amdhsa_wavefront_size32 1
		.amdhsa_uses_dynamic_stack 0
		.amdhsa_enable_private_segment 0
		.amdhsa_system_sgpr_workgroup_id_x 1
		.amdhsa_system_sgpr_workgroup_id_y 0
		.amdhsa_system_sgpr_workgroup_id_z 0
		.amdhsa_system_sgpr_workgroup_info 0
		.amdhsa_system_vgpr_workitem_id 0
		.amdhsa_next_free_vgpr 1
		.amdhsa_next_free_sgpr 1
		.amdhsa_reserve_vcc 0
		.amdhsa_float_round_mode_32 0
		.amdhsa_float_round_mode_16_64 0
		.amdhsa_float_denorm_mode_32 3
		.amdhsa_float_denorm_mode_16_64 3
		.amdhsa_dx10_clamp 1
		.amdhsa_ieee_mode 1
		.amdhsa_fp16_overflow 0
		.amdhsa_workgroup_processor_mode 1
		.amdhsa_memory_ordered 1
		.amdhsa_forward_progress 0
		.amdhsa_shared_vgpr_count 0
		.amdhsa_exception_fp_ieee_invalid_op 0
		.amdhsa_exception_fp_denorm_src 0
		.amdhsa_exception_fp_ieee_div_zero 0
		.amdhsa_exception_fp_ieee_overflow 0
		.amdhsa_exception_fp_ieee_underflow 0
		.amdhsa_exception_fp_ieee_inexact 0
		.amdhsa_exception_int_div_zero 0
	.end_amdhsa_kernel
	.section	.text._ZN7rocprim17ROCPRIM_400000_NS6detail17trampoline_kernelINS0_14default_configENS1_25partition_config_selectorILNS1_17partition_subalgoE9EllbEEZZNS1_14partition_implILS5_9ELb0ES3_jPlS8_PNS0_10empty_typeENS0_5tupleIJS8_S9_EEENSB_IJS8_SA_EEENS0_18inequality_wrapperIZN2at6native12_GLOBAL__N_124unique_dim_cuda_templateIsEESt5tupleIJNSF_6TensorESK_SK_EERKSK_lbbbEUlllE0_EEPmJS9_EEE10hipError_tPvRmT3_T4_T5_T6_T7_T9_mT8_P12ihipStream_tbDpT10_ENKUlT_T0_E_clISt17integral_constantIbLb0EES1A_EEDaS15_S16_EUlS15_E_NS1_11comp_targetILNS1_3genE3ELNS1_11target_archE908ELNS1_3gpuE7ELNS1_3repE0EEENS1_30default_config_static_selectorELNS0_4arch9wavefront6targetE0EEEvT1_,"axG",@progbits,_ZN7rocprim17ROCPRIM_400000_NS6detail17trampoline_kernelINS0_14default_configENS1_25partition_config_selectorILNS1_17partition_subalgoE9EllbEEZZNS1_14partition_implILS5_9ELb0ES3_jPlS8_PNS0_10empty_typeENS0_5tupleIJS8_S9_EEENSB_IJS8_SA_EEENS0_18inequality_wrapperIZN2at6native12_GLOBAL__N_124unique_dim_cuda_templateIsEESt5tupleIJNSF_6TensorESK_SK_EERKSK_lbbbEUlllE0_EEPmJS9_EEE10hipError_tPvRmT3_T4_T5_T6_T7_T9_mT8_P12ihipStream_tbDpT10_ENKUlT_T0_E_clISt17integral_constantIbLb0EES1A_EEDaS15_S16_EUlS15_E_NS1_11comp_targetILNS1_3genE3ELNS1_11target_archE908ELNS1_3gpuE7ELNS1_3repE0EEENS1_30default_config_static_selectorELNS0_4arch9wavefront6targetE0EEEvT1_,comdat
.Lfunc_end720:
	.size	_ZN7rocprim17ROCPRIM_400000_NS6detail17trampoline_kernelINS0_14default_configENS1_25partition_config_selectorILNS1_17partition_subalgoE9EllbEEZZNS1_14partition_implILS5_9ELb0ES3_jPlS8_PNS0_10empty_typeENS0_5tupleIJS8_S9_EEENSB_IJS8_SA_EEENS0_18inequality_wrapperIZN2at6native12_GLOBAL__N_124unique_dim_cuda_templateIsEESt5tupleIJNSF_6TensorESK_SK_EERKSK_lbbbEUlllE0_EEPmJS9_EEE10hipError_tPvRmT3_T4_T5_T6_T7_T9_mT8_P12ihipStream_tbDpT10_ENKUlT_T0_E_clISt17integral_constantIbLb0EES1A_EEDaS15_S16_EUlS15_E_NS1_11comp_targetILNS1_3genE3ELNS1_11target_archE908ELNS1_3gpuE7ELNS1_3repE0EEENS1_30default_config_static_selectorELNS0_4arch9wavefront6targetE0EEEvT1_, .Lfunc_end720-_ZN7rocprim17ROCPRIM_400000_NS6detail17trampoline_kernelINS0_14default_configENS1_25partition_config_selectorILNS1_17partition_subalgoE9EllbEEZZNS1_14partition_implILS5_9ELb0ES3_jPlS8_PNS0_10empty_typeENS0_5tupleIJS8_S9_EEENSB_IJS8_SA_EEENS0_18inequality_wrapperIZN2at6native12_GLOBAL__N_124unique_dim_cuda_templateIsEESt5tupleIJNSF_6TensorESK_SK_EERKSK_lbbbEUlllE0_EEPmJS9_EEE10hipError_tPvRmT3_T4_T5_T6_T7_T9_mT8_P12ihipStream_tbDpT10_ENKUlT_T0_E_clISt17integral_constantIbLb0EES1A_EEDaS15_S16_EUlS15_E_NS1_11comp_targetILNS1_3genE3ELNS1_11target_archE908ELNS1_3gpuE7ELNS1_3repE0EEENS1_30default_config_static_selectorELNS0_4arch9wavefront6targetE0EEEvT1_
                                        ; -- End function
	.section	.AMDGPU.csdata,"",@progbits
; Kernel info:
; codeLenInByte = 0
; NumSgprs: 0
; NumVgprs: 0
; ScratchSize: 0
; MemoryBound: 0
; FloatMode: 240
; IeeeMode: 1
; LDSByteSize: 0 bytes/workgroup (compile time only)
; SGPRBlocks: 0
; VGPRBlocks: 0
; NumSGPRsForWavesPerEU: 1
; NumVGPRsForWavesPerEU: 1
; Occupancy: 16
; WaveLimiterHint : 0
; COMPUTE_PGM_RSRC2:SCRATCH_EN: 0
; COMPUTE_PGM_RSRC2:USER_SGPR: 15
; COMPUTE_PGM_RSRC2:TRAP_HANDLER: 0
; COMPUTE_PGM_RSRC2:TGID_X_EN: 1
; COMPUTE_PGM_RSRC2:TGID_Y_EN: 0
; COMPUTE_PGM_RSRC2:TGID_Z_EN: 0
; COMPUTE_PGM_RSRC2:TIDIG_COMP_CNT: 0
	.section	.text._ZN7rocprim17ROCPRIM_400000_NS6detail17trampoline_kernelINS0_14default_configENS1_25partition_config_selectorILNS1_17partition_subalgoE9EllbEEZZNS1_14partition_implILS5_9ELb0ES3_jPlS8_PNS0_10empty_typeENS0_5tupleIJS8_S9_EEENSB_IJS8_SA_EEENS0_18inequality_wrapperIZN2at6native12_GLOBAL__N_124unique_dim_cuda_templateIsEESt5tupleIJNSF_6TensorESK_SK_EERKSK_lbbbEUlllE0_EEPmJS9_EEE10hipError_tPvRmT3_T4_T5_T6_T7_T9_mT8_P12ihipStream_tbDpT10_ENKUlT_T0_E_clISt17integral_constantIbLb0EES1A_EEDaS15_S16_EUlS15_E_NS1_11comp_targetILNS1_3genE2ELNS1_11target_archE906ELNS1_3gpuE6ELNS1_3repE0EEENS1_30default_config_static_selectorELNS0_4arch9wavefront6targetE0EEEvT1_,"axG",@progbits,_ZN7rocprim17ROCPRIM_400000_NS6detail17trampoline_kernelINS0_14default_configENS1_25partition_config_selectorILNS1_17partition_subalgoE9EllbEEZZNS1_14partition_implILS5_9ELb0ES3_jPlS8_PNS0_10empty_typeENS0_5tupleIJS8_S9_EEENSB_IJS8_SA_EEENS0_18inequality_wrapperIZN2at6native12_GLOBAL__N_124unique_dim_cuda_templateIsEESt5tupleIJNSF_6TensorESK_SK_EERKSK_lbbbEUlllE0_EEPmJS9_EEE10hipError_tPvRmT3_T4_T5_T6_T7_T9_mT8_P12ihipStream_tbDpT10_ENKUlT_T0_E_clISt17integral_constantIbLb0EES1A_EEDaS15_S16_EUlS15_E_NS1_11comp_targetILNS1_3genE2ELNS1_11target_archE906ELNS1_3gpuE6ELNS1_3repE0EEENS1_30default_config_static_selectorELNS0_4arch9wavefront6targetE0EEEvT1_,comdat
	.globl	_ZN7rocprim17ROCPRIM_400000_NS6detail17trampoline_kernelINS0_14default_configENS1_25partition_config_selectorILNS1_17partition_subalgoE9EllbEEZZNS1_14partition_implILS5_9ELb0ES3_jPlS8_PNS0_10empty_typeENS0_5tupleIJS8_S9_EEENSB_IJS8_SA_EEENS0_18inequality_wrapperIZN2at6native12_GLOBAL__N_124unique_dim_cuda_templateIsEESt5tupleIJNSF_6TensorESK_SK_EERKSK_lbbbEUlllE0_EEPmJS9_EEE10hipError_tPvRmT3_T4_T5_T6_T7_T9_mT8_P12ihipStream_tbDpT10_ENKUlT_T0_E_clISt17integral_constantIbLb0EES1A_EEDaS15_S16_EUlS15_E_NS1_11comp_targetILNS1_3genE2ELNS1_11target_archE906ELNS1_3gpuE6ELNS1_3repE0EEENS1_30default_config_static_selectorELNS0_4arch9wavefront6targetE0EEEvT1_ ; -- Begin function _ZN7rocprim17ROCPRIM_400000_NS6detail17trampoline_kernelINS0_14default_configENS1_25partition_config_selectorILNS1_17partition_subalgoE9EllbEEZZNS1_14partition_implILS5_9ELb0ES3_jPlS8_PNS0_10empty_typeENS0_5tupleIJS8_S9_EEENSB_IJS8_SA_EEENS0_18inequality_wrapperIZN2at6native12_GLOBAL__N_124unique_dim_cuda_templateIsEESt5tupleIJNSF_6TensorESK_SK_EERKSK_lbbbEUlllE0_EEPmJS9_EEE10hipError_tPvRmT3_T4_T5_T6_T7_T9_mT8_P12ihipStream_tbDpT10_ENKUlT_T0_E_clISt17integral_constantIbLb0EES1A_EEDaS15_S16_EUlS15_E_NS1_11comp_targetILNS1_3genE2ELNS1_11target_archE906ELNS1_3gpuE6ELNS1_3repE0EEENS1_30default_config_static_selectorELNS0_4arch9wavefront6targetE0EEEvT1_
	.p2align	8
	.type	_ZN7rocprim17ROCPRIM_400000_NS6detail17trampoline_kernelINS0_14default_configENS1_25partition_config_selectorILNS1_17partition_subalgoE9EllbEEZZNS1_14partition_implILS5_9ELb0ES3_jPlS8_PNS0_10empty_typeENS0_5tupleIJS8_S9_EEENSB_IJS8_SA_EEENS0_18inequality_wrapperIZN2at6native12_GLOBAL__N_124unique_dim_cuda_templateIsEESt5tupleIJNSF_6TensorESK_SK_EERKSK_lbbbEUlllE0_EEPmJS9_EEE10hipError_tPvRmT3_T4_T5_T6_T7_T9_mT8_P12ihipStream_tbDpT10_ENKUlT_T0_E_clISt17integral_constantIbLb0EES1A_EEDaS15_S16_EUlS15_E_NS1_11comp_targetILNS1_3genE2ELNS1_11target_archE906ELNS1_3gpuE6ELNS1_3repE0EEENS1_30default_config_static_selectorELNS0_4arch9wavefront6targetE0EEEvT1_,@function
_ZN7rocprim17ROCPRIM_400000_NS6detail17trampoline_kernelINS0_14default_configENS1_25partition_config_selectorILNS1_17partition_subalgoE9EllbEEZZNS1_14partition_implILS5_9ELb0ES3_jPlS8_PNS0_10empty_typeENS0_5tupleIJS8_S9_EEENSB_IJS8_SA_EEENS0_18inequality_wrapperIZN2at6native12_GLOBAL__N_124unique_dim_cuda_templateIsEESt5tupleIJNSF_6TensorESK_SK_EERKSK_lbbbEUlllE0_EEPmJS9_EEE10hipError_tPvRmT3_T4_T5_T6_T7_T9_mT8_P12ihipStream_tbDpT10_ENKUlT_T0_E_clISt17integral_constantIbLb0EES1A_EEDaS15_S16_EUlS15_E_NS1_11comp_targetILNS1_3genE2ELNS1_11target_archE906ELNS1_3gpuE6ELNS1_3repE0EEENS1_30default_config_static_selectorELNS0_4arch9wavefront6targetE0EEEvT1_: ; @_ZN7rocprim17ROCPRIM_400000_NS6detail17trampoline_kernelINS0_14default_configENS1_25partition_config_selectorILNS1_17partition_subalgoE9EllbEEZZNS1_14partition_implILS5_9ELb0ES3_jPlS8_PNS0_10empty_typeENS0_5tupleIJS8_S9_EEENSB_IJS8_SA_EEENS0_18inequality_wrapperIZN2at6native12_GLOBAL__N_124unique_dim_cuda_templateIsEESt5tupleIJNSF_6TensorESK_SK_EERKSK_lbbbEUlllE0_EEPmJS9_EEE10hipError_tPvRmT3_T4_T5_T6_T7_T9_mT8_P12ihipStream_tbDpT10_ENKUlT_T0_E_clISt17integral_constantIbLb0EES1A_EEDaS15_S16_EUlS15_E_NS1_11comp_targetILNS1_3genE2ELNS1_11target_archE906ELNS1_3gpuE6ELNS1_3repE0EEENS1_30default_config_static_selectorELNS0_4arch9wavefront6targetE0EEEvT1_
; %bb.0:
	.section	.rodata,"a",@progbits
	.p2align	6, 0x0
	.amdhsa_kernel _ZN7rocprim17ROCPRIM_400000_NS6detail17trampoline_kernelINS0_14default_configENS1_25partition_config_selectorILNS1_17partition_subalgoE9EllbEEZZNS1_14partition_implILS5_9ELb0ES3_jPlS8_PNS0_10empty_typeENS0_5tupleIJS8_S9_EEENSB_IJS8_SA_EEENS0_18inequality_wrapperIZN2at6native12_GLOBAL__N_124unique_dim_cuda_templateIsEESt5tupleIJNSF_6TensorESK_SK_EERKSK_lbbbEUlllE0_EEPmJS9_EEE10hipError_tPvRmT3_T4_T5_T6_T7_T9_mT8_P12ihipStream_tbDpT10_ENKUlT_T0_E_clISt17integral_constantIbLb0EES1A_EEDaS15_S16_EUlS15_E_NS1_11comp_targetILNS1_3genE2ELNS1_11target_archE906ELNS1_3gpuE6ELNS1_3repE0EEENS1_30default_config_static_selectorELNS0_4arch9wavefront6targetE0EEEvT1_
		.amdhsa_group_segment_fixed_size 0
		.amdhsa_private_segment_fixed_size 0
		.amdhsa_kernarg_size 120
		.amdhsa_user_sgpr_count 15
		.amdhsa_user_sgpr_dispatch_ptr 0
		.amdhsa_user_sgpr_queue_ptr 0
		.amdhsa_user_sgpr_kernarg_segment_ptr 1
		.amdhsa_user_sgpr_dispatch_id 0
		.amdhsa_user_sgpr_private_segment_size 0
		.amdhsa_wavefront_size32 1
		.amdhsa_uses_dynamic_stack 0
		.amdhsa_enable_private_segment 0
		.amdhsa_system_sgpr_workgroup_id_x 1
		.amdhsa_system_sgpr_workgroup_id_y 0
		.amdhsa_system_sgpr_workgroup_id_z 0
		.amdhsa_system_sgpr_workgroup_info 0
		.amdhsa_system_vgpr_workitem_id 0
		.amdhsa_next_free_vgpr 1
		.amdhsa_next_free_sgpr 1
		.amdhsa_reserve_vcc 0
		.amdhsa_float_round_mode_32 0
		.amdhsa_float_round_mode_16_64 0
		.amdhsa_float_denorm_mode_32 3
		.amdhsa_float_denorm_mode_16_64 3
		.amdhsa_dx10_clamp 1
		.amdhsa_ieee_mode 1
		.amdhsa_fp16_overflow 0
		.amdhsa_workgroup_processor_mode 1
		.amdhsa_memory_ordered 1
		.amdhsa_forward_progress 0
		.amdhsa_shared_vgpr_count 0
		.amdhsa_exception_fp_ieee_invalid_op 0
		.amdhsa_exception_fp_denorm_src 0
		.amdhsa_exception_fp_ieee_div_zero 0
		.amdhsa_exception_fp_ieee_overflow 0
		.amdhsa_exception_fp_ieee_underflow 0
		.amdhsa_exception_fp_ieee_inexact 0
		.amdhsa_exception_int_div_zero 0
	.end_amdhsa_kernel
	.section	.text._ZN7rocprim17ROCPRIM_400000_NS6detail17trampoline_kernelINS0_14default_configENS1_25partition_config_selectorILNS1_17partition_subalgoE9EllbEEZZNS1_14partition_implILS5_9ELb0ES3_jPlS8_PNS0_10empty_typeENS0_5tupleIJS8_S9_EEENSB_IJS8_SA_EEENS0_18inequality_wrapperIZN2at6native12_GLOBAL__N_124unique_dim_cuda_templateIsEESt5tupleIJNSF_6TensorESK_SK_EERKSK_lbbbEUlllE0_EEPmJS9_EEE10hipError_tPvRmT3_T4_T5_T6_T7_T9_mT8_P12ihipStream_tbDpT10_ENKUlT_T0_E_clISt17integral_constantIbLb0EES1A_EEDaS15_S16_EUlS15_E_NS1_11comp_targetILNS1_3genE2ELNS1_11target_archE906ELNS1_3gpuE6ELNS1_3repE0EEENS1_30default_config_static_selectorELNS0_4arch9wavefront6targetE0EEEvT1_,"axG",@progbits,_ZN7rocprim17ROCPRIM_400000_NS6detail17trampoline_kernelINS0_14default_configENS1_25partition_config_selectorILNS1_17partition_subalgoE9EllbEEZZNS1_14partition_implILS5_9ELb0ES3_jPlS8_PNS0_10empty_typeENS0_5tupleIJS8_S9_EEENSB_IJS8_SA_EEENS0_18inequality_wrapperIZN2at6native12_GLOBAL__N_124unique_dim_cuda_templateIsEESt5tupleIJNSF_6TensorESK_SK_EERKSK_lbbbEUlllE0_EEPmJS9_EEE10hipError_tPvRmT3_T4_T5_T6_T7_T9_mT8_P12ihipStream_tbDpT10_ENKUlT_T0_E_clISt17integral_constantIbLb0EES1A_EEDaS15_S16_EUlS15_E_NS1_11comp_targetILNS1_3genE2ELNS1_11target_archE906ELNS1_3gpuE6ELNS1_3repE0EEENS1_30default_config_static_selectorELNS0_4arch9wavefront6targetE0EEEvT1_,comdat
.Lfunc_end721:
	.size	_ZN7rocprim17ROCPRIM_400000_NS6detail17trampoline_kernelINS0_14default_configENS1_25partition_config_selectorILNS1_17partition_subalgoE9EllbEEZZNS1_14partition_implILS5_9ELb0ES3_jPlS8_PNS0_10empty_typeENS0_5tupleIJS8_S9_EEENSB_IJS8_SA_EEENS0_18inequality_wrapperIZN2at6native12_GLOBAL__N_124unique_dim_cuda_templateIsEESt5tupleIJNSF_6TensorESK_SK_EERKSK_lbbbEUlllE0_EEPmJS9_EEE10hipError_tPvRmT3_T4_T5_T6_T7_T9_mT8_P12ihipStream_tbDpT10_ENKUlT_T0_E_clISt17integral_constantIbLb0EES1A_EEDaS15_S16_EUlS15_E_NS1_11comp_targetILNS1_3genE2ELNS1_11target_archE906ELNS1_3gpuE6ELNS1_3repE0EEENS1_30default_config_static_selectorELNS0_4arch9wavefront6targetE0EEEvT1_, .Lfunc_end721-_ZN7rocprim17ROCPRIM_400000_NS6detail17trampoline_kernelINS0_14default_configENS1_25partition_config_selectorILNS1_17partition_subalgoE9EllbEEZZNS1_14partition_implILS5_9ELb0ES3_jPlS8_PNS0_10empty_typeENS0_5tupleIJS8_S9_EEENSB_IJS8_SA_EEENS0_18inequality_wrapperIZN2at6native12_GLOBAL__N_124unique_dim_cuda_templateIsEESt5tupleIJNSF_6TensorESK_SK_EERKSK_lbbbEUlllE0_EEPmJS9_EEE10hipError_tPvRmT3_T4_T5_T6_T7_T9_mT8_P12ihipStream_tbDpT10_ENKUlT_T0_E_clISt17integral_constantIbLb0EES1A_EEDaS15_S16_EUlS15_E_NS1_11comp_targetILNS1_3genE2ELNS1_11target_archE906ELNS1_3gpuE6ELNS1_3repE0EEENS1_30default_config_static_selectorELNS0_4arch9wavefront6targetE0EEEvT1_
                                        ; -- End function
	.section	.AMDGPU.csdata,"",@progbits
; Kernel info:
; codeLenInByte = 0
; NumSgprs: 0
; NumVgprs: 0
; ScratchSize: 0
; MemoryBound: 0
; FloatMode: 240
; IeeeMode: 1
; LDSByteSize: 0 bytes/workgroup (compile time only)
; SGPRBlocks: 0
; VGPRBlocks: 0
; NumSGPRsForWavesPerEU: 1
; NumVGPRsForWavesPerEU: 1
; Occupancy: 15
; WaveLimiterHint : 0
; COMPUTE_PGM_RSRC2:SCRATCH_EN: 0
; COMPUTE_PGM_RSRC2:USER_SGPR: 15
; COMPUTE_PGM_RSRC2:TRAP_HANDLER: 0
; COMPUTE_PGM_RSRC2:TGID_X_EN: 1
; COMPUTE_PGM_RSRC2:TGID_Y_EN: 0
; COMPUTE_PGM_RSRC2:TGID_Z_EN: 0
; COMPUTE_PGM_RSRC2:TIDIG_COMP_CNT: 0
	.section	.text._ZN7rocprim17ROCPRIM_400000_NS6detail17trampoline_kernelINS0_14default_configENS1_25partition_config_selectorILNS1_17partition_subalgoE9EllbEEZZNS1_14partition_implILS5_9ELb0ES3_jPlS8_PNS0_10empty_typeENS0_5tupleIJS8_S9_EEENSB_IJS8_SA_EEENS0_18inequality_wrapperIZN2at6native12_GLOBAL__N_124unique_dim_cuda_templateIsEESt5tupleIJNSF_6TensorESK_SK_EERKSK_lbbbEUlllE0_EEPmJS9_EEE10hipError_tPvRmT3_T4_T5_T6_T7_T9_mT8_P12ihipStream_tbDpT10_ENKUlT_T0_E_clISt17integral_constantIbLb0EES1A_EEDaS15_S16_EUlS15_E_NS1_11comp_targetILNS1_3genE10ELNS1_11target_archE1200ELNS1_3gpuE4ELNS1_3repE0EEENS1_30default_config_static_selectorELNS0_4arch9wavefront6targetE0EEEvT1_,"axG",@progbits,_ZN7rocprim17ROCPRIM_400000_NS6detail17trampoline_kernelINS0_14default_configENS1_25partition_config_selectorILNS1_17partition_subalgoE9EllbEEZZNS1_14partition_implILS5_9ELb0ES3_jPlS8_PNS0_10empty_typeENS0_5tupleIJS8_S9_EEENSB_IJS8_SA_EEENS0_18inequality_wrapperIZN2at6native12_GLOBAL__N_124unique_dim_cuda_templateIsEESt5tupleIJNSF_6TensorESK_SK_EERKSK_lbbbEUlllE0_EEPmJS9_EEE10hipError_tPvRmT3_T4_T5_T6_T7_T9_mT8_P12ihipStream_tbDpT10_ENKUlT_T0_E_clISt17integral_constantIbLb0EES1A_EEDaS15_S16_EUlS15_E_NS1_11comp_targetILNS1_3genE10ELNS1_11target_archE1200ELNS1_3gpuE4ELNS1_3repE0EEENS1_30default_config_static_selectorELNS0_4arch9wavefront6targetE0EEEvT1_,comdat
	.globl	_ZN7rocprim17ROCPRIM_400000_NS6detail17trampoline_kernelINS0_14default_configENS1_25partition_config_selectorILNS1_17partition_subalgoE9EllbEEZZNS1_14partition_implILS5_9ELb0ES3_jPlS8_PNS0_10empty_typeENS0_5tupleIJS8_S9_EEENSB_IJS8_SA_EEENS0_18inequality_wrapperIZN2at6native12_GLOBAL__N_124unique_dim_cuda_templateIsEESt5tupleIJNSF_6TensorESK_SK_EERKSK_lbbbEUlllE0_EEPmJS9_EEE10hipError_tPvRmT3_T4_T5_T6_T7_T9_mT8_P12ihipStream_tbDpT10_ENKUlT_T0_E_clISt17integral_constantIbLb0EES1A_EEDaS15_S16_EUlS15_E_NS1_11comp_targetILNS1_3genE10ELNS1_11target_archE1200ELNS1_3gpuE4ELNS1_3repE0EEENS1_30default_config_static_selectorELNS0_4arch9wavefront6targetE0EEEvT1_ ; -- Begin function _ZN7rocprim17ROCPRIM_400000_NS6detail17trampoline_kernelINS0_14default_configENS1_25partition_config_selectorILNS1_17partition_subalgoE9EllbEEZZNS1_14partition_implILS5_9ELb0ES3_jPlS8_PNS0_10empty_typeENS0_5tupleIJS8_S9_EEENSB_IJS8_SA_EEENS0_18inequality_wrapperIZN2at6native12_GLOBAL__N_124unique_dim_cuda_templateIsEESt5tupleIJNSF_6TensorESK_SK_EERKSK_lbbbEUlllE0_EEPmJS9_EEE10hipError_tPvRmT3_T4_T5_T6_T7_T9_mT8_P12ihipStream_tbDpT10_ENKUlT_T0_E_clISt17integral_constantIbLb0EES1A_EEDaS15_S16_EUlS15_E_NS1_11comp_targetILNS1_3genE10ELNS1_11target_archE1200ELNS1_3gpuE4ELNS1_3repE0EEENS1_30default_config_static_selectorELNS0_4arch9wavefront6targetE0EEEvT1_
	.p2align	8
	.type	_ZN7rocprim17ROCPRIM_400000_NS6detail17trampoline_kernelINS0_14default_configENS1_25partition_config_selectorILNS1_17partition_subalgoE9EllbEEZZNS1_14partition_implILS5_9ELb0ES3_jPlS8_PNS0_10empty_typeENS0_5tupleIJS8_S9_EEENSB_IJS8_SA_EEENS0_18inequality_wrapperIZN2at6native12_GLOBAL__N_124unique_dim_cuda_templateIsEESt5tupleIJNSF_6TensorESK_SK_EERKSK_lbbbEUlllE0_EEPmJS9_EEE10hipError_tPvRmT3_T4_T5_T6_T7_T9_mT8_P12ihipStream_tbDpT10_ENKUlT_T0_E_clISt17integral_constantIbLb0EES1A_EEDaS15_S16_EUlS15_E_NS1_11comp_targetILNS1_3genE10ELNS1_11target_archE1200ELNS1_3gpuE4ELNS1_3repE0EEENS1_30default_config_static_selectorELNS0_4arch9wavefront6targetE0EEEvT1_,@function
_ZN7rocprim17ROCPRIM_400000_NS6detail17trampoline_kernelINS0_14default_configENS1_25partition_config_selectorILNS1_17partition_subalgoE9EllbEEZZNS1_14partition_implILS5_9ELb0ES3_jPlS8_PNS0_10empty_typeENS0_5tupleIJS8_S9_EEENSB_IJS8_SA_EEENS0_18inequality_wrapperIZN2at6native12_GLOBAL__N_124unique_dim_cuda_templateIsEESt5tupleIJNSF_6TensorESK_SK_EERKSK_lbbbEUlllE0_EEPmJS9_EEE10hipError_tPvRmT3_T4_T5_T6_T7_T9_mT8_P12ihipStream_tbDpT10_ENKUlT_T0_E_clISt17integral_constantIbLb0EES1A_EEDaS15_S16_EUlS15_E_NS1_11comp_targetILNS1_3genE10ELNS1_11target_archE1200ELNS1_3gpuE4ELNS1_3repE0EEENS1_30default_config_static_selectorELNS0_4arch9wavefront6targetE0EEEvT1_: ; @_ZN7rocprim17ROCPRIM_400000_NS6detail17trampoline_kernelINS0_14default_configENS1_25partition_config_selectorILNS1_17partition_subalgoE9EllbEEZZNS1_14partition_implILS5_9ELb0ES3_jPlS8_PNS0_10empty_typeENS0_5tupleIJS8_S9_EEENSB_IJS8_SA_EEENS0_18inequality_wrapperIZN2at6native12_GLOBAL__N_124unique_dim_cuda_templateIsEESt5tupleIJNSF_6TensorESK_SK_EERKSK_lbbbEUlllE0_EEPmJS9_EEE10hipError_tPvRmT3_T4_T5_T6_T7_T9_mT8_P12ihipStream_tbDpT10_ENKUlT_T0_E_clISt17integral_constantIbLb0EES1A_EEDaS15_S16_EUlS15_E_NS1_11comp_targetILNS1_3genE10ELNS1_11target_archE1200ELNS1_3gpuE4ELNS1_3repE0EEENS1_30default_config_static_selectorELNS0_4arch9wavefront6targetE0EEEvT1_
; %bb.0:
	.section	.rodata,"a",@progbits
	.p2align	6, 0x0
	.amdhsa_kernel _ZN7rocprim17ROCPRIM_400000_NS6detail17trampoline_kernelINS0_14default_configENS1_25partition_config_selectorILNS1_17partition_subalgoE9EllbEEZZNS1_14partition_implILS5_9ELb0ES3_jPlS8_PNS0_10empty_typeENS0_5tupleIJS8_S9_EEENSB_IJS8_SA_EEENS0_18inequality_wrapperIZN2at6native12_GLOBAL__N_124unique_dim_cuda_templateIsEESt5tupleIJNSF_6TensorESK_SK_EERKSK_lbbbEUlllE0_EEPmJS9_EEE10hipError_tPvRmT3_T4_T5_T6_T7_T9_mT8_P12ihipStream_tbDpT10_ENKUlT_T0_E_clISt17integral_constantIbLb0EES1A_EEDaS15_S16_EUlS15_E_NS1_11comp_targetILNS1_3genE10ELNS1_11target_archE1200ELNS1_3gpuE4ELNS1_3repE0EEENS1_30default_config_static_selectorELNS0_4arch9wavefront6targetE0EEEvT1_
		.amdhsa_group_segment_fixed_size 0
		.amdhsa_private_segment_fixed_size 0
		.amdhsa_kernarg_size 120
		.amdhsa_user_sgpr_count 15
		.amdhsa_user_sgpr_dispatch_ptr 0
		.amdhsa_user_sgpr_queue_ptr 0
		.amdhsa_user_sgpr_kernarg_segment_ptr 1
		.amdhsa_user_sgpr_dispatch_id 0
		.amdhsa_user_sgpr_private_segment_size 0
		.amdhsa_wavefront_size32 1
		.amdhsa_uses_dynamic_stack 0
		.amdhsa_enable_private_segment 0
		.amdhsa_system_sgpr_workgroup_id_x 1
		.amdhsa_system_sgpr_workgroup_id_y 0
		.amdhsa_system_sgpr_workgroup_id_z 0
		.amdhsa_system_sgpr_workgroup_info 0
		.amdhsa_system_vgpr_workitem_id 0
		.amdhsa_next_free_vgpr 1
		.amdhsa_next_free_sgpr 1
		.amdhsa_reserve_vcc 0
		.amdhsa_float_round_mode_32 0
		.amdhsa_float_round_mode_16_64 0
		.amdhsa_float_denorm_mode_32 3
		.amdhsa_float_denorm_mode_16_64 3
		.amdhsa_dx10_clamp 1
		.amdhsa_ieee_mode 1
		.amdhsa_fp16_overflow 0
		.amdhsa_workgroup_processor_mode 1
		.amdhsa_memory_ordered 1
		.amdhsa_forward_progress 0
		.amdhsa_shared_vgpr_count 0
		.amdhsa_exception_fp_ieee_invalid_op 0
		.amdhsa_exception_fp_denorm_src 0
		.amdhsa_exception_fp_ieee_div_zero 0
		.amdhsa_exception_fp_ieee_overflow 0
		.amdhsa_exception_fp_ieee_underflow 0
		.amdhsa_exception_fp_ieee_inexact 0
		.amdhsa_exception_int_div_zero 0
	.end_amdhsa_kernel
	.section	.text._ZN7rocprim17ROCPRIM_400000_NS6detail17trampoline_kernelINS0_14default_configENS1_25partition_config_selectorILNS1_17partition_subalgoE9EllbEEZZNS1_14partition_implILS5_9ELb0ES3_jPlS8_PNS0_10empty_typeENS0_5tupleIJS8_S9_EEENSB_IJS8_SA_EEENS0_18inequality_wrapperIZN2at6native12_GLOBAL__N_124unique_dim_cuda_templateIsEESt5tupleIJNSF_6TensorESK_SK_EERKSK_lbbbEUlllE0_EEPmJS9_EEE10hipError_tPvRmT3_T4_T5_T6_T7_T9_mT8_P12ihipStream_tbDpT10_ENKUlT_T0_E_clISt17integral_constantIbLb0EES1A_EEDaS15_S16_EUlS15_E_NS1_11comp_targetILNS1_3genE10ELNS1_11target_archE1200ELNS1_3gpuE4ELNS1_3repE0EEENS1_30default_config_static_selectorELNS0_4arch9wavefront6targetE0EEEvT1_,"axG",@progbits,_ZN7rocprim17ROCPRIM_400000_NS6detail17trampoline_kernelINS0_14default_configENS1_25partition_config_selectorILNS1_17partition_subalgoE9EllbEEZZNS1_14partition_implILS5_9ELb0ES3_jPlS8_PNS0_10empty_typeENS0_5tupleIJS8_S9_EEENSB_IJS8_SA_EEENS0_18inequality_wrapperIZN2at6native12_GLOBAL__N_124unique_dim_cuda_templateIsEESt5tupleIJNSF_6TensorESK_SK_EERKSK_lbbbEUlllE0_EEPmJS9_EEE10hipError_tPvRmT3_T4_T5_T6_T7_T9_mT8_P12ihipStream_tbDpT10_ENKUlT_T0_E_clISt17integral_constantIbLb0EES1A_EEDaS15_S16_EUlS15_E_NS1_11comp_targetILNS1_3genE10ELNS1_11target_archE1200ELNS1_3gpuE4ELNS1_3repE0EEENS1_30default_config_static_selectorELNS0_4arch9wavefront6targetE0EEEvT1_,comdat
.Lfunc_end722:
	.size	_ZN7rocprim17ROCPRIM_400000_NS6detail17trampoline_kernelINS0_14default_configENS1_25partition_config_selectorILNS1_17partition_subalgoE9EllbEEZZNS1_14partition_implILS5_9ELb0ES3_jPlS8_PNS0_10empty_typeENS0_5tupleIJS8_S9_EEENSB_IJS8_SA_EEENS0_18inequality_wrapperIZN2at6native12_GLOBAL__N_124unique_dim_cuda_templateIsEESt5tupleIJNSF_6TensorESK_SK_EERKSK_lbbbEUlllE0_EEPmJS9_EEE10hipError_tPvRmT3_T4_T5_T6_T7_T9_mT8_P12ihipStream_tbDpT10_ENKUlT_T0_E_clISt17integral_constantIbLb0EES1A_EEDaS15_S16_EUlS15_E_NS1_11comp_targetILNS1_3genE10ELNS1_11target_archE1200ELNS1_3gpuE4ELNS1_3repE0EEENS1_30default_config_static_selectorELNS0_4arch9wavefront6targetE0EEEvT1_, .Lfunc_end722-_ZN7rocprim17ROCPRIM_400000_NS6detail17trampoline_kernelINS0_14default_configENS1_25partition_config_selectorILNS1_17partition_subalgoE9EllbEEZZNS1_14partition_implILS5_9ELb0ES3_jPlS8_PNS0_10empty_typeENS0_5tupleIJS8_S9_EEENSB_IJS8_SA_EEENS0_18inequality_wrapperIZN2at6native12_GLOBAL__N_124unique_dim_cuda_templateIsEESt5tupleIJNSF_6TensorESK_SK_EERKSK_lbbbEUlllE0_EEPmJS9_EEE10hipError_tPvRmT3_T4_T5_T6_T7_T9_mT8_P12ihipStream_tbDpT10_ENKUlT_T0_E_clISt17integral_constantIbLb0EES1A_EEDaS15_S16_EUlS15_E_NS1_11comp_targetILNS1_3genE10ELNS1_11target_archE1200ELNS1_3gpuE4ELNS1_3repE0EEENS1_30default_config_static_selectorELNS0_4arch9wavefront6targetE0EEEvT1_
                                        ; -- End function
	.section	.AMDGPU.csdata,"",@progbits
; Kernel info:
; codeLenInByte = 0
; NumSgprs: 0
; NumVgprs: 0
; ScratchSize: 0
; MemoryBound: 0
; FloatMode: 240
; IeeeMode: 1
; LDSByteSize: 0 bytes/workgroup (compile time only)
; SGPRBlocks: 0
; VGPRBlocks: 0
; NumSGPRsForWavesPerEU: 1
; NumVGPRsForWavesPerEU: 1
; Occupancy: 15
; WaveLimiterHint : 0
; COMPUTE_PGM_RSRC2:SCRATCH_EN: 0
; COMPUTE_PGM_RSRC2:USER_SGPR: 15
; COMPUTE_PGM_RSRC2:TRAP_HANDLER: 0
; COMPUTE_PGM_RSRC2:TGID_X_EN: 1
; COMPUTE_PGM_RSRC2:TGID_Y_EN: 0
; COMPUTE_PGM_RSRC2:TGID_Z_EN: 0
; COMPUTE_PGM_RSRC2:TIDIG_COMP_CNT: 0
	.section	.text._ZN7rocprim17ROCPRIM_400000_NS6detail17trampoline_kernelINS0_14default_configENS1_25partition_config_selectorILNS1_17partition_subalgoE9EllbEEZZNS1_14partition_implILS5_9ELb0ES3_jPlS8_PNS0_10empty_typeENS0_5tupleIJS8_S9_EEENSB_IJS8_SA_EEENS0_18inequality_wrapperIZN2at6native12_GLOBAL__N_124unique_dim_cuda_templateIsEESt5tupleIJNSF_6TensorESK_SK_EERKSK_lbbbEUlllE0_EEPmJS9_EEE10hipError_tPvRmT3_T4_T5_T6_T7_T9_mT8_P12ihipStream_tbDpT10_ENKUlT_T0_E_clISt17integral_constantIbLb0EES1A_EEDaS15_S16_EUlS15_E_NS1_11comp_targetILNS1_3genE9ELNS1_11target_archE1100ELNS1_3gpuE3ELNS1_3repE0EEENS1_30default_config_static_selectorELNS0_4arch9wavefront6targetE0EEEvT1_,"axG",@progbits,_ZN7rocprim17ROCPRIM_400000_NS6detail17trampoline_kernelINS0_14default_configENS1_25partition_config_selectorILNS1_17partition_subalgoE9EllbEEZZNS1_14partition_implILS5_9ELb0ES3_jPlS8_PNS0_10empty_typeENS0_5tupleIJS8_S9_EEENSB_IJS8_SA_EEENS0_18inequality_wrapperIZN2at6native12_GLOBAL__N_124unique_dim_cuda_templateIsEESt5tupleIJNSF_6TensorESK_SK_EERKSK_lbbbEUlllE0_EEPmJS9_EEE10hipError_tPvRmT3_T4_T5_T6_T7_T9_mT8_P12ihipStream_tbDpT10_ENKUlT_T0_E_clISt17integral_constantIbLb0EES1A_EEDaS15_S16_EUlS15_E_NS1_11comp_targetILNS1_3genE9ELNS1_11target_archE1100ELNS1_3gpuE3ELNS1_3repE0EEENS1_30default_config_static_selectorELNS0_4arch9wavefront6targetE0EEEvT1_,comdat
	.globl	_ZN7rocprim17ROCPRIM_400000_NS6detail17trampoline_kernelINS0_14default_configENS1_25partition_config_selectorILNS1_17partition_subalgoE9EllbEEZZNS1_14partition_implILS5_9ELb0ES3_jPlS8_PNS0_10empty_typeENS0_5tupleIJS8_S9_EEENSB_IJS8_SA_EEENS0_18inequality_wrapperIZN2at6native12_GLOBAL__N_124unique_dim_cuda_templateIsEESt5tupleIJNSF_6TensorESK_SK_EERKSK_lbbbEUlllE0_EEPmJS9_EEE10hipError_tPvRmT3_T4_T5_T6_T7_T9_mT8_P12ihipStream_tbDpT10_ENKUlT_T0_E_clISt17integral_constantIbLb0EES1A_EEDaS15_S16_EUlS15_E_NS1_11comp_targetILNS1_3genE9ELNS1_11target_archE1100ELNS1_3gpuE3ELNS1_3repE0EEENS1_30default_config_static_selectorELNS0_4arch9wavefront6targetE0EEEvT1_ ; -- Begin function _ZN7rocprim17ROCPRIM_400000_NS6detail17trampoline_kernelINS0_14default_configENS1_25partition_config_selectorILNS1_17partition_subalgoE9EllbEEZZNS1_14partition_implILS5_9ELb0ES3_jPlS8_PNS0_10empty_typeENS0_5tupleIJS8_S9_EEENSB_IJS8_SA_EEENS0_18inequality_wrapperIZN2at6native12_GLOBAL__N_124unique_dim_cuda_templateIsEESt5tupleIJNSF_6TensorESK_SK_EERKSK_lbbbEUlllE0_EEPmJS9_EEE10hipError_tPvRmT3_T4_T5_T6_T7_T9_mT8_P12ihipStream_tbDpT10_ENKUlT_T0_E_clISt17integral_constantIbLb0EES1A_EEDaS15_S16_EUlS15_E_NS1_11comp_targetILNS1_3genE9ELNS1_11target_archE1100ELNS1_3gpuE3ELNS1_3repE0EEENS1_30default_config_static_selectorELNS0_4arch9wavefront6targetE0EEEvT1_
	.p2align	8
	.type	_ZN7rocprim17ROCPRIM_400000_NS6detail17trampoline_kernelINS0_14default_configENS1_25partition_config_selectorILNS1_17partition_subalgoE9EllbEEZZNS1_14partition_implILS5_9ELb0ES3_jPlS8_PNS0_10empty_typeENS0_5tupleIJS8_S9_EEENSB_IJS8_SA_EEENS0_18inequality_wrapperIZN2at6native12_GLOBAL__N_124unique_dim_cuda_templateIsEESt5tupleIJNSF_6TensorESK_SK_EERKSK_lbbbEUlllE0_EEPmJS9_EEE10hipError_tPvRmT3_T4_T5_T6_T7_T9_mT8_P12ihipStream_tbDpT10_ENKUlT_T0_E_clISt17integral_constantIbLb0EES1A_EEDaS15_S16_EUlS15_E_NS1_11comp_targetILNS1_3genE9ELNS1_11target_archE1100ELNS1_3gpuE3ELNS1_3repE0EEENS1_30default_config_static_selectorELNS0_4arch9wavefront6targetE0EEEvT1_,@function
_ZN7rocprim17ROCPRIM_400000_NS6detail17trampoline_kernelINS0_14default_configENS1_25partition_config_selectorILNS1_17partition_subalgoE9EllbEEZZNS1_14partition_implILS5_9ELb0ES3_jPlS8_PNS0_10empty_typeENS0_5tupleIJS8_S9_EEENSB_IJS8_SA_EEENS0_18inequality_wrapperIZN2at6native12_GLOBAL__N_124unique_dim_cuda_templateIsEESt5tupleIJNSF_6TensorESK_SK_EERKSK_lbbbEUlllE0_EEPmJS9_EEE10hipError_tPvRmT3_T4_T5_T6_T7_T9_mT8_P12ihipStream_tbDpT10_ENKUlT_T0_E_clISt17integral_constantIbLb0EES1A_EEDaS15_S16_EUlS15_E_NS1_11comp_targetILNS1_3genE9ELNS1_11target_archE1100ELNS1_3gpuE3ELNS1_3repE0EEENS1_30default_config_static_selectorELNS0_4arch9wavefront6targetE0EEEvT1_: ; @_ZN7rocprim17ROCPRIM_400000_NS6detail17trampoline_kernelINS0_14default_configENS1_25partition_config_selectorILNS1_17partition_subalgoE9EllbEEZZNS1_14partition_implILS5_9ELb0ES3_jPlS8_PNS0_10empty_typeENS0_5tupleIJS8_S9_EEENSB_IJS8_SA_EEENS0_18inequality_wrapperIZN2at6native12_GLOBAL__N_124unique_dim_cuda_templateIsEESt5tupleIJNSF_6TensorESK_SK_EERKSK_lbbbEUlllE0_EEPmJS9_EEE10hipError_tPvRmT3_T4_T5_T6_T7_T9_mT8_P12ihipStream_tbDpT10_ENKUlT_T0_E_clISt17integral_constantIbLb0EES1A_EEDaS15_S16_EUlS15_E_NS1_11comp_targetILNS1_3genE9ELNS1_11target_archE1100ELNS1_3gpuE3ELNS1_3repE0EEENS1_30default_config_static_selectorELNS0_4arch9wavefront6targetE0EEEvT1_
; %bb.0:
	s_clause 0x3
	s_load_b128 s[4:7], s[0:1], 0x8
	s_load_b32 s8, s[0:1], 0x70
	s_load_b256 s[16:23], s[0:1], 0x40
	s_load_b64 s[24:25], s[0:1], 0x18
	s_mov_b32 s3, 0
	v_lshlrev_b32_e32 v55, 3, v0
	v_lshrrev_b32_e32 v33, 2, v0
	v_or_b32_e32 v38, 0x200, v0
	v_or_b32_e32 v36, 0x400, v0
	;; [unrolled: 1-line block ×7, first 2 shown]
	s_waitcnt lgkmcnt(0)
	s_lshl_b64 s[26:27], s[6:7], 3
	s_delay_alu instid0(SALU_CYCLE_1)
	s_add_u32 s9, s4, s26
	s_addc_u32 s10, s5, s27
	s_add_i32 s11, s8, -1
	s_load_b64 s[12:13], s[18:19], 0x0
	s_lshl_b32 s4, s11, 12
	s_lshl_b32 s5, s8, 12
	s_add_i32 s4, s6, s4
	s_lshl_b32 s2, s15, 12
	s_sub_i32 s28, s20, s4
	s_add_u32 s4, s6, s5
	s_addc_u32 s5, s7, 0
	s_cmp_eq_u32 s15, s11
	v_cmp_ge_u64_e64 s4, s[4:5], s[20:21]
	s_cselect_b32 s14, -1, 0
	s_lshl_b64 s[18:19], s[2:3], 3
	s_mov_b32 s3, -1
	s_delay_alu instid0(VALU_DEP_1) | instskip(NEXT) | instid1(SALU_CYCLE_1)
	s_and_b32 s21, s14, s4
	s_xor_b32 s20, s21, -1
	s_add_u32 s4, s9, s18
	s_addc_u32 s5, s10, s19
	s_and_b32 vcc_lo, exec_lo, s20
	s_cbranch_vccz .LBB723_2
; %bb.1:
	v_add_co_u32 v9, s2, s4, v55
	s_delay_alu instid0(VALU_DEP_1)
	v_add_co_ci_u32_e64 v10, null, s5, 0, s2
	global_load_b64 v[1:2], v55, s[4:5]
	v_add_co_u32 v3, vcc_lo, v9, 0x2000
	v_add_co_ci_u32_e32 v4, vcc_lo, 0, v10, vcc_lo
	v_add_co_u32 v5, vcc_lo, v9, 0x4000
	v_add_co_ci_u32_e32 v6, vcc_lo, 0, v10, vcc_lo
	;; [unrolled: 2-line block ×4, first 2 shown]
	s_clause 0x6
	global_load_b64 v[11:12], v[3:4], off offset:-4096
	global_load_b64 v[3:4], v[3:4], off
	global_load_b64 v[13:14], v[5:6], off offset:-4096
	global_load_b64 v[5:6], v[5:6], off
	global_load_b64 v[15:16], v[7:8], off offset:-4096
	global_load_b64 v[7:8], v[7:8], off
	global_load_b64 v[9:10], v[9:10], off
	v_lshrrev_b32_e32 v18, 2, v38
	v_lshrrev_b32_e32 v19, 2, v36
	;; [unrolled: 1-line block ×4, first 2 shown]
	v_and_b32_e32 v17, 0x78, v33
	v_lshrrev_b32_e32 v22, 2, v37
	v_lshrrev_b32_e32 v23, 2, v34
	;; [unrolled: 1-line block ×3, first 2 shown]
	v_and_b32_e32 v18, 0xf8, v18
	v_and_b32_e32 v19, 0x178, v19
	;; [unrolled: 1-line block ×4, first 2 shown]
	v_add_nc_u32_e32 v17, v17, v55
	v_and_b32_e32 v22, 0x2f8, v22
	v_and_b32_e32 v23, 0x378, v23
	;; [unrolled: 1-line block ×3, first 2 shown]
	v_add_nc_u32_e32 v18, v18, v55
	v_add_nc_u32_e32 v19, v19, v55
	;; [unrolled: 1-line block ×4, first 2 shown]
	s_mov_b32 s3, 0
	v_add_nc_u32_e32 v22, v22, v55
	v_add_nc_u32_e32 v23, v23, v55
	;; [unrolled: 1-line block ×3, first 2 shown]
	s_waitcnt vmcnt(7)
	ds_store_b64 v17, v[1:2]
	s_waitcnt vmcnt(6)
	ds_store_b64 v18, v[11:12] offset:4096
	s_waitcnt vmcnt(5)
	ds_store_b64 v19, v[3:4] offset:8192
	;; [unrolled: 2-line block ×7, first 2 shown]
	s_waitcnt lgkmcnt(0)
	s_barrier
.LBB723_2:
	s_load_b128 s[8:11], s[0:1], 0x60
	v_cmp_gt_u32_e64 s2, s28, v0
	s_and_not1_b32 vcc_lo, exec_lo, s3
	s_cbranch_vccnz .LBB723_20
; %bb.3:
                                        ; implicit-def: $vgpr1_vgpr2_vgpr3_vgpr4_vgpr5_vgpr6_vgpr7_vgpr8_vgpr9_vgpr10_vgpr11_vgpr12_vgpr13_vgpr14_vgpr15_vgpr16
	s_delay_alu instid0(VALU_DEP_1)
	s_and_saveexec_b32 s3, s2
	s_cbranch_execz .LBB723_11
; %bb.4:
	global_load_b64 v[1:2], v55, s[4:5]
	s_or_b32 exec_lo, exec_lo, s3
	s_delay_alu instid0(SALU_CYCLE_1)
	s_mov_b32 s2, exec_lo
	v_cmpx_gt_u32_e64 s28, v38
	s_cbranch_execnz .LBB723_12
.LBB723_5:
	s_or_b32 exec_lo, exec_lo, s2
	s_delay_alu instid0(SALU_CYCLE_1)
	s_mov_b32 s2, exec_lo
	v_cmpx_gt_u32_e64 s28, v36
	s_cbranch_execz .LBB723_13
.LBB723_6:
	v_lshlrev_b32_e32 v5, 3, v36
	global_load_b64 v[5:6], v5, s[4:5]
	s_or_b32 exec_lo, exec_lo, s2
	s_delay_alu instid0(SALU_CYCLE_1)
	s_mov_b32 s2, exec_lo
	v_cmpx_gt_u32_e64 s28, v40
	s_cbranch_execnz .LBB723_14
.LBB723_7:
	s_or_b32 exec_lo, exec_lo, s2
	s_delay_alu instid0(SALU_CYCLE_1)
	s_mov_b32 s2, exec_lo
	v_cmpx_gt_u32_e64 s28, v39
	s_cbranch_execz .LBB723_15
.LBB723_8:
	v_lshlrev_b32_e32 v9, 3, v39
	global_load_b64 v[9:10], v9, s[4:5]
	s_or_b32 exec_lo, exec_lo, s2
	s_delay_alu instid0(SALU_CYCLE_1)
	s_mov_b32 s2, exec_lo
	v_cmpx_gt_u32_e64 s28, v37
	s_cbranch_execnz .LBB723_16
.LBB723_9:
	s_or_b32 exec_lo, exec_lo, s2
	s_delay_alu instid0(SALU_CYCLE_1)
	s_mov_b32 s2, exec_lo
	v_cmpx_gt_u32_e64 s28, v34
	s_cbranch_execz .LBB723_17
.LBB723_10:
	v_lshlrev_b32_e32 v13, 3, v34
	global_load_b64 v[13:14], v13, s[4:5]
	s_or_b32 exec_lo, exec_lo, s2
	s_delay_alu instid0(SALU_CYCLE_1)
	s_mov_b32 s2, exec_lo
	v_cmpx_gt_u32_e64 s28, v35
	s_cbranch_execnz .LBB723_18
	s_branch .LBB723_19
.LBB723_11:
	s_or_b32 exec_lo, exec_lo, s3
	s_delay_alu instid0(SALU_CYCLE_1)
	s_mov_b32 s2, exec_lo
	v_cmpx_gt_u32_e64 s28, v38
	s_cbranch_execz .LBB723_5
.LBB723_12:
	v_lshlrev_b32_e32 v3, 3, v38
	global_load_b64 v[3:4], v3, s[4:5]
	s_or_b32 exec_lo, exec_lo, s2
	s_delay_alu instid0(SALU_CYCLE_1)
	s_mov_b32 s2, exec_lo
	v_cmpx_gt_u32_e64 s28, v36
	s_cbranch_execnz .LBB723_6
.LBB723_13:
	s_or_b32 exec_lo, exec_lo, s2
	s_delay_alu instid0(SALU_CYCLE_1)
	s_mov_b32 s2, exec_lo
	v_cmpx_gt_u32_e64 s28, v40
	s_cbranch_execz .LBB723_7
.LBB723_14:
	v_lshlrev_b32_e32 v7, 3, v40
	global_load_b64 v[7:8], v7, s[4:5]
	s_or_b32 exec_lo, exec_lo, s2
	s_delay_alu instid0(SALU_CYCLE_1)
	s_mov_b32 s2, exec_lo
	v_cmpx_gt_u32_e64 s28, v39
	s_cbranch_execnz .LBB723_8
.LBB723_15:
	s_or_b32 exec_lo, exec_lo, s2
	s_delay_alu instid0(SALU_CYCLE_1)
	s_mov_b32 s2, exec_lo
	v_cmpx_gt_u32_e64 s28, v37
	s_cbranch_execz .LBB723_9
.LBB723_16:
	v_lshlrev_b32_e32 v11, 3, v37
	global_load_b64 v[11:12], v11, s[4:5]
	s_or_b32 exec_lo, exec_lo, s2
	s_delay_alu instid0(SALU_CYCLE_1)
	s_mov_b32 s2, exec_lo
	v_cmpx_gt_u32_e64 s28, v34
	s_cbranch_execnz .LBB723_10
.LBB723_17:
	s_or_b32 exec_lo, exec_lo, s2
	s_delay_alu instid0(SALU_CYCLE_1)
	s_mov_b32 s2, exec_lo
	v_cmpx_gt_u32_e64 s28, v35
	s_cbranch_execz .LBB723_19
.LBB723_18:
	v_lshlrev_b32_e32 v15, 3, v35
	global_load_b64 v[15:16], v15, s[4:5]
.LBB723_19:
	s_or_b32 exec_lo, exec_lo, s2
	v_lshrrev_b32_e32 v17, 2, v38
	v_lshrrev_b32_e32 v18, 2, v36
	;; [unrolled: 1-line block ×4, first 2 shown]
	v_and_b32_e32 v19, 0x78, v33
	v_lshrrev_b32_e32 v22, 2, v37
	v_lshrrev_b32_e32 v23, 2, v34
	;; [unrolled: 1-line block ×3, first 2 shown]
	v_and_b32_e32 v17, 0xf8, v17
	v_and_b32_e32 v18, 0x1f8, v18
	;; [unrolled: 1-line block ×4, first 2 shown]
	v_add_nc_u32_e32 v19, v19, v55
	v_and_b32_e32 v22, 0x3f8, v22
	v_and_b32_e32 v23, 0x3f8, v23
	v_and_b32_e32 v24, 0x3f8, v24
	v_add_nc_u32_e32 v17, v17, v55
	v_add_nc_u32_e32 v18, v18, v55
	;; [unrolled: 1-line block ×7, first 2 shown]
	s_waitcnt vmcnt(0)
	ds_store_b64 v19, v[1:2]
	ds_store_b64 v17, v[3:4] offset:4096
	ds_store_b64 v18, v[5:6] offset:8192
	;; [unrolled: 1-line block ×7, first 2 shown]
	s_waitcnt lgkmcnt(0)
	s_barrier
.LBB723_20:
	v_add_lshl_u32 v41, v33, v55, 3
	s_waitcnt lgkmcnt(0)
	buffer_gl0_inv
	s_add_u32 s2, s24, s26
	s_addc_u32 s3, s25, s27
	s_add_u32 s2, s2, s18
	ds_load_2addr_b64 v[29:32], v41 offset1:1
	ds_load_2addr_b64 v[25:28], v41 offset0:2 offset1:3
	ds_load_2addr_b64 v[21:24], v41 offset0:4 offset1:5
	;; [unrolled: 1-line block ×3, first 2 shown]
	s_addc_u32 s3, s3, s19
	s_and_b32 vcc_lo, exec_lo, s20
	s_mov_b32 s18, -1
	s_waitcnt lgkmcnt(0)
	s_barrier
	buffer_gl0_inv
	s_cbranch_vccz .LBB723_22
; %bb.21:
	v_add_co_u32 v9, s18, s2, v55
	s_delay_alu instid0(VALU_DEP_1)
	v_add_co_ci_u32_e64 v10, null, s3, 0, s18
	global_load_b64 v[1:2], v55, s[2:3]
	v_add_co_u32 v3, vcc_lo, v9, 0x2000
	v_add_co_ci_u32_e32 v4, vcc_lo, 0, v10, vcc_lo
	v_add_co_u32 v5, vcc_lo, v9, 0x4000
	v_add_co_ci_u32_e32 v6, vcc_lo, 0, v10, vcc_lo
	;; [unrolled: 2-line block ×4, first 2 shown]
	s_clause 0x6
	global_load_b64 v[11:12], v[3:4], off offset:-4096
	global_load_b64 v[3:4], v[3:4], off
	global_load_b64 v[13:14], v[5:6], off offset:-4096
	global_load_b64 v[5:6], v[5:6], off
	;; [unrolled: 2-line block ×3, first 2 shown]
	global_load_b64 v[9:10], v[9:10], off
	v_lshrrev_b32_e32 v43, 2, v38
	v_lshrrev_b32_e32 v44, 2, v36
	;; [unrolled: 1-line block ×4, first 2 shown]
	v_and_b32_e32 v42, 0x78, v33
	v_lshrrev_b32_e32 v47, 2, v37
	v_lshrrev_b32_e32 v48, 2, v34
	;; [unrolled: 1-line block ×3, first 2 shown]
	v_and_b32_e32 v43, 0xf8, v43
	v_and_b32_e32 v44, 0x178, v44
	;; [unrolled: 1-line block ×4, first 2 shown]
	v_add_nc_u32_e32 v42, v42, v55
	v_and_b32_e32 v47, 0x2f8, v47
	v_and_b32_e32 v48, 0x378, v48
	;; [unrolled: 1-line block ×3, first 2 shown]
	v_add_nc_u32_e32 v43, v43, v55
	v_add_nc_u32_e32 v44, v44, v55
	;; [unrolled: 1-line block ×4, first 2 shown]
	s_mov_b32 s18, 0
	v_add_nc_u32_e32 v47, v47, v55
	v_add_nc_u32_e32 v48, v48, v55
	;; [unrolled: 1-line block ×3, first 2 shown]
	s_waitcnt vmcnt(7)
	ds_store_b64 v42, v[1:2]
	s_waitcnt vmcnt(6)
	ds_store_b64 v43, v[11:12] offset:4096
	s_waitcnt vmcnt(5)
	ds_store_b64 v44, v[3:4] offset:8192
	;; [unrolled: 2-line block ×7, first 2 shown]
	s_waitcnt lgkmcnt(0)
	s_barrier
.LBB723_22:
	s_and_not1_b32 vcc_lo, exec_lo, s18
	s_cbranch_vccnz .LBB723_40
; %bb.23:
	s_mov_b32 s18, exec_lo
                                        ; implicit-def: $vgpr1_vgpr2
	v_cmpx_gt_u32_e64 s28, v0
	s_cbranch_execz .LBB723_25
; %bb.24:
	global_load_b64 v[1:2], v55, s[2:3]
.LBB723_25:
	s_or_b32 exec_lo, exec_lo, s18
	s_delay_alu instid0(SALU_CYCLE_1)
	s_mov_b32 s18, exec_lo
                                        ; implicit-def: $vgpr3_vgpr4
	v_cmpx_gt_u32_e64 s28, v38
	s_cbranch_execz .LBB723_27
; %bb.26:
	v_lshlrev_b32_e32 v3, 3, v38
	global_load_b64 v[3:4], v3, s[2:3]
.LBB723_27:
	s_or_b32 exec_lo, exec_lo, s18
	s_delay_alu instid0(SALU_CYCLE_1)
	s_mov_b32 s18, exec_lo
                                        ; implicit-def: $vgpr5_vgpr6
	v_cmpx_gt_u32_e64 s28, v36
	s_cbranch_execz .LBB723_29
; %bb.28:
	v_lshlrev_b32_e32 v5, 3, v36
	global_load_b64 v[5:6], v5, s[2:3]
.LBB723_29:
	s_or_b32 exec_lo, exec_lo, s18
	s_delay_alu instid0(SALU_CYCLE_1)
	s_mov_b32 s18, exec_lo
                                        ; implicit-def: $vgpr7_vgpr8
	v_cmpx_gt_u32_e64 s28, v40
	s_cbranch_execz .LBB723_31
; %bb.30:
	v_lshlrev_b32_e32 v7, 3, v40
	global_load_b64 v[7:8], v7, s[2:3]
.LBB723_31:
	s_or_b32 exec_lo, exec_lo, s18
	s_delay_alu instid0(SALU_CYCLE_1)
	s_mov_b32 s18, exec_lo
                                        ; implicit-def: $vgpr9_vgpr10
	v_cmpx_gt_u32_e64 s28, v39
	s_cbranch_execz .LBB723_33
; %bb.32:
	v_lshlrev_b32_e32 v9, 3, v39
	global_load_b64 v[9:10], v9, s[2:3]
.LBB723_33:
	s_or_b32 exec_lo, exec_lo, s18
	s_delay_alu instid0(SALU_CYCLE_1)
	s_mov_b32 s18, exec_lo
                                        ; implicit-def: $vgpr11_vgpr12
	v_cmpx_gt_u32_e64 s28, v37
	s_cbranch_execz .LBB723_35
; %bb.34:
	v_lshlrev_b32_e32 v11, 3, v37
	global_load_b64 v[11:12], v11, s[2:3]
.LBB723_35:
	s_or_b32 exec_lo, exec_lo, s18
	s_delay_alu instid0(SALU_CYCLE_1)
	s_mov_b32 s18, exec_lo
                                        ; implicit-def: $vgpr13_vgpr14
	v_cmpx_gt_u32_e64 s28, v34
	s_cbranch_execz .LBB723_37
; %bb.36:
	v_lshlrev_b32_e32 v13, 3, v34
	global_load_b64 v[13:14], v13, s[2:3]
.LBB723_37:
	s_or_b32 exec_lo, exec_lo, s18
	s_delay_alu instid0(SALU_CYCLE_1)
	s_mov_b32 s18, exec_lo
                                        ; implicit-def: $vgpr15_vgpr16
	v_cmpx_gt_u32_e64 s28, v35
	s_cbranch_execz .LBB723_39
; %bb.38:
	v_lshlrev_b32_e32 v15, 3, v35
	global_load_b64 v[15:16], v15, s[2:3]
.LBB723_39:
	s_or_b32 exec_lo, exec_lo, s18
	v_lshrrev_b32_e32 v38, 2, v38
	v_lshrrev_b32_e32 v36, 2, v36
	;; [unrolled: 1-line block ×4, first 2 shown]
	v_and_b32_e32 v33, 0x78, v33
	v_lshrrev_b32_e32 v37, 2, v37
	v_lshrrev_b32_e32 v34, 2, v34
	;; [unrolled: 1-line block ×3, first 2 shown]
	v_and_b32_e32 v38, 0xf8, v38
	v_and_b32_e32 v36, 0x1f8, v36
	;; [unrolled: 1-line block ×4, first 2 shown]
	v_add_nc_u32_e32 v33, v33, v55
	v_and_b32_e32 v37, 0x3f8, v37
	v_and_b32_e32 v34, 0x3f8, v34
	;; [unrolled: 1-line block ×3, first 2 shown]
	v_add_nc_u32_e32 v38, v38, v55
	v_add_nc_u32_e32 v36, v36, v55
	v_add_nc_u32_e32 v40, v40, v55
	v_add_nc_u32_e32 v39, v39, v55
	v_add_nc_u32_e32 v37, v37, v55
	v_add_nc_u32_e32 v34, v34, v55
	v_add_nc_u32_e32 v35, v35, v55
	s_waitcnt vmcnt(0)
	ds_store_b64 v33, v[1:2]
	ds_store_b64 v38, v[3:4] offset:4096
	ds_store_b64 v36, v[5:6] offset:8192
	;; [unrolled: 1-line block ×7, first 2 shown]
	s_waitcnt lgkmcnt(0)
	s_barrier
.LBB723_40:
	buffer_gl0_inv
	ds_load_2addr_b64 v[13:16], v41 offset1:1
	ds_load_2addr_b64 v[9:12], v41 offset0:2 offset1:3
	ds_load_2addr_b64 v[5:8], v41 offset0:4 offset1:5
	;; [unrolled: 1-line block ×3, first 2 shown]
	s_cmp_lg_u32 s15, 0
	v_cmp_gt_i64_e64 s25, s[22:23], 0
	s_cselect_b32 s24, -1, 0
	s_cmp_lg_u64 s[6:7], 0
	s_mov_b32 s3, 0
	s_cselect_b32 s2, -1, 0
	s_waitcnt lgkmcnt(0)
	s_or_b32 s2, s24, s2
	s_barrier
	s_and_b32 vcc_lo, exec_lo, s2
	buffer_gl0_inv
	s_cbranch_vccz .LBB723_49
; %bb.41:
	s_add_u32 s2, s4, -8
	s_addc_u32 s3, s5, -1
	v_cndmask_b32_e64 v41, 0, 1, s25
	s_load_b64 s[4:5], s[2:3], 0x0
	s_and_b32 vcc_lo, exec_lo, s20
	ds_store_b64 v55, v[19:20]
	v_cmp_ne_u32_e64 s2, 1, v41
	s_cbranch_vccz .LBB723_50
; %bb.42:
	v_mul_lo_u32 v35, v18, s22
	v_mul_lo_u32 v36, v17, s23
	v_mad_u64_u32 v[33:34], null, v17, s22, 0
	s_mov_b32 s3, 0
	s_and_b32 vcc_lo, exec_lo, s2
	s_mov_b32 s26, 0
	s_delay_alu instid0(VALU_DEP_1) | instskip(NEXT) | instid1(VALU_DEP_1)
	v_add3_u32 v34, v34, v36, v35
	v_lshlrev_b64 v[33:34], 1, v[33:34]
	s_cbranch_vccnz .LBB723_53
; %bb.43:
	v_mul_lo_u32 v37, v20, s22
	v_mul_lo_u32 v38, v19, s23
	v_mad_u64_u32 v[35:36], null, v19, s22, 0
	s_mov_b32 s26, -1
	s_mov_b32 s27, exec_lo
	s_delay_alu instid0(VALU_DEP_1) | instskip(SKIP_2) | instid1(VALU_DEP_3)
	v_add3_u32 v36, v36, v38, v37
	v_add_co_u32 v37, vcc_lo, s8, v33
	v_add_co_ci_u32_e32 v38, vcc_lo, s9, v34, vcc_lo
	v_lshlrev_b64 v[35:36], 1, v[35:36]
	s_delay_alu instid0(VALU_DEP_1) | instskip(NEXT) | instid1(VALU_DEP_2)
	v_add_co_u32 v35, vcc_lo, s8, v35
	v_add_co_ci_u32_e32 v36, vcc_lo, s9, v36, vcc_lo
	s_clause 0x1
	global_load_u16 v39, v[37:38], off
	global_load_u16 v40, v[35:36], off
	s_waitcnt vmcnt(0)
	v_cmpx_eq_u16_e64 v39, v40
	s_cbranch_execz .LBB723_52
; %bb.44:
	v_add_co_u32 v35, vcc_lo, v35, 2
	v_add_co_ci_u32_e32 v36, vcc_lo, 0, v36, vcc_lo
	v_add_co_u32 v37, vcc_lo, v37, 2
	v_add_co_ci_u32_e32 v38, vcc_lo, 0, v38, vcc_lo
	s_add_u32 s6, s22, -1
	s_addc_u32 s7, s23, -1
	s_mov_b64 s[18:19], 0
	s_mov_b32 s26, 0
                                        ; implicit-def: $sgpr29
	s_set_inst_prefetch_distance 0x1
	s_branch .LBB723_47
	.p2align	6
.LBB723_45:                             ;   in Loop: Header=BB723_47 Depth=1
	global_load_u16 v39, v[37:38], off
	global_load_u16 v40, v[35:36], off
	v_add_co_u32 v35, vcc_lo, v35, 2
	v_add_co_ci_u32_e32 v36, vcc_lo, 0, v36, vcc_lo
	v_add_co_u32 v37, s2, v37, 2
	s_delay_alu instid0(VALU_DEP_1)
	v_add_co_ci_u32_e64 v38, s2, 0, v38, s2
	s_add_u32 s18, s18, 1
	s_addc_u32 s19, s19, 0
	s_and_not1_b32 s2, s29, exec_lo
	s_waitcnt vmcnt(0)
	v_cmp_ne_u16_e32 vcc_lo, v39, v40
	s_and_b32 s29, vcc_lo, exec_lo
	s_delay_alu instid0(SALU_CYCLE_1)
	s_or_b32 s29, s2, s29
.LBB723_46:                             ;   in Loop: Header=BB723_47 Depth=1
	v_dual_mov_b32 v40, s19 :: v_dual_mov_b32 v39, s18
	s_and_b32 s2, exec_lo, s29
	s_delay_alu instid0(SALU_CYCLE_1) | instskip(NEXT) | instid1(SALU_CYCLE_1)
	s_or_b32 s26, s2, s26
	s_and_not1_b32 exec_lo, exec_lo, s26
	s_cbranch_execz .LBB723_51
.LBB723_47:                             ; =>This Inner Loop Header: Depth=1
	s_or_b32 s29, s29, exec_lo
	s_cmp_eq_u64 s[6:7], s[18:19]
	s_cbranch_scc0 .LBB723_45
; %bb.48:                               ;   in Loop: Header=BB723_47 Depth=1
	s_mov_b64 s[18:19], s[22:23]
                                        ; implicit-def: $vgpr35_vgpr36
                                        ; implicit-def: $vgpr37_vgpr38
	s_branch .LBB723_46
.LBB723_49:
                                        ; implicit-def: $sgpr2
                                        ; implicit-def: $vgpr34
	s_branch .LBB723_211
.LBB723_50:
                                        ; implicit-def: $sgpr2
                                        ; implicit-def: $vgpr34
	s_cbranch_execnz .LBB723_119
	s_branch .LBB723_210
.LBB723_51:
	s_set_inst_prefetch_distance 0x2
	s_or_b32 exec_lo, exec_lo, s26
	v_cmp_gt_i64_e32 vcc_lo, s[22:23], v[39:40]
	s_or_not1_b32 s26, vcc_lo, exec_lo
.LBB723_52:
	s_or_b32 exec_lo, exec_lo, s27
.LBB723_53:
	v_mul_lo_u32 v37, v24, s22
	v_mul_lo_u32 v38, v23, s23
	v_mad_u64_u32 v[35:36], null, v23, s22, 0
	s_and_not1_b32 vcc_lo, exec_lo, s25
	s_delay_alu instid0(VALU_DEP_1) | instskip(NEXT) | instid1(VALU_DEP_1)
	v_add3_u32 v36, v36, v38, v37
	v_lshlrev_b64 v[35:36], 1, v[35:36]
	s_cbranch_vccnz .LBB723_62
; %bb.54:
	s_delay_alu instid0(VALU_DEP_1) | instskip(NEXT) | instid1(VALU_DEP_2)
	v_add_co_u32 v37, vcc_lo, s8, v35
	v_add_co_ci_u32_e32 v38, vcc_lo, s9, v36, vcc_lo
	v_add_co_u32 v33, vcc_lo, s8, v33
	v_add_co_ci_u32_e32 v34, vcc_lo, s9, v34, vcc_lo
	s_mov_b32 s3, -1
	s_clause 0x1
	global_load_u16 v39, v[37:38], off
	global_load_u16 v40, v[33:34], off
	s_mov_b32 s27, exec_lo
	s_waitcnt vmcnt(0)
	v_cmpx_eq_u16_e64 v39, v40
	s_cbranch_execz .LBB723_61
; %bb.55:
	v_add_co_u32 v33, vcc_lo, v33, 2
	v_add_co_ci_u32_e32 v34, vcc_lo, 0, v34, vcc_lo
	v_add_co_u32 v37, vcc_lo, v37, 2
	v_add_co_ci_u32_e32 v38, vcc_lo, 0, v38, vcc_lo
	s_add_u32 s6, s22, -1
	s_addc_u32 s7, s23, -1
	s_mov_b64 s[18:19], 0
	s_mov_b32 s3, 0
                                        ; implicit-def: $sgpr29
	s_set_inst_prefetch_distance 0x1
	s_branch .LBB723_58
	.p2align	6
.LBB723_56:                             ;   in Loop: Header=BB723_58 Depth=1
	global_load_u16 v39, v[37:38], off
	global_load_u16 v40, v[33:34], off
	v_add_co_u32 v33, vcc_lo, v33, 2
	v_add_co_ci_u32_e32 v34, vcc_lo, 0, v34, vcc_lo
	v_add_co_u32 v37, s2, v37, 2
	s_delay_alu instid0(VALU_DEP_1)
	v_add_co_ci_u32_e64 v38, s2, 0, v38, s2
	s_add_u32 s18, s18, 1
	s_addc_u32 s19, s19, 0
	s_and_not1_b32 s2, s29, exec_lo
	s_waitcnt vmcnt(0)
	v_cmp_ne_u16_e32 vcc_lo, v39, v40
	s_and_b32 s29, vcc_lo, exec_lo
	s_delay_alu instid0(SALU_CYCLE_1)
	s_or_b32 s29, s2, s29
.LBB723_57:                             ;   in Loop: Header=BB723_58 Depth=1
	v_dual_mov_b32 v40, s19 :: v_dual_mov_b32 v39, s18
	s_and_b32 s2, exec_lo, s29
	s_delay_alu instid0(SALU_CYCLE_1) | instskip(NEXT) | instid1(SALU_CYCLE_1)
	s_or_b32 s3, s2, s3
	s_and_not1_b32 exec_lo, exec_lo, s3
	s_cbranch_execz .LBB723_60
.LBB723_58:                             ; =>This Inner Loop Header: Depth=1
	s_or_b32 s29, s29, exec_lo
	s_cmp_eq_u64 s[6:7], s[18:19]
	s_cbranch_scc0 .LBB723_56
; %bb.59:                               ;   in Loop: Header=BB723_58 Depth=1
	s_mov_b64 s[18:19], s[22:23]
                                        ; implicit-def: $vgpr33_vgpr34
                                        ; implicit-def: $vgpr37_vgpr38
	s_branch .LBB723_57
.LBB723_60:
	s_set_inst_prefetch_distance 0x2
	s_or_b32 exec_lo, exec_lo, s3
	v_cmp_gt_i64_e32 vcc_lo, s[22:23], v[39:40]
	s_or_not1_b32 s3, vcc_lo, exec_lo
.LBB723_61:
	s_or_b32 exec_lo, exec_lo, s27
.LBB723_62:
	v_mul_lo_u32 v37, v22, s22
	v_mul_lo_u32 v38, v21, s23
	v_mad_u64_u32 v[33:34], null, v21, s22, 0
	s_mov_b32 s27, 0
	s_and_not1_b32 vcc_lo, exec_lo, s25
	s_mov_b32 s29, 0
	s_delay_alu instid0(VALU_DEP_1) | instskip(NEXT) | instid1(VALU_DEP_1)
	v_add3_u32 v34, v34, v38, v37
	v_lshlrev_b64 v[37:38], 1, v[33:34]
	s_cbranch_vccnz .LBB723_71
; %bb.63:
	s_delay_alu instid0(VALU_DEP_1) | instskip(NEXT) | instid1(VALU_DEP_2)
	v_add_co_u32 v39, vcc_lo, s8, v37
	v_add_co_ci_u32_e32 v40, vcc_lo, s9, v38, vcc_lo
	v_add_co_u32 v33, vcc_lo, s8, v35
	v_add_co_ci_u32_e32 v34, vcc_lo, s9, v36, vcc_lo
	s_mov_b32 s29, -1
	s_clause 0x1
	global_load_u16 v35, v[39:40], off
	global_load_u16 v36, v[33:34], off
	s_mov_b32 s30, exec_lo
	s_waitcnt vmcnt(0)
	v_cmpx_eq_u16_e64 v35, v36
	s_cbranch_execz .LBB723_70
; %bb.64:
	v_add_co_u32 v33, vcc_lo, v33, 2
	v_add_co_ci_u32_e32 v34, vcc_lo, 0, v34, vcc_lo
	v_add_co_u32 v35, vcc_lo, v39, 2
	v_add_co_ci_u32_e32 v36, vcc_lo, 0, v40, vcc_lo
	s_add_u32 s6, s22, -1
	s_addc_u32 s7, s23, -1
	s_mov_b64 s[18:19], 0
	s_mov_b32 s29, 0
                                        ; implicit-def: $sgpr31
	s_set_inst_prefetch_distance 0x1
	s_branch .LBB723_67
	.p2align	6
.LBB723_65:                             ;   in Loop: Header=BB723_67 Depth=1
	global_load_u16 v39, v[35:36], off
	global_load_u16 v40, v[33:34], off
	v_add_co_u32 v33, vcc_lo, v33, 2
	v_add_co_ci_u32_e32 v34, vcc_lo, 0, v34, vcc_lo
	v_add_co_u32 v35, s2, v35, 2
	s_delay_alu instid0(VALU_DEP_1)
	v_add_co_ci_u32_e64 v36, s2, 0, v36, s2
	s_add_u32 s18, s18, 1
	s_addc_u32 s19, s19, 0
	s_and_not1_b32 s2, s31, exec_lo
	s_waitcnt vmcnt(0)
	v_cmp_ne_u16_e32 vcc_lo, v39, v40
	s_and_b32 s31, vcc_lo, exec_lo
	s_delay_alu instid0(SALU_CYCLE_1)
	s_or_b32 s31, s2, s31
.LBB723_66:                             ;   in Loop: Header=BB723_67 Depth=1
	v_dual_mov_b32 v40, s19 :: v_dual_mov_b32 v39, s18
	s_and_b32 s2, exec_lo, s31
	s_delay_alu instid0(SALU_CYCLE_1) | instskip(NEXT) | instid1(SALU_CYCLE_1)
	s_or_b32 s29, s2, s29
	s_and_not1_b32 exec_lo, exec_lo, s29
	s_cbranch_execz .LBB723_69
.LBB723_67:                             ; =>This Inner Loop Header: Depth=1
	s_or_b32 s31, s31, exec_lo
	s_cmp_eq_u64 s[6:7], s[18:19]
	s_cbranch_scc0 .LBB723_65
; %bb.68:                               ;   in Loop: Header=BB723_67 Depth=1
	s_mov_b64 s[18:19], s[22:23]
                                        ; implicit-def: $vgpr33_vgpr34
                                        ; implicit-def: $vgpr35_vgpr36
	s_branch .LBB723_66
.LBB723_69:
	s_set_inst_prefetch_distance 0x2
	s_or_b32 exec_lo, exec_lo, s29
	v_cmp_gt_i64_e32 vcc_lo, s[22:23], v[39:40]
	s_or_not1_b32 s29, vcc_lo, exec_lo
.LBB723_70:
	s_or_b32 exec_lo, exec_lo, s30
.LBB723_71:
	v_mul_lo_u32 v35, v28, s22
	v_mul_lo_u32 v36, v27, s23
	v_mad_u64_u32 v[33:34], null, v27, s22, 0
	s_and_not1_b32 vcc_lo, exec_lo, s25
	s_delay_alu instid0(VALU_DEP_1) | instskip(NEXT) | instid1(VALU_DEP_1)
	v_add3_u32 v34, v34, v36, v35
	v_lshlrev_b64 v[33:34], 1, v[33:34]
	s_cbranch_vccnz .LBB723_80
; %bb.72:
	s_delay_alu instid0(VALU_DEP_1) | instskip(NEXT) | instid1(VALU_DEP_2)
	v_add_co_u32 v39, vcc_lo, s8, v33
	v_add_co_ci_u32_e32 v40, vcc_lo, s9, v34, vcc_lo
	v_add_co_u32 v35, vcc_lo, s8, v37
	v_add_co_ci_u32_e32 v36, vcc_lo, s9, v38, vcc_lo
	s_mov_b32 s27, -1
	s_clause 0x1
	global_load_u16 v37, v[39:40], off
	global_load_u16 v38, v[35:36], off
	s_mov_b32 s30, exec_lo
	s_waitcnt vmcnt(0)
	v_cmpx_eq_u16_e64 v37, v38
	s_cbranch_execz .LBB723_79
; %bb.73:
	v_add_co_u32 v35, vcc_lo, v35, 2
	v_add_co_ci_u32_e32 v36, vcc_lo, 0, v36, vcc_lo
	v_add_co_u32 v37, vcc_lo, v39, 2
	v_add_co_ci_u32_e32 v38, vcc_lo, 0, v40, vcc_lo
	s_add_u32 s6, s22, -1
	s_addc_u32 s7, s23, -1
	s_mov_b64 s[18:19], 0
	s_mov_b32 s27, 0
                                        ; implicit-def: $sgpr31
	s_set_inst_prefetch_distance 0x1
	s_branch .LBB723_76
	.p2align	6
.LBB723_74:                             ;   in Loop: Header=BB723_76 Depth=1
	global_load_u16 v39, v[37:38], off
	global_load_u16 v40, v[35:36], off
	v_add_co_u32 v35, vcc_lo, v35, 2
	v_add_co_ci_u32_e32 v36, vcc_lo, 0, v36, vcc_lo
	v_add_co_u32 v37, s2, v37, 2
	s_delay_alu instid0(VALU_DEP_1)
	v_add_co_ci_u32_e64 v38, s2, 0, v38, s2
	s_add_u32 s18, s18, 1
	s_addc_u32 s19, s19, 0
	s_and_not1_b32 s2, s31, exec_lo
	s_waitcnt vmcnt(0)
	v_cmp_ne_u16_e32 vcc_lo, v39, v40
	s_and_b32 s31, vcc_lo, exec_lo
	s_delay_alu instid0(SALU_CYCLE_1)
	s_or_b32 s31, s2, s31
.LBB723_75:                             ;   in Loop: Header=BB723_76 Depth=1
	v_dual_mov_b32 v40, s19 :: v_dual_mov_b32 v39, s18
	s_and_b32 s2, exec_lo, s31
	s_delay_alu instid0(SALU_CYCLE_1) | instskip(NEXT) | instid1(SALU_CYCLE_1)
	s_or_b32 s27, s2, s27
	s_and_not1_b32 exec_lo, exec_lo, s27
	s_cbranch_execz .LBB723_78
.LBB723_76:                             ; =>This Inner Loop Header: Depth=1
	s_or_b32 s31, s31, exec_lo
	s_cmp_eq_u64 s[6:7], s[18:19]
	s_cbranch_scc0 .LBB723_74
; %bb.77:                               ;   in Loop: Header=BB723_76 Depth=1
	s_mov_b64 s[18:19], s[22:23]
                                        ; implicit-def: $vgpr35_vgpr36
                                        ; implicit-def: $vgpr37_vgpr38
	s_branch .LBB723_75
.LBB723_78:
	s_set_inst_prefetch_distance 0x2
	s_or_b32 exec_lo, exec_lo, s27
	v_cmp_gt_i64_e32 vcc_lo, s[22:23], v[39:40]
	s_or_not1_b32 s27, vcc_lo, exec_lo
.LBB723_79:
	s_or_b32 exec_lo, exec_lo, s30
.LBB723_80:
	v_mul_lo_u32 v37, v26, s22
	v_mul_lo_u32 v38, v25, s23
	v_mad_u64_u32 v[35:36], null, v25, s22, 0
	s_mov_b32 s30, 0
	s_and_not1_b32 vcc_lo, exec_lo, s25
	s_mov_b32 s31, 0
	s_delay_alu instid0(VALU_DEP_1) | instskip(NEXT) | instid1(VALU_DEP_1)
	v_add3_u32 v36, v36, v38, v37
	v_lshlrev_b64 v[37:38], 1, v[35:36]
	s_cbranch_vccnz .LBB723_89
; %bb.81:
	s_delay_alu instid0(VALU_DEP_1) | instskip(NEXT) | instid1(VALU_DEP_2)
	v_add_co_u32 v35, vcc_lo, s8, v37
	v_add_co_ci_u32_e32 v36, vcc_lo, s9, v38, vcc_lo
	v_add_co_u32 v33, vcc_lo, s8, v33
	v_add_co_ci_u32_e32 v34, vcc_lo, s9, v34, vcc_lo
	s_mov_b32 s31, -1
	s_clause 0x1
	global_load_u16 v39, v[35:36], off
	global_load_u16 v40, v[33:34], off
	s_mov_b32 s33, exec_lo
	s_waitcnt vmcnt(0)
	v_cmpx_eq_u16_e64 v39, v40
	s_cbranch_execz .LBB723_88
; %bb.82:
	v_add_co_u32 v33, vcc_lo, v33, 2
	v_add_co_ci_u32_e32 v34, vcc_lo, 0, v34, vcc_lo
	v_add_co_u32 v35, vcc_lo, v35, 2
	v_add_co_ci_u32_e32 v36, vcc_lo, 0, v36, vcc_lo
	s_add_u32 s6, s22, -1
	s_addc_u32 s7, s23, -1
	s_mov_b64 s[18:19], 0
	s_mov_b32 s31, 0
                                        ; implicit-def: $sgpr34
	s_set_inst_prefetch_distance 0x1
	s_branch .LBB723_85
	.p2align	6
.LBB723_83:                             ;   in Loop: Header=BB723_85 Depth=1
	global_load_u16 v39, v[35:36], off
	global_load_u16 v40, v[33:34], off
	v_add_co_u32 v33, vcc_lo, v33, 2
	v_add_co_ci_u32_e32 v34, vcc_lo, 0, v34, vcc_lo
	v_add_co_u32 v35, s2, v35, 2
	s_delay_alu instid0(VALU_DEP_1)
	v_add_co_ci_u32_e64 v36, s2, 0, v36, s2
	s_add_u32 s18, s18, 1
	s_addc_u32 s19, s19, 0
	s_and_not1_b32 s2, s34, exec_lo
	s_waitcnt vmcnt(0)
	v_cmp_ne_u16_e32 vcc_lo, v39, v40
	s_and_b32 s34, vcc_lo, exec_lo
	s_delay_alu instid0(SALU_CYCLE_1)
	s_or_b32 s34, s2, s34
.LBB723_84:                             ;   in Loop: Header=BB723_85 Depth=1
	v_dual_mov_b32 v40, s19 :: v_dual_mov_b32 v39, s18
	s_and_b32 s2, exec_lo, s34
	s_delay_alu instid0(SALU_CYCLE_1) | instskip(NEXT) | instid1(SALU_CYCLE_1)
	s_or_b32 s31, s2, s31
	s_and_not1_b32 exec_lo, exec_lo, s31
	s_cbranch_execz .LBB723_87
.LBB723_85:                             ; =>This Inner Loop Header: Depth=1
	s_or_b32 s34, s34, exec_lo
	s_cmp_eq_u64 s[6:7], s[18:19]
	s_cbranch_scc0 .LBB723_83
; %bb.86:                               ;   in Loop: Header=BB723_85 Depth=1
	s_mov_b64 s[18:19], s[22:23]
                                        ; implicit-def: $vgpr33_vgpr34
                                        ; implicit-def: $vgpr35_vgpr36
	s_branch .LBB723_84
.LBB723_87:
	s_set_inst_prefetch_distance 0x2
	s_or_b32 exec_lo, exec_lo, s31
	v_cmp_gt_i64_e32 vcc_lo, s[22:23], v[39:40]
	s_or_not1_b32 s31, vcc_lo, exec_lo
.LBB723_88:
	s_or_b32 exec_lo, exec_lo, s33
.LBB723_89:
	v_mul_lo_u32 v35, v32, s22
	v_mul_lo_u32 v36, v31, s23
	v_mad_u64_u32 v[33:34], null, v31, s22, 0
	s_and_not1_b32 vcc_lo, exec_lo, s25
	s_delay_alu instid0(VALU_DEP_1) | instskip(NEXT) | instid1(VALU_DEP_1)
	v_add3_u32 v34, v34, v36, v35
	v_lshlrev_b64 v[35:36], 1, v[33:34]
	s_cbranch_vccnz .LBB723_98
; %bb.90:
	s_delay_alu instid0(VALU_DEP_1) | instskip(NEXT) | instid1(VALU_DEP_2)
	v_add_co_u32 v39, vcc_lo, s8, v35
	v_add_co_ci_u32_e32 v40, vcc_lo, s9, v36, vcc_lo
	v_add_co_u32 v33, vcc_lo, s8, v37
	v_add_co_ci_u32_e32 v34, vcc_lo, s9, v38, vcc_lo
	s_mov_b32 s30, -1
	s_clause 0x1
	global_load_u16 v37, v[39:40], off
	global_load_u16 v38, v[33:34], off
	s_mov_b32 s33, exec_lo
	s_waitcnt vmcnt(0)
	v_cmpx_eq_u16_e64 v37, v38
	s_cbranch_execz .LBB723_97
; %bb.91:
	v_add_co_u32 v33, vcc_lo, v33, 2
	v_add_co_ci_u32_e32 v34, vcc_lo, 0, v34, vcc_lo
	v_add_co_u32 v37, vcc_lo, v39, 2
	v_add_co_ci_u32_e32 v38, vcc_lo, 0, v40, vcc_lo
	s_add_u32 s6, s22, -1
	s_addc_u32 s7, s23, -1
	s_mov_b64 s[18:19], 0
	s_mov_b32 s30, 0
                                        ; implicit-def: $sgpr34
	s_set_inst_prefetch_distance 0x1
	s_branch .LBB723_94
	.p2align	6
.LBB723_92:                             ;   in Loop: Header=BB723_94 Depth=1
	global_load_u16 v39, v[37:38], off
	global_load_u16 v40, v[33:34], off
	v_add_co_u32 v33, vcc_lo, v33, 2
	v_add_co_ci_u32_e32 v34, vcc_lo, 0, v34, vcc_lo
	v_add_co_u32 v37, s2, v37, 2
	s_delay_alu instid0(VALU_DEP_1)
	v_add_co_ci_u32_e64 v38, s2, 0, v38, s2
	s_add_u32 s18, s18, 1
	s_addc_u32 s19, s19, 0
	s_and_not1_b32 s2, s34, exec_lo
	s_waitcnt vmcnt(0)
	v_cmp_ne_u16_e32 vcc_lo, v39, v40
	s_and_b32 s34, vcc_lo, exec_lo
	s_delay_alu instid0(SALU_CYCLE_1)
	s_or_b32 s34, s2, s34
.LBB723_93:                             ;   in Loop: Header=BB723_94 Depth=1
	v_dual_mov_b32 v40, s19 :: v_dual_mov_b32 v39, s18
	s_and_b32 s2, exec_lo, s34
	s_delay_alu instid0(SALU_CYCLE_1) | instskip(NEXT) | instid1(SALU_CYCLE_1)
	s_or_b32 s30, s2, s30
	s_and_not1_b32 exec_lo, exec_lo, s30
	s_cbranch_execz .LBB723_96
.LBB723_94:                             ; =>This Inner Loop Header: Depth=1
	s_or_b32 s34, s34, exec_lo
	s_cmp_eq_u64 s[6:7], s[18:19]
	s_cbranch_scc0 .LBB723_92
; %bb.95:                               ;   in Loop: Header=BB723_94 Depth=1
	s_mov_b64 s[18:19], s[22:23]
                                        ; implicit-def: $vgpr33_vgpr34
                                        ; implicit-def: $vgpr37_vgpr38
	s_branch .LBB723_93
.LBB723_96:
	s_set_inst_prefetch_distance 0x2
	s_or_b32 exec_lo, exec_lo, s30
	v_cmp_gt_i64_e32 vcc_lo, s[22:23], v[39:40]
	s_or_not1_b32 s30, vcc_lo, exec_lo
.LBB723_97:
	s_or_b32 exec_lo, exec_lo, s33
.LBB723_98:
	v_mul_lo_u32 v37, v30, s22
	v_mul_lo_u32 v38, v29, s23
	v_mad_u64_u32 v[33:34], null, v29, s22, 0
	s_and_not1_b32 vcc_lo, exec_lo, s25
	s_mov_b32 s2, 0
	s_delay_alu instid0(VALU_DEP_1) | instskip(NEXT) | instid1(VALU_DEP_1)
	v_add3_u32 v34, v34, v38, v37
	v_lshlrev_b64 v[33:34], 1, v[33:34]
	s_cbranch_vccnz .LBB723_107
; %bb.99:
	s_delay_alu instid0(VALU_DEP_1) | instskip(NEXT) | instid1(VALU_DEP_2)
	v_add_co_u32 v37, vcc_lo, s8, v33
	v_add_co_ci_u32_e32 v38, vcc_lo, s9, v34, vcc_lo
	v_add_co_u32 v35, vcc_lo, s8, v35
	v_add_co_ci_u32_e32 v36, vcc_lo, s9, v36, vcc_lo
	s_mov_b32 s2, -1
	s_clause 0x1
	global_load_u16 v39, v[37:38], off
	global_load_u16 v40, v[35:36], off
	s_mov_b32 s33, exec_lo
	s_waitcnt vmcnt(0)
	v_cmpx_eq_u16_e64 v39, v40
	s_cbranch_execz .LBB723_106
; %bb.100:
	v_add_co_u32 v35, vcc_lo, v35, 2
	v_add_co_ci_u32_e32 v36, vcc_lo, 0, v36, vcc_lo
	v_add_co_u32 v37, vcc_lo, v37, 2
	v_add_co_ci_u32_e32 v38, vcc_lo, 0, v38, vcc_lo
	s_add_u32 s6, s22, -1
	s_addc_u32 s7, s23, -1
	s_mov_b64 s[18:19], 0
	s_mov_b32 s34, 0
                                        ; implicit-def: $sgpr35
	s_set_inst_prefetch_distance 0x1
	s_branch .LBB723_103
	.p2align	6
.LBB723_101:                            ;   in Loop: Header=BB723_103 Depth=1
	global_load_u16 v39, v[37:38], off
	global_load_u16 v40, v[35:36], off
	v_add_co_u32 v35, vcc_lo, v35, 2
	v_add_co_ci_u32_e32 v36, vcc_lo, 0, v36, vcc_lo
	v_add_co_u32 v37, s2, v37, 2
	s_delay_alu instid0(VALU_DEP_1)
	v_add_co_ci_u32_e64 v38, s2, 0, v38, s2
	s_add_u32 s18, s18, 1
	s_addc_u32 s19, s19, 0
	s_and_not1_b32 s2, s35, exec_lo
	s_waitcnt vmcnt(0)
	v_cmp_ne_u16_e32 vcc_lo, v39, v40
	s_and_b32 s35, vcc_lo, exec_lo
	s_delay_alu instid0(SALU_CYCLE_1)
	s_or_b32 s35, s2, s35
.LBB723_102:                            ;   in Loop: Header=BB723_103 Depth=1
	v_dual_mov_b32 v40, s19 :: v_dual_mov_b32 v39, s18
	s_and_b32 s2, exec_lo, s35
	s_delay_alu instid0(SALU_CYCLE_1) | instskip(NEXT) | instid1(SALU_CYCLE_1)
	s_or_b32 s34, s2, s34
	s_and_not1_b32 exec_lo, exec_lo, s34
	s_cbranch_execz .LBB723_105
.LBB723_103:                            ; =>This Inner Loop Header: Depth=1
	s_or_b32 s35, s35, exec_lo
	s_cmp_eq_u64 s[6:7], s[18:19]
	s_cbranch_scc0 .LBB723_101
; %bb.104:                              ;   in Loop: Header=BB723_103 Depth=1
	s_mov_b64 s[18:19], s[22:23]
                                        ; implicit-def: $vgpr35_vgpr36
                                        ; implicit-def: $vgpr37_vgpr38
	s_branch .LBB723_102
.LBB723_105:
	s_set_inst_prefetch_distance 0x2
	s_or_b32 exec_lo, exec_lo, s34
	v_cmp_gt_i64_e32 vcc_lo, s[22:23], v[39:40]
	s_or_not1_b32 s2, vcc_lo, exec_lo
.LBB723_106:
	s_or_b32 exec_lo, exec_lo, s33
.LBB723_107:
	s_waitcnt lgkmcnt(0)
	v_dual_mov_b32 v36, s5 :: v_dual_mov_b32 v35, s4
	s_mov_b32 s6, exec_lo
	s_barrier
	buffer_gl0_inv
	v_cmpx_ne_u32_e32 0, v0
	s_cbranch_execz .LBB723_109
; %bb.108:
	v_add_nc_u32_e32 v35, -8, v55
	ds_load_b64 v[35:36], v35
.LBB723_109:
	s_or_b32 exec_lo, exec_lo, s6
	v_cndmask_b32_e64 v38, 0, 1, s31
	v_cndmask_b32_e64 v40, 0, 1, s29
	;; [unrolled: 1-line block ×7, first 2 shown]
	v_lshlrev_b16 v38, 8, v38
	v_lshlrev_b16 v40, 8, v40
	;; [unrolled: 1-line block ×4, first 2 shown]
	s_mov_b32 s3, 0
	v_or_b32_e32 v37, v37, v38
	v_or_b32_e32 v38, v39, v40
	;; [unrolled: 1-line block ×3, first 2 shown]
	v_and_b32_e32 v39, 0xffff, v43
	s_and_not1_b32 vcc_lo, exec_lo, s25
	v_lshlrev_b32_e32 v40, 16, v37
	v_and_b32_e32 v42, 0xffff, v38
	v_lshlrev_b32_e32 v43, 16, v44
	s_mov_b32 s2, 0
	s_cbranch_vccnz .LBB723_118
; %bb.110:
	s_waitcnt lgkmcnt(0)
	v_mul_lo_u32 v38, v36, s22
	v_mul_lo_u32 v44, v35, s23
	v_mad_u64_u32 v[36:37], null, v35, s22, 0
	s_mov_b32 s2, -1
	s_mov_b32 s26, exec_lo
	s_delay_alu instid0(VALU_DEP_1) | instskip(NEXT) | instid1(VALU_DEP_1)
	v_add3_u32 v37, v37, v44, v38
	v_lshlrev_b64 v[35:36], 1, v[36:37]
	s_delay_alu instid0(VALU_DEP_1) | instskip(NEXT) | instid1(VALU_DEP_2)
	v_add_co_u32 v35, vcc_lo, s8, v35
	v_add_co_ci_u32_e32 v36, vcc_lo, s9, v36, vcc_lo
	v_add_co_u32 v33, vcc_lo, s8, v33
	v_add_co_ci_u32_e32 v34, vcc_lo, s9, v34, vcc_lo
	s_clause 0x1
	global_load_u16 v37, v[35:36], off
	global_load_u16 v38, v[33:34], off
	s_waitcnt vmcnt(0)
	v_cmpx_eq_u16_e64 v37, v38
	s_cbranch_execz .LBB723_117
; %bb.111:
	v_add_co_u32 v33, vcc_lo, v33, 2
	v_add_co_ci_u32_e32 v34, vcc_lo, 0, v34, vcc_lo
	v_add_co_u32 v35, vcc_lo, v35, 2
	v_add_co_ci_u32_e32 v36, vcc_lo, 0, v36, vcc_lo
	s_add_u32 s6, s22, -1
	s_addc_u32 s7, s23, -1
	s_mov_b64 s[18:19], 0
	s_mov_b32 s27, 0
                                        ; implicit-def: $sgpr29
	s_set_inst_prefetch_distance 0x1
	s_branch .LBB723_114
	.p2align	6
.LBB723_112:                            ;   in Loop: Header=BB723_114 Depth=1
	global_load_u16 v37, v[35:36], off
	global_load_u16 v38, v[33:34], off
	v_add_co_u32 v33, vcc_lo, v33, 2
	v_add_co_ci_u32_e32 v34, vcc_lo, 0, v34, vcc_lo
	v_add_co_u32 v35, s2, v35, 2
	s_delay_alu instid0(VALU_DEP_1)
	v_add_co_ci_u32_e64 v36, s2, 0, v36, s2
	s_add_u32 s18, s18, 1
	s_addc_u32 s19, s19, 0
	s_and_not1_b32 s2, s29, exec_lo
	s_waitcnt vmcnt(0)
	v_cmp_ne_u16_e32 vcc_lo, v37, v38
	s_and_b32 s29, vcc_lo, exec_lo
	s_delay_alu instid0(SALU_CYCLE_1)
	s_or_b32 s29, s2, s29
.LBB723_113:                            ;   in Loop: Header=BB723_114 Depth=1
	v_dual_mov_b32 v38, s19 :: v_dual_mov_b32 v37, s18
	s_and_b32 s2, exec_lo, s29
	s_delay_alu instid0(SALU_CYCLE_1) | instskip(NEXT) | instid1(SALU_CYCLE_1)
	s_or_b32 s27, s2, s27
	s_and_not1_b32 exec_lo, exec_lo, s27
	s_cbranch_execz .LBB723_116
.LBB723_114:                            ; =>This Inner Loop Header: Depth=1
	s_or_b32 s29, s29, exec_lo
	s_cmp_eq_u64 s[6:7], s[18:19]
	s_cbranch_scc0 .LBB723_112
; %bb.115:                              ;   in Loop: Header=BB723_114 Depth=1
	s_mov_b64 s[18:19], s[22:23]
                                        ; implicit-def: $vgpr33_vgpr34
                                        ; implicit-def: $vgpr35_vgpr36
	s_branch .LBB723_113
.LBB723_116:
	s_set_inst_prefetch_distance 0x2
	s_or_b32 exec_lo, exec_lo, s27
	v_cmp_gt_i64_e32 vcc_lo, s[22:23], v[37:38]
	s_or_not1_b32 s2, vcc_lo, exec_lo
.LBB723_117:
	s_or_b32 exec_lo, exec_lo, s26
.LBB723_118:
	v_or_b32_e32 v33, v39, v40
	s_delay_alu instid0(VALU_DEP_2)
	v_or_b32_e32 v34, v42, v43
	s_and_b32 vcc_lo, exec_lo, s3
	s_cbranch_vccz .LBB723_210
.LBB723_119:
	v_or_b32_e32 v33, 7, v55
	s_mov_b32 s3, 0
	s_mov_b32 s26, 0
	s_mov_b32 s27, exec_lo
	s_delay_alu instid0(VALU_DEP_1)
	v_cmpx_gt_u32_e64 s28, v33
	s_cbranch_execz .LBB723_130
; %bb.120:
	s_and_not1_b32 vcc_lo, exec_lo, s25
	s_mov_b32 s2, 0
	s_cbranch_vccnz .LBB723_129
; %bb.121:
	v_mul_lo_u32 v37, v18, s22
	v_mul_lo_u32 v38, v17, s23
	v_mad_u64_u32 v[33:34], null, v17, s22, 0
	v_mul_lo_u32 v39, v20, s22
	v_mul_lo_u32 v40, v19, s23
	s_waitcnt lgkmcnt(0)
	v_mad_u64_u32 v[35:36], null, v19, s22, 0
	s_mov_b32 s2, -1
	s_mov_b32 s25, exec_lo
	s_delay_alu instid0(VALU_DEP_4) | instskip(NEXT) | instid1(VALU_DEP_2)
	v_add3_u32 v34, v34, v38, v37
	v_add3_u32 v36, v36, v40, v39
	s_delay_alu instid0(VALU_DEP_2) | instskip(NEXT) | instid1(VALU_DEP_2)
	v_lshlrev_b64 v[33:34], 1, v[33:34]
	v_lshlrev_b64 v[37:38], 1, v[35:36]
	s_delay_alu instid0(VALU_DEP_2) | instskip(NEXT) | instid1(VALU_DEP_3)
	v_add_co_u32 v35, vcc_lo, s8, v33
	v_add_co_ci_u32_e32 v36, vcc_lo, s9, v34, vcc_lo
	s_delay_alu instid0(VALU_DEP_3) | instskip(NEXT) | instid1(VALU_DEP_4)
	v_add_co_u32 v33, vcc_lo, s8, v37
	v_add_co_ci_u32_e32 v34, vcc_lo, s9, v38, vcc_lo
	s_clause 0x1
	global_load_u16 v37, v[35:36], off
	global_load_u16 v38, v[33:34], off
	s_waitcnt vmcnt(0)
	v_cmpx_eq_u16_e64 v37, v38
	s_cbranch_execz .LBB723_128
; %bb.122:
	v_add_co_u32 v33, vcc_lo, v33, 2
	v_add_co_ci_u32_e32 v34, vcc_lo, 0, v34, vcc_lo
	v_add_co_u32 v35, vcc_lo, v35, 2
	v_add_co_ci_u32_e32 v36, vcc_lo, 0, v36, vcc_lo
	s_add_u32 s6, s22, -1
	s_addc_u32 s7, s23, -1
	s_mov_b64 s[18:19], 0
                                        ; implicit-def: $sgpr29
	s_set_inst_prefetch_distance 0x1
	s_branch .LBB723_125
	.p2align	6
.LBB723_123:                            ;   in Loop: Header=BB723_125 Depth=1
	global_load_u16 v37, v[35:36], off
	global_load_u16 v38, v[33:34], off
	v_add_co_u32 v33, vcc_lo, v33, 2
	v_add_co_ci_u32_e32 v34, vcc_lo, 0, v34, vcc_lo
	v_add_co_u32 v35, s2, v35, 2
	s_delay_alu instid0(VALU_DEP_1)
	v_add_co_ci_u32_e64 v36, s2, 0, v36, s2
	s_add_u32 s18, s18, 1
	s_addc_u32 s19, s19, 0
	s_and_not1_b32 s2, s29, exec_lo
	s_waitcnt vmcnt(0)
	v_cmp_ne_u16_e32 vcc_lo, v37, v38
	s_and_b32 s29, vcc_lo, exec_lo
	s_delay_alu instid0(SALU_CYCLE_1)
	s_or_b32 s29, s2, s29
.LBB723_124:                            ;   in Loop: Header=BB723_125 Depth=1
	v_dual_mov_b32 v38, s19 :: v_dual_mov_b32 v37, s18
	s_and_b32 s2, exec_lo, s29
	s_delay_alu instid0(SALU_CYCLE_1) | instskip(NEXT) | instid1(SALU_CYCLE_1)
	s_or_b32 s26, s2, s26
	s_and_not1_b32 exec_lo, exec_lo, s26
	s_cbranch_execz .LBB723_127
.LBB723_125:                            ; =>This Inner Loop Header: Depth=1
	s_or_b32 s29, s29, exec_lo
	s_cmp_eq_u64 s[6:7], s[18:19]
	s_cbranch_scc0 .LBB723_123
; %bb.126:                              ;   in Loop: Header=BB723_125 Depth=1
	s_mov_b64 s[18:19], s[22:23]
                                        ; implicit-def: $vgpr33_vgpr34
                                        ; implicit-def: $vgpr35_vgpr36
	s_branch .LBB723_124
.LBB723_127:
	s_set_inst_prefetch_distance 0x2
	s_or_b32 exec_lo, exec_lo, s26
	v_cmp_gt_i64_e32 vcc_lo, s[22:23], v[37:38]
	s_or_not1_b32 s2, vcc_lo, exec_lo
.LBB723_128:
	s_or_b32 exec_lo, exec_lo, s25
.LBB723_129:
	s_delay_alu instid0(SALU_CYCLE_1)
	s_and_b32 s26, s2, exec_lo
.LBB723_130:
	s_or_b32 exec_lo, exec_lo, s27
	v_or_b32_e32 v33, 6, v55
	s_mov_b32 s25, exec_lo
	s_delay_alu instid0(VALU_DEP_1)
	v_cmpx_gt_u32_e64 s28, v33
	s_cbranch_execz .LBB723_141
; %bb.131:
	v_cmp_ne_u32_e32 vcc_lo, 1, v41
	s_mov_b32 s2, 0
	s_cbranch_vccnz .LBB723_140
; %bb.132:
	v_mul_lo_u32 v37, v24, s22
	v_mul_lo_u32 v38, v23, s23
	v_mad_u64_u32 v[33:34], null, v23, s22, 0
	v_mul_lo_u32 v39, v18, s22
	v_mul_lo_u32 v40, v17, s23
	s_waitcnt lgkmcnt(0)
	v_mad_u64_u32 v[35:36], null, v17, s22, 0
	s_mov_b32 s2, -1
	s_mov_b32 s3, exec_lo
	s_delay_alu instid0(VALU_DEP_4) | instskip(NEXT) | instid1(VALU_DEP_2)
	v_add3_u32 v34, v34, v38, v37
	v_add3_u32 v36, v36, v40, v39
	s_delay_alu instid0(VALU_DEP_2) | instskip(NEXT) | instid1(VALU_DEP_2)
	v_lshlrev_b64 v[33:34], 1, v[33:34]
	v_lshlrev_b64 v[37:38], 1, v[35:36]
	s_delay_alu instid0(VALU_DEP_2) | instskip(NEXT) | instid1(VALU_DEP_3)
	v_add_co_u32 v35, vcc_lo, s8, v33
	v_add_co_ci_u32_e32 v36, vcc_lo, s9, v34, vcc_lo
	s_delay_alu instid0(VALU_DEP_3) | instskip(NEXT) | instid1(VALU_DEP_4)
	v_add_co_u32 v33, vcc_lo, s8, v37
	v_add_co_ci_u32_e32 v34, vcc_lo, s9, v38, vcc_lo
	s_clause 0x1
	global_load_u16 v37, v[35:36], off
	global_load_u16 v38, v[33:34], off
	s_waitcnt vmcnt(0)
	v_cmpx_eq_u16_e64 v37, v38
	s_cbranch_execz .LBB723_139
; %bb.133:
	v_add_co_u32 v33, vcc_lo, v33, 2
	v_add_co_ci_u32_e32 v34, vcc_lo, 0, v34, vcc_lo
	v_add_co_u32 v35, vcc_lo, v35, 2
	v_add_co_ci_u32_e32 v36, vcc_lo, 0, v36, vcc_lo
	s_add_u32 s6, s22, -1
	s_addc_u32 s7, s23, -1
	s_mov_b64 s[18:19], 0
	s_mov_b32 s27, 0
                                        ; implicit-def: $sgpr29
	s_set_inst_prefetch_distance 0x1
	s_branch .LBB723_136
	.p2align	6
.LBB723_134:                            ;   in Loop: Header=BB723_136 Depth=1
	global_load_u16 v37, v[35:36], off
	global_load_u16 v38, v[33:34], off
	v_add_co_u32 v33, vcc_lo, v33, 2
	v_add_co_ci_u32_e32 v34, vcc_lo, 0, v34, vcc_lo
	v_add_co_u32 v35, s2, v35, 2
	s_delay_alu instid0(VALU_DEP_1)
	v_add_co_ci_u32_e64 v36, s2, 0, v36, s2
	s_add_u32 s18, s18, 1
	s_addc_u32 s19, s19, 0
	s_and_not1_b32 s2, s29, exec_lo
	s_waitcnt vmcnt(0)
	v_cmp_ne_u16_e32 vcc_lo, v37, v38
	s_and_b32 s29, vcc_lo, exec_lo
	s_delay_alu instid0(SALU_CYCLE_1)
	s_or_b32 s29, s2, s29
.LBB723_135:                            ;   in Loop: Header=BB723_136 Depth=1
	v_dual_mov_b32 v38, s19 :: v_dual_mov_b32 v37, s18
	s_and_b32 s2, exec_lo, s29
	s_delay_alu instid0(SALU_CYCLE_1) | instskip(NEXT) | instid1(SALU_CYCLE_1)
	s_or_b32 s27, s2, s27
	s_and_not1_b32 exec_lo, exec_lo, s27
	s_cbranch_execz .LBB723_138
.LBB723_136:                            ; =>This Inner Loop Header: Depth=1
	s_or_b32 s29, s29, exec_lo
	s_cmp_eq_u64 s[6:7], s[18:19]
	s_cbranch_scc0 .LBB723_134
; %bb.137:                              ;   in Loop: Header=BB723_136 Depth=1
	s_mov_b64 s[18:19], s[22:23]
                                        ; implicit-def: $vgpr33_vgpr34
                                        ; implicit-def: $vgpr35_vgpr36
	s_branch .LBB723_135
.LBB723_138:
	s_set_inst_prefetch_distance 0x2
	s_or_b32 exec_lo, exec_lo, s27
	v_cmp_gt_i64_e32 vcc_lo, s[22:23], v[37:38]
	s_or_not1_b32 s2, vcc_lo, exec_lo
.LBB723_139:
	s_or_b32 exec_lo, exec_lo, s3
.LBB723_140:
	s_delay_alu instid0(SALU_CYCLE_1)
	s_and_b32 s3, s2, exec_lo
.LBB723_141:
	s_or_b32 exec_lo, exec_lo, s25
	v_or_b32_e32 v33, 5, v55
	s_mov_b32 s27, 0
	s_mov_b32 s25, 0
	s_mov_b32 s29, exec_lo
	s_delay_alu instid0(VALU_DEP_1)
	v_cmpx_gt_u32_e64 s28, v33
	s_cbranch_execz .LBB723_152
; %bb.142:
	v_cmp_ne_u32_e32 vcc_lo, 1, v41
	s_mov_b32 s2, 0
	s_cbranch_vccnz .LBB723_151
; %bb.143:
	v_mul_lo_u32 v37, v22, s22
	v_mul_lo_u32 v38, v21, s23
	v_mad_u64_u32 v[33:34], null, v21, s22, 0
	v_mul_lo_u32 v39, v24, s22
	v_mul_lo_u32 v40, v23, s23
	s_waitcnt lgkmcnt(0)
	v_mad_u64_u32 v[35:36], null, v23, s22, 0
	s_mov_b32 s2, -1
	s_mov_b32 s25, exec_lo
	s_delay_alu instid0(VALU_DEP_4) | instskip(NEXT) | instid1(VALU_DEP_2)
	v_add3_u32 v34, v34, v38, v37
	v_add3_u32 v36, v36, v40, v39
	s_delay_alu instid0(VALU_DEP_2) | instskip(NEXT) | instid1(VALU_DEP_2)
	v_lshlrev_b64 v[33:34], 1, v[33:34]
	v_lshlrev_b64 v[37:38], 1, v[35:36]
	s_delay_alu instid0(VALU_DEP_2) | instskip(NEXT) | instid1(VALU_DEP_3)
	v_add_co_u32 v35, vcc_lo, s8, v33
	v_add_co_ci_u32_e32 v36, vcc_lo, s9, v34, vcc_lo
	s_delay_alu instid0(VALU_DEP_3) | instskip(NEXT) | instid1(VALU_DEP_4)
	v_add_co_u32 v33, vcc_lo, s8, v37
	v_add_co_ci_u32_e32 v34, vcc_lo, s9, v38, vcc_lo
	s_clause 0x1
	global_load_u16 v37, v[35:36], off
	global_load_u16 v38, v[33:34], off
	s_waitcnt vmcnt(0)
	v_cmpx_eq_u16_e64 v37, v38
	s_cbranch_execz .LBB723_150
; %bb.144:
	v_add_co_u32 v33, vcc_lo, v33, 2
	v_add_co_ci_u32_e32 v34, vcc_lo, 0, v34, vcc_lo
	v_add_co_u32 v35, vcc_lo, v35, 2
	v_add_co_ci_u32_e32 v36, vcc_lo, 0, v36, vcc_lo
	s_add_u32 s6, s22, -1
	s_addc_u32 s7, s23, -1
	s_mov_b64 s[18:19], 0
	s_mov_b32 s30, 0
                                        ; implicit-def: $sgpr31
	s_set_inst_prefetch_distance 0x1
	s_branch .LBB723_147
	.p2align	6
.LBB723_145:                            ;   in Loop: Header=BB723_147 Depth=1
	global_load_u16 v37, v[35:36], off
	global_load_u16 v38, v[33:34], off
	v_add_co_u32 v33, vcc_lo, v33, 2
	v_add_co_ci_u32_e32 v34, vcc_lo, 0, v34, vcc_lo
	v_add_co_u32 v35, s2, v35, 2
	s_delay_alu instid0(VALU_DEP_1)
	v_add_co_ci_u32_e64 v36, s2, 0, v36, s2
	s_add_u32 s18, s18, 1
	s_addc_u32 s19, s19, 0
	s_and_not1_b32 s2, s31, exec_lo
	s_waitcnt vmcnt(0)
	v_cmp_ne_u16_e32 vcc_lo, v37, v38
	s_and_b32 s31, vcc_lo, exec_lo
	s_delay_alu instid0(SALU_CYCLE_1)
	s_or_b32 s31, s2, s31
.LBB723_146:                            ;   in Loop: Header=BB723_147 Depth=1
	v_dual_mov_b32 v38, s19 :: v_dual_mov_b32 v37, s18
	s_and_b32 s2, exec_lo, s31
	s_delay_alu instid0(SALU_CYCLE_1) | instskip(NEXT) | instid1(SALU_CYCLE_1)
	s_or_b32 s30, s2, s30
	s_and_not1_b32 exec_lo, exec_lo, s30
	s_cbranch_execz .LBB723_149
.LBB723_147:                            ; =>This Inner Loop Header: Depth=1
	s_or_b32 s31, s31, exec_lo
	s_cmp_eq_u64 s[6:7], s[18:19]
	s_cbranch_scc0 .LBB723_145
; %bb.148:                              ;   in Loop: Header=BB723_147 Depth=1
	s_mov_b64 s[18:19], s[22:23]
                                        ; implicit-def: $vgpr33_vgpr34
                                        ; implicit-def: $vgpr35_vgpr36
	s_branch .LBB723_146
.LBB723_149:
	s_set_inst_prefetch_distance 0x2
	s_or_b32 exec_lo, exec_lo, s30
	v_cmp_gt_i64_e32 vcc_lo, s[22:23], v[37:38]
	s_or_not1_b32 s2, vcc_lo, exec_lo
.LBB723_150:
	s_or_b32 exec_lo, exec_lo, s25
.LBB723_151:
	s_delay_alu instid0(SALU_CYCLE_1)
	s_and_b32 s25, s2, exec_lo
.LBB723_152:
	s_or_b32 exec_lo, exec_lo, s29
	v_or_b32_e32 v33, 4, v55
	s_mov_b32 s29, exec_lo
	s_delay_alu instid0(VALU_DEP_1)
	v_cmpx_gt_u32_e64 s28, v33
	s_cbranch_execz .LBB723_163
; %bb.153:
	v_cmp_ne_u32_e32 vcc_lo, 1, v41
	s_mov_b32 s2, 0
	s_cbranch_vccnz .LBB723_162
; %bb.154:
	v_mul_lo_u32 v37, v28, s22
	v_mul_lo_u32 v38, v27, s23
	v_mad_u64_u32 v[33:34], null, v27, s22, 0
	v_mul_lo_u32 v39, v22, s22
	v_mul_lo_u32 v40, v21, s23
	s_waitcnt lgkmcnt(0)
	v_mad_u64_u32 v[35:36], null, v21, s22, 0
	s_mov_b32 s2, -1
	s_mov_b32 s27, exec_lo
	s_delay_alu instid0(VALU_DEP_4) | instskip(NEXT) | instid1(VALU_DEP_2)
	v_add3_u32 v34, v34, v38, v37
	v_add3_u32 v36, v36, v40, v39
	s_delay_alu instid0(VALU_DEP_2) | instskip(NEXT) | instid1(VALU_DEP_2)
	v_lshlrev_b64 v[33:34], 1, v[33:34]
	v_lshlrev_b64 v[37:38], 1, v[35:36]
	s_delay_alu instid0(VALU_DEP_2) | instskip(NEXT) | instid1(VALU_DEP_3)
	v_add_co_u32 v35, vcc_lo, s8, v33
	v_add_co_ci_u32_e32 v36, vcc_lo, s9, v34, vcc_lo
	s_delay_alu instid0(VALU_DEP_3) | instskip(NEXT) | instid1(VALU_DEP_4)
	v_add_co_u32 v33, vcc_lo, s8, v37
	v_add_co_ci_u32_e32 v34, vcc_lo, s9, v38, vcc_lo
	s_clause 0x1
	global_load_u16 v37, v[35:36], off
	global_load_u16 v38, v[33:34], off
	s_waitcnt vmcnt(0)
	v_cmpx_eq_u16_e64 v37, v38
	s_cbranch_execz .LBB723_161
; %bb.155:
	v_add_co_u32 v33, vcc_lo, v33, 2
	v_add_co_ci_u32_e32 v34, vcc_lo, 0, v34, vcc_lo
	v_add_co_u32 v35, vcc_lo, v35, 2
	v_add_co_ci_u32_e32 v36, vcc_lo, 0, v36, vcc_lo
	s_add_u32 s6, s22, -1
	s_addc_u32 s7, s23, -1
	s_mov_b64 s[18:19], 0
	s_mov_b32 s30, 0
                                        ; implicit-def: $sgpr31
	s_set_inst_prefetch_distance 0x1
	s_branch .LBB723_158
	.p2align	6
.LBB723_156:                            ;   in Loop: Header=BB723_158 Depth=1
	global_load_u16 v37, v[35:36], off
	global_load_u16 v38, v[33:34], off
	v_add_co_u32 v33, vcc_lo, v33, 2
	v_add_co_ci_u32_e32 v34, vcc_lo, 0, v34, vcc_lo
	v_add_co_u32 v35, s2, v35, 2
	s_delay_alu instid0(VALU_DEP_1)
	v_add_co_ci_u32_e64 v36, s2, 0, v36, s2
	s_add_u32 s18, s18, 1
	s_addc_u32 s19, s19, 0
	s_and_not1_b32 s2, s31, exec_lo
	s_waitcnt vmcnt(0)
	v_cmp_ne_u16_e32 vcc_lo, v37, v38
	s_and_b32 s31, vcc_lo, exec_lo
	s_delay_alu instid0(SALU_CYCLE_1)
	s_or_b32 s31, s2, s31
.LBB723_157:                            ;   in Loop: Header=BB723_158 Depth=1
	v_dual_mov_b32 v38, s19 :: v_dual_mov_b32 v37, s18
	s_and_b32 s2, exec_lo, s31
	s_delay_alu instid0(SALU_CYCLE_1) | instskip(NEXT) | instid1(SALU_CYCLE_1)
	s_or_b32 s30, s2, s30
	s_and_not1_b32 exec_lo, exec_lo, s30
	s_cbranch_execz .LBB723_160
.LBB723_158:                            ; =>This Inner Loop Header: Depth=1
	s_or_b32 s31, s31, exec_lo
	s_cmp_eq_u64 s[6:7], s[18:19]
	s_cbranch_scc0 .LBB723_156
; %bb.159:                              ;   in Loop: Header=BB723_158 Depth=1
	s_mov_b64 s[18:19], s[22:23]
                                        ; implicit-def: $vgpr33_vgpr34
                                        ; implicit-def: $vgpr35_vgpr36
	s_branch .LBB723_157
.LBB723_160:
	s_set_inst_prefetch_distance 0x2
	s_or_b32 exec_lo, exec_lo, s30
	v_cmp_gt_i64_e32 vcc_lo, s[22:23], v[37:38]
	s_or_not1_b32 s2, vcc_lo, exec_lo
.LBB723_161:
	s_or_b32 exec_lo, exec_lo, s27
.LBB723_162:
	s_delay_alu instid0(SALU_CYCLE_1)
	s_and_b32 s27, s2, exec_lo
.LBB723_163:
	s_or_b32 exec_lo, exec_lo, s29
	v_or_b32_e32 v33, 3, v55
	s_mov_b32 s30, 0
	s_mov_b32 s29, 0
	s_mov_b32 s31, exec_lo
	s_delay_alu instid0(VALU_DEP_1)
	v_cmpx_gt_u32_e64 s28, v33
	s_cbranch_execz .LBB723_174
; %bb.164:
	v_cmp_ne_u32_e32 vcc_lo, 1, v41
	s_mov_b32 s2, 0
	s_cbranch_vccnz .LBB723_173
; %bb.165:
	v_mul_lo_u32 v37, v26, s22
	v_mul_lo_u32 v38, v25, s23
	v_mad_u64_u32 v[33:34], null, v25, s22, 0
	v_mul_lo_u32 v39, v28, s22
	v_mul_lo_u32 v40, v27, s23
	s_waitcnt lgkmcnt(0)
	v_mad_u64_u32 v[35:36], null, v27, s22, 0
	s_mov_b32 s2, -1
	s_mov_b32 s29, exec_lo
	s_delay_alu instid0(VALU_DEP_4) | instskip(NEXT) | instid1(VALU_DEP_2)
	v_add3_u32 v34, v34, v38, v37
	v_add3_u32 v36, v36, v40, v39
	s_delay_alu instid0(VALU_DEP_2) | instskip(NEXT) | instid1(VALU_DEP_2)
	v_lshlrev_b64 v[33:34], 1, v[33:34]
	v_lshlrev_b64 v[37:38], 1, v[35:36]
	s_delay_alu instid0(VALU_DEP_2) | instskip(NEXT) | instid1(VALU_DEP_3)
	v_add_co_u32 v35, vcc_lo, s8, v33
	v_add_co_ci_u32_e32 v36, vcc_lo, s9, v34, vcc_lo
	s_delay_alu instid0(VALU_DEP_3) | instskip(NEXT) | instid1(VALU_DEP_4)
	v_add_co_u32 v33, vcc_lo, s8, v37
	v_add_co_ci_u32_e32 v34, vcc_lo, s9, v38, vcc_lo
	s_clause 0x1
	global_load_u16 v37, v[35:36], off
	global_load_u16 v38, v[33:34], off
	s_waitcnt vmcnt(0)
	v_cmpx_eq_u16_e64 v37, v38
	s_cbranch_execz .LBB723_172
; %bb.166:
	v_add_co_u32 v33, vcc_lo, v33, 2
	v_add_co_ci_u32_e32 v34, vcc_lo, 0, v34, vcc_lo
	v_add_co_u32 v35, vcc_lo, v35, 2
	v_add_co_ci_u32_e32 v36, vcc_lo, 0, v36, vcc_lo
	s_add_u32 s6, s22, -1
	s_addc_u32 s7, s23, -1
	s_mov_b64 s[18:19], 0
	s_mov_b32 s33, 0
                                        ; implicit-def: $sgpr34
	s_set_inst_prefetch_distance 0x1
	s_branch .LBB723_169
	.p2align	6
.LBB723_167:                            ;   in Loop: Header=BB723_169 Depth=1
	global_load_u16 v37, v[35:36], off
	global_load_u16 v38, v[33:34], off
	v_add_co_u32 v33, vcc_lo, v33, 2
	v_add_co_ci_u32_e32 v34, vcc_lo, 0, v34, vcc_lo
	v_add_co_u32 v35, s2, v35, 2
	s_delay_alu instid0(VALU_DEP_1)
	v_add_co_ci_u32_e64 v36, s2, 0, v36, s2
	s_add_u32 s18, s18, 1
	s_addc_u32 s19, s19, 0
	s_and_not1_b32 s2, s34, exec_lo
	s_waitcnt vmcnt(0)
	v_cmp_ne_u16_e32 vcc_lo, v37, v38
	s_and_b32 s34, vcc_lo, exec_lo
	s_delay_alu instid0(SALU_CYCLE_1)
	s_or_b32 s34, s2, s34
.LBB723_168:                            ;   in Loop: Header=BB723_169 Depth=1
	v_dual_mov_b32 v38, s19 :: v_dual_mov_b32 v37, s18
	s_and_b32 s2, exec_lo, s34
	s_delay_alu instid0(SALU_CYCLE_1) | instskip(NEXT) | instid1(SALU_CYCLE_1)
	s_or_b32 s33, s2, s33
	s_and_not1_b32 exec_lo, exec_lo, s33
	s_cbranch_execz .LBB723_171
.LBB723_169:                            ; =>This Inner Loop Header: Depth=1
	s_or_b32 s34, s34, exec_lo
	s_cmp_eq_u64 s[6:7], s[18:19]
	s_cbranch_scc0 .LBB723_167
; %bb.170:                              ;   in Loop: Header=BB723_169 Depth=1
	s_mov_b64 s[18:19], s[22:23]
                                        ; implicit-def: $vgpr33_vgpr34
                                        ; implicit-def: $vgpr35_vgpr36
	s_branch .LBB723_168
.LBB723_171:
	s_set_inst_prefetch_distance 0x2
	s_or_b32 exec_lo, exec_lo, s33
	v_cmp_gt_i64_e32 vcc_lo, s[22:23], v[37:38]
	s_or_not1_b32 s2, vcc_lo, exec_lo
.LBB723_172:
	s_or_b32 exec_lo, exec_lo, s29
.LBB723_173:
	s_delay_alu instid0(SALU_CYCLE_1)
	s_and_b32 s29, s2, exec_lo
.LBB723_174:
	s_or_b32 exec_lo, exec_lo, s31
	v_or_b32_e32 v33, 2, v55
	s_mov_b32 s31, exec_lo
	s_delay_alu instid0(VALU_DEP_1)
	v_cmpx_gt_u32_e64 s28, v33
	s_cbranch_execz .LBB723_185
; %bb.175:
	v_cmp_ne_u32_e32 vcc_lo, 1, v41
	s_mov_b32 s2, 0
	s_cbranch_vccnz .LBB723_184
; %bb.176:
	v_mul_lo_u32 v37, v32, s22
	v_mul_lo_u32 v38, v31, s23
	v_mad_u64_u32 v[33:34], null, v31, s22, 0
	v_mul_lo_u32 v39, v26, s22
	v_mul_lo_u32 v40, v25, s23
	s_waitcnt lgkmcnt(0)
	v_mad_u64_u32 v[35:36], null, v25, s22, 0
	s_mov_b32 s2, -1
	s_mov_b32 s30, exec_lo
	s_delay_alu instid0(VALU_DEP_4) | instskip(NEXT) | instid1(VALU_DEP_2)
	v_add3_u32 v34, v34, v38, v37
	v_add3_u32 v36, v36, v40, v39
	s_delay_alu instid0(VALU_DEP_2) | instskip(NEXT) | instid1(VALU_DEP_2)
	v_lshlrev_b64 v[33:34], 1, v[33:34]
	v_lshlrev_b64 v[37:38], 1, v[35:36]
	s_delay_alu instid0(VALU_DEP_2) | instskip(NEXT) | instid1(VALU_DEP_3)
	v_add_co_u32 v35, vcc_lo, s8, v33
	v_add_co_ci_u32_e32 v36, vcc_lo, s9, v34, vcc_lo
	s_delay_alu instid0(VALU_DEP_3) | instskip(NEXT) | instid1(VALU_DEP_4)
	v_add_co_u32 v33, vcc_lo, s8, v37
	v_add_co_ci_u32_e32 v34, vcc_lo, s9, v38, vcc_lo
	s_clause 0x1
	global_load_u16 v37, v[35:36], off
	global_load_u16 v38, v[33:34], off
	s_waitcnt vmcnt(0)
	v_cmpx_eq_u16_e64 v37, v38
	s_cbranch_execz .LBB723_183
; %bb.177:
	v_add_co_u32 v33, vcc_lo, v33, 2
	v_add_co_ci_u32_e32 v34, vcc_lo, 0, v34, vcc_lo
	v_add_co_u32 v35, vcc_lo, v35, 2
	v_add_co_ci_u32_e32 v36, vcc_lo, 0, v36, vcc_lo
	s_add_u32 s6, s22, -1
	s_addc_u32 s7, s23, -1
	s_mov_b64 s[18:19], 0
	s_mov_b32 s33, 0
                                        ; implicit-def: $sgpr34
	s_set_inst_prefetch_distance 0x1
	s_branch .LBB723_180
	.p2align	6
.LBB723_178:                            ;   in Loop: Header=BB723_180 Depth=1
	global_load_u16 v37, v[35:36], off
	global_load_u16 v38, v[33:34], off
	v_add_co_u32 v33, vcc_lo, v33, 2
	v_add_co_ci_u32_e32 v34, vcc_lo, 0, v34, vcc_lo
	v_add_co_u32 v35, s2, v35, 2
	s_delay_alu instid0(VALU_DEP_1)
	v_add_co_ci_u32_e64 v36, s2, 0, v36, s2
	s_add_u32 s18, s18, 1
	s_addc_u32 s19, s19, 0
	s_and_not1_b32 s2, s34, exec_lo
	s_waitcnt vmcnt(0)
	v_cmp_ne_u16_e32 vcc_lo, v37, v38
	s_and_b32 s34, vcc_lo, exec_lo
	s_delay_alu instid0(SALU_CYCLE_1)
	s_or_b32 s34, s2, s34
.LBB723_179:                            ;   in Loop: Header=BB723_180 Depth=1
	v_dual_mov_b32 v38, s19 :: v_dual_mov_b32 v37, s18
	s_and_b32 s2, exec_lo, s34
	s_delay_alu instid0(SALU_CYCLE_1) | instskip(NEXT) | instid1(SALU_CYCLE_1)
	s_or_b32 s33, s2, s33
	s_and_not1_b32 exec_lo, exec_lo, s33
	s_cbranch_execz .LBB723_182
.LBB723_180:                            ; =>This Inner Loop Header: Depth=1
	s_or_b32 s34, s34, exec_lo
	s_cmp_eq_u64 s[6:7], s[18:19]
	s_cbranch_scc0 .LBB723_178
; %bb.181:                              ;   in Loop: Header=BB723_180 Depth=1
	s_mov_b64 s[18:19], s[22:23]
                                        ; implicit-def: $vgpr33_vgpr34
                                        ; implicit-def: $vgpr35_vgpr36
	s_branch .LBB723_179
.LBB723_182:
	s_set_inst_prefetch_distance 0x2
	s_or_b32 exec_lo, exec_lo, s33
	v_cmp_gt_i64_e32 vcc_lo, s[22:23], v[37:38]
	s_or_not1_b32 s2, vcc_lo, exec_lo
.LBB723_183:
	s_or_b32 exec_lo, exec_lo, s30
.LBB723_184:
	s_delay_alu instid0(SALU_CYCLE_1)
	s_and_b32 s30, s2, exec_lo
.LBB723_185:
	s_or_b32 exec_lo, exec_lo, s31
	v_or_b32_e32 v33, 1, v55
	s_mov_b32 s2, 0
	s_mov_b32 s31, exec_lo
	s_delay_alu instid0(VALU_DEP_1)
	v_cmpx_gt_u32_e64 s28, v33
	s_cbranch_execz .LBB723_196
; %bb.186:
	v_cmp_ne_u32_e32 vcc_lo, 1, v41
	s_cbranch_vccnz .LBB723_195
; %bb.187:
	v_mul_lo_u32 v37, v30, s22
	v_mul_lo_u32 v38, v29, s23
	v_mad_u64_u32 v[33:34], null, v29, s22, 0
	v_mul_lo_u32 v39, v32, s22
	v_mul_lo_u32 v40, v31, s23
	s_waitcnt lgkmcnt(0)
	v_mad_u64_u32 v[35:36], null, v31, s22, 0
	s_mov_b32 s2, -1
	s_mov_b32 s33, exec_lo
	s_delay_alu instid0(VALU_DEP_4) | instskip(NEXT) | instid1(VALU_DEP_2)
	v_add3_u32 v34, v34, v38, v37
	v_add3_u32 v36, v36, v40, v39
	s_delay_alu instid0(VALU_DEP_2) | instskip(NEXT) | instid1(VALU_DEP_2)
	v_lshlrev_b64 v[33:34], 1, v[33:34]
	v_lshlrev_b64 v[37:38], 1, v[35:36]
	s_delay_alu instid0(VALU_DEP_2) | instskip(NEXT) | instid1(VALU_DEP_3)
	v_add_co_u32 v35, vcc_lo, s8, v33
	v_add_co_ci_u32_e32 v36, vcc_lo, s9, v34, vcc_lo
	s_delay_alu instid0(VALU_DEP_3) | instskip(NEXT) | instid1(VALU_DEP_4)
	v_add_co_u32 v33, vcc_lo, s8, v37
	v_add_co_ci_u32_e32 v34, vcc_lo, s9, v38, vcc_lo
	s_clause 0x1
	global_load_u16 v37, v[35:36], off
	global_load_u16 v38, v[33:34], off
	s_waitcnt vmcnt(0)
	v_cmpx_eq_u16_e64 v37, v38
	s_cbranch_execz .LBB723_194
; %bb.188:
	v_add_co_u32 v33, vcc_lo, v33, 2
	v_add_co_ci_u32_e32 v34, vcc_lo, 0, v34, vcc_lo
	v_add_co_u32 v35, vcc_lo, v35, 2
	v_add_co_ci_u32_e32 v36, vcc_lo, 0, v36, vcc_lo
	s_add_u32 s6, s22, -1
	s_addc_u32 s7, s23, -1
	s_mov_b64 s[18:19], 0
	s_mov_b32 s34, 0
                                        ; implicit-def: $sgpr35
	s_set_inst_prefetch_distance 0x1
	s_branch .LBB723_191
	.p2align	6
.LBB723_189:                            ;   in Loop: Header=BB723_191 Depth=1
	global_load_u16 v37, v[35:36], off
	global_load_u16 v38, v[33:34], off
	v_add_co_u32 v33, vcc_lo, v33, 2
	v_add_co_ci_u32_e32 v34, vcc_lo, 0, v34, vcc_lo
	v_add_co_u32 v35, s2, v35, 2
	s_delay_alu instid0(VALU_DEP_1)
	v_add_co_ci_u32_e64 v36, s2, 0, v36, s2
	s_add_u32 s18, s18, 1
	s_addc_u32 s19, s19, 0
	s_and_not1_b32 s2, s35, exec_lo
	s_waitcnt vmcnt(0)
	v_cmp_ne_u16_e32 vcc_lo, v37, v38
	s_and_b32 s35, vcc_lo, exec_lo
	s_delay_alu instid0(SALU_CYCLE_1)
	s_or_b32 s35, s2, s35
.LBB723_190:                            ;   in Loop: Header=BB723_191 Depth=1
	v_dual_mov_b32 v38, s19 :: v_dual_mov_b32 v37, s18
	s_and_b32 s2, exec_lo, s35
	s_delay_alu instid0(SALU_CYCLE_1) | instskip(NEXT) | instid1(SALU_CYCLE_1)
	s_or_b32 s34, s2, s34
	s_and_not1_b32 exec_lo, exec_lo, s34
	s_cbranch_execz .LBB723_193
.LBB723_191:                            ; =>This Inner Loop Header: Depth=1
	s_or_b32 s35, s35, exec_lo
	s_cmp_eq_u64 s[6:7], s[18:19]
	s_cbranch_scc0 .LBB723_189
; %bb.192:                              ;   in Loop: Header=BB723_191 Depth=1
	s_mov_b64 s[18:19], s[22:23]
                                        ; implicit-def: $vgpr33_vgpr34
                                        ; implicit-def: $vgpr35_vgpr36
	s_branch .LBB723_190
.LBB723_193:
	s_set_inst_prefetch_distance 0x2
	s_or_b32 exec_lo, exec_lo, s34
	v_cmp_gt_i64_e32 vcc_lo, s[22:23], v[37:38]
	s_or_not1_b32 s2, vcc_lo, exec_lo
.LBB723_194:
	s_or_b32 exec_lo, exec_lo, s33
.LBB723_195:
	s_delay_alu instid0(SALU_CYCLE_1)
	s_and_b32 s2, s2, exec_lo
.LBB723_196:
	s_or_b32 exec_lo, exec_lo, s31
	s_waitcnt lgkmcnt(0)
	v_dual_mov_b32 v34, s5 :: v_dual_mov_b32 v33, s4
	s_mov_b32 s4, exec_lo
	s_barrier
	buffer_gl0_inv
	v_cmpx_ne_u32_e32 0, v0
	s_cbranch_execz .LBB723_198
; %bb.197:
	v_add_nc_u32_e32 v33, -8, v55
	ds_load_b64 v[33:34], v33
.LBB723_198:
	s_or_b32 exec_lo, exec_lo, s4
	v_cndmask_b32_e64 v36, 0, 1, s29
	v_cndmask_b32_e64 v38, 0, 1, s25
	;; [unrolled: 1-line block ×7, first 2 shown]
	v_lshlrev_b16 v36, 8, v36
	v_lshlrev_b16 v38, 8, v38
	;; [unrolled: 1-line block ×3, first 2 shown]
	s_mov_b32 s2, 0
	v_lshlrev_b16 v42, 8, v42
	v_or_b32_e32 v35, v35, v36
	v_or_b32_e32 v36, v37, v38
	;; [unrolled: 1-line block ×3, first 2 shown]
	s_mov_b32 s3, exec_lo
	v_and_b32_e32 v39, 0xffff, v42
	v_lshlrev_b32_e32 v40, 16, v35
	v_and_b32_e32 v42, 0xffff, v36
	v_lshlrev_b32_e32 v43, 16, v37
	v_cmpx_gt_u32_e64 s28, v55
	s_cbranch_execz .LBB723_209
; %bb.199:
	v_cmp_ne_u32_e32 vcc_lo, 1, v41
	s_cbranch_vccnz .LBB723_208
; %bb.200:
	s_waitcnt lgkmcnt(0)
	v_mul_lo_u32 v38, v34, s22
	v_mul_lo_u32 v41, v33, s23
	v_mad_u64_u32 v[34:35], null, v33, s22, 0
	v_mul_lo_u32 v33, v30, s22
	v_mul_lo_u32 v44, v29, s23
	v_mad_u64_u32 v[36:37], null, v29, s22, 0
	s_mov_b32 s2, -1
	s_mov_b32 s18, exec_lo
	s_delay_alu instid0(VALU_DEP_4) | instskip(NEXT) | instid1(VALU_DEP_2)
	v_add3_u32 v35, v35, v41, v38
	v_add3_u32 v37, v37, v44, v33
	s_delay_alu instid0(VALU_DEP_2) | instskip(NEXT) | instid1(VALU_DEP_2)
	v_lshlrev_b64 v[33:34], 1, v[34:35]
	v_lshlrev_b64 v[37:38], 1, v[36:37]
	s_delay_alu instid0(VALU_DEP_2) | instskip(NEXT) | instid1(VALU_DEP_3)
	v_add_co_u32 v35, vcc_lo, s8, v33
	v_add_co_ci_u32_e32 v36, vcc_lo, s9, v34, vcc_lo
	s_delay_alu instid0(VALU_DEP_3) | instskip(NEXT) | instid1(VALU_DEP_4)
	v_add_co_u32 v33, vcc_lo, s8, v37
	v_add_co_ci_u32_e32 v34, vcc_lo, s9, v38, vcc_lo
	s_clause 0x1
	global_load_u16 v37, v[35:36], off
	global_load_u16 v38, v[33:34], off
	s_waitcnt vmcnt(0)
	v_cmpx_eq_u16_e64 v37, v38
	s_cbranch_execz .LBB723_207
; %bb.201:
	v_add_co_u32 v33, vcc_lo, v33, 2
	v_add_co_ci_u32_e32 v34, vcc_lo, 0, v34, vcc_lo
	v_add_co_u32 v35, vcc_lo, v35, 2
	v_add_co_ci_u32_e32 v36, vcc_lo, 0, v36, vcc_lo
	s_add_u32 s4, s22, -1
	s_addc_u32 s5, s23, -1
	s_mov_b64 s[6:7], 0
	s_mov_b32 s19, 0
                                        ; implicit-def: $sgpr25
	s_set_inst_prefetch_distance 0x1
	s_branch .LBB723_204
	.p2align	6
.LBB723_202:                            ;   in Loop: Header=BB723_204 Depth=1
	global_load_u16 v37, v[35:36], off
	global_load_u16 v38, v[33:34], off
	v_add_co_u32 v33, vcc_lo, v33, 2
	v_add_co_ci_u32_e32 v34, vcc_lo, 0, v34, vcc_lo
	v_add_co_u32 v35, s2, v35, 2
	s_delay_alu instid0(VALU_DEP_1)
	v_add_co_ci_u32_e64 v36, s2, 0, v36, s2
	s_add_u32 s6, s6, 1
	s_addc_u32 s7, s7, 0
	s_and_not1_b32 s2, s25, exec_lo
	s_waitcnt vmcnt(0)
	v_cmp_ne_u16_e32 vcc_lo, v37, v38
	s_and_b32 s25, vcc_lo, exec_lo
	s_delay_alu instid0(SALU_CYCLE_1)
	s_or_b32 s25, s2, s25
.LBB723_203:                            ;   in Loop: Header=BB723_204 Depth=1
	v_dual_mov_b32 v38, s7 :: v_dual_mov_b32 v37, s6
	s_and_b32 s2, exec_lo, s25
	s_delay_alu instid0(SALU_CYCLE_1) | instskip(NEXT) | instid1(SALU_CYCLE_1)
	s_or_b32 s19, s2, s19
	s_and_not1_b32 exec_lo, exec_lo, s19
	s_cbranch_execz .LBB723_206
.LBB723_204:                            ; =>This Inner Loop Header: Depth=1
	s_or_b32 s25, s25, exec_lo
	s_cmp_eq_u64 s[4:5], s[6:7]
	s_cbranch_scc0 .LBB723_202
; %bb.205:                              ;   in Loop: Header=BB723_204 Depth=1
	s_mov_b64 s[6:7], s[22:23]
                                        ; implicit-def: $vgpr33_vgpr34
                                        ; implicit-def: $vgpr35_vgpr36
	s_branch .LBB723_203
.LBB723_206:
	s_set_inst_prefetch_distance 0x2
	s_or_b32 exec_lo, exec_lo, s19
	v_cmp_gt_i64_e32 vcc_lo, s[22:23], v[37:38]
	s_or_not1_b32 s2, vcc_lo, exec_lo
.LBB723_207:
	s_or_b32 exec_lo, exec_lo, s18
.LBB723_208:
	s_delay_alu instid0(SALU_CYCLE_1)
	s_and_b32 s2, s2, exec_lo
.LBB723_209:
	s_or_b32 exec_lo, exec_lo, s3
	s_waitcnt lgkmcnt(0)
	v_or_b32_e32 v33, v39, v40
	v_or_b32_e32 v34, v42, v43
.LBB723_210:
	s_waitcnt lgkmcnt(0)
	s_mov_b32 s3, -1
	s_cbranch_execnz .LBB723_379
.LBB723_211:
	v_cmp_gt_i64_e64 s18, s[22:23], 0
	s_and_b32 vcc_lo, exec_lo, s20
	ds_store_b64 v55, v[19:20]
	s_cbranch_vccz .LBB723_219
; %bb.212:
	v_mul_lo_u32 v35, v18, s22
	v_mul_lo_u32 v36, v17, s23
	v_mad_u64_u32 v[33:34], null, v17, s22, 0
	s_mov_b32 s19, 0
	s_and_not1_b32 vcc_lo, exec_lo, s18
	s_mov_b32 s25, 0
	s_delay_alu instid0(VALU_DEP_1) | instskip(NEXT) | instid1(VALU_DEP_1)
	v_add3_u32 v34, v34, v36, v35
	v_lshlrev_b64 v[33:34], 1, v[33:34]
	s_cbranch_vccnz .LBB723_222
; %bb.213:
	v_mul_lo_u32 v37, v20, s22
	v_mul_lo_u32 v38, v19, s23
	v_mad_u64_u32 v[35:36], null, v19, s22, 0
	s_mov_b32 s25, -1
	s_mov_b32 s26, exec_lo
	s_delay_alu instid0(VALU_DEP_1) | instskip(SKIP_2) | instid1(VALU_DEP_3)
	v_add3_u32 v36, v36, v38, v37
	v_add_co_u32 v37, vcc_lo, s8, v33
	v_add_co_ci_u32_e32 v38, vcc_lo, s9, v34, vcc_lo
	v_lshlrev_b64 v[35:36], 1, v[35:36]
	s_delay_alu instid0(VALU_DEP_1) | instskip(NEXT) | instid1(VALU_DEP_2)
	v_add_co_u32 v35, vcc_lo, s8, v35
	v_add_co_ci_u32_e32 v36, vcc_lo, s9, v36, vcc_lo
	s_clause 0x1
	global_load_u16 v39, v[37:38], off
	global_load_u16 v40, v[35:36], off
	s_waitcnt vmcnt(0)
	v_cmpx_eq_u16_e64 v39, v40
	s_cbranch_execz .LBB723_221
; %bb.214:
	v_add_co_u32 v35, vcc_lo, v35, 2
	v_add_co_ci_u32_e32 v36, vcc_lo, 0, v36, vcc_lo
	v_add_co_u32 v37, vcc_lo, v37, 2
	v_add_co_ci_u32_e32 v38, vcc_lo, 0, v38, vcc_lo
	s_add_u32 s4, s22, -1
	s_addc_u32 s5, s23, -1
	s_mov_b64 s[6:7], 0
	s_mov_b32 s25, 0
                                        ; implicit-def: $sgpr27
	s_set_inst_prefetch_distance 0x1
	s_branch .LBB723_217
	.p2align	6
.LBB723_215:                            ;   in Loop: Header=BB723_217 Depth=1
	global_load_u16 v39, v[37:38], off
	global_load_u16 v40, v[35:36], off
	v_add_co_u32 v35, vcc_lo, v35, 2
	v_add_co_ci_u32_e32 v36, vcc_lo, 0, v36, vcc_lo
	v_add_co_u32 v37, s2, v37, 2
	s_delay_alu instid0(VALU_DEP_1)
	v_add_co_ci_u32_e64 v38, s2, 0, v38, s2
	s_add_u32 s6, s6, 1
	s_addc_u32 s7, s7, 0
	s_and_not1_b32 s2, s27, exec_lo
	s_waitcnt vmcnt(0)
	v_cmp_ne_u16_e32 vcc_lo, v39, v40
	s_and_b32 s27, vcc_lo, exec_lo
	s_delay_alu instid0(SALU_CYCLE_1)
	s_or_b32 s27, s2, s27
.LBB723_216:                            ;   in Loop: Header=BB723_217 Depth=1
	v_dual_mov_b32 v40, s7 :: v_dual_mov_b32 v39, s6
	s_and_b32 s2, exec_lo, s27
	s_delay_alu instid0(SALU_CYCLE_1) | instskip(NEXT) | instid1(SALU_CYCLE_1)
	s_or_b32 s25, s2, s25
	s_and_not1_b32 exec_lo, exec_lo, s25
	s_cbranch_execz .LBB723_220
.LBB723_217:                            ; =>This Inner Loop Header: Depth=1
	s_or_b32 s27, s27, exec_lo
	s_cmp_eq_u64 s[4:5], s[6:7]
	s_cbranch_scc0 .LBB723_215
; %bb.218:                              ;   in Loop: Header=BB723_217 Depth=1
	s_mov_b64 s[6:7], s[22:23]
                                        ; implicit-def: $vgpr35_vgpr36
                                        ; implicit-def: $vgpr37_vgpr38
	s_branch .LBB723_216
.LBB723_219:
                                        ; implicit-def: $sgpr2
                                        ; implicit-def: $vgpr34
	s_cbranch_execnz .LBB723_288
	s_branch .LBB723_379
.LBB723_220:
	s_set_inst_prefetch_distance 0x2
	s_or_b32 exec_lo, exec_lo, s25
	v_cmp_gt_i64_e32 vcc_lo, s[22:23], v[39:40]
	s_or_not1_b32 s25, vcc_lo, exec_lo
.LBB723_221:
	s_or_b32 exec_lo, exec_lo, s26
.LBB723_222:
	v_mul_lo_u32 v37, v24, s22
	v_mul_lo_u32 v38, v23, s23
	v_mad_u64_u32 v[35:36], null, v23, s22, 0
	s_and_not1_b32 vcc_lo, exec_lo, s18
	s_delay_alu instid0(VALU_DEP_1) | instskip(NEXT) | instid1(VALU_DEP_1)
	v_add3_u32 v36, v36, v38, v37
	v_lshlrev_b64 v[35:36], 1, v[35:36]
	s_cbranch_vccnz .LBB723_231
; %bb.223:
	s_delay_alu instid0(VALU_DEP_1) | instskip(NEXT) | instid1(VALU_DEP_2)
	v_add_co_u32 v37, vcc_lo, s8, v35
	v_add_co_ci_u32_e32 v38, vcc_lo, s9, v36, vcc_lo
	v_add_co_u32 v33, vcc_lo, s8, v33
	v_add_co_ci_u32_e32 v34, vcc_lo, s9, v34, vcc_lo
	s_mov_b32 s19, -1
	s_clause 0x1
	global_load_u16 v39, v[37:38], off
	global_load_u16 v40, v[33:34], off
	s_mov_b32 s26, exec_lo
	s_waitcnt vmcnt(0)
	v_cmpx_eq_u16_e64 v39, v40
	s_cbranch_execz .LBB723_230
; %bb.224:
	v_add_co_u32 v33, vcc_lo, v33, 2
	v_add_co_ci_u32_e32 v34, vcc_lo, 0, v34, vcc_lo
	v_add_co_u32 v37, vcc_lo, v37, 2
	v_add_co_ci_u32_e32 v38, vcc_lo, 0, v38, vcc_lo
	s_add_u32 s4, s22, -1
	s_addc_u32 s5, s23, -1
	s_mov_b64 s[6:7], 0
	s_mov_b32 s19, 0
                                        ; implicit-def: $sgpr27
	s_set_inst_prefetch_distance 0x1
	s_branch .LBB723_227
	.p2align	6
.LBB723_225:                            ;   in Loop: Header=BB723_227 Depth=1
	global_load_u16 v39, v[37:38], off
	global_load_u16 v40, v[33:34], off
	v_add_co_u32 v33, vcc_lo, v33, 2
	v_add_co_ci_u32_e32 v34, vcc_lo, 0, v34, vcc_lo
	v_add_co_u32 v37, s2, v37, 2
	s_delay_alu instid0(VALU_DEP_1)
	v_add_co_ci_u32_e64 v38, s2, 0, v38, s2
	s_add_u32 s6, s6, 1
	s_addc_u32 s7, s7, 0
	s_and_not1_b32 s2, s27, exec_lo
	s_waitcnt vmcnt(0)
	v_cmp_ne_u16_e32 vcc_lo, v39, v40
	s_and_b32 s27, vcc_lo, exec_lo
	s_delay_alu instid0(SALU_CYCLE_1)
	s_or_b32 s27, s2, s27
.LBB723_226:                            ;   in Loop: Header=BB723_227 Depth=1
	v_dual_mov_b32 v40, s7 :: v_dual_mov_b32 v39, s6
	s_and_b32 s2, exec_lo, s27
	s_delay_alu instid0(SALU_CYCLE_1) | instskip(NEXT) | instid1(SALU_CYCLE_1)
	s_or_b32 s19, s2, s19
	s_and_not1_b32 exec_lo, exec_lo, s19
	s_cbranch_execz .LBB723_229
.LBB723_227:                            ; =>This Inner Loop Header: Depth=1
	s_or_b32 s27, s27, exec_lo
	s_cmp_eq_u64 s[4:5], s[6:7]
	s_cbranch_scc0 .LBB723_225
; %bb.228:                              ;   in Loop: Header=BB723_227 Depth=1
	s_mov_b64 s[6:7], s[22:23]
                                        ; implicit-def: $vgpr33_vgpr34
                                        ; implicit-def: $vgpr37_vgpr38
	s_branch .LBB723_226
.LBB723_229:
	s_set_inst_prefetch_distance 0x2
	s_or_b32 exec_lo, exec_lo, s19
	v_cmp_gt_i64_e32 vcc_lo, s[22:23], v[39:40]
	s_or_not1_b32 s19, vcc_lo, exec_lo
.LBB723_230:
	s_or_b32 exec_lo, exec_lo, s26
.LBB723_231:
	v_mul_lo_u32 v37, v22, s22
	v_mul_lo_u32 v38, v21, s23
	v_mad_u64_u32 v[33:34], null, v21, s22, 0
	s_mov_b32 s26, 0
	s_and_not1_b32 vcc_lo, exec_lo, s18
	s_mov_b32 s27, 0
	s_delay_alu instid0(VALU_DEP_1) | instskip(NEXT) | instid1(VALU_DEP_1)
	v_add3_u32 v34, v34, v38, v37
	v_lshlrev_b64 v[37:38], 1, v[33:34]
	s_cbranch_vccnz .LBB723_240
; %bb.232:
	s_delay_alu instid0(VALU_DEP_1) | instskip(NEXT) | instid1(VALU_DEP_2)
	v_add_co_u32 v39, vcc_lo, s8, v37
	v_add_co_ci_u32_e32 v40, vcc_lo, s9, v38, vcc_lo
	v_add_co_u32 v33, vcc_lo, s8, v35
	v_add_co_ci_u32_e32 v34, vcc_lo, s9, v36, vcc_lo
	s_mov_b32 s27, -1
	s_clause 0x1
	global_load_u16 v35, v[39:40], off
	global_load_u16 v36, v[33:34], off
	s_mov_b32 s29, exec_lo
	s_waitcnt vmcnt(0)
	v_cmpx_eq_u16_e64 v35, v36
	s_cbranch_execz .LBB723_239
; %bb.233:
	v_add_co_u32 v33, vcc_lo, v33, 2
	v_add_co_ci_u32_e32 v34, vcc_lo, 0, v34, vcc_lo
	v_add_co_u32 v35, vcc_lo, v39, 2
	v_add_co_ci_u32_e32 v36, vcc_lo, 0, v40, vcc_lo
	s_add_u32 s4, s22, -1
	s_addc_u32 s5, s23, -1
	s_mov_b64 s[6:7], 0
	s_mov_b32 s27, 0
                                        ; implicit-def: $sgpr30
	s_set_inst_prefetch_distance 0x1
	s_branch .LBB723_236
	.p2align	6
.LBB723_234:                            ;   in Loop: Header=BB723_236 Depth=1
	global_load_u16 v39, v[35:36], off
	global_load_u16 v40, v[33:34], off
	v_add_co_u32 v33, vcc_lo, v33, 2
	v_add_co_ci_u32_e32 v34, vcc_lo, 0, v34, vcc_lo
	v_add_co_u32 v35, s2, v35, 2
	s_delay_alu instid0(VALU_DEP_1)
	v_add_co_ci_u32_e64 v36, s2, 0, v36, s2
	s_add_u32 s6, s6, 1
	s_addc_u32 s7, s7, 0
	s_and_not1_b32 s2, s30, exec_lo
	s_waitcnt vmcnt(0)
	v_cmp_ne_u16_e32 vcc_lo, v39, v40
	s_and_b32 s30, vcc_lo, exec_lo
	s_delay_alu instid0(SALU_CYCLE_1)
	s_or_b32 s30, s2, s30
.LBB723_235:                            ;   in Loop: Header=BB723_236 Depth=1
	v_dual_mov_b32 v40, s7 :: v_dual_mov_b32 v39, s6
	s_and_b32 s2, exec_lo, s30
	s_delay_alu instid0(SALU_CYCLE_1) | instskip(NEXT) | instid1(SALU_CYCLE_1)
	s_or_b32 s27, s2, s27
	s_and_not1_b32 exec_lo, exec_lo, s27
	s_cbranch_execz .LBB723_238
.LBB723_236:                            ; =>This Inner Loop Header: Depth=1
	s_or_b32 s30, s30, exec_lo
	s_cmp_eq_u64 s[4:5], s[6:7]
	s_cbranch_scc0 .LBB723_234
; %bb.237:                              ;   in Loop: Header=BB723_236 Depth=1
	s_mov_b64 s[6:7], s[22:23]
                                        ; implicit-def: $vgpr33_vgpr34
                                        ; implicit-def: $vgpr35_vgpr36
	s_branch .LBB723_235
.LBB723_238:
	s_set_inst_prefetch_distance 0x2
	s_or_b32 exec_lo, exec_lo, s27
	v_cmp_gt_i64_e32 vcc_lo, s[22:23], v[39:40]
	s_or_not1_b32 s27, vcc_lo, exec_lo
.LBB723_239:
	s_or_b32 exec_lo, exec_lo, s29
.LBB723_240:
	v_mul_lo_u32 v35, v28, s22
	v_mul_lo_u32 v36, v27, s23
	v_mad_u64_u32 v[33:34], null, v27, s22, 0
	s_and_not1_b32 vcc_lo, exec_lo, s18
	s_delay_alu instid0(VALU_DEP_1) | instskip(NEXT) | instid1(VALU_DEP_1)
	v_add3_u32 v34, v34, v36, v35
	v_lshlrev_b64 v[33:34], 1, v[33:34]
	s_cbranch_vccnz .LBB723_249
; %bb.241:
	s_delay_alu instid0(VALU_DEP_1) | instskip(NEXT) | instid1(VALU_DEP_2)
	v_add_co_u32 v39, vcc_lo, s8, v33
	v_add_co_ci_u32_e32 v40, vcc_lo, s9, v34, vcc_lo
	v_add_co_u32 v35, vcc_lo, s8, v37
	v_add_co_ci_u32_e32 v36, vcc_lo, s9, v38, vcc_lo
	s_mov_b32 s26, -1
	s_clause 0x1
	global_load_u16 v37, v[39:40], off
	global_load_u16 v38, v[35:36], off
	s_mov_b32 s29, exec_lo
	s_waitcnt vmcnt(0)
	v_cmpx_eq_u16_e64 v37, v38
	s_cbranch_execz .LBB723_248
; %bb.242:
	v_add_co_u32 v35, vcc_lo, v35, 2
	v_add_co_ci_u32_e32 v36, vcc_lo, 0, v36, vcc_lo
	v_add_co_u32 v37, vcc_lo, v39, 2
	v_add_co_ci_u32_e32 v38, vcc_lo, 0, v40, vcc_lo
	s_add_u32 s4, s22, -1
	s_addc_u32 s5, s23, -1
	s_mov_b64 s[6:7], 0
	s_mov_b32 s26, 0
                                        ; implicit-def: $sgpr30
	s_set_inst_prefetch_distance 0x1
	s_branch .LBB723_245
	.p2align	6
.LBB723_243:                            ;   in Loop: Header=BB723_245 Depth=1
	global_load_u16 v39, v[37:38], off
	global_load_u16 v40, v[35:36], off
	v_add_co_u32 v35, vcc_lo, v35, 2
	v_add_co_ci_u32_e32 v36, vcc_lo, 0, v36, vcc_lo
	v_add_co_u32 v37, s2, v37, 2
	s_delay_alu instid0(VALU_DEP_1)
	v_add_co_ci_u32_e64 v38, s2, 0, v38, s2
	s_add_u32 s6, s6, 1
	s_addc_u32 s7, s7, 0
	s_and_not1_b32 s2, s30, exec_lo
	s_waitcnt vmcnt(0)
	v_cmp_ne_u16_e32 vcc_lo, v39, v40
	s_and_b32 s30, vcc_lo, exec_lo
	s_delay_alu instid0(SALU_CYCLE_1)
	s_or_b32 s30, s2, s30
.LBB723_244:                            ;   in Loop: Header=BB723_245 Depth=1
	v_dual_mov_b32 v40, s7 :: v_dual_mov_b32 v39, s6
	s_and_b32 s2, exec_lo, s30
	s_delay_alu instid0(SALU_CYCLE_1) | instskip(NEXT) | instid1(SALU_CYCLE_1)
	s_or_b32 s26, s2, s26
	s_and_not1_b32 exec_lo, exec_lo, s26
	s_cbranch_execz .LBB723_247
.LBB723_245:                            ; =>This Inner Loop Header: Depth=1
	s_or_b32 s30, s30, exec_lo
	s_cmp_eq_u64 s[4:5], s[6:7]
	s_cbranch_scc0 .LBB723_243
; %bb.246:                              ;   in Loop: Header=BB723_245 Depth=1
	s_mov_b64 s[6:7], s[22:23]
                                        ; implicit-def: $vgpr35_vgpr36
                                        ; implicit-def: $vgpr37_vgpr38
	s_branch .LBB723_244
.LBB723_247:
	s_set_inst_prefetch_distance 0x2
	s_or_b32 exec_lo, exec_lo, s26
	v_cmp_gt_i64_e32 vcc_lo, s[22:23], v[39:40]
	s_or_not1_b32 s26, vcc_lo, exec_lo
.LBB723_248:
	s_or_b32 exec_lo, exec_lo, s29
.LBB723_249:
	v_mul_lo_u32 v37, v26, s22
	v_mul_lo_u32 v38, v25, s23
	v_mad_u64_u32 v[35:36], null, v25, s22, 0
	s_mov_b32 s29, 0
	s_and_not1_b32 vcc_lo, exec_lo, s18
	s_mov_b32 s30, 0
	s_delay_alu instid0(VALU_DEP_1) | instskip(NEXT) | instid1(VALU_DEP_1)
	v_add3_u32 v36, v36, v38, v37
	v_lshlrev_b64 v[35:36], 1, v[35:36]
	s_cbranch_vccnz .LBB723_258
; %bb.250:
	s_delay_alu instid0(VALU_DEP_1) | instskip(NEXT) | instid1(VALU_DEP_2)
	v_add_co_u32 v37, vcc_lo, s8, v35
	v_add_co_ci_u32_e32 v38, vcc_lo, s9, v36, vcc_lo
	v_add_co_u32 v33, vcc_lo, s8, v33
	v_add_co_ci_u32_e32 v34, vcc_lo, s9, v34, vcc_lo
	s_mov_b32 s30, -1
	s_clause 0x1
	global_load_u16 v39, v[37:38], off
	global_load_u16 v40, v[33:34], off
	s_mov_b32 s31, exec_lo
	s_waitcnt vmcnt(0)
	v_cmpx_eq_u16_e64 v39, v40
	s_cbranch_execz .LBB723_257
; %bb.251:
	v_add_co_u32 v33, vcc_lo, v33, 2
	v_add_co_ci_u32_e32 v34, vcc_lo, 0, v34, vcc_lo
	v_add_co_u32 v37, vcc_lo, v37, 2
	v_add_co_ci_u32_e32 v38, vcc_lo, 0, v38, vcc_lo
	s_add_u32 s4, s22, -1
	s_addc_u32 s5, s23, -1
	s_mov_b64 s[6:7], 0
	s_mov_b32 s30, 0
                                        ; implicit-def: $sgpr33
	s_set_inst_prefetch_distance 0x1
	s_branch .LBB723_254
	.p2align	6
.LBB723_252:                            ;   in Loop: Header=BB723_254 Depth=1
	global_load_u16 v39, v[37:38], off
	global_load_u16 v40, v[33:34], off
	v_add_co_u32 v33, vcc_lo, v33, 2
	v_add_co_ci_u32_e32 v34, vcc_lo, 0, v34, vcc_lo
	v_add_co_u32 v37, s2, v37, 2
	s_delay_alu instid0(VALU_DEP_1)
	v_add_co_ci_u32_e64 v38, s2, 0, v38, s2
	s_add_u32 s6, s6, 1
	s_addc_u32 s7, s7, 0
	s_and_not1_b32 s2, s33, exec_lo
	s_waitcnt vmcnt(0)
	v_cmp_ne_u16_e32 vcc_lo, v39, v40
	s_and_b32 s33, vcc_lo, exec_lo
	s_delay_alu instid0(SALU_CYCLE_1)
	s_or_b32 s33, s2, s33
.LBB723_253:                            ;   in Loop: Header=BB723_254 Depth=1
	v_dual_mov_b32 v40, s7 :: v_dual_mov_b32 v39, s6
	s_and_b32 s2, exec_lo, s33
	s_delay_alu instid0(SALU_CYCLE_1) | instskip(NEXT) | instid1(SALU_CYCLE_1)
	s_or_b32 s30, s2, s30
	s_and_not1_b32 exec_lo, exec_lo, s30
	s_cbranch_execz .LBB723_256
.LBB723_254:                            ; =>This Inner Loop Header: Depth=1
	s_or_b32 s33, s33, exec_lo
	s_cmp_eq_u64 s[4:5], s[6:7]
	s_cbranch_scc0 .LBB723_252
; %bb.255:                              ;   in Loop: Header=BB723_254 Depth=1
	s_mov_b64 s[6:7], s[22:23]
                                        ; implicit-def: $vgpr33_vgpr34
                                        ; implicit-def: $vgpr37_vgpr38
	s_branch .LBB723_253
.LBB723_256:
	s_set_inst_prefetch_distance 0x2
	s_or_b32 exec_lo, exec_lo, s30
	v_cmp_gt_i64_e32 vcc_lo, s[22:23], v[39:40]
	s_or_not1_b32 s30, vcc_lo, exec_lo
.LBB723_257:
	s_or_b32 exec_lo, exec_lo, s31
.LBB723_258:
	v_mul_lo_u32 v37, v32, s22
	v_mul_lo_u32 v38, v31, s23
	v_mad_u64_u32 v[33:34], null, v31, s22, 0
	s_and_not1_b32 vcc_lo, exec_lo, s18
	s_delay_alu instid0(VALU_DEP_1) | instskip(NEXT) | instid1(VALU_DEP_1)
	v_add3_u32 v34, v34, v38, v37
	v_lshlrev_b64 v[33:34], 1, v[33:34]
	s_cbranch_vccnz .LBB723_267
; %bb.259:
	s_delay_alu instid0(VALU_DEP_1) | instskip(NEXT) | instid1(VALU_DEP_2)
	v_add_co_u32 v37, vcc_lo, s8, v33
	v_add_co_ci_u32_e32 v38, vcc_lo, s9, v34, vcc_lo
	v_add_co_u32 v35, vcc_lo, s8, v35
	v_add_co_ci_u32_e32 v36, vcc_lo, s9, v36, vcc_lo
	s_mov_b32 s29, -1
	s_clause 0x1
	global_load_u16 v39, v[37:38], off
	global_load_u16 v40, v[35:36], off
	s_mov_b32 s31, exec_lo
	s_waitcnt vmcnt(0)
	v_cmpx_eq_u16_e64 v39, v40
	s_cbranch_execz .LBB723_266
; %bb.260:
	v_add_co_u32 v35, vcc_lo, v35, 2
	v_add_co_ci_u32_e32 v36, vcc_lo, 0, v36, vcc_lo
	v_add_co_u32 v37, vcc_lo, v37, 2
	v_add_co_ci_u32_e32 v38, vcc_lo, 0, v38, vcc_lo
	s_add_u32 s4, s22, -1
	s_addc_u32 s5, s23, -1
	s_mov_b64 s[6:7], 0
	s_mov_b32 s29, 0
                                        ; implicit-def: $sgpr33
	s_set_inst_prefetch_distance 0x1
	s_branch .LBB723_263
	.p2align	6
.LBB723_261:                            ;   in Loop: Header=BB723_263 Depth=1
	global_load_u16 v39, v[37:38], off
	global_load_u16 v40, v[35:36], off
	v_add_co_u32 v35, vcc_lo, v35, 2
	v_add_co_ci_u32_e32 v36, vcc_lo, 0, v36, vcc_lo
	v_add_co_u32 v37, s2, v37, 2
	s_delay_alu instid0(VALU_DEP_1)
	v_add_co_ci_u32_e64 v38, s2, 0, v38, s2
	s_add_u32 s6, s6, 1
	s_addc_u32 s7, s7, 0
	s_and_not1_b32 s2, s33, exec_lo
	s_waitcnt vmcnt(0)
	v_cmp_ne_u16_e32 vcc_lo, v39, v40
	s_and_b32 s33, vcc_lo, exec_lo
	s_delay_alu instid0(SALU_CYCLE_1)
	s_or_b32 s33, s2, s33
.LBB723_262:                            ;   in Loop: Header=BB723_263 Depth=1
	v_dual_mov_b32 v40, s7 :: v_dual_mov_b32 v39, s6
	s_and_b32 s2, exec_lo, s33
	s_delay_alu instid0(SALU_CYCLE_1) | instskip(NEXT) | instid1(SALU_CYCLE_1)
	s_or_b32 s29, s2, s29
	s_and_not1_b32 exec_lo, exec_lo, s29
	s_cbranch_execz .LBB723_265
.LBB723_263:                            ; =>This Inner Loop Header: Depth=1
	s_or_b32 s33, s33, exec_lo
	s_cmp_eq_u64 s[4:5], s[6:7]
	s_cbranch_scc0 .LBB723_261
; %bb.264:                              ;   in Loop: Header=BB723_263 Depth=1
	s_mov_b64 s[6:7], s[22:23]
                                        ; implicit-def: $vgpr35_vgpr36
                                        ; implicit-def: $vgpr37_vgpr38
	s_branch .LBB723_262
.LBB723_265:
	s_set_inst_prefetch_distance 0x2
	s_or_b32 exec_lo, exec_lo, s29
	v_cmp_gt_i64_e32 vcc_lo, s[22:23], v[39:40]
	s_or_not1_b32 s29, vcc_lo, exec_lo
.LBB723_266:
	s_or_b32 exec_lo, exec_lo, s31
.LBB723_267:
	v_mul_lo_u32 v37, v30, s22
	v_mul_lo_u32 v38, v29, s23
	v_mad_u64_u32 v[35:36], null, v29, s22, 0
	s_and_not1_b32 vcc_lo, exec_lo, s18
	s_mov_b32 s2, 0
	s_delay_alu instid0(VALU_DEP_1)
	v_add3_u32 v36, v36, v38, v37
	s_cbranch_vccnz .LBB723_276
; %bb.268:
	s_delay_alu instid0(VALU_DEP_1) | instskip(SKIP_2) | instid1(VALU_DEP_1)
	v_lshlrev_b64 v[37:38], 1, v[35:36]
	s_mov_b32 s2, -1
	s_mov_b32 s31, exec_lo
	v_add_co_u32 v37, vcc_lo, s8, v37
	s_delay_alu instid0(VALU_DEP_2)
	v_add_co_ci_u32_e32 v38, vcc_lo, s9, v38, vcc_lo
	v_add_co_u32 v33, vcc_lo, s8, v33
	v_add_co_ci_u32_e32 v34, vcc_lo, s9, v34, vcc_lo
	s_clause 0x1
	global_load_u16 v39, v[37:38], off
	global_load_u16 v40, v[33:34], off
	s_waitcnt vmcnt(0)
	v_cmpx_eq_u16_e64 v39, v40
	s_cbranch_execz .LBB723_275
; %bb.269:
	v_add_co_u32 v33, vcc_lo, v33, 2
	v_add_co_ci_u32_e32 v34, vcc_lo, 0, v34, vcc_lo
	v_add_co_u32 v37, vcc_lo, v37, 2
	v_add_co_ci_u32_e32 v38, vcc_lo, 0, v38, vcc_lo
	s_add_u32 s4, s22, -1
	s_addc_u32 s5, s23, -1
	s_mov_b64 s[6:7], 0
	s_mov_b32 s33, 0
                                        ; implicit-def: $sgpr34
	s_set_inst_prefetch_distance 0x1
	s_branch .LBB723_272
	.p2align	6
.LBB723_270:                            ;   in Loop: Header=BB723_272 Depth=1
	global_load_u16 v39, v[37:38], off
	global_load_u16 v40, v[33:34], off
	v_add_co_u32 v33, vcc_lo, v33, 2
	v_add_co_ci_u32_e32 v34, vcc_lo, 0, v34, vcc_lo
	v_add_co_u32 v37, s2, v37, 2
	s_delay_alu instid0(VALU_DEP_1)
	v_add_co_ci_u32_e64 v38, s2, 0, v38, s2
	s_add_u32 s6, s6, 1
	s_addc_u32 s7, s7, 0
	s_and_not1_b32 s2, s34, exec_lo
	s_waitcnt vmcnt(0)
	v_cmp_ne_u16_e32 vcc_lo, v39, v40
	s_and_b32 s34, vcc_lo, exec_lo
	s_delay_alu instid0(SALU_CYCLE_1)
	s_or_b32 s34, s2, s34
.LBB723_271:                            ;   in Loop: Header=BB723_272 Depth=1
	v_dual_mov_b32 v40, s7 :: v_dual_mov_b32 v39, s6
	s_and_b32 s2, exec_lo, s34
	s_delay_alu instid0(SALU_CYCLE_1) | instskip(NEXT) | instid1(SALU_CYCLE_1)
	s_or_b32 s33, s2, s33
	s_and_not1_b32 exec_lo, exec_lo, s33
	s_cbranch_execz .LBB723_274
.LBB723_272:                            ; =>This Inner Loop Header: Depth=1
	s_or_b32 s34, s34, exec_lo
	s_cmp_eq_u64 s[4:5], s[6:7]
	s_cbranch_scc0 .LBB723_270
; %bb.273:                              ;   in Loop: Header=BB723_272 Depth=1
	s_mov_b64 s[6:7], s[22:23]
                                        ; implicit-def: $vgpr33_vgpr34
                                        ; implicit-def: $vgpr37_vgpr38
	s_branch .LBB723_271
.LBB723_274:
	s_set_inst_prefetch_distance 0x2
	s_or_b32 exec_lo, exec_lo, s33
	v_cmp_gt_i64_e32 vcc_lo, s[22:23], v[39:40]
	s_or_not1_b32 s2, vcc_lo, exec_lo
.LBB723_275:
	s_or_b32 exec_lo, exec_lo, s31
.LBB723_276:
	v_cndmask_b32_e64 v34, 0, 1, s30
	v_cndmask_b32_e64 v37, 0, 1, s27
	;; [unrolled: 1-line block ×7, first 2 shown]
	v_lshlrev_b16 v37, 8, v37
	v_lshlrev_b16 v38, 8, v38
	v_lshlrev_b16 v39, 8, v39
	v_lshlrev_b16 v34, 8, v34
	s_waitcnt lgkmcnt(0)
	v_or_b32_e32 v37, v40, v37
	v_or_b32_e32 v38, v41, v38
	;; [unrolled: 1-line block ×4, first 2 shown]
	s_barrier
	v_and_b32_e32 v34, 0xffff, v37
	v_lshlrev_b32_e32 v37, 16, v38
	v_and_b32_e32 v38, 0xffff, v39
	v_lshlrev_b32_e32 v33, 16, v33
	buffer_gl0_inv
                                        ; implicit-def: $sgpr2
	s_mov_b32 s4, exec_lo
	v_or_b32_e32 v34, v34, v37
	v_or_b32_e32 v33, v38, v33
	v_cmpx_ne_u32_e32 0, v0
	s_xor_b32 s19, exec_lo, s4
	s_cbranch_execz .LBB723_287
; %bb.277:
	s_and_not1_b32 vcc_lo, exec_lo, s18
	s_mov_b32 s2, 0
	s_cbranch_vccnz .LBB723_286
; %bb.278:
	v_add_nc_u32_e32 v37, -8, v55
	v_lshlrev_b64 v[35:36], 1, v[35:36]
	s_mov_b32 s2, -1
	s_mov_b32 s25, exec_lo
	ds_load_b64 v[37:38], v37
	s_waitcnt lgkmcnt(0)
	v_mul_lo_u32 v40, v38, s22
	v_mul_lo_u32 v41, v37, s23
	v_mad_u64_u32 v[38:39], null, v37, s22, 0
	s_delay_alu instid0(VALU_DEP_1) | instskip(NEXT) | instid1(VALU_DEP_1)
	v_add3_u32 v39, v39, v41, v40
	v_lshlrev_b64 v[37:38], 1, v[38:39]
	s_delay_alu instid0(VALU_DEP_1) | instskip(NEXT) | instid1(VALU_DEP_2)
	v_add_co_u32 v37, vcc_lo, s8, v37
	v_add_co_ci_u32_e32 v38, vcc_lo, s9, v38, vcc_lo
	v_add_co_u32 v35, vcc_lo, s8, v35
	v_add_co_ci_u32_e32 v36, vcc_lo, s9, v36, vcc_lo
	s_clause 0x1
	global_load_u16 v39, v[37:38], off
	global_load_u16 v40, v[35:36], off
	s_waitcnt vmcnt(0)
	v_cmpx_eq_u16_e64 v39, v40
	s_cbranch_execz .LBB723_285
; %bb.279:
	v_add_co_u32 v35, vcc_lo, v35, 2
	v_add_co_ci_u32_e32 v36, vcc_lo, 0, v36, vcc_lo
	v_add_co_u32 v37, vcc_lo, v37, 2
	v_add_co_ci_u32_e32 v38, vcc_lo, 0, v38, vcc_lo
	s_add_u32 s4, s22, -1
	s_addc_u32 s5, s23, -1
	s_mov_b64 s[6:7], 0
	s_mov_b32 s26, 0
                                        ; implicit-def: $sgpr27
	s_set_inst_prefetch_distance 0x1
	s_branch .LBB723_282
	.p2align	6
.LBB723_280:                            ;   in Loop: Header=BB723_282 Depth=1
	global_load_u16 v39, v[37:38], off
	global_load_u16 v40, v[35:36], off
	v_add_co_u32 v35, vcc_lo, v35, 2
	v_add_co_ci_u32_e32 v36, vcc_lo, 0, v36, vcc_lo
	v_add_co_u32 v37, s2, v37, 2
	s_delay_alu instid0(VALU_DEP_1)
	v_add_co_ci_u32_e64 v38, s2, 0, v38, s2
	s_add_u32 s6, s6, 1
	s_addc_u32 s7, s7, 0
	s_and_not1_b32 s2, s27, exec_lo
	s_waitcnt vmcnt(0)
	v_cmp_ne_u16_e32 vcc_lo, v39, v40
	s_and_b32 s27, vcc_lo, exec_lo
	s_delay_alu instid0(SALU_CYCLE_1)
	s_or_b32 s27, s2, s27
.LBB723_281:                            ;   in Loop: Header=BB723_282 Depth=1
	v_dual_mov_b32 v40, s7 :: v_dual_mov_b32 v39, s6
	s_and_b32 s2, exec_lo, s27
	s_delay_alu instid0(SALU_CYCLE_1) | instskip(NEXT) | instid1(SALU_CYCLE_1)
	s_or_b32 s26, s2, s26
	s_and_not1_b32 exec_lo, exec_lo, s26
	s_cbranch_execz .LBB723_284
.LBB723_282:                            ; =>This Inner Loop Header: Depth=1
	s_or_b32 s27, s27, exec_lo
	s_cmp_eq_u64 s[4:5], s[6:7]
	s_cbranch_scc0 .LBB723_280
; %bb.283:                              ;   in Loop: Header=BB723_282 Depth=1
	s_mov_b64 s[6:7], s[22:23]
                                        ; implicit-def: $vgpr35_vgpr36
                                        ; implicit-def: $vgpr37_vgpr38
	s_branch .LBB723_281
.LBB723_284:
	s_set_inst_prefetch_distance 0x2
	s_or_b32 exec_lo, exec_lo, s26
	v_cmp_gt_i64_e32 vcc_lo, s[22:23], v[39:40]
	s_or_not1_b32 s2, vcc_lo, exec_lo
.LBB723_285:
	s_or_b32 exec_lo, exec_lo, s25
.LBB723_286:
	s_delay_alu instid0(SALU_CYCLE_1)
	s_and_b32 s2, s2, exec_lo
	s_or_b32 s3, s3, exec_lo
.LBB723_287:
	s_or_b32 exec_lo, exec_lo, s19
	s_branch .LBB723_379
.LBB723_288:
	v_or_b32_e32 v33, 7, v55
	s_mov_b32 s19, 0
	s_mov_b32 s25, 0
	s_mov_b32 s26, exec_lo
	s_delay_alu instid0(VALU_DEP_1)
	v_cmpx_gt_u32_e64 s28, v33
	s_cbranch_execz .LBB723_299
; %bb.289:
	s_and_not1_b32 vcc_lo, exec_lo, s18
	s_mov_b32 s2, 0
	s_cbranch_vccnz .LBB723_298
; %bb.290:
	v_mul_lo_u32 v37, v18, s22
	v_mul_lo_u32 v38, v17, s23
	v_mad_u64_u32 v[33:34], null, v17, s22, 0
	v_mul_lo_u32 v39, v20, s22
	v_mul_lo_u32 v40, v19, s23
	v_mad_u64_u32 v[35:36], null, v19, s22, 0
	s_mov_b32 s2, -1
	s_mov_b32 s25, exec_lo
	s_delay_alu instid0(VALU_DEP_4) | instskip(NEXT) | instid1(VALU_DEP_2)
	v_add3_u32 v34, v34, v38, v37
	v_add3_u32 v36, v36, v40, v39
	s_delay_alu instid0(VALU_DEP_2) | instskip(NEXT) | instid1(VALU_DEP_2)
	v_lshlrev_b64 v[33:34], 1, v[33:34]
	v_lshlrev_b64 v[37:38], 1, v[35:36]
	s_delay_alu instid0(VALU_DEP_2) | instskip(NEXT) | instid1(VALU_DEP_3)
	v_add_co_u32 v35, vcc_lo, s8, v33
	v_add_co_ci_u32_e32 v36, vcc_lo, s9, v34, vcc_lo
	s_delay_alu instid0(VALU_DEP_3) | instskip(NEXT) | instid1(VALU_DEP_4)
	v_add_co_u32 v33, vcc_lo, s8, v37
	v_add_co_ci_u32_e32 v34, vcc_lo, s9, v38, vcc_lo
	s_clause 0x1
	global_load_u16 v37, v[35:36], off
	global_load_u16 v38, v[33:34], off
	s_waitcnt vmcnt(0)
	v_cmpx_eq_u16_e64 v37, v38
	s_cbranch_execz .LBB723_297
; %bb.291:
	v_add_co_u32 v33, vcc_lo, v33, 2
	v_add_co_ci_u32_e32 v34, vcc_lo, 0, v34, vcc_lo
	v_add_co_u32 v35, vcc_lo, v35, 2
	v_add_co_ci_u32_e32 v36, vcc_lo, 0, v36, vcc_lo
	s_add_u32 s4, s22, -1
	s_addc_u32 s5, s23, -1
	s_mov_b64 s[6:7], 0
	s_mov_b32 s27, 0
                                        ; implicit-def: $sgpr29
	s_set_inst_prefetch_distance 0x1
	s_branch .LBB723_294
	.p2align	6
.LBB723_292:                            ;   in Loop: Header=BB723_294 Depth=1
	global_load_u16 v37, v[35:36], off
	global_load_u16 v38, v[33:34], off
	v_add_co_u32 v33, vcc_lo, v33, 2
	v_add_co_ci_u32_e32 v34, vcc_lo, 0, v34, vcc_lo
	v_add_co_u32 v35, s2, v35, 2
	s_delay_alu instid0(VALU_DEP_1)
	v_add_co_ci_u32_e64 v36, s2, 0, v36, s2
	s_add_u32 s6, s6, 1
	s_addc_u32 s7, s7, 0
	s_and_not1_b32 s2, s29, exec_lo
	s_waitcnt vmcnt(0)
	v_cmp_ne_u16_e32 vcc_lo, v37, v38
	s_and_b32 s29, vcc_lo, exec_lo
	s_delay_alu instid0(SALU_CYCLE_1)
	s_or_b32 s29, s2, s29
.LBB723_293:                            ;   in Loop: Header=BB723_294 Depth=1
	v_dual_mov_b32 v38, s7 :: v_dual_mov_b32 v37, s6
	s_and_b32 s2, exec_lo, s29
	s_delay_alu instid0(SALU_CYCLE_1) | instskip(NEXT) | instid1(SALU_CYCLE_1)
	s_or_b32 s27, s2, s27
	s_and_not1_b32 exec_lo, exec_lo, s27
	s_cbranch_execz .LBB723_296
.LBB723_294:                            ; =>This Inner Loop Header: Depth=1
	s_or_b32 s29, s29, exec_lo
	s_cmp_eq_u64 s[4:5], s[6:7]
	s_cbranch_scc0 .LBB723_292
; %bb.295:                              ;   in Loop: Header=BB723_294 Depth=1
	s_mov_b64 s[6:7], s[22:23]
                                        ; implicit-def: $vgpr33_vgpr34
                                        ; implicit-def: $vgpr35_vgpr36
	s_branch .LBB723_293
.LBB723_296:
	s_set_inst_prefetch_distance 0x2
	s_or_b32 exec_lo, exec_lo, s27
	v_cmp_gt_i64_e32 vcc_lo, s[22:23], v[37:38]
	s_or_not1_b32 s2, vcc_lo, exec_lo
.LBB723_297:
	s_or_b32 exec_lo, exec_lo, s25
.LBB723_298:
	s_delay_alu instid0(SALU_CYCLE_1)
	s_and_b32 s25, s2, exec_lo
.LBB723_299:
	s_or_b32 exec_lo, exec_lo, s26
	v_or_b32_e32 v33, 6, v55
	s_mov_b32 s26, exec_lo
	s_delay_alu instid0(VALU_DEP_1)
	v_cmpx_gt_u32_e64 s28, v33
	s_cbranch_execz .LBB723_310
; %bb.300:
	s_and_not1_b32 vcc_lo, exec_lo, s18
	s_mov_b32 s2, 0
	s_cbranch_vccnz .LBB723_309
; %bb.301:
	v_mul_lo_u32 v37, v24, s22
	v_mul_lo_u32 v38, v23, s23
	v_mad_u64_u32 v[33:34], null, v23, s22, 0
	v_mul_lo_u32 v39, v18, s22
	v_mul_lo_u32 v40, v17, s23
	v_mad_u64_u32 v[35:36], null, v17, s22, 0
	s_mov_b32 s2, -1
	s_mov_b32 s19, exec_lo
	s_delay_alu instid0(VALU_DEP_4) | instskip(NEXT) | instid1(VALU_DEP_2)
	v_add3_u32 v34, v34, v38, v37
	v_add3_u32 v36, v36, v40, v39
	s_delay_alu instid0(VALU_DEP_2) | instskip(NEXT) | instid1(VALU_DEP_2)
	v_lshlrev_b64 v[33:34], 1, v[33:34]
	v_lshlrev_b64 v[37:38], 1, v[35:36]
	s_delay_alu instid0(VALU_DEP_2) | instskip(NEXT) | instid1(VALU_DEP_3)
	v_add_co_u32 v35, vcc_lo, s8, v33
	v_add_co_ci_u32_e32 v36, vcc_lo, s9, v34, vcc_lo
	s_delay_alu instid0(VALU_DEP_3) | instskip(NEXT) | instid1(VALU_DEP_4)
	v_add_co_u32 v33, vcc_lo, s8, v37
	v_add_co_ci_u32_e32 v34, vcc_lo, s9, v38, vcc_lo
	s_clause 0x1
	global_load_u16 v37, v[35:36], off
	global_load_u16 v38, v[33:34], off
	s_waitcnt vmcnt(0)
	v_cmpx_eq_u16_e64 v37, v38
	s_cbranch_execz .LBB723_308
; %bb.302:
	v_add_co_u32 v33, vcc_lo, v33, 2
	v_add_co_ci_u32_e32 v34, vcc_lo, 0, v34, vcc_lo
	v_add_co_u32 v35, vcc_lo, v35, 2
	v_add_co_ci_u32_e32 v36, vcc_lo, 0, v36, vcc_lo
	s_add_u32 s4, s22, -1
	s_addc_u32 s5, s23, -1
	s_mov_b64 s[6:7], 0
	s_mov_b32 s27, 0
                                        ; implicit-def: $sgpr29
	s_set_inst_prefetch_distance 0x1
	s_branch .LBB723_305
	.p2align	6
.LBB723_303:                            ;   in Loop: Header=BB723_305 Depth=1
	global_load_u16 v37, v[35:36], off
	global_load_u16 v38, v[33:34], off
	v_add_co_u32 v33, vcc_lo, v33, 2
	v_add_co_ci_u32_e32 v34, vcc_lo, 0, v34, vcc_lo
	v_add_co_u32 v35, s2, v35, 2
	s_delay_alu instid0(VALU_DEP_1)
	v_add_co_ci_u32_e64 v36, s2, 0, v36, s2
	s_add_u32 s6, s6, 1
	s_addc_u32 s7, s7, 0
	s_and_not1_b32 s2, s29, exec_lo
	s_waitcnt vmcnt(0)
	v_cmp_ne_u16_e32 vcc_lo, v37, v38
	s_and_b32 s29, vcc_lo, exec_lo
	s_delay_alu instid0(SALU_CYCLE_1)
	s_or_b32 s29, s2, s29
.LBB723_304:                            ;   in Loop: Header=BB723_305 Depth=1
	v_dual_mov_b32 v38, s7 :: v_dual_mov_b32 v37, s6
	s_and_b32 s2, exec_lo, s29
	s_delay_alu instid0(SALU_CYCLE_1) | instskip(NEXT) | instid1(SALU_CYCLE_1)
	s_or_b32 s27, s2, s27
	s_and_not1_b32 exec_lo, exec_lo, s27
	s_cbranch_execz .LBB723_307
.LBB723_305:                            ; =>This Inner Loop Header: Depth=1
	s_or_b32 s29, s29, exec_lo
	s_cmp_eq_u64 s[4:5], s[6:7]
	s_cbranch_scc0 .LBB723_303
; %bb.306:                              ;   in Loop: Header=BB723_305 Depth=1
	s_mov_b64 s[6:7], s[22:23]
                                        ; implicit-def: $vgpr33_vgpr34
                                        ; implicit-def: $vgpr35_vgpr36
	s_branch .LBB723_304
.LBB723_307:
	s_set_inst_prefetch_distance 0x2
	s_or_b32 exec_lo, exec_lo, s27
	v_cmp_gt_i64_e32 vcc_lo, s[22:23], v[37:38]
	s_or_not1_b32 s2, vcc_lo, exec_lo
.LBB723_308:
	s_or_b32 exec_lo, exec_lo, s19
.LBB723_309:
	s_delay_alu instid0(SALU_CYCLE_1)
	s_and_b32 s19, s2, exec_lo
.LBB723_310:
	s_or_b32 exec_lo, exec_lo, s26
	v_or_b32_e32 v33, 5, v55
	s_mov_b32 s26, 0
	s_mov_b32 s27, 0
	s_mov_b32 s29, exec_lo
	s_delay_alu instid0(VALU_DEP_1)
	v_cmpx_gt_u32_e64 s28, v33
	s_cbranch_execz .LBB723_321
; %bb.311:
	s_and_not1_b32 vcc_lo, exec_lo, s18
	s_mov_b32 s2, 0
	s_cbranch_vccnz .LBB723_320
; %bb.312:
	v_mul_lo_u32 v37, v22, s22
	v_mul_lo_u32 v38, v21, s23
	v_mad_u64_u32 v[33:34], null, v21, s22, 0
	v_mul_lo_u32 v39, v24, s22
	v_mul_lo_u32 v40, v23, s23
	v_mad_u64_u32 v[35:36], null, v23, s22, 0
	s_mov_b32 s2, -1
	s_mov_b32 s27, exec_lo
	s_delay_alu instid0(VALU_DEP_4) | instskip(NEXT) | instid1(VALU_DEP_2)
	v_add3_u32 v34, v34, v38, v37
	v_add3_u32 v36, v36, v40, v39
	s_delay_alu instid0(VALU_DEP_2) | instskip(NEXT) | instid1(VALU_DEP_2)
	v_lshlrev_b64 v[33:34], 1, v[33:34]
	v_lshlrev_b64 v[37:38], 1, v[35:36]
	s_delay_alu instid0(VALU_DEP_2) | instskip(NEXT) | instid1(VALU_DEP_3)
	v_add_co_u32 v35, vcc_lo, s8, v33
	v_add_co_ci_u32_e32 v36, vcc_lo, s9, v34, vcc_lo
	s_delay_alu instid0(VALU_DEP_3) | instskip(NEXT) | instid1(VALU_DEP_4)
	v_add_co_u32 v33, vcc_lo, s8, v37
	v_add_co_ci_u32_e32 v34, vcc_lo, s9, v38, vcc_lo
	s_clause 0x1
	global_load_u16 v37, v[35:36], off
	global_load_u16 v38, v[33:34], off
	s_waitcnt vmcnt(0)
	v_cmpx_eq_u16_e64 v37, v38
	s_cbranch_execz .LBB723_319
; %bb.313:
	v_add_co_u32 v33, vcc_lo, v33, 2
	v_add_co_ci_u32_e32 v34, vcc_lo, 0, v34, vcc_lo
	v_add_co_u32 v35, vcc_lo, v35, 2
	v_add_co_ci_u32_e32 v36, vcc_lo, 0, v36, vcc_lo
	s_add_u32 s4, s22, -1
	s_addc_u32 s5, s23, -1
	s_mov_b64 s[6:7], 0
	s_mov_b32 s30, 0
                                        ; implicit-def: $sgpr31
	s_set_inst_prefetch_distance 0x1
	s_branch .LBB723_316
	.p2align	6
.LBB723_314:                            ;   in Loop: Header=BB723_316 Depth=1
	global_load_u16 v37, v[35:36], off
	global_load_u16 v38, v[33:34], off
	v_add_co_u32 v33, vcc_lo, v33, 2
	v_add_co_ci_u32_e32 v34, vcc_lo, 0, v34, vcc_lo
	v_add_co_u32 v35, s2, v35, 2
	s_delay_alu instid0(VALU_DEP_1)
	v_add_co_ci_u32_e64 v36, s2, 0, v36, s2
	s_add_u32 s6, s6, 1
	s_addc_u32 s7, s7, 0
	s_and_not1_b32 s2, s31, exec_lo
	s_waitcnt vmcnt(0)
	v_cmp_ne_u16_e32 vcc_lo, v37, v38
	s_and_b32 s31, vcc_lo, exec_lo
	s_delay_alu instid0(SALU_CYCLE_1)
	s_or_b32 s31, s2, s31
.LBB723_315:                            ;   in Loop: Header=BB723_316 Depth=1
	v_dual_mov_b32 v38, s7 :: v_dual_mov_b32 v37, s6
	s_and_b32 s2, exec_lo, s31
	s_delay_alu instid0(SALU_CYCLE_1) | instskip(NEXT) | instid1(SALU_CYCLE_1)
	s_or_b32 s30, s2, s30
	s_and_not1_b32 exec_lo, exec_lo, s30
	s_cbranch_execz .LBB723_318
.LBB723_316:                            ; =>This Inner Loop Header: Depth=1
	s_or_b32 s31, s31, exec_lo
	s_cmp_eq_u64 s[4:5], s[6:7]
	s_cbranch_scc0 .LBB723_314
; %bb.317:                              ;   in Loop: Header=BB723_316 Depth=1
	s_mov_b64 s[6:7], s[22:23]
                                        ; implicit-def: $vgpr33_vgpr34
                                        ; implicit-def: $vgpr35_vgpr36
	s_branch .LBB723_315
.LBB723_318:
	s_set_inst_prefetch_distance 0x2
	s_or_b32 exec_lo, exec_lo, s30
	v_cmp_gt_i64_e32 vcc_lo, s[22:23], v[37:38]
	s_or_not1_b32 s2, vcc_lo, exec_lo
.LBB723_319:
	s_or_b32 exec_lo, exec_lo, s27
.LBB723_320:
	s_delay_alu instid0(SALU_CYCLE_1)
	s_and_b32 s27, s2, exec_lo
.LBB723_321:
	s_or_b32 exec_lo, exec_lo, s29
	v_or_b32_e32 v33, 4, v55
	s_mov_b32 s29, exec_lo
	s_delay_alu instid0(VALU_DEP_1)
	v_cmpx_gt_u32_e64 s28, v33
	s_cbranch_execz .LBB723_332
; %bb.322:
	s_and_not1_b32 vcc_lo, exec_lo, s18
	s_mov_b32 s2, 0
	s_cbranch_vccnz .LBB723_331
; %bb.323:
	v_mul_lo_u32 v37, v28, s22
	v_mul_lo_u32 v38, v27, s23
	v_mad_u64_u32 v[33:34], null, v27, s22, 0
	v_mul_lo_u32 v39, v22, s22
	v_mul_lo_u32 v40, v21, s23
	v_mad_u64_u32 v[35:36], null, v21, s22, 0
	s_mov_b32 s2, -1
	s_mov_b32 s26, exec_lo
	s_delay_alu instid0(VALU_DEP_4) | instskip(NEXT) | instid1(VALU_DEP_2)
	v_add3_u32 v34, v34, v38, v37
	v_add3_u32 v36, v36, v40, v39
	s_delay_alu instid0(VALU_DEP_2) | instskip(NEXT) | instid1(VALU_DEP_2)
	v_lshlrev_b64 v[33:34], 1, v[33:34]
	v_lshlrev_b64 v[37:38], 1, v[35:36]
	s_delay_alu instid0(VALU_DEP_2) | instskip(NEXT) | instid1(VALU_DEP_3)
	v_add_co_u32 v35, vcc_lo, s8, v33
	v_add_co_ci_u32_e32 v36, vcc_lo, s9, v34, vcc_lo
	s_delay_alu instid0(VALU_DEP_3) | instskip(NEXT) | instid1(VALU_DEP_4)
	v_add_co_u32 v33, vcc_lo, s8, v37
	v_add_co_ci_u32_e32 v34, vcc_lo, s9, v38, vcc_lo
	s_clause 0x1
	global_load_u16 v37, v[35:36], off
	global_load_u16 v38, v[33:34], off
	s_waitcnt vmcnt(0)
	v_cmpx_eq_u16_e64 v37, v38
	s_cbranch_execz .LBB723_330
; %bb.324:
	v_add_co_u32 v33, vcc_lo, v33, 2
	v_add_co_ci_u32_e32 v34, vcc_lo, 0, v34, vcc_lo
	v_add_co_u32 v35, vcc_lo, v35, 2
	v_add_co_ci_u32_e32 v36, vcc_lo, 0, v36, vcc_lo
	s_add_u32 s4, s22, -1
	s_addc_u32 s5, s23, -1
	s_mov_b64 s[6:7], 0
	s_mov_b32 s30, 0
                                        ; implicit-def: $sgpr31
	s_set_inst_prefetch_distance 0x1
	s_branch .LBB723_327
	.p2align	6
.LBB723_325:                            ;   in Loop: Header=BB723_327 Depth=1
	global_load_u16 v37, v[35:36], off
	global_load_u16 v38, v[33:34], off
	v_add_co_u32 v33, vcc_lo, v33, 2
	v_add_co_ci_u32_e32 v34, vcc_lo, 0, v34, vcc_lo
	v_add_co_u32 v35, s2, v35, 2
	s_delay_alu instid0(VALU_DEP_1)
	v_add_co_ci_u32_e64 v36, s2, 0, v36, s2
	s_add_u32 s6, s6, 1
	s_addc_u32 s7, s7, 0
	s_and_not1_b32 s2, s31, exec_lo
	s_waitcnt vmcnt(0)
	v_cmp_ne_u16_e32 vcc_lo, v37, v38
	s_and_b32 s31, vcc_lo, exec_lo
	s_delay_alu instid0(SALU_CYCLE_1)
	s_or_b32 s31, s2, s31
.LBB723_326:                            ;   in Loop: Header=BB723_327 Depth=1
	v_dual_mov_b32 v38, s7 :: v_dual_mov_b32 v37, s6
	s_and_b32 s2, exec_lo, s31
	s_delay_alu instid0(SALU_CYCLE_1) | instskip(NEXT) | instid1(SALU_CYCLE_1)
	s_or_b32 s30, s2, s30
	s_and_not1_b32 exec_lo, exec_lo, s30
	s_cbranch_execz .LBB723_329
.LBB723_327:                            ; =>This Inner Loop Header: Depth=1
	s_or_b32 s31, s31, exec_lo
	s_cmp_eq_u64 s[4:5], s[6:7]
	s_cbranch_scc0 .LBB723_325
; %bb.328:                              ;   in Loop: Header=BB723_327 Depth=1
	s_mov_b64 s[6:7], s[22:23]
                                        ; implicit-def: $vgpr33_vgpr34
                                        ; implicit-def: $vgpr35_vgpr36
	s_branch .LBB723_326
.LBB723_329:
	s_set_inst_prefetch_distance 0x2
	s_or_b32 exec_lo, exec_lo, s30
	v_cmp_gt_i64_e32 vcc_lo, s[22:23], v[37:38]
	s_or_not1_b32 s2, vcc_lo, exec_lo
.LBB723_330:
	s_or_b32 exec_lo, exec_lo, s26
.LBB723_331:
	s_delay_alu instid0(SALU_CYCLE_1)
	s_and_b32 s26, s2, exec_lo
.LBB723_332:
	s_or_b32 exec_lo, exec_lo, s29
	v_or_b32_e32 v33, 3, v55
	s_mov_b32 s30, 0
	s_mov_b32 s29, 0
	s_mov_b32 s31, exec_lo
	s_delay_alu instid0(VALU_DEP_1)
	v_cmpx_gt_u32_e64 s28, v33
	s_cbranch_execz .LBB723_343
; %bb.333:
	s_and_not1_b32 vcc_lo, exec_lo, s18
	s_mov_b32 s2, 0
	s_cbranch_vccnz .LBB723_342
; %bb.334:
	v_mul_lo_u32 v37, v26, s22
	v_mul_lo_u32 v38, v25, s23
	v_mad_u64_u32 v[33:34], null, v25, s22, 0
	v_mul_lo_u32 v39, v28, s22
	v_mul_lo_u32 v40, v27, s23
	v_mad_u64_u32 v[35:36], null, v27, s22, 0
	s_mov_b32 s2, -1
	s_mov_b32 s29, exec_lo
	s_delay_alu instid0(VALU_DEP_4) | instskip(NEXT) | instid1(VALU_DEP_2)
	v_add3_u32 v34, v34, v38, v37
	v_add3_u32 v36, v36, v40, v39
	s_delay_alu instid0(VALU_DEP_2) | instskip(NEXT) | instid1(VALU_DEP_2)
	v_lshlrev_b64 v[33:34], 1, v[33:34]
	v_lshlrev_b64 v[37:38], 1, v[35:36]
	s_delay_alu instid0(VALU_DEP_2) | instskip(NEXT) | instid1(VALU_DEP_3)
	v_add_co_u32 v35, vcc_lo, s8, v33
	v_add_co_ci_u32_e32 v36, vcc_lo, s9, v34, vcc_lo
	s_delay_alu instid0(VALU_DEP_3) | instskip(NEXT) | instid1(VALU_DEP_4)
	v_add_co_u32 v33, vcc_lo, s8, v37
	v_add_co_ci_u32_e32 v34, vcc_lo, s9, v38, vcc_lo
	s_clause 0x1
	global_load_u16 v37, v[35:36], off
	global_load_u16 v38, v[33:34], off
	s_waitcnt vmcnt(0)
	v_cmpx_eq_u16_e64 v37, v38
	s_cbranch_execz .LBB723_341
; %bb.335:
	v_add_co_u32 v33, vcc_lo, v33, 2
	v_add_co_ci_u32_e32 v34, vcc_lo, 0, v34, vcc_lo
	v_add_co_u32 v35, vcc_lo, v35, 2
	v_add_co_ci_u32_e32 v36, vcc_lo, 0, v36, vcc_lo
	s_add_u32 s4, s22, -1
	s_addc_u32 s5, s23, -1
	s_mov_b64 s[6:7], 0
	s_mov_b32 s33, 0
                                        ; implicit-def: $sgpr34
	s_set_inst_prefetch_distance 0x1
	s_branch .LBB723_338
	.p2align	6
.LBB723_336:                            ;   in Loop: Header=BB723_338 Depth=1
	global_load_u16 v37, v[35:36], off
	global_load_u16 v38, v[33:34], off
	v_add_co_u32 v33, vcc_lo, v33, 2
	v_add_co_ci_u32_e32 v34, vcc_lo, 0, v34, vcc_lo
	v_add_co_u32 v35, s2, v35, 2
	s_delay_alu instid0(VALU_DEP_1)
	v_add_co_ci_u32_e64 v36, s2, 0, v36, s2
	s_add_u32 s6, s6, 1
	s_addc_u32 s7, s7, 0
	s_and_not1_b32 s2, s34, exec_lo
	s_waitcnt vmcnt(0)
	v_cmp_ne_u16_e32 vcc_lo, v37, v38
	s_and_b32 s34, vcc_lo, exec_lo
	s_delay_alu instid0(SALU_CYCLE_1)
	s_or_b32 s34, s2, s34
.LBB723_337:                            ;   in Loop: Header=BB723_338 Depth=1
	v_dual_mov_b32 v38, s7 :: v_dual_mov_b32 v37, s6
	s_and_b32 s2, exec_lo, s34
	s_delay_alu instid0(SALU_CYCLE_1) | instskip(NEXT) | instid1(SALU_CYCLE_1)
	s_or_b32 s33, s2, s33
	s_and_not1_b32 exec_lo, exec_lo, s33
	s_cbranch_execz .LBB723_340
.LBB723_338:                            ; =>This Inner Loop Header: Depth=1
	s_or_b32 s34, s34, exec_lo
	s_cmp_eq_u64 s[4:5], s[6:7]
	s_cbranch_scc0 .LBB723_336
; %bb.339:                              ;   in Loop: Header=BB723_338 Depth=1
	s_mov_b64 s[6:7], s[22:23]
                                        ; implicit-def: $vgpr33_vgpr34
                                        ; implicit-def: $vgpr35_vgpr36
	s_branch .LBB723_337
.LBB723_340:
	s_set_inst_prefetch_distance 0x2
	s_or_b32 exec_lo, exec_lo, s33
	v_cmp_gt_i64_e32 vcc_lo, s[22:23], v[37:38]
	s_or_not1_b32 s2, vcc_lo, exec_lo
.LBB723_341:
	s_or_b32 exec_lo, exec_lo, s29
.LBB723_342:
	s_delay_alu instid0(SALU_CYCLE_1)
	s_and_b32 s29, s2, exec_lo
.LBB723_343:
	s_or_b32 exec_lo, exec_lo, s31
	v_or_b32_e32 v33, 2, v55
	s_mov_b32 s31, exec_lo
	s_delay_alu instid0(VALU_DEP_1)
	v_cmpx_gt_u32_e64 s28, v33
	s_cbranch_execz .LBB723_354
; %bb.344:
	s_and_not1_b32 vcc_lo, exec_lo, s18
	s_mov_b32 s2, 0
	s_cbranch_vccnz .LBB723_353
; %bb.345:
	v_mul_lo_u32 v37, v32, s22
	v_mul_lo_u32 v38, v31, s23
	v_mad_u64_u32 v[33:34], null, v31, s22, 0
	v_mul_lo_u32 v39, v26, s22
	v_mul_lo_u32 v40, v25, s23
	v_mad_u64_u32 v[35:36], null, v25, s22, 0
	s_mov_b32 s2, -1
	s_mov_b32 s30, exec_lo
	s_delay_alu instid0(VALU_DEP_4) | instskip(NEXT) | instid1(VALU_DEP_2)
	v_add3_u32 v34, v34, v38, v37
	v_add3_u32 v36, v36, v40, v39
	s_delay_alu instid0(VALU_DEP_2) | instskip(NEXT) | instid1(VALU_DEP_2)
	v_lshlrev_b64 v[33:34], 1, v[33:34]
	v_lshlrev_b64 v[37:38], 1, v[35:36]
	s_delay_alu instid0(VALU_DEP_2) | instskip(NEXT) | instid1(VALU_DEP_3)
	v_add_co_u32 v35, vcc_lo, s8, v33
	v_add_co_ci_u32_e32 v36, vcc_lo, s9, v34, vcc_lo
	s_delay_alu instid0(VALU_DEP_3) | instskip(NEXT) | instid1(VALU_DEP_4)
	v_add_co_u32 v33, vcc_lo, s8, v37
	v_add_co_ci_u32_e32 v34, vcc_lo, s9, v38, vcc_lo
	s_clause 0x1
	global_load_u16 v37, v[35:36], off
	global_load_u16 v38, v[33:34], off
	s_waitcnt vmcnt(0)
	v_cmpx_eq_u16_e64 v37, v38
	s_cbranch_execz .LBB723_352
; %bb.346:
	v_add_co_u32 v33, vcc_lo, v33, 2
	v_add_co_ci_u32_e32 v34, vcc_lo, 0, v34, vcc_lo
	v_add_co_u32 v35, vcc_lo, v35, 2
	v_add_co_ci_u32_e32 v36, vcc_lo, 0, v36, vcc_lo
	s_add_u32 s4, s22, -1
	s_addc_u32 s5, s23, -1
	s_mov_b64 s[6:7], 0
	s_mov_b32 s33, 0
                                        ; implicit-def: $sgpr34
	s_set_inst_prefetch_distance 0x1
	s_branch .LBB723_349
	.p2align	6
.LBB723_347:                            ;   in Loop: Header=BB723_349 Depth=1
	global_load_u16 v37, v[35:36], off
	global_load_u16 v38, v[33:34], off
	v_add_co_u32 v33, vcc_lo, v33, 2
	v_add_co_ci_u32_e32 v34, vcc_lo, 0, v34, vcc_lo
	v_add_co_u32 v35, s2, v35, 2
	s_delay_alu instid0(VALU_DEP_1)
	v_add_co_ci_u32_e64 v36, s2, 0, v36, s2
	s_add_u32 s6, s6, 1
	s_addc_u32 s7, s7, 0
	s_and_not1_b32 s2, s34, exec_lo
	s_waitcnt vmcnt(0)
	v_cmp_ne_u16_e32 vcc_lo, v37, v38
	s_and_b32 s34, vcc_lo, exec_lo
	s_delay_alu instid0(SALU_CYCLE_1)
	s_or_b32 s34, s2, s34
.LBB723_348:                            ;   in Loop: Header=BB723_349 Depth=1
	v_dual_mov_b32 v38, s7 :: v_dual_mov_b32 v37, s6
	s_and_b32 s2, exec_lo, s34
	s_delay_alu instid0(SALU_CYCLE_1) | instskip(NEXT) | instid1(SALU_CYCLE_1)
	s_or_b32 s33, s2, s33
	s_and_not1_b32 exec_lo, exec_lo, s33
	s_cbranch_execz .LBB723_351
.LBB723_349:                            ; =>This Inner Loop Header: Depth=1
	s_or_b32 s34, s34, exec_lo
	s_cmp_eq_u64 s[4:5], s[6:7]
	s_cbranch_scc0 .LBB723_347
; %bb.350:                              ;   in Loop: Header=BB723_349 Depth=1
	s_mov_b64 s[6:7], s[22:23]
                                        ; implicit-def: $vgpr33_vgpr34
                                        ; implicit-def: $vgpr35_vgpr36
	s_branch .LBB723_348
.LBB723_351:
	s_set_inst_prefetch_distance 0x2
	s_or_b32 exec_lo, exec_lo, s33
	v_cmp_gt_i64_e32 vcc_lo, s[22:23], v[37:38]
	s_or_not1_b32 s2, vcc_lo, exec_lo
.LBB723_352:
	s_or_b32 exec_lo, exec_lo, s30
.LBB723_353:
	s_delay_alu instid0(SALU_CYCLE_1)
	s_and_b32 s30, s2, exec_lo
.LBB723_354:
	s_or_b32 exec_lo, exec_lo, s31
	v_or_b32_e32 v33, 1, v55
	s_mov_b32 s2, 0
	s_mov_b32 s31, exec_lo
	s_delay_alu instid0(VALU_DEP_1)
	v_cmpx_gt_u32_e64 s28, v33
	s_cbranch_execz .LBB723_365
; %bb.355:
	s_and_not1_b32 vcc_lo, exec_lo, s18
	s_cbranch_vccnz .LBB723_364
; %bb.356:
	v_mul_lo_u32 v37, v30, s22
	v_mul_lo_u32 v38, v29, s23
	v_mad_u64_u32 v[33:34], null, v29, s22, 0
	v_mul_lo_u32 v39, v32, s22
	v_mul_lo_u32 v40, v31, s23
	v_mad_u64_u32 v[35:36], null, v31, s22, 0
	s_mov_b32 s2, -1
	s_mov_b32 s33, exec_lo
	s_delay_alu instid0(VALU_DEP_4) | instskip(NEXT) | instid1(VALU_DEP_2)
	v_add3_u32 v34, v34, v38, v37
	v_add3_u32 v36, v36, v40, v39
	s_delay_alu instid0(VALU_DEP_2) | instskip(NEXT) | instid1(VALU_DEP_2)
	v_lshlrev_b64 v[33:34], 1, v[33:34]
	v_lshlrev_b64 v[37:38], 1, v[35:36]
	s_delay_alu instid0(VALU_DEP_2) | instskip(NEXT) | instid1(VALU_DEP_3)
	v_add_co_u32 v35, vcc_lo, s8, v33
	v_add_co_ci_u32_e32 v36, vcc_lo, s9, v34, vcc_lo
	s_delay_alu instid0(VALU_DEP_3) | instskip(NEXT) | instid1(VALU_DEP_4)
	v_add_co_u32 v33, vcc_lo, s8, v37
	v_add_co_ci_u32_e32 v34, vcc_lo, s9, v38, vcc_lo
	s_clause 0x1
	global_load_u16 v37, v[35:36], off
	global_load_u16 v38, v[33:34], off
	s_waitcnt vmcnt(0)
	v_cmpx_eq_u16_e64 v37, v38
	s_cbranch_execz .LBB723_363
; %bb.357:
	v_add_co_u32 v33, vcc_lo, v33, 2
	v_add_co_ci_u32_e32 v34, vcc_lo, 0, v34, vcc_lo
	v_add_co_u32 v35, vcc_lo, v35, 2
	v_add_co_ci_u32_e32 v36, vcc_lo, 0, v36, vcc_lo
	s_add_u32 s4, s22, -1
	s_addc_u32 s5, s23, -1
	s_mov_b64 s[6:7], 0
	s_mov_b32 s34, 0
                                        ; implicit-def: $sgpr35
	s_set_inst_prefetch_distance 0x1
	s_branch .LBB723_360
	.p2align	6
.LBB723_358:                            ;   in Loop: Header=BB723_360 Depth=1
	global_load_u16 v37, v[35:36], off
	global_load_u16 v38, v[33:34], off
	v_add_co_u32 v33, vcc_lo, v33, 2
	v_add_co_ci_u32_e32 v34, vcc_lo, 0, v34, vcc_lo
	v_add_co_u32 v35, s2, v35, 2
	s_delay_alu instid0(VALU_DEP_1)
	v_add_co_ci_u32_e64 v36, s2, 0, v36, s2
	s_add_u32 s6, s6, 1
	s_addc_u32 s7, s7, 0
	s_and_not1_b32 s2, s35, exec_lo
	s_waitcnt vmcnt(0)
	v_cmp_ne_u16_e32 vcc_lo, v37, v38
	s_and_b32 s35, vcc_lo, exec_lo
	s_delay_alu instid0(SALU_CYCLE_1)
	s_or_b32 s35, s2, s35
.LBB723_359:                            ;   in Loop: Header=BB723_360 Depth=1
	v_dual_mov_b32 v38, s7 :: v_dual_mov_b32 v37, s6
	s_and_b32 s2, exec_lo, s35
	s_delay_alu instid0(SALU_CYCLE_1) | instskip(NEXT) | instid1(SALU_CYCLE_1)
	s_or_b32 s34, s2, s34
	s_and_not1_b32 exec_lo, exec_lo, s34
	s_cbranch_execz .LBB723_362
.LBB723_360:                            ; =>This Inner Loop Header: Depth=1
	s_or_b32 s35, s35, exec_lo
	s_cmp_eq_u64 s[4:5], s[6:7]
	s_cbranch_scc0 .LBB723_358
; %bb.361:                              ;   in Loop: Header=BB723_360 Depth=1
	s_mov_b64 s[6:7], s[22:23]
                                        ; implicit-def: $vgpr33_vgpr34
                                        ; implicit-def: $vgpr35_vgpr36
	s_branch .LBB723_359
.LBB723_362:
	s_set_inst_prefetch_distance 0x2
	s_or_b32 exec_lo, exec_lo, s34
	v_cmp_gt_i64_e32 vcc_lo, s[22:23], v[37:38]
	s_or_not1_b32 s2, vcc_lo, exec_lo
.LBB723_363:
	s_or_b32 exec_lo, exec_lo, s33
.LBB723_364:
	s_delay_alu instid0(SALU_CYCLE_1)
	s_and_b32 s2, s2, exec_lo
.LBB723_365:
	s_or_b32 exec_lo, exec_lo, s31
	v_cndmask_b32_e64 v34, 0, 1, s29
	v_cndmask_b32_e64 v35, 0, 1, s27
	;; [unrolled: 1-line block ×7, first 2 shown]
	v_lshlrev_b16 v35, 8, v35
	v_lshlrev_b16 v36, 8, v36
	;; [unrolled: 1-line block ×4, first 2 shown]
	s_mov_b32 s19, exec_lo
	v_or_b32_e32 v35, v38, v35
	v_or_b32_e32 v36, v39, v36
	;; [unrolled: 1-line block ×4, first 2 shown]
	s_waitcnt lgkmcnt(0)
	v_and_b32_e32 v34, 0xffff, v35
	v_lshlrev_b32_e32 v35, 16, v36
	v_and_b32_e32 v36, 0xffff, v37
	v_lshlrev_b32_e32 v33, 16, v33
	s_barrier
	buffer_gl0_inv
	v_or_b32_e32 v34, v34, v35
                                        ; implicit-def: $sgpr2
	v_or_b32_e32 v33, v36, v33
	v_cmpx_ne_u32_e32 0, v0
	s_cbranch_execz .LBB723_378
; %bb.366:
	s_mov_b32 s2, 0
	s_mov_b32 s25, exec_lo
	v_cmpx_gt_u32_e64 s28, v55
	s_cbranch_execz .LBB723_377
; %bb.367:
	s_and_not1_b32 vcc_lo, exec_lo, s18
	s_cbranch_vccnz .LBB723_376
; %bb.368:
	v_add_nc_u32_e32 v35, -8, v55
	v_mul_lo_u32 v42, v29, s23
	v_mad_u64_u32 v[38:39], null, v29, s22, 0
	s_mov_b32 s2, -1
	ds_load_b64 v[35:36], v35
	s_waitcnt lgkmcnt(0)
	v_mul_lo_u32 v40, v36, s22
	v_mul_lo_u32 v41, v35, s23
	v_mad_u64_u32 v[36:37], null, v35, s22, 0
	v_mul_lo_u32 v35, v30, s22
	s_delay_alu instid0(VALU_DEP_2) | instskip(NEXT) | instid1(VALU_DEP_2)
	v_add3_u32 v37, v37, v41, v40
	v_add3_u32 v39, v39, v42, v35
	s_delay_alu instid0(VALU_DEP_2) | instskip(NEXT) | instid1(VALU_DEP_2)
	v_lshlrev_b64 v[35:36], 1, v[36:37]
	v_lshlrev_b64 v[39:40], 1, v[38:39]
	s_delay_alu instid0(VALU_DEP_2) | instskip(NEXT) | instid1(VALU_DEP_3)
	v_add_co_u32 v37, vcc_lo, s8, v35
	v_add_co_ci_u32_e32 v38, vcc_lo, s9, v36, vcc_lo
	s_delay_alu instid0(VALU_DEP_3) | instskip(NEXT) | instid1(VALU_DEP_4)
	v_add_co_u32 v35, vcc_lo, s8, v39
	v_add_co_ci_u32_e32 v36, vcc_lo, s9, v40, vcc_lo
	s_clause 0x1
	global_load_u16 v39, v[37:38], off
	global_load_u16 v40, v[35:36], off
	s_mov_b32 s8, exec_lo
	s_waitcnt vmcnt(0)
	v_cmpx_eq_u16_e64 v39, v40
	s_cbranch_execz .LBB723_375
; %bb.369:
	v_add_co_u32 v35, vcc_lo, v35, 2
	v_add_co_ci_u32_e32 v36, vcc_lo, 0, v36, vcc_lo
	v_add_co_u32 v37, vcc_lo, v37, 2
	v_add_co_ci_u32_e32 v38, vcc_lo, 0, v38, vcc_lo
	s_add_u32 s4, s22, -1
	s_addc_u32 s5, s23, -1
	s_mov_b64 s[6:7], 0
	s_mov_b32 s9, 0
                                        ; implicit-def: $sgpr18
	s_set_inst_prefetch_distance 0x1
	s_branch .LBB723_372
	.p2align	6
.LBB723_370:                            ;   in Loop: Header=BB723_372 Depth=1
	global_load_u16 v39, v[37:38], off
	global_load_u16 v40, v[35:36], off
	v_add_co_u32 v35, vcc_lo, v35, 2
	v_add_co_ci_u32_e32 v36, vcc_lo, 0, v36, vcc_lo
	v_add_co_u32 v37, s2, v37, 2
	s_delay_alu instid0(VALU_DEP_1)
	v_add_co_ci_u32_e64 v38, s2, 0, v38, s2
	s_add_u32 s6, s6, 1
	s_addc_u32 s7, s7, 0
	s_and_not1_b32 s2, s18, exec_lo
	s_waitcnt vmcnt(0)
	v_cmp_ne_u16_e32 vcc_lo, v39, v40
	s_and_b32 s18, vcc_lo, exec_lo
	s_delay_alu instid0(SALU_CYCLE_1)
	s_or_b32 s18, s2, s18
.LBB723_371:                            ;   in Loop: Header=BB723_372 Depth=1
	v_dual_mov_b32 v40, s7 :: v_dual_mov_b32 v39, s6
	s_and_b32 s2, exec_lo, s18
	s_delay_alu instid0(SALU_CYCLE_1) | instskip(NEXT) | instid1(SALU_CYCLE_1)
	s_or_b32 s9, s2, s9
	s_and_not1_b32 exec_lo, exec_lo, s9
	s_cbranch_execz .LBB723_374
.LBB723_372:                            ; =>This Inner Loop Header: Depth=1
	s_or_b32 s18, s18, exec_lo
	s_cmp_eq_u64 s[4:5], s[6:7]
	s_cbranch_scc0 .LBB723_370
; %bb.373:                              ;   in Loop: Header=BB723_372 Depth=1
	s_mov_b64 s[6:7], s[22:23]
                                        ; implicit-def: $vgpr35_vgpr36
                                        ; implicit-def: $vgpr37_vgpr38
	s_branch .LBB723_371
.LBB723_374:
	s_set_inst_prefetch_distance 0x2
	s_or_b32 exec_lo, exec_lo, s9
	v_cmp_gt_i64_e32 vcc_lo, s[22:23], v[39:40]
	s_or_not1_b32 s2, vcc_lo, exec_lo
.LBB723_375:
	s_or_b32 exec_lo, exec_lo, s8
.LBB723_376:
	s_delay_alu instid0(SALU_CYCLE_1)
	s_and_b32 s2, s2, exec_lo
.LBB723_377:
	s_or_b32 exec_lo, exec_lo, s25
	s_delay_alu instid0(SALU_CYCLE_1)
	s_and_b32 s2, s2, exec_lo
	s_or_b32 s3, s3, exec_lo
.LBB723_378:
	s_or_b32 exec_lo, exec_lo, s19
.LBB723_379:
	s_and_saveexec_b32 s4, s3
; %bb.380:
	v_and_b32_e32 v35, 0xffffff00, v33
	v_cndmask_b32_e64 v36, 0, 1, s2
	s_delay_alu instid0(VALU_DEP_1) | instskip(NEXT) | instid1(VALU_DEP_1)
	v_or_b32_e32 v35, v36, v35
	v_and_b32_e32 v35, 0xffff, v35
	s_delay_alu instid0(VALU_DEP_1)
	v_and_or_b32 v33, 0xffff0000, v33, v35
; %bb.381:
	s_or_b32 exec_lo, exec_lo, s4
	s_delay_alu instid0(SALU_CYCLE_1)
	s_and_not1_b32 vcc_lo, exec_lo, s21
	s_cbranch_vccnz .LBB723_383
; %bb.382:
	v_cmp_gt_u32_e32 vcc_lo, s28, v55
	v_or_b32_e32 v36, 1, v55
	v_and_b32_e32 v37, 0xffffff00, v34
	v_or_b32_e32 v38, 2, v55
	v_cndmask_b32_e32 v35, 0, v33, vcc_lo
	s_delay_alu instid0(VALU_DEP_4) | instskip(SKIP_1) | instid1(VALU_DEP_4)
	v_cmp_gt_u32_e32 vcc_lo, s28, v36
	v_or_b32_e32 v36, 4, v55
	v_cmp_gt_u32_e64 s2, s28, v38
	v_or_b32_e32 v38, 3, v55
	v_and_b32_e32 v35, 0xff, v35
	s_delay_alu instid0(VALU_DEP_2) | instskip(NEXT) | instid1(VALU_DEP_2)
	v_cmp_gt_u32_e64 s3, s28, v38
	v_cndmask_b32_e32 v35, v35, v33, vcc_lo
	v_cmp_gt_u32_e32 vcc_lo, s28, v36
	v_cndmask_b32_e32 v36, v37, v34, vcc_lo
	v_or_b32_e32 v37, 5, v55
	s_delay_alu instid0(VALU_DEP_2) | instskip(SKIP_1) | instid1(VALU_DEP_1)
	v_and_b32_e32 v36, 0xffff00ff, v36
	v_and_b32_e32 v35, 0xffff, v35
	v_cndmask_b32_e64 v35, v35, v33, s2
	s_delay_alu instid0(VALU_DEP_4) | instskip(SKIP_1) | instid1(VALU_DEP_3)
	v_cmp_gt_u32_e64 s2, s28, v37
	v_or_b32_e32 v37, 6, v55
	v_and_b32_e32 v35, 0xffffff, v35
	s_delay_alu instid0(VALU_DEP_3) | instskip(NEXT) | instid1(VALU_DEP_2)
	v_cndmask_b32_e64 v36, v36, v34, s2
	v_cndmask_b32_e64 v35, v35, v33, s3
	s_delay_alu instid0(VALU_DEP_1) | instskip(SKIP_2) | instid1(VALU_DEP_3)
	v_dual_cndmask_b32 v35, v35, v33 :: v_dual_and_b32 v36, 0xff00ffff, v36
	v_cmp_gt_u32_e32 vcc_lo, s28, v37
	v_or_b32_e32 v37, 7, v55
	v_cndmask_b32_e64 v35, v35, v33, s2
	s_delay_alu instid0(VALU_DEP_1) | instskip(NEXT) | instid1(VALU_DEP_1)
	v_dual_cndmask_b32 v36, v36, v34 :: v_dual_cndmask_b32 v35, v35, v33
	v_and_b32_e32 v36, 0xffffff, v36
	s_delay_alu instid0(VALU_DEP_4) | instskip(NEXT) | instid1(VALU_DEP_2)
	v_cmp_gt_u32_e32 vcc_lo, s28, v37
	v_dual_cndmask_b32 v34, v36, v34 :: v_dual_cndmask_b32 v33, v35, v33
.LBB723_383:
	s_delay_alu instid0(VALU_DEP_1) | instskip(NEXT) | instid1(VALU_DEP_2)
	v_and_b32_e32 v42, 0xff, v33
	v_alignbit_b32 v35, v34, v33, 24
	v_bfe_u32 v44, v33, 8, 8
	v_bfe_u32 v46, v33, 16, 8
	v_and_b32_e32 v50, 0xff, v34
	v_bfe_u32 v52, v34, 8, 8
	v_and_b32_e32 v48, 0xff, v35
	v_add_nc_u32_e32 v35, v44, v42
	v_mbcnt_lo_u32_b32 v57, -1, 0
	v_bfe_u32 v54, v34, 16, 8
	v_lshrrev_b32_e32 v56, 24, v34
	v_lshrrev_b32_e32 v58, 5, v0
	v_add3_u32 v35, v35, v46, v48
	v_and_b32_e32 v36, 15, v57
	v_and_b32_e32 v37, 16, v57
	s_and_b32 vcc_lo, exec_lo, s24
	s_mov_b32 s9, -1
	v_add3_u32 v35, v35, v50, v52
	v_cmp_eq_u32_e64 s4, 0, v36
	v_cmp_lt_u32_e64 s2, 1, v36
	v_cmp_lt_u32_e64 s5, 3, v36
	;; [unrolled: 1-line block ×3, first 2 shown]
	v_add3_u32 v59, v35, v54, v56
	v_or_b32_e32 v35, 31, v0
	v_cmp_eq_u32_e64 s7, 0, v37
	s_waitcnt lgkmcnt(0)
	s_barrier
	buffer_gl0_inv
	v_cmp_eq_u32_e64 s6, v35, v0
	s_cbranch_vccz .LBB723_409
; %bb.384:
	v_mov_b32_dpp v35, v59 row_shr:1 row_mask:0xf bank_mask:0xf
	s_delay_alu instid0(VALU_DEP_1) | instskip(NEXT) | instid1(VALU_DEP_1)
	v_cndmask_b32_e64 v35, v35, 0, s4
	v_add_nc_u32_e32 v35, v35, v59
	s_delay_alu instid0(VALU_DEP_1) | instskip(NEXT) | instid1(VALU_DEP_1)
	v_mov_b32_dpp v36, v35 row_shr:2 row_mask:0xf bank_mask:0xf
	v_cndmask_b32_e64 v36, 0, v36, s2
	s_delay_alu instid0(VALU_DEP_1) | instskip(NEXT) | instid1(VALU_DEP_1)
	v_add_nc_u32_e32 v35, v35, v36
	v_mov_b32_dpp v36, v35 row_shr:4 row_mask:0xf bank_mask:0xf
	s_delay_alu instid0(VALU_DEP_1) | instskip(NEXT) | instid1(VALU_DEP_1)
	v_cndmask_b32_e64 v36, 0, v36, s5
	v_add_nc_u32_e32 v35, v35, v36
	s_delay_alu instid0(VALU_DEP_1) | instskip(NEXT) | instid1(VALU_DEP_1)
	v_mov_b32_dpp v36, v35 row_shr:8 row_mask:0xf bank_mask:0xf
	v_cndmask_b32_e64 v36, 0, v36, s3
	s_delay_alu instid0(VALU_DEP_1) | instskip(SKIP_3) | instid1(VALU_DEP_1)
	v_add_nc_u32_e32 v35, v35, v36
	ds_swizzle_b32 v36, v35 offset:swizzle(BROADCAST,32,15)
	s_waitcnt lgkmcnt(0)
	v_cndmask_b32_e64 v36, v36, 0, s7
	v_add_nc_u32_e32 v35, v35, v36
	s_and_saveexec_b32 s8, s6
	s_cbranch_execz .LBB723_386
; %bb.385:
	v_lshlrev_b32_e32 v36, 2, v58
	ds_store_b32 v36, v35
.LBB723_386:
	s_or_b32 exec_lo, exec_lo, s8
	s_delay_alu instid0(SALU_CYCLE_1)
	s_mov_b32 s8, exec_lo
	s_waitcnt lgkmcnt(0)
	s_barrier
	buffer_gl0_inv
	v_cmpx_gt_u32_e32 16, v0
	s_cbranch_execz .LBB723_388
; %bb.387:
	v_lshlrev_b32_e32 v36, 2, v0
	ds_load_b32 v37, v36
	s_waitcnt lgkmcnt(0)
	v_mov_b32_dpp v38, v37 row_shr:1 row_mask:0xf bank_mask:0xf
	s_delay_alu instid0(VALU_DEP_1) | instskip(NEXT) | instid1(VALU_DEP_1)
	v_cndmask_b32_e64 v38, v38, 0, s4
	v_add_nc_u32_e32 v37, v38, v37
	s_delay_alu instid0(VALU_DEP_1) | instskip(NEXT) | instid1(VALU_DEP_1)
	v_mov_b32_dpp v38, v37 row_shr:2 row_mask:0xf bank_mask:0xf
	v_cndmask_b32_e64 v38, 0, v38, s2
	s_delay_alu instid0(VALU_DEP_1) | instskip(NEXT) | instid1(VALU_DEP_1)
	v_add_nc_u32_e32 v37, v37, v38
	v_mov_b32_dpp v38, v37 row_shr:4 row_mask:0xf bank_mask:0xf
	s_delay_alu instid0(VALU_DEP_1) | instskip(NEXT) | instid1(VALU_DEP_1)
	v_cndmask_b32_e64 v38, 0, v38, s5
	v_add_nc_u32_e32 v37, v37, v38
	s_delay_alu instid0(VALU_DEP_1) | instskip(NEXT) | instid1(VALU_DEP_1)
	v_mov_b32_dpp v38, v37 row_shr:8 row_mask:0xf bank_mask:0xf
	v_cndmask_b32_e64 v38, 0, v38, s3
	s_delay_alu instid0(VALU_DEP_1)
	v_add_nc_u32_e32 v37, v37, v38
	ds_store_b32 v36, v37
.LBB723_388:
	s_or_b32 exec_lo, exec_lo, s8
	v_cmp_gt_u32_e32 vcc_lo, 32, v0
	s_mov_b32 s9, exec_lo
	s_waitcnt lgkmcnt(0)
	s_barrier
	buffer_gl0_inv
                                        ; implicit-def: $vgpr43
	v_cmpx_lt_u32_e32 31, v0
	s_cbranch_execz .LBB723_390
; %bb.389:
	v_lshl_add_u32 v36, v58, 2, -4
	ds_load_b32 v43, v36
	s_waitcnt lgkmcnt(0)
	v_add_nc_u32_e32 v35, v43, v35
.LBB723_390:
	s_or_b32 exec_lo, exec_lo, s9
	v_add_nc_u32_e32 v36, -1, v57
	s_delay_alu instid0(VALU_DEP_1) | instskip(NEXT) | instid1(VALU_DEP_1)
	v_cmp_gt_i32_e64 s8, 0, v36
	v_cndmask_b32_e64 v36, v36, v57, s8
	v_cmp_eq_u32_e64 s8, 0, v57
	s_delay_alu instid0(VALU_DEP_2)
	v_lshlrev_b32_e32 v36, 2, v36
	ds_bpermute_b32 v45, v36, v35
	s_and_saveexec_b32 s9, vcc_lo
	s_cbranch_execz .LBB723_408
; %bb.391:
	v_mov_b32_e32 v38, 0
	ds_load_b32 v35, v38 offset:60
	s_and_saveexec_b32 s18, s8
	s_cbranch_execz .LBB723_393
; %bb.392:
	s_add_i32 s22, s15, 32
	s_mov_b32 s23, 0
	v_mov_b32_e32 v36, 1
	s_lshl_b64 s[22:23], s[22:23], 3
	s_delay_alu instid0(SALU_CYCLE_1)
	s_add_u32 s22, s10, s22
	s_addc_u32 s23, s11, s23
	s_waitcnt lgkmcnt(0)
	global_store_b64 v38, v[35:36], s[22:23]
.LBB723_393:
	s_or_b32 exec_lo, exec_lo, s18
	v_xad_u32 v36, v57, -1, s15
	s_mov_b32 s19, 0
	s_mov_b32 s18, exec_lo
	s_delay_alu instid0(VALU_DEP_1) | instskip(NEXT) | instid1(VALU_DEP_1)
	v_add_nc_u32_e32 v37, 32, v36
	v_lshlrev_b64 v[37:38], 3, v[37:38]
	s_delay_alu instid0(VALU_DEP_1) | instskip(NEXT) | instid1(VALU_DEP_2)
	v_add_co_u32 v40, vcc_lo, s10, v37
	v_add_co_ci_u32_e32 v41, vcc_lo, s11, v38, vcc_lo
	global_load_b64 v[38:39], v[40:41], off glc
	s_waitcnt vmcnt(0)
	v_and_b32_e32 v37, 0xff, v39
	s_delay_alu instid0(VALU_DEP_1)
	v_cmpx_eq_u16_e32 0, v37
	s_cbranch_execz .LBB723_396
.LBB723_394:                            ; =>This Inner Loop Header: Depth=1
	global_load_b64 v[38:39], v[40:41], off glc
	s_waitcnt vmcnt(0)
	v_and_b32_e32 v37, 0xff, v39
	s_delay_alu instid0(VALU_DEP_1) | instskip(SKIP_1) | instid1(SALU_CYCLE_1)
	v_cmp_ne_u16_e32 vcc_lo, 0, v37
	s_or_b32 s19, vcc_lo, s19
	s_and_not1_b32 exec_lo, exec_lo, s19
	s_cbranch_execnz .LBB723_394
; %bb.395:
	s_or_b32 exec_lo, exec_lo, s19
.LBB723_396:
	s_delay_alu instid0(SALU_CYCLE_1)
	s_or_b32 exec_lo, exec_lo, s18
	v_cmp_ne_u32_e32 vcc_lo, 31, v57
	v_lshlrev_b32_e64 v49, v57, -1
	v_add_nc_u32_e32 v53, 2, v57
	v_add_nc_u32_e32 v62, 4, v57
	;; [unrolled: 1-line block ×3, first 2 shown]
	v_add_co_ci_u32_e32 v37, vcc_lo, 0, v57, vcc_lo
	v_add_nc_u32_e32 v66, 16, v57
	s_delay_alu instid0(VALU_DEP_2)
	v_lshlrev_b32_e32 v47, 2, v37
	v_and_b32_e32 v37, 0xff, v39
	ds_bpermute_b32 v40, v47, v38
	v_cmp_eq_u16_e32 vcc_lo, 2, v37
	v_and_or_b32 v37, vcc_lo, v49, 0x80000000
	v_cmp_gt_u32_e32 vcc_lo, 30, v57
	s_delay_alu instid0(VALU_DEP_2) | instskip(SKIP_1) | instid1(VALU_DEP_2)
	v_ctz_i32_b32_e32 v37, v37
	v_cndmask_b32_e64 v41, 0, 1, vcc_lo
	v_cmp_lt_u32_e32 vcc_lo, v57, v37
	s_waitcnt lgkmcnt(0)
	s_delay_alu instid0(VALU_DEP_2) | instskip(NEXT) | instid1(VALU_DEP_1)
	v_dual_cndmask_b32 v40, 0, v40 :: v_dual_lshlrev_b32 v41, 1, v41
	v_add_lshl_u32 v51, v41, v57, 2
	v_cmp_gt_u32_e32 vcc_lo, 28, v57
	s_delay_alu instid0(VALU_DEP_3) | instskip(SKIP_4) | instid1(VALU_DEP_1)
	v_add_nc_u32_e32 v38, v40, v38
	v_cndmask_b32_e64 v41, 0, 1, vcc_lo
	v_cmp_le_u32_e32 vcc_lo, v53, v37
	ds_bpermute_b32 v40, v51, v38
	v_lshlrev_b32_e32 v41, 2, v41
	v_add_lshl_u32 v60, v41, v57, 2
	s_waitcnt lgkmcnt(0)
	v_cndmask_b32_e32 v40, 0, v40, vcc_lo
	v_cmp_gt_u32_e32 vcc_lo, 24, v57
	s_delay_alu instid0(VALU_DEP_2) | instskip(SKIP_4) | instid1(VALU_DEP_1)
	v_add_nc_u32_e32 v38, v38, v40
	v_cndmask_b32_e64 v41, 0, 1, vcc_lo
	v_cmp_le_u32_e32 vcc_lo, v62, v37
	ds_bpermute_b32 v40, v60, v38
	v_lshlrev_b32_e32 v41, 3, v41
	v_add_lshl_u32 v63, v41, v57, 2
	s_waitcnt lgkmcnt(0)
	v_cndmask_b32_e32 v40, 0, v40, vcc_lo
	v_cmp_gt_u32_e32 vcc_lo, 16, v57
	s_delay_alu instid0(VALU_DEP_2) | instskip(SKIP_4) | instid1(VALU_DEP_1)
	v_add_nc_u32_e32 v38, v38, v40
	v_cndmask_b32_e64 v41, 0, 1, vcc_lo
	v_cmp_le_u32_e32 vcc_lo, v64, v37
	ds_bpermute_b32 v40, v63, v38
	v_lshlrev_b32_e32 v41, 4, v41
	v_add_lshl_u32 v65, v41, v57, 2
	s_waitcnt lgkmcnt(0)
	v_cndmask_b32_e32 v40, 0, v40, vcc_lo
	v_cmp_le_u32_e32 vcc_lo, v66, v37
	s_delay_alu instid0(VALU_DEP_2) | instskip(SKIP_3) | instid1(VALU_DEP_1)
	v_add_nc_u32_e32 v38, v38, v40
	ds_bpermute_b32 v40, v65, v38
	s_waitcnt lgkmcnt(0)
	v_cndmask_b32_e32 v37, 0, v40, vcc_lo
	v_dual_mov_b32 v37, 0 :: v_dual_add_nc_u32 v38, v38, v37
	s_branch .LBB723_398
.LBB723_397:                            ;   in Loop: Header=BB723_398 Depth=1
	s_or_b32 exec_lo, exec_lo, s18
	ds_bpermute_b32 v41, v47, v38
	v_and_b32_e32 v40, 0xff, v39
	v_subrev_nc_u32_e32 v36, 32, v36
	s_delay_alu instid0(VALU_DEP_2) | instskip(SKIP_1) | instid1(VALU_DEP_1)
	v_cmp_eq_u16_e32 vcc_lo, 2, v40
	v_and_or_b32 v40, vcc_lo, v49, 0x80000000
	v_ctz_i32_b32_e32 v40, v40
	s_delay_alu instid0(VALU_DEP_1) | instskip(SKIP_3) | instid1(VALU_DEP_2)
	v_cmp_lt_u32_e32 vcc_lo, v57, v40
	s_waitcnt lgkmcnt(0)
	v_cndmask_b32_e32 v41, 0, v41, vcc_lo
	v_cmp_le_u32_e32 vcc_lo, v53, v40
	v_add_nc_u32_e32 v38, v41, v38
	ds_bpermute_b32 v41, v51, v38
	s_waitcnt lgkmcnt(0)
	v_cndmask_b32_e32 v41, 0, v41, vcc_lo
	v_cmp_le_u32_e32 vcc_lo, v62, v40
	s_delay_alu instid0(VALU_DEP_2) | instskip(SKIP_4) | instid1(VALU_DEP_2)
	v_add_nc_u32_e32 v38, v38, v41
	ds_bpermute_b32 v41, v60, v38
	s_waitcnt lgkmcnt(0)
	v_cndmask_b32_e32 v41, 0, v41, vcc_lo
	v_cmp_le_u32_e32 vcc_lo, v64, v40
	v_add_nc_u32_e32 v38, v38, v41
	ds_bpermute_b32 v41, v63, v38
	s_waitcnt lgkmcnt(0)
	v_cndmask_b32_e32 v41, 0, v41, vcc_lo
	v_cmp_le_u32_e32 vcc_lo, v66, v40
	s_delay_alu instid0(VALU_DEP_2) | instskip(SKIP_3) | instid1(VALU_DEP_1)
	v_add_nc_u32_e32 v38, v38, v41
	ds_bpermute_b32 v41, v65, v38
	s_waitcnt lgkmcnt(0)
	v_cndmask_b32_e32 v40, 0, v41, vcc_lo
	v_add3_u32 v38, v40, v61, v38
.LBB723_398:                            ; =>This Loop Header: Depth=1
                                        ;     Child Loop BB723_401 Depth 2
	v_and_b32_e32 v39, 0xff, v39
	s_delay_alu instid0(VALU_DEP_2) | instskip(NEXT) | instid1(VALU_DEP_2)
	v_mov_b32_e32 v61, v38
	v_cmp_ne_u16_e32 vcc_lo, 2, v39
	v_cndmask_b32_e64 v39, 0, 1, vcc_lo
	;;#ASMSTART
	;;#ASMEND
	s_delay_alu instid0(VALU_DEP_1)
	v_cmp_ne_u32_e32 vcc_lo, 0, v39
	s_cmp_lg_u32 vcc_lo, exec_lo
	s_cbranch_scc1 .LBB723_403
; %bb.399:                              ;   in Loop: Header=BB723_398 Depth=1
	v_lshlrev_b64 v[38:39], 3, v[36:37]
	s_mov_b32 s18, exec_lo
	s_delay_alu instid0(VALU_DEP_1) | instskip(NEXT) | instid1(VALU_DEP_2)
	v_add_co_u32 v40, vcc_lo, s10, v38
	v_add_co_ci_u32_e32 v41, vcc_lo, s11, v39, vcc_lo
	global_load_b64 v[38:39], v[40:41], off glc
	s_waitcnt vmcnt(0)
	v_and_b32_e32 v67, 0xff, v39
	s_delay_alu instid0(VALU_DEP_1)
	v_cmpx_eq_u16_e32 0, v67
	s_cbranch_execz .LBB723_397
; %bb.400:                              ;   in Loop: Header=BB723_398 Depth=1
	s_mov_b32 s19, 0
.LBB723_401:                            ;   Parent Loop BB723_398 Depth=1
                                        ; =>  This Inner Loop Header: Depth=2
	global_load_b64 v[38:39], v[40:41], off glc
	s_waitcnt vmcnt(0)
	v_and_b32_e32 v67, 0xff, v39
	s_delay_alu instid0(VALU_DEP_1) | instskip(SKIP_1) | instid1(SALU_CYCLE_1)
	v_cmp_ne_u16_e32 vcc_lo, 0, v67
	s_or_b32 s19, vcc_lo, s19
	s_and_not1_b32 exec_lo, exec_lo, s19
	s_cbranch_execnz .LBB723_401
; %bb.402:                              ;   in Loop: Header=BB723_398 Depth=1
	s_or_b32 exec_lo, exec_lo, s19
	s_branch .LBB723_397
.LBB723_403:                            ;   in Loop: Header=BB723_398 Depth=1
                                        ; implicit-def: $vgpr38
                                        ; implicit-def: $vgpr39
	s_cbranch_execz .LBB723_398
; %bb.404:
	s_and_saveexec_b32 s18, s8
	s_cbranch_execz .LBB723_406
; %bb.405:
	s_add_i32 s22, s15, 32
	s_mov_b32 s23, 0
	v_dual_mov_b32 v37, 2 :: v_dual_add_nc_u32 v36, v61, v35
	s_lshl_b64 s[22:23], s[22:23], 3
	v_mov_b32_e32 v38, 0
	v_add_nc_u32_e64 v39, 0x8400, 0
	s_add_u32 s22, s10, s22
	s_addc_u32 s23, s11, s23
	global_store_b64 v38, v[36:37], s[22:23]
	ds_store_2addr_b32 v39, v35, v61 offset1:2
.LBB723_406:
	s_or_b32 exec_lo, exec_lo, s18
	v_cmp_eq_u32_e32 vcc_lo, 0, v0
	s_and_b32 exec_lo, exec_lo, vcc_lo
	s_cbranch_execz .LBB723_408
; %bb.407:
	v_mov_b32_e32 v35, 0
	ds_store_b32 v35, v61 offset:60
.LBB723_408:
	s_or_b32 exec_lo, exec_lo, s9
	s_waitcnt lgkmcnt(0)
	v_cndmask_b32_e64 v36, v45, v43, s8
	v_cmp_ne_u32_e32 vcc_lo, 0, v0
	v_mov_b32_e32 v35, 0
	s_waitcnt_vscnt null, 0x0
	s_barrier
	buffer_gl0_inv
	v_cndmask_b32_e32 v36, 0, v36, vcc_lo
	ds_load_b32 v35, v35 offset:60
	s_waitcnt lgkmcnt(0)
	s_barrier
	buffer_gl0_inv
	v_add_nc_u32_e32 v53, v35, v36
	v_add_nc_u32_e64 v35, 0x8400, 0
	s_delay_alu instid0(VALU_DEP_2) | instskip(SKIP_2) | instid1(VALU_DEP_1)
	v_add_nc_u32_e32 v51, v53, v42
	ds_load_2addr_b32 v[35:36], v35 offset1:2
	v_add_nc_u32_e32 v49, v51, v44
	v_add_nc_u32_e32 v47, v49, v46
	s_delay_alu instid0(VALU_DEP_1) | instskip(NEXT) | instid1(VALU_DEP_1)
	v_add_nc_u32_e32 v45, v47, v48
	v_add_nc_u32_e32 v43, v45, v50
	s_waitcnt lgkmcnt(0)
	v_readfirstlane_b32 s8, v36
	s_delay_alu instid0(VALU_DEP_2) | instskip(NEXT) | instid1(VALU_DEP_1)
	v_add_nc_u32_e32 v41, v43, v52
	v_add_nc_u32_e32 v39, v41, v54
	v_lshrrev_b64 v[37:38], 24, v[33:34]
	s_branch .LBB723_419
.LBB723_409:
                                        ; implicit-def: $vgpr39
                                        ; implicit-def: $vgpr41
                                        ; implicit-def: $vgpr43
                                        ; implicit-def: $vgpr45
                                        ; implicit-def: $vgpr47
                                        ; implicit-def: $vgpr49
                                        ; implicit-def: $vgpr51
                                        ; implicit-def: $vgpr53
                                        ; implicit-def: $sgpr8
                                        ; implicit-def: $vgpr35
	v_lshrrev_b64 v[37:38], 24, v[33:34]
	s_and_b32 vcc_lo, exec_lo, s9
	s_cbranch_vccz .LBB723_419
; %bb.410:
	v_mov_b32_dpp v35, v59 row_shr:1 row_mask:0xf bank_mask:0xf
	s_delay_alu instid0(VALU_DEP_1) | instskip(NEXT) | instid1(VALU_DEP_1)
	v_cndmask_b32_e64 v35, v35, 0, s4
	v_add_nc_u32_e32 v35, v35, v59
	s_delay_alu instid0(VALU_DEP_1) | instskip(NEXT) | instid1(VALU_DEP_1)
	v_mov_b32_dpp v36, v35 row_shr:2 row_mask:0xf bank_mask:0xf
	v_cndmask_b32_e64 v36, 0, v36, s2
	s_delay_alu instid0(VALU_DEP_1) | instskip(NEXT) | instid1(VALU_DEP_1)
	v_add_nc_u32_e32 v35, v35, v36
	v_mov_b32_dpp v36, v35 row_shr:4 row_mask:0xf bank_mask:0xf
	s_delay_alu instid0(VALU_DEP_1) | instskip(NEXT) | instid1(VALU_DEP_1)
	v_cndmask_b32_e64 v36, 0, v36, s5
	v_add_nc_u32_e32 v35, v35, v36
	s_delay_alu instid0(VALU_DEP_1) | instskip(NEXT) | instid1(VALU_DEP_1)
	v_mov_b32_dpp v36, v35 row_shr:8 row_mask:0xf bank_mask:0xf
	v_cndmask_b32_e64 v36, 0, v36, s3
	s_delay_alu instid0(VALU_DEP_1) | instskip(SKIP_3) | instid1(VALU_DEP_1)
	v_add_nc_u32_e32 v35, v35, v36
	ds_swizzle_b32 v36, v35 offset:swizzle(BROADCAST,32,15)
	s_waitcnt lgkmcnt(0)
	v_cndmask_b32_e64 v36, v36, 0, s7
	v_add_nc_u32_e32 v35, v35, v36
	s_and_saveexec_b32 s7, s6
	s_cbranch_execz .LBB723_412
; %bb.411:
	v_lshlrev_b32_e32 v36, 2, v58
	ds_store_b32 v36, v35
.LBB723_412:
	s_or_b32 exec_lo, exec_lo, s7
	s_delay_alu instid0(SALU_CYCLE_1)
	s_mov_b32 s6, exec_lo
	s_waitcnt lgkmcnt(0)
	s_barrier
	buffer_gl0_inv
	v_cmpx_gt_u32_e32 16, v0
	s_cbranch_execz .LBB723_414
; %bb.413:
	v_lshlrev_b32_e32 v36, 2, v0
	ds_load_b32 v38, v36
	s_waitcnt lgkmcnt(0)
	v_mov_b32_dpp v39, v38 row_shr:1 row_mask:0xf bank_mask:0xf
	s_delay_alu instid0(VALU_DEP_1) | instskip(NEXT) | instid1(VALU_DEP_1)
	v_cndmask_b32_e64 v39, v39, 0, s4
	v_add_nc_u32_e32 v38, v39, v38
	s_delay_alu instid0(VALU_DEP_1) | instskip(NEXT) | instid1(VALU_DEP_1)
	v_mov_b32_dpp v39, v38 row_shr:2 row_mask:0xf bank_mask:0xf
	v_cndmask_b32_e64 v39, 0, v39, s2
	s_delay_alu instid0(VALU_DEP_1) | instskip(NEXT) | instid1(VALU_DEP_1)
	v_add_nc_u32_e32 v38, v38, v39
	v_mov_b32_dpp v39, v38 row_shr:4 row_mask:0xf bank_mask:0xf
	s_delay_alu instid0(VALU_DEP_1) | instskip(NEXT) | instid1(VALU_DEP_1)
	v_cndmask_b32_e64 v39, 0, v39, s5
	v_add_nc_u32_e32 v38, v38, v39
	s_delay_alu instid0(VALU_DEP_1) | instskip(NEXT) | instid1(VALU_DEP_1)
	v_mov_b32_dpp v39, v38 row_shr:8 row_mask:0xf bank_mask:0xf
	v_cndmask_b32_e64 v39, 0, v39, s3
	s_delay_alu instid0(VALU_DEP_1)
	v_add_nc_u32_e32 v38, v38, v39
	ds_store_b32 v36, v38
.LBB723_414:
	s_or_b32 exec_lo, exec_lo, s6
	v_mov_b32_e32 v36, 0
	v_mov_b32_e32 v38, 0
	s_mov_b32 s2, exec_lo
	s_waitcnt lgkmcnt(0)
	s_barrier
	buffer_gl0_inv
	v_cmpx_lt_u32_e32 31, v0
	s_cbranch_execz .LBB723_416
; %bb.415:
	v_lshl_add_u32 v38, v58, 2, -4
	ds_load_b32 v38, v38
.LBB723_416:
	s_or_b32 exec_lo, exec_lo, s2
	v_add_nc_u32_e32 v39, -1, v57
	s_waitcnt lgkmcnt(0)
	v_add_nc_u32_e32 v35, v38, v35
	s_mov_b32 s8, 0
	s_delay_alu instid0(VALU_DEP_2) | instskip(SKIP_2) | instid1(VALU_DEP_2)
	v_cmp_gt_i32_e32 vcc_lo, 0, v39
	v_cndmask_b32_e32 v39, v39, v57, vcc_lo
	v_cmp_eq_u32_e32 vcc_lo, 0, v0
	v_lshlrev_b32_e32 v39, 2, v39
	ds_bpermute_b32 v39, v39, v35
	ds_load_b32 v35, v36 offset:60
	s_and_saveexec_b32 s2, vcc_lo
	s_cbranch_execz .LBB723_418
; %bb.417:
	v_mov_b32_e32 v40, 0
	v_mov_b32_e32 v36, 2
	s_waitcnt lgkmcnt(0)
	global_store_b64 v40, v[35:36], s[10:11] offset:256
.LBB723_418:
	s_or_b32 exec_lo, exec_lo, s2
	v_cmp_eq_u32_e64 s2, 0, v57
	s_waitcnt lgkmcnt(0)
	s_waitcnt_vscnt null, 0x0
	s_barrier
	buffer_gl0_inv
	v_cndmask_b32_e64 v36, v39, v38, s2
	s_delay_alu instid0(VALU_DEP_1) | instskip(NEXT) | instid1(VALU_DEP_1)
	v_cndmask_b32_e64 v53, v36, 0, vcc_lo
	v_add_nc_u32_e32 v51, v53, v42
	s_delay_alu instid0(VALU_DEP_1) | instskip(NEXT) | instid1(VALU_DEP_1)
	v_add_nc_u32_e32 v49, v51, v44
	v_add_nc_u32_e32 v47, v49, v46
	s_delay_alu instid0(VALU_DEP_1) | instskip(NEXT) | instid1(VALU_DEP_1)
	v_add_nc_u32_e32 v45, v47, v48
	;; [unrolled: 3-line block ×3, first 2 shown]
	v_add_nc_u32_e32 v39, v41, v54
.LBB723_419:
	s_load_b128 s[4:7], s[0:1], 0x28
	v_add_nc_u32_e32 v59, s8, v35
	v_cmp_gt_u32_e64 s0, 0x201, v35
	v_lshrrev_b32_e32 v58, 8, v33
	v_lshrrev_b32_e32 v57, 16, v33
	;; [unrolled: 1-line block ×4, first 2 shown]
	v_cmp_lt_u32_e64 s1, v53, v59
	s_and_b32 vcc_lo, exec_lo, s0
	s_mov_b32 s2, -1
	s_cbranch_vccz .LBB723_445
; %bb.420:
	s_delay_alu instid0(VALU_DEP_1) | instskip(NEXT) | instid1(SALU_CYCLE_1)
	s_or_b32 s2, s20, s1
	s_and_saveexec_b32 s1, s2
	s_cbranch_execz .LBB723_423
; %bb.421:
	v_and_b32_e32 v40, 1, v33
	s_delay_alu instid0(VALU_DEP_1)
	v_cmp_eq_u32_e32 vcc_lo, 1, v40
	s_and_b32 exec_lo, exec_lo, vcc_lo
	s_cbranch_execz .LBB723_423
; %bb.422:
	v_mov_b32_e32 v54, 0
	s_lshl_b64 s[2:3], s[12:13], 3
	s_waitcnt lgkmcnt(0)
	s_add_u32 s2, s4, s2
	s_addc_u32 s3, s5, s3
	v_lshlrev_b64 v[60:61], 3, v[53:54]
	s_delay_alu instid0(VALU_DEP_1) | instskip(NEXT) | instid1(VALU_DEP_2)
	v_add_co_u32 v60, vcc_lo, s2, v60
	v_add_co_ci_u32_e32 v61, vcc_lo, s3, v61, vcc_lo
	global_store_b64 v[60:61], v[29:30], off
.LBB723_423:
	s_or_b32 exec_lo, exec_lo, s1
	v_cmp_lt_u32_e32 vcc_lo, v51, v59
	s_or_b32 s2, s20, vcc_lo
	s_delay_alu instid0(SALU_CYCLE_1)
	s_and_saveexec_b32 s1, s2
	s_cbranch_execz .LBB723_426
; %bb.424:
	v_and_b32_e32 v40, 1, v58
	s_delay_alu instid0(VALU_DEP_1)
	v_cmp_eq_u32_e32 vcc_lo, 1, v40
	s_and_b32 exec_lo, exec_lo, vcc_lo
	s_cbranch_execz .LBB723_426
; %bb.425:
	v_mov_b32_e32 v52, 0
	s_lshl_b64 s[2:3], s[12:13], 3
	s_waitcnt lgkmcnt(0)
	s_add_u32 s2, s4, s2
	s_addc_u32 s3, s5, s3
	v_lshlrev_b64 v[60:61], 3, v[51:52]
	s_delay_alu instid0(VALU_DEP_1) | instskip(NEXT) | instid1(VALU_DEP_2)
	v_add_co_u32 v60, vcc_lo, s2, v60
	v_add_co_ci_u32_e32 v61, vcc_lo, s3, v61, vcc_lo
	global_store_b64 v[60:61], v[31:32], off
.LBB723_426:
	s_or_b32 exec_lo, exec_lo, s1
	v_cmp_lt_u32_e32 vcc_lo, v49, v59
	s_or_b32 s2, s20, vcc_lo
	s_delay_alu instid0(SALU_CYCLE_1)
	;; [unrolled: 24-line block ×7, first 2 shown]
	s_and_saveexec_b32 s1, s2
	s_cbranch_execz .LBB723_444
; %bb.442:
	v_and_b32_e32 v40, 1, v56
	s_delay_alu instid0(VALU_DEP_1)
	v_cmp_eq_u32_e32 vcc_lo, 1, v40
	s_and_b32 exec_lo, exec_lo, vcc_lo
	s_cbranch_execz .LBB723_444
; %bb.443:
	v_mov_b32_e32 v40, 0
	s_lshl_b64 s[2:3], s[12:13], 3
	s_waitcnt lgkmcnt(0)
	s_add_u32 s2, s4, s2
	s_addc_u32 s3, s5, s3
	v_lshlrev_b64 v[60:61], 3, v[39:40]
	s_delay_alu instid0(VALU_DEP_1) | instskip(NEXT) | instid1(VALU_DEP_2)
	v_add_co_u32 v60, vcc_lo, s2, v60
	v_add_co_ci_u32_e32 v61, vcc_lo, s3, v61, vcc_lo
	global_store_b64 v[60:61], v[19:20], off
.LBB723_444:
	s_or_b32 exec_lo, exec_lo, s1
	s_mov_b32 s2, 0
.LBB723_445:
	v_and_b32_e32 v33, 1, v33
	s_and_b32 vcc_lo, exec_lo, s2
	s_delay_alu instid0(VALU_DEP_1)
	v_cmp_eq_u32_e64 s1, 1, v33
	s_cbranch_vccz .LBB723_466
; %bb.446:
	s_delay_alu instid0(VALU_DEP_1)
	s_and_saveexec_b32 s2, s1
	s_cbranch_execz .LBB723_448
; %bb.447:
	v_subrev_nc_u32_e32 v40, s8, v53
	s_delay_alu instid0(VALU_DEP_1)
	v_lshlrev_b32_e32 v40, 3, v40
	ds_store_b64 v40, v[29:30]
.LBB723_448:
	s_or_b32 exec_lo, exec_lo, s2
	v_and_b32_e32 v29, 1, v58
	s_mov_b32 s1, exec_lo
	s_delay_alu instid0(VALU_DEP_1)
	v_cmpx_eq_u32_e32 1, v29
	s_cbranch_execz .LBB723_450
; %bb.449:
	v_subrev_nc_u32_e32 v29, s8, v51
	s_delay_alu instid0(VALU_DEP_1)
	v_lshlrev_b32_e32 v29, 3, v29
	ds_store_b64 v29, v[31:32]
.LBB723_450:
	s_or_b32 exec_lo, exec_lo, s1
	v_and_b32_e32 v29, 1, v57
	s_mov_b32 s1, exec_lo
	s_delay_alu instid0(VALU_DEP_1)
	v_cmpx_eq_u32_e32 1, v29
	;; [unrolled: 12-line block ×7, first 2 shown]
	s_cbranch_execz .LBB723_462
; %bb.461:
	v_subrev_nc_u32_e32 v17, s8, v39
	s_delay_alu instid0(VALU_DEP_1)
	v_lshlrev_b32_e32 v17, 3, v17
	ds_store_b64 v17, v[19:20]
.LBB723_462:
	s_or_b32 exec_lo, exec_lo, s1
	s_delay_alu instid0(SALU_CYCLE_1)
	s_mov_b32 s2, exec_lo
	s_waitcnt lgkmcnt(0)
	s_waitcnt_vscnt null, 0x0
	s_barrier
	buffer_gl0_inv
	v_cmpx_lt_u32_e64 v0, v35
	s_cbranch_execz .LBB723_465
; %bb.463:
	s_mov_b32 s9, 0
	s_lshl_b64 s[10:11], s[12:13], 3
	s_lshl_b64 s[18:19], s[8:9], 3
	v_dual_mov_b32 v19, v55 :: v_dual_mov_b32 v20, v0
	s_add_u32 s1, s10, s18
	s_addc_u32 s3, s11, s19
	s_add_u32 s1, s4, s1
	s_addc_u32 s3, s5, s3
	v_add_co_u32 v17, s1, s1, v55
	s_delay_alu instid0(VALU_DEP_1)
	v_add_co_ci_u32_e64 v18, null, s3, 0, s1
	.p2align	6
.LBB723_464:                            ; =>This Inner Loop Header: Depth=1
	ds_load_b64 v[21:22], v19
	v_add_nc_u32_e32 v20, 0x200, v20
	v_add_nc_u32_e32 v19, 0x1000, v19
	s_delay_alu instid0(VALU_DEP_2) | instskip(SKIP_4) | instid1(VALU_DEP_1)
	v_cmp_ge_u32_e32 vcc_lo, v20, v35
	s_or_b32 s9, vcc_lo, s9
	s_waitcnt lgkmcnt(0)
	global_store_b64 v[17:18], v[21:22], off
	v_add_co_u32 v17, s1, 0x1000, v17
	v_add_co_ci_u32_e64 v18, s1, 0, v18, s1
	s_and_not1_b32 exec_lo, exec_lo, s9
	s_cbranch_execnz .LBB723_464
.LBB723_465:
	s_or_b32 exec_lo, exec_lo, s2
.LBB723_466:
	s_delay_alu instid0(SALU_CYCLE_1)
	s_and_b32 vcc_lo, exec_lo, s0
	s_mov_b32 s0, -1
	s_waitcnt lgkmcnt(0)
	s_waitcnt_vscnt null, 0x0
	s_barrier
	buffer_gl0_inv
	s_cbranch_vccz .LBB723_494
; %bb.467:
	v_cmp_lt_u32_e32 vcc_lo, v53, v59
	s_or_b32 s1, s20, vcc_lo
	s_delay_alu instid0(SALU_CYCLE_1)
	s_and_saveexec_b32 s0, s1
	s_cbranch_execz .LBB723_470
; %bb.468:
	v_cmp_eq_u32_e32 vcc_lo, 1, v33
	s_and_b32 exec_lo, exec_lo, vcc_lo
	s_cbranch_execz .LBB723_470
; %bb.469:
	v_mov_b32_e32 v54, 0
	s_lshl_b64 s[2:3], s[12:13], 3
	s_delay_alu instid0(SALU_CYCLE_1) | instskip(SKIP_1) | instid1(VALU_DEP_1)
	s_add_u32 s1, s6, s2
	s_addc_u32 s2, s7, s3
	v_lshlrev_b64 v[17:18], 3, v[53:54]
	s_delay_alu instid0(VALU_DEP_1) | instskip(NEXT) | instid1(VALU_DEP_2)
	v_add_co_u32 v17, vcc_lo, s1, v17
	v_add_co_ci_u32_e32 v18, vcc_lo, s2, v18, vcc_lo
	global_store_b64 v[17:18], v[13:14], off
.LBB723_470:
	s_or_b32 exec_lo, exec_lo, s0
	v_cmp_lt_u32_e32 vcc_lo, v51, v59
	s_or_b32 s1, s20, vcc_lo
	s_delay_alu instid0(SALU_CYCLE_1)
	s_and_saveexec_b32 s0, s1
	s_cbranch_execz .LBB723_473
; %bb.471:
	v_and_b32_e32 v17, 1, v58
	s_delay_alu instid0(VALU_DEP_1)
	v_cmp_eq_u32_e32 vcc_lo, 1, v17
	s_and_b32 exec_lo, exec_lo, vcc_lo
	s_cbranch_execz .LBB723_473
; %bb.472:
	v_mov_b32_e32 v52, 0
	s_lshl_b64 s[2:3], s[12:13], 3
	s_delay_alu instid0(SALU_CYCLE_1) | instskip(SKIP_1) | instid1(VALU_DEP_1)
	s_add_u32 s1, s6, s2
	s_addc_u32 s2, s7, s3
	v_lshlrev_b64 v[17:18], 3, v[51:52]
	s_delay_alu instid0(VALU_DEP_1) | instskip(NEXT) | instid1(VALU_DEP_2)
	v_add_co_u32 v17, vcc_lo, s1, v17
	v_add_co_ci_u32_e32 v18, vcc_lo, s2, v18, vcc_lo
	global_store_b64 v[17:18], v[15:16], off
.LBB723_473:
	s_or_b32 exec_lo, exec_lo, s0
	v_cmp_lt_u32_e32 vcc_lo, v49, v59
	s_or_b32 s1, s20, vcc_lo
	s_delay_alu instid0(SALU_CYCLE_1)
	s_and_saveexec_b32 s0, s1
	s_cbranch_execz .LBB723_476
; %bb.474:
	v_and_b32_e32 v17, 1, v57
	s_delay_alu instid0(VALU_DEP_1)
	v_cmp_eq_u32_e32 vcc_lo, 1, v17
	s_and_b32 exec_lo, exec_lo, vcc_lo
	s_cbranch_execz .LBB723_476
; %bb.475:
	v_mov_b32_e32 v50, 0
	s_lshl_b64 s[2:3], s[12:13], 3
	s_delay_alu instid0(SALU_CYCLE_1) | instskip(SKIP_1) | instid1(VALU_DEP_1)
	s_add_u32 s1, s6, s2
	s_addc_u32 s2, s7, s3
	v_lshlrev_b64 v[17:18], 3, v[49:50]
	s_delay_alu instid0(VALU_DEP_1) | instskip(NEXT) | instid1(VALU_DEP_2)
	v_add_co_u32 v17, vcc_lo, s1, v17
	v_add_co_ci_u32_e32 v18, vcc_lo, s2, v18, vcc_lo
	global_store_b64 v[17:18], v[9:10], off
.LBB723_476:
	;; [unrolled: 24-line block ×7, first 2 shown]
	s_or_b32 exec_lo, exec_lo, s0
.LBB723_492:
	v_cmp_eq_u32_e32 vcc_lo, 0, v0
	s_and_b32 s0, vcc_lo, s14
	s_delay_alu instid0(SALU_CYCLE_1)
	s_and_saveexec_b32 s1, s0
	s_cbranch_execz .LBB723_515
.LBB723_493:
	v_add_co_u32 v0, s0, s12, v35
	s_delay_alu instid0(VALU_DEP_1) | instskip(SKIP_1) | instid1(VALU_DEP_3)
	v_add_co_ci_u32_e64 v1, null, s13, 0, s0
	v_mov_b32_e32 v2, 0
	v_add_co_u32 v0, vcc_lo, v0, s8
	s_delay_alu instid0(VALU_DEP_3)
	v_add_co_ci_u32_e32 v1, vcc_lo, 0, v1, vcc_lo
	global_store_b64 v2, v[0:1], s[16:17]
	s_nop 0
	s_sendmsg sendmsg(MSG_DEALLOC_VGPRS)
	s_endpgm
.LBB723_494:
	s_and_b32 vcc_lo, exec_lo, s0
	s_cbranch_vccz .LBB723_492
; %bb.495:
	s_mov_b32 s0, exec_lo
	v_cmpx_eq_u32_e32 1, v33
	s_cbranch_execz .LBB723_497
; %bb.496:
	v_subrev_nc_u32_e32 v17, s8, v53
	s_delay_alu instid0(VALU_DEP_1)
	v_lshlrev_b32_e32 v17, 3, v17
	ds_store_b64 v17, v[13:14]
.LBB723_497:
	s_or_b32 exec_lo, exec_lo, s0
	v_and_b32_e32 v13, 1, v58
	s_mov_b32 s0, exec_lo
	s_delay_alu instid0(VALU_DEP_1)
	v_cmpx_eq_u32_e32 1, v13
	s_cbranch_execz .LBB723_499
; %bb.498:
	v_subrev_nc_u32_e32 v13, s8, v51
	s_delay_alu instid0(VALU_DEP_1)
	v_lshlrev_b32_e32 v13, 3, v13
	ds_store_b64 v13, v[15:16]
.LBB723_499:
	s_or_b32 exec_lo, exec_lo, s0
	v_and_b32_e32 v13, 1, v57
	s_mov_b32 s0, exec_lo
	s_delay_alu instid0(VALU_DEP_1)
	;; [unrolled: 12-line block ×7, first 2 shown]
	v_cmpx_eq_u32_e32 1, v1
	s_cbranch_execz .LBB723_511
; %bb.510:
	v_subrev_nc_u32_e32 v1, s8, v39
	s_delay_alu instid0(VALU_DEP_1)
	v_lshlrev_b32_e32 v1, 3, v1
	ds_store_b64 v1, v[3:4]
.LBB723_511:
	s_or_b32 exec_lo, exec_lo, s0
	s_delay_alu instid0(SALU_CYCLE_1)
	s_mov_b32 s1, exec_lo
	s_waitcnt lgkmcnt(0)
	s_waitcnt_vscnt null, 0x0
	s_barrier
	buffer_gl0_inv
	v_cmpx_lt_u32_e64 v0, v35
	s_cbranch_execz .LBB723_514
; %bb.512:
	s_mov_b32 s9, 0
	s_lshl_b64 s[2:3], s[12:13], 3
	s_lshl_b64 s[4:5], s[8:9], 3
	v_mov_b32_e32 v3, v0
	s_add_u32 s0, s2, s4
	s_addc_u32 s2, s3, s5
	s_add_u32 s0, s6, s0
	s_addc_u32 s2, s7, s2
	v_add_co_u32 v1, s0, s0, v55
	s_delay_alu instid0(VALU_DEP_1)
	v_add_co_ci_u32_e64 v2, null, s2, 0, s0
	.p2align	6
.LBB723_513:                            ; =>This Inner Loop Header: Depth=1
	ds_load_b64 v[4:5], v55
	v_add_nc_u32_e32 v3, 0x200, v3
	v_add_nc_u32_e32 v55, 0x1000, v55
	s_delay_alu instid0(VALU_DEP_2) | instskip(SKIP_4) | instid1(VALU_DEP_1)
	v_cmp_ge_u32_e32 vcc_lo, v3, v35
	s_or_b32 s9, vcc_lo, s9
	s_waitcnt lgkmcnt(0)
	global_store_b64 v[1:2], v[4:5], off
	v_add_co_u32 v1, s0, 0x1000, v1
	v_add_co_ci_u32_e64 v2, s0, 0, v2, s0
	s_and_not1_b32 exec_lo, exec_lo, s9
	s_cbranch_execnz .LBB723_513
.LBB723_514:
	s_or_b32 exec_lo, exec_lo, s1
	v_cmp_eq_u32_e32 vcc_lo, 0, v0
	s_and_b32 s0, vcc_lo, s14
	s_delay_alu instid0(SALU_CYCLE_1)
	s_and_saveexec_b32 s1, s0
	s_cbranch_execnz .LBB723_493
.LBB723_515:
	s_nop 0
	s_sendmsg sendmsg(MSG_DEALLOC_VGPRS)
	s_endpgm
	.section	.rodata,"a",@progbits
	.p2align	6, 0x0
	.amdhsa_kernel _ZN7rocprim17ROCPRIM_400000_NS6detail17trampoline_kernelINS0_14default_configENS1_25partition_config_selectorILNS1_17partition_subalgoE9EllbEEZZNS1_14partition_implILS5_9ELb0ES3_jPlS8_PNS0_10empty_typeENS0_5tupleIJS8_S9_EEENSB_IJS8_SA_EEENS0_18inequality_wrapperIZN2at6native12_GLOBAL__N_124unique_dim_cuda_templateIsEESt5tupleIJNSF_6TensorESK_SK_EERKSK_lbbbEUlllE0_EEPmJS9_EEE10hipError_tPvRmT3_T4_T5_T6_T7_T9_mT8_P12ihipStream_tbDpT10_ENKUlT_T0_E_clISt17integral_constantIbLb0EES1A_EEDaS15_S16_EUlS15_E_NS1_11comp_targetILNS1_3genE9ELNS1_11target_archE1100ELNS1_3gpuE3ELNS1_3repE0EEENS1_30default_config_static_selectorELNS0_4arch9wavefront6targetE0EEEvT1_
		.amdhsa_group_segment_fixed_size 33804
		.amdhsa_private_segment_fixed_size 0
		.amdhsa_kernarg_size 120
		.amdhsa_user_sgpr_count 15
		.amdhsa_user_sgpr_dispatch_ptr 0
		.amdhsa_user_sgpr_queue_ptr 0
		.amdhsa_user_sgpr_kernarg_segment_ptr 1
		.amdhsa_user_sgpr_dispatch_id 0
		.amdhsa_user_sgpr_private_segment_size 0
		.amdhsa_wavefront_size32 1
		.amdhsa_uses_dynamic_stack 0
		.amdhsa_enable_private_segment 0
		.amdhsa_system_sgpr_workgroup_id_x 1
		.amdhsa_system_sgpr_workgroup_id_y 0
		.amdhsa_system_sgpr_workgroup_id_z 0
		.amdhsa_system_sgpr_workgroup_info 0
		.amdhsa_system_vgpr_workitem_id 0
		.amdhsa_next_free_vgpr 68
		.amdhsa_next_free_sgpr 36
		.amdhsa_reserve_vcc 1
		.amdhsa_float_round_mode_32 0
		.amdhsa_float_round_mode_16_64 0
		.amdhsa_float_denorm_mode_32 3
		.amdhsa_float_denorm_mode_16_64 3
		.amdhsa_dx10_clamp 1
		.amdhsa_ieee_mode 1
		.amdhsa_fp16_overflow 0
		.amdhsa_workgroup_processor_mode 1
		.amdhsa_memory_ordered 1
		.amdhsa_forward_progress 0
		.amdhsa_shared_vgpr_count 0
		.amdhsa_exception_fp_ieee_invalid_op 0
		.amdhsa_exception_fp_denorm_src 0
		.amdhsa_exception_fp_ieee_div_zero 0
		.amdhsa_exception_fp_ieee_overflow 0
		.amdhsa_exception_fp_ieee_underflow 0
		.amdhsa_exception_fp_ieee_inexact 0
		.amdhsa_exception_int_div_zero 0
	.end_amdhsa_kernel
	.section	.text._ZN7rocprim17ROCPRIM_400000_NS6detail17trampoline_kernelINS0_14default_configENS1_25partition_config_selectorILNS1_17partition_subalgoE9EllbEEZZNS1_14partition_implILS5_9ELb0ES3_jPlS8_PNS0_10empty_typeENS0_5tupleIJS8_S9_EEENSB_IJS8_SA_EEENS0_18inequality_wrapperIZN2at6native12_GLOBAL__N_124unique_dim_cuda_templateIsEESt5tupleIJNSF_6TensorESK_SK_EERKSK_lbbbEUlllE0_EEPmJS9_EEE10hipError_tPvRmT3_T4_T5_T6_T7_T9_mT8_P12ihipStream_tbDpT10_ENKUlT_T0_E_clISt17integral_constantIbLb0EES1A_EEDaS15_S16_EUlS15_E_NS1_11comp_targetILNS1_3genE9ELNS1_11target_archE1100ELNS1_3gpuE3ELNS1_3repE0EEENS1_30default_config_static_selectorELNS0_4arch9wavefront6targetE0EEEvT1_,"axG",@progbits,_ZN7rocprim17ROCPRIM_400000_NS6detail17trampoline_kernelINS0_14default_configENS1_25partition_config_selectorILNS1_17partition_subalgoE9EllbEEZZNS1_14partition_implILS5_9ELb0ES3_jPlS8_PNS0_10empty_typeENS0_5tupleIJS8_S9_EEENSB_IJS8_SA_EEENS0_18inequality_wrapperIZN2at6native12_GLOBAL__N_124unique_dim_cuda_templateIsEESt5tupleIJNSF_6TensorESK_SK_EERKSK_lbbbEUlllE0_EEPmJS9_EEE10hipError_tPvRmT3_T4_T5_T6_T7_T9_mT8_P12ihipStream_tbDpT10_ENKUlT_T0_E_clISt17integral_constantIbLb0EES1A_EEDaS15_S16_EUlS15_E_NS1_11comp_targetILNS1_3genE9ELNS1_11target_archE1100ELNS1_3gpuE3ELNS1_3repE0EEENS1_30default_config_static_selectorELNS0_4arch9wavefront6targetE0EEEvT1_,comdat
.Lfunc_end723:
	.size	_ZN7rocprim17ROCPRIM_400000_NS6detail17trampoline_kernelINS0_14default_configENS1_25partition_config_selectorILNS1_17partition_subalgoE9EllbEEZZNS1_14partition_implILS5_9ELb0ES3_jPlS8_PNS0_10empty_typeENS0_5tupleIJS8_S9_EEENSB_IJS8_SA_EEENS0_18inequality_wrapperIZN2at6native12_GLOBAL__N_124unique_dim_cuda_templateIsEESt5tupleIJNSF_6TensorESK_SK_EERKSK_lbbbEUlllE0_EEPmJS9_EEE10hipError_tPvRmT3_T4_T5_T6_T7_T9_mT8_P12ihipStream_tbDpT10_ENKUlT_T0_E_clISt17integral_constantIbLb0EES1A_EEDaS15_S16_EUlS15_E_NS1_11comp_targetILNS1_3genE9ELNS1_11target_archE1100ELNS1_3gpuE3ELNS1_3repE0EEENS1_30default_config_static_selectorELNS0_4arch9wavefront6targetE0EEEvT1_, .Lfunc_end723-_ZN7rocprim17ROCPRIM_400000_NS6detail17trampoline_kernelINS0_14default_configENS1_25partition_config_selectorILNS1_17partition_subalgoE9EllbEEZZNS1_14partition_implILS5_9ELb0ES3_jPlS8_PNS0_10empty_typeENS0_5tupleIJS8_S9_EEENSB_IJS8_SA_EEENS0_18inequality_wrapperIZN2at6native12_GLOBAL__N_124unique_dim_cuda_templateIsEESt5tupleIJNSF_6TensorESK_SK_EERKSK_lbbbEUlllE0_EEPmJS9_EEE10hipError_tPvRmT3_T4_T5_T6_T7_T9_mT8_P12ihipStream_tbDpT10_ENKUlT_T0_E_clISt17integral_constantIbLb0EES1A_EEDaS15_S16_EUlS15_E_NS1_11comp_targetILNS1_3genE9ELNS1_11target_archE1100ELNS1_3gpuE3ELNS1_3repE0EEENS1_30default_config_static_selectorELNS0_4arch9wavefront6targetE0EEEvT1_
                                        ; -- End function
	.section	.AMDGPU.csdata,"",@progbits
; Kernel info:
; codeLenInByte = 20488
; NumSgprs: 38
; NumVgprs: 68
; ScratchSize: 0
; MemoryBound: 0
; FloatMode: 240
; IeeeMode: 1
; LDSByteSize: 33804 bytes/workgroup (compile time only)
; SGPRBlocks: 4
; VGPRBlocks: 8
; NumSGPRsForWavesPerEU: 38
; NumVGPRsForWavesPerEU: 68
; Occupancy: 12
; WaveLimiterHint : 1
; COMPUTE_PGM_RSRC2:SCRATCH_EN: 0
; COMPUTE_PGM_RSRC2:USER_SGPR: 15
; COMPUTE_PGM_RSRC2:TRAP_HANDLER: 0
; COMPUTE_PGM_RSRC2:TGID_X_EN: 1
; COMPUTE_PGM_RSRC2:TGID_Y_EN: 0
; COMPUTE_PGM_RSRC2:TGID_Z_EN: 0
; COMPUTE_PGM_RSRC2:TIDIG_COMP_CNT: 0
	.section	.text._ZN7rocprim17ROCPRIM_400000_NS6detail17trampoline_kernelINS0_14default_configENS1_25partition_config_selectorILNS1_17partition_subalgoE9EllbEEZZNS1_14partition_implILS5_9ELb0ES3_jPlS8_PNS0_10empty_typeENS0_5tupleIJS8_S9_EEENSB_IJS8_SA_EEENS0_18inequality_wrapperIZN2at6native12_GLOBAL__N_124unique_dim_cuda_templateIsEESt5tupleIJNSF_6TensorESK_SK_EERKSK_lbbbEUlllE0_EEPmJS9_EEE10hipError_tPvRmT3_T4_T5_T6_T7_T9_mT8_P12ihipStream_tbDpT10_ENKUlT_T0_E_clISt17integral_constantIbLb0EES1A_EEDaS15_S16_EUlS15_E_NS1_11comp_targetILNS1_3genE8ELNS1_11target_archE1030ELNS1_3gpuE2ELNS1_3repE0EEENS1_30default_config_static_selectorELNS0_4arch9wavefront6targetE0EEEvT1_,"axG",@progbits,_ZN7rocprim17ROCPRIM_400000_NS6detail17trampoline_kernelINS0_14default_configENS1_25partition_config_selectorILNS1_17partition_subalgoE9EllbEEZZNS1_14partition_implILS5_9ELb0ES3_jPlS8_PNS0_10empty_typeENS0_5tupleIJS8_S9_EEENSB_IJS8_SA_EEENS0_18inequality_wrapperIZN2at6native12_GLOBAL__N_124unique_dim_cuda_templateIsEESt5tupleIJNSF_6TensorESK_SK_EERKSK_lbbbEUlllE0_EEPmJS9_EEE10hipError_tPvRmT3_T4_T5_T6_T7_T9_mT8_P12ihipStream_tbDpT10_ENKUlT_T0_E_clISt17integral_constantIbLb0EES1A_EEDaS15_S16_EUlS15_E_NS1_11comp_targetILNS1_3genE8ELNS1_11target_archE1030ELNS1_3gpuE2ELNS1_3repE0EEENS1_30default_config_static_selectorELNS0_4arch9wavefront6targetE0EEEvT1_,comdat
	.globl	_ZN7rocprim17ROCPRIM_400000_NS6detail17trampoline_kernelINS0_14default_configENS1_25partition_config_selectorILNS1_17partition_subalgoE9EllbEEZZNS1_14partition_implILS5_9ELb0ES3_jPlS8_PNS0_10empty_typeENS0_5tupleIJS8_S9_EEENSB_IJS8_SA_EEENS0_18inequality_wrapperIZN2at6native12_GLOBAL__N_124unique_dim_cuda_templateIsEESt5tupleIJNSF_6TensorESK_SK_EERKSK_lbbbEUlllE0_EEPmJS9_EEE10hipError_tPvRmT3_T4_T5_T6_T7_T9_mT8_P12ihipStream_tbDpT10_ENKUlT_T0_E_clISt17integral_constantIbLb0EES1A_EEDaS15_S16_EUlS15_E_NS1_11comp_targetILNS1_3genE8ELNS1_11target_archE1030ELNS1_3gpuE2ELNS1_3repE0EEENS1_30default_config_static_selectorELNS0_4arch9wavefront6targetE0EEEvT1_ ; -- Begin function _ZN7rocprim17ROCPRIM_400000_NS6detail17trampoline_kernelINS0_14default_configENS1_25partition_config_selectorILNS1_17partition_subalgoE9EllbEEZZNS1_14partition_implILS5_9ELb0ES3_jPlS8_PNS0_10empty_typeENS0_5tupleIJS8_S9_EEENSB_IJS8_SA_EEENS0_18inequality_wrapperIZN2at6native12_GLOBAL__N_124unique_dim_cuda_templateIsEESt5tupleIJNSF_6TensorESK_SK_EERKSK_lbbbEUlllE0_EEPmJS9_EEE10hipError_tPvRmT3_T4_T5_T6_T7_T9_mT8_P12ihipStream_tbDpT10_ENKUlT_T0_E_clISt17integral_constantIbLb0EES1A_EEDaS15_S16_EUlS15_E_NS1_11comp_targetILNS1_3genE8ELNS1_11target_archE1030ELNS1_3gpuE2ELNS1_3repE0EEENS1_30default_config_static_selectorELNS0_4arch9wavefront6targetE0EEEvT1_
	.p2align	8
	.type	_ZN7rocprim17ROCPRIM_400000_NS6detail17trampoline_kernelINS0_14default_configENS1_25partition_config_selectorILNS1_17partition_subalgoE9EllbEEZZNS1_14partition_implILS5_9ELb0ES3_jPlS8_PNS0_10empty_typeENS0_5tupleIJS8_S9_EEENSB_IJS8_SA_EEENS0_18inequality_wrapperIZN2at6native12_GLOBAL__N_124unique_dim_cuda_templateIsEESt5tupleIJNSF_6TensorESK_SK_EERKSK_lbbbEUlllE0_EEPmJS9_EEE10hipError_tPvRmT3_T4_T5_T6_T7_T9_mT8_P12ihipStream_tbDpT10_ENKUlT_T0_E_clISt17integral_constantIbLb0EES1A_EEDaS15_S16_EUlS15_E_NS1_11comp_targetILNS1_3genE8ELNS1_11target_archE1030ELNS1_3gpuE2ELNS1_3repE0EEENS1_30default_config_static_selectorELNS0_4arch9wavefront6targetE0EEEvT1_,@function
_ZN7rocprim17ROCPRIM_400000_NS6detail17trampoline_kernelINS0_14default_configENS1_25partition_config_selectorILNS1_17partition_subalgoE9EllbEEZZNS1_14partition_implILS5_9ELb0ES3_jPlS8_PNS0_10empty_typeENS0_5tupleIJS8_S9_EEENSB_IJS8_SA_EEENS0_18inequality_wrapperIZN2at6native12_GLOBAL__N_124unique_dim_cuda_templateIsEESt5tupleIJNSF_6TensorESK_SK_EERKSK_lbbbEUlllE0_EEPmJS9_EEE10hipError_tPvRmT3_T4_T5_T6_T7_T9_mT8_P12ihipStream_tbDpT10_ENKUlT_T0_E_clISt17integral_constantIbLb0EES1A_EEDaS15_S16_EUlS15_E_NS1_11comp_targetILNS1_3genE8ELNS1_11target_archE1030ELNS1_3gpuE2ELNS1_3repE0EEENS1_30default_config_static_selectorELNS0_4arch9wavefront6targetE0EEEvT1_: ; @_ZN7rocprim17ROCPRIM_400000_NS6detail17trampoline_kernelINS0_14default_configENS1_25partition_config_selectorILNS1_17partition_subalgoE9EllbEEZZNS1_14partition_implILS5_9ELb0ES3_jPlS8_PNS0_10empty_typeENS0_5tupleIJS8_S9_EEENSB_IJS8_SA_EEENS0_18inequality_wrapperIZN2at6native12_GLOBAL__N_124unique_dim_cuda_templateIsEESt5tupleIJNSF_6TensorESK_SK_EERKSK_lbbbEUlllE0_EEPmJS9_EEE10hipError_tPvRmT3_T4_T5_T6_T7_T9_mT8_P12ihipStream_tbDpT10_ENKUlT_T0_E_clISt17integral_constantIbLb0EES1A_EEDaS15_S16_EUlS15_E_NS1_11comp_targetILNS1_3genE8ELNS1_11target_archE1030ELNS1_3gpuE2ELNS1_3repE0EEENS1_30default_config_static_selectorELNS0_4arch9wavefront6targetE0EEEvT1_
; %bb.0:
	.section	.rodata,"a",@progbits
	.p2align	6, 0x0
	.amdhsa_kernel _ZN7rocprim17ROCPRIM_400000_NS6detail17trampoline_kernelINS0_14default_configENS1_25partition_config_selectorILNS1_17partition_subalgoE9EllbEEZZNS1_14partition_implILS5_9ELb0ES3_jPlS8_PNS0_10empty_typeENS0_5tupleIJS8_S9_EEENSB_IJS8_SA_EEENS0_18inequality_wrapperIZN2at6native12_GLOBAL__N_124unique_dim_cuda_templateIsEESt5tupleIJNSF_6TensorESK_SK_EERKSK_lbbbEUlllE0_EEPmJS9_EEE10hipError_tPvRmT3_T4_T5_T6_T7_T9_mT8_P12ihipStream_tbDpT10_ENKUlT_T0_E_clISt17integral_constantIbLb0EES1A_EEDaS15_S16_EUlS15_E_NS1_11comp_targetILNS1_3genE8ELNS1_11target_archE1030ELNS1_3gpuE2ELNS1_3repE0EEENS1_30default_config_static_selectorELNS0_4arch9wavefront6targetE0EEEvT1_
		.amdhsa_group_segment_fixed_size 0
		.amdhsa_private_segment_fixed_size 0
		.amdhsa_kernarg_size 120
		.amdhsa_user_sgpr_count 15
		.amdhsa_user_sgpr_dispatch_ptr 0
		.amdhsa_user_sgpr_queue_ptr 0
		.amdhsa_user_sgpr_kernarg_segment_ptr 1
		.amdhsa_user_sgpr_dispatch_id 0
		.amdhsa_user_sgpr_private_segment_size 0
		.amdhsa_wavefront_size32 1
		.amdhsa_uses_dynamic_stack 0
		.amdhsa_enable_private_segment 0
		.amdhsa_system_sgpr_workgroup_id_x 1
		.amdhsa_system_sgpr_workgroup_id_y 0
		.amdhsa_system_sgpr_workgroup_id_z 0
		.amdhsa_system_sgpr_workgroup_info 0
		.amdhsa_system_vgpr_workitem_id 0
		.amdhsa_next_free_vgpr 1
		.amdhsa_next_free_sgpr 1
		.amdhsa_reserve_vcc 0
		.amdhsa_float_round_mode_32 0
		.amdhsa_float_round_mode_16_64 0
		.amdhsa_float_denorm_mode_32 3
		.amdhsa_float_denorm_mode_16_64 3
		.amdhsa_dx10_clamp 1
		.amdhsa_ieee_mode 1
		.amdhsa_fp16_overflow 0
		.amdhsa_workgroup_processor_mode 1
		.amdhsa_memory_ordered 1
		.amdhsa_forward_progress 0
		.amdhsa_shared_vgpr_count 0
		.amdhsa_exception_fp_ieee_invalid_op 0
		.amdhsa_exception_fp_denorm_src 0
		.amdhsa_exception_fp_ieee_div_zero 0
		.amdhsa_exception_fp_ieee_overflow 0
		.amdhsa_exception_fp_ieee_underflow 0
		.amdhsa_exception_fp_ieee_inexact 0
		.amdhsa_exception_int_div_zero 0
	.end_amdhsa_kernel
	.section	.text._ZN7rocprim17ROCPRIM_400000_NS6detail17trampoline_kernelINS0_14default_configENS1_25partition_config_selectorILNS1_17partition_subalgoE9EllbEEZZNS1_14partition_implILS5_9ELb0ES3_jPlS8_PNS0_10empty_typeENS0_5tupleIJS8_S9_EEENSB_IJS8_SA_EEENS0_18inequality_wrapperIZN2at6native12_GLOBAL__N_124unique_dim_cuda_templateIsEESt5tupleIJNSF_6TensorESK_SK_EERKSK_lbbbEUlllE0_EEPmJS9_EEE10hipError_tPvRmT3_T4_T5_T6_T7_T9_mT8_P12ihipStream_tbDpT10_ENKUlT_T0_E_clISt17integral_constantIbLb0EES1A_EEDaS15_S16_EUlS15_E_NS1_11comp_targetILNS1_3genE8ELNS1_11target_archE1030ELNS1_3gpuE2ELNS1_3repE0EEENS1_30default_config_static_selectorELNS0_4arch9wavefront6targetE0EEEvT1_,"axG",@progbits,_ZN7rocprim17ROCPRIM_400000_NS6detail17trampoline_kernelINS0_14default_configENS1_25partition_config_selectorILNS1_17partition_subalgoE9EllbEEZZNS1_14partition_implILS5_9ELb0ES3_jPlS8_PNS0_10empty_typeENS0_5tupleIJS8_S9_EEENSB_IJS8_SA_EEENS0_18inequality_wrapperIZN2at6native12_GLOBAL__N_124unique_dim_cuda_templateIsEESt5tupleIJNSF_6TensorESK_SK_EERKSK_lbbbEUlllE0_EEPmJS9_EEE10hipError_tPvRmT3_T4_T5_T6_T7_T9_mT8_P12ihipStream_tbDpT10_ENKUlT_T0_E_clISt17integral_constantIbLb0EES1A_EEDaS15_S16_EUlS15_E_NS1_11comp_targetILNS1_3genE8ELNS1_11target_archE1030ELNS1_3gpuE2ELNS1_3repE0EEENS1_30default_config_static_selectorELNS0_4arch9wavefront6targetE0EEEvT1_,comdat
.Lfunc_end724:
	.size	_ZN7rocprim17ROCPRIM_400000_NS6detail17trampoline_kernelINS0_14default_configENS1_25partition_config_selectorILNS1_17partition_subalgoE9EllbEEZZNS1_14partition_implILS5_9ELb0ES3_jPlS8_PNS0_10empty_typeENS0_5tupleIJS8_S9_EEENSB_IJS8_SA_EEENS0_18inequality_wrapperIZN2at6native12_GLOBAL__N_124unique_dim_cuda_templateIsEESt5tupleIJNSF_6TensorESK_SK_EERKSK_lbbbEUlllE0_EEPmJS9_EEE10hipError_tPvRmT3_T4_T5_T6_T7_T9_mT8_P12ihipStream_tbDpT10_ENKUlT_T0_E_clISt17integral_constantIbLb0EES1A_EEDaS15_S16_EUlS15_E_NS1_11comp_targetILNS1_3genE8ELNS1_11target_archE1030ELNS1_3gpuE2ELNS1_3repE0EEENS1_30default_config_static_selectorELNS0_4arch9wavefront6targetE0EEEvT1_, .Lfunc_end724-_ZN7rocprim17ROCPRIM_400000_NS6detail17trampoline_kernelINS0_14default_configENS1_25partition_config_selectorILNS1_17partition_subalgoE9EllbEEZZNS1_14partition_implILS5_9ELb0ES3_jPlS8_PNS0_10empty_typeENS0_5tupleIJS8_S9_EEENSB_IJS8_SA_EEENS0_18inequality_wrapperIZN2at6native12_GLOBAL__N_124unique_dim_cuda_templateIsEESt5tupleIJNSF_6TensorESK_SK_EERKSK_lbbbEUlllE0_EEPmJS9_EEE10hipError_tPvRmT3_T4_T5_T6_T7_T9_mT8_P12ihipStream_tbDpT10_ENKUlT_T0_E_clISt17integral_constantIbLb0EES1A_EEDaS15_S16_EUlS15_E_NS1_11comp_targetILNS1_3genE8ELNS1_11target_archE1030ELNS1_3gpuE2ELNS1_3repE0EEENS1_30default_config_static_selectorELNS0_4arch9wavefront6targetE0EEEvT1_
                                        ; -- End function
	.section	.AMDGPU.csdata,"",@progbits
; Kernel info:
; codeLenInByte = 0
; NumSgprs: 0
; NumVgprs: 0
; ScratchSize: 0
; MemoryBound: 0
; FloatMode: 240
; IeeeMode: 1
; LDSByteSize: 0 bytes/workgroup (compile time only)
; SGPRBlocks: 0
; VGPRBlocks: 0
; NumSGPRsForWavesPerEU: 1
; NumVGPRsForWavesPerEU: 1
; Occupancy: 16
; WaveLimiterHint : 0
; COMPUTE_PGM_RSRC2:SCRATCH_EN: 0
; COMPUTE_PGM_RSRC2:USER_SGPR: 15
; COMPUTE_PGM_RSRC2:TRAP_HANDLER: 0
; COMPUTE_PGM_RSRC2:TGID_X_EN: 1
; COMPUTE_PGM_RSRC2:TGID_Y_EN: 0
; COMPUTE_PGM_RSRC2:TGID_Z_EN: 0
; COMPUTE_PGM_RSRC2:TIDIG_COMP_CNT: 0
	.section	.text._ZN7rocprim17ROCPRIM_400000_NS6detail17trampoline_kernelINS0_14default_configENS1_25partition_config_selectorILNS1_17partition_subalgoE9EllbEEZZNS1_14partition_implILS5_9ELb0ES3_jPlS8_PNS0_10empty_typeENS0_5tupleIJS8_S9_EEENSB_IJS8_SA_EEENS0_18inequality_wrapperIZN2at6native12_GLOBAL__N_124unique_dim_cuda_templateIsEESt5tupleIJNSF_6TensorESK_SK_EERKSK_lbbbEUlllE0_EEPmJS9_EEE10hipError_tPvRmT3_T4_T5_T6_T7_T9_mT8_P12ihipStream_tbDpT10_ENKUlT_T0_E_clISt17integral_constantIbLb1EES1A_EEDaS15_S16_EUlS15_E_NS1_11comp_targetILNS1_3genE0ELNS1_11target_archE4294967295ELNS1_3gpuE0ELNS1_3repE0EEENS1_30default_config_static_selectorELNS0_4arch9wavefront6targetE0EEEvT1_,"axG",@progbits,_ZN7rocprim17ROCPRIM_400000_NS6detail17trampoline_kernelINS0_14default_configENS1_25partition_config_selectorILNS1_17partition_subalgoE9EllbEEZZNS1_14partition_implILS5_9ELb0ES3_jPlS8_PNS0_10empty_typeENS0_5tupleIJS8_S9_EEENSB_IJS8_SA_EEENS0_18inequality_wrapperIZN2at6native12_GLOBAL__N_124unique_dim_cuda_templateIsEESt5tupleIJNSF_6TensorESK_SK_EERKSK_lbbbEUlllE0_EEPmJS9_EEE10hipError_tPvRmT3_T4_T5_T6_T7_T9_mT8_P12ihipStream_tbDpT10_ENKUlT_T0_E_clISt17integral_constantIbLb1EES1A_EEDaS15_S16_EUlS15_E_NS1_11comp_targetILNS1_3genE0ELNS1_11target_archE4294967295ELNS1_3gpuE0ELNS1_3repE0EEENS1_30default_config_static_selectorELNS0_4arch9wavefront6targetE0EEEvT1_,comdat
	.globl	_ZN7rocprim17ROCPRIM_400000_NS6detail17trampoline_kernelINS0_14default_configENS1_25partition_config_selectorILNS1_17partition_subalgoE9EllbEEZZNS1_14partition_implILS5_9ELb0ES3_jPlS8_PNS0_10empty_typeENS0_5tupleIJS8_S9_EEENSB_IJS8_SA_EEENS0_18inequality_wrapperIZN2at6native12_GLOBAL__N_124unique_dim_cuda_templateIsEESt5tupleIJNSF_6TensorESK_SK_EERKSK_lbbbEUlllE0_EEPmJS9_EEE10hipError_tPvRmT3_T4_T5_T6_T7_T9_mT8_P12ihipStream_tbDpT10_ENKUlT_T0_E_clISt17integral_constantIbLb1EES1A_EEDaS15_S16_EUlS15_E_NS1_11comp_targetILNS1_3genE0ELNS1_11target_archE4294967295ELNS1_3gpuE0ELNS1_3repE0EEENS1_30default_config_static_selectorELNS0_4arch9wavefront6targetE0EEEvT1_ ; -- Begin function _ZN7rocprim17ROCPRIM_400000_NS6detail17trampoline_kernelINS0_14default_configENS1_25partition_config_selectorILNS1_17partition_subalgoE9EllbEEZZNS1_14partition_implILS5_9ELb0ES3_jPlS8_PNS0_10empty_typeENS0_5tupleIJS8_S9_EEENSB_IJS8_SA_EEENS0_18inequality_wrapperIZN2at6native12_GLOBAL__N_124unique_dim_cuda_templateIsEESt5tupleIJNSF_6TensorESK_SK_EERKSK_lbbbEUlllE0_EEPmJS9_EEE10hipError_tPvRmT3_T4_T5_T6_T7_T9_mT8_P12ihipStream_tbDpT10_ENKUlT_T0_E_clISt17integral_constantIbLb1EES1A_EEDaS15_S16_EUlS15_E_NS1_11comp_targetILNS1_3genE0ELNS1_11target_archE4294967295ELNS1_3gpuE0ELNS1_3repE0EEENS1_30default_config_static_selectorELNS0_4arch9wavefront6targetE0EEEvT1_
	.p2align	8
	.type	_ZN7rocprim17ROCPRIM_400000_NS6detail17trampoline_kernelINS0_14default_configENS1_25partition_config_selectorILNS1_17partition_subalgoE9EllbEEZZNS1_14partition_implILS5_9ELb0ES3_jPlS8_PNS0_10empty_typeENS0_5tupleIJS8_S9_EEENSB_IJS8_SA_EEENS0_18inequality_wrapperIZN2at6native12_GLOBAL__N_124unique_dim_cuda_templateIsEESt5tupleIJNSF_6TensorESK_SK_EERKSK_lbbbEUlllE0_EEPmJS9_EEE10hipError_tPvRmT3_T4_T5_T6_T7_T9_mT8_P12ihipStream_tbDpT10_ENKUlT_T0_E_clISt17integral_constantIbLb1EES1A_EEDaS15_S16_EUlS15_E_NS1_11comp_targetILNS1_3genE0ELNS1_11target_archE4294967295ELNS1_3gpuE0ELNS1_3repE0EEENS1_30default_config_static_selectorELNS0_4arch9wavefront6targetE0EEEvT1_,@function
_ZN7rocprim17ROCPRIM_400000_NS6detail17trampoline_kernelINS0_14default_configENS1_25partition_config_selectorILNS1_17partition_subalgoE9EllbEEZZNS1_14partition_implILS5_9ELb0ES3_jPlS8_PNS0_10empty_typeENS0_5tupleIJS8_S9_EEENSB_IJS8_SA_EEENS0_18inequality_wrapperIZN2at6native12_GLOBAL__N_124unique_dim_cuda_templateIsEESt5tupleIJNSF_6TensorESK_SK_EERKSK_lbbbEUlllE0_EEPmJS9_EEE10hipError_tPvRmT3_T4_T5_T6_T7_T9_mT8_P12ihipStream_tbDpT10_ENKUlT_T0_E_clISt17integral_constantIbLb1EES1A_EEDaS15_S16_EUlS15_E_NS1_11comp_targetILNS1_3genE0ELNS1_11target_archE4294967295ELNS1_3gpuE0ELNS1_3repE0EEENS1_30default_config_static_selectorELNS0_4arch9wavefront6targetE0EEEvT1_: ; @_ZN7rocprim17ROCPRIM_400000_NS6detail17trampoline_kernelINS0_14default_configENS1_25partition_config_selectorILNS1_17partition_subalgoE9EllbEEZZNS1_14partition_implILS5_9ELb0ES3_jPlS8_PNS0_10empty_typeENS0_5tupleIJS8_S9_EEENSB_IJS8_SA_EEENS0_18inequality_wrapperIZN2at6native12_GLOBAL__N_124unique_dim_cuda_templateIsEESt5tupleIJNSF_6TensorESK_SK_EERKSK_lbbbEUlllE0_EEPmJS9_EEE10hipError_tPvRmT3_T4_T5_T6_T7_T9_mT8_P12ihipStream_tbDpT10_ENKUlT_T0_E_clISt17integral_constantIbLb1EES1A_EEDaS15_S16_EUlS15_E_NS1_11comp_targetILNS1_3genE0ELNS1_11target_archE4294967295ELNS1_3gpuE0ELNS1_3repE0EEENS1_30default_config_static_selectorELNS0_4arch9wavefront6targetE0EEEvT1_
; %bb.0:
	.section	.rodata,"a",@progbits
	.p2align	6, 0x0
	.amdhsa_kernel _ZN7rocprim17ROCPRIM_400000_NS6detail17trampoline_kernelINS0_14default_configENS1_25partition_config_selectorILNS1_17partition_subalgoE9EllbEEZZNS1_14partition_implILS5_9ELb0ES3_jPlS8_PNS0_10empty_typeENS0_5tupleIJS8_S9_EEENSB_IJS8_SA_EEENS0_18inequality_wrapperIZN2at6native12_GLOBAL__N_124unique_dim_cuda_templateIsEESt5tupleIJNSF_6TensorESK_SK_EERKSK_lbbbEUlllE0_EEPmJS9_EEE10hipError_tPvRmT3_T4_T5_T6_T7_T9_mT8_P12ihipStream_tbDpT10_ENKUlT_T0_E_clISt17integral_constantIbLb1EES1A_EEDaS15_S16_EUlS15_E_NS1_11comp_targetILNS1_3genE0ELNS1_11target_archE4294967295ELNS1_3gpuE0ELNS1_3repE0EEENS1_30default_config_static_selectorELNS0_4arch9wavefront6targetE0EEEvT1_
		.amdhsa_group_segment_fixed_size 0
		.amdhsa_private_segment_fixed_size 0
		.amdhsa_kernarg_size 136
		.amdhsa_user_sgpr_count 15
		.amdhsa_user_sgpr_dispatch_ptr 0
		.amdhsa_user_sgpr_queue_ptr 0
		.amdhsa_user_sgpr_kernarg_segment_ptr 1
		.amdhsa_user_sgpr_dispatch_id 0
		.amdhsa_user_sgpr_private_segment_size 0
		.amdhsa_wavefront_size32 1
		.amdhsa_uses_dynamic_stack 0
		.amdhsa_enable_private_segment 0
		.amdhsa_system_sgpr_workgroup_id_x 1
		.amdhsa_system_sgpr_workgroup_id_y 0
		.amdhsa_system_sgpr_workgroup_id_z 0
		.amdhsa_system_sgpr_workgroup_info 0
		.amdhsa_system_vgpr_workitem_id 0
		.amdhsa_next_free_vgpr 1
		.amdhsa_next_free_sgpr 1
		.amdhsa_reserve_vcc 0
		.amdhsa_float_round_mode_32 0
		.amdhsa_float_round_mode_16_64 0
		.amdhsa_float_denorm_mode_32 3
		.amdhsa_float_denorm_mode_16_64 3
		.amdhsa_dx10_clamp 1
		.amdhsa_ieee_mode 1
		.amdhsa_fp16_overflow 0
		.amdhsa_workgroup_processor_mode 1
		.amdhsa_memory_ordered 1
		.amdhsa_forward_progress 0
		.amdhsa_shared_vgpr_count 0
		.amdhsa_exception_fp_ieee_invalid_op 0
		.amdhsa_exception_fp_denorm_src 0
		.amdhsa_exception_fp_ieee_div_zero 0
		.amdhsa_exception_fp_ieee_overflow 0
		.amdhsa_exception_fp_ieee_underflow 0
		.amdhsa_exception_fp_ieee_inexact 0
		.amdhsa_exception_int_div_zero 0
	.end_amdhsa_kernel
	.section	.text._ZN7rocprim17ROCPRIM_400000_NS6detail17trampoline_kernelINS0_14default_configENS1_25partition_config_selectorILNS1_17partition_subalgoE9EllbEEZZNS1_14partition_implILS5_9ELb0ES3_jPlS8_PNS0_10empty_typeENS0_5tupleIJS8_S9_EEENSB_IJS8_SA_EEENS0_18inequality_wrapperIZN2at6native12_GLOBAL__N_124unique_dim_cuda_templateIsEESt5tupleIJNSF_6TensorESK_SK_EERKSK_lbbbEUlllE0_EEPmJS9_EEE10hipError_tPvRmT3_T4_T5_T6_T7_T9_mT8_P12ihipStream_tbDpT10_ENKUlT_T0_E_clISt17integral_constantIbLb1EES1A_EEDaS15_S16_EUlS15_E_NS1_11comp_targetILNS1_3genE0ELNS1_11target_archE4294967295ELNS1_3gpuE0ELNS1_3repE0EEENS1_30default_config_static_selectorELNS0_4arch9wavefront6targetE0EEEvT1_,"axG",@progbits,_ZN7rocprim17ROCPRIM_400000_NS6detail17trampoline_kernelINS0_14default_configENS1_25partition_config_selectorILNS1_17partition_subalgoE9EllbEEZZNS1_14partition_implILS5_9ELb0ES3_jPlS8_PNS0_10empty_typeENS0_5tupleIJS8_S9_EEENSB_IJS8_SA_EEENS0_18inequality_wrapperIZN2at6native12_GLOBAL__N_124unique_dim_cuda_templateIsEESt5tupleIJNSF_6TensorESK_SK_EERKSK_lbbbEUlllE0_EEPmJS9_EEE10hipError_tPvRmT3_T4_T5_T6_T7_T9_mT8_P12ihipStream_tbDpT10_ENKUlT_T0_E_clISt17integral_constantIbLb1EES1A_EEDaS15_S16_EUlS15_E_NS1_11comp_targetILNS1_3genE0ELNS1_11target_archE4294967295ELNS1_3gpuE0ELNS1_3repE0EEENS1_30default_config_static_selectorELNS0_4arch9wavefront6targetE0EEEvT1_,comdat
.Lfunc_end725:
	.size	_ZN7rocprim17ROCPRIM_400000_NS6detail17trampoline_kernelINS0_14default_configENS1_25partition_config_selectorILNS1_17partition_subalgoE9EllbEEZZNS1_14partition_implILS5_9ELb0ES3_jPlS8_PNS0_10empty_typeENS0_5tupleIJS8_S9_EEENSB_IJS8_SA_EEENS0_18inequality_wrapperIZN2at6native12_GLOBAL__N_124unique_dim_cuda_templateIsEESt5tupleIJNSF_6TensorESK_SK_EERKSK_lbbbEUlllE0_EEPmJS9_EEE10hipError_tPvRmT3_T4_T5_T6_T7_T9_mT8_P12ihipStream_tbDpT10_ENKUlT_T0_E_clISt17integral_constantIbLb1EES1A_EEDaS15_S16_EUlS15_E_NS1_11comp_targetILNS1_3genE0ELNS1_11target_archE4294967295ELNS1_3gpuE0ELNS1_3repE0EEENS1_30default_config_static_selectorELNS0_4arch9wavefront6targetE0EEEvT1_, .Lfunc_end725-_ZN7rocprim17ROCPRIM_400000_NS6detail17trampoline_kernelINS0_14default_configENS1_25partition_config_selectorILNS1_17partition_subalgoE9EllbEEZZNS1_14partition_implILS5_9ELb0ES3_jPlS8_PNS0_10empty_typeENS0_5tupleIJS8_S9_EEENSB_IJS8_SA_EEENS0_18inequality_wrapperIZN2at6native12_GLOBAL__N_124unique_dim_cuda_templateIsEESt5tupleIJNSF_6TensorESK_SK_EERKSK_lbbbEUlllE0_EEPmJS9_EEE10hipError_tPvRmT3_T4_T5_T6_T7_T9_mT8_P12ihipStream_tbDpT10_ENKUlT_T0_E_clISt17integral_constantIbLb1EES1A_EEDaS15_S16_EUlS15_E_NS1_11comp_targetILNS1_3genE0ELNS1_11target_archE4294967295ELNS1_3gpuE0ELNS1_3repE0EEENS1_30default_config_static_selectorELNS0_4arch9wavefront6targetE0EEEvT1_
                                        ; -- End function
	.section	.AMDGPU.csdata,"",@progbits
; Kernel info:
; codeLenInByte = 0
; NumSgprs: 0
; NumVgprs: 0
; ScratchSize: 0
; MemoryBound: 0
; FloatMode: 240
; IeeeMode: 1
; LDSByteSize: 0 bytes/workgroup (compile time only)
; SGPRBlocks: 0
; VGPRBlocks: 0
; NumSGPRsForWavesPerEU: 1
; NumVGPRsForWavesPerEU: 1
; Occupancy: 16
; WaveLimiterHint : 0
; COMPUTE_PGM_RSRC2:SCRATCH_EN: 0
; COMPUTE_PGM_RSRC2:USER_SGPR: 15
; COMPUTE_PGM_RSRC2:TRAP_HANDLER: 0
; COMPUTE_PGM_RSRC2:TGID_X_EN: 1
; COMPUTE_PGM_RSRC2:TGID_Y_EN: 0
; COMPUTE_PGM_RSRC2:TGID_Z_EN: 0
; COMPUTE_PGM_RSRC2:TIDIG_COMP_CNT: 0
	.section	.text._ZN7rocprim17ROCPRIM_400000_NS6detail17trampoline_kernelINS0_14default_configENS1_25partition_config_selectorILNS1_17partition_subalgoE9EllbEEZZNS1_14partition_implILS5_9ELb0ES3_jPlS8_PNS0_10empty_typeENS0_5tupleIJS8_S9_EEENSB_IJS8_SA_EEENS0_18inequality_wrapperIZN2at6native12_GLOBAL__N_124unique_dim_cuda_templateIsEESt5tupleIJNSF_6TensorESK_SK_EERKSK_lbbbEUlllE0_EEPmJS9_EEE10hipError_tPvRmT3_T4_T5_T6_T7_T9_mT8_P12ihipStream_tbDpT10_ENKUlT_T0_E_clISt17integral_constantIbLb1EES1A_EEDaS15_S16_EUlS15_E_NS1_11comp_targetILNS1_3genE5ELNS1_11target_archE942ELNS1_3gpuE9ELNS1_3repE0EEENS1_30default_config_static_selectorELNS0_4arch9wavefront6targetE0EEEvT1_,"axG",@progbits,_ZN7rocprim17ROCPRIM_400000_NS6detail17trampoline_kernelINS0_14default_configENS1_25partition_config_selectorILNS1_17partition_subalgoE9EllbEEZZNS1_14partition_implILS5_9ELb0ES3_jPlS8_PNS0_10empty_typeENS0_5tupleIJS8_S9_EEENSB_IJS8_SA_EEENS0_18inequality_wrapperIZN2at6native12_GLOBAL__N_124unique_dim_cuda_templateIsEESt5tupleIJNSF_6TensorESK_SK_EERKSK_lbbbEUlllE0_EEPmJS9_EEE10hipError_tPvRmT3_T4_T5_T6_T7_T9_mT8_P12ihipStream_tbDpT10_ENKUlT_T0_E_clISt17integral_constantIbLb1EES1A_EEDaS15_S16_EUlS15_E_NS1_11comp_targetILNS1_3genE5ELNS1_11target_archE942ELNS1_3gpuE9ELNS1_3repE0EEENS1_30default_config_static_selectorELNS0_4arch9wavefront6targetE0EEEvT1_,comdat
	.globl	_ZN7rocprim17ROCPRIM_400000_NS6detail17trampoline_kernelINS0_14default_configENS1_25partition_config_selectorILNS1_17partition_subalgoE9EllbEEZZNS1_14partition_implILS5_9ELb0ES3_jPlS8_PNS0_10empty_typeENS0_5tupleIJS8_S9_EEENSB_IJS8_SA_EEENS0_18inequality_wrapperIZN2at6native12_GLOBAL__N_124unique_dim_cuda_templateIsEESt5tupleIJNSF_6TensorESK_SK_EERKSK_lbbbEUlllE0_EEPmJS9_EEE10hipError_tPvRmT3_T4_T5_T6_T7_T9_mT8_P12ihipStream_tbDpT10_ENKUlT_T0_E_clISt17integral_constantIbLb1EES1A_EEDaS15_S16_EUlS15_E_NS1_11comp_targetILNS1_3genE5ELNS1_11target_archE942ELNS1_3gpuE9ELNS1_3repE0EEENS1_30default_config_static_selectorELNS0_4arch9wavefront6targetE0EEEvT1_ ; -- Begin function _ZN7rocprim17ROCPRIM_400000_NS6detail17trampoline_kernelINS0_14default_configENS1_25partition_config_selectorILNS1_17partition_subalgoE9EllbEEZZNS1_14partition_implILS5_9ELb0ES3_jPlS8_PNS0_10empty_typeENS0_5tupleIJS8_S9_EEENSB_IJS8_SA_EEENS0_18inequality_wrapperIZN2at6native12_GLOBAL__N_124unique_dim_cuda_templateIsEESt5tupleIJNSF_6TensorESK_SK_EERKSK_lbbbEUlllE0_EEPmJS9_EEE10hipError_tPvRmT3_T4_T5_T6_T7_T9_mT8_P12ihipStream_tbDpT10_ENKUlT_T0_E_clISt17integral_constantIbLb1EES1A_EEDaS15_S16_EUlS15_E_NS1_11comp_targetILNS1_3genE5ELNS1_11target_archE942ELNS1_3gpuE9ELNS1_3repE0EEENS1_30default_config_static_selectorELNS0_4arch9wavefront6targetE0EEEvT1_
	.p2align	8
	.type	_ZN7rocprim17ROCPRIM_400000_NS6detail17trampoline_kernelINS0_14default_configENS1_25partition_config_selectorILNS1_17partition_subalgoE9EllbEEZZNS1_14partition_implILS5_9ELb0ES3_jPlS8_PNS0_10empty_typeENS0_5tupleIJS8_S9_EEENSB_IJS8_SA_EEENS0_18inequality_wrapperIZN2at6native12_GLOBAL__N_124unique_dim_cuda_templateIsEESt5tupleIJNSF_6TensorESK_SK_EERKSK_lbbbEUlllE0_EEPmJS9_EEE10hipError_tPvRmT3_T4_T5_T6_T7_T9_mT8_P12ihipStream_tbDpT10_ENKUlT_T0_E_clISt17integral_constantIbLb1EES1A_EEDaS15_S16_EUlS15_E_NS1_11comp_targetILNS1_3genE5ELNS1_11target_archE942ELNS1_3gpuE9ELNS1_3repE0EEENS1_30default_config_static_selectorELNS0_4arch9wavefront6targetE0EEEvT1_,@function
_ZN7rocprim17ROCPRIM_400000_NS6detail17trampoline_kernelINS0_14default_configENS1_25partition_config_selectorILNS1_17partition_subalgoE9EllbEEZZNS1_14partition_implILS5_9ELb0ES3_jPlS8_PNS0_10empty_typeENS0_5tupleIJS8_S9_EEENSB_IJS8_SA_EEENS0_18inequality_wrapperIZN2at6native12_GLOBAL__N_124unique_dim_cuda_templateIsEESt5tupleIJNSF_6TensorESK_SK_EERKSK_lbbbEUlllE0_EEPmJS9_EEE10hipError_tPvRmT3_T4_T5_T6_T7_T9_mT8_P12ihipStream_tbDpT10_ENKUlT_T0_E_clISt17integral_constantIbLb1EES1A_EEDaS15_S16_EUlS15_E_NS1_11comp_targetILNS1_3genE5ELNS1_11target_archE942ELNS1_3gpuE9ELNS1_3repE0EEENS1_30default_config_static_selectorELNS0_4arch9wavefront6targetE0EEEvT1_: ; @_ZN7rocprim17ROCPRIM_400000_NS6detail17trampoline_kernelINS0_14default_configENS1_25partition_config_selectorILNS1_17partition_subalgoE9EllbEEZZNS1_14partition_implILS5_9ELb0ES3_jPlS8_PNS0_10empty_typeENS0_5tupleIJS8_S9_EEENSB_IJS8_SA_EEENS0_18inequality_wrapperIZN2at6native12_GLOBAL__N_124unique_dim_cuda_templateIsEESt5tupleIJNSF_6TensorESK_SK_EERKSK_lbbbEUlllE0_EEPmJS9_EEE10hipError_tPvRmT3_T4_T5_T6_T7_T9_mT8_P12ihipStream_tbDpT10_ENKUlT_T0_E_clISt17integral_constantIbLb1EES1A_EEDaS15_S16_EUlS15_E_NS1_11comp_targetILNS1_3genE5ELNS1_11target_archE942ELNS1_3gpuE9ELNS1_3repE0EEENS1_30default_config_static_selectorELNS0_4arch9wavefront6targetE0EEEvT1_
; %bb.0:
	.section	.rodata,"a",@progbits
	.p2align	6, 0x0
	.amdhsa_kernel _ZN7rocprim17ROCPRIM_400000_NS6detail17trampoline_kernelINS0_14default_configENS1_25partition_config_selectorILNS1_17partition_subalgoE9EllbEEZZNS1_14partition_implILS5_9ELb0ES3_jPlS8_PNS0_10empty_typeENS0_5tupleIJS8_S9_EEENSB_IJS8_SA_EEENS0_18inequality_wrapperIZN2at6native12_GLOBAL__N_124unique_dim_cuda_templateIsEESt5tupleIJNSF_6TensorESK_SK_EERKSK_lbbbEUlllE0_EEPmJS9_EEE10hipError_tPvRmT3_T4_T5_T6_T7_T9_mT8_P12ihipStream_tbDpT10_ENKUlT_T0_E_clISt17integral_constantIbLb1EES1A_EEDaS15_S16_EUlS15_E_NS1_11comp_targetILNS1_3genE5ELNS1_11target_archE942ELNS1_3gpuE9ELNS1_3repE0EEENS1_30default_config_static_selectorELNS0_4arch9wavefront6targetE0EEEvT1_
		.amdhsa_group_segment_fixed_size 0
		.amdhsa_private_segment_fixed_size 0
		.amdhsa_kernarg_size 136
		.amdhsa_user_sgpr_count 15
		.amdhsa_user_sgpr_dispatch_ptr 0
		.amdhsa_user_sgpr_queue_ptr 0
		.amdhsa_user_sgpr_kernarg_segment_ptr 1
		.amdhsa_user_sgpr_dispatch_id 0
		.amdhsa_user_sgpr_private_segment_size 0
		.amdhsa_wavefront_size32 1
		.amdhsa_uses_dynamic_stack 0
		.amdhsa_enable_private_segment 0
		.amdhsa_system_sgpr_workgroup_id_x 1
		.amdhsa_system_sgpr_workgroup_id_y 0
		.amdhsa_system_sgpr_workgroup_id_z 0
		.amdhsa_system_sgpr_workgroup_info 0
		.amdhsa_system_vgpr_workitem_id 0
		.amdhsa_next_free_vgpr 1
		.amdhsa_next_free_sgpr 1
		.amdhsa_reserve_vcc 0
		.amdhsa_float_round_mode_32 0
		.amdhsa_float_round_mode_16_64 0
		.amdhsa_float_denorm_mode_32 3
		.amdhsa_float_denorm_mode_16_64 3
		.amdhsa_dx10_clamp 1
		.amdhsa_ieee_mode 1
		.amdhsa_fp16_overflow 0
		.amdhsa_workgroup_processor_mode 1
		.amdhsa_memory_ordered 1
		.amdhsa_forward_progress 0
		.amdhsa_shared_vgpr_count 0
		.amdhsa_exception_fp_ieee_invalid_op 0
		.amdhsa_exception_fp_denorm_src 0
		.amdhsa_exception_fp_ieee_div_zero 0
		.amdhsa_exception_fp_ieee_overflow 0
		.amdhsa_exception_fp_ieee_underflow 0
		.amdhsa_exception_fp_ieee_inexact 0
		.amdhsa_exception_int_div_zero 0
	.end_amdhsa_kernel
	.section	.text._ZN7rocprim17ROCPRIM_400000_NS6detail17trampoline_kernelINS0_14default_configENS1_25partition_config_selectorILNS1_17partition_subalgoE9EllbEEZZNS1_14partition_implILS5_9ELb0ES3_jPlS8_PNS0_10empty_typeENS0_5tupleIJS8_S9_EEENSB_IJS8_SA_EEENS0_18inequality_wrapperIZN2at6native12_GLOBAL__N_124unique_dim_cuda_templateIsEESt5tupleIJNSF_6TensorESK_SK_EERKSK_lbbbEUlllE0_EEPmJS9_EEE10hipError_tPvRmT3_T4_T5_T6_T7_T9_mT8_P12ihipStream_tbDpT10_ENKUlT_T0_E_clISt17integral_constantIbLb1EES1A_EEDaS15_S16_EUlS15_E_NS1_11comp_targetILNS1_3genE5ELNS1_11target_archE942ELNS1_3gpuE9ELNS1_3repE0EEENS1_30default_config_static_selectorELNS0_4arch9wavefront6targetE0EEEvT1_,"axG",@progbits,_ZN7rocprim17ROCPRIM_400000_NS6detail17trampoline_kernelINS0_14default_configENS1_25partition_config_selectorILNS1_17partition_subalgoE9EllbEEZZNS1_14partition_implILS5_9ELb0ES3_jPlS8_PNS0_10empty_typeENS0_5tupleIJS8_S9_EEENSB_IJS8_SA_EEENS0_18inequality_wrapperIZN2at6native12_GLOBAL__N_124unique_dim_cuda_templateIsEESt5tupleIJNSF_6TensorESK_SK_EERKSK_lbbbEUlllE0_EEPmJS9_EEE10hipError_tPvRmT3_T4_T5_T6_T7_T9_mT8_P12ihipStream_tbDpT10_ENKUlT_T0_E_clISt17integral_constantIbLb1EES1A_EEDaS15_S16_EUlS15_E_NS1_11comp_targetILNS1_3genE5ELNS1_11target_archE942ELNS1_3gpuE9ELNS1_3repE0EEENS1_30default_config_static_selectorELNS0_4arch9wavefront6targetE0EEEvT1_,comdat
.Lfunc_end726:
	.size	_ZN7rocprim17ROCPRIM_400000_NS6detail17trampoline_kernelINS0_14default_configENS1_25partition_config_selectorILNS1_17partition_subalgoE9EllbEEZZNS1_14partition_implILS5_9ELb0ES3_jPlS8_PNS0_10empty_typeENS0_5tupleIJS8_S9_EEENSB_IJS8_SA_EEENS0_18inequality_wrapperIZN2at6native12_GLOBAL__N_124unique_dim_cuda_templateIsEESt5tupleIJNSF_6TensorESK_SK_EERKSK_lbbbEUlllE0_EEPmJS9_EEE10hipError_tPvRmT3_T4_T5_T6_T7_T9_mT8_P12ihipStream_tbDpT10_ENKUlT_T0_E_clISt17integral_constantIbLb1EES1A_EEDaS15_S16_EUlS15_E_NS1_11comp_targetILNS1_3genE5ELNS1_11target_archE942ELNS1_3gpuE9ELNS1_3repE0EEENS1_30default_config_static_selectorELNS0_4arch9wavefront6targetE0EEEvT1_, .Lfunc_end726-_ZN7rocprim17ROCPRIM_400000_NS6detail17trampoline_kernelINS0_14default_configENS1_25partition_config_selectorILNS1_17partition_subalgoE9EllbEEZZNS1_14partition_implILS5_9ELb0ES3_jPlS8_PNS0_10empty_typeENS0_5tupleIJS8_S9_EEENSB_IJS8_SA_EEENS0_18inequality_wrapperIZN2at6native12_GLOBAL__N_124unique_dim_cuda_templateIsEESt5tupleIJNSF_6TensorESK_SK_EERKSK_lbbbEUlllE0_EEPmJS9_EEE10hipError_tPvRmT3_T4_T5_T6_T7_T9_mT8_P12ihipStream_tbDpT10_ENKUlT_T0_E_clISt17integral_constantIbLb1EES1A_EEDaS15_S16_EUlS15_E_NS1_11comp_targetILNS1_3genE5ELNS1_11target_archE942ELNS1_3gpuE9ELNS1_3repE0EEENS1_30default_config_static_selectorELNS0_4arch9wavefront6targetE0EEEvT1_
                                        ; -- End function
	.section	.AMDGPU.csdata,"",@progbits
; Kernel info:
; codeLenInByte = 0
; NumSgprs: 0
; NumVgprs: 0
; ScratchSize: 0
; MemoryBound: 0
; FloatMode: 240
; IeeeMode: 1
; LDSByteSize: 0 bytes/workgroup (compile time only)
; SGPRBlocks: 0
; VGPRBlocks: 0
; NumSGPRsForWavesPerEU: 1
; NumVGPRsForWavesPerEU: 1
; Occupancy: 16
; WaveLimiterHint : 0
; COMPUTE_PGM_RSRC2:SCRATCH_EN: 0
; COMPUTE_PGM_RSRC2:USER_SGPR: 15
; COMPUTE_PGM_RSRC2:TRAP_HANDLER: 0
; COMPUTE_PGM_RSRC2:TGID_X_EN: 1
; COMPUTE_PGM_RSRC2:TGID_Y_EN: 0
; COMPUTE_PGM_RSRC2:TGID_Z_EN: 0
; COMPUTE_PGM_RSRC2:TIDIG_COMP_CNT: 0
	.section	.text._ZN7rocprim17ROCPRIM_400000_NS6detail17trampoline_kernelINS0_14default_configENS1_25partition_config_selectorILNS1_17partition_subalgoE9EllbEEZZNS1_14partition_implILS5_9ELb0ES3_jPlS8_PNS0_10empty_typeENS0_5tupleIJS8_S9_EEENSB_IJS8_SA_EEENS0_18inequality_wrapperIZN2at6native12_GLOBAL__N_124unique_dim_cuda_templateIsEESt5tupleIJNSF_6TensorESK_SK_EERKSK_lbbbEUlllE0_EEPmJS9_EEE10hipError_tPvRmT3_T4_T5_T6_T7_T9_mT8_P12ihipStream_tbDpT10_ENKUlT_T0_E_clISt17integral_constantIbLb1EES1A_EEDaS15_S16_EUlS15_E_NS1_11comp_targetILNS1_3genE4ELNS1_11target_archE910ELNS1_3gpuE8ELNS1_3repE0EEENS1_30default_config_static_selectorELNS0_4arch9wavefront6targetE0EEEvT1_,"axG",@progbits,_ZN7rocprim17ROCPRIM_400000_NS6detail17trampoline_kernelINS0_14default_configENS1_25partition_config_selectorILNS1_17partition_subalgoE9EllbEEZZNS1_14partition_implILS5_9ELb0ES3_jPlS8_PNS0_10empty_typeENS0_5tupleIJS8_S9_EEENSB_IJS8_SA_EEENS0_18inequality_wrapperIZN2at6native12_GLOBAL__N_124unique_dim_cuda_templateIsEESt5tupleIJNSF_6TensorESK_SK_EERKSK_lbbbEUlllE0_EEPmJS9_EEE10hipError_tPvRmT3_T4_T5_T6_T7_T9_mT8_P12ihipStream_tbDpT10_ENKUlT_T0_E_clISt17integral_constantIbLb1EES1A_EEDaS15_S16_EUlS15_E_NS1_11comp_targetILNS1_3genE4ELNS1_11target_archE910ELNS1_3gpuE8ELNS1_3repE0EEENS1_30default_config_static_selectorELNS0_4arch9wavefront6targetE0EEEvT1_,comdat
	.globl	_ZN7rocprim17ROCPRIM_400000_NS6detail17trampoline_kernelINS0_14default_configENS1_25partition_config_selectorILNS1_17partition_subalgoE9EllbEEZZNS1_14partition_implILS5_9ELb0ES3_jPlS8_PNS0_10empty_typeENS0_5tupleIJS8_S9_EEENSB_IJS8_SA_EEENS0_18inequality_wrapperIZN2at6native12_GLOBAL__N_124unique_dim_cuda_templateIsEESt5tupleIJNSF_6TensorESK_SK_EERKSK_lbbbEUlllE0_EEPmJS9_EEE10hipError_tPvRmT3_T4_T5_T6_T7_T9_mT8_P12ihipStream_tbDpT10_ENKUlT_T0_E_clISt17integral_constantIbLb1EES1A_EEDaS15_S16_EUlS15_E_NS1_11comp_targetILNS1_3genE4ELNS1_11target_archE910ELNS1_3gpuE8ELNS1_3repE0EEENS1_30default_config_static_selectorELNS0_4arch9wavefront6targetE0EEEvT1_ ; -- Begin function _ZN7rocprim17ROCPRIM_400000_NS6detail17trampoline_kernelINS0_14default_configENS1_25partition_config_selectorILNS1_17partition_subalgoE9EllbEEZZNS1_14partition_implILS5_9ELb0ES3_jPlS8_PNS0_10empty_typeENS0_5tupleIJS8_S9_EEENSB_IJS8_SA_EEENS0_18inequality_wrapperIZN2at6native12_GLOBAL__N_124unique_dim_cuda_templateIsEESt5tupleIJNSF_6TensorESK_SK_EERKSK_lbbbEUlllE0_EEPmJS9_EEE10hipError_tPvRmT3_T4_T5_T6_T7_T9_mT8_P12ihipStream_tbDpT10_ENKUlT_T0_E_clISt17integral_constantIbLb1EES1A_EEDaS15_S16_EUlS15_E_NS1_11comp_targetILNS1_3genE4ELNS1_11target_archE910ELNS1_3gpuE8ELNS1_3repE0EEENS1_30default_config_static_selectorELNS0_4arch9wavefront6targetE0EEEvT1_
	.p2align	8
	.type	_ZN7rocprim17ROCPRIM_400000_NS6detail17trampoline_kernelINS0_14default_configENS1_25partition_config_selectorILNS1_17partition_subalgoE9EllbEEZZNS1_14partition_implILS5_9ELb0ES3_jPlS8_PNS0_10empty_typeENS0_5tupleIJS8_S9_EEENSB_IJS8_SA_EEENS0_18inequality_wrapperIZN2at6native12_GLOBAL__N_124unique_dim_cuda_templateIsEESt5tupleIJNSF_6TensorESK_SK_EERKSK_lbbbEUlllE0_EEPmJS9_EEE10hipError_tPvRmT3_T4_T5_T6_T7_T9_mT8_P12ihipStream_tbDpT10_ENKUlT_T0_E_clISt17integral_constantIbLb1EES1A_EEDaS15_S16_EUlS15_E_NS1_11comp_targetILNS1_3genE4ELNS1_11target_archE910ELNS1_3gpuE8ELNS1_3repE0EEENS1_30default_config_static_selectorELNS0_4arch9wavefront6targetE0EEEvT1_,@function
_ZN7rocprim17ROCPRIM_400000_NS6detail17trampoline_kernelINS0_14default_configENS1_25partition_config_selectorILNS1_17partition_subalgoE9EllbEEZZNS1_14partition_implILS5_9ELb0ES3_jPlS8_PNS0_10empty_typeENS0_5tupleIJS8_S9_EEENSB_IJS8_SA_EEENS0_18inequality_wrapperIZN2at6native12_GLOBAL__N_124unique_dim_cuda_templateIsEESt5tupleIJNSF_6TensorESK_SK_EERKSK_lbbbEUlllE0_EEPmJS9_EEE10hipError_tPvRmT3_T4_T5_T6_T7_T9_mT8_P12ihipStream_tbDpT10_ENKUlT_T0_E_clISt17integral_constantIbLb1EES1A_EEDaS15_S16_EUlS15_E_NS1_11comp_targetILNS1_3genE4ELNS1_11target_archE910ELNS1_3gpuE8ELNS1_3repE0EEENS1_30default_config_static_selectorELNS0_4arch9wavefront6targetE0EEEvT1_: ; @_ZN7rocprim17ROCPRIM_400000_NS6detail17trampoline_kernelINS0_14default_configENS1_25partition_config_selectorILNS1_17partition_subalgoE9EllbEEZZNS1_14partition_implILS5_9ELb0ES3_jPlS8_PNS0_10empty_typeENS0_5tupleIJS8_S9_EEENSB_IJS8_SA_EEENS0_18inequality_wrapperIZN2at6native12_GLOBAL__N_124unique_dim_cuda_templateIsEESt5tupleIJNSF_6TensorESK_SK_EERKSK_lbbbEUlllE0_EEPmJS9_EEE10hipError_tPvRmT3_T4_T5_T6_T7_T9_mT8_P12ihipStream_tbDpT10_ENKUlT_T0_E_clISt17integral_constantIbLb1EES1A_EEDaS15_S16_EUlS15_E_NS1_11comp_targetILNS1_3genE4ELNS1_11target_archE910ELNS1_3gpuE8ELNS1_3repE0EEENS1_30default_config_static_selectorELNS0_4arch9wavefront6targetE0EEEvT1_
; %bb.0:
	.section	.rodata,"a",@progbits
	.p2align	6, 0x0
	.amdhsa_kernel _ZN7rocprim17ROCPRIM_400000_NS6detail17trampoline_kernelINS0_14default_configENS1_25partition_config_selectorILNS1_17partition_subalgoE9EllbEEZZNS1_14partition_implILS5_9ELb0ES3_jPlS8_PNS0_10empty_typeENS0_5tupleIJS8_S9_EEENSB_IJS8_SA_EEENS0_18inequality_wrapperIZN2at6native12_GLOBAL__N_124unique_dim_cuda_templateIsEESt5tupleIJNSF_6TensorESK_SK_EERKSK_lbbbEUlllE0_EEPmJS9_EEE10hipError_tPvRmT3_T4_T5_T6_T7_T9_mT8_P12ihipStream_tbDpT10_ENKUlT_T0_E_clISt17integral_constantIbLb1EES1A_EEDaS15_S16_EUlS15_E_NS1_11comp_targetILNS1_3genE4ELNS1_11target_archE910ELNS1_3gpuE8ELNS1_3repE0EEENS1_30default_config_static_selectorELNS0_4arch9wavefront6targetE0EEEvT1_
		.amdhsa_group_segment_fixed_size 0
		.amdhsa_private_segment_fixed_size 0
		.amdhsa_kernarg_size 136
		.amdhsa_user_sgpr_count 15
		.amdhsa_user_sgpr_dispatch_ptr 0
		.amdhsa_user_sgpr_queue_ptr 0
		.amdhsa_user_sgpr_kernarg_segment_ptr 1
		.amdhsa_user_sgpr_dispatch_id 0
		.amdhsa_user_sgpr_private_segment_size 0
		.amdhsa_wavefront_size32 1
		.amdhsa_uses_dynamic_stack 0
		.amdhsa_enable_private_segment 0
		.amdhsa_system_sgpr_workgroup_id_x 1
		.amdhsa_system_sgpr_workgroup_id_y 0
		.amdhsa_system_sgpr_workgroup_id_z 0
		.amdhsa_system_sgpr_workgroup_info 0
		.amdhsa_system_vgpr_workitem_id 0
		.amdhsa_next_free_vgpr 1
		.amdhsa_next_free_sgpr 1
		.amdhsa_reserve_vcc 0
		.amdhsa_float_round_mode_32 0
		.amdhsa_float_round_mode_16_64 0
		.amdhsa_float_denorm_mode_32 3
		.amdhsa_float_denorm_mode_16_64 3
		.amdhsa_dx10_clamp 1
		.amdhsa_ieee_mode 1
		.amdhsa_fp16_overflow 0
		.amdhsa_workgroup_processor_mode 1
		.amdhsa_memory_ordered 1
		.amdhsa_forward_progress 0
		.amdhsa_shared_vgpr_count 0
		.amdhsa_exception_fp_ieee_invalid_op 0
		.amdhsa_exception_fp_denorm_src 0
		.amdhsa_exception_fp_ieee_div_zero 0
		.amdhsa_exception_fp_ieee_overflow 0
		.amdhsa_exception_fp_ieee_underflow 0
		.amdhsa_exception_fp_ieee_inexact 0
		.amdhsa_exception_int_div_zero 0
	.end_amdhsa_kernel
	.section	.text._ZN7rocprim17ROCPRIM_400000_NS6detail17trampoline_kernelINS0_14default_configENS1_25partition_config_selectorILNS1_17partition_subalgoE9EllbEEZZNS1_14partition_implILS5_9ELb0ES3_jPlS8_PNS0_10empty_typeENS0_5tupleIJS8_S9_EEENSB_IJS8_SA_EEENS0_18inequality_wrapperIZN2at6native12_GLOBAL__N_124unique_dim_cuda_templateIsEESt5tupleIJNSF_6TensorESK_SK_EERKSK_lbbbEUlllE0_EEPmJS9_EEE10hipError_tPvRmT3_T4_T5_T6_T7_T9_mT8_P12ihipStream_tbDpT10_ENKUlT_T0_E_clISt17integral_constantIbLb1EES1A_EEDaS15_S16_EUlS15_E_NS1_11comp_targetILNS1_3genE4ELNS1_11target_archE910ELNS1_3gpuE8ELNS1_3repE0EEENS1_30default_config_static_selectorELNS0_4arch9wavefront6targetE0EEEvT1_,"axG",@progbits,_ZN7rocprim17ROCPRIM_400000_NS6detail17trampoline_kernelINS0_14default_configENS1_25partition_config_selectorILNS1_17partition_subalgoE9EllbEEZZNS1_14partition_implILS5_9ELb0ES3_jPlS8_PNS0_10empty_typeENS0_5tupleIJS8_S9_EEENSB_IJS8_SA_EEENS0_18inequality_wrapperIZN2at6native12_GLOBAL__N_124unique_dim_cuda_templateIsEESt5tupleIJNSF_6TensorESK_SK_EERKSK_lbbbEUlllE0_EEPmJS9_EEE10hipError_tPvRmT3_T4_T5_T6_T7_T9_mT8_P12ihipStream_tbDpT10_ENKUlT_T0_E_clISt17integral_constantIbLb1EES1A_EEDaS15_S16_EUlS15_E_NS1_11comp_targetILNS1_3genE4ELNS1_11target_archE910ELNS1_3gpuE8ELNS1_3repE0EEENS1_30default_config_static_selectorELNS0_4arch9wavefront6targetE0EEEvT1_,comdat
.Lfunc_end727:
	.size	_ZN7rocprim17ROCPRIM_400000_NS6detail17trampoline_kernelINS0_14default_configENS1_25partition_config_selectorILNS1_17partition_subalgoE9EllbEEZZNS1_14partition_implILS5_9ELb0ES3_jPlS8_PNS0_10empty_typeENS0_5tupleIJS8_S9_EEENSB_IJS8_SA_EEENS0_18inequality_wrapperIZN2at6native12_GLOBAL__N_124unique_dim_cuda_templateIsEESt5tupleIJNSF_6TensorESK_SK_EERKSK_lbbbEUlllE0_EEPmJS9_EEE10hipError_tPvRmT3_T4_T5_T6_T7_T9_mT8_P12ihipStream_tbDpT10_ENKUlT_T0_E_clISt17integral_constantIbLb1EES1A_EEDaS15_S16_EUlS15_E_NS1_11comp_targetILNS1_3genE4ELNS1_11target_archE910ELNS1_3gpuE8ELNS1_3repE0EEENS1_30default_config_static_selectorELNS0_4arch9wavefront6targetE0EEEvT1_, .Lfunc_end727-_ZN7rocprim17ROCPRIM_400000_NS6detail17trampoline_kernelINS0_14default_configENS1_25partition_config_selectorILNS1_17partition_subalgoE9EllbEEZZNS1_14partition_implILS5_9ELb0ES3_jPlS8_PNS0_10empty_typeENS0_5tupleIJS8_S9_EEENSB_IJS8_SA_EEENS0_18inequality_wrapperIZN2at6native12_GLOBAL__N_124unique_dim_cuda_templateIsEESt5tupleIJNSF_6TensorESK_SK_EERKSK_lbbbEUlllE0_EEPmJS9_EEE10hipError_tPvRmT3_T4_T5_T6_T7_T9_mT8_P12ihipStream_tbDpT10_ENKUlT_T0_E_clISt17integral_constantIbLb1EES1A_EEDaS15_S16_EUlS15_E_NS1_11comp_targetILNS1_3genE4ELNS1_11target_archE910ELNS1_3gpuE8ELNS1_3repE0EEENS1_30default_config_static_selectorELNS0_4arch9wavefront6targetE0EEEvT1_
                                        ; -- End function
	.section	.AMDGPU.csdata,"",@progbits
; Kernel info:
; codeLenInByte = 0
; NumSgprs: 0
; NumVgprs: 0
; ScratchSize: 0
; MemoryBound: 0
; FloatMode: 240
; IeeeMode: 1
; LDSByteSize: 0 bytes/workgroup (compile time only)
; SGPRBlocks: 0
; VGPRBlocks: 0
; NumSGPRsForWavesPerEU: 1
; NumVGPRsForWavesPerEU: 1
; Occupancy: 16
; WaveLimiterHint : 0
; COMPUTE_PGM_RSRC2:SCRATCH_EN: 0
; COMPUTE_PGM_RSRC2:USER_SGPR: 15
; COMPUTE_PGM_RSRC2:TRAP_HANDLER: 0
; COMPUTE_PGM_RSRC2:TGID_X_EN: 1
; COMPUTE_PGM_RSRC2:TGID_Y_EN: 0
; COMPUTE_PGM_RSRC2:TGID_Z_EN: 0
; COMPUTE_PGM_RSRC2:TIDIG_COMP_CNT: 0
	.section	.text._ZN7rocprim17ROCPRIM_400000_NS6detail17trampoline_kernelINS0_14default_configENS1_25partition_config_selectorILNS1_17partition_subalgoE9EllbEEZZNS1_14partition_implILS5_9ELb0ES3_jPlS8_PNS0_10empty_typeENS0_5tupleIJS8_S9_EEENSB_IJS8_SA_EEENS0_18inequality_wrapperIZN2at6native12_GLOBAL__N_124unique_dim_cuda_templateIsEESt5tupleIJNSF_6TensorESK_SK_EERKSK_lbbbEUlllE0_EEPmJS9_EEE10hipError_tPvRmT3_T4_T5_T6_T7_T9_mT8_P12ihipStream_tbDpT10_ENKUlT_T0_E_clISt17integral_constantIbLb1EES1A_EEDaS15_S16_EUlS15_E_NS1_11comp_targetILNS1_3genE3ELNS1_11target_archE908ELNS1_3gpuE7ELNS1_3repE0EEENS1_30default_config_static_selectorELNS0_4arch9wavefront6targetE0EEEvT1_,"axG",@progbits,_ZN7rocprim17ROCPRIM_400000_NS6detail17trampoline_kernelINS0_14default_configENS1_25partition_config_selectorILNS1_17partition_subalgoE9EllbEEZZNS1_14partition_implILS5_9ELb0ES3_jPlS8_PNS0_10empty_typeENS0_5tupleIJS8_S9_EEENSB_IJS8_SA_EEENS0_18inequality_wrapperIZN2at6native12_GLOBAL__N_124unique_dim_cuda_templateIsEESt5tupleIJNSF_6TensorESK_SK_EERKSK_lbbbEUlllE0_EEPmJS9_EEE10hipError_tPvRmT3_T4_T5_T6_T7_T9_mT8_P12ihipStream_tbDpT10_ENKUlT_T0_E_clISt17integral_constantIbLb1EES1A_EEDaS15_S16_EUlS15_E_NS1_11comp_targetILNS1_3genE3ELNS1_11target_archE908ELNS1_3gpuE7ELNS1_3repE0EEENS1_30default_config_static_selectorELNS0_4arch9wavefront6targetE0EEEvT1_,comdat
	.globl	_ZN7rocprim17ROCPRIM_400000_NS6detail17trampoline_kernelINS0_14default_configENS1_25partition_config_selectorILNS1_17partition_subalgoE9EllbEEZZNS1_14partition_implILS5_9ELb0ES3_jPlS8_PNS0_10empty_typeENS0_5tupleIJS8_S9_EEENSB_IJS8_SA_EEENS0_18inequality_wrapperIZN2at6native12_GLOBAL__N_124unique_dim_cuda_templateIsEESt5tupleIJNSF_6TensorESK_SK_EERKSK_lbbbEUlllE0_EEPmJS9_EEE10hipError_tPvRmT3_T4_T5_T6_T7_T9_mT8_P12ihipStream_tbDpT10_ENKUlT_T0_E_clISt17integral_constantIbLb1EES1A_EEDaS15_S16_EUlS15_E_NS1_11comp_targetILNS1_3genE3ELNS1_11target_archE908ELNS1_3gpuE7ELNS1_3repE0EEENS1_30default_config_static_selectorELNS0_4arch9wavefront6targetE0EEEvT1_ ; -- Begin function _ZN7rocprim17ROCPRIM_400000_NS6detail17trampoline_kernelINS0_14default_configENS1_25partition_config_selectorILNS1_17partition_subalgoE9EllbEEZZNS1_14partition_implILS5_9ELb0ES3_jPlS8_PNS0_10empty_typeENS0_5tupleIJS8_S9_EEENSB_IJS8_SA_EEENS0_18inequality_wrapperIZN2at6native12_GLOBAL__N_124unique_dim_cuda_templateIsEESt5tupleIJNSF_6TensorESK_SK_EERKSK_lbbbEUlllE0_EEPmJS9_EEE10hipError_tPvRmT3_T4_T5_T6_T7_T9_mT8_P12ihipStream_tbDpT10_ENKUlT_T0_E_clISt17integral_constantIbLb1EES1A_EEDaS15_S16_EUlS15_E_NS1_11comp_targetILNS1_3genE3ELNS1_11target_archE908ELNS1_3gpuE7ELNS1_3repE0EEENS1_30default_config_static_selectorELNS0_4arch9wavefront6targetE0EEEvT1_
	.p2align	8
	.type	_ZN7rocprim17ROCPRIM_400000_NS6detail17trampoline_kernelINS0_14default_configENS1_25partition_config_selectorILNS1_17partition_subalgoE9EllbEEZZNS1_14partition_implILS5_9ELb0ES3_jPlS8_PNS0_10empty_typeENS0_5tupleIJS8_S9_EEENSB_IJS8_SA_EEENS0_18inequality_wrapperIZN2at6native12_GLOBAL__N_124unique_dim_cuda_templateIsEESt5tupleIJNSF_6TensorESK_SK_EERKSK_lbbbEUlllE0_EEPmJS9_EEE10hipError_tPvRmT3_T4_T5_T6_T7_T9_mT8_P12ihipStream_tbDpT10_ENKUlT_T0_E_clISt17integral_constantIbLb1EES1A_EEDaS15_S16_EUlS15_E_NS1_11comp_targetILNS1_3genE3ELNS1_11target_archE908ELNS1_3gpuE7ELNS1_3repE0EEENS1_30default_config_static_selectorELNS0_4arch9wavefront6targetE0EEEvT1_,@function
_ZN7rocprim17ROCPRIM_400000_NS6detail17trampoline_kernelINS0_14default_configENS1_25partition_config_selectorILNS1_17partition_subalgoE9EllbEEZZNS1_14partition_implILS5_9ELb0ES3_jPlS8_PNS0_10empty_typeENS0_5tupleIJS8_S9_EEENSB_IJS8_SA_EEENS0_18inequality_wrapperIZN2at6native12_GLOBAL__N_124unique_dim_cuda_templateIsEESt5tupleIJNSF_6TensorESK_SK_EERKSK_lbbbEUlllE0_EEPmJS9_EEE10hipError_tPvRmT3_T4_T5_T6_T7_T9_mT8_P12ihipStream_tbDpT10_ENKUlT_T0_E_clISt17integral_constantIbLb1EES1A_EEDaS15_S16_EUlS15_E_NS1_11comp_targetILNS1_3genE3ELNS1_11target_archE908ELNS1_3gpuE7ELNS1_3repE0EEENS1_30default_config_static_selectorELNS0_4arch9wavefront6targetE0EEEvT1_: ; @_ZN7rocprim17ROCPRIM_400000_NS6detail17trampoline_kernelINS0_14default_configENS1_25partition_config_selectorILNS1_17partition_subalgoE9EllbEEZZNS1_14partition_implILS5_9ELb0ES3_jPlS8_PNS0_10empty_typeENS0_5tupleIJS8_S9_EEENSB_IJS8_SA_EEENS0_18inequality_wrapperIZN2at6native12_GLOBAL__N_124unique_dim_cuda_templateIsEESt5tupleIJNSF_6TensorESK_SK_EERKSK_lbbbEUlllE0_EEPmJS9_EEE10hipError_tPvRmT3_T4_T5_T6_T7_T9_mT8_P12ihipStream_tbDpT10_ENKUlT_T0_E_clISt17integral_constantIbLb1EES1A_EEDaS15_S16_EUlS15_E_NS1_11comp_targetILNS1_3genE3ELNS1_11target_archE908ELNS1_3gpuE7ELNS1_3repE0EEENS1_30default_config_static_selectorELNS0_4arch9wavefront6targetE0EEEvT1_
; %bb.0:
	.section	.rodata,"a",@progbits
	.p2align	6, 0x0
	.amdhsa_kernel _ZN7rocprim17ROCPRIM_400000_NS6detail17trampoline_kernelINS0_14default_configENS1_25partition_config_selectorILNS1_17partition_subalgoE9EllbEEZZNS1_14partition_implILS5_9ELb0ES3_jPlS8_PNS0_10empty_typeENS0_5tupleIJS8_S9_EEENSB_IJS8_SA_EEENS0_18inequality_wrapperIZN2at6native12_GLOBAL__N_124unique_dim_cuda_templateIsEESt5tupleIJNSF_6TensorESK_SK_EERKSK_lbbbEUlllE0_EEPmJS9_EEE10hipError_tPvRmT3_T4_T5_T6_T7_T9_mT8_P12ihipStream_tbDpT10_ENKUlT_T0_E_clISt17integral_constantIbLb1EES1A_EEDaS15_S16_EUlS15_E_NS1_11comp_targetILNS1_3genE3ELNS1_11target_archE908ELNS1_3gpuE7ELNS1_3repE0EEENS1_30default_config_static_selectorELNS0_4arch9wavefront6targetE0EEEvT1_
		.amdhsa_group_segment_fixed_size 0
		.amdhsa_private_segment_fixed_size 0
		.amdhsa_kernarg_size 136
		.amdhsa_user_sgpr_count 15
		.amdhsa_user_sgpr_dispatch_ptr 0
		.amdhsa_user_sgpr_queue_ptr 0
		.amdhsa_user_sgpr_kernarg_segment_ptr 1
		.amdhsa_user_sgpr_dispatch_id 0
		.amdhsa_user_sgpr_private_segment_size 0
		.amdhsa_wavefront_size32 1
		.amdhsa_uses_dynamic_stack 0
		.amdhsa_enable_private_segment 0
		.amdhsa_system_sgpr_workgroup_id_x 1
		.amdhsa_system_sgpr_workgroup_id_y 0
		.amdhsa_system_sgpr_workgroup_id_z 0
		.amdhsa_system_sgpr_workgroup_info 0
		.amdhsa_system_vgpr_workitem_id 0
		.amdhsa_next_free_vgpr 1
		.amdhsa_next_free_sgpr 1
		.amdhsa_reserve_vcc 0
		.amdhsa_float_round_mode_32 0
		.amdhsa_float_round_mode_16_64 0
		.amdhsa_float_denorm_mode_32 3
		.amdhsa_float_denorm_mode_16_64 3
		.amdhsa_dx10_clamp 1
		.amdhsa_ieee_mode 1
		.amdhsa_fp16_overflow 0
		.amdhsa_workgroup_processor_mode 1
		.amdhsa_memory_ordered 1
		.amdhsa_forward_progress 0
		.amdhsa_shared_vgpr_count 0
		.amdhsa_exception_fp_ieee_invalid_op 0
		.amdhsa_exception_fp_denorm_src 0
		.amdhsa_exception_fp_ieee_div_zero 0
		.amdhsa_exception_fp_ieee_overflow 0
		.amdhsa_exception_fp_ieee_underflow 0
		.amdhsa_exception_fp_ieee_inexact 0
		.amdhsa_exception_int_div_zero 0
	.end_amdhsa_kernel
	.section	.text._ZN7rocprim17ROCPRIM_400000_NS6detail17trampoline_kernelINS0_14default_configENS1_25partition_config_selectorILNS1_17partition_subalgoE9EllbEEZZNS1_14partition_implILS5_9ELb0ES3_jPlS8_PNS0_10empty_typeENS0_5tupleIJS8_S9_EEENSB_IJS8_SA_EEENS0_18inequality_wrapperIZN2at6native12_GLOBAL__N_124unique_dim_cuda_templateIsEESt5tupleIJNSF_6TensorESK_SK_EERKSK_lbbbEUlllE0_EEPmJS9_EEE10hipError_tPvRmT3_T4_T5_T6_T7_T9_mT8_P12ihipStream_tbDpT10_ENKUlT_T0_E_clISt17integral_constantIbLb1EES1A_EEDaS15_S16_EUlS15_E_NS1_11comp_targetILNS1_3genE3ELNS1_11target_archE908ELNS1_3gpuE7ELNS1_3repE0EEENS1_30default_config_static_selectorELNS0_4arch9wavefront6targetE0EEEvT1_,"axG",@progbits,_ZN7rocprim17ROCPRIM_400000_NS6detail17trampoline_kernelINS0_14default_configENS1_25partition_config_selectorILNS1_17partition_subalgoE9EllbEEZZNS1_14partition_implILS5_9ELb0ES3_jPlS8_PNS0_10empty_typeENS0_5tupleIJS8_S9_EEENSB_IJS8_SA_EEENS0_18inequality_wrapperIZN2at6native12_GLOBAL__N_124unique_dim_cuda_templateIsEESt5tupleIJNSF_6TensorESK_SK_EERKSK_lbbbEUlllE0_EEPmJS9_EEE10hipError_tPvRmT3_T4_T5_T6_T7_T9_mT8_P12ihipStream_tbDpT10_ENKUlT_T0_E_clISt17integral_constantIbLb1EES1A_EEDaS15_S16_EUlS15_E_NS1_11comp_targetILNS1_3genE3ELNS1_11target_archE908ELNS1_3gpuE7ELNS1_3repE0EEENS1_30default_config_static_selectorELNS0_4arch9wavefront6targetE0EEEvT1_,comdat
.Lfunc_end728:
	.size	_ZN7rocprim17ROCPRIM_400000_NS6detail17trampoline_kernelINS0_14default_configENS1_25partition_config_selectorILNS1_17partition_subalgoE9EllbEEZZNS1_14partition_implILS5_9ELb0ES3_jPlS8_PNS0_10empty_typeENS0_5tupleIJS8_S9_EEENSB_IJS8_SA_EEENS0_18inequality_wrapperIZN2at6native12_GLOBAL__N_124unique_dim_cuda_templateIsEESt5tupleIJNSF_6TensorESK_SK_EERKSK_lbbbEUlllE0_EEPmJS9_EEE10hipError_tPvRmT3_T4_T5_T6_T7_T9_mT8_P12ihipStream_tbDpT10_ENKUlT_T0_E_clISt17integral_constantIbLb1EES1A_EEDaS15_S16_EUlS15_E_NS1_11comp_targetILNS1_3genE3ELNS1_11target_archE908ELNS1_3gpuE7ELNS1_3repE0EEENS1_30default_config_static_selectorELNS0_4arch9wavefront6targetE0EEEvT1_, .Lfunc_end728-_ZN7rocprim17ROCPRIM_400000_NS6detail17trampoline_kernelINS0_14default_configENS1_25partition_config_selectorILNS1_17partition_subalgoE9EllbEEZZNS1_14partition_implILS5_9ELb0ES3_jPlS8_PNS0_10empty_typeENS0_5tupleIJS8_S9_EEENSB_IJS8_SA_EEENS0_18inequality_wrapperIZN2at6native12_GLOBAL__N_124unique_dim_cuda_templateIsEESt5tupleIJNSF_6TensorESK_SK_EERKSK_lbbbEUlllE0_EEPmJS9_EEE10hipError_tPvRmT3_T4_T5_T6_T7_T9_mT8_P12ihipStream_tbDpT10_ENKUlT_T0_E_clISt17integral_constantIbLb1EES1A_EEDaS15_S16_EUlS15_E_NS1_11comp_targetILNS1_3genE3ELNS1_11target_archE908ELNS1_3gpuE7ELNS1_3repE0EEENS1_30default_config_static_selectorELNS0_4arch9wavefront6targetE0EEEvT1_
                                        ; -- End function
	.section	.AMDGPU.csdata,"",@progbits
; Kernel info:
; codeLenInByte = 0
; NumSgprs: 0
; NumVgprs: 0
; ScratchSize: 0
; MemoryBound: 0
; FloatMode: 240
; IeeeMode: 1
; LDSByteSize: 0 bytes/workgroup (compile time only)
; SGPRBlocks: 0
; VGPRBlocks: 0
; NumSGPRsForWavesPerEU: 1
; NumVGPRsForWavesPerEU: 1
; Occupancy: 16
; WaveLimiterHint : 0
; COMPUTE_PGM_RSRC2:SCRATCH_EN: 0
; COMPUTE_PGM_RSRC2:USER_SGPR: 15
; COMPUTE_PGM_RSRC2:TRAP_HANDLER: 0
; COMPUTE_PGM_RSRC2:TGID_X_EN: 1
; COMPUTE_PGM_RSRC2:TGID_Y_EN: 0
; COMPUTE_PGM_RSRC2:TGID_Z_EN: 0
; COMPUTE_PGM_RSRC2:TIDIG_COMP_CNT: 0
	.section	.text._ZN7rocprim17ROCPRIM_400000_NS6detail17trampoline_kernelINS0_14default_configENS1_25partition_config_selectorILNS1_17partition_subalgoE9EllbEEZZNS1_14partition_implILS5_9ELb0ES3_jPlS8_PNS0_10empty_typeENS0_5tupleIJS8_S9_EEENSB_IJS8_SA_EEENS0_18inequality_wrapperIZN2at6native12_GLOBAL__N_124unique_dim_cuda_templateIsEESt5tupleIJNSF_6TensorESK_SK_EERKSK_lbbbEUlllE0_EEPmJS9_EEE10hipError_tPvRmT3_T4_T5_T6_T7_T9_mT8_P12ihipStream_tbDpT10_ENKUlT_T0_E_clISt17integral_constantIbLb1EES1A_EEDaS15_S16_EUlS15_E_NS1_11comp_targetILNS1_3genE2ELNS1_11target_archE906ELNS1_3gpuE6ELNS1_3repE0EEENS1_30default_config_static_selectorELNS0_4arch9wavefront6targetE0EEEvT1_,"axG",@progbits,_ZN7rocprim17ROCPRIM_400000_NS6detail17trampoline_kernelINS0_14default_configENS1_25partition_config_selectorILNS1_17partition_subalgoE9EllbEEZZNS1_14partition_implILS5_9ELb0ES3_jPlS8_PNS0_10empty_typeENS0_5tupleIJS8_S9_EEENSB_IJS8_SA_EEENS0_18inequality_wrapperIZN2at6native12_GLOBAL__N_124unique_dim_cuda_templateIsEESt5tupleIJNSF_6TensorESK_SK_EERKSK_lbbbEUlllE0_EEPmJS9_EEE10hipError_tPvRmT3_T4_T5_T6_T7_T9_mT8_P12ihipStream_tbDpT10_ENKUlT_T0_E_clISt17integral_constantIbLb1EES1A_EEDaS15_S16_EUlS15_E_NS1_11comp_targetILNS1_3genE2ELNS1_11target_archE906ELNS1_3gpuE6ELNS1_3repE0EEENS1_30default_config_static_selectorELNS0_4arch9wavefront6targetE0EEEvT1_,comdat
	.globl	_ZN7rocprim17ROCPRIM_400000_NS6detail17trampoline_kernelINS0_14default_configENS1_25partition_config_selectorILNS1_17partition_subalgoE9EllbEEZZNS1_14partition_implILS5_9ELb0ES3_jPlS8_PNS0_10empty_typeENS0_5tupleIJS8_S9_EEENSB_IJS8_SA_EEENS0_18inequality_wrapperIZN2at6native12_GLOBAL__N_124unique_dim_cuda_templateIsEESt5tupleIJNSF_6TensorESK_SK_EERKSK_lbbbEUlllE0_EEPmJS9_EEE10hipError_tPvRmT3_T4_T5_T6_T7_T9_mT8_P12ihipStream_tbDpT10_ENKUlT_T0_E_clISt17integral_constantIbLb1EES1A_EEDaS15_S16_EUlS15_E_NS1_11comp_targetILNS1_3genE2ELNS1_11target_archE906ELNS1_3gpuE6ELNS1_3repE0EEENS1_30default_config_static_selectorELNS0_4arch9wavefront6targetE0EEEvT1_ ; -- Begin function _ZN7rocprim17ROCPRIM_400000_NS6detail17trampoline_kernelINS0_14default_configENS1_25partition_config_selectorILNS1_17partition_subalgoE9EllbEEZZNS1_14partition_implILS5_9ELb0ES3_jPlS8_PNS0_10empty_typeENS0_5tupleIJS8_S9_EEENSB_IJS8_SA_EEENS0_18inequality_wrapperIZN2at6native12_GLOBAL__N_124unique_dim_cuda_templateIsEESt5tupleIJNSF_6TensorESK_SK_EERKSK_lbbbEUlllE0_EEPmJS9_EEE10hipError_tPvRmT3_T4_T5_T6_T7_T9_mT8_P12ihipStream_tbDpT10_ENKUlT_T0_E_clISt17integral_constantIbLb1EES1A_EEDaS15_S16_EUlS15_E_NS1_11comp_targetILNS1_3genE2ELNS1_11target_archE906ELNS1_3gpuE6ELNS1_3repE0EEENS1_30default_config_static_selectorELNS0_4arch9wavefront6targetE0EEEvT1_
	.p2align	8
	.type	_ZN7rocprim17ROCPRIM_400000_NS6detail17trampoline_kernelINS0_14default_configENS1_25partition_config_selectorILNS1_17partition_subalgoE9EllbEEZZNS1_14partition_implILS5_9ELb0ES3_jPlS8_PNS0_10empty_typeENS0_5tupleIJS8_S9_EEENSB_IJS8_SA_EEENS0_18inequality_wrapperIZN2at6native12_GLOBAL__N_124unique_dim_cuda_templateIsEESt5tupleIJNSF_6TensorESK_SK_EERKSK_lbbbEUlllE0_EEPmJS9_EEE10hipError_tPvRmT3_T4_T5_T6_T7_T9_mT8_P12ihipStream_tbDpT10_ENKUlT_T0_E_clISt17integral_constantIbLb1EES1A_EEDaS15_S16_EUlS15_E_NS1_11comp_targetILNS1_3genE2ELNS1_11target_archE906ELNS1_3gpuE6ELNS1_3repE0EEENS1_30default_config_static_selectorELNS0_4arch9wavefront6targetE0EEEvT1_,@function
_ZN7rocprim17ROCPRIM_400000_NS6detail17trampoline_kernelINS0_14default_configENS1_25partition_config_selectorILNS1_17partition_subalgoE9EllbEEZZNS1_14partition_implILS5_9ELb0ES3_jPlS8_PNS0_10empty_typeENS0_5tupleIJS8_S9_EEENSB_IJS8_SA_EEENS0_18inequality_wrapperIZN2at6native12_GLOBAL__N_124unique_dim_cuda_templateIsEESt5tupleIJNSF_6TensorESK_SK_EERKSK_lbbbEUlllE0_EEPmJS9_EEE10hipError_tPvRmT3_T4_T5_T6_T7_T9_mT8_P12ihipStream_tbDpT10_ENKUlT_T0_E_clISt17integral_constantIbLb1EES1A_EEDaS15_S16_EUlS15_E_NS1_11comp_targetILNS1_3genE2ELNS1_11target_archE906ELNS1_3gpuE6ELNS1_3repE0EEENS1_30default_config_static_selectorELNS0_4arch9wavefront6targetE0EEEvT1_: ; @_ZN7rocprim17ROCPRIM_400000_NS6detail17trampoline_kernelINS0_14default_configENS1_25partition_config_selectorILNS1_17partition_subalgoE9EllbEEZZNS1_14partition_implILS5_9ELb0ES3_jPlS8_PNS0_10empty_typeENS0_5tupleIJS8_S9_EEENSB_IJS8_SA_EEENS0_18inequality_wrapperIZN2at6native12_GLOBAL__N_124unique_dim_cuda_templateIsEESt5tupleIJNSF_6TensorESK_SK_EERKSK_lbbbEUlllE0_EEPmJS9_EEE10hipError_tPvRmT3_T4_T5_T6_T7_T9_mT8_P12ihipStream_tbDpT10_ENKUlT_T0_E_clISt17integral_constantIbLb1EES1A_EEDaS15_S16_EUlS15_E_NS1_11comp_targetILNS1_3genE2ELNS1_11target_archE906ELNS1_3gpuE6ELNS1_3repE0EEENS1_30default_config_static_selectorELNS0_4arch9wavefront6targetE0EEEvT1_
; %bb.0:
	.section	.rodata,"a",@progbits
	.p2align	6, 0x0
	.amdhsa_kernel _ZN7rocprim17ROCPRIM_400000_NS6detail17trampoline_kernelINS0_14default_configENS1_25partition_config_selectorILNS1_17partition_subalgoE9EllbEEZZNS1_14partition_implILS5_9ELb0ES3_jPlS8_PNS0_10empty_typeENS0_5tupleIJS8_S9_EEENSB_IJS8_SA_EEENS0_18inequality_wrapperIZN2at6native12_GLOBAL__N_124unique_dim_cuda_templateIsEESt5tupleIJNSF_6TensorESK_SK_EERKSK_lbbbEUlllE0_EEPmJS9_EEE10hipError_tPvRmT3_T4_T5_T6_T7_T9_mT8_P12ihipStream_tbDpT10_ENKUlT_T0_E_clISt17integral_constantIbLb1EES1A_EEDaS15_S16_EUlS15_E_NS1_11comp_targetILNS1_3genE2ELNS1_11target_archE906ELNS1_3gpuE6ELNS1_3repE0EEENS1_30default_config_static_selectorELNS0_4arch9wavefront6targetE0EEEvT1_
		.amdhsa_group_segment_fixed_size 0
		.amdhsa_private_segment_fixed_size 0
		.amdhsa_kernarg_size 136
		.amdhsa_user_sgpr_count 15
		.amdhsa_user_sgpr_dispatch_ptr 0
		.amdhsa_user_sgpr_queue_ptr 0
		.amdhsa_user_sgpr_kernarg_segment_ptr 1
		.amdhsa_user_sgpr_dispatch_id 0
		.amdhsa_user_sgpr_private_segment_size 0
		.amdhsa_wavefront_size32 1
		.amdhsa_uses_dynamic_stack 0
		.amdhsa_enable_private_segment 0
		.amdhsa_system_sgpr_workgroup_id_x 1
		.amdhsa_system_sgpr_workgroup_id_y 0
		.amdhsa_system_sgpr_workgroup_id_z 0
		.amdhsa_system_sgpr_workgroup_info 0
		.amdhsa_system_vgpr_workitem_id 0
		.amdhsa_next_free_vgpr 1
		.amdhsa_next_free_sgpr 1
		.amdhsa_reserve_vcc 0
		.amdhsa_float_round_mode_32 0
		.amdhsa_float_round_mode_16_64 0
		.amdhsa_float_denorm_mode_32 3
		.amdhsa_float_denorm_mode_16_64 3
		.amdhsa_dx10_clamp 1
		.amdhsa_ieee_mode 1
		.amdhsa_fp16_overflow 0
		.amdhsa_workgroup_processor_mode 1
		.amdhsa_memory_ordered 1
		.amdhsa_forward_progress 0
		.amdhsa_shared_vgpr_count 0
		.amdhsa_exception_fp_ieee_invalid_op 0
		.amdhsa_exception_fp_denorm_src 0
		.amdhsa_exception_fp_ieee_div_zero 0
		.amdhsa_exception_fp_ieee_overflow 0
		.amdhsa_exception_fp_ieee_underflow 0
		.amdhsa_exception_fp_ieee_inexact 0
		.amdhsa_exception_int_div_zero 0
	.end_amdhsa_kernel
	.section	.text._ZN7rocprim17ROCPRIM_400000_NS6detail17trampoline_kernelINS0_14default_configENS1_25partition_config_selectorILNS1_17partition_subalgoE9EllbEEZZNS1_14partition_implILS5_9ELb0ES3_jPlS8_PNS0_10empty_typeENS0_5tupleIJS8_S9_EEENSB_IJS8_SA_EEENS0_18inequality_wrapperIZN2at6native12_GLOBAL__N_124unique_dim_cuda_templateIsEESt5tupleIJNSF_6TensorESK_SK_EERKSK_lbbbEUlllE0_EEPmJS9_EEE10hipError_tPvRmT3_T4_T5_T6_T7_T9_mT8_P12ihipStream_tbDpT10_ENKUlT_T0_E_clISt17integral_constantIbLb1EES1A_EEDaS15_S16_EUlS15_E_NS1_11comp_targetILNS1_3genE2ELNS1_11target_archE906ELNS1_3gpuE6ELNS1_3repE0EEENS1_30default_config_static_selectorELNS0_4arch9wavefront6targetE0EEEvT1_,"axG",@progbits,_ZN7rocprim17ROCPRIM_400000_NS6detail17trampoline_kernelINS0_14default_configENS1_25partition_config_selectorILNS1_17partition_subalgoE9EllbEEZZNS1_14partition_implILS5_9ELb0ES3_jPlS8_PNS0_10empty_typeENS0_5tupleIJS8_S9_EEENSB_IJS8_SA_EEENS0_18inequality_wrapperIZN2at6native12_GLOBAL__N_124unique_dim_cuda_templateIsEESt5tupleIJNSF_6TensorESK_SK_EERKSK_lbbbEUlllE0_EEPmJS9_EEE10hipError_tPvRmT3_T4_T5_T6_T7_T9_mT8_P12ihipStream_tbDpT10_ENKUlT_T0_E_clISt17integral_constantIbLb1EES1A_EEDaS15_S16_EUlS15_E_NS1_11comp_targetILNS1_3genE2ELNS1_11target_archE906ELNS1_3gpuE6ELNS1_3repE0EEENS1_30default_config_static_selectorELNS0_4arch9wavefront6targetE0EEEvT1_,comdat
.Lfunc_end729:
	.size	_ZN7rocprim17ROCPRIM_400000_NS6detail17trampoline_kernelINS0_14default_configENS1_25partition_config_selectorILNS1_17partition_subalgoE9EllbEEZZNS1_14partition_implILS5_9ELb0ES3_jPlS8_PNS0_10empty_typeENS0_5tupleIJS8_S9_EEENSB_IJS8_SA_EEENS0_18inequality_wrapperIZN2at6native12_GLOBAL__N_124unique_dim_cuda_templateIsEESt5tupleIJNSF_6TensorESK_SK_EERKSK_lbbbEUlllE0_EEPmJS9_EEE10hipError_tPvRmT3_T4_T5_T6_T7_T9_mT8_P12ihipStream_tbDpT10_ENKUlT_T0_E_clISt17integral_constantIbLb1EES1A_EEDaS15_S16_EUlS15_E_NS1_11comp_targetILNS1_3genE2ELNS1_11target_archE906ELNS1_3gpuE6ELNS1_3repE0EEENS1_30default_config_static_selectorELNS0_4arch9wavefront6targetE0EEEvT1_, .Lfunc_end729-_ZN7rocprim17ROCPRIM_400000_NS6detail17trampoline_kernelINS0_14default_configENS1_25partition_config_selectorILNS1_17partition_subalgoE9EllbEEZZNS1_14partition_implILS5_9ELb0ES3_jPlS8_PNS0_10empty_typeENS0_5tupleIJS8_S9_EEENSB_IJS8_SA_EEENS0_18inequality_wrapperIZN2at6native12_GLOBAL__N_124unique_dim_cuda_templateIsEESt5tupleIJNSF_6TensorESK_SK_EERKSK_lbbbEUlllE0_EEPmJS9_EEE10hipError_tPvRmT3_T4_T5_T6_T7_T9_mT8_P12ihipStream_tbDpT10_ENKUlT_T0_E_clISt17integral_constantIbLb1EES1A_EEDaS15_S16_EUlS15_E_NS1_11comp_targetILNS1_3genE2ELNS1_11target_archE906ELNS1_3gpuE6ELNS1_3repE0EEENS1_30default_config_static_selectorELNS0_4arch9wavefront6targetE0EEEvT1_
                                        ; -- End function
	.section	.AMDGPU.csdata,"",@progbits
; Kernel info:
; codeLenInByte = 0
; NumSgprs: 0
; NumVgprs: 0
; ScratchSize: 0
; MemoryBound: 0
; FloatMode: 240
; IeeeMode: 1
; LDSByteSize: 0 bytes/workgroup (compile time only)
; SGPRBlocks: 0
; VGPRBlocks: 0
; NumSGPRsForWavesPerEU: 1
; NumVGPRsForWavesPerEU: 1
; Occupancy: 15
; WaveLimiterHint : 0
; COMPUTE_PGM_RSRC2:SCRATCH_EN: 0
; COMPUTE_PGM_RSRC2:USER_SGPR: 15
; COMPUTE_PGM_RSRC2:TRAP_HANDLER: 0
; COMPUTE_PGM_RSRC2:TGID_X_EN: 1
; COMPUTE_PGM_RSRC2:TGID_Y_EN: 0
; COMPUTE_PGM_RSRC2:TGID_Z_EN: 0
; COMPUTE_PGM_RSRC2:TIDIG_COMP_CNT: 0
	.section	.text._ZN7rocprim17ROCPRIM_400000_NS6detail17trampoline_kernelINS0_14default_configENS1_25partition_config_selectorILNS1_17partition_subalgoE9EllbEEZZNS1_14partition_implILS5_9ELb0ES3_jPlS8_PNS0_10empty_typeENS0_5tupleIJS8_S9_EEENSB_IJS8_SA_EEENS0_18inequality_wrapperIZN2at6native12_GLOBAL__N_124unique_dim_cuda_templateIsEESt5tupleIJNSF_6TensorESK_SK_EERKSK_lbbbEUlllE0_EEPmJS9_EEE10hipError_tPvRmT3_T4_T5_T6_T7_T9_mT8_P12ihipStream_tbDpT10_ENKUlT_T0_E_clISt17integral_constantIbLb1EES1A_EEDaS15_S16_EUlS15_E_NS1_11comp_targetILNS1_3genE10ELNS1_11target_archE1200ELNS1_3gpuE4ELNS1_3repE0EEENS1_30default_config_static_selectorELNS0_4arch9wavefront6targetE0EEEvT1_,"axG",@progbits,_ZN7rocprim17ROCPRIM_400000_NS6detail17trampoline_kernelINS0_14default_configENS1_25partition_config_selectorILNS1_17partition_subalgoE9EllbEEZZNS1_14partition_implILS5_9ELb0ES3_jPlS8_PNS0_10empty_typeENS0_5tupleIJS8_S9_EEENSB_IJS8_SA_EEENS0_18inequality_wrapperIZN2at6native12_GLOBAL__N_124unique_dim_cuda_templateIsEESt5tupleIJNSF_6TensorESK_SK_EERKSK_lbbbEUlllE0_EEPmJS9_EEE10hipError_tPvRmT3_T4_T5_T6_T7_T9_mT8_P12ihipStream_tbDpT10_ENKUlT_T0_E_clISt17integral_constantIbLb1EES1A_EEDaS15_S16_EUlS15_E_NS1_11comp_targetILNS1_3genE10ELNS1_11target_archE1200ELNS1_3gpuE4ELNS1_3repE0EEENS1_30default_config_static_selectorELNS0_4arch9wavefront6targetE0EEEvT1_,comdat
	.globl	_ZN7rocprim17ROCPRIM_400000_NS6detail17trampoline_kernelINS0_14default_configENS1_25partition_config_selectorILNS1_17partition_subalgoE9EllbEEZZNS1_14partition_implILS5_9ELb0ES3_jPlS8_PNS0_10empty_typeENS0_5tupleIJS8_S9_EEENSB_IJS8_SA_EEENS0_18inequality_wrapperIZN2at6native12_GLOBAL__N_124unique_dim_cuda_templateIsEESt5tupleIJNSF_6TensorESK_SK_EERKSK_lbbbEUlllE0_EEPmJS9_EEE10hipError_tPvRmT3_T4_T5_T6_T7_T9_mT8_P12ihipStream_tbDpT10_ENKUlT_T0_E_clISt17integral_constantIbLb1EES1A_EEDaS15_S16_EUlS15_E_NS1_11comp_targetILNS1_3genE10ELNS1_11target_archE1200ELNS1_3gpuE4ELNS1_3repE0EEENS1_30default_config_static_selectorELNS0_4arch9wavefront6targetE0EEEvT1_ ; -- Begin function _ZN7rocprim17ROCPRIM_400000_NS6detail17trampoline_kernelINS0_14default_configENS1_25partition_config_selectorILNS1_17partition_subalgoE9EllbEEZZNS1_14partition_implILS5_9ELb0ES3_jPlS8_PNS0_10empty_typeENS0_5tupleIJS8_S9_EEENSB_IJS8_SA_EEENS0_18inequality_wrapperIZN2at6native12_GLOBAL__N_124unique_dim_cuda_templateIsEESt5tupleIJNSF_6TensorESK_SK_EERKSK_lbbbEUlllE0_EEPmJS9_EEE10hipError_tPvRmT3_T4_T5_T6_T7_T9_mT8_P12ihipStream_tbDpT10_ENKUlT_T0_E_clISt17integral_constantIbLb1EES1A_EEDaS15_S16_EUlS15_E_NS1_11comp_targetILNS1_3genE10ELNS1_11target_archE1200ELNS1_3gpuE4ELNS1_3repE0EEENS1_30default_config_static_selectorELNS0_4arch9wavefront6targetE0EEEvT1_
	.p2align	8
	.type	_ZN7rocprim17ROCPRIM_400000_NS6detail17trampoline_kernelINS0_14default_configENS1_25partition_config_selectorILNS1_17partition_subalgoE9EllbEEZZNS1_14partition_implILS5_9ELb0ES3_jPlS8_PNS0_10empty_typeENS0_5tupleIJS8_S9_EEENSB_IJS8_SA_EEENS0_18inequality_wrapperIZN2at6native12_GLOBAL__N_124unique_dim_cuda_templateIsEESt5tupleIJNSF_6TensorESK_SK_EERKSK_lbbbEUlllE0_EEPmJS9_EEE10hipError_tPvRmT3_T4_T5_T6_T7_T9_mT8_P12ihipStream_tbDpT10_ENKUlT_T0_E_clISt17integral_constantIbLb1EES1A_EEDaS15_S16_EUlS15_E_NS1_11comp_targetILNS1_3genE10ELNS1_11target_archE1200ELNS1_3gpuE4ELNS1_3repE0EEENS1_30default_config_static_selectorELNS0_4arch9wavefront6targetE0EEEvT1_,@function
_ZN7rocprim17ROCPRIM_400000_NS6detail17trampoline_kernelINS0_14default_configENS1_25partition_config_selectorILNS1_17partition_subalgoE9EllbEEZZNS1_14partition_implILS5_9ELb0ES3_jPlS8_PNS0_10empty_typeENS0_5tupleIJS8_S9_EEENSB_IJS8_SA_EEENS0_18inequality_wrapperIZN2at6native12_GLOBAL__N_124unique_dim_cuda_templateIsEESt5tupleIJNSF_6TensorESK_SK_EERKSK_lbbbEUlllE0_EEPmJS9_EEE10hipError_tPvRmT3_T4_T5_T6_T7_T9_mT8_P12ihipStream_tbDpT10_ENKUlT_T0_E_clISt17integral_constantIbLb1EES1A_EEDaS15_S16_EUlS15_E_NS1_11comp_targetILNS1_3genE10ELNS1_11target_archE1200ELNS1_3gpuE4ELNS1_3repE0EEENS1_30default_config_static_selectorELNS0_4arch9wavefront6targetE0EEEvT1_: ; @_ZN7rocprim17ROCPRIM_400000_NS6detail17trampoline_kernelINS0_14default_configENS1_25partition_config_selectorILNS1_17partition_subalgoE9EllbEEZZNS1_14partition_implILS5_9ELb0ES3_jPlS8_PNS0_10empty_typeENS0_5tupleIJS8_S9_EEENSB_IJS8_SA_EEENS0_18inequality_wrapperIZN2at6native12_GLOBAL__N_124unique_dim_cuda_templateIsEESt5tupleIJNSF_6TensorESK_SK_EERKSK_lbbbEUlllE0_EEPmJS9_EEE10hipError_tPvRmT3_T4_T5_T6_T7_T9_mT8_P12ihipStream_tbDpT10_ENKUlT_T0_E_clISt17integral_constantIbLb1EES1A_EEDaS15_S16_EUlS15_E_NS1_11comp_targetILNS1_3genE10ELNS1_11target_archE1200ELNS1_3gpuE4ELNS1_3repE0EEENS1_30default_config_static_selectorELNS0_4arch9wavefront6targetE0EEEvT1_
; %bb.0:
	.section	.rodata,"a",@progbits
	.p2align	6, 0x0
	.amdhsa_kernel _ZN7rocprim17ROCPRIM_400000_NS6detail17trampoline_kernelINS0_14default_configENS1_25partition_config_selectorILNS1_17partition_subalgoE9EllbEEZZNS1_14partition_implILS5_9ELb0ES3_jPlS8_PNS0_10empty_typeENS0_5tupleIJS8_S9_EEENSB_IJS8_SA_EEENS0_18inequality_wrapperIZN2at6native12_GLOBAL__N_124unique_dim_cuda_templateIsEESt5tupleIJNSF_6TensorESK_SK_EERKSK_lbbbEUlllE0_EEPmJS9_EEE10hipError_tPvRmT3_T4_T5_T6_T7_T9_mT8_P12ihipStream_tbDpT10_ENKUlT_T0_E_clISt17integral_constantIbLb1EES1A_EEDaS15_S16_EUlS15_E_NS1_11comp_targetILNS1_3genE10ELNS1_11target_archE1200ELNS1_3gpuE4ELNS1_3repE0EEENS1_30default_config_static_selectorELNS0_4arch9wavefront6targetE0EEEvT1_
		.amdhsa_group_segment_fixed_size 0
		.amdhsa_private_segment_fixed_size 0
		.amdhsa_kernarg_size 136
		.amdhsa_user_sgpr_count 15
		.amdhsa_user_sgpr_dispatch_ptr 0
		.amdhsa_user_sgpr_queue_ptr 0
		.amdhsa_user_sgpr_kernarg_segment_ptr 1
		.amdhsa_user_sgpr_dispatch_id 0
		.amdhsa_user_sgpr_private_segment_size 0
		.amdhsa_wavefront_size32 1
		.amdhsa_uses_dynamic_stack 0
		.amdhsa_enable_private_segment 0
		.amdhsa_system_sgpr_workgroup_id_x 1
		.amdhsa_system_sgpr_workgroup_id_y 0
		.amdhsa_system_sgpr_workgroup_id_z 0
		.amdhsa_system_sgpr_workgroup_info 0
		.amdhsa_system_vgpr_workitem_id 0
		.amdhsa_next_free_vgpr 1
		.amdhsa_next_free_sgpr 1
		.amdhsa_reserve_vcc 0
		.amdhsa_float_round_mode_32 0
		.amdhsa_float_round_mode_16_64 0
		.amdhsa_float_denorm_mode_32 3
		.amdhsa_float_denorm_mode_16_64 3
		.amdhsa_dx10_clamp 1
		.amdhsa_ieee_mode 1
		.amdhsa_fp16_overflow 0
		.amdhsa_workgroup_processor_mode 1
		.amdhsa_memory_ordered 1
		.amdhsa_forward_progress 0
		.amdhsa_shared_vgpr_count 0
		.amdhsa_exception_fp_ieee_invalid_op 0
		.amdhsa_exception_fp_denorm_src 0
		.amdhsa_exception_fp_ieee_div_zero 0
		.amdhsa_exception_fp_ieee_overflow 0
		.amdhsa_exception_fp_ieee_underflow 0
		.amdhsa_exception_fp_ieee_inexact 0
		.amdhsa_exception_int_div_zero 0
	.end_amdhsa_kernel
	.section	.text._ZN7rocprim17ROCPRIM_400000_NS6detail17trampoline_kernelINS0_14default_configENS1_25partition_config_selectorILNS1_17partition_subalgoE9EllbEEZZNS1_14partition_implILS5_9ELb0ES3_jPlS8_PNS0_10empty_typeENS0_5tupleIJS8_S9_EEENSB_IJS8_SA_EEENS0_18inequality_wrapperIZN2at6native12_GLOBAL__N_124unique_dim_cuda_templateIsEESt5tupleIJNSF_6TensorESK_SK_EERKSK_lbbbEUlllE0_EEPmJS9_EEE10hipError_tPvRmT3_T4_T5_T6_T7_T9_mT8_P12ihipStream_tbDpT10_ENKUlT_T0_E_clISt17integral_constantIbLb1EES1A_EEDaS15_S16_EUlS15_E_NS1_11comp_targetILNS1_3genE10ELNS1_11target_archE1200ELNS1_3gpuE4ELNS1_3repE0EEENS1_30default_config_static_selectorELNS0_4arch9wavefront6targetE0EEEvT1_,"axG",@progbits,_ZN7rocprim17ROCPRIM_400000_NS6detail17trampoline_kernelINS0_14default_configENS1_25partition_config_selectorILNS1_17partition_subalgoE9EllbEEZZNS1_14partition_implILS5_9ELb0ES3_jPlS8_PNS0_10empty_typeENS0_5tupleIJS8_S9_EEENSB_IJS8_SA_EEENS0_18inequality_wrapperIZN2at6native12_GLOBAL__N_124unique_dim_cuda_templateIsEESt5tupleIJNSF_6TensorESK_SK_EERKSK_lbbbEUlllE0_EEPmJS9_EEE10hipError_tPvRmT3_T4_T5_T6_T7_T9_mT8_P12ihipStream_tbDpT10_ENKUlT_T0_E_clISt17integral_constantIbLb1EES1A_EEDaS15_S16_EUlS15_E_NS1_11comp_targetILNS1_3genE10ELNS1_11target_archE1200ELNS1_3gpuE4ELNS1_3repE0EEENS1_30default_config_static_selectorELNS0_4arch9wavefront6targetE0EEEvT1_,comdat
.Lfunc_end730:
	.size	_ZN7rocprim17ROCPRIM_400000_NS6detail17trampoline_kernelINS0_14default_configENS1_25partition_config_selectorILNS1_17partition_subalgoE9EllbEEZZNS1_14partition_implILS5_9ELb0ES3_jPlS8_PNS0_10empty_typeENS0_5tupleIJS8_S9_EEENSB_IJS8_SA_EEENS0_18inequality_wrapperIZN2at6native12_GLOBAL__N_124unique_dim_cuda_templateIsEESt5tupleIJNSF_6TensorESK_SK_EERKSK_lbbbEUlllE0_EEPmJS9_EEE10hipError_tPvRmT3_T4_T5_T6_T7_T9_mT8_P12ihipStream_tbDpT10_ENKUlT_T0_E_clISt17integral_constantIbLb1EES1A_EEDaS15_S16_EUlS15_E_NS1_11comp_targetILNS1_3genE10ELNS1_11target_archE1200ELNS1_3gpuE4ELNS1_3repE0EEENS1_30default_config_static_selectorELNS0_4arch9wavefront6targetE0EEEvT1_, .Lfunc_end730-_ZN7rocprim17ROCPRIM_400000_NS6detail17trampoline_kernelINS0_14default_configENS1_25partition_config_selectorILNS1_17partition_subalgoE9EllbEEZZNS1_14partition_implILS5_9ELb0ES3_jPlS8_PNS0_10empty_typeENS0_5tupleIJS8_S9_EEENSB_IJS8_SA_EEENS0_18inequality_wrapperIZN2at6native12_GLOBAL__N_124unique_dim_cuda_templateIsEESt5tupleIJNSF_6TensorESK_SK_EERKSK_lbbbEUlllE0_EEPmJS9_EEE10hipError_tPvRmT3_T4_T5_T6_T7_T9_mT8_P12ihipStream_tbDpT10_ENKUlT_T0_E_clISt17integral_constantIbLb1EES1A_EEDaS15_S16_EUlS15_E_NS1_11comp_targetILNS1_3genE10ELNS1_11target_archE1200ELNS1_3gpuE4ELNS1_3repE0EEENS1_30default_config_static_selectorELNS0_4arch9wavefront6targetE0EEEvT1_
                                        ; -- End function
	.section	.AMDGPU.csdata,"",@progbits
; Kernel info:
; codeLenInByte = 0
; NumSgprs: 0
; NumVgprs: 0
; ScratchSize: 0
; MemoryBound: 0
; FloatMode: 240
; IeeeMode: 1
; LDSByteSize: 0 bytes/workgroup (compile time only)
; SGPRBlocks: 0
; VGPRBlocks: 0
; NumSGPRsForWavesPerEU: 1
; NumVGPRsForWavesPerEU: 1
; Occupancy: 15
; WaveLimiterHint : 0
; COMPUTE_PGM_RSRC2:SCRATCH_EN: 0
; COMPUTE_PGM_RSRC2:USER_SGPR: 15
; COMPUTE_PGM_RSRC2:TRAP_HANDLER: 0
; COMPUTE_PGM_RSRC2:TGID_X_EN: 1
; COMPUTE_PGM_RSRC2:TGID_Y_EN: 0
; COMPUTE_PGM_RSRC2:TGID_Z_EN: 0
; COMPUTE_PGM_RSRC2:TIDIG_COMP_CNT: 0
	.section	.text._ZN7rocprim17ROCPRIM_400000_NS6detail17trampoline_kernelINS0_14default_configENS1_25partition_config_selectorILNS1_17partition_subalgoE9EllbEEZZNS1_14partition_implILS5_9ELb0ES3_jPlS8_PNS0_10empty_typeENS0_5tupleIJS8_S9_EEENSB_IJS8_SA_EEENS0_18inequality_wrapperIZN2at6native12_GLOBAL__N_124unique_dim_cuda_templateIsEESt5tupleIJNSF_6TensorESK_SK_EERKSK_lbbbEUlllE0_EEPmJS9_EEE10hipError_tPvRmT3_T4_T5_T6_T7_T9_mT8_P12ihipStream_tbDpT10_ENKUlT_T0_E_clISt17integral_constantIbLb1EES1A_EEDaS15_S16_EUlS15_E_NS1_11comp_targetILNS1_3genE9ELNS1_11target_archE1100ELNS1_3gpuE3ELNS1_3repE0EEENS1_30default_config_static_selectorELNS0_4arch9wavefront6targetE0EEEvT1_,"axG",@progbits,_ZN7rocprim17ROCPRIM_400000_NS6detail17trampoline_kernelINS0_14default_configENS1_25partition_config_selectorILNS1_17partition_subalgoE9EllbEEZZNS1_14partition_implILS5_9ELb0ES3_jPlS8_PNS0_10empty_typeENS0_5tupleIJS8_S9_EEENSB_IJS8_SA_EEENS0_18inequality_wrapperIZN2at6native12_GLOBAL__N_124unique_dim_cuda_templateIsEESt5tupleIJNSF_6TensorESK_SK_EERKSK_lbbbEUlllE0_EEPmJS9_EEE10hipError_tPvRmT3_T4_T5_T6_T7_T9_mT8_P12ihipStream_tbDpT10_ENKUlT_T0_E_clISt17integral_constantIbLb1EES1A_EEDaS15_S16_EUlS15_E_NS1_11comp_targetILNS1_3genE9ELNS1_11target_archE1100ELNS1_3gpuE3ELNS1_3repE0EEENS1_30default_config_static_selectorELNS0_4arch9wavefront6targetE0EEEvT1_,comdat
	.globl	_ZN7rocprim17ROCPRIM_400000_NS6detail17trampoline_kernelINS0_14default_configENS1_25partition_config_selectorILNS1_17partition_subalgoE9EllbEEZZNS1_14partition_implILS5_9ELb0ES3_jPlS8_PNS0_10empty_typeENS0_5tupleIJS8_S9_EEENSB_IJS8_SA_EEENS0_18inequality_wrapperIZN2at6native12_GLOBAL__N_124unique_dim_cuda_templateIsEESt5tupleIJNSF_6TensorESK_SK_EERKSK_lbbbEUlllE0_EEPmJS9_EEE10hipError_tPvRmT3_T4_T5_T6_T7_T9_mT8_P12ihipStream_tbDpT10_ENKUlT_T0_E_clISt17integral_constantIbLb1EES1A_EEDaS15_S16_EUlS15_E_NS1_11comp_targetILNS1_3genE9ELNS1_11target_archE1100ELNS1_3gpuE3ELNS1_3repE0EEENS1_30default_config_static_selectorELNS0_4arch9wavefront6targetE0EEEvT1_ ; -- Begin function _ZN7rocprim17ROCPRIM_400000_NS6detail17trampoline_kernelINS0_14default_configENS1_25partition_config_selectorILNS1_17partition_subalgoE9EllbEEZZNS1_14partition_implILS5_9ELb0ES3_jPlS8_PNS0_10empty_typeENS0_5tupleIJS8_S9_EEENSB_IJS8_SA_EEENS0_18inequality_wrapperIZN2at6native12_GLOBAL__N_124unique_dim_cuda_templateIsEESt5tupleIJNSF_6TensorESK_SK_EERKSK_lbbbEUlllE0_EEPmJS9_EEE10hipError_tPvRmT3_T4_T5_T6_T7_T9_mT8_P12ihipStream_tbDpT10_ENKUlT_T0_E_clISt17integral_constantIbLb1EES1A_EEDaS15_S16_EUlS15_E_NS1_11comp_targetILNS1_3genE9ELNS1_11target_archE1100ELNS1_3gpuE3ELNS1_3repE0EEENS1_30default_config_static_selectorELNS0_4arch9wavefront6targetE0EEEvT1_
	.p2align	8
	.type	_ZN7rocprim17ROCPRIM_400000_NS6detail17trampoline_kernelINS0_14default_configENS1_25partition_config_selectorILNS1_17partition_subalgoE9EllbEEZZNS1_14partition_implILS5_9ELb0ES3_jPlS8_PNS0_10empty_typeENS0_5tupleIJS8_S9_EEENSB_IJS8_SA_EEENS0_18inequality_wrapperIZN2at6native12_GLOBAL__N_124unique_dim_cuda_templateIsEESt5tupleIJNSF_6TensorESK_SK_EERKSK_lbbbEUlllE0_EEPmJS9_EEE10hipError_tPvRmT3_T4_T5_T6_T7_T9_mT8_P12ihipStream_tbDpT10_ENKUlT_T0_E_clISt17integral_constantIbLb1EES1A_EEDaS15_S16_EUlS15_E_NS1_11comp_targetILNS1_3genE9ELNS1_11target_archE1100ELNS1_3gpuE3ELNS1_3repE0EEENS1_30default_config_static_selectorELNS0_4arch9wavefront6targetE0EEEvT1_,@function
_ZN7rocprim17ROCPRIM_400000_NS6detail17trampoline_kernelINS0_14default_configENS1_25partition_config_selectorILNS1_17partition_subalgoE9EllbEEZZNS1_14partition_implILS5_9ELb0ES3_jPlS8_PNS0_10empty_typeENS0_5tupleIJS8_S9_EEENSB_IJS8_SA_EEENS0_18inequality_wrapperIZN2at6native12_GLOBAL__N_124unique_dim_cuda_templateIsEESt5tupleIJNSF_6TensorESK_SK_EERKSK_lbbbEUlllE0_EEPmJS9_EEE10hipError_tPvRmT3_T4_T5_T6_T7_T9_mT8_P12ihipStream_tbDpT10_ENKUlT_T0_E_clISt17integral_constantIbLb1EES1A_EEDaS15_S16_EUlS15_E_NS1_11comp_targetILNS1_3genE9ELNS1_11target_archE1100ELNS1_3gpuE3ELNS1_3repE0EEENS1_30default_config_static_selectorELNS0_4arch9wavefront6targetE0EEEvT1_: ; @_ZN7rocprim17ROCPRIM_400000_NS6detail17trampoline_kernelINS0_14default_configENS1_25partition_config_selectorILNS1_17partition_subalgoE9EllbEEZZNS1_14partition_implILS5_9ELb0ES3_jPlS8_PNS0_10empty_typeENS0_5tupleIJS8_S9_EEENSB_IJS8_SA_EEENS0_18inequality_wrapperIZN2at6native12_GLOBAL__N_124unique_dim_cuda_templateIsEESt5tupleIJNSF_6TensorESK_SK_EERKSK_lbbbEUlllE0_EEPmJS9_EEE10hipError_tPvRmT3_T4_T5_T6_T7_T9_mT8_P12ihipStream_tbDpT10_ENKUlT_T0_E_clISt17integral_constantIbLb1EES1A_EEDaS15_S16_EUlS15_E_NS1_11comp_targetILNS1_3genE9ELNS1_11target_archE1100ELNS1_3gpuE3ELNS1_3repE0EEENS1_30default_config_static_selectorELNS0_4arch9wavefront6targetE0EEEvT1_
; %bb.0:
	s_clause 0x3
	s_load_b128 s[4:7], s[0:1], 0x8
	s_load_b64 s[24:25], s[0:1], 0x18
	s_load_b256 s[8:15], s[0:1], 0x40
	s_load_b128 s[20:23], s[0:1], 0x60
	v_cmp_ne_u32_e64 s3, 0, v0
	v_cmp_eq_u32_e64 s2, 0, v0
	s_delay_alu instid0(VALU_DEP_1)
	s_and_saveexec_b32 s16, s2
	s_cbranch_execz .LBB731_4
; %bb.1:
	s_mov_b32 s18, exec_lo
	s_mov_b32 s17, exec_lo
	v_mbcnt_lo_u32_b32 v1, s18, 0
                                        ; implicit-def: $vgpr2
	s_delay_alu instid0(VALU_DEP_1)
	v_cmpx_eq_u32_e32 0, v1
	s_cbranch_execz .LBB731_3
; %bb.2:
	s_load_b64 s[26:27], s[0:1], 0x78
	s_bcnt1_i32_b32 s18, s18
	s_delay_alu instid0(SALU_CYCLE_1)
	v_dual_mov_b32 v2, 0 :: v_dual_mov_b32 v3, s18
	s_waitcnt lgkmcnt(0)
	global_atomic_add_u32 v2, v2, v3, s[26:27] glc
.LBB731_3:
	s_or_b32 exec_lo, exec_lo, s17
	s_waitcnt vmcnt(0)
	v_readfirstlane_b32 s17, v2
	s_delay_alu instid0(VALU_DEP_1)
	v_dual_mov_b32 v2, 0 :: v_dual_add_nc_u32 v1, s17, v1
	ds_store_b32 v2, v1
.LBB731_4:
	s_or_b32 exec_lo, exec_lo, s16
	v_mov_b32_e32 v1, 0
	s_clause 0x1
	s_load_b128 s[16:19], s[0:1], 0x28
	s_load_b32 s0, s[0:1], 0x70
	s_waitcnt lgkmcnt(0)
	s_barrier
	buffer_gl0_inv
	ds_load_b32 v3, v1
	s_waitcnt lgkmcnt(0)
	s_barrier
	buffer_gl0_inv
	global_load_b64 v[1:2], v1, s[10:11]
	s_lshl_b64 s[26:27], s[6:7], 3
	s_mov_b32 s1, 0
	s_add_u32 s10, s4, s26
	s_addc_u32 s11, s5, s27
	v_lshlrev_b32_e32 v55, 3, v0
	v_lshrrev_b32_e32 v34, 2, v0
	v_or_b32_e32 v39, 0x200, v0
	v_or_b32_e32 v38, 0x400, v0
	;; [unrolled: 1-line block ×5, first 2 shown]
	s_add_i32 s28, s0, -1
	s_lshl_b32 s5, s0, 12
	s_lshl_b32 s4, s28, 12
	v_or_b32_e32 v33, 0xc00, v0
	v_readfirstlane_b32 s30, v3
	s_add_i32 s4, s6, s4
	v_or_b32_e32 v36, 0xe00, v0
	s_sub_i32 s31, s12, s4
	s_delay_alu instid0(VALU_DEP_2)
	s_lshl_b32 s0, s30, 12
	s_add_u32 s4, s6, s5
	s_addc_u32 s5, s7, 0
	s_cmp_eq_u32 s30, s28
	v_cmp_ge_u64_e64 s4, s[4:5], s[12:13]
	s_cselect_b32 s28, -1, 0
	s_lshl_b64 s[12:13], s[0:1], 3
	s_mov_b32 s1, -1
	s_delay_alu instid0(VALU_DEP_1) | instskip(NEXT) | instid1(SALU_CYCLE_1)
	s_and_b32 s33, s4, s28
	s_xor_b32 s29, s33, -1
	s_add_u32 s4, s10, s12
	s_addc_u32 s5, s11, s13
	s_and_b32 vcc_lo, exec_lo, s29
	s_waitcnt vmcnt(0)
	v_readfirstlane_b32 s10, v1
	v_readfirstlane_b32 s11, v2
	s_cbranch_vccz .LBB731_6
; %bb.5:
	v_add_co_u32 v9, s0, s4, v55
	s_delay_alu instid0(VALU_DEP_1)
	v_add_co_ci_u32_e64 v10, null, s5, 0, s0
	global_load_b64 v[1:2], v55, s[4:5]
	v_add_co_u32 v3, vcc_lo, v9, 0x2000
	v_add_co_ci_u32_e32 v4, vcc_lo, 0, v10, vcc_lo
	v_add_co_u32 v5, vcc_lo, v9, 0x4000
	v_add_co_ci_u32_e32 v6, vcc_lo, 0, v10, vcc_lo
	;; [unrolled: 2-line block ×4, first 2 shown]
	s_clause 0x6
	global_load_b64 v[11:12], v[3:4], off offset:-4096
	global_load_b64 v[3:4], v[3:4], off
	global_load_b64 v[13:14], v[5:6], off offset:-4096
	global_load_b64 v[5:6], v[5:6], off
	;; [unrolled: 2-line block ×3, first 2 shown]
	global_load_b64 v[9:10], v[9:10], off
	v_lshrrev_b32_e32 v18, 2, v39
	v_lshrrev_b32_e32 v19, 2, v38
	;; [unrolled: 1-line block ×4, first 2 shown]
	v_and_b32_e32 v17, 0x78, v34
	v_lshrrev_b32_e32 v22, 2, v35
	v_lshrrev_b32_e32 v23, 2, v33
	;; [unrolled: 1-line block ×3, first 2 shown]
	v_and_b32_e32 v18, 0xf8, v18
	v_and_b32_e32 v19, 0x178, v19
	;; [unrolled: 1-line block ×4, first 2 shown]
	v_add_nc_u32_e32 v17, v17, v55
	v_and_b32_e32 v22, 0x2f8, v22
	v_and_b32_e32 v23, 0x378, v23
	;; [unrolled: 1-line block ×3, first 2 shown]
	v_add_nc_u32_e32 v18, v18, v55
	v_add_nc_u32_e32 v19, v19, v55
	;; [unrolled: 1-line block ×4, first 2 shown]
	s_mov_b32 s1, 0
	v_add_nc_u32_e32 v22, v22, v55
	v_add_nc_u32_e32 v23, v23, v55
	;; [unrolled: 1-line block ×3, first 2 shown]
	s_waitcnt vmcnt(7)
	ds_store_b64 v17, v[1:2]
	s_waitcnt vmcnt(6)
	ds_store_b64 v18, v[11:12] offset:4096
	s_waitcnt vmcnt(5)
	ds_store_b64 v19, v[3:4] offset:8192
	;; [unrolled: 2-line block ×7, first 2 shown]
	s_waitcnt lgkmcnt(0)
	s_barrier
.LBB731_6:
	v_cmp_gt_u32_e64 s0, s31, v0
	s_and_not1_b32 vcc_lo, exec_lo, s1
	s_cbranch_vccnz .LBB731_24
; %bb.7:
                                        ; implicit-def: $vgpr1_vgpr2_vgpr3_vgpr4_vgpr5_vgpr6_vgpr7_vgpr8_vgpr9_vgpr10_vgpr11_vgpr12_vgpr13_vgpr14_vgpr15_vgpr16
	s_delay_alu instid0(VALU_DEP_1)
	s_and_saveexec_b32 s1, s0
	s_cbranch_execz .LBB731_15
; %bb.8:
	global_load_b64 v[1:2], v55, s[4:5]
	s_or_b32 exec_lo, exec_lo, s1
	s_delay_alu instid0(SALU_CYCLE_1)
	s_mov_b32 s0, exec_lo
	v_cmpx_gt_u32_e64 s31, v39
	s_cbranch_execnz .LBB731_16
.LBB731_9:
	s_or_b32 exec_lo, exec_lo, s0
	s_delay_alu instid0(SALU_CYCLE_1)
	s_mov_b32 s0, exec_lo
	v_cmpx_gt_u32_e64 s31, v38
	s_cbranch_execz .LBB731_17
.LBB731_10:
	v_lshlrev_b32_e32 v5, 3, v38
	global_load_b64 v[5:6], v5, s[4:5]
	s_or_b32 exec_lo, exec_lo, s0
	s_delay_alu instid0(SALU_CYCLE_1)
	s_mov_b32 s0, exec_lo
	v_cmpx_gt_u32_e64 s31, v40
	s_cbranch_execnz .LBB731_18
.LBB731_11:
	s_or_b32 exec_lo, exec_lo, s0
	s_delay_alu instid0(SALU_CYCLE_1)
	s_mov_b32 s0, exec_lo
	v_cmpx_gt_u32_e64 s31, v37
	s_cbranch_execz .LBB731_19
.LBB731_12:
	v_lshlrev_b32_e32 v9, 3, v37
	global_load_b64 v[9:10], v9, s[4:5]
	s_or_b32 exec_lo, exec_lo, s0
	s_delay_alu instid0(SALU_CYCLE_1)
	s_mov_b32 s0, exec_lo
	v_cmpx_gt_u32_e64 s31, v35
	s_cbranch_execnz .LBB731_20
.LBB731_13:
	s_or_b32 exec_lo, exec_lo, s0
	s_delay_alu instid0(SALU_CYCLE_1)
	s_mov_b32 s0, exec_lo
	v_cmpx_gt_u32_e64 s31, v33
	s_cbranch_execz .LBB731_21
.LBB731_14:
	v_lshlrev_b32_e32 v13, 3, v33
	global_load_b64 v[13:14], v13, s[4:5]
	s_or_b32 exec_lo, exec_lo, s0
	s_delay_alu instid0(SALU_CYCLE_1)
	s_mov_b32 s0, exec_lo
	v_cmpx_gt_u32_e64 s31, v36
	s_cbranch_execnz .LBB731_22
	s_branch .LBB731_23
.LBB731_15:
	s_or_b32 exec_lo, exec_lo, s1
	s_delay_alu instid0(SALU_CYCLE_1)
	s_mov_b32 s0, exec_lo
	v_cmpx_gt_u32_e64 s31, v39
	s_cbranch_execz .LBB731_9
.LBB731_16:
	v_lshlrev_b32_e32 v3, 3, v39
	global_load_b64 v[3:4], v3, s[4:5]
	s_or_b32 exec_lo, exec_lo, s0
	s_delay_alu instid0(SALU_CYCLE_1)
	s_mov_b32 s0, exec_lo
	v_cmpx_gt_u32_e64 s31, v38
	s_cbranch_execnz .LBB731_10
.LBB731_17:
	s_or_b32 exec_lo, exec_lo, s0
	s_delay_alu instid0(SALU_CYCLE_1)
	s_mov_b32 s0, exec_lo
	v_cmpx_gt_u32_e64 s31, v40
	s_cbranch_execz .LBB731_11
.LBB731_18:
	v_lshlrev_b32_e32 v7, 3, v40
	global_load_b64 v[7:8], v7, s[4:5]
	s_or_b32 exec_lo, exec_lo, s0
	s_delay_alu instid0(SALU_CYCLE_1)
	s_mov_b32 s0, exec_lo
	v_cmpx_gt_u32_e64 s31, v37
	s_cbranch_execnz .LBB731_12
.LBB731_19:
	s_or_b32 exec_lo, exec_lo, s0
	s_delay_alu instid0(SALU_CYCLE_1)
	s_mov_b32 s0, exec_lo
	v_cmpx_gt_u32_e64 s31, v35
	s_cbranch_execz .LBB731_13
.LBB731_20:
	v_lshlrev_b32_e32 v11, 3, v35
	global_load_b64 v[11:12], v11, s[4:5]
	s_or_b32 exec_lo, exec_lo, s0
	s_delay_alu instid0(SALU_CYCLE_1)
	s_mov_b32 s0, exec_lo
	v_cmpx_gt_u32_e64 s31, v33
	s_cbranch_execnz .LBB731_14
.LBB731_21:
	s_or_b32 exec_lo, exec_lo, s0
	s_delay_alu instid0(SALU_CYCLE_1)
	s_mov_b32 s0, exec_lo
	v_cmpx_gt_u32_e64 s31, v36
	s_cbranch_execz .LBB731_23
.LBB731_22:
	v_lshlrev_b32_e32 v15, 3, v36
	global_load_b64 v[15:16], v15, s[4:5]
.LBB731_23:
	s_or_b32 exec_lo, exec_lo, s0
	v_lshrrev_b32_e32 v17, 2, v39
	v_lshrrev_b32_e32 v18, 2, v38
	;; [unrolled: 1-line block ×4, first 2 shown]
	v_and_b32_e32 v19, 0x78, v34
	v_lshrrev_b32_e32 v22, 2, v35
	v_lshrrev_b32_e32 v23, 2, v33
	;; [unrolled: 1-line block ×3, first 2 shown]
	v_and_b32_e32 v17, 0xf8, v17
	v_and_b32_e32 v18, 0x1f8, v18
	;; [unrolled: 1-line block ×4, first 2 shown]
	v_add_nc_u32_e32 v19, v19, v55
	v_and_b32_e32 v22, 0x3f8, v22
	v_and_b32_e32 v23, 0x3f8, v23
	;; [unrolled: 1-line block ×3, first 2 shown]
	v_add_nc_u32_e32 v17, v17, v55
	v_add_nc_u32_e32 v18, v18, v55
	v_add_nc_u32_e32 v20, v20, v55
	v_add_nc_u32_e32 v21, v21, v55
	v_add_nc_u32_e32 v22, v22, v55
	v_add_nc_u32_e32 v23, v23, v55
	v_add_nc_u32_e32 v24, v24, v55
	s_waitcnt vmcnt(0)
	ds_store_b64 v19, v[1:2]
	ds_store_b64 v17, v[3:4] offset:4096
	ds_store_b64 v18, v[5:6] offset:8192
	;; [unrolled: 1-line block ×7, first 2 shown]
	s_waitcnt lgkmcnt(0)
	s_barrier
.LBB731_24:
	v_add_lshl_u32 v41, v34, v55, 3
	buffer_gl0_inv
	s_add_u32 s0, s24, s26
	s_addc_u32 s1, s25, s27
	s_add_u32 s0, s0, s12
	ds_load_2addr_b64 v[29:32], v41 offset1:1
	ds_load_2addr_b64 v[25:28], v41 offset0:2 offset1:3
	ds_load_2addr_b64 v[21:24], v41 offset0:4 offset1:5
	;; [unrolled: 1-line block ×3, first 2 shown]
	s_addc_u32 s1, s1, s13
	s_and_b32 vcc_lo, exec_lo, s29
	s_mov_b32 s12, -1
	s_waitcnt lgkmcnt(0)
	s_barrier
	buffer_gl0_inv
	s_cbranch_vccz .LBB731_26
; %bb.25:
	v_add_co_u32 v9, s12, s0, v55
	s_delay_alu instid0(VALU_DEP_1)
	v_add_co_ci_u32_e64 v10, null, s1, 0, s12
	global_load_b64 v[1:2], v55, s[0:1]
	v_add_co_u32 v3, vcc_lo, v9, 0x2000
	v_add_co_ci_u32_e32 v4, vcc_lo, 0, v10, vcc_lo
	v_add_co_u32 v5, vcc_lo, v9, 0x4000
	v_add_co_ci_u32_e32 v6, vcc_lo, 0, v10, vcc_lo
	;; [unrolled: 2-line block ×4, first 2 shown]
	s_clause 0x6
	global_load_b64 v[11:12], v[3:4], off offset:-4096
	global_load_b64 v[3:4], v[3:4], off
	global_load_b64 v[13:14], v[5:6], off offset:-4096
	global_load_b64 v[5:6], v[5:6], off
	;; [unrolled: 2-line block ×3, first 2 shown]
	global_load_b64 v[9:10], v[9:10], off
	v_lshrrev_b32_e32 v43, 2, v39
	v_lshrrev_b32_e32 v44, 2, v38
	;; [unrolled: 1-line block ×4, first 2 shown]
	v_and_b32_e32 v42, 0x78, v34
	v_lshrrev_b32_e32 v47, 2, v35
	v_lshrrev_b32_e32 v48, 2, v33
	;; [unrolled: 1-line block ×3, first 2 shown]
	v_and_b32_e32 v43, 0xf8, v43
	v_and_b32_e32 v44, 0x178, v44
	;; [unrolled: 1-line block ×4, first 2 shown]
	v_add_nc_u32_e32 v42, v42, v55
	v_and_b32_e32 v47, 0x2f8, v47
	v_and_b32_e32 v48, 0x378, v48
	;; [unrolled: 1-line block ×3, first 2 shown]
	v_add_nc_u32_e32 v43, v43, v55
	v_add_nc_u32_e32 v44, v44, v55
	;; [unrolled: 1-line block ×4, first 2 shown]
	s_mov_b32 s12, 0
	v_add_nc_u32_e32 v47, v47, v55
	v_add_nc_u32_e32 v48, v48, v55
	;; [unrolled: 1-line block ×3, first 2 shown]
	s_waitcnt vmcnt(7)
	ds_store_b64 v42, v[1:2]
	s_waitcnt vmcnt(6)
	ds_store_b64 v43, v[11:12] offset:4096
	s_waitcnt vmcnt(5)
	ds_store_b64 v44, v[3:4] offset:8192
	;; [unrolled: 2-line block ×7, first 2 shown]
	s_waitcnt lgkmcnt(0)
	s_barrier
.LBB731_26:
	s_and_not1_b32 vcc_lo, exec_lo, s12
	s_cbranch_vccnz .LBB731_44
; %bb.27:
	s_mov_b32 s12, exec_lo
                                        ; implicit-def: $vgpr1_vgpr2
	v_cmpx_gt_u32_e64 s31, v0
	s_cbranch_execz .LBB731_29
; %bb.28:
	global_load_b64 v[1:2], v55, s[0:1]
.LBB731_29:
	s_or_b32 exec_lo, exec_lo, s12
	s_delay_alu instid0(SALU_CYCLE_1)
	s_mov_b32 s12, exec_lo
                                        ; implicit-def: $vgpr3_vgpr4
	v_cmpx_gt_u32_e64 s31, v39
	s_cbranch_execz .LBB731_31
; %bb.30:
	v_lshlrev_b32_e32 v3, 3, v39
	global_load_b64 v[3:4], v3, s[0:1]
.LBB731_31:
	s_or_b32 exec_lo, exec_lo, s12
	s_delay_alu instid0(SALU_CYCLE_1)
	s_mov_b32 s12, exec_lo
                                        ; implicit-def: $vgpr5_vgpr6
	v_cmpx_gt_u32_e64 s31, v38
	s_cbranch_execz .LBB731_33
; %bb.32:
	v_lshlrev_b32_e32 v5, 3, v38
	global_load_b64 v[5:6], v5, s[0:1]
.LBB731_33:
	s_or_b32 exec_lo, exec_lo, s12
	s_delay_alu instid0(SALU_CYCLE_1)
	s_mov_b32 s12, exec_lo
                                        ; implicit-def: $vgpr7_vgpr8
	v_cmpx_gt_u32_e64 s31, v40
	s_cbranch_execz .LBB731_35
; %bb.34:
	v_lshlrev_b32_e32 v7, 3, v40
	global_load_b64 v[7:8], v7, s[0:1]
.LBB731_35:
	s_or_b32 exec_lo, exec_lo, s12
	s_delay_alu instid0(SALU_CYCLE_1)
	s_mov_b32 s12, exec_lo
                                        ; implicit-def: $vgpr9_vgpr10
	v_cmpx_gt_u32_e64 s31, v37
	s_cbranch_execz .LBB731_37
; %bb.36:
	v_lshlrev_b32_e32 v9, 3, v37
	global_load_b64 v[9:10], v9, s[0:1]
.LBB731_37:
	s_or_b32 exec_lo, exec_lo, s12
	s_delay_alu instid0(SALU_CYCLE_1)
	s_mov_b32 s12, exec_lo
                                        ; implicit-def: $vgpr11_vgpr12
	v_cmpx_gt_u32_e64 s31, v35
	s_cbranch_execz .LBB731_39
; %bb.38:
	v_lshlrev_b32_e32 v11, 3, v35
	global_load_b64 v[11:12], v11, s[0:1]
.LBB731_39:
	s_or_b32 exec_lo, exec_lo, s12
	s_delay_alu instid0(SALU_CYCLE_1)
	s_mov_b32 s12, exec_lo
                                        ; implicit-def: $vgpr13_vgpr14
	v_cmpx_gt_u32_e64 s31, v33
	s_cbranch_execz .LBB731_41
; %bb.40:
	v_lshlrev_b32_e32 v13, 3, v33
	global_load_b64 v[13:14], v13, s[0:1]
.LBB731_41:
	s_or_b32 exec_lo, exec_lo, s12
	s_delay_alu instid0(SALU_CYCLE_1)
	s_mov_b32 s12, exec_lo
                                        ; implicit-def: $vgpr15_vgpr16
	v_cmpx_gt_u32_e64 s31, v36
	s_cbranch_execz .LBB731_43
; %bb.42:
	v_lshlrev_b32_e32 v15, 3, v36
	global_load_b64 v[15:16], v15, s[0:1]
.LBB731_43:
	s_or_b32 exec_lo, exec_lo, s12
	v_lshrrev_b32_e32 v39, 2, v39
	v_lshrrev_b32_e32 v38, 2, v38
	;; [unrolled: 1-line block ×4, first 2 shown]
	v_and_b32_e32 v34, 0x78, v34
	v_lshrrev_b32_e32 v35, 2, v35
	v_lshrrev_b32_e32 v33, 2, v33
	;; [unrolled: 1-line block ×3, first 2 shown]
	v_and_b32_e32 v39, 0xf8, v39
	v_and_b32_e32 v38, 0x1f8, v38
	;; [unrolled: 1-line block ×4, first 2 shown]
	v_add_nc_u32_e32 v34, v34, v55
	v_and_b32_e32 v35, 0x3f8, v35
	v_and_b32_e32 v33, 0x3f8, v33
	;; [unrolled: 1-line block ×3, first 2 shown]
	v_add_nc_u32_e32 v39, v39, v55
	v_add_nc_u32_e32 v38, v38, v55
	;; [unrolled: 1-line block ×7, first 2 shown]
	s_waitcnt vmcnt(0)
	ds_store_b64 v34, v[1:2]
	ds_store_b64 v39, v[3:4] offset:4096
	ds_store_b64 v38, v[5:6] offset:8192
	;; [unrolled: 1-line block ×7, first 2 shown]
	s_waitcnt lgkmcnt(0)
	s_barrier
.LBB731_44:
	buffer_gl0_inv
	ds_load_2addr_b64 v[13:16], v41 offset1:1
	ds_load_2addr_b64 v[9:12], v41 offset0:2 offset1:3
	ds_load_2addr_b64 v[5:8], v41 offset0:4 offset1:5
	;; [unrolled: 1-line block ×3, first 2 shown]
	s_cmp_lg_u32 s30, 0
	v_cmp_gt_i64_e64 s13, s[14:15], 0
	s_cselect_b32 s12, -1, 0
	s_cmp_lg_u64 s[6:7], 0
	s_mov_b32 s1, 0
	s_cselect_b32 s0, -1, 0
	s_waitcnt lgkmcnt(0)
	s_or_b32 s0, s0, s12
	s_barrier
	s_and_b32 vcc_lo, exec_lo, s0
	buffer_gl0_inv
	s_cbranch_vccz .LBB731_53
; %bb.45:
	v_mov_b32_e32 v33, 0
	v_cndmask_b32_e64 v43, 0, 1, s13
	s_and_b32 vcc_lo, exec_lo, s29
	ds_store_b64 v55, v[19:20]
	global_load_b64 v[33:34], v33, s[4:5] offset:-8
	v_cmp_ne_u32_e64 s0, 1, v43
	s_cbranch_vccz .LBB731_54
; %bb.46:
	v_mul_lo_u32 v37, v18, s14
	v_mul_lo_u32 v38, v17, s15
	v_mad_u64_u32 v[35:36], null, v17, s14, 0
	s_and_b32 vcc_lo, exec_lo, s0
	s_mov_b32 s24, 0
	s_delay_alu instid0(VALU_DEP_1) | instskip(NEXT) | instid1(VALU_DEP_1)
	v_add3_u32 v36, v36, v38, v37
	v_lshlrev_b64 v[35:36], 1, v[35:36]
	s_cbranch_vccnz .LBB731_57
; %bb.47:
	v_mul_lo_u32 v39, v20, s14
	v_mul_lo_u32 v40, v19, s15
	v_mad_u64_u32 v[37:38], null, v19, s14, 0
	s_mov_b32 s24, -1
	s_mov_b32 s25, exec_lo
	s_delay_alu instid0(VALU_DEP_1) | instskip(SKIP_2) | instid1(VALU_DEP_3)
	v_add3_u32 v38, v38, v40, v39
	v_add_co_u32 v39, vcc_lo, s20, v35
	v_add_co_ci_u32_e32 v40, vcc_lo, s21, v36, vcc_lo
	v_lshlrev_b64 v[37:38], 1, v[37:38]
	s_delay_alu instid0(VALU_DEP_1) | instskip(NEXT) | instid1(VALU_DEP_2)
	v_add_co_u32 v37, vcc_lo, s20, v37
	v_add_co_ci_u32_e32 v38, vcc_lo, s21, v38, vcc_lo
	s_clause 0x1
	global_load_u16 v41, v[39:40], off
	global_load_u16 v42, v[37:38], off
	s_waitcnt vmcnt(0)
	v_cmpx_eq_u16_e64 v41, v42
	s_cbranch_execz .LBB731_56
; %bb.48:
	v_add_co_u32 v37, vcc_lo, v37, 2
	v_add_co_ci_u32_e32 v38, vcc_lo, 0, v38, vcc_lo
	v_add_co_u32 v39, vcc_lo, v39, 2
	v_add_co_ci_u32_e32 v40, vcc_lo, 0, v40, vcc_lo
	s_add_u32 s4, s14, -1
	s_addc_u32 s5, s15, -1
	s_mov_b64 s[6:7], 0
	s_mov_b32 s24, 0
                                        ; implicit-def: $sgpr26
	s_set_inst_prefetch_distance 0x1
	s_branch .LBB731_51
	.p2align	6
.LBB731_49:                             ;   in Loop: Header=BB731_51 Depth=1
	global_load_u16 v41, v[39:40], off
	global_load_u16 v42, v[37:38], off
	v_add_co_u32 v37, vcc_lo, v37, 2
	v_add_co_ci_u32_e32 v38, vcc_lo, 0, v38, vcc_lo
	v_add_co_u32 v39, s0, v39, 2
	s_delay_alu instid0(VALU_DEP_1)
	v_add_co_ci_u32_e64 v40, s0, 0, v40, s0
	s_add_u32 s6, s6, 1
	s_addc_u32 s7, s7, 0
	s_and_not1_b32 s0, s26, exec_lo
	s_waitcnt vmcnt(0)
	v_cmp_ne_u16_e32 vcc_lo, v41, v42
	s_and_b32 s26, vcc_lo, exec_lo
	s_delay_alu instid0(SALU_CYCLE_1)
	s_or_b32 s26, s0, s26
.LBB731_50:                             ;   in Loop: Header=BB731_51 Depth=1
	v_dual_mov_b32 v42, s7 :: v_dual_mov_b32 v41, s6
	s_and_b32 s0, exec_lo, s26
	s_delay_alu instid0(SALU_CYCLE_1) | instskip(NEXT) | instid1(SALU_CYCLE_1)
	s_or_b32 s24, s0, s24
	s_and_not1_b32 exec_lo, exec_lo, s24
	s_cbranch_execz .LBB731_55
.LBB731_51:                             ; =>This Inner Loop Header: Depth=1
	s_or_b32 s26, s26, exec_lo
	s_cmp_eq_u64 s[4:5], s[6:7]
	s_cbranch_scc0 .LBB731_49
; %bb.52:                               ;   in Loop: Header=BB731_51 Depth=1
	s_mov_b64 s[6:7], s[14:15]
                                        ; implicit-def: $vgpr37_vgpr38
                                        ; implicit-def: $vgpr39_vgpr40
	s_branch .LBB731_50
.LBB731_53:
                                        ; implicit-def: $sgpr0
                                        ; implicit-def: $vgpr36
	s_branch .LBB731_215
.LBB731_54:
                                        ; implicit-def: $sgpr0
                                        ; implicit-def: $vgpr36
	s_cbranch_execnz .LBB731_123
	s_branch .LBB731_214
.LBB731_55:
	s_set_inst_prefetch_distance 0x2
	s_or_b32 exec_lo, exec_lo, s24
	v_cmp_gt_i64_e32 vcc_lo, s[14:15], v[41:42]
	s_or_not1_b32 s24, vcc_lo, exec_lo
.LBB731_56:
	s_or_b32 exec_lo, exec_lo, s25
.LBB731_57:
	v_mul_lo_u32 v39, v24, s14
	v_mul_lo_u32 v40, v23, s15
	v_mad_u64_u32 v[37:38], null, v23, s14, 0
	s_and_not1_b32 vcc_lo, exec_lo, s13
	s_delay_alu instid0(VALU_DEP_1) | instskip(NEXT) | instid1(VALU_DEP_1)
	v_add3_u32 v38, v38, v40, v39
	v_lshlrev_b64 v[37:38], 1, v[37:38]
	s_cbranch_vccnz .LBB731_66
; %bb.58:
	s_delay_alu instid0(VALU_DEP_1) | instskip(NEXT) | instid1(VALU_DEP_2)
	v_add_co_u32 v39, vcc_lo, s20, v37
	v_add_co_ci_u32_e32 v40, vcc_lo, s21, v38, vcc_lo
	v_add_co_u32 v35, vcc_lo, s20, v35
	v_add_co_ci_u32_e32 v36, vcc_lo, s21, v36, vcc_lo
	s_mov_b32 s1, -1
	s_clause 0x1
	global_load_u16 v41, v[39:40], off
	global_load_u16 v42, v[35:36], off
	s_mov_b32 s25, exec_lo
	s_waitcnt vmcnt(0)
	v_cmpx_eq_u16_e64 v41, v42
	s_cbranch_execz .LBB731_65
; %bb.59:
	v_add_co_u32 v35, vcc_lo, v35, 2
	v_add_co_ci_u32_e32 v36, vcc_lo, 0, v36, vcc_lo
	v_add_co_u32 v39, vcc_lo, v39, 2
	v_add_co_ci_u32_e32 v40, vcc_lo, 0, v40, vcc_lo
	s_add_u32 s4, s14, -1
	s_addc_u32 s5, s15, -1
	s_mov_b64 s[6:7], 0
	s_mov_b32 s1, 0
                                        ; implicit-def: $sgpr26
	s_set_inst_prefetch_distance 0x1
	s_branch .LBB731_62
	.p2align	6
.LBB731_60:                             ;   in Loop: Header=BB731_62 Depth=1
	global_load_u16 v41, v[39:40], off
	global_load_u16 v42, v[35:36], off
	v_add_co_u32 v35, vcc_lo, v35, 2
	v_add_co_ci_u32_e32 v36, vcc_lo, 0, v36, vcc_lo
	v_add_co_u32 v39, s0, v39, 2
	s_delay_alu instid0(VALU_DEP_1)
	v_add_co_ci_u32_e64 v40, s0, 0, v40, s0
	s_add_u32 s6, s6, 1
	s_addc_u32 s7, s7, 0
	s_and_not1_b32 s0, s26, exec_lo
	s_waitcnt vmcnt(0)
	v_cmp_ne_u16_e32 vcc_lo, v41, v42
	s_and_b32 s26, vcc_lo, exec_lo
	s_delay_alu instid0(SALU_CYCLE_1)
	s_or_b32 s26, s0, s26
.LBB731_61:                             ;   in Loop: Header=BB731_62 Depth=1
	v_dual_mov_b32 v42, s7 :: v_dual_mov_b32 v41, s6
	s_and_b32 s0, exec_lo, s26
	s_delay_alu instid0(SALU_CYCLE_1) | instskip(NEXT) | instid1(SALU_CYCLE_1)
	s_or_b32 s1, s0, s1
	s_and_not1_b32 exec_lo, exec_lo, s1
	s_cbranch_execz .LBB731_64
.LBB731_62:                             ; =>This Inner Loop Header: Depth=1
	s_or_b32 s26, s26, exec_lo
	s_cmp_eq_u64 s[4:5], s[6:7]
	s_cbranch_scc0 .LBB731_60
; %bb.63:                               ;   in Loop: Header=BB731_62 Depth=1
	s_mov_b64 s[6:7], s[14:15]
                                        ; implicit-def: $vgpr35_vgpr36
                                        ; implicit-def: $vgpr39_vgpr40
	s_branch .LBB731_61
.LBB731_64:
	s_set_inst_prefetch_distance 0x2
	s_or_b32 exec_lo, exec_lo, s1
	v_cmp_gt_i64_e32 vcc_lo, s[14:15], v[41:42]
	s_or_not1_b32 s1, vcc_lo, exec_lo
.LBB731_65:
	s_or_b32 exec_lo, exec_lo, s25
.LBB731_66:
	v_mul_lo_u32 v39, v22, s14
	v_mul_lo_u32 v40, v21, s15
	v_mad_u64_u32 v[35:36], null, v21, s14, 0
	s_mov_b32 s25, 0
	s_and_not1_b32 vcc_lo, exec_lo, s13
	s_mov_b32 s26, 0
	s_delay_alu instid0(VALU_DEP_1) | instskip(NEXT) | instid1(VALU_DEP_1)
	v_add3_u32 v36, v36, v40, v39
	v_lshlrev_b64 v[39:40], 1, v[35:36]
	s_cbranch_vccnz .LBB731_75
; %bb.67:
	s_delay_alu instid0(VALU_DEP_1) | instskip(NEXT) | instid1(VALU_DEP_2)
	v_add_co_u32 v41, vcc_lo, s20, v39
	v_add_co_ci_u32_e32 v42, vcc_lo, s21, v40, vcc_lo
	v_add_co_u32 v35, vcc_lo, s20, v37
	v_add_co_ci_u32_e32 v36, vcc_lo, s21, v38, vcc_lo
	s_mov_b32 s26, -1
	s_clause 0x1
	global_load_u16 v37, v[41:42], off
	global_load_u16 v38, v[35:36], off
	s_mov_b32 s27, exec_lo
	s_waitcnt vmcnt(0)
	v_cmpx_eq_u16_e64 v37, v38
	s_cbranch_execz .LBB731_74
; %bb.68:
	v_add_co_u32 v35, vcc_lo, v35, 2
	v_add_co_ci_u32_e32 v36, vcc_lo, 0, v36, vcc_lo
	v_add_co_u32 v37, vcc_lo, v41, 2
	v_add_co_ci_u32_e32 v38, vcc_lo, 0, v42, vcc_lo
	s_add_u32 s4, s14, -1
	s_addc_u32 s5, s15, -1
	s_mov_b64 s[6:7], 0
	s_mov_b32 s26, 0
                                        ; implicit-def: $sgpr34
	s_set_inst_prefetch_distance 0x1
	s_branch .LBB731_71
	.p2align	6
.LBB731_69:                             ;   in Loop: Header=BB731_71 Depth=1
	global_load_u16 v41, v[37:38], off
	global_load_u16 v42, v[35:36], off
	v_add_co_u32 v35, vcc_lo, v35, 2
	v_add_co_ci_u32_e32 v36, vcc_lo, 0, v36, vcc_lo
	v_add_co_u32 v37, s0, v37, 2
	s_delay_alu instid0(VALU_DEP_1)
	v_add_co_ci_u32_e64 v38, s0, 0, v38, s0
	s_add_u32 s6, s6, 1
	s_addc_u32 s7, s7, 0
	s_and_not1_b32 s0, s34, exec_lo
	s_waitcnt vmcnt(0)
	v_cmp_ne_u16_e32 vcc_lo, v41, v42
	s_and_b32 s34, vcc_lo, exec_lo
	s_delay_alu instid0(SALU_CYCLE_1)
	s_or_b32 s34, s0, s34
.LBB731_70:                             ;   in Loop: Header=BB731_71 Depth=1
	v_dual_mov_b32 v42, s7 :: v_dual_mov_b32 v41, s6
	s_and_b32 s0, exec_lo, s34
	s_delay_alu instid0(SALU_CYCLE_1) | instskip(NEXT) | instid1(SALU_CYCLE_1)
	s_or_b32 s26, s0, s26
	s_and_not1_b32 exec_lo, exec_lo, s26
	s_cbranch_execz .LBB731_73
.LBB731_71:                             ; =>This Inner Loop Header: Depth=1
	s_or_b32 s34, s34, exec_lo
	s_cmp_eq_u64 s[4:5], s[6:7]
	s_cbranch_scc0 .LBB731_69
; %bb.72:                               ;   in Loop: Header=BB731_71 Depth=1
	s_mov_b64 s[6:7], s[14:15]
                                        ; implicit-def: $vgpr35_vgpr36
                                        ; implicit-def: $vgpr37_vgpr38
	s_branch .LBB731_70
.LBB731_73:
	s_set_inst_prefetch_distance 0x2
	s_or_b32 exec_lo, exec_lo, s26
	v_cmp_gt_i64_e32 vcc_lo, s[14:15], v[41:42]
	s_or_not1_b32 s26, vcc_lo, exec_lo
.LBB731_74:
	s_or_b32 exec_lo, exec_lo, s27
.LBB731_75:
	v_mul_lo_u32 v37, v28, s14
	v_mul_lo_u32 v38, v27, s15
	v_mad_u64_u32 v[35:36], null, v27, s14, 0
	s_and_not1_b32 vcc_lo, exec_lo, s13
	s_delay_alu instid0(VALU_DEP_1) | instskip(NEXT) | instid1(VALU_DEP_1)
	v_add3_u32 v36, v36, v38, v37
	v_lshlrev_b64 v[35:36], 1, v[35:36]
	s_cbranch_vccnz .LBB731_84
; %bb.76:
	s_delay_alu instid0(VALU_DEP_1) | instskip(NEXT) | instid1(VALU_DEP_2)
	v_add_co_u32 v41, vcc_lo, s20, v35
	v_add_co_ci_u32_e32 v42, vcc_lo, s21, v36, vcc_lo
	v_add_co_u32 v37, vcc_lo, s20, v39
	v_add_co_ci_u32_e32 v38, vcc_lo, s21, v40, vcc_lo
	s_mov_b32 s25, -1
	s_clause 0x1
	global_load_u16 v39, v[41:42], off
	global_load_u16 v40, v[37:38], off
	s_mov_b32 s27, exec_lo
	s_waitcnt vmcnt(0)
	v_cmpx_eq_u16_e64 v39, v40
	s_cbranch_execz .LBB731_83
; %bb.77:
	v_add_co_u32 v37, vcc_lo, v37, 2
	v_add_co_ci_u32_e32 v38, vcc_lo, 0, v38, vcc_lo
	v_add_co_u32 v39, vcc_lo, v41, 2
	v_add_co_ci_u32_e32 v40, vcc_lo, 0, v42, vcc_lo
	s_add_u32 s4, s14, -1
	s_addc_u32 s5, s15, -1
	s_mov_b64 s[6:7], 0
	s_mov_b32 s25, 0
                                        ; implicit-def: $sgpr34
	s_set_inst_prefetch_distance 0x1
	s_branch .LBB731_80
	.p2align	6
.LBB731_78:                             ;   in Loop: Header=BB731_80 Depth=1
	global_load_u16 v41, v[39:40], off
	global_load_u16 v42, v[37:38], off
	v_add_co_u32 v37, vcc_lo, v37, 2
	v_add_co_ci_u32_e32 v38, vcc_lo, 0, v38, vcc_lo
	v_add_co_u32 v39, s0, v39, 2
	s_delay_alu instid0(VALU_DEP_1)
	v_add_co_ci_u32_e64 v40, s0, 0, v40, s0
	s_add_u32 s6, s6, 1
	s_addc_u32 s7, s7, 0
	s_and_not1_b32 s0, s34, exec_lo
	s_waitcnt vmcnt(0)
	v_cmp_ne_u16_e32 vcc_lo, v41, v42
	s_and_b32 s34, vcc_lo, exec_lo
	s_delay_alu instid0(SALU_CYCLE_1)
	s_or_b32 s34, s0, s34
.LBB731_79:                             ;   in Loop: Header=BB731_80 Depth=1
	v_dual_mov_b32 v42, s7 :: v_dual_mov_b32 v41, s6
	s_and_b32 s0, exec_lo, s34
	s_delay_alu instid0(SALU_CYCLE_1) | instskip(NEXT) | instid1(SALU_CYCLE_1)
	s_or_b32 s25, s0, s25
	s_and_not1_b32 exec_lo, exec_lo, s25
	s_cbranch_execz .LBB731_82
.LBB731_80:                             ; =>This Inner Loop Header: Depth=1
	s_or_b32 s34, s34, exec_lo
	s_cmp_eq_u64 s[4:5], s[6:7]
	s_cbranch_scc0 .LBB731_78
; %bb.81:                               ;   in Loop: Header=BB731_80 Depth=1
	s_mov_b64 s[6:7], s[14:15]
                                        ; implicit-def: $vgpr37_vgpr38
                                        ; implicit-def: $vgpr39_vgpr40
	s_branch .LBB731_79
.LBB731_82:
	s_set_inst_prefetch_distance 0x2
	s_or_b32 exec_lo, exec_lo, s25
	v_cmp_gt_i64_e32 vcc_lo, s[14:15], v[41:42]
	s_or_not1_b32 s25, vcc_lo, exec_lo
.LBB731_83:
	s_or_b32 exec_lo, exec_lo, s27
.LBB731_84:
	v_mul_lo_u32 v39, v26, s14
	v_mul_lo_u32 v40, v25, s15
	v_mad_u64_u32 v[37:38], null, v25, s14, 0
	s_mov_b32 s27, 0
	s_and_not1_b32 vcc_lo, exec_lo, s13
	s_mov_b32 s34, 0
	s_delay_alu instid0(VALU_DEP_1) | instskip(NEXT) | instid1(VALU_DEP_1)
	v_add3_u32 v38, v38, v40, v39
	v_lshlrev_b64 v[39:40], 1, v[37:38]
	s_cbranch_vccnz .LBB731_93
; %bb.85:
	s_delay_alu instid0(VALU_DEP_1) | instskip(NEXT) | instid1(VALU_DEP_2)
	v_add_co_u32 v37, vcc_lo, s20, v39
	v_add_co_ci_u32_e32 v38, vcc_lo, s21, v40, vcc_lo
	v_add_co_u32 v35, vcc_lo, s20, v35
	v_add_co_ci_u32_e32 v36, vcc_lo, s21, v36, vcc_lo
	s_mov_b32 s34, -1
	s_clause 0x1
	global_load_u16 v41, v[37:38], off
	global_load_u16 v42, v[35:36], off
	s_mov_b32 s35, exec_lo
	s_waitcnt vmcnt(0)
	v_cmpx_eq_u16_e64 v41, v42
	s_cbranch_execz .LBB731_92
; %bb.86:
	v_add_co_u32 v35, vcc_lo, v35, 2
	v_add_co_ci_u32_e32 v36, vcc_lo, 0, v36, vcc_lo
	v_add_co_u32 v37, vcc_lo, v37, 2
	v_add_co_ci_u32_e32 v38, vcc_lo, 0, v38, vcc_lo
	s_add_u32 s4, s14, -1
	s_addc_u32 s5, s15, -1
	s_mov_b64 s[6:7], 0
	s_mov_b32 s34, 0
                                        ; implicit-def: $sgpr36
	s_set_inst_prefetch_distance 0x1
	s_branch .LBB731_89
	.p2align	6
.LBB731_87:                             ;   in Loop: Header=BB731_89 Depth=1
	global_load_u16 v41, v[37:38], off
	global_load_u16 v42, v[35:36], off
	v_add_co_u32 v35, vcc_lo, v35, 2
	v_add_co_ci_u32_e32 v36, vcc_lo, 0, v36, vcc_lo
	v_add_co_u32 v37, s0, v37, 2
	s_delay_alu instid0(VALU_DEP_1)
	v_add_co_ci_u32_e64 v38, s0, 0, v38, s0
	s_add_u32 s6, s6, 1
	s_addc_u32 s7, s7, 0
	s_and_not1_b32 s0, s36, exec_lo
	s_waitcnt vmcnt(0)
	v_cmp_ne_u16_e32 vcc_lo, v41, v42
	s_and_b32 s36, vcc_lo, exec_lo
	s_delay_alu instid0(SALU_CYCLE_1)
	s_or_b32 s36, s0, s36
.LBB731_88:                             ;   in Loop: Header=BB731_89 Depth=1
	v_dual_mov_b32 v42, s7 :: v_dual_mov_b32 v41, s6
	s_and_b32 s0, exec_lo, s36
	s_delay_alu instid0(SALU_CYCLE_1) | instskip(NEXT) | instid1(SALU_CYCLE_1)
	s_or_b32 s34, s0, s34
	s_and_not1_b32 exec_lo, exec_lo, s34
	s_cbranch_execz .LBB731_91
.LBB731_89:                             ; =>This Inner Loop Header: Depth=1
	s_or_b32 s36, s36, exec_lo
	s_cmp_eq_u64 s[4:5], s[6:7]
	s_cbranch_scc0 .LBB731_87
; %bb.90:                               ;   in Loop: Header=BB731_89 Depth=1
	s_mov_b64 s[6:7], s[14:15]
                                        ; implicit-def: $vgpr35_vgpr36
                                        ; implicit-def: $vgpr37_vgpr38
	s_branch .LBB731_88
.LBB731_91:
	s_set_inst_prefetch_distance 0x2
	s_or_b32 exec_lo, exec_lo, s34
	v_cmp_gt_i64_e32 vcc_lo, s[14:15], v[41:42]
	s_or_not1_b32 s34, vcc_lo, exec_lo
.LBB731_92:
	s_or_b32 exec_lo, exec_lo, s35
.LBB731_93:
	v_mul_lo_u32 v37, v32, s14
	v_mul_lo_u32 v38, v31, s15
	v_mad_u64_u32 v[35:36], null, v31, s14, 0
	s_and_not1_b32 vcc_lo, exec_lo, s13
	s_delay_alu instid0(VALU_DEP_1) | instskip(NEXT) | instid1(VALU_DEP_1)
	v_add3_u32 v36, v36, v38, v37
	v_lshlrev_b64 v[37:38], 1, v[35:36]
	s_cbranch_vccnz .LBB731_102
; %bb.94:
	s_delay_alu instid0(VALU_DEP_1) | instskip(NEXT) | instid1(VALU_DEP_2)
	v_add_co_u32 v41, vcc_lo, s20, v37
	v_add_co_ci_u32_e32 v42, vcc_lo, s21, v38, vcc_lo
	v_add_co_u32 v35, vcc_lo, s20, v39
	v_add_co_ci_u32_e32 v36, vcc_lo, s21, v40, vcc_lo
	s_mov_b32 s27, -1
	s_clause 0x1
	global_load_u16 v39, v[41:42], off
	global_load_u16 v40, v[35:36], off
	s_mov_b32 s35, exec_lo
	s_waitcnt vmcnt(0)
	v_cmpx_eq_u16_e64 v39, v40
	s_cbranch_execz .LBB731_101
; %bb.95:
	v_add_co_u32 v35, vcc_lo, v35, 2
	v_add_co_ci_u32_e32 v36, vcc_lo, 0, v36, vcc_lo
	v_add_co_u32 v39, vcc_lo, v41, 2
	v_add_co_ci_u32_e32 v40, vcc_lo, 0, v42, vcc_lo
	s_add_u32 s4, s14, -1
	s_addc_u32 s5, s15, -1
	s_mov_b64 s[6:7], 0
	s_mov_b32 s27, 0
                                        ; implicit-def: $sgpr36
	s_set_inst_prefetch_distance 0x1
	s_branch .LBB731_98
	.p2align	6
.LBB731_96:                             ;   in Loop: Header=BB731_98 Depth=1
	global_load_u16 v41, v[39:40], off
	global_load_u16 v42, v[35:36], off
	v_add_co_u32 v35, vcc_lo, v35, 2
	v_add_co_ci_u32_e32 v36, vcc_lo, 0, v36, vcc_lo
	v_add_co_u32 v39, s0, v39, 2
	s_delay_alu instid0(VALU_DEP_1)
	v_add_co_ci_u32_e64 v40, s0, 0, v40, s0
	s_add_u32 s6, s6, 1
	s_addc_u32 s7, s7, 0
	s_and_not1_b32 s0, s36, exec_lo
	s_waitcnt vmcnt(0)
	v_cmp_ne_u16_e32 vcc_lo, v41, v42
	s_and_b32 s36, vcc_lo, exec_lo
	s_delay_alu instid0(SALU_CYCLE_1)
	s_or_b32 s36, s0, s36
.LBB731_97:                             ;   in Loop: Header=BB731_98 Depth=1
	v_dual_mov_b32 v42, s7 :: v_dual_mov_b32 v41, s6
	s_and_b32 s0, exec_lo, s36
	s_delay_alu instid0(SALU_CYCLE_1) | instskip(NEXT) | instid1(SALU_CYCLE_1)
	s_or_b32 s27, s0, s27
	s_and_not1_b32 exec_lo, exec_lo, s27
	s_cbranch_execz .LBB731_100
.LBB731_98:                             ; =>This Inner Loop Header: Depth=1
	s_or_b32 s36, s36, exec_lo
	s_cmp_eq_u64 s[4:5], s[6:7]
	s_cbranch_scc0 .LBB731_96
; %bb.99:                               ;   in Loop: Header=BB731_98 Depth=1
	s_mov_b64 s[6:7], s[14:15]
                                        ; implicit-def: $vgpr35_vgpr36
                                        ; implicit-def: $vgpr39_vgpr40
	s_branch .LBB731_97
.LBB731_100:
	s_set_inst_prefetch_distance 0x2
	s_or_b32 exec_lo, exec_lo, s27
	v_cmp_gt_i64_e32 vcc_lo, s[14:15], v[41:42]
	s_or_not1_b32 s27, vcc_lo, exec_lo
.LBB731_101:
	s_or_b32 exec_lo, exec_lo, s35
.LBB731_102:
	v_mul_lo_u32 v39, v30, s14
	v_mul_lo_u32 v40, v29, s15
	v_mad_u64_u32 v[35:36], null, v29, s14, 0
	s_and_not1_b32 vcc_lo, exec_lo, s13
	s_mov_b32 s0, 0
	s_delay_alu instid0(VALU_DEP_1) | instskip(NEXT) | instid1(VALU_DEP_1)
	v_add3_u32 v36, v36, v40, v39
	v_lshlrev_b64 v[35:36], 1, v[35:36]
	s_cbranch_vccnz .LBB731_111
; %bb.103:
	s_delay_alu instid0(VALU_DEP_1) | instskip(NEXT) | instid1(VALU_DEP_2)
	v_add_co_u32 v39, vcc_lo, s20, v35
	v_add_co_ci_u32_e32 v40, vcc_lo, s21, v36, vcc_lo
	v_add_co_u32 v37, vcc_lo, s20, v37
	v_add_co_ci_u32_e32 v38, vcc_lo, s21, v38, vcc_lo
	s_mov_b32 s0, -1
	s_clause 0x1
	global_load_u16 v41, v[39:40], off
	global_load_u16 v42, v[37:38], off
	s_mov_b32 s35, exec_lo
	s_waitcnt vmcnt(0)
	v_cmpx_eq_u16_e64 v41, v42
	s_cbranch_execz .LBB731_110
; %bb.104:
	v_add_co_u32 v37, vcc_lo, v37, 2
	v_add_co_ci_u32_e32 v38, vcc_lo, 0, v38, vcc_lo
	v_add_co_u32 v39, vcc_lo, v39, 2
	v_add_co_ci_u32_e32 v40, vcc_lo, 0, v40, vcc_lo
	s_add_u32 s4, s14, -1
	s_addc_u32 s5, s15, -1
	s_mov_b64 s[6:7], 0
	s_mov_b32 s36, 0
                                        ; implicit-def: $sgpr37
	s_set_inst_prefetch_distance 0x1
	s_branch .LBB731_107
	.p2align	6
.LBB731_105:                            ;   in Loop: Header=BB731_107 Depth=1
	global_load_u16 v41, v[39:40], off
	global_load_u16 v42, v[37:38], off
	v_add_co_u32 v37, vcc_lo, v37, 2
	v_add_co_ci_u32_e32 v38, vcc_lo, 0, v38, vcc_lo
	v_add_co_u32 v39, s0, v39, 2
	s_delay_alu instid0(VALU_DEP_1)
	v_add_co_ci_u32_e64 v40, s0, 0, v40, s0
	s_add_u32 s6, s6, 1
	s_addc_u32 s7, s7, 0
	s_and_not1_b32 s0, s37, exec_lo
	s_waitcnt vmcnt(0)
	v_cmp_ne_u16_e32 vcc_lo, v41, v42
	s_and_b32 s37, vcc_lo, exec_lo
	s_delay_alu instid0(SALU_CYCLE_1)
	s_or_b32 s37, s0, s37
.LBB731_106:                            ;   in Loop: Header=BB731_107 Depth=1
	v_dual_mov_b32 v42, s7 :: v_dual_mov_b32 v41, s6
	s_and_b32 s0, exec_lo, s37
	s_delay_alu instid0(SALU_CYCLE_1) | instskip(NEXT) | instid1(SALU_CYCLE_1)
	s_or_b32 s36, s0, s36
	s_and_not1_b32 exec_lo, exec_lo, s36
	s_cbranch_execz .LBB731_109
.LBB731_107:                            ; =>This Inner Loop Header: Depth=1
	s_or_b32 s37, s37, exec_lo
	s_cmp_eq_u64 s[4:5], s[6:7]
	s_cbranch_scc0 .LBB731_105
; %bb.108:                              ;   in Loop: Header=BB731_107 Depth=1
	s_mov_b64 s[6:7], s[14:15]
                                        ; implicit-def: $vgpr37_vgpr38
                                        ; implicit-def: $vgpr39_vgpr40
	s_branch .LBB731_106
.LBB731_109:
	s_set_inst_prefetch_distance 0x2
	s_or_b32 exec_lo, exec_lo, s36
	v_cmp_gt_i64_e32 vcc_lo, s[14:15], v[41:42]
	s_or_not1_b32 s0, vcc_lo, exec_lo
.LBB731_110:
	s_or_b32 exec_lo, exec_lo, s35
.LBB731_111:
	s_waitcnt vmcnt(0)
	v_dual_mov_b32 v38, v34 :: v_dual_mov_b32 v37, v33
	s_waitcnt lgkmcnt(0)
	s_barrier
	buffer_gl0_inv
	s_and_saveexec_b32 s4, s3
	s_cbranch_execz .LBB731_113
; %bb.112:
	v_add_nc_u32_e32 v37, -8, v55
	ds_load_b64 v[37:38], v37
.LBB731_113:
	s_or_b32 exec_lo, exec_lo, s4
	v_cndmask_b32_e64 v40, 0, 1, s34
	v_cndmask_b32_e64 v42, 0, 1, s26
	;; [unrolled: 1-line block ×7, first 2 shown]
	v_lshlrev_b16 v40, 8, v40
	v_lshlrev_b16 v42, 8, v42
	;; [unrolled: 1-line block ×4, first 2 shown]
	s_mov_b32 s1, 0
	v_or_b32_e32 v39, v39, v40
	v_or_b32_e32 v40, v41, v42
	;; [unrolled: 1-line block ×3, first 2 shown]
	v_and_b32_e32 v41, 0xffff, v45
	s_and_not1_b32 vcc_lo, exec_lo, s13
	v_lshlrev_b32_e32 v42, 16, v39
	v_and_b32_e32 v44, 0xffff, v40
	v_lshlrev_b32_e32 v45, 16, v46
	s_mov_b32 s0, 0
	s_cbranch_vccnz .LBB731_122
; %bb.114:
	s_waitcnt lgkmcnt(0)
	v_mul_lo_u32 v40, v38, s14
	v_mul_lo_u32 v46, v37, s15
	v_mad_u64_u32 v[38:39], null, v37, s14, 0
	s_mov_b32 s0, -1
	s_mov_b32 s24, exec_lo
	s_delay_alu instid0(VALU_DEP_1) | instskip(NEXT) | instid1(VALU_DEP_1)
	v_add3_u32 v39, v39, v46, v40
	v_lshlrev_b64 v[37:38], 1, v[38:39]
	s_delay_alu instid0(VALU_DEP_1) | instskip(NEXT) | instid1(VALU_DEP_2)
	v_add_co_u32 v37, vcc_lo, s20, v37
	v_add_co_ci_u32_e32 v38, vcc_lo, s21, v38, vcc_lo
	v_add_co_u32 v35, vcc_lo, s20, v35
	v_add_co_ci_u32_e32 v36, vcc_lo, s21, v36, vcc_lo
	s_clause 0x1
	global_load_u16 v39, v[37:38], off
	global_load_u16 v40, v[35:36], off
	s_waitcnt vmcnt(0)
	v_cmpx_eq_u16_e64 v39, v40
	s_cbranch_execz .LBB731_121
; %bb.115:
	v_add_co_u32 v35, vcc_lo, v35, 2
	v_add_co_ci_u32_e32 v36, vcc_lo, 0, v36, vcc_lo
	v_add_co_u32 v37, vcc_lo, v37, 2
	v_add_co_ci_u32_e32 v38, vcc_lo, 0, v38, vcc_lo
	s_add_u32 s4, s14, -1
	s_addc_u32 s5, s15, -1
	s_mov_b64 s[6:7], 0
	s_mov_b32 s25, 0
                                        ; implicit-def: $sgpr26
	s_set_inst_prefetch_distance 0x1
	s_branch .LBB731_118
	.p2align	6
.LBB731_116:                            ;   in Loop: Header=BB731_118 Depth=1
	global_load_u16 v39, v[37:38], off
	global_load_u16 v40, v[35:36], off
	v_add_co_u32 v35, vcc_lo, v35, 2
	v_add_co_ci_u32_e32 v36, vcc_lo, 0, v36, vcc_lo
	v_add_co_u32 v37, s0, v37, 2
	s_delay_alu instid0(VALU_DEP_1)
	v_add_co_ci_u32_e64 v38, s0, 0, v38, s0
	s_add_u32 s6, s6, 1
	s_addc_u32 s7, s7, 0
	s_and_not1_b32 s0, s26, exec_lo
	s_waitcnt vmcnt(0)
	v_cmp_ne_u16_e32 vcc_lo, v39, v40
	s_and_b32 s26, vcc_lo, exec_lo
	s_delay_alu instid0(SALU_CYCLE_1)
	s_or_b32 s26, s0, s26
.LBB731_117:                            ;   in Loop: Header=BB731_118 Depth=1
	v_dual_mov_b32 v40, s7 :: v_dual_mov_b32 v39, s6
	s_and_b32 s0, exec_lo, s26
	s_delay_alu instid0(SALU_CYCLE_1) | instskip(NEXT) | instid1(SALU_CYCLE_1)
	s_or_b32 s25, s0, s25
	s_and_not1_b32 exec_lo, exec_lo, s25
	s_cbranch_execz .LBB731_120
.LBB731_118:                            ; =>This Inner Loop Header: Depth=1
	s_or_b32 s26, s26, exec_lo
	s_cmp_eq_u64 s[4:5], s[6:7]
	s_cbranch_scc0 .LBB731_116
; %bb.119:                              ;   in Loop: Header=BB731_118 Depth=1
	s_mov_b64 s[6:7], s[14:15]
                                        ; implicit-def: $vgpr35_vgpr36
                                        ; implicit-def: $vgpr37_vgpr38
	s_branch .LBB731_117
.LBB731_120:
	s_set_inst_prefetch_distance 0x2
	s_or_b32 exec_lo, exec_lo, s25
	v_cmp_gt_i64_e32 vcc_lo, s[14:15], v[39:40]
	s_or_not1_b32 s0, vcc_lo, exec_lo
.LBB731_121:
	s_or_b32 exec_lo, exec_lo, s24
.LBB731_122:
	v_or_b32_e32 v35, v41, v42
	s_delay_alu instid0(VALU_DEP_2)
	v_or_b32_e32 v36, v44, v45
	s_and_b32 vcc_lo, exec_lo, s1
	s_cbranch_vccz .LBB731_214
.LBB731_123:
	v_or_b32_e32 v35, 7, v55
	s_mov_b32 s1, 0
	s_mov_b32 s24, 0
	s_mov_b32 s25, exec_lo
	s_delay_alu instid0(VALU_DEP_1)
	v_cmpx_gt_u32_e64 s31, v35
	s_cbranch_execz .LBB731_134
; %bb.124:
	s_and_not1_b32 vcc_lo, exec_lo, s13
	s_mov_b32 s0, 0
	s_cbranch_vccnz .LBB731_133
; %bb.125:
	v_mul_lo_u32 v39, v18, s14
	v_mul_lo_u32 v40, v17, s15
	v_mad_u64_u32 v[35:36], null, v17, s14, 0
	v_mul_lo_u32 v41, v20, s14
	v_mul_lo_u32 v42, v19, s15
	s_waitcnt lgkmcnt(0)
	v_mad_u64_u32 v[37:38], null, v19, s14, 0
	s_mov_b32 s0, -1
	s_mov_b32 s13, exec_lo
	s_delay_alu instid0(VALU_DEP_4) | instskip(NEXT) | instid1(VALU_DEP_2)
	v_add3_u32 v36, v36, v40, v39
	v_add3_u32 v38, v38, v42, v41
	s_delay_alu instid0(VALU_DEP_2) | instskip(NEXT) | instid1(VALU_DEP_2)
	v_lshlrev_b64 v[35:36], 1, v[35:36]
	v_lshlrev_b64 v[39:40], 1, v[37:38]
	s_delay_alu instid0(VALU_DEP_2) | instskip(NEXT) | instid1(VALU_DEP_3)
	v_add_co_u32 v37, vcc_lo, s20, v35
	v_add_co_ci_u32_e32 v38, vcc_lo, s21, v36, vcc_lo
	s_delay_alu instid0(VALU_DEP_3) | instskip(NEXT) | instid1(VALU_DEP_4)
	v_add_co_u32 v35, vcc_lo, s20, v39
	v_add_co_ci_u32_e32 v36, vcc_lo, s21, v40, vcc_lo
	s_clause 0x1
	global_load_u16 v39, v[37:38], off
	global_load_u16 v40, v[35:36], off
	s_waitcnt vmcnt(0)
	v_cmpx_eq_u16_e64 v39, v40
	s_cbranch_execz .LBB731_132
; %bb.126:
	v_add_co_u32 v35, vcc_lo, v35, 2
	v_add_co_ci_u32_e32 v36, vcc_lo, 0, v36, vcc_lo
	v_add_co_u32 v37, vcc_lo, v37, 2
	v_add_co_ci_u32_e32 v38, vcc_lo, 0, v38, vcc_lo
	s_add_u32 s4, s14, -1
	s_addc_u32 s5, s15, -1
	s_mov_b64 s[6:7], 0
                                        ; implicit-def: $sgpr26
	s_set_inst_prefetch_distance 0x1
	s_branch .LBB731_129
	.p2align	6
.LBB731_127:                            ;   in Loop: Header=BB731_129 Depth=1
	global_load_u16 v39, v[37:38], off
	global_load_u16 v40, v[35:36], off
	v_add_co_u32 v35, vcc_lo, v35, 2
	v_add_co_ci_u32_e32 v36, vcc_lo, 0, v36, vcc_lo
	v_add_co_u32 v37, s0, v37, 2
	s_delay_alu instid0(VALU_DEP_1)
	v_add_co_ci_u32_e64 v38, s0, 0, v38, s0
	s_add_u32 s6, s6, 1
	s_addc_u32 s7, s7, 0
	s_and_not1_b32 s0, s26, exec_lo
	s_waitcnt vmcnt(0)
	v_cmp_ne_u16_e32 vcc_lo, v39, v40
	s_and_b32 s26, vcc_lo, exec_lo
	s_delay_alu instid0(SALU_CYCLE_1)
	s_or_b32 s26, s0, s26
.LBB731_128:                            ;   in Loop: Header=BB731_129 Depth=1
	v_dual_mov_b32 v40, s7 :: v_dual_mov_b32 v39, s6
	s_and_b32 s0, exec_lo, s26
	s_delay_alu instid0(SALU_CYCLE_1) | instskip(NEXT) | instid1(SALU_CYCLE_1)
	s_or_b32 s24, s0, s24
	s_and_not1_b32 exec_lo, exec_lo, s24
	s_cbranch_execz .LBB731_131
.LBB731_129:                            ; =>This Inner Loop Header: Depth=1
	s_or_b32 s26, s26, exec_lo
	s_cmp_eq_u64 s[4:5], s[6:7]
	s_cbranch_scc0 .LBB731_127
; %bb.130:                              ;   in Loop: Header=BB731_129 Depth=1
	s_mov_b64 s[6:7], s[14:15]
                                        ; implicit-def: $vgpr35_vgpr36
                                        ; implicit-def: $vgpr37_vgpr38
	s_branch .LBB731_128
.LBB731_131:
	s_set_inst_prefetch_distance 0x2
	s_or_b32 exec_lo, exec_lo, s24
	v_cmp_gt_i64_e32 vcc_lo, s[14:15], v[39:40]
	s_or_not1_b32 s0, vcc_lo, exec_lo
.LBB731_132:
	s_or_b32 exec_lo, exec_lo, s13
.LBB731_133:
	s_delay_alu instid0(SALU_CYCLE_1)
	s_and_b32 s24, s0, exec_lo
.LBB731_134:
	s_or_b32 exec_lo, exec_lo, s25
	v_or_b32_e32 v35, 6, v55
	s_mov_b32 s13, exec_lo
	s_delay_alu instid0(VALU_DEP_1)
	v_cmpx_gt_u32_e64 s31, v35
	s_cbranch_execz .LBB731_145
; %bb.135:
	v_cmp_ne_u32_e32 vcc_lo, 1, v43
	s_mov_b32 s0, 0
	s_cbranch_vccnz .LBB731_144
; %bb.136:
	v_mul_lo_u32 v39, v24, s14
	v_mul_lo_u32 v40, v23, s15
	v_mad_u64_u32 v[35:36], null, v23, s14, 0
	v_mul_lo_u32 v41, v18, s14
	v_mul_lo_u32 v42, v17, s15
	s_waitcnt lgkmcnt(0)
	v_mad_u64_u32 v[37:38], null, v17, s14, 0
	s_mov_b32 s0, -1
	s_mov_b32 s1, exec_lo
	s_delay_alu instid0(VALU_DEP_4) | instskip(NEXT) | instid1(VALU_DEP_2)
	v_add3_u32 v36, v36, v40, v39
	v_add3_u32 v38, v38, v42, v41
	s_delay_alu instid0(VALU_DEP_2) | instskip(NEXT) | instid1(VALU_DEP_2)
	v_lshlrev_b64 v[35:36], 1, v[35:36]
	v_lshlrev_b64 v[39:40], 1, v[37:38]
	s_delay_alu instid0(VALU_DEP_2) | instskip(NEXT) | instid1(VALU_DEP_3)
	v_add_co_u32 v37, vcc_lo, s20, v35
	v_add_co_ci_u32_e32 v38, vcc_lo, s21, v36, vcc_lo
	s_delay_alu instid0(VALU_DEP_3) | instskip(NEXT) | instid1(VALU_DEP_4)
	v_add_co_u32 v35, vcc_lo, s20, v39
	v_add_co_ci_u32_e32 v36, vcc_lo, s21, v40, vcc_lo
	s_clause 0x1
	global_load_u16 v39, v[37:38], off
	global_load_u16 v40, v[35:36], off
	s_waitcnt vmcnt(0)
	v_cmpx_eq_u16_e64 v39, v40
	s_cbranch_execz .LBB731_143
; %bb.137:
	v_add_co_u32 v35, vcc_lo, v35, 2
	v_add_co_ci_u32_e32 v36, vcc_lo, 0, v36, vcc_lo
	v_add_co_u32 v37, vcc_lo, v37, 2
	v_add_co_ci_u32_e32 v38, vcc_lo, 0, v38, vcc_lo
	s_add_u32 s4, s14, -1
	s_addc_u32 s5, s15, -1
	s_mov_b64 s[6:7], 0
	s_mov_b32 s25, 0
                                        ; implicit-def: $sgpr26
	s_set_inst_prefetch_distance 0x1
	s_branch .LBB731_140
	.p2align	6
.LBB731_138:                            ;   in Loop: Header=BB731_140 Depth=1
	global_load_u16 v39, v[37:38], off
	global_load_u16 v40, v[35:36], off
	v_add_co_u32 v35, vcc_lo, v35, 2
	v_add_co_ci_u32_e32 v36, vcc_lo, 0, v36, vcc_lo
	v_add_co_u32 v37, s0, v37, 2
	s_delay_alu instid0(VALU_DEP_1)
	v_add_co_ci_u32_e64 v38, s0, 0, v38, s0
	s_add_u32 s6, s6, 1
	s_addc_u32 s7, s7, 0
	s_and_not1_b32 s0, s26, exec_lo
	s_waitcnt vmcnt(0)
	v_cmp_ne_u16_e32 vcc_lo, v39, v40
	s_and_b32 s26, vcc_lo, exec_lo
	s_delay_alu instid0(SALU_CYCLE_1)
	s_or_b32 s26, s0, s26
.LBB731_139:                            ;   in Loop: Header=BB731_140 Depth=1
	v_dual_mov_b32 v40, s7 :: v_dual_mov_b32 v39, s6
	s_and_b32 s0, exec_lo, s26
	s_delay_alu instid0(SALU_CYCLE_1) | instskip(NEXT) | instid1(SALU_CYCLE_1)
	s_or_b32 s25, s0, s25
	s_and_not1_b32 exec_lo, exec_lo, s25
	s_cbranch_execz .LBB731_142
.LBB731_140:                            ; =>This Inner Loop Header: Depth=1
	s_or_b32 s26, s26, exec_lo
	s_cmp_eq_u64 s[4:5], s[6:7]
	s_cbranch_scc0 .LBB731_138
; %bb.141:                              ;   in Loop: Header=BB731_140 Depth=1
	s_mov_b64 s[6:7], s[14:15]
                                        ; implicit-def: $vgpr35_vgpr36
                                        ; implicit-def: $vgpr37_vgpr38
	s_branch .LBB731_139
.LBB731_142:
	s_set_inst_prefetch_distance 0x2
	s_or_b32 exec_lo, exec_lo, s25
	v_cmp_gt_i64_e32 vcc_lo, s[14:15], v[39:40]
	s_or_not1_b32 s0, vcc_lo, exec_lo
.LBB731_143:
	s_or_b32 exec_lo, exec_lo, s1
.LBB731_144:
	s_delay_alu instid0(SALU_CYCLE_1)
	s_and_b32 s1, s0, exec_lo
.LBB731_145:
	s_or_b32 exec_lo, exec_lo, s13
	v_or_b32_e32 v35, 5, v55
	s_mov_b32 s25, 0
	s_mov_b32 s13, 0
	s_mov_b32 s26, exec_lo
	s_delay_alu instid0(VALU_DEP_1)
	v_cmpx_gt_u32_e64 s31, v35
	s_cbranch_execz .LBB731_156
; %bb.146:
	v_cmp_ne_u32_e32 vcc_lo, 1, v43
	s_mov_b32 s0, 0
	s_cbranch_vccnz .LBB731_155
; %bb.147:
	v_mul_lo_u32 v39, v22, s14
	v_mul_lo_u32 v40, v21, s15
	v_mad_u64_u32 v[35:36], null, v21, s14, 0
	v_mul_lo_u32 v41, v24, s14
	v_mul_lo_u32 v42, v23, s15
	s_waitcnt lgkmcnt(0)
	v_mad_u64_u32 v[37:38], null, v23, s14, 0
	s_mov_b32 s0, -1
	s_mov_b32 s13, exec_lo
	s_delay_alu instid0(VALU_DEP_4) | instskip(NEXT) | instid1(VALU_DEP_2)
	v_add3_u32 v36, v36, v40, v39
	v_add3_u32 v38, v38, v42, v41
	s_delay_alu instid0(VALU_DEP_2) | instskip(NEXT) | instid1(VALU_DEP_2)
	v_lshlrev_b64 v[35:36], 1, v[35:36]
	v_lshlrev_b64 v[39:40], 1, v[37:38]
	s_delay_alu instid0(VALU_DEP_2) | instskip(NEXT) | instid1(VALU_DEP_3)
	v_add_co_u32 v37, vcc_lo, s20, v35
	v_add_co_ci_u32_e32 v38, vcc_lo, s21, v36, vcc_lo
	s_delay_alu instid0(VALU_DEP_3) | instskip(NEXT) | instid1(VALU_DEP_4)
	v_add_co_u32 v35, vcc_lo, s20, v39
	v_add_co_ci_u32_e32 v36, vcc_lo, s21, v40, vcc_lo
	s_clause 0x1
	global_load_u16 v39, v[37:38], off
	global_load_u16 v40, v[35:36], off
	s_waitcnt vmcnt(0)
	v_cmpx_eq_u16_e64 v39, v40
	s_cbranch_execz .LBB731_154
; %bb.148:
	v_add_co_u32 v35, vcc_lo, v35, 2
	v_add_co_ci_u32_e32 v36, vcc_lo, 0, v36, vcc_lo
	v_add_co_u32 v37, vcc_lo, v37, 2
	v_add_co_ci_u32_e32 v38, vcc_lo, 0, v38, vcc_lo
	s_add_u32 s4, s14, -1
	s_addc_u32 s5, s15, -1
	s_mov_b64 s[6:7], 0
	s_mov_b32 s27, 0
                                        ; implicit-def: $sgpr34
	s_set_inst_prefetch_distance 0x1
	s_branch .LBB731_151
	.p2align	6
.LBB731_149:                            ;   in Loop: Header=BB731_151 Depth=1
	global_load_u16 v39, v[37:38], off
	global_load_u16 v40, v[35:36], off
	v_add_co_u32 v35, vcc_lo, v35, 2
	v_add_co_ci_u32_e32 v36, vcc_lo, 0, v36, vcc_lo
	v_add_co_u32 v37, s0, v37, 2
	s_delay_alu instid0(VALU_DEP_1)
	v_add_co_ci_u32_e64 v38, s0, 0, v38, s0
	s_add_u32 s6, s6, 1
	s_addc_u32 s7, s7, 0
	s_and_not1_b32 s0, s34, exec_lo
	s_waitcnt vmcnt(0)
	v_cmp_ne_u16_e32 vcc_lo, v39, v40
	s_and_b32 s34, vcc_lo, exec_lo
	s_delay_alu instid0(SALU_CYCLE_1)
	s_or_b32 s34, s0, s34
.LBB731_150:                            ;   in Loop: Header=BB731_151 Depth=1
	v_dual_mov_b32 v40, s7 :: v_dual_mov_b32 v39, s6
	s_and_b32 s0, exec_lo, s34
	s_delay_alu instid0(SALU_CYCLE_1) | instskip(NEXT) | instid1(SALU_CYCLE_1)
	s_or_b32 s27, s0, s27
	s_and_not1_b32 exec_lo, exec_lo, s27
	s_cbranch_execz .LBB731_153
.LBB731_151:                            ; =>This Inner Loop Header: Depth=1
	s_or_b32 s34, s34, exec_lo
	s_cmp_eq_u64 s[4:5], s[6:7]
	s_cbranch_scc0 .LBB731_149
; %bb.152:                              ;   in Loop: Header=BB731_151 Depth=1
	s_mov_b64 s[6:7], s[14:15]
                                        ; implicit-def: $vgpr35_vgpr36
                                        ; implicit-def: $vgpr37_vgpr38
	s_branch .LBB731_150
.LBB731_153:
	s_set_inst_prefetch_distance 0x2
	s_or_b32 exec_lo, exec_lo, s27
	v_cmp_gt_i64_e32 vcc_lo, s[14:15], v[39:40]
	s_or_not1_b32 s0, vcc_lo, exec_lo
.LBB731_154:
	s_or_b32 exec_lo, exec_lo, s13
.LBB731_155:
	s_delay_alu instid0(SALU_CYCLE_1)
	s_and_b32 s13, s0, exec_lo
.LBB731_156:
	s_or_b32 exec_lo, exec_lo, s26
	v_or_b32_e32 v35, 4, v55
	s_mov_b32 s26, exec_lo
	s_delay_alu instid0(VALU_DEP_1)
	v_cmpx_gt_u32_e64 s31, v35
	s_cbranch_execz .LBB731_167
; %bb.157:
	v_cmp_ne_u32_e32 vcc_lo, 1, v43
	s_mov_b32 s0, 0
	s_cbranch_vccnz .LBB731_166
; %bb.158:
	v_mul_lo_u32 v39, v28, s14
	v_mul_lo_u32 v40, v27, s15
	v_mad_u64_u32 v[35:36], null, v27, s14, 0
	v_mul_lo_u32 v41, v22, s14
	v_mul_lo_u32 v42, v21, s15
	s_waitcnt lgkmcnt(0)
	v_mad_u64_u32 v[37:38], null, v21, s14, 0
	s_mov_b32 s0, -1
	s_mov_b32 s25, exec_lo
	s_delay_alu instid0(VALU_DEP_4) | instskip(NEXT) | instid1(VALU_DEP_2)
	v_add3_u32 v36, v36, v40, v39
	v_add3_u32 v38, v38, v42, v41
	s_delay_alu instid0(VALU_DEP_2) | instskip(NEXT) | instid1(VALU_DEP_2)
	v_lshlrev_b64 v[35:36], 1, v[35:36]
	v_lshlrev_b64 v[39:40], 1, v[37:38]
	s_delay_alu instid0(VALU_DEP_2) | instskip(NEXT) | instid1(VALU_DEP_3)
	v_add_co_u32 v37, vcc_lo, s20, v35
	v_add_co_ci_u32_e32 v38, vcc_lo, s21, v36, vcc_lo
	s_delay_alu instid0(VALU_DEP_3) | instskip(NEXT) | instid1(VALU_DEP_4)
	v_add_co_u32 v35, vcc_lo, s20, v39
	v_add_co_ci_u32_e32 v36, vcc_lo, s21, v40, vcc_lo
	s_clause 0x1
	global_load_u16 v39, v[37:38], off
	global_load_u16 v40, v[35:36], off
	s_waitcnt vmcnt(0)
	v_cmpx_eq_u16_e64 v39, v40
	s_cbranch_execz .LBB731_165
; %bb.159:
	v_add_co_u32 v35, vcc_lo, v35, 2
	v_add_co_ci_u32_e32 v36, vcc_lo, 0, v36, vcc_lo
	v_add_co_u32 v37, vcc_lo, v37, 2
	v_add_co_ci_u32_e32 v38, vcc_lo, 0, v38, vcc_lo
	s_add_u32 s4, s14, -1
	s_addc_u32 s5, s15, -1
	s_mov_b64 s[6:7], 0
	s_mov_b32 s27, 0
                                        ; implicit-def: $sgpr34
	s_set_inst_prefetch_distance 0x1
	s_branch .LBB731_162
	.p2align	6
.LBB731_160:                            ;   in Loop: Header=BB731_162 Depth=1
	global_load_u16 v39, v[37:38], off
	global_load_u16 v40, v[35:36], off
	v_add_co_u32 v35, vcc_lo, v35, 2
	v_add_co_ci_u32_e32 v36, vcc_lo, 0, v36, vcc_lo
	v_add_co_u32 v37, s0, v37, 2
	s_delay_alu instid0(VALU_DEP_1)
	v_add_co_ci_u32_e64 v38, s0, 0, v38, s0
	s_add_u32 s6, s6, 1
	s_addc_u32 s7, s7, 0
	s_and_not1_b32 s0, s34, exec_lo
	s_waitcnt vmcnt(0)
	v_cmp_ne_u16_e32 vcc_lo, v39, v40
	s_and_b32 s34, vcc_lo, exec_lo
	s_delay_alu instid0(SALU_CYCLE_1)
	s_or_b32 s34, s0, s34
.LBB731_161:                            ;   in Loop: Header=BB731_162 Depth=1
	v_dual_mov_b32 v40, s7 :: v_dual_mov_b32 v39, s6
	s_and_b32 s0, exec_lo, s34
	s_delay_alu instid0(SALU_CYCLE_1) | instskip(NEXT) | instid1(SALU_CYCLE_1)
	s_or_b32 s27, s0, s27
	s_and_not1_b32 exec_lo, exec_lo, s27
	s_cbranch_execz .LBB731_164
.LBB731_162:                            ; =>This Inner Loop Header: Depth=1
	s_or_b32 s34, s34, exec_lo
	s_cmp_eq_u64 s[4:5], s[6:7]
	s_cbranch_scc0 .LBB731_160
; %bb.163:                              ;   in Loop: Header=BB731_162 Depth=1
	s_mov_b64 s[6:7], s[14:15]
                                        ; implicit-def: $vgpr35_vgpr36
                                        ; implicit-def: $vgpr37_vgpr38
	s_branch .LBB731_161
.LBB731_164:
	s_set_inst_prefetch_distance 0x2
	s_or_b32 exec_lo, exec_lo, s27
	v_cmp_gt_i64_e32 vcc_lo, s[14:15], v[39:40]
	s_or_not1_b32 s0, vcc_lo, exec_lo
.LBB731_165:
	s_or_b32 exec_lo, exec_lo, s25
.LBB731_166:
	s_delay_alu instid0(SALU_CYCLE_1)
	s_and_b32 s25, s0, exec_lo
.LBB731_167:
	s_or_b32 exec_lo, exec_lo, s26
	v_or_b32_e32 v35, 3, v55
	s_mov_b32 s27, 0
	s_mov_b32 s26, 0
	s_mov_b32 s34, exec_lo
	s_delay_alu instid0(VALU_DEP_1)
	v_cmpx_gt_u32_e64 s31, v35
	s_cbranch_execz .LBB731_178
; %bb.168:
	v_cmp_ne_u32_e32 vcc_lo, 1, v43
	s_mov_b32 s0, 0
	s_cbranch_vccnz .LBB731_177
; %bb.169:
	v_mul_lo_u32 v39, v26, s14
	v_mul_lo_u32 v40, v25, s15
	v_mad_u64_u32 v[35:36], null, v25, s14, 0
	v_mul_lo_u32 v41, v28, s14
	v_mul_lo_u32 v42, v27, s15
	s_waitcnt lgkmcnt(0)
	v_mad_u64_u32 v[37:38], null, v27, s14, 0
	s_mov_b32 s0, -1
	s_mov_b32 s26, exec_lo
	s_delay_alu instid0(VALU_DEP_4) | instskip(NEXT) | instid1(VALU_DEP_2)
	v_add3_u32 v36, v36, v40, v39
	v_add3_u32 v38, v38, v42, v41
	s_delay_alu instid0(VALU_DEP_2) | instskip(NEXT) | instid1(VALU_DEP_2)
	v_lshlrev_b64 v[35:36], 1, v[35:36]
	v_lshlrev_b64 v[39:40], 1, v[37:38]
	s_delay_alu instid0(VALU_DEP_2) | instskip(NEXT) | instid1(VALU_DEP_3)
	v_add_co_u32 v37, vcc_lo, s20, v35
	v_add_co_ci_u32_e32 v38, vcc_lo, s21, v36, vcc_lo
	s_delay_alu instid0(VALU_DEP_3) | instskip(NEXT) | instid1(VALU_DEP_4)
	v_add_co_u32 v35, vcc_lo, s20, v39
	v_add_co_ci_u32_e32 v36, vcc_lo, s21, v40, vcc_lo
	s_clause 0x1
	global_load_u16 v39, v[37:38], off
	global_load_u16 v40, v[35:36], off
	s_waitcnt vmcnt(0)
	v_cmpx_eq_u16_e64 v39, v40
	s_cbranch_execz .LBB731_176
; %bb.170:
	v_add_co_u32 v35, vcc_lo, v35, 2
	v_add_co_ci_u32_e32 v36, vcc_lo, 0, v36, vcc_lo
	v_add_co_u32 v37, vcc_lo, v37, 2
	v_add_co_ci_u32_e32 v38, vcc_lo, 0, v38, vcc_lo
	s_add_u32 s4, s14, -1
	s_addc_u32 s5, s15, -1
	s_mov_b64 s[6:7], 0
	s_mov_b32 s35, 0
                                        ; implicit-def: $sgpr36
	s_set_inst_prefetch_distance 0x1
	s_branch .LBB731_173
	.p2align	6
.LBB731_171:                            ;   in Loop: Header=BB731_173 Depth=1
	global_load_u16 v39, v[37:38], off
	global_load_u16 v40, v[35:36], off
	v_add_co_u32 v35, vcc_lo, v35, 2
	v_add_co_ci_u32_e32 v36, vcc_lo, 0, v36, vcc_lo
	v_add_co_u32 v37, s0, v37, 2
	s_delay_alu instid0(VALU_DEP_1)
	v_add_co_ci_u32_e64 v38, s0, 0, v38, s0
	s_add_u32 s6, s6, 1
	s_addc_u32 s7, s7, 0
	s_and_not1_b32 s0, s36, exec_lo
	s_waitcnt vmcnt(0)
	v_cmp_ne_u16_e32 vcc_lo, v39, v40
	s_and_b32 s36, vcc_lo, exec_lo
	s_delay_alu instid0(SALU_CYCLE_1)
	s_or_b32 s36, s0, s36
.LBB731_172:                            ;   in Loop: Header=BB731_173 Depth=1
	v_dual_mov_b32 v40, s7 :: v_dual_mov_b32 v39, s6
	s_and_b32 s0, exec_lo, s36
	s_delay_alu instid0(SALU_CYCLE_1) | instskip(NEXT) | instid1(SALU_CYCLE_1)
	s_or_b32 s35, s0, s35
	s_and_not1_b32 exec_lo, exec_lo, s35
	s_cbranch_execz .LBB731_175
.LBB731_173:                            ; =>This Inner Loop Header: Depth=1
	s_or_b32 s36, s36, exec_lo
	s_cmp_eq_u64 s[4:5], s[6:7]
	s_cbranch_scc0 .LBB731_171
; %bb.174:                              ;   in Loop: Header=BB731_173 Depth=1
	s_mov_b64 s[6:7], s[14:15]
                                        ; implicit-def: $vgpr35_vgpr36
                                        ; implicit-def: $vgpr37_vgpr38
	s_branch .LBB731_172
.LBB731_175:
	s_set_inst_prefetch_distance 0x2
	s_or_b32 exec_lo, exec_lo, s35
	v_cmp_gt_i64_e32 vcc_lo, s[14:15], v[39:40]
	s_or_not1_b32 s0, vcc_lo, exec_lo
.LBB731_176:
	s_or_b32 exec_lo, exec_lo, s26
.LBB731_177:
	s_delay_alu instid0(SALU_CYCLE_1)
	s_and_b32 s26, s0, exec_lo
.LBB731_178:
	s_or_b32 exec_lo, exec_lo, s34
	v_or_b32_e32 v35, 2, v55
	s_mov_b32 s34, exec_lo
	s_delay_alu instid0(VALU_DEP_1)
	v_cmpx_gt_u32_e64 s31, v35
	s_cbranch_execz .LBB731_189
; %bb.179:
	v_cmp_ne_u32_e32 vcc_lo, 1, v43
	s_mov_b32 s0, 0
	s_cbranch_vccnz .LBB731_188
; %bb.180:
	v_mul_lo_u32 v39, v32, s14
	v_mul_lo_u32 v40, v31, s15
	v_mad_u64_u32 v[35:36], null, v31, s14, 0
	v_mul_lo_u32 v41, v26, s14
	v_mul_lo_u32 v42, v25, s15
	s_waitcnt lgkmcnt(0)
	v_mad_u64_u32 v[37:38], null, v25, s14, 0
	s_mov_b32 s0, -1
	s_mov_b32 s27, exec_lo
	s_delay_alu instid0(VALU_DEP_4) | instskip(NEXT) | instid1(VALU_DEP_2)
	v_add3_u32 v36, v36, v40, v39
	v_add3_u32 v38, v38, v42, v41
	s_delay_alu instid0(VALU_DEP_2) | instskip(NEXT) | instid1(VALU_DEP_2)
	v_lshlrev_b64 v[35:36], 1, v[35:36]
	v_lshlrev_b64 v[39:40], 1, v[37:38]
	s_delay_alu instid0(VALU_DEP_2) | instskip(NEXT) | instid1(VALU_DEP_3)
	v_add_co_u32 v37, vcc_lo, s20, v35
	v_add_co_ci_u32_e32 v38, vcc_lo, s21, v36, vcc_lo
	s_delay_alu instid0(VALU_DEP_3) | instskip(NEXT) | instid1(VALU_DEP_4)
	v_add_co_u32 v35, vcc_lo, s20, v39
	v_add_co_ci_u32_e32 v36, vcc_lo, s21, v40, vcc_lo
	s_clause 0x1
	global_load_u16 v39, v[37:38], off
	global_load_u16 v40, v[35:36], off
	s_waitcnt vmcnt(0)
	v_cmpx_eq_u16_e64 v39, v40
	s_cbranch_execz .LBB731_187
; %bb.181:
	v_add_co_u32 v35, vcc_lo, v35, 2
	v_add_co_ci_u32_e32 v36, vcc_lo, 0, v36, vcc_lo
	v_add_co_u32 v37, vcc_lo, v37, 2
	v_add_co_ci_u32_e32 v38, vcc_lo, 0, v38, vcc_lo
	s_add_u32 s4, s14, -1
	s_addc_u32 s5, s15, -1
	s_mov_b64 s[6:7], 0
	s_mov_b32 s35, 0
                                        ; implicit-def: $sgpr36
	s_set_inst_prefetch_distance 0x1
	s_branch .LBB731_184
	.p2align	6
.LBB731_182:                            ;   in Loop: Header=BB731_184 Depth=1
	global_load_u16 v39, v[37:38], off
	global_load_u16 v40, v[35:36], off
	v_add_co_u32 v35, vcc_lo, v35, 2
	v_add_co_ci_u32_e32 v36, vcc_lo, 0, v36, vcc_lo
	v_add_co_u32 v37, s0, v37, 2
	s_delay_alu instid0(VALU_DEP_1)
	v_add_co_ci_u32_e64 v38, s0, 0, v38, s0
	s_add_u32 s6, s6, 1
	s_addc_u32 s7, s7, 0
	s_and_not1_b32 s0, s36, exec_lo
	s_waitcnt vmcnt(0)
	v_cmp_ne_u16_e32 vcc_lo, v39, v40
	s_and_b32 s36, vcc_lo, exec_lo
	s_delay_alu instid0(SALU_CYCLE_1)
	s_or_b32 s36, s0, s36
.LBB731_183:                            ;   in Loop: Header=BB731_184 Depth=1
	v_dual_mov_b32 v40, s7 :: v_dual_mov_b32 v39, s6
	s_and_b32 s0, exec_lo, s36
	s_delay_alu instid0(SALU_CYCLE_1) | instskip(NEXT) | instid1(SALU_CYCLE_1)
	s_or_b32 s35, s0, s35
	s_and_not1_b32 exec_lo, exec_lo, s35
	s_cbranch_execz .LBB731_186
.LBB731_184:                            ; =>This Inner Loop Header: Depth=1
	s_or_b32 s36, s36, exec_lo
	s_cmp_eq_u64 s[4:5], s[6:7]
	s_cbranch_scc0 .LBB731_182
; %bb.185:                              ;   in Loop: Header=BB731_184 Depth=1
	s_mov_b64 s[6:7], s[14:15]
                                        ; implicit-def: $vgpr35_vgpr36
                                        ; implicit-def: $vgpr37_vgpr38
	s_branch .LBB731_183
.LBB731_186:
	s_set_inst_prefetch_distance 0x2
	s_or_b32 exec_lo, exec_lo, s35
	v_cmp_gt_i64_e32 vcc_lo, s[14:15], v[39:40]
	s_or_not1_b32 s0, vcc_lo, exec_lo
.LBB731_187:
	s_or_b32 exec_lo, exec_lo, s27
.LBB731_188:
	s_delay_alu instid0(SALU_CYCLE_1)
	s_and_b32 s27, s0, exec_lo
.LBB731_189:
	s_or_b32 exec_lo, exec_lo, s34
	v_or_b32_e32 v35, 1, v55
	s_mov_b32 s0, 0
	s_mov_b32 s34, exec_lo
	s_delay_alu instid0(VALU_DEP_1)
	v_cmpx_gt_u32_e64 s31, v35
	s_cbranch_execz .LBB731_200
; %bb.190:
	v_cmp_ne_u32_e32 vcc_lo, 1, v43
	s_cbranch_vccnz .LBB731_199
; %bb.191:
	v_mul_lo_u32 v39, v30, s14
	v_mul_lo_u32 v40, v29, s15
	v_mad_u64_u32 v[35:36], null, v29, s14, 0
	v_mul_lo_u32 v41, v32, s14
	v_mul_lo_u32 v42, v31, s15
	s_waitcnt lgkmcnt(0)
	v_mad_u64_u32 v[37:38], null, v31, s14, 0
	s_mov_b32 s0, -1
	s_mov_b32 s35, exec_lo
	s_delay_alu instid0(VALU_DEP_4) | instskip(NEXT) | instid1(VALU_DEP_2)
	v_add3_u32 v36, v36, v40, v39
	v_add3_u32 v38, v38, v42, v41
	s_delay_alu instid0(VALU_DEP_2) | instskip(NEXT) | instid1(VALU_DEP_2)
	v_lshlrev_b64 v[35:36], 1, v[35:36]
	v_lshlrev_b64 v[39:40], 1, v[37:38]
	s_delay_alu instid0(VALU_DEP_2) | instskip(NEXT) | instid1(VALU_DEP_3)
	v_add_co_u32 v37, vcc_lo, s20, v35
	v_add_co_ci_u32_e32 v38, vcc_lo, s21, v36, vcc_lo
	s_delay_alu instid0(VALU_DEP_3) | instskip(NEXT) | instid1(VALU_DEP_4)
	v_add_co_u32 v35, vcc_lo, s20, v39
	v_add_co_ci_u32_e32 v36, vcc_lo, s21, v40, vcc_lo
	s_clause 0x1
	global_load_u16 v39, v[37:38], off
	global_load_u16 v40, v[35:36], off
	s_waitcnt vmcnt(0)
	v_cmpx_eq_u16_e64 v39, v40
	s_cbranch_execz .LBB731_198
; %bb.192:
	v_add_co_u32 v35, vcc_lo, v35, 2
	v_add_co_ci_u32_e32 v36, vcc_lo, 0, v36, vcc_lo
	v_add_co_u32 v37, vcc_lo, v37, 2
	v_add_co_ci_u32_e32 v38, vcc_lo, 0, v38, vcc_lo
	s_add_u32 s4, s14, -1
	s_addc_u32 s5, s15, -1
	s_mov_b64 s[6:7], 0
	s_mov_b32 s36, 0
                                        ; implicit-def: $sgpr37
	s_set_inst_prefetch_distance 0x1
	s_branch .LBB731_195
	.p2align	6
.LBB731_193:                            ;   in Loop: Header=BB731_195 Depth=1
	global_load_u16 v39, v[37:38], off
	global_load_u16 v40, v[35:36], off
	v_add_co_u32 v35, vcc_lo, v35, 2
	v_add_co_ci_u32_e32 v36, vcc_lo, 0, v36, vcc_lo
	v_add_co_u32 v37, s0, v37, 2
	s_delay_alu instid0(VALU_DEP_1)
	v_add_co_ci_u32_e64 v38, s0, 0, v38, s0
	s_add_u32 s6, s6, 1
	s_addc_u32 s7, s7, 0
	s_and_not1_b32 s0, s37, exec_lo
	s_waitcnt vmcnt(0)
	v_cmp_ne_u16_e32 vcc_lo, v39, v40
	s_and_b32 s37, vcc_lo, exec_lo
	s_delay_alu instid0(SALU_CYCLE_1)
	s_or_b32 s37, s0, s37
.LBB731_194:                            ;   in Loop: Header=BB731_195 Depth=1
	v_dual_mov_b32 v40, s7 :: v_dual_mov_b32 v39, s6
	s_and_b32 s0, exec_lo, s37
	s_delay_alu instid0(SALU_CYCLE_1) | instskip(NEXT) | instid1(SALU_CYCLE_1)
	s_or_b32 s36, s0, s36
	s_and_not1_b32 exec_lo, exec_lo, s36
	s_cbranch_execz .LBB731_197
.LBB731_195:                            ; =>This Inner Loop Header: Depth=1
	s_or_b32 s37, s37, exec_lo
	s_cmp_eq_u64 s[4:5], s[6:7]
	s_cbranch_scc0 .LBB731_193
; %bb.196:                              ;   in Loop: Header=BB731_195 Depth=1
	s_mov_b64 s[6:7], s[14:15]
                                        ; implicit-def: $vgpr35_vgpr36
                                        ; implicit-def: $vgpr37_vgpr38
	s_branch .LBB731_194
.LBB731_197:
	s_set_inst_prefetch_distance 0x2
	s_or_b32 exec_lo, exec_lo, s36
	v_cmp_gt_i64_e32 vcc_lo, s[14:15], v[39:40]
	s_or_not1_b32 s0, vcc_lo, exec_lo
.LBB731_198:
	s_or_b32 exec_lo, exec_lo, s35
.LBB731_199:
	s_delay_alu instid0(SALU_CYCLE_1)
	s_and_b32 s0, s0, exec_lo
.LBB731_200:
	s_or_b32 exec_lo, exec_lo, s34
	s_waitcnt vmcnt(0) lgkmcnt(0)
	s_barrier
	buffer_gl0_inv
	s_and_saveexec_b32 s4, s3
	s_cbranch_execz .LBB731_202
; %bb.201:
	v_add_nc_u32_e32 v33, -8, v55
	ds_load_b64 v[33:34], v33
.LBB731_202:
	s_or_b32 exec_lo, exec_lo, s4
	v_cndmask_b32_e64 v36, 0, 1, s26
	v_cndmask_b32_e64 v38, 0, 1, s13
	;; [unrolled: 1-line block ×7, first 2 shown]
	v_lshlrev_b16 v36, 8, v36
	v_lshlrev_b16 v38, 8, v38
	;; [unrolled: 1-line block ×3, first 2 shown]
	s_mov_b32 s0, 0
	v_lshlrev_b16 v41, 8, v41
	v_or_b32_e32 v35, v35, v36
	v_or_b32_e32 v36, v37, v38
	;; [unrolled: 1-line block ×3, first 2 shown]
	s_mov_b32 s1, exec_lo
	v_and_b32_e32 v39, 0xffff, v41
	v_lshlrev_b32_e32 v40, 16, v35
	v_and_b32_e32 v41, 0xffff, v36
	v_lshlrev_b32_e32 v42, 16, v37
	v_cmpx_gt_u32_e64 s31, v55
	s_cbranch_execz .LBB731_213
; %bb.203:
	v_cmp_ne_u32_e32 vcc_lo, 1, v43
	s_cbranch_vccnz .LBB731_212
; %bb.204:
	s_waitcnt lgkmcnt(0)
	v_mul_lo_u32 v38, v34, s14
	v_mul_lo_u32 v43, v33, s15
	v_mad_u64_u32 v[34:35], null, v33, s14, 0
	v_mul_lo_u32 v33, v30, s14
	v_mul_lo_u32 v44, v29, s15
	v_mad_u64_u32 v[36:37], null, v29, s14, 0
	s_mov_b32 s0, -1
	s_mov_b32 s13, exec_lo
	s_delay_alu instid0(VALU_DEP_4) | instskip(NEXT) | instid1(VALU_DEP_2)
	v_add3_u32 v35, v35, v43, v38
	v_add3_u32 v37, v37, v44, v33
	s_delay_alu instid0(VALU_DEP_2) | instskip(NEXT) | instid1(VALU_DEP_2)
	v_lshlrev_b64 v[33:34], 1, v[34:35]
	v_lshlrev_b64 v[37:38], 1, v[36:37]
	s_delay_alu instid0(VALU_DEP_2) | instskip(NEXT) | instid1(VALU_DEP_3)
	v_add_co_u32 v35, vcc_lo, s20, v33
	v_add_co_ci_u32_e32 v36, vcc_lo, s21, v34, vcc_lo
	s_delay_alu instid0(VALU_DEP_3) | instskip(NEXT) | instid1(VALU_DEP_4)
	v_add_co_u32 v33, vcc_lo, s20, v37
	v_add_co_ci_u32_e32 v34, vcc_lo, s21, v38, vcc_lo
	s_clause 0x1
	global_load_u16 v37, v[35:36], off
	global_load_u16 v38, v[33:34], off
	s_waitcnt vmcnt(0)
	v_cmpx_eq_u16_e64 v37, v38
	s_cbranch_execz .LBB731_211
; %bb.205:
	v_add_co_u32 v33, vcc_lo, v33, 2
	v_add_co_ci_u32_e32 v34, vcc_lo, 0, v34, vcc_lo
	v_add_co_u32 v35, vcc_lo, v35, 2
	v_add_co_ci_u32_e32 v36, vcc_lo, 0, v36, vcc_lo
	s_add_u32 s4, s14, -1
	s_addc_u32 s5, s15, -1
	s_mov_b64 s[6:7], 0
	s_mov_b32 s24, 0
                                        ; implicit-def: $sgpr25
	s_set_inst_prefetch_distance 0x1
	s_branch .LBB731_208
	.p2align	6
.LBB731_206:                            ;   in Loop: Header=BB731_208 Depth=1
	global_load_u16 v37, v[35:36], off
	global_load_u16 v38, v[33:34], off
	v_add_co_u32 v33, vcc_lo, v33, 2
	v_add_co_ci_u32_e32 v34, vcc_lo, 0, v34, vcc_lo
	v_add_co_u32 v35, s0, v35, 2
	s_delay_alu instid0(VALU_DEP_1)
	v_add_co_ci_u32_e64 v36, s0, 0, v36, s0
	s_add_u32 s6, s6, 1
	s_addc_u32 s7, s7, 0
	s_and_not1_b32 s0, s25, exec_lo
	s_waitcnt vmcnt(0)
	v_cmp_ne_u16_e32 vcc_lo, v37, v38
	s_and_b32 s25, vcc_lo, exec_lo
	s_delay_alu instid0(SALU_CYCLE_1)
	s_or_b32 s25, s0, s25
.LBB731_207:                            ;   in Loop: Header=BB731_208 Depth=1
	v_dual_mov_b32 v38, s7 :: v_dual_mov_b32 v37, s6
	s_and_b32 s0, exec_lo, s25
	s_delay_alu instid0(SALU_CYCLE_1) | instskip(NEXT) | instid1(SALU_CYCLE_1)
	s_or_b32 s24, s0, s24
	s_and_not1_b32 exec_lo, exec_lo, s24
	s_cbranch_execz .LBB731_210
.LBB731_208:                            ; =>This Inner Loop Header: Depth=1
	s_or_b32 s25, s25, exec_lo
	s_cmp_eq_u64 s[4:5], s[6:7]
	s_cbranch_scc0 .LBB731_206
; %bb.209:                              ;   in Loop: Header=BB731_208 Depth=1
	s_mov_b64 s[6:7], s[14:15]
                                        ; implicit-def: $vgpr33_vgpr34
                                        ; implicit-def: $vgpr35_vgpr36
	s_branch .LBB731_207
.LBB731_210:
	s_set_inst_prefetch_distance 0x2
	s_or_b32 exec_lo, exec_lo, s24
	v_cmp_gt_i64_e32 vcc_lo, s[14:15], v[37:38]
	s_or_not1_b32 s0, vcc_lo, exec_lo
.LBB731_211:
	s_or_b32 exec_lo, exec_lo, s13
.LBB731_212:
	s_delay_alu instid0(SALU_CYCLE_1)
	s_and_b32 s0, s0, exec_lo
.LBB731_213:
	s_or_b32 exec_lo, exec_lo, s1
	v_or_b32_e32 v35, v39, v40
	v_or_b32_e32 v36, v41, v42
.LBB731_214:
	s_mov_b32 s1, -1
	s_cbranch_execnz .LBB731_383
.LBB731_215:
	v_cmp_gt_i64_e64 s13, s[14:15], 0
	s_and_b32 vcc_lo, exec_lo, s29
	ds_store_b64 v55, v[19:20]
	s_cbranch_vccz .LBB731_223
; %bb.216:
	v_mul_lo_u32 v35, v18, s14
	v_mul_lo_u32 v36, v17, s15
	s_waitcnt vmcnt(0) lgkmcnt(1)
	v_mad_u64_u32 v[33:34], null, v17, s14, 0
	s_mov_b32 s24, 0
	s_and_not1_b32 vcc_lo, exec_lo, s13
	s_mov_b32 s25, 0
	s_delay_alu instid0(VALU_DEP_1) | instskip(NEXT) | instid1(VALU_DEP_1)
	v_add3_u32 v34, v34, v36, v35
	v_lshlrev_b64 v[33:34], 1, v[33:34]
	s_cbranch_vccnz .LBB731_226
; %bb.217:
	v_mul_lo_u32 v37, v20, s14
	v_mul_lo_u32 v38, v19, s15
	v_mad_u64_u32 v[35:36], null, v19, s14, 0
	s_mov_b32 s25, -1
	s_mov_b32 s26, exec_lo
	s_delay_alu instid0(VALU_DEP_1) | instskip(SKIP_2) | instid1(VALU_DEP_3)
	v_add3_u32 v36, v36, v38, v37
	v_add_co_u32 v37, vcc_lo, s20, v33
	v_add_co_ci_u32_e32 v38, vcc_lo, s21, v34, vcc_lo
	v_lshlrev_b64 v[35:36], 1, v[35:36]
	s_delay_alu instid0(VALU_DEP_1) | instskip(NEXT) | instid1(VALU_DEP_2)
	v_add_co_u32 v35, vcc_lo, s20, v35
	v_add_co_ci_u32_e32 v36, vcc_lo, s21, v36, vcc_lo
	s_clause 0x1
	global_load_u16 v39, v[37:38], off
	global_load_u16 v40, v[35:36], off
	s_waitcnt vmcnt(0)
	v_cmpx_eq_u16_e64 v39, v40
	s_cbranch_execz .LBB731_225
; %bb.218:
	v_add_co_u32 v35, vcc_lo, v35, 2
	v_add_co_ci_u32_e32 v36, vcc_lo, 0, v36, vcc_lo
	v_add_co_u32 v37, vcc_lo, v37, 2
	v_add_co_ci_u32_e32 v38, vcc_lo, 0, v38, vcc_lo
	s_add_u32 s4, s14, -1
	s_addc_u32 s5, s15, -1
	s_mov_b64 s[6:7], 0
	s_mov_b32 s25, 0
                                        ; implicit-def: $sgpr27
	s_set_inst_prefetch_distance 0x1
	s_branch .LBB731_221
	.p2align	6
.LBB731_219:                            ;   in Loop: Header=BB731_221 Depth=1
	global_load_u16 v39, v[37:38], off
	global_load_u16 v40, v[35:36], off
	v_add_co_u32 v35, vcc_lo, v35, 2
	v_add_co_ci_u32_e32 v36, vcc_lo, 0, v36, vcc_lo
	v_add_co_u32 v37, s0, v37, 2
	s_delay_alu instid0(VALU_DEP_1)
	v_add_co_ci_u32_e64 v38, s0, 0, v38, s0
	s_add_u32 s6, s6, 1
	s_addc_u32 s7, s7, 0
	s_and_not1_b32 s0, s27, exec_lo
	s_waitcnt vmcnt(0)
	v_cmp_ne_u16_e32 vcc_lo, v39, v40
	s_and_b32 s27, vcc_lo, exec_lo
	s_delay_alu instid0(SALU_CYCLE_1)
	s_or_b32 s27, s0, s27
.LBB731_220:                            ;   in Loop: Header=BB731_221 Depth=1
	v_dual_mov_b32 v40, s7 :: v_dual_mov_b32 v39, s6
	s_and_b32 s0, exec_lo, s27
	s_delay_alu instid0(SALU_CYCLE_1) | instskip(NEXT) | instid1(SALU_CYCLE_1)
	s_or_b32 s25, s0, s25
	s_and_not1_b32 exec_lo, exec_lo, s25
	s_cbranch_execz .LBB731_224
.LBB731_221:                            ; =>This Inner Loop Header: Depth=1
	s_or_b32 s27, s27, exec_lo
	s_cmp_eq_u64 s[4:5], s[6:7]
	s_cbranch_scc0 .LBB731_219
; %bb.222:                              ;   in Loop: Header=BB731_221 Depth=1
	s_mov_b64 s[6:7], s[14:15]
                                        ; implicit-def: $vgpr35_vgpr36
                                        ; implicit-def: $vgpr37_vgpr38
	s_branch .LBB731_220
.LBB731_223:
                                        ; implicit-def: $sgpr0
                                        ; implicit-def: $vgpr36
	s_cbranch_execnz .LBB731_292
	s_branch .LBB731_383
.LBB731_224:
	s_set_inst_prefetch_distance 0x2
	s_or_b32 exec_lo, exec_lo, s25
	v_cmp_gt_i64_e32 vcc_lo, s[14:15], v[39:40]
	s_or_not1_b32 s25, vcc_lo, exec_lo
.LBB731_225:
	s_or_b32 exec_lo, exec_lo, s26
.LBB731_226:
	v_mul_lo_u32 v37, v24, s14
	v_mul_lo_u32 v38, v23, s15
	v_mad_u64_u32 v[35:36], null, v23, s14, 0
	s_and_not1_b32 vcc_lo, exec_lo, s13
	s_delay_alu instid0(VALU_DEP_1) | instskip(NEXT) | instid1(VALU_DEP_1)
	v_add3_u32 v36, v36, v38, v37
	v_lshlrev_b64 v[35:36], 1, v[35:36]
	s_cbranch_vccnz .LBB731_235
; %bb.227:
	s_delay_alu instid0(VALU_DEP_1) | instskip(NEXT) | instid1(VALU_DEP_2)
	v_add_co_u32 v37, vcc_lo, s20, v35
	v_add_co_ci_u32_e32 v38, vcc_lo, s21, v36, vcc_lo
	v_add_co_u32 v33, vcc_lo, s20, v33
	v_add_co_ci_u32_e32 v34, vcc_lo, s21, v34, vcc_lo
	s_mov_b32 s24, -1
	s_clause 0x1
	global_load_u16 v39, v[37:38], off
	global_load_u16 v40, v[33:34], off
	s_mov_b32 s26, exec_lo
	s_waitcnt vmcnt(0)
	v_cmpx_eq_u16_e64 v39, v40
	s_cbranch_execz .LBB731_234
; %bb.228:
	v_add_co_u32 v33, vcc_lo, v33, 2
	v_add_co_ci_u32_e32 v34, vcc_lo, 0, v34, vcc_lo
	v_add_co_u32 v37, vcc_lo, v37, 2
	v_add_co_ci_u32_e32 v38, vcc_lo, 0, v38, vcc_lo
	s_add_u32 s4, s14, -1
	s_addc_u32 s5, s15, -1
	s_mov_b64 s[6:7], 0
	s_mov_b32 s24, 0
                                        ; implicit-def: $sgpr27
	s_set_inst_prefetch_distance 0x1
	s_branch .LBB731_231
	.p2align	6
.LBB731_229:                            ;   in Loop: Header=BB731_231 Depth=1
	global_load_u16 v39, v[37:38], off
	global_load_u16 v40, v[33:34], off
	v_add_co_u32 v33, vcc_lo, v33, 2
	v_add_co_ci_u32_e32 v34, vcc_lo, 0, v34, vcc_lo
	v_add_co_u32 v37, s0, v37, 2
	s_delay_alu instid0(VALU_DEP_1)
	v_add_co_ci_u32_e64 v38, s0, 0, v38, s0
	s_add_u32 s6, s6, 1
	s_addc_u32 s7, s7, 0
	s_and_not1_b32 s0, s27, exec_lo
	s_waitcnt vmcnt(0)
	v_cmp_ne_u16_e32 vcc_lo, v39, v40
	s_and_b32 s27, vcc_lo, exec_lo
	s_delay_alu instid0(SALU_CYCLE_1)
	s_or_b32 s27, s0, s27
.LBB731_230:                            ;   in Loop: Header=BB731_231 Depth=1
	v_dual_mov_b32 v40, s7 :: v_dual_mov_b32 v39, s6
	s_and_b32 s0, exec_lo, s27
	s_delay_alu instid0(SALU_CYCLE_1) | instskip(NEXT) | instid1(SALU_CYCLE_1)
	s_or_b32 s24, s0, s24
	s_and_not1_b32 exec_lo, exec_lo, s24
	s_cbranch_execz .LBB731_233
.LBB731_231:                            ; =>This Inner Loop Header: Depth=1
	s_or_b32 s27, s27, exec_lo
	s_cmp_eq_u64 s[4:5], s[6:7]
	s_cbranch_scc0 .LBB731_229
; %bb.232:                              ;   in Loop: Header=BB731_231 Depth=1
	s_mov_b64 s[6:7], s[14:15]
                                        ; implicit-def: $vgpr33_vgpr34
                                        ; implicit-def: $vgpr37_vgpr38
	s_branch .LBB731_230
.LBB731_233:
	s_set_inst_prefetch_distance 0x2
	s_or_b32 exec_lo, exec_lo, s24
	v_cmp_gt_i64_e32 vcc_lo, s[14:15], v[39:40]
	s_or_not1_b32 s24, vcc_lo, exec_lo
.LBB731_234:
	s_or_b32 exec_lo, exec_lo, s26
.LBB731_235:
	v_mul_lo_u32 v37, v22, s14
	v_mul_lo_u32 v38, v21, s15
	v_mad_u64_u32 v[33:34], null, v21, s14, 0
	s_mov_b32 s26, 0
	s_and_not1_b32 vcc_lo, exec_lo, s13
	s_mov_b32 s27, 0
	s_delay_alu instid0(VALU_DEP_1) | instskip(NEXT) | instid1(VALU_DEP_1)
	v_add3_u32 v34, v34, v38, v37
	v_lshlrev_b64 v[37:38], 1, v[33:34]
	s_cbranch_vccnz .LBB731_244
; %bb.236:
	s_delay_alu instid0(VALU_DEP_1) | instskip(NEXT) | instid1(VALU_DEP_2)
	v_add_co_u32 v39, vcc_lo, s20, v37
	v_add_co_ci_u32_e32 v40, vcc_lo, s21, v38, vcc_lo
	v_add_co_u32 v33, vcc_lo, s20, v35
	v_add_co_ci_u32_e32 v34, vcc_lo, s21, v36, vcc_lo
	s_mov_b32 s27, -1
	s_clause 0x1
	global_load_u16 v35, v[39:40], off
	global_load_u16 v36, v[33:34], off
	s_mov_b32 s34, exec_lo
	s_waitcnt vmcnt(0)
	v_cmpx_eq_u16_e64 v35, v36
	s_cbranch_execz .LBB731_243
; %bb.237:
	v_add_co_u32 v33, vcc_lo, v33, 2
	v_add_co_ci_u32_e32 v34, vcc_lo, 0, v34, vcc_lo
	v_add_co_u32 v35, vcc_lo, v39, 2
	v_add_co_ci_u32_e32 v36, vcc_lo, 0, v40, vcc_lo
	s_add_u32 s4, s14, -1
	s_addc_u32 s5, s15, -1
	s_mov_b64 s[6:7], 0
	s_mov_b32 s27, 0
                                        ; implicit-def: $sgpr35
	s_set_inst_prefetch_distance 0x1
	s_branch .LBB731_240
	.p2align	6
.LBB731_238:                            ;   in Loop: Header=BB731_240 Depth=1
	global_load_u16 v39, v[35:36], off
	global_load_u16 v40, v[33:34], off
	v_add_co_u32 v33, vcc_lo, v33, 2
	v_add_co_ci_u32_e32 v34, vcc_lo, 0, v34, vcc_lo
	v_add_co_u32 v35, s0, v35, 2
	s_delay_alu instid0(VALU_DEP_1)
	v_add_co_ci_u32_e64 v36, s0, 0, v36, s0
	s_add_u32 s6, s6, 1
	s_addc_u32 s7, s7, 0
	s_and_not1_b32 s0, s35, exec_lo
	s_waitcnt vmcnt(0)
	v_cmp_ne_u16_e32 vcc_lo, v39, v40
	s_and_b32 s35, vcc_lo, exec_lo
	s_delay_alu instid0(SALU_CYCLE_1)
	s_or_b32 s35, s0, s35
.LBB731_239:                            ;   in Loop: Header=BB731_240 Depth=1
	v_dual_mov_b32 v40, s7 :: v_dual_mov_b32 v39, s6
	s_and_b32 s0, exec_lo, s35
	s_delay_alu instid0(SALU_CYCLE_1) | instskip(NEXT) | instid1(SALU_CYCLE_1)
	s_or_b32 s27, s0, s27
	s_and_not1_b32 exec_lo, exec_lo, s27
	s_cbranch_execz .LBB731_242
.LBB731_240:                            ; =>This Inner Loop Header: Depth=1
	s_or_b32 s35, s35, exec_lo
	s_cmp_eq_u64 s[4:5], s[6:7]
	s_cbranch_scc0 .LBB731_238
; %bb.241:                              ;   in Loop: Header=BB731_240 Depth=1
	s_mov_b64 s[6:7], s[14:15]
                                        ; implicit-def: $vgpr33_vgpr34
                                        ; implicit-def: $vgpr35_vgpr36
	s_branch .LBB731_239
.LBB731_242:
	s_set_inst_prefetch_distance 0x2
	s_or_b32 exec_lo, exec_lo, s27
	v_cmp_gt_i64_e32 vcc_lo, s[14:15], v[39:40]
	s_or_not1_b32 s27, vcc_lo, exec_lo
.LBB731_243:
	s_or_b32 exec_lo, exec_lo, s34
.LBB731_244:
	v_mul_lo_u32 v35, v28, s14
	v_mul_lo_u32 v36, v27, s15
	v_mad_u64_u32 v[33:34], null, v27, s14, 0
	s_and_not1_b32 vcc_lo, exec_lo, s13
	s_delay_alu instid0(VALU_DEP_1) | instskip(NEXT) | instid1(VALU_DEP_1)
	v_add3_u32 v34, v34, v36, v35
	v_lshlrev_b64 v[33:34], 1, v[33:34]
	s_cbranch_vccnz .LBB731_253
; %bb.245:
	s_delay_alu instid0(VALU_DEP_1) | instskip(NEXT) | instid1(VALU_DEP_2)
	v_add_co_u32 v39, vcc_lo, s20, v33
	v_add_co_ci_u32_e32 v40, vcc_lo, s21, v34, vcc_lo
	v_add_co_u32 v35, vcc_lo, s20, v37
	v_add_co_ci_u32_e32 v36, vcc_lo, s21, v38, vcc_lo
	s_mov_b32 s26, -1
	s_clause 0x1
	global_load_u16 v37, v[39:40], off
	global_load_u16 v38, v[35:36], off
	s_mov_b32 s34, exec_lo
	s_waitcnt vmcnt(0)
	v_cmpx_eq_u16_e64 v37, v38
	s_cbranch_execz .LBB731_252
; %bb.246:
	v_add_co_u32 v35, vcc_lo, v35, 2
	v_add_co_ci_u32_e32 v36, vcc_lo, 0, v36, vcc_lo
	v_add_co_u32 v37, vcc_lo, v39, 2
	v_add_co_ci_u32_e32 v38, vcc_lo, 0, v40, vcc_lo
	s_add_u32 s4, s14, -1
	s_addc_u32 s5, s15, -1
	s_mov_b64 s[6:7], 0
	s_mov_b32 s26, 0
                                        ; implicit-def: $sgpr35
	s_set_inst_prefetch_distance 0x1
	s_branch .LBB731_249
	.p2align	6
.LBB731_247:                            ;   in Loop: Header=BB731_249 Depth=1
	global_load_u16 v39, v[37:38], off
	global_load_u16 v40, v[35:36], off
	v_add_co_u32 v35, vcc_lo, v35, 2
	v_add_co_ci_u32_e32 v36, vcc_lo, 0, v36, vcc_lo
	v_add_co_u32 v37, s0, v37, 2
	s_delay_alu instid0(VALU_DEP_1)
	v_add_co_ci_u32_e64 v38, s0, 0, v38, s0
	s_add_u32 s6, s6, 1
	s_addc_u32 s7, s7, 0
	s_and_not1_b32 s0, s35, exec_lo
	s_waitcnt vmcnt(0)
	v_cmp_ne_u16_e32 vcc_lo, v39, v40
	s_and_b32 s35, vcc_lo, exec_lo
	s_delay_alu instid0(SALU_CYCLE_1)
	s_or_b32 s35, s0, s35
.LBB731_248:                            ;   in Loop: Header=BB731_249 Depth=1
	v_dual_mov_b32 v40, s7 :: v_dual_mov_b32 v39, s6
	s_and_b32 s0, exec_lo, s35
	s_delay_alu instid0(SALU_CYCLE_1) | instskip(NEXT) | instid1(SALU_CYCLE_1)
	s_or_b32 s26, s0, s26
	s_and_not1_b32 exec_lo, exec_lo, s26
	s_cbranch_execz .LBB731_251
.LBB731_249:                            ; =>This Inner Loop Header: Depth=1
	s_or_b32 s35, s35, exec_lo
	s_cmp_eq_u64 s[4:5], s[6:7]
	s_cbranch_scc0 .LBB731_247
; %bb.250:                              ;   in Loop: Header=BB731_249 Depth=1
	s_mov_b64 s[6:7], s[14:15]
                                        ; implicit-def: $vgpr35_vgpr36
                                        ; implicit-def: $vgpr37_vgpr38
	s_branch .LBB731_248
.LBB731_251:
	s_set_inst_prefetch_distance 0x2
	s_or_b32 exec_lo, exec_lo, s26
	v_cmp_gt_i64_e32 vcc_lo, s[14:15], v[39:40]
	s_or_not1_b32 s26, vcc_lo, exec_lo
.LBB731_252:
	s_or_b32 exec_lo, exec_lo, s34
.LBB731_253:
	v_mul_lo_u32 v37, v26, s14
	v_mul_lo_u32 v38, v25, s15
	v_mad_u64_u32 v[35:36], null, v25, s14, 0
	s_mov_b32 s34, 0
	s_and_not1_b32 vcc_lo, exec_lo, s13
	s_mov_b32 s35, 0
	s_delay_alu instid0(VALU_DEP_1) | instskip(NEXT) | instid1(VALU_DEP_1)
	v_add3_u32 v36, v36, v38, v37
	v_lshlrev_b64 v[37:38], 1, v[35:36]
	s_cbranch_vccnz .LBB731_262
; %bb.254:
	s_delay_alu instid0(VALU_DEP_1) | instskip(NEXT) | instid1(VALU_DEP_2)
	v_add_co_u32 v35, vcc_lo, s20, v37
	v_add_co_ci_u32_e32 v36, vcc_lo, s21, v38, vcc_lo
	v_add_co_u32 v33, vcc_lo, s20, v33
	v_add_co_ci_u32_e32 v34, vcc_lo, s21, v34, vcc_lo
	s_mov_b32 s35, -1
	s_clause 0x1
	global_load_u16 v39, v[35:36], off
	global_load_u16 v40, v[33:34], off
	s_mov_b32 s36, exec_lo
	s_waitcnt vmcnt(0)
	v_cmpx_eq_u16_e64 v39, v40
	s_cbranch_execz .LBB731_261
; %bb.255:
	v_add_co_u32 v33, vcc_lo, v33, 2
	v_add_co_ci_u32_e32 v34, vcc_lo, 0, v34, vcc_lo
	v_add_co_u32 v35, vcc_lo, v35, 2
	v_add_co_ci_u32_e32 v36, vcc_lo, 0, v36, vcc_lo
	s_add_u32 s4, s14, -1
	s_addc_u32 s5, s15, -1
	s_mov_b64 s[6:7], 0
	s_mov_b32 s35, 0
                                        ; implicit-def: $sgpr37
	s_set_inst_prefetch_distance 0x1
	s_branch .LBB731_258
	.p2align	6
.LBB731_256:                            ;   in Loop: Header=BB731_258 Depth=1
	global_load_u16 v39, v[35:36], off
	global_load_u16 v40, v[33:34], off
	v_add_co_u32 v33, vcc_lo, v33, 2
	v_add_co_ci_u32_e32 v34, vcc_lo, 0, v34, vcc_lo
	v_add_co_u32 v35, s0, v35, 2
	s_delay_alu instid0(VALU_DEP_1)
	v_add_co_ci_u32_e64 v36, s0, 0, v36, s0
	s_add_u32 s6, s6, 1
	s_addc_u32 s7, s7, 0
	s_and_not1_b32 s0, s37, exec_lo
	s_waitcnt vmcnt(0)
	v_cmp_ne_u16_e32 vcc_lo, v39, v40
	s_and_b32 s37, vcc_lo, exec_lo
	s_delay_alu instid0(SALU_CYCLE_1)
	s_or_b32 s37, s0, s37
.LBB731_257:                            ;   in Loop: Header=BB731_258 Depth=1
	v_dual_mov_b32 v40, s7 :: v_dual_mov_b32 v39, s6
	s_and_b32 s0, exec_lo, s37
	s_delay_alu instid0(SALU_CYCLE_1) | instskip(NEXT) | instid1(SALU_CYCLE_1)
	s_or_b32 s35, s0, s35
	s_and_not1_b32 exec_lo, exec_lo, s35
	s_cbranch_execz .LBB731_260
.LBB731_258:                            ; =>This Inner Loop Header: Depth=1
	s_or_b32 s37, s37, exec_lo
	s_cmp_eq_u64 s[4:5], s[6:7]
	s_cbranch_scc0 .LBB731_256
; %bb.259:                              ;   in Loop: Header=BB731_258 Depth=1
	s_mov_b64 s[6:7], s[14:15]
                                        ; implicit-def: $vgpr33_vgpr34
                                        ; implicit-def: $vgpr35_vgpr36
	s_branch .LBB731_257
.LBB731_260:
	s_set_inst_prefetch_distance 0x2
	s_or_b32 exec_lo, exec_lo, s35
	v_cmp_gt_i64_e32 vcc_lo, s[14:15], v[39:40]
	s_or_not1_b32 s35, vcc_lo, exec_lo
.LBB731_261:
	s_or_b32 exec_lo, exec_lo, s36
.LBB731_262:
	v_mul_lo_u32 v35, v32, s14
	v_mul_lo_u32 v36, v31, s15
	v_mad_u64_u32 v[33:34], null, v31, s14, 0
	s_and_not1_b32 vcc_lo, exec_lo, s13
	s_delay_alu instid0(VALU_DEP_1) | instskip(NEXT) | instid1(VALU_DEP_1)
	v_add3_u32 v34, v34, v36, v35
	v_lshlrev_b64 v[35:36], 1, v[33:34]
	s_cbranch_vccnz .LBB731_271
; %bb.263:
	s_delay_alu instid0(VALU_DEP_1) | instskip(NEXT) | instid1(VALU_DEP_2)
	v_add_co_u32 v39, vcc_lo, s20, v35
	v_add_co_ci_u32_e32 v40, vcc_lo, s21, v36, vcc_lo
	v_add_co_u32 v33, vcc_lo, s20, v37
	v_add_co_ci_u32_e32 v34, vcc_lo, s21, v38, vcc_lo
	s_mov_b32 s34, -1
	s_clause 0x1
	global_load_u16 v37, v[39:40], off
	global_load_u16 v38, v[33:34], off
	s_mov_b32 s36, exec_lo
	s_waitcnt vmcnt(0)
	v_cmpx_eq_u16_e64 v37, v38
	s_cbranch_execz .LBB731_270
; %bb.264:
	v_add_co_u32 v33, vcc_lo, v33, 2
	v_add_co_ci_u32_e32 v34, vcc_lo, 0, v34, vcc_lo
	v_add_co_u32 v37, vcc_lo, v39, 2
	v_add_co_ci_u32_e32 v38, vcc_lo, 0, v40, vcc_lo
	s_add_u32 s4, s14, -1
	s_addc_u32 s5, s15, -1
	s_mov_b64 s[6:7], 0
	s_mov_b32 s34, 0
                                        ; implicit-def: $sgpr37
	s_set_inst_prefetch_distance 0x1
	s_branch .LBB731_267
	.p2align	6
.LBB731_265:                            ;   in Loop: Header=BB731_267 Depth=1
	global_load_u16 v39, v[37:38], off
	global_load_u16 v40, v[33:34], off
	v_add_co_u32 v33, vcc_lo, v33, 2
	v_add_co_ci_u32_e32 v34, vcc_lo, 0, v34, vcc_lo
	v_add_co_u32 v37, s0, v37, 2
	s_delay_alu instid0(VALU_DEP_1)
	v_add_co_ci_u32_e64 v38, s0, 0, v38, s0
	s_add_u32 s6, s6, 1
	s_addc_u32 s7, s7, 0
	s_and_not1_b32 s0, s37, exec_lo
	s_waitcnt vmcnt(0)
	v_cmp_ne_u16_e32 vcc_lo, v39, v40
	s_and_b32 s37, vcc_lo, exec_lo
	s_delay_alu instid0(SALU_CYCLE_1)
	s_or_b32 s37, s0, s37
.LBB731_266:                            ;   in Loop: Header=BB731_267 Depth=1
	v_dual_mov_b32 v40, s7 :: v_dual_mov_b32 v39, s6
	s_and_b32 s0, exec_lo, s37
	s_delay_alu instid0(SALU_CYCLE_1) | instskip(NEXT) | instid1(SALU_CYCLE_1)
	s_or_b32 s34, s0, s34
	s_and_not1_b32 exec_lo, exec_lo, s34
	s_cbranch_execz .LBB731_269
.LBB731_267:                            ; =>This Inner Loop Header: Depth=1
	s_or_b32 s37, s37, exec_lo
	s_cmp_eq_u64 s[4:5], s[6:7]
	s_cbranch_scc0 .LBB731_265
; %bb.268:                              ;   in Loop: Header=BB731_267 Depth=1
	s_mov_b64 s[6:7], s[14:15]
                                        ; implicit-def: $vgpr33_vgpr34
                                        ; implicit-def: $vgpr37_vgpr38
	s_branch .LBB731_266
.LBB731_269:
	s_set_inst_prefetch_distance 0x2
	s_or_b32 exec_lo, exec_lo, s34
	v_cmp_gt_i64_e32 vcc_lo, s[14:15], v[39:40]
	s_or_not1_b32 s34, vcc_lo, exec_lo
.LBB731_270:
	s_or_b32 exec_lo, exec_lo, s36
.LBB731_271:
	v_mul_lo_u32 v37, v30, s14
	v_mul_lo_u32 v38, v29, s15
	v_mad_u64_u32 v[33:34], null, v29, s14, 0
	s_and_not1_b32 vcc_lo, exec_lo, s13
	s_mov_b32 s0, 0
	s_delay_alu instid0(VALU_DEP_1)
	v_add3_u32 v34, v34, v38, v37
	s_cbranch_vccnz .LBB731_280
; %bb.272:
	s_delay_alu instid0(VALU_DEP_1) | instskip(SKIP_2) | instid1(VALU_DEP_1)
	v_lshlrev_b64 v[37:38], 1, v[33:34]
	s_mov_b32 s0, -1
	s_mov_b32 s36, exec_lo
	v_add_co_u32 v37, vcc_lo, s20, v37
	s_delay_alu instid0(VALU_DEP_2)
	v_add_co_ci_u32_e32 v38, vcc_lo, s21, v38, vcc_lo
	v_add_co_u32 v35, vcc_lo, s20, v35
	v_add_co_ci_u32_e32 v36, vcc_lo, s21, v36, vcc_lo
	s_clause 0x1
	global_load_u16 v39, v[37:38], off
	global_load_u16 v40, v[35:36], off
	s_waitcnt vmcnt(0)
	v_cmpx_eq_u16_e64 v39, v40
	s_cbranch_execz .LBB731_279
; %bb.273:
	v_add_co_u32 v35, vcc_lo, v35, 2
	v_add_co_ci_u32_e32 v36, vcc_lo, 0, v36, vcc_lo
	v_add_co_u32 v37, vcc_lo, v37, 2
	v_add_co_ci_u32_e32 v38, vcc_lo, 0, v38, vcc_lo
	s_add_u32 s4, s14, -1
	s_addc_u32 s5, s15, -1
	s_mov_b64 s[6:7], 0
	s_mov_b32 s37, 0
                                        ; implicit-def: $sgpr38
	s_set_inst_prefetch_distance 0x1
	s_branch .LBB731_276
	.p2align	6
.LBB731_274:                            ;   in Loop: Header=BB731_276 Depth=1
	global_load_u16 v39, v[37:38], off
	global_load_u16 v40, v[35:36], off
	v_add_co_u32 v35, vcc_lo, v35, 2
	v_add_co_ci_u32_e32 v36, vcc_lo, 0, v36, vcc_lo
	v_add_co_u32 v37, s0, v37, 2
	s_delay_alu instid0(VALU_DEP_1)
	v_add_co_ci_u32_e64 v38, s0, 0, v38, s0
	s_add_u32 s6, s6, 1
	s_addc_u32 s7, s7, 0
	s_and_not1_b32 s0, s38, exec_lo
	s_waitcnt vmcnt(0)
	v_cmp_ne_u16_e32 vcc_lo, v39, v40
	s_and_b32 s38, vcc_lo, exec_lo
	s_delay_alu instid0(SALU_CYCLE_1)
	s_or_b32 s38, s0, s38
.LBB731_275:                            ;   in Loop: Header=BB731_276 Depth=1
	v_dual_mov_b32 v40, s7 :: v_dual_mov_b32 v39, s6
	s_and_b32 s0, exec_lo, s38
	s_delay_alu instid0(SALU_CYCLE_1) | instskip(NEXT) | instid1(SALU_CYCLE_1)
	s_or_b32 s37, s0, s37
	s_and_not1_b32 exec_lo, exec_lo, s37
	s_cbranch_execz .LBB731_278
.LBB731_276:                            ; =>This Inner Loop Header: Depth=1
	s_or_b32 s38, s38, exec_lo
	s_cmp_eq_u64 s[4:5], s[6:7]
	s_cbranch_scc0 .LBB731_274
; %bb.277:                              ;   in Loop: Header=BB731_276 Depth=1
	s_mov_b64 s[6:7], s[14:15]
                                        ; implicit-def: $vgpr35_vgpr36
                                        ; implicit-def: $vgpr37_vgpr38
	s_branch .LBB731_275
.LBB731_278:
	s_set_inst_prefetch_distance 0x2
	s_or_b32 exec_lo, exec_lo, s37
	v_cmp_gt_i64_e32 vcc_lo, s[14:15], v[39:40]
	s_or_not1_b32 s0, vcc_lo, exec_lo
.LBB731_279:
	s_or_b32 exec_lo, exec_lo, s36
.LBB731_280:
	v_cndmask_b32_e64 v36, 0, 1, s35
	v_cndmask_b32_e64 v37, 0, 1, s27
	;; [unrolled: 1-line block ×7, first 2 shown]
	v_lshlrev_b16 v37, 8, v37
	v_lshlrev_b16 v38, 8, v38
	;; [unrolled: 1-line block ×4, first 2 shown]
	s_waitcnt lgkmcnt(0)
	v_or_b32_e32 v37, v40, v37
	v_or_b32_e32 v38, v41, v38
	;; [unrolled: 1-line block ×4, first 2 shown]
	s_barrier
	v_and_b32_e32 v36, 0xffff, v37
	v_lshlrev_b32_e32 v37, 16, v38
	v_and_b32_e32 v38, 0xffff, v39
	v_lshlrev_b32_e32 v35, 16, v35
	buffer_gl0_inv
                                        ; implicit-def: $sgpr0
	v_or_b32_e32 v36, v36, v37
	v_or_b32_e32 v35, v38, v35
	s_and_saveexec_b32 s4, s3
	s_delay_alu instid0(SALU_CYCLE_1)
	s_xor_b32 s24, exec_lo, s4
	s_cbranch_execz .LBB731_291
; %bb.281:
	s_and_not1_b32 vcc_lo, exec_lo, s13
	s_mov_b32 s0, 0
	s_cbranch_vccnz .LBB731_290
; %bb.282:
	v_add_nc_u32_e32 v37, -8, v55
	v_lshlrev_b64 v[33:34], 1, v[33:34]
	s_mov_b32 s0, -1
	s_mov_b32 s25, exec_lo
	ds_load_b64 v[37:38], v37
	s_waitcnt lgkmcnt(0)
	v_mul_lo_u32 v40, v38, s14
	v_mul_lo_u32 v41, v37, s15
	v_mad_u64_u32 v[38:39], null, v37, s14, 0
	s_delay_alu instid0(VALU_DEP_1) | instskip(NEXT) | instid1(VALU_DEP_1)
	v_add3_u32 v39, v39, v41, v40
	v_lshlrev_b64 v[37:38], 1, v[38:39]
	s_delay_alu instid0(VALU_DEP_1) | instskip(NEXT) | instid1(VALU_DEP_2)
	v_add_co_u32 v37, vcc_lo, s20, v37
	v_add_co_ci_u32_e32 v38, vcc_lo, s21, v38, vcc_lo
	v_add_co_u32 v33, vcc_lo, s20, v33
	v_add_co_ci_u32_e32 v34, vcc_lo, s21, v34, vcc_lo
	s_clause 0x1
	global_load_u16 v39, v[37:38], off
	global_load_u16 v40, v[33:34], off
	s_waitcnt vmcnt(0)
	v_cmpx_eq_u16_e64 v39, v40
	s_cbranch_execz .LBB731_289
; %bb.283:
	v_add_co_u32 v33, vcc_lo, v33, 2
	v_add_co_ci_u32_e32 v34, vcc_lo, 0, v34, vcc_lo
	v_add_co_u32 v37, vcc_lo, v37, 2
	v_add_co_ci_u32_e32 v38, vcc_lo, 0, v38, vcc_lo
	s_add_u32 s4, s14, -1
	s_addc_u32 s5, s15, -1
	s_mov_b64 s[6:7], 0
	s_mov_b32 s26, 0
                                        ; implicit-def: $sgpr27
	s_set_inst_prefetch_distance 0x1
	s_branch .LBB731_286
	.p2align	6
.LBB731_284:                            ;   in Loop: Header=BB731_286 Depth=1
	global_load_u16 v39, v[37:38], off
	global_load_u16 v40, v[33:34], off
	v_add_co_u32 v33, vcc_lo, v33, 2
	v_add_co_ci_u32_e32 v34, vcc_lo, 0, v34, vcc_lo
	v_add_co_u32 v37, s0, v37, 2
	s_delay_alu instid0(VALU_DEP_1)
	v_add_co_ci_u32_e64 v38, s0, 0, v38, s0
	s_add_u32 s6, s6, 1
	s_addc_u32 s7, s7, 0
	s_and_not1_b32 s0, s27, exec_lo
	s_waitcnt vmcnt(0)
	v_cmp_ne_u16_e32 vcc_lo, v39, v40
	s_and_b32 s27, vcc_lo, exec_lo
	s_delay_alu instid0(SALU_CYCLE_1)
	s_or_b32 s27, s0, s27
.LBB731_285:                            ;   in Loop: Header=BB731_286 Depth=1
	v_dual_mov_b32 v40, s7 :: v_dual_mov_b32 v39, s6
	s_and_b32 s0, exec_lo, s27
	s_delay_alu instid0(SALU_CYCLE_1) | instskip(NEXT) | instid1(SALU_CYCLE_1)
	s_or_b32 s26, s0, s26
	s_and_not1_b32 exec_lo, exec_lo, s26
	s_cbranch_execz .LBB731_288
.LBB731_286:                            ; =>This Inner Loop Header: Depth=1
	s_or_b32 s27, s27, exec_lo
	s_cmp_eq_u64 s[4:5], s[6:7]
	s_cbranch_scc0 .LBB731_284
; %bb.287:                              ;   in Loop: Header=BB731_286 Depth=1
	s_mov_b64 s[6:7], s[14:15]
                                        ; implicit-def: $vgpr33_vgpr34
                                        ; implicit-def: $vgpr37_vgpr38
	s_branch .LBB731_285
.LBB731_288:
	s_set_inst_prefetch_distance 0x2
	s_or_b32 exec_lo, exec_lo, s26
	v_cmp_gt_i64_e32 vcc_lo, s[14:15], v[39:40]
	s_or_not1_b32 s0, vcc_lo, exec_lo
.LBB731_289:
	s_or_b32 exec_lo, exec_lo, s25
.LBB731_290:
	s_delay_alu instid0(SALU_CYCLE_1)
	s_and_b32 s0, s0, exec_lo
	s_or_b32 s1, s1, exec_lo
.LBB731_291:
	s_or_b32 exec_lo, exec_lo, s24
	s_branch .LBB731_383
.LBB731_292:
	s_waitcnt vmcnt(0) lgkmcnt(1)
	v_or_b32_e32 v33, 7, v55
	s_mov_b32 s24, 0
	s_mov_b32 s25, 0
	s_mov_b32 s26, exec_lo
	s_delay_alu instid0(VALU_DEP_1)
	v_cmpx_gt_u32_e64 s31, v33
	s_cbranch_execz .LBB731_303
; %bb.293:
	s_and_not1_b32 vcc_lo, exec_lo, s13
	s_mov_b32 s0, 0
	s_cbranch_vccnz .LBB731_302
; %bb.294:
	v_mul_lo_u32 v37, v18, s14
	v_mul_lo_u32 v38, v17, s15
	v_mad_u64_u32 v[33:34], null, v17, s14, 0
	v_mul_lo_u32 v39, v20, s14
	v_mul_lo_u32 v40, v19, s15
	v_mad_u64_u32 v[35:36], null, v19, s14, 0
	s_mov_b32 s0, -1
	s_mov_b32 s25, exec_lo
	s_delay_alu instid0(VALU_DEP_4) | instskip(NEXT) | instid1(VALU_DEP_2)
	v_add3_u32 v34, v34, v38, v37
	v_add3_u32 v36, v36, v40, v39
	s_delay_alu instid0(VALU_DEP_2) | instskip(NEXT) | instid1(VALU_DEP_2)
	v_lshlrev_b64 v[33:34], 1, v[33:34]
	v_lshlrev_b64 v[37:38], 1, v[35:36]
	s_delay_alu instid0(VALU_DEP_2) | instskip(NEXT) | instid1(VALU_DEP_3)
	v_add_co_u32 v35, vcc_lo, s20, v33
	v_add_co_ci_u32_e32 v36, vcc_lo, s21, v34, vcc_lo
	s_delay_alu instid0(VALU_DEP_3) | instskip(NEXT) | instid1(VALU_DEP_4)
	v_add_co_u32 v33, vcc_lo, s20, v37
	v_add_co_ci_u32_e32 v34, vcc_lo, s21, v38, vcc_lo
	s_clause 0x1
	global_load_u16 v37, v[35:36], off
	global_load_u16 v38, v[33:34], off
	s_waitcnt vmcnt(0)
	v_cmpx_eq_u16_e64 v37, v38
	s_cbranch_execz .LBB731_301
; %bb.295:
	v_add_co_u32 v33, vcc_lo, v33, 2
	v_add_co_ci_u32_e32 v34, vcc_lo, 0, v34, vcc_lo
	v_add_co_u32 v35, vcc_lo, v35, 2
	v_add_co_ci_u32_e32 v36, vcc_lo, 0, v36, vcc_lo
	s_add_u32 s4, s14, -1
	s_addc_u32 s5, s15, -1
	s_mov_b64 s[6:7], 0
	s_mov_b32 s27, 0
                                        ; implicit-def: $sgpr34
	s_set_inst_prefetch_distance 0x1
	s_branch .LBB731_298
	.p2align	6
.LBB731_296:                            ;   in Loop: Header=BB731_298 Depth=1
	global_load_u16 v37, v[35:36], off
	global_load_u16 v38, v[33:34], off
	v_add_co_u32 v33, vcc_lo, v33, 2
	v_add_co_ci_u32_e32 v34, vcc_lo, 0, v34, vcc_lo
	v_add_co_u32 v35, s0, v35, 2
	s_delay_alu instid0(VALU_DEP_1)
	v_add_co_ci_u32_e64 v36, s0, 0, v36, s0
	s_add_u32 s6, s6, 1
	s_addc_u32 s7, s7, 0
	s_and_not1_b32 s0, s34, exec_lo
	s_waitcnt vmcnt(0)
	v_cmp_ne_u16_e32 vcc_lo, v37, v38
	s_and_b32 s34, vcc_lo, exec_lo
	s_delay_alu instid0(SALU_CYCLE_1)
	s_or_b32 s34, s0, s34
.LBB731_297:                            ;   in Loop: Header=BB731_298 Depth=1
	v_dual_mov_b32 v38, s7 :: v_dual_mov_b32 v37, s6
	s_and_b32 s0, exec_lo, s34
	s_delay_alu instid0(SALU_CYCLE_1) | instskip(NEXT) | instid1(SALU_CYCLE_1)
	s_or_b32 s27, s0, s27
	s_and_not1_b32 exec_lo, exec_lo, s27
	s_cbranch_execz .LBB731_300
.LBB731_298:                            ; =>This Inner Loop Header: Depth=1
	s_or_b32 s34, s34, exec_lo
	s_cmp_eq_u64 s[4:5], s[6:7]
	s_cbranch_scc0 .LBB731_296
; %bb.299:                              ;   in Loop: Header=BB731_298 Depth=1
	s_mov_b64 s[6:7], s[14:15]
                                        ; implicit-def: $vgpr33_vgpr34
                                        ; implicit-def: $vgpr35_vgpr36
	s_branch .LBB731_297
.LBB731_300:
	s_set_inst_prefetch_distance 0x2
	s_or_b32 exec_lo, exec_lo, s27
	v_cmp_gt_i64_e32 vcc_lo, s[14:15], v[37:38]
	s_or_not1_b32 s0, vcc_lo, exec_lo
.LBB731_301:
	s_or_b32 exec_lo, exec_lo, s25
.LBB731_302:
	s_delay_alu instid0(SALU_CYCLE_1)
	s_and_b32 s25, s0, exec_lo
.LBB731_303:
	s_or_b32 exec_lo, exec_lo, s26
	v_or_b32_e32 v33, 6, v55
	s_mov_b32 s26, exec_lo
	s_delay_alu instid0(VALU_DEP_1)
	v_cmpx_gt_u32_e64 s31, v33
	s_cbranch_execz .LBB731_314
; %bb.304:
	s_and_not1_b32 vcc_lo, exec_lo, s13
	s_mov_b32 s0, 0
	s_cbranch_vccnz .LBB731_313
; %bb.305:
	v_mul_lo_u32 v37, v24, s14
	v_mul_lo_u32 v38, v23, s15
	v_mad_u64_u32 v[33:34], null, v23, s14, 0
	v_mul_lo_u32 v39, v18, s14
	v_mul_lo_u32 v40, v17, s15
	v_mad_u64_u32 v[35:36], null, v17, s14, 0
	s_mov_b32 s0, -1
	s_mov_b32 s24, exec_lo
	s_delay_alu instid0(VALU_DEP_4) | instskip(NEXT) | instid1(VALU_DEP_2)
	v_add3_u32 v34, v34, v38, v37
	v_add3_u32 v36, v36, v40, v39
	s_delay_alu instid0(VALU_DEP_2) | instskip(NEXT) | instid1(VALU_DEP_2)
	v_lshlrev_b64 v[33:34], 1, v[33:34]
	v_lshlrev_b64 v[37:38], 1, v[35:36]
	s_delay_alu instid0(VALU_DEP_2) | instskip(NEXT) | instid1(VALU_DEP_3)
	v_add_co_u32 v35, vcc_lo, s20, v33
	v_add_co_ci_u32_e32 v36, vcc_lo, s21, v34, vcc_lo
	s_delay_alu instid0(VALU_DEP_3) | instskip(NEXT) | instid1(VALU_DEP_4)
	v_add_co_u32 v33, vcc_lo, s20, v37
	v_add_co_ci_u32_e32 v34, vcc_lo, s21, v38, vcc_lo
	s_clause 0x1
	global_load_u16 v37, v[35:36], off
	global_load_u16 v38, v[33:34], off
	s_waitcnt vmcnt(0)
	v_cmpx_eq_u16_e64 v37, v38
	s_cbranch_execz .LBB731_312
; %bb.306:
	v_add_co_u32 v33, vcc_lo, v33, 2
	v_add_co_ci_u32_e32 v34, vcc_lo, 0, v34, vcc_lo
	v_add_co_u32 v35, vcc_lo, v35, 2
	v_add_co_ci_u32_e32 v36, vcc_lo, 0, v36, vcc_lo
	s_add_u32 s4, s14, -1
	s_addc_u32 s5, s15, -1
	s_mov_b64 s[6:7], 0
	s_mov_b32 s27, 0
                                        ; implicit-def: $sgpr34
	s_set_inst_prefetch_distance 0x1
	s_branch .LBB731_309
	.p2align	6
.LBB731_307:                            ;   in Loop: Header=BB731_309 Depth=1
	global_load_u16 v37, v[35:36], off
	global_load_u16 v38, v[33:34], off
	v_add_co_u32 v33, vcc_lo, v33, 2
	v_add_co_ci_u32_e32 v34, vcc_lo, 0, v34, vcc_lo
	v_add_co_u32 v35, s0, v35, 2
	s_delay_alu instid0(VALU_DEP_1)
	v_add_co_ci_u32_e64 v36, s0, 0, v36, s0
	s_add_u32 s6, s6, 1
	s_addc_u32 s7, s7, 0
	s_and_not1_b32 s0, s34, exec_lo
	s_waitcnt vmcnt(0)
	v_cmp_ne_u16_e32 vcc_lo, v37, v38
	s_and_b32 s34, vcc_lo, exec_lo
	s_delay_alu instid0(SALU_CYCLE_1)
	s_or_b32 s34, s0, s34
.LBB731_308:                            ;   in Loop: Header=BB731_309 Depth=1
	v_dual_mov_b32 v38, s7 :: v_dual_mov_b32 v37, s6
	s_and_b32 s0, exec_lo, s34
	s_delay_alu instid0(SALU_CYCLE_1) | instskip(NEXT) | instid1(SALU_CYCLE_1)
	s_or_b32 s27, s0, s27
	s_and_not1_b32 exec_lo, exec_lo, s27
	s_cbranch_execz .LBB731_311
.LBB731_309:                            ; =>This Inner Loop Header: Depth=1
	s_or_b32 s34, s34, exec_lo
	s_cmp_eq_u64 s[4:5], s[6:7]
	s_cbranch_scc0 .LBB731_307
; %bb.310:                              ;   in Loop: Header=BB731_309 Depth=1
	s_mov_b64 s[6:7], s[14:15]
                                        ; implicit-def: $vgpr33_vgpr34
                                        ; implicit-def: $vgpr35_vgpr36
	s_branch .LBB731_308
.LBB731_311:
	s_set_inst_prefetch_distance 0x2
	s_or_b32 exec_lo, exec_lo, s27
	v_cmp_gt_i64_e32 vcc_lo, s[14:15], v[37:38]
	s_or_not1_b32 s0, vcc_lo, exec_lo
.LBB731_312:
	s_or_b32 exec_lo, exec_lo, s24
.LBB731_313:
	s_delay_alu instid0(SALU_CYCLE_1)
	s_and_b32 s24, s0, exec_lo
.LBB731_314:
	s_or_b32 exec_lo, exec_lo, s26
	v_or_b32_e32 v33, 5, v55
	s_mov_b32 s26, 0
	s_mov_b32 s27, 0
	s_mov_b32 s34, exec_lo
	s_delay_alu instid0(VALU_DEP_1)
	v_cmpx_gt_u32_e64 s31, v33
	s_cbranch_execz .LBB731_325
; %bb.315:
	s_and_not1_b32 vcc_lo, exec_lo, s13
	s_mov_b32 s0, 0
	s_cbranch_vccnz .LBB731_324
; %bb.316:
	v_mul_lo_u32 v37, v22, s14
	v_mul_lo_u32 v38, v21, s15
	v_mad_u64_u32 v[33:34], null, v21, s14, 0
	v_mul_lo_u32 v39, v24, s14
	v_mul_lo_u32 v40, v23, s15
	v_mad_u64_u32 v[35:36], null, v23, s14, 0
	s_mov_b32 s0, -1
	s_mov_b32 s27, exec_lo
	s_delay_alu instid0(VALU_DEP_4) | instskip(NEXT) | instid1(VALU_DEP_2)
	v_add3_u32 v34, v34, v38, v37
	v_add3_u32 v36, v36, v40, v39
	s_delay_alu instid0(VALU_DEP_2) | instskip(NEXT) | instid1(VALU_DEP_2)
	v_lshlrev_b64 v[33:34], 1, v[33:34]
	v_lshlrev_b64 v[37:38], 1, v[35:36]
	s_delay_alu instid0(VALU_DEP_2) | instskip(NEXT) | instid1(VALU_DEP_3)
	v_add_co_u32 v35, vcc_lo, s20, v33
	v_add_co_ci_u32_e32 v36, vcc_lo, s21, v34, vcc_lo
	s_delay_alu instid0(VALU_DEP_3) | instskip(NEXT) | instid1(VALU_DEP_4)
	v_add_co_u32 v33, vcc_lo, s20, v37
	v_add_co_ci_u32_e32 v34, vcc_lo, s21, v38, vcc_lo
	s_clause 0x1
	global_load_u16 v37, v[35:36], off
	global_load_u16 v38, v[33:34], off
	s_waitcnt vmcnt(0)
	v_cmpx_eq_u16_e64 v37, v38
	s_cbranch_execz .LBB731_323
; %bb.317:
	v_add_co_u32 v33, vcc_lo, v33, 2
	v_add_co_ci_u32_e32 v34, vcc_lo, 0, v34, vcc_lo
	v_add_co_u32 v35, vcc_lo, v35, 2
	v_add_co_ci_u32_e32 v36, vcc_lo, 0, v36, vcc_lo
	s_add_u32 s4, s14, -1
	s_addc_u32 s5, s15, -1
	s_mov_b64 s[6:7], 0
	s_mov_b32 s35, 0
                                        ; implicit-def: $sgpr36
	s_set_inst_prefetch_distance 0x1
	s_branch .LBB731_320
	.p2align	6
.LBB731_318:                            ;   in Loop: Header=BB731_320 Depth=1
	global_load_u16 v37, v[35:36], off
	global_load_u16 v38, v[33:34], off
	v_add_co_u32 v33, vcc_lo, v33, 2
	v_add_co_ci_u32_e32 v34, vcc_lo, 0, v34, vcc_lo
	v_add_co_u32 v35, s0, v35, 2
	s_delay_alu instid0(VALU_DEP_1)
	v_add_co_ci_u32_e64 v36, s0, 0, v36, s0
	s_add_u32 s6, s6, 1
	s_addc_u32 s7, s7, 0
	s_and_not1_b32 s0, s36, exec_lo
	s_waitcnt vmcnt(0)
	v_cmp_ne_u16_e32 vcc_lo, v37, v38
	s_and_b32 s36, vcc_lo, exec_lo
	s_delay_alu instid0(SALU_CYCLE_1)
	s_or_b32 s36, s0, s36
.LBB731_319:                            ;   in Loop: Header=BB731_320 Depth=1
	v_dual_mov_b32 v38, s7 :: v_dual_mov_b32 v37, s6
	s_and_b32 s0, exec_lo, s36
	s_delay_alu instid0(SALU_CYCLE_1) | instskip(NEXT) | instid1(SALU_CYCLE_1)
	s_or_b32 s35, s0, s35
	s_and_not1_b32 exec_lo, exec_lo, s35
	s_cbranch_execz .LBB731_322
.LBB731_320:                            ; =>This Inner Loop Header: Depth=1
	s_or_b32 s36, s36, exec_lo
	s_cmp_eq_u64 s[4:5], s[6:7]
	s_cbranch_scc0 .LBB731_318
; %bb.321:                              ;   in Loop: Header=BB731_320 Depth=1
	s_mov_b64 s[6:7], s[14:15]
                                        ; implicit-def: $vgpr33_vgpr34
                                        ; implicit-def: $vgpr35_vgpr36
	s_branch .LBB731_319
.LBB731_322:
	s_set_inst_prefetch_distance 0x2
	s_or_b32 exec_lo, exec_lo, s35
	v_cmp_gt_i64_e32 vcc_lo, s[14:15], v[37:38]
	s_or_not1_b32 s0, vcc_lo, exec_lo
.LBB731_323:
	s_or_b32 exec_lo, exec_lo, s27
.LBB731_324:
	s_delay_alu instid0(SALU_CYCLE_1)
	s_and_b32 s27, s0, exec_lo
.LBB731_325:
	s_or_b32 exec_lo, exec_lo, s34
	v_or_b32_e32 v33, 4, v55
	s_mov_b32 s34, exec_lo
	s_delay_alu instid0(VALU_DEP_1)
	v_cmpx_gt_u32_e64 s31, v33
	s_cbranch_execz .LBB731_336
; %bb.326:
	s_and_not1_b32 vcc_lo, exec_lo, s13
	s_mov_b32 s0, 0
	s_cbranch_vccnz .LBB731_335
; %bb.327:
	v_mul_lo_u32 v37, v28, s14
	v_mul_lo_u32 v38, v27, s15
	v_mad_u64_u32 v[33:34], null, v27, s14, 0
	v_mul_lo_u32 v39, v22, s14
	v_mul_lo_u32 v40, v21, s15
	v_mad_u64_u32 v[35:36], null, v21, s14, 0
	s_mov_b32 s0, -1
	s_mov_b32 s26, exec_lo
	s_delay_alu instid0(VALU_DEP_4) | instskip(NEXT) | instid1(VALU_DEP_2)
	v_add3_u32 v34, v34, v38, v37
	v_add3_u32 v36, v36, v40, v39
	s_delay_alu instid0(VALU_DEP_2) | instskip(NEXT) | instid1(VALU_DEP_2)
	v_lshlrev_b64 v[33:34], 1, v[33:34]
	v_lshlrev_b64 v[37:38], 1, v[35:36]
	s_delay_alu instid0(VALU_DEP_2) | instskip(NEXT) | instid1(VALU_DEP_3)
	v_add_co_u32 v35, vcc_lo, s20, v33
	v_add_co_ci_u32_e32 v36, vcc_lo, s21, v34, vcc_lo
	s_delay_alu instid0(VALU_DEP_3) | instskip(NEXT) | instid1(VALU_DEP_4)
	v_add_co_u32 v33, vcc_lo, s20, v37
	v_add_co_ci_u32_e32 v34, vcc_lo, s21, v38, vcc_lo
	s_clause 0x1
	global_load_u16 v37, v[35:36], off
	global_load_u16 v38, v[33:34], off
	s_waitcnt vmcnt(0)
	v_cmpx_eq_u16_e64 v37, v38
	s_cbranch_execz .LBB731_334
; %bb.328:
	v_add_co_u32 v33, vcc_lo, v33, 2
	v_add_co_ci_u32_e32 v34, vcc_lo, 0, v34, vcc_lo
	v_add_co_u32 v35, vcc_lo, v35, 2
	v_add_co_ci_u32_e32 v36, vcc_lo, 0, v36, vcc_lo
	s_add_u32 s4, s14, -1
	s_addc_u32 s5, s15, -1
	s_mov_b64 s[6:7], 0
	s_mov_b32 s35, 0
                                        ; implicit-def: $sgpr36
	s_set_inst_prefetch_distance 0x1
	s_branch .LBB731_331
	.p2align	6
.LBB731_329:                            ;   in Loop: Header=BB731_331 Depth=1
	global_load_u16 v37, v[35:36], off
	global_load_u16 v38, v[33:34], off
	v_add_co_u32 v33, vcc_lo, v33, 2
	v_add_co_ci_u32_e32 v34, vcc_lo, 0, v34, vcc_lo
	v_add_co_u32 v35, s0, v35, 2
	s_delay_alu instid0(VALU_DEP_1)
	v_add_co_ci_u32_e64 v36, s0, 0, v36, s0
	s_add_u32 s6, s6, 1
	s_addc_u32 s7, s7, 0
	s_and_not1_b32 s0, s36, exec_lo
	s_waitcnt vmcnt(0)
	v_cmp_ne_u16_e32 vcc_lo, v37, v38
	s_and_b32 s36, vcc_lo, exec_lo
	s_delay_alu instid0(SALU_CYCLE_1)
	s_or_b32 s36, s0, s36
.LBB731_330:                            ;   in Loop: Header=BB731_331 Depth=1
	v_dual_mov_b32 v38, s7 :: v_dual_mov_b32 v37, s6
	s_and_b32 s0, exec_lo, s36
	s_delay_alu instid0(SALU_CYCLE_1) | instskip(NEXT) | instid1(SALU_CYCLE_1)
	s_or_b32 s35, s0, s35
	s_and_not1_b32 exec_lo, exec_lo, s35
	s_cbranch_execz .LBB731_333
.LBB731_331:                            ; =>This Inner Loop Header: Depth=1
	s_or_b32 s36, s36, exec_lo
	s_cmp_eq_u64 s[4:5], s[6:7]
	s_cbranch_scc0 .LBB731_329
; %bb.332:                              ;   in Loop: Header=BB731_331 Depth=1
	s_mov_b64 s[6:7], s[14:15]
                                        ; implicit-def: $vgpr33_vgpr34
                                        ; implicit-def: $vgpr35_vgpr36
	s_branch .LBB731_330
.LBB731_333:
	s_set_inst_prefetch_distance 0x2
	s_or_b32 exec_lo, exec_lo, s35
	v_cmp_gt_i64_e32 vcc_lo, s[14:15], v[37:38]
	s_or_not1_b32 s0, vcc_lo, exec_lo
.LBB731_334:
	s_or_b32 exec_lo, exec_lo, s26
.LBB731_335:
	s_delay_alu instid0(SALU_CYCLE_1)
	s_and_b32 s26, s0, exec_lo
.LBB731_336:
	s_or_b32 exec_lo, exec_lo, s34
	v_or_b32_e32 v33, 3, v55
	s_mov_b32 s35, 0
	s_mov_b32 s34, 0
	s_mov_b32 s36, exec_lo
	s_delay_alu instid0(VALU_DEP_1)
	v_cmpx_gt_u32_e64 s31, v33
	s_cbranch_execz .LBB731_347
; %bb.337:
	s_and_not1_b32 vcc_lo, exec_lo, s13
	s_mov_b32 s0, 0
	s_cbranch_vccnz .LBB731_346
; %bb.338:
	v_mul_lo_u32 v37, v26, s14
	v_mul_lo_u32 v38, v25, s15
	v_mad_u64_u32 v[33:34], null, v25, s14, 0
	v_mul_lo_u32 v39, v28, s14
	v_mul_lo_u32 v40, v27, s15
	v_mad_u64_u32 v[35:36], null, v27, s14, 0
	s_mov_b32 s0, -1
	s_mov_b32 s34, exec_lo
	s_delay_alu instid0(VALU_DEP_4) | instskip(NEXT) | instid1(VALU_DEP_2)
	v_add3_u32 v34, v34, v38, v37
	v_add3_u32 v36, v36, v40, v39
	s_delay_alu instid0(VALU_DEP_2) | instskip(NEXT) | instid1(VALU_DEP_2)
	v_lshlrev_b64 v[33:34], 1, v[33:34]
	v_lshlrev_b64 v[37:38], 1, v[35:36]
	s_delay_alu instid0(VALU_DEP_2) | instskip(NEXT) | instid1(VALU_DEP_3)
	v_add_co_u32 v35, vcc_lo, s20, v33
	v_add_co_ci_u32_e32 v36, vcc_lo, s21, v34, vcc_lo
	s_delay_alu instid0(VALU_DEP_3) | instskip(NEXT) | instid1(VALU_DEP_4)
	v_add_co_u32 v33, vcc_lo, s20, v37
	v_add_co_ci_u32_e32 v34, vcc_lo, s21, v38, vcc_lo
	s_clause 0x1
	global_load_u16 v37, v[35:36], off
	global_load_u16 v38, v[33:34], off
	s_waitcnt vmcnt(0)
	v_cmpx_eq_u16_e64 v37, v38
	s_cbranch_execz .LBB731_345
; %bb.339:
	v_add_co_u32 v33, vcc_lo, v33, 2
	v_add_co_ci_u32_e32 v34, vcc_lo, 0, v34, vcc_lo
	v_add_co_u32 v35, vcc_lo, v35, 2
	v_add_co_ci_u32_e32 v36, vcc_lo, 0, v36, vcc_lo
	s_add_u32 s4, s14, -1
	s_addc_u32 s5, s15, -1
	s_mov_b64 s[6:7], 0
	s_mov_b32 s37, 0
                                        ; implicit-def: $sgpr38
	s_set_inst_prefetch_distance 0x1
	s_branch .LBB731_342
	.p2align	6
.LBB731_340:                            ;   in Loop: Header=BB731_342 Depth=1
	global_load_u16 v37, v[35:36], off
	global_load_u16 v38, v[33:34], off
	v_add_co_u32 v33, vcc_lo, v33, 2
	v_add_co_ci_u32_e32 v34, vcc_lo, 0, v34, vcc_lo
	v_add_co_u32 v35, s0, v35, 2
	s_delay_alu instid0(VALU_DEP_1)
	v_add_co_ci_u32_e64 v36, s0, 0, v36, s0
	s_add_u32 s6, s6, 1
	s_addc_u32 s7, s7, 0
	s_and_not1_b32 s0, s38, exec_lo
	s_waitcnt vmcnt(0)
	v_cmp_ne_u16_e32 vcc_lo, v37, v38
	s_and_b32 s38, vcc_lo, exec_lo
	s_delay_alu instid0(SALU_CYCLE_1)
	s_or_b32 s38, s0, s38
.LBB731_341:                            ;   in Loop: Header=BB731_342 Depth=1
	v_dual_mov_b32 v38, s7 :: v_dual_mov_b32 v37, s6
	s_and_b32 s0, exec_lo, s38
	s_delay_alu instid0(SALU_CYCLE_1) | instskip(NEXT) | instid1(SALU_CYCLE_1)
	s_or_b32 s37, s0, s37
	s_and_not1_b32 exec_lo, exec_lo, s37
	s_cbranch_execz .LBB731_344
.LBB731_342:                            ; =>This Inner Loop Header: Depth=1
	s_or_b32 s38, s38, exec_lo
	s_cmp_eq_u64 s[4:5], s[6:7]
	s_cbranch_scc0 .LBB731_340
; %bb.343:                              ;   in Loop: Header=BB731_342 Depth=1
	s_mov_b64 s[6:7], s[14:15]
                                        ; implicit-def: $vgpr33_vgpr34
                                        ; implicit-def: $vgpr35_vgpr36
	s_branch .LBB731_341
.LBB731_344:
	s_set_inst_prefetch_distance 0x2
	s_or_b32 exec_lo, exec_lo, s37
	v_cmp_gt_i64_e32 vcc_lo, s[14:15], v[37:38]
	s_or_not1_b32 s0, vcc_lo, exec_lo
.LBB731_345:
	s_or_b32 exec_lo, exec_lo, s34
.LBB731_346:
	s_delay_alu instid0(SALU_CYCLE_1)
	s_and_b32 s34, s0, exec_lo
.LBB731_347:
	s_or_b32 exec_lo, exec_lo, s36
	v_or_b32_e32 v33, 2, v55
	s_mov_b32 s36, exec_lo
	s_delay_alu instid0(VALU_DEP_1)
	v_cmpx_gt_u32_e64 s31, v33
	s_cbranch_execz .LBB731_358
; %bb.348:
	s_and_not1_b32 vcc_lo, exec_lo, s13
	s_mov_b32 s0, 0
	s_cbranch_vccnz .LBB731_357
; %bb.349:
	v_mul_lo_u32 v37, v32, s14
	v_mul_lo_u32 v38, v31, s15
	v_mad_u64_u32 v[33:34], null, v31, s14, 0
	v_mul_lo_u32 v39, v26, s14
	v_mul_lo_u32 v40, v25, s15
	v_mad_u64_u32 v[35:36], null, v25, s14, 0
	s_mov_b32 s0, -1
	s_mov_b32 s35, exec_lo
	s_delay_alu instid0(VALU_DEP_4) | instskip(NEXT) | instid1(VALU_DEP_2)
	v_add3_u32 v34, v34, v38, v37
	v_add3_u32 v36, v36, v40, v39
	s_delay_alu instid0(VALU_DEP_2) | instskip(NEXT) | instid1(VALU_DEP_2)
	v_lshlrev_b64 v[33:34], 1, v[33:34]
	v_lshlrev_b64 v[37:38], 1, v[35:36]
	s_delay_alu instid0(VALU_DEP_2) | instskip(NEXT) | instid1(VALU_DEP_3)
	v_add_co_u32 v35, vcc_lo, s20, v33
	v_add_co_ci_u32_e32 v36, vcc_lo, s21, v34, vcc_lo
	s_delay_alu instid0(VALU_DEP_3) | instskip(NEXT) | instid1(VALU_DEP_4)
	v_add_co_u32 v33, vcc_lo, s20, v37
	v_add_co_ci_u32_e32 v34, vcc_lo, s21, v38, vcc_lo
	s_clause 0x1
	global_load_u16 v37, v[35:36], off
	global_load_u16 v38, v[33:34], off
	s_waitcnt vmcnt(0)
	v_cmpx_eq_u16_e64 v37, v38
	s_cbranch_execz .LBB731_356
; %bb.350:
	v_add_co_u32 v33, vcc_lo, v33, 2
	v_add_co_ci_u32_e32 v34, vcc_lo, 0, v34, vcc_lo
	v_add_co_u32 v35, vcc_lo, v35, 2
	v_add_co_ci_u32_e32 v36, vcc_lo, 0, v36, vcc_lo
	s_add_u32 s4, s14, -1
	s_addc_u32 s5, s15, -1
	s_mov_b64 s[6:7], 0
	s_mov_b32 s37, 0
                                        ; implicit-def: $sgpr38
	s_set_inst_prefetch_distance 0x1
	s_branch .LBB731_353
	.p2align	6
.LBB731_351:                            ;   in Loop: Header=BB731_353 Depth=1
	global_load_u16 v37, v[35:36], off
	global_load_u16 v38, v[33:34], off
	v_add_co_u32 v33, vcc_lo, v33, 2
	v_add_co_ci_u32_e32 v34, vcc_lo, 0, v34, vcc_lo
	v_add_co_u32 v35, s0, v35, 2
	s_delay_alu instid0(VALU_DEP_1)
	v_add_co_ci_u32_e64 v36, s0, 0, v36, s0
	s_add_u32 s6, s6, 1
	s_addc_u32 s7, s7, 0
	s_and_not1_b32 s0, s38, exec_lo
	s_waitcnt vmcnt(0)
	v_cmp_ne_u16_e32 vcc_lo, v37, v38
	s_and_b32 s38, vcc_lo, exec_lo
	s_delay_alu instid0(SALU_CYCLE_1)
	s_or_b32 s38, s0, s38
.LBB731_352:                            ;   in Loop: Header=BB731_353 Depth=1
	v_dual_mov_b32 v38, s7 :: v_dual_mov_b32 v37, s6
	s_and_b32 s0, exec_lo, s38
	s_delay_alu instid0(SALU_CYCLE_1) | instskip(NEXT) | instid1(SALU_CYCLE_1)
	s_or_b32 s37, s0, s37
	s_and_not1_b32 exec_lo, exec_lo, s37
	s_cbranch_execz .LBB731_355
.LBB731_353:                            ; =>This Inner Loop Header: Depth=1
	s_or_b32 s38, s38, exec_lo
	s_cmp_eq_u64 s[4:5], s[6:7]
	s_cbranch_scc0 .LBB731_351
; %bb.354:                              ;   in Loop: Header=BB731_353 Depth=1
	s_mov_b64 s[6:7], s[14:15]
                                        ; implicit-def: $vgpr33_vgpr34
                                        ; implicit-def: $vgpr35_vgpr36
	s_branch .LBB731_352
.LBB731_355:
	s_set_inst_prefetch_distance 0x2
	s_or_b32 exec_lo, exec_lo, s37
	v_cmp_gt_i64_e32 vcc_lo, s[14:15], v[37:38]
	s_or_not1_b32 s0, vcc_lo, exec_lo
.LBB731_356:
	s_or_b32 exec_lo, exec_lo, s35
.LBB731_357:
	s_delay_alu instid0(SALU_CYCLE_1)
	s_and_b32 s35, s0, exec_lo
.LBB731_358:
	s_or_b32 exec_lo, exec_lo, s36
	v_or_b32_e32 v33, 1, v55
	s_mov_b32 s0, 0
	s_mov_b32 s36, exec_lo
	s_delay_alu instid0(VALU_DEP_1)
	v_cmpx_gt_u32_e64 s31, v33
	s_cbranch_execz .LBB731_369
; %bb.359:
	s_and_not1_b32 vcc_lo, exec_lo, s13
	s_cbranch_vccnz .LBB731_368
; %bb.360:
	v_mul_lo_u32 v37, v30, s14
	v_mul_lo_u32 v38, v29, s15
	v_mad_u64_u32 v[33:34], null, v29, s14, 0
	v_mul_lo_u32 v39, v32, s14
	v_mul_lo_u32 v40, v31, s15
	v_mad_u64_u32 v[35:36], null, v31, s14, 0
	s_mov_b32 s0, -1
	s_mov_b32 s37, exec_lo
	s_delay_alu instid0(VALU_DEP_4) | instskip(NEXT) | instid1(VALU_DEP_2)
	v_add3_u32 v34, v34, v38, v37
	v_add3_u32 v36, v36, v40, v39
	s_delay_alu instid0(VALU_DEP_2) | instskip(NEXT) | instid1(VALU_DEP_2)
	v_lshlrev_b64 v[33:34], 1, v[33:34]
	v_lshlrev_b64 v[37:38], 1, v[35:36]
	s_delay_alu instid0(VALU_DEP_2) | instskip(NEXT) | instid1(VALU_DEP_3)
	v_add_co_u32 v35, vcc_lo, s20, v33
	v_add_co_ci_u32_e32 v36, vcc_lo, s21, v34, vcc_lo
	s_delay_alu instid0(VALU_DEP_3) | instskip(NEXT) | instid1(VALU_DEP_4)
	v_add_co_u32 v33, vcc_lo, s20, v37
	v_add_co_ci_u32_e32 v34, vcc_lo, s21, v38, vcc_lo
	s_clause 0x1
	global_load_u16 v37, v[35:36], off
	global_load_u16 v38, v[33:34], off
	s_waitcnt vmcnt(0)
	v_cmpx_eq_u16_e64 v37, v38
	s_cbranch_execz .LBB731_367
; %bb.361:
	v_add_co_u32 v33, vcc_lo, v33, 2
	v_add_co_ci_u32_e32 v34, vcc_lo, 0, v34, vcc_lo
	v_add_co_u32 v35, vcc_lo, v35, 2
	v_add_co_ci_u32_e32 v36, vcc_lo, 0, v36, vcc_lo
	s_add_u32 s4, s14, -1
	s_addc_u32 s5, s15, -1
	s_mov_b64 s[6:7], 0
	s_mov_b32 s38, 0
                                        ; implicit-def: $sgpr39
	s_set_inst_prefetch_distance 0x1
	s_branch .LBB731_364
	.p2align	6
.LBB731_362:                            ;   in Loop: Header=BB731_364 Depth=1
	global_load_u16 v37, v[35:36], off
	global_load_u16 v38, v[33:34], off
	v_add_co_u32 v33, vcc_lo, v33, 2
	v_add_co_ci_u32_e32 v34, vcc_lo, 0, v34, vcc_lo
	v_add_co_u32 v35, s0, v35, 2
	s_delay_alu instid0(VALU_DEP_1)
	v_add_co_ci_u32_e64 v36, s0, 0, v36, s0
	s_add_u32 s6, s6, 1
	s_addc_u32 s7, s7, 0
	s_and_not1_b32 s0, s39, exec_lo
	s_waitcnt vmcnt(0)
	v_cmp_ne_u16_e32 vcc_lo, v37, v38
	s_and_b32 s39, vcc_lo, exec_lo
	s_delay_alu instid0(SALU_CYCLE_1)
	s_or_b32 s39, s0, s39
.LBB731_363:                            ;   in Loop: Header=BB731_364 Depth=1
	v_dual_mov_b32 v38, s7 :: v_dual_mov_b32 v37, s6
	s_and_b32 s0, exec_lo, s39
	s_delay_alu instid0(SALU_CYCLE_1) | instskip(NEXT) | instid1(SALU_CYCLE_1)
	s_or_b32 s38, s0, s38
	s_and_not1_b32 exec_lo, exec_lo, s38
	s_cbranch_execz .LBB731_366
.LBB731_364:                            ; =>This Inner Loop Header: Depth=1
	s_or_b32 s39, s39, exec_lo
	s_cmp_eq_u64 s[4:5], s[6:7]
	s_cbranch_scc0 .LBB731_362
; %bb.365:                              ;   in Loop: Header=BB731_364 Depth=1
	s_mov_b64 s[6:7], s[14:15]
                                        ; implicit-def: $vgpr33_vgpr34
                                        ; implicit-def: $vgpr35_vgpr36
	s_branch .LBB731_363
.LBB731_366:
	s_set_inst_prefetch_distance 0x2
	s_or_b32 exec_lo, exec_lo, s38
	v_cmp_gt_i64_e32 vcc_lo, s[14:15], v[37:38]
	s_or_not1_b32 s0, vcc_lo, exec_lo
.LBB731_367:
	s_or_b32 exec_lo, exec_lo, s37
.LBB731_368:
	s_delay_alu instid0(SALU_CYCLE_1)
	s_and_b32 s0, s0, exec_lo
.LBB731_369:
	s_or_b32 exec_lo, exec_lo, s36
	v_cndmask_b32_e64 v34, 0, 1, s34
	v_cndmask_b32_e64 v35, 0, 1, s27
	v_cndmask_b32_e64 v36, 0, 1, s25
	v_cndmask_b32_e64 v37, 0, 1, s0
	v_cndmask_b32_e64 v33, 0, 1, s35
	v_cndmask_b32_e64 v38, 0, 1, s26
	v_cndmask_b32_e64 v39, 0, 1, s24
	v_lshlrev_b16 v35, 8, v35
	v_lshlrev_b16 v36, 8, v36
	;; [unrolled: 1-line block ×4, first 2 shown]
	s_waitcnt lgkmcnt(0)
	v_or_b32_e32 v35, v38, v35
	v_or_b32_e32 v36, v39, v36
	;; [unrolled: 1-line block ×4, first 2 shown]
	s_barrier
	v_and_b32_e32 v34, 0xffff, v35
	v_lshlrev_b32_e32 v35, 16, v36
	v_and_b32_e32 v37, 0xffff, v37
	v_lshlrev_b32_e32 v33, 16, v33
	buffer_gl0_inv
                                        ; implicit-def: $sgpr0
	v_or_b32_e32 v36, v34, v35
	v_or_b32_e32 v35, v37, v33
	s_and_saveexec_b32 s24, s3
	s_cbranch_execz .LBB731_382
; %bb.370:
	s_mov_b32 s0, 0
	s_mov_b32 s3, exec_lo
	v_cmpx_gt_u32_e64 s31, v55
	s_cbranch_execz .LBB731_381
; %bb.371:
	s_and_not1_b32 vcc_lo, exec_lo, s13
	s_cbranch_vccnz .LBB731_380
; %bb.372:
	v_add_nc_u32_e32 v33, -8, v55
	v_mul_lo_u32 v41, v30, s14
	v_mul_lo_u32 v42, v29, s15
	s_mov_b32 s0, -1
	s_mov_b32 s13, exec_lo
	ds_load_b64 v[33:34], v33
	s_waitcnt lgkmcnt(0)
	v_mul_lo_u32 v39, v34, s14
	v_mul_lo_u32 v40, v33, s15
	v_mad_u64_u32 v[37:38], null, v33, s14, 0
	v_mad_u64_u32 v[33:34], null, v29, s14, 0
	s_delay_alu instid0(VALU_DEP_2) | instskip(NEXT) | instid1(VALU_DEP_2)
	v_add3_u32 v38, v38, v40, v39
	v_add3_u32 v34, v34, v42, v41
	s_delay_alu instid0(VALU_DEP_2) | instskip(NEXT) | instid1(VALU_DEP_2)
	v_lshlrev_b64 v[37:38], 1, v[37:38]
	v_lshlrev_b64 v[33:34], 1, v[33:34]
	s_delay_alu instid0(VALU_DEP_2) | instskip(NEXT) | instid1(VALU_DEP_3)
	v_add_co_u32 v37, vcc_lo, s20, v37
	v_add_co_ci_u32_e32 v38, vcc_lo, s21, v38, vcc_lo
	s_delay_alu instid0(VALU_DEP_3) | instskip(NEXT) | instid1(VALU_DEP_4)
	v_add_co_u32 v33, vcc_lo, s20, v33
	v_add_co_ci_u32_e32 v34, vcc_lo, s21, v34, vcc_lo
	s_clause 0x1
	global_load_u16 v39, v[37:38], off
	global_load_u16 v40, v[33:34], off
	s_waitcnt vmcnt(0)
	v_cmpx_eq_u16_e64 v39, v40
	s_cbranch_execz .LBB731_379
; %bb.373:
	v_add_co_u32 v33, vcc_lo, v33, 2
	v_add_co_ci_u32_e32 v34, vcc_lo, 0, v34, vcc_lo
	v_add_co_u32 v37, vcc_lo, v37, 2
	v_add_co_ci_u32_e32 v38, vcc_lo, 0, v38, vcc_lo
	s_add_u32 s4, s14, -1
	s_addc_u32 s5, s15, -1
	s_mov_b64 s[6:7], 0
	s_mov_b32 s20, 0
                                        ; implicit-def: $sgpr21
	s_set_inst_prefetch_distance 0x1
	s_branch .LBB731_376
	.p2align	6
.LBB731_374:                            ;   in Loop: Header=BB731_376 Depth=1
	global_load_u16 v39, v[37:38], off
	global_load_u16 v40, v[33:34], off
	v_add_co_u32 v33, vcc_lo, v33, 2
	v_add_co_ci_u32_e32 v34, vcc_lo, 0, v34, vcc_lo
	v_add_co_u32 v37, s0, v37, 2
	s_delay_alu instid0(VALU_DEP_1)
	v_add_co_ci_u32_e64 v38, s0, 0, v38, s0
	s_add_u32 s6, s6, 1
	s_addc_u32 s7, s7, 0
	s_and_not1_b32 s0, s21, exec_lo
	s_waitcnt vmcnt(0)
	v_cmp_ne_u16_e32 vcc_lo, v39, v40
	s_and_b32 s21, vcc_lo, exec_lo
	s_delay_alu instid0(SALU_CYCLE_1)
	s_or_b32 s21, s0, s21
.LBB731_375:                            ;   in Loop: Header=BB731_376 Depth=1
	v_dual_mov_b32 v40, s7 :: v_dual_mov_b32 v39, s6
	s_and_b32 s0, exec_lo, s21
	s_delay_alu instid0(SALU_CYCLE_1) | instskip(NEXT) | instid1(SALU_CYCLE_1)
	s_or_b32 s20, s0, s20
	s_and_not1_b32 exec_lo, exec_lo, s20
	s_cbranch_execz .LBB731_378
.LBB731_376:                            ; =>This Inner Loop Header: Depth=1
	s_or_b32 s21, s21, exec_lo
	s_cmp_eq_u64 s[4:5], s[6:7]
	s_cbranch_scc0 .LBB731_374
; %bb.377:                              ;   in Loop: Header=BB731_376 Depth=1
	s_mov_b64 s[6:7], s[14:15]
                                        ; implicit-def: $vgpr33_vgpr34
                                        ; implicit-def: $vgpr37_vgpr38
	s_branch .LBB731_375
.LBB731_378:
	s_set_inst_prefetch_distance 0x2
	s_or_b32 exec_lo, exec_lo, s20
	v_cmp_gt_i64_e32 vcc_lo, s[14:15], v[39:40]
	s_or_not1_b32 s0, vcc_lo, exec_lo
.LBB731_379:
	s_or_b32 exec_lo, exec_lo, s13
.LBB731_380:
	s_delay_alu instid0(SALU_CYCLE_1)
	s_and_b32 s0, s0, exec_lo
.LBB731_381:
	s_or_b32 exec_lo, exec_lo, s3
	s_delay_alu instid0(SALU_CYCLE_1)
	s_and_b32 s0, s0, exec_lo
	s_or_b32 s1, s1, exec_lo
.LBB731_382:
	s_or_b32 exec_lo, exec_lo, s24
.LBB731_383:
	s_and_saveexec_b32 s3, s1
	s_cbranch_execz .LBB731_385
; %bb.384:
	s_waitcnt vmcnt(0) lgkmcnt(0)
	v_and_b32_e32 v33, 0xffffff00, v35
	v_cndmask_b32_e64 v34, 0, 1, s0
	s_delay_alu instid0(VALU_DEP_1) | instskip(NEXT) | instid1(VALU_DEP_1)
	v_or_b32_e32 v33, v34, v33
	v_and_b32_e32 v33, 0xffff, v33
	s_delay_alu instid0(VALU_DEP_1)
	v_and_or_b32 v35, 0xffff0000, v35, v33
.LBB731_385:
	s_or_b32 exec_lo, exec_lo, s3
	s_delay_alu instid0(SALU_CYCLE_1)
	s_and_not1_b32 vcc_lo, exec_lo, s33
	s_cbranch_vccnz .LBB731_387
; %bb.386:
	v_cmp_gt_u32_e32 vcc_lo, s31, v55
	s_waitcnt vmcnt(0) lgkmcnt(0)
	v_or_b32_e32 v34, 1, v55
	v_and_b32_e32 v37, 0xffffff00, v36
	v_or_b32_e32 v38, 2, v55
	v_cndmask_b32_e32 v33, 0, v35, vcc_lo
	s_delay_alu instid0(VALU_DEP_4) | instskip(SKIP_1) | instid1(VALU_DEP_4)
	v_cmp_gt_u32_e32 vcc_lo, s31, v34
	v_or_b32_e32 v34, 4, v55
	v_cmp_gt_u32_e64 s0, s31, v38
	v_or_b32_e32 v38, 3, v55
	v_and_b32_e32 v33, 0xff, v33
	s_delay_alu instid0(VALU_DEP_2) | instskip(NEXT) | instid1(VALU_DEP_2)
	v_cmp_gt_u32_e64 s1, s31, v38
	v_cndmask_b32_e32 v33, v33, v35, vcc_lo
	v_cmp_gt_u32_e32 vcc_lo, s31, v34
	v_cndmask_b32_e32 v34, v37, v36, vcc_lo
	v_or_b32_e32 v37, 5, v55
	s_delay_alu instid0(VALU_DEP_2) | instskip(SKIP_1) | instid1(VALU_DEP_1)
	v_and_b32_e32 v34, 0xffff00ff, v34
	v_and_b32_e32 v33, 0xffff, v33
	v_cndmask_b32_e64 v33, v33, v35, s0
	s_delay_alu instid0(VALU_DEP_4) | instskip(SKIP_1) | instid1(VALU_DEP_3)
	v_cmp_gt_u32_e64 s0, s31, v37
	v_or_b32_e32 v37, 6, v55
	v_and_b32_e32 v33, 0xffffff, v33
	s_delay_alu instid0(VALU_DEP_3) | instskip(NEXT) | instid1(VALU_DEP_2)
	v_cndmask_b32_e64 v34, v34, v36, s0
	v_cndmask_b32_e64 v33, v33, v35, s1
	s_delay_alu instid0(VALU_DEP_1) | instskip(SKIP_2) | instid1(VALU_DEP_3)
	v_dual_cndmask_b32 v33, v33, v35 :: v_dual_and_b32 v34, 0xff00ffff, v34
	v_cmp_gt_u32_e32 vcc_lo, s31, v37
	v_or_b32_e32 v37, 7, v55
	v_cndmask_b32_e64 v33, v33, v35, s0
	s_delay_alu instid0(VALU_DEP_1) | instskip(NEXT) | instid1(VALU_DEP_1)
	v_dual_cndmask_b32 v34, v34, v36 :: v_dual_cndmask_b32 v33, v33, v35
	v_and_b32_e32 v34, 0xffffff, v34
	s_delay_alu instid0(VALU_DEP_4) | instskip(NEXT) | instid1(VALU_DEP_2)
	v_cmp_gt_u32_e32 vcc_lo, s31, v37
	v_dual_cndmask_b32 v36, v34, v36 :: v_dual_cndmask_b32 v35, v33, v35
.LBB731_387:
	s_delay_alu instid0(VALU_DEP_1) | instskip(SKIP_1) | instid1(VALU_DEP_2)
	v_and_b32_e32 v44, 0xff, v35
	s_waitcnt vmcnt(0) lgkmcnt(0)
	v_alignbit_b32 v33, v36, v35, 24
	v_bfe_u32 v46, v35, 8, 8
	v_bfe_u32 v48, v35, 16, 8
	v_and_b32_e32 v52, 0xff, v36
	v_bfe_u32 v54, v36, 8, 8
	v_and_b32_e32 v50, 0xff, v33
	v_add_nc_u32_e32 v33, v46, v44
	v_mbcnt_lo_u32_b32 v58, -1, 0
	v_bfe_u32 v57, v36, 16, 8
	v_lshrrev_b32_e32 v56, 24, v36
	v_lshrrev_b32_e32 v59, 5, v0
	v_add3_u32 v33, v33, v48, v50
	v_and_b32_e32 v34, 15, v58
	v_and_b32_e32 v37, 16, v58
	s_and_b32 vcc_lo, exec_lo, s12
	s_mov_b32 s7, -1
	v_add3_u32 v33, v33, v52, v54
	v_cmp_eq_u32_e64 s3, 0, v34
	v_cmp_lt_u32_e64 s0, 1, v34
	v_cmp_lt_u32_e64 s4, 3, v34
	v_cmp_lt_u32_e64 s1, 7, v34
	v_add3_u32 v60, v33, v57, v56
	v_or_b32_e32 v33, 31, v0
	v_cmp_eq_u32_e64 s6, 0, v37
	s_barrier
	buffer_gl0_inv
	v_cmp_eq_u32_e64 s5, v33, v0
	s_cbranch_vccz .LBB731_418
; %bb.388:
	v_mov_b32_dpp v33, v60 row_shr:1 row_mask:0xf bank_mask:0xf
	s_delay_alu instid0(VALU_DEP_1) | instskip(NEXT) | instid1(VALU_DEP_1)
	v_cndmask_b32_e64 v33, v33, 0, s3
	v_add_nc_u32_e32 v33, v33, v60
	s_delay_alu instid0(VALU_DEP_1) | instskip(NEXT) | instid1(VALU_DEP_1)
	v_mov_b32_dpp v34, v33 row_shr:2 row_mask:0xf bank_mask:0xf
	v_cndmask_b32_e64 v34, 0, v34, s0
	s_delay_alu instid0(VALU_DEP_1) | instskip(NEXT) | instid1(VALU_DEP_1)
	v_add_nc_u32_e32 v33, v33, v34
	v_mov_b32_dpp v34, v33 row_shr:4 row_mask:0xf bank_mask:0xf
	s_delay_alu instid0(VALU_DEP_1) | instskip(NEXT) | instid1(VALU_DEP_1)
	v_cndmask_b32_e64 v34, 0, v34, s4
	v_add_nc_u32_e32 v33, v33, v34
	s_delay_alu instid0(VALU_DEP_1) | instskip(NEXT) | instid1(VALU_DEP_1)
	v_mov_b32_dpp v34, v33 row_shr:8 row_mask:0xf bank_mask:0xf
	v_cndmask_b32_e64 v34, 0, v34, s1
	s_delay_alu instid0(VALU_DEP_1) | instskip(SKIP_3) | instid1(VALU_DEP_1)
	v_add_nc_u32_e32 v33, v33, v34
	ds_swizzle_b32 v34, v33 offset:swizzle(BROADCAST,32,15)
	s_waitcnt lgkmcnt(0)
	v_cndmask_b32_e64 v34, v34, 0, s6
	v_add_nc_u32_e32 v33, v33, v34
	s_and_saveexec_b32 s7, s5
	s_cbranch_execz .LBB731_390
; %bb.389:
	v_lshlrev_b32_e32 v34, 2, v59
	ds_store_b32 v34, v33
.LBB731_390:
	s_or_b32 exec_lo, exec_lo, s7
	s_delay_alu instid0(SALU_CYCLE_1)
	s_mov_b32 s7, exec_lo
	s_waitcnt lgkmcnt(0)
	s_barrier
	buffer_gl0_inv
	v_cmpx_gt_u32_e32 16, v0
	s_cbranch_execz .LBB731_392
; %bb.391:
	v_lshlrev_b32_e32 v34, 2, v0
	ds_load_b32 v37, v34
	s_waitcnt lgkmcnt(0)
	v_mov_b32_dpp v38, v37 row_shr:1 row_mask:0xf bank_mask:0xf
	s_delay_alu instid0(VALU_DEP_1) | instskip(NEXT) | instid1(VALU_DEP_1)
	v_cndmask_b32_e64 v38, v38, 0, s3
	v_add_nc_u32_e32 v37, v38, v37
	s_delay_alu instid0(VALU_DEP_1) | instskip(NEXT) | instid1(VALU_DEP_1)
	v_mov_b32_dpp v38, v37 row_shr:2 row_mask:0xf bank_mask:0xf
	v_cndmask_b32_e64 v38, 0, v38, s0
	s_delay_alu instid0(VALU_DEP_1) | instskip(NEXT) | instid1(VALU_DEP_1)
	v_add_nc_u32_e32 v37, v37, v38
	v_mov_b32_dpp v38, v37 row_shr:4 row_mask:0xf bank_mask:0xf
	s_delay_alu instid0(VALU_DEP_1) | instskip(NEXT) | instid1(VALU_DEP_1)
	v_cndmask_b32_e64 v38, 0, v38, s4
	v_add_nc_u32_e32 v37, v37, v38
	s_delay_alu instid0(VALU_DEP_1) | instskip(NEXT) | instid1(VALU_DEP_1)
	v_mov_b32_dpp v38, v37 row_shr:8 row_mask:0xf bank_mask:0xf
	v_cndmask_b32_e64 v38, 0, v38, s1
	s_delay_alu instid0(VALU_DEP_1)
	v_add_nc_u32_e32 v37, v37, v38
	ds_store_b32 v34, v37
.LBB731_392:
	s_or_b32 exec_lo, exec_lo, s7
	v_cmp_gt_u32_e32 vcc_lo, 32, v0
	s_mov_b32 s12, exec_lo
	s_waitcnt lgkmcnt(0)
	s_barrier
	buffer_gl0_inv
                                        ; implicit-def: $vgpr43
	v_cmpx_lt_u32_e32 31, v0
	s_cbranch_execz .LBB731_394
; %bb.393:
	v_lshl_add_u32 v34, v59, 2, -4
	ds_load_b32 v43, v34
	s_waitcnt lgkmcnt(0)
	v_add_nc_u32_e32 v33, v43, v33
.LBB731_394:
	s_or_b32 exec_lo, exec_lo, s12
	v_add_nc_u32_e32 v34, -1, v58
	s_delay_alu instid0(VALU_DEP_1) | instskip(NEXT) | instid1(VALU_DEP_1)
	v_cmp_gt_i32_e64 s7, 0, v34
	v_cndmask_b32_e64 v34, v34, v58, s7
	v_cmp_eq_u32_e64 s7, 0, v58
	s_delay_alu instid0(VALU_DEP_2)
	v_lshlrev_b32_e32 v34, 2, v34
	ds_bpermute_b32 v45, v34, v33
	s_and_saveexec_b32 s12, vcc_lo
	s_cbranch_execz .LBB731_417
; %bb.395:
	v_mov_b32_e32 v39, 0
	ds_load_b32 v33, v39 offset:60
	s_and_saveexec_b32 s13, s7
	s_cbranch_execz .LBB731_397
; %bb.396:
	s_add_i32 s14, s30, 32
	s_mov_b32 s15, 0
	v_mov_b32_e32 v34, 1
	s_lshl_b64 s[14:15], s[14:15], 3
	s_delay_alu instid0(SALU_CYCLE_1)
	s_add_u32 s14, s22, s14
	s_addc_u32 s15, s23, s15
	s_waitcnt lgkmcnt(0)
	global_store_b64 v39, v[33:34], s[14:15]
.LBB731_397:
	s_or_b32 exec_lo, exec_lo, s13
	v_xad_u32 v37, v58, -1, s30
	s_mov_b32 s14, 0
	s_mov_b32 s13, exec_lo
	s_delay_alu instid0(VALU_DEP_1) | instskip(NEXT) | instid1(VALU_DEP_1)
	v_add_nc_u32_e32 v38, 32, v37
	v_lshlrev_b64 v[38:39], 3, v[38:39]
	s_delay_alu instid0(VALU_DEP_1) | instskip(NEXT) | instid1(VALU_DEP_2)
	v_add_co_u32 v41, vcc_lo, s22, v38
	v_add_co_ci_u32_e32 v42, vcc_lo, s23, v39, vcc_lo
	global_load_b64 v[39:40], v[41:42], off glc
	s_waitcnt vmcnt(0)
	v_and_b32_e32 v34, 0xff, v40
	s_delay_alu instid0(VALU_DEP_1)
	v_cmpx_eq_u16_e32 0, v34
	s_cbranch_execz .LBB731_403
; %bb.398:
	s_mov_b32 s15, 1
	.p2align	6
.LBB731_399:                            ; =>This Loop Header: Depth=1
                                        ;     Child Loop BB731_400 Depth 2
	s_delay_alu instid0(SALU_CYCLE_1)
	s_max_u32 s20, s15, 1
.LBB731_400:                            ;   Parent Loop BB731_399 Depth=1
                                        ; =>  This Inner Loop Header: Depth=2
	s_delay_alu instid0(SALU_CYCLE_1)
	s_add_i32 s20, s20, -1
	s_sleep 1
	s_cmp_eq_u32 s20, 0
	s_cbranch_scc0 .LBB731_400
; %bb.401:                              ;   in Loop: Header=BB731_399 Depth=1
	global_load_b64 v[39:40], v[41:42], off glc
	s_cmp_lt_u32 s15, 32
	s_cselect_b32 s20, -1, 0
	s_delay_alu instid0(SALU_CYCLE_1) | instskip(SKIP_3) | instid1(VALU_DEP_1)
	s_cmp_lg_u32 s20, 0
	s_addc_u32 s15, s15, 0
	s_waitcnt vmcnt(0)
	v_and_b32_e32 v34, 0xff, v40
	v_cmp_ne_u16_e32 vcc_lo, 0, v34
	s_or_b32 s14, vcc_lo, s14
	s_delay_alu instid0(SALU_CYCLE_1)
	s_and_not1_b32 exec_lo, exec_lo, s14
	s_cbranch_execnz .LBB731_399
; %bb.402:
	s_or_b32 exec_lo, exec_lo, s14
.LBB731_403:
	s_delay_alu instid0(SALU_CYCLE_1)
	s_or_b32 exec_lo, exec_lo, s13
	v_cmp_ne_u32_e32 vcc_lo, 31, v58
	v_and_b32_e32 v38, 0xff, v40
	v_lshlrev_b32_e64 v47, v58, -1
	v_add_nc_u32_e32 v51, 2, v58
	v_add_nc_u32_e32 v61, 4, v58
	v_add_co_ci_u32_e32 v34, vcc_lo, 0, v58, vcc_lo
	v_cmp_eq_u16_e32 vcc_lo, 2, v38
	v_add_nc_u32_e32 v64, 8, v58
	v_add_nc_u32_e32 v66, 16, v58
	v_and_or_b32 v38, vcc_lo, v47, 0x80000000
	v_cmp_gt_u32_e32 vcc_lo, 30, v58
	s_delay_alu instid0(VALU_DEP_2) | instskip(SKIP_1) | instid1(VALU_DEP_2)
	v_ctz_i32_b32_e32 v38, v38
	v_cndmask_b32_e64 v42, 0, 1, vcc_lo
	v_cmp_lt_u32_e32 vcc_lo, v58, v38
	v_lshlrev_b32_e32 v34, 2, v34
	s_delay_alu instid0(VALU_DEP_3)
	v_lshlrev_b32_e32 v42, 1, v42
	ds_bpermute_b32 v41, v34, v39
	v_add_lshl_u32 v49, v42, v58, 2
	s_waitcnt lgkmcnt(0)
	v_cndmask_b32_e32 v41, 0, v41, vcc_lo
	v_cmp_gt_u32_e32 vcc_lo, 28, v58
	s_delay_alu instid0(VALU_DEP_2) | instskip(SKIP_4) | instid1(VALU_DEP_1)
	v_add_nc_u32_e32 v39, v41, v39
	v_cndmask_b32_e64 v42, 0, 1, vcc_lo
	v_cmp_le_u32_e32 vcc_lo, v51, v38
	ds_bpermute_b32 v41, v49, v39
	v_lshlrev_b32_e32 v42, 2, v42
	v_add_lshl_u32 v53, v42, v58, 2
	s_waitcnt lgkmcnt(0)
	v_cndmask_b32_e32 v41, 0, v41, vcc_lo
	v_cmp_gt_u32_e32 vcc_lo, 24, v58
	s_delay_alu instid0(VALU_DEP_2) | instskip(SKIP_4) | instid1(VALU_DEP_1)
	v_add_nc_u32_e32 v39, v39, v41
	v_cndmask_b32_e64 v42, 0, 1, vcc_lo
	v_cmp_le_u32_e32 vcc_lo, v61, v38
	ds_bpermute_b32 v41, v53, v39
	v_lshlrev_b32_e32 v42, 3, v42
	;; [unrolled: 10-line block ×3, first 2 shown]
	v_add_lshl_u32 v65, v42, v58, 2
	s_waitcnt lgkmcnt(0)
	v_cndmask_b32_e32 v41, 0, v41, vcc_lo
	v_cmp_le_u32_e32 vcc_lo, v66, v38
	s_delay_alu instid0(VALU_DEP_2) | instskip(SKIP_3) | instid1(VALU_DEP_1)
	v_add_nc_u32_e32 v39, v39, v41
	ds_bpermute_b32 v41, v65, v39
	s_waitcnt lgkmcnt(0)
	v_cndmask_b32_e32 v38, 0, v41, vcc_lo
	v_dual_mov_b32 v38, 0 :: v_dual_add_nc_u32 v39, v39, v38
	s_branch .LBB731_405
.LBB731_404:                            ;   in Loop: Header=BB731_405 Depth=1
	s_or_b32 exec_lo, exec_lo, s13
	ds_bpermute_b32 v42, v34, v39
	v_and_b32_e32 v41, 0xff, v40
	v_subrev_nc_u32_e32 v37, 32, v37
	s_delay_alu instid0(VALU_DEP_2) | instskip(SKIP_1) | instid1(VALU_DEP_1)
	v_cmp_eq_u16_e32 vcc_lo, 2, v41
	v_and_or_b32 v41, vcc_lo, v47, 0x80000000
	v_ctz_i32_b32_e32 v41, v41
	s_delay_alu instid0(VALU_DEP_1) | instskip(SKIP_3) | instid1(VALU_DEP_2)
	v_cmp_lt_u32_e32 vcc_lo, v58, v41
	s_waitcnt lgkmcnt(0)
	v_cndmask_b32_e32 v42, 0, v42, vcc_lo
	v_cmp_le_u32_e32 vcc_lo, v51, v41
	v_add_nc_u32_e32 v39, v42, v39
	ds_bpermute_b32 v42, v49, v39
	s_waitcnt lgkmcnt(0)
	v_cndmask_b32_e32 v42, 0, v42, vcc_lo
	v_cmp_le_u32_e32 vcc_lo, v61, v41
	s_delay_alu instid0(VALU_DEP_2) | instskip(SKIP_4) | instid1(VALU_DEP_2)
	v_add_nc_u32_e32 v39, v39, v42
	ds_bpermute_b32 v42, v53, v39
	s_waitcnt lgkmcnt(0)
	v_cndmask_b32_e32 v42, 0, v42, vcc_lo
	v_cmp_le_u32_e32 vcc_lo, v64, v41
	v_add_nc_u32_e32 v39, v39, v42
	ds_bpermute_b32 v42, v63, v39
	s_waitcnt lgkmcnt(0)
	v_cndmask_b32_e32 v42, 0, v42, vcc_lo
	v_cmp_le_u32_e32 vcc_lo, v66, v41
	s_delay_alu instid0(VALU_DEP_2) | instskip(SKIP_3) | instid1(VALU_DEP_1)
	v_add_nc_u32_e32 v39, v39, v42
	ds_bpermute_b32 v42, v65, v39
	s_waitcnt lgkmcnt(0)
	v_cndmask_b32_e32 v41, 0, v42, vcc_lo
	v_add3_u32 v39, v41, v62, v39
.LBB731_405:                            ; =>This Loop Header: Depth=1
                                        ;     Child Loop BB731_408 Depth 2
                                        ;       Child Loop BB731_409 Depth 3
	v_and_b32_e32 v40, 0xff, v40
	s_delay_alu instid0(VALU_DEP_2) | instskip(NEXT) | instid1(VALU_DEP_2)
	v_mov_b32_e32 v62, v39
	v_cmp_ne_u16_e32 vcc_lo, 2, v40
	v_cndmask_b32_e64 v40, 0, 1, vcc_lo
	;;#ASMSTART
	;;#ASMEND
	s_delay_alu instid0(VALU_DEP_1)
	v_cmp_ne_u32_e32 vcc_lo, 0, v40
	s_cmp_lg_u32 vcc_lo, exec_lo
	s_cbranch_scc1 .LBB731_412
; %bb.406:                              ;   in Loop: Header=BB731_405 Depth=1
	v_lshlrev_b64 v[39:40], 3, v[37:38]
	s_mov_b32 s13, exec_lo
	s_delay_alu instid0(VALU_DEP_1) | instskip(NEXT) | instid1(VALU_DEP_2)
	v_add_co_u32 v41, vcc_lo, s22, v39
	v_add_co_ci_u32_e32 v42, vcc_lo, s23, v40, vcc_lo
	global_load_b64 v[39:40], v[41:42], off glc
	s_waitcnt vmcnt(0)
	v_and_b32_e32 v67, 0xff, v40
	s_delay_alu instid0(VALU_DEP_1)
	v_cmpx_eq_u16_e32 0, v67
	s_cbranch_execz .LBB731_404
; %bb.407:                              ;   in Loop: Header=BB731_405 Depth=1
	s_mov_b32 s15, 1
	s_mov_b32 s14, 0
	.p2align	6
.LBB731_408:                            ;   Parent Loop BB731_405 Depth=1
                                        ; =>  This Loop Header: Depth=2
                                        ;       Child Loop BB731_409 Depth 3
	s_max_u32 s20, s15, 1
.LBB731_409:                            ;   Parent Loop BB731_405 Depth=1
                                        ;     Parent Loop BB731_408 Depth=2
                                        ; =>    This Inner Loop Header: Depth=3
	s_delay_alu instid0(SALU_CYCLE_1)
	s_add_i32 s20, s20, -1
	s_sleep 1
	s_cmp_eq_u32 s20, 0
	s_cbranch_scc0 .LBB731_409
; %bb.410:                              ;   in Loop: Header=BB731_408 Depth=2
	global_load_b64 v[39:40], v[41:42], off glc
	s_cmp_lt_u32 s15, 32
	s_cselect_b32 s20, -1, 0
	s_delay_alu instid0(SALU_CYCLE_1) | instskip(SKIP_3) | instid1(VALU_DEP_1)
	s_cmp_lg_u32 s20, 0
	s_addc_u32 s15, s15, 0
	s_waitcnt vmcnt(0)
	v_and_b32_e32 v67, 0xff, v40
	v_cmp_ne_u16_e32 vcc_lo, 0, v67
	s_or_b32 s14, vcc_lo, s14
	s_delay_alu instid0(SALU_CYCLE_1)
	s_and_not1_b32 exec_lo, exec_lo, s14
	s_cbranch_execnz .LBB731_408
; %bb.411:                              ;   in Loop: Header=BB731_405 Depth=1
	s_or_b32 exec_lo, exec_lo, s14
	s_branch .LBB731_404
.LBB731_412:                            ;   in Loop: Header=BB731_405 Depth=1
                                        ; implicit-def: $vgpr39
                                        ; implicit-def: $vgpr40
	s_cbranch_execz .LBB731_405
; %bb.413:
	s_and_saveexec_b32 s13, s7
	s_cbranch_execz .LBB731_415
; %bb.414:
	s_add_i32 s14, s30, 32
	s_mov_b32 s15, 0
	v_dual_mov_b32 v38, 2 :: v_dual_add_nc_u32 v37, v62, v33
	s_lshl_b64 s[14:15], s[14:15], 3
	v_mov_b32_e32 v34, 0
	v_add_nc_u32_e64 v39, 0x8400, 0
	s_add_u32 s14, s22, s14
	s_addc_u32 s15, s23, s15
	global_store_b64 v34, v[37:38], s[14:15]
	ds_store_2addr_b32 v39, v33, v62 offset1:2
.LBB731_415:
	s_or_b32 exec_lo, exec_lo, s13
	s_delay_alu instid0(SALU_CYCLE_1)
	s_and_b32 exec_lo, exec_lo, s2
	s_cbranch_execz .LBB731_417
; %bb.416:
	v_mov_b32_e32 v33, 0
	ds_store_b32 v33, v62 offset:60
.LBB731_417:
	s_or_b32 exec_lo, exec_lo, s12
	v_mov_b32_e32 v33, 0
	s_waitcnt lgkmcnt(0)
	s_waitcnt_vscnt null, 0x0
	s_barrier
	buffer_gl0_inv
	v_cndmask_b32_e64 v34, v45, v43, s7
	ds_load_b32 v33, v33 offset:60
	s_waitcnt lgkmcnt(0)
	s_barrier
	buffer_gl0_inv
	v_cndmask_b32_e64 v34, v34, 0, s2
	s_delay_alu instid0(VALU_DEP_1) | instskip(SKIP_1) | instid1(VALU_DEP_2)
	v_add_nc_u32_e32 v53, v33, v34
	v_add_nc_u32_e64 v33, 0x8400, 0
	v_add_nc_u32_e32 v51, v53, v44
	ds_load_2addr_b32 v[33:34], v33 offset1:2
	v_add_nc_u32_e32 v49, v51, v46
	s_delay_alu instid0(VALU_DEP_1) | instskip(NEXT) | instid1(VALU_DEP_1)
	v_add_nc_u32_e32 v47, v49, v48
	v_add_nc_u32_e32 v45, v47, v50
	s_delay_alu instid0(VALU_DEP_1) | instskip(SKIP_2) | instid1(VALU_DEP_2)
	v_add_nc_u32_e32 v43, v45, v52
	s_waitcnt lgkmcnt(0)
	v_readfirstlane_b32 s12, v34
	v_add_nc_u32_e32 v41, v43, v54
	s_delay_alu instid0(VALU_DEP_1)
	v_add_nc_u32_e32 v39, v41, v57
	v_lshrrev_b64 v[37:38], 24, v[35:36]
	s_branch .LBB731_428
.LBB731_418:
                                        ; implicit-def: $vgpr39
                                        ; implicit-def: $vgpr41
                                        ; implicit-def: $vgpr43
                                        ; implicit-def: $vgpr45
                                        ; implicit-def: $vgpr47
                                        ; implicit-def: $vgpr49
                                        ; implicit-def: $vgpr51
                                        ; implicit-def: $vgpr53
                                        ; implicit-def: $sgpr12
                                        ; implicit-def: $vgpr33
	v_lshrrev_b64 v[37:38], 24, v[35:36]
	s_and_b32 vcc_lo, exec_lo, s7
	s_cbranch_vccz .LBB731_428
; %bb.419:
	v_mov_b32_dpp v33, v60 row_shr:1 row_mask:0xf bank_mask:0xf
	s_delay_alu instid0(VALU_DEP_1) | instskip(NEXT) | instid1(VALU_DEP_1)
	v_cndmask_b32_e64 v33, v33, 0, s3
	v_add_nc_u32_e32 v33, v33, v60
	s_delay_alu instid0(VALU_DEP_1) | instskip(NEXT) | instid1(VALU_DEP_1)
	v_mov_b32_dpp v34, v33 row_shr:2 row_mask:0xf bank_mask:0xf
	v_cndmask_b32_e64 v34, 0, v34, s0
	s_delay_alu instid0(VALU_DEP_1) | instskip(NEXT) | instid1(VALU_DEP_1)
	v_add_nc_u32_e32 v33, v33, v34
	v_mov_b32_dpp v34, v33 row_shr:4 row_mask:0xf bank_mask:0xf
	s_delay_alu instid0(VALU_DEP_1) | instskip(NEXT) | instid1(VALU_DEP_1)
	v_cndmask_b32_e64 v34, 0, v34, s4
	v_add_nc_u32_e32 v33, v33, v34
	s_delay_alu instid0(VALU_DEP_1) | instskip(NEXT) | instid1(VALU_DEP_1)
	v_mov_b32_dpp v34, v33 row_shr:8 row_mask:0xf bank_mask:0xf
	v_cndmask_b32_e64 v34, 0, v34, s1
	s_delay_alu instid0(VALU_DEP_1) | instskip(SKIP_3) | instid1(VALU_DEP_1)
	v_add_nc_u32_e32 v33, v33, v34
	ds_swizzle_b32 v34, v33 offset:swizzle(BROADCAST,32,15)
	s_waitcnt lgkmcnt(0)
	v_cndmask_b32_e64 v34, v34, 0, s6
	v_add_nc_u32_e32 v33, v33, v34
	s_and_saveexec_b32 s6, s5
	s_cbranch_execz .LBB731_421
; %bb.420:
	v_lshlrev_b32_e32 v34, 2, v59
	ds_store_b32 v34, v33
.LBB731_421:
	s_or_b32 exec_lo, exec_lo, s6
	s_delay_alu instid0(SALU_CYCLE_1)
	s_mov_b32 s5, exec_lo
	s_waitcnt lgkmcnt(0)
	s_barrier
	buffer_gl0_inv
	v_cmpx_gt_u32_e32 16, v0
	s_cbranch_execz .LBB731_423
; %bb.422:
	v_lshlrev_b32_e32 v34, 2, v0
	ds_load_b32 v38, v34
	s_waitcnt lgkmcnt(0)
	v_mov_b32_dpp v39, v38 row_shr:1 row_mask:0xf bank_mask:0xf
	s_delay_alu instid0(VALU_DEP_1) | instskip(NEXT) | instid1(VALU_DEP_1)
	v_cndmask_b32_e64 v39, v39, 0, s3
	v_add_nc_u32_e32 v38, v39, v38
	s_delay_alu instid0(VALU_DEP_1) | instskip(NEXT) | instid1(VALU_DEP_1)
	v_mov_b32_dpp v39, v38 row_shr:2 row_mask:0xf bank_mask:0xf
	v_cndmask_b32_e64 v39, 0, v39, s0
	s_delay_alu instid0(VALU_DEP_1) | instskip(NEXT) | instid1(VALU_DEP_1)
	v_add_nc_u32_e32 v38, v38, v39
	v_mov_b32_dpp v39, v38 row_shr:4 row_mask:0xf bank_mask:0xf
	s_delay_alu instid0(VALU_DEP_1) | instskip(NEXT) | instid1(VALU_DEP_1)
	v_cndmask_b32_e64 v39, 0, v39, s4
	v_add_nc_u32_e32 v38, v38, v39
	s_delay_alu instid0(VALU_DEP_1) | instskip(NEXT) | instid1(VALU_DEP_1)
	v_mov_b32_dpp v39, v38 row_shr:8 row_mask:0xf bank_mask:0xf
	v_cndmask_b32_e64 v39, 0, v39, s1
	s_delay_alu instid0(VALU_DEP_1)
	v_add_nc_u32_e32 v38, v38, v39
	ds_store_b32 v34, v38
.LBB731_423:
	s_or_b32 exec_lo, exec_lo, s5
	v_mov_b32_e32 v34, 0
	v_mov_b32_e32 v38, 0
	s_mov_b32 s0, exec_lo
	s_waitcnt lgkmcnt(0)
	s_barrier
	buffer_gl0_inv
	v_cmpx_lt_u32_e32 31, v0
	s_cbranch_execz .LBB731_425
; %bb.424:
	v_lshl_add_u32 v38, v59, 2, -4
	ds_load_b32 v38, v38
.LBB731_425:
	s_or_b32 exec_lo, exec_lo, s0
	v_add_nc_u32_e32 v39, -1, v58
	s_waitcnt lgkmcnt(0)
	v_add_nc_u32_e32 v33, v38, v33
	s_mov_b32 s12, 0
	s_delay_alu instid0(VALU_DEP_2) | instskip(SKIP_1) | instid1(VALU_DEP_1)
	v_cmp_gt_i32_e32 vcc_lo, 0, v39
	v_cndmask_b32_e32 v39, v39, v58, vcc_lo
	v_lshlrev_b32_e32 v39, 2, v39
	ds_bpermute_b32 v39, v39, v33
	ds_load_b32 v33, v34 offset:60
	s_and_saveexec_b32 s0, s2
	s_cbranch_execz .LBB731_427
; %bb.426:
	v_mov_b32_e32 v40, 0
	v_mov_b32_e32 v34, 2
	s_waitcnt lgkmcnt(0)
	global_store_b64 v40, v[33:34], s[22:23] offset:256
.LBB731_427:
	s_or_b32 exec_lo, exec_lo, s0
	v_cmp_eq_u32_e32 vcc_lo, 0, v58
	s_waitcnt lgkmcnt(0)
	s_waitcnt_vscnt null, 0x0
	s_barrier
	buffer_gl0_inv
	v_cndmask_b32_e32 v34, v39, v38, vcc_lo
	s_delay_alu instid0(VALU_DEP_1) | instskip(NEXT) | instid1(VALU_DEP_1)
	v_cndmask_b32_e64 v53, v34, 0, s2
	v_add_nc_u32_e32 v51, v53, v44
	s_delay_alu instid0(VALU_DEP_1) | instskip(NEXT) | instid1(VALU_DEP_1)
	v_add_nc_u32_e32 v49, v51, v46
	v_add_nc_u32_e32 v47, v49, v48
	s_delay_alu instid0(VALU_DEP_1) | instskip(NEXT) | instid1(VALU_DEP_1)
	v_add_nc_u32_e32 v45, v47, v50
	;; [unrolled: 3-line block ×3, first 2 shown]
	v_add_nc_u32_e32 v39, v41, v57
.LBB731_428:
	v_add_nc_u32_e32 v59, s12, v33
	v_cmp_gt_u32_e64 s0, 0x201, v33
	v_lshrrev_b32_e32 v58, 8, v35
	v_lshrrev_b32_e32 v57, 16, v35
	;; [unrolled: 1-line block ×4, first 2 shown]
	v_cmp_lt_u32_e64 s1, v53, v59
	s_and_b32 vcc_lo, exec_lo, s0
	s_mov_b32 s3, -1
	s_cbranch_vccz .LBB731_454
; %bb.429:
	s_delay_alu instid0(VALU_DEP_1) | instskip(NEXT) | instid1(SALU_CYCLE_1)
	s_or_b32 s3, s29, s1
	s_and_saveexec_b32 s1, s3
	s_cbranch_execz .LBB731_432
; %bb.430:
	v_and_b32_e32 v40, 1, v35
	s_delay_alu instid0(VALU_DEP_1)
	v_cmp_eq_u32_e32 vcc_lo, 1, v40
	s_and_b32 exec_lo, exec_lo, vcc_lo
	s_cbranch_execz .LBB731_432
; %bb.431:
	v_mov_b32_e32 v54, 0
	s_lshl_b64 s[4:5], s[10:11], 3
	s_delay_alu instid0(SALU_CYCLE_1) | instskip(SKIP_1) | instid1(VALU_DEP_1)
	s_add_u32 s3, s16, s4
	s_addc_u32 s4, s17, s5
	v_lshlrev_b64 v[60:61], 3, v[53:54]
	s_delay_alu instid0(VALU_DEP_1) | instskip(NEXT) | instid1(VALU_DEP_2)
	v_add_co_u32 v60, vcc_lo, s3, v60
	v_add_co_ci_u32_e32 v61, vcc_lo, s4, v61, vcc_lo
	global_store_b64 v[60:61], v[29:30], off
.LBB731_432:
	s_or_b32 exec_lo, exec_lo, s1
	v_cmp_lt_u32_e32 vcc_lo, v51, v59
	s_or_b32 s3, s29, vcc_lo
	s_delay_alu instid0(SALU_CYCLE_1)
	s_and_saveexec_b32 s1, s3
	s_cbranch_execz .LBB731_435
; %bb.433:
	v_and_b32_e32 v40, 1, v58
	s_delay_alu instid0(VALU_DEP_1)
	v_cmp_eq_u32_e32 vcc_lo, 1, v40
	s_and_b32 exec_lo, exec_lo, vcc_lo
	s_cbranch_execz .LBB731_435
; %bb.434:
	v_mov_b32_e32 v52, 0
	s_lshl_b64 s[4:5], s[10:11], 3
	s_delay_alu instid0(SALU_CYCLE_1) | instskip(SKIP_1) | instid1(VALU_DEP_1)
	s_add_u32 s3, s16, s4
	s_addc_u32 s4, s17, s5
	v_lshlrev_b64 v[60:61], 3, v[51:52]
	s_delay_alu instid0(VALU_DEP_1) | instskip(NEXT) | instid1(VALU_DEP_2)
	v_add_co_u32 v60, vcc_lo, s3, v60
	v_add_co_ci_u32_e32 v61, vcc_lo, s4, v61, vcc_lo
	global_store_b64 v[60:61], v[31:32], off
.LBB731_435:
	s_or_b32 exec_lo, exec_lo, s1
	v_cmp_lt_u32_e32 vcc_lo, v49, v59
	s_or_b32 s3, s29, vcc_lo
	s_delay_alu instid0(SALU_CYCLE_1)
	;; [unrolled: 24-line block ×7, first 2 shown]
	s_and_saveexec_b32 s1, s3
	s_cbranch_execz .LBB731_453
; %bb.451:
	v_and_b32_e32 v40, 1, v56
	s_delay_alu instid0(VALU_DEP_1)
	v_cmp_eq_u32_e32 vcc_lo, 1, v40
	s_and_b32 exec_lo, exec_lo, vcc_lo
	s_cbranch_execz .LBB731_453
; %bb.452:
	v_mov_b32_e32 v40, 0
	s_lshl_b64 s[4:5], s[10:11], 3
	s_delay_alu instid0(SALU_CYCLE_1) | instskip(SKIP_1) | instid1(VALU_DEP_1)
	s_add_u32 s3, s16, s4
	s_addc_u32 s4, s17, s5
	v_lshlrev_b64 v[60:61], 3, v[39:40]
	s_delay_alu instid0(VALU_DEP_1) | instskip(NEXT) | instid1(VALU_DEP_2)
	v_add_co_u32 v60, vcc_lo, s3, v60
	v_add_co_ci_u32_e32 v61, vcc_lo, s4, v61, vcc_lo
	global_store_b64 v[60:61], v[19:20], off
.LBB731_453:
	s_or_b32 exec_lo, exec_lo, s1
	s_mov_b32 s3, 0
.LBB731_454:
	v_and_b32_e32 v35, 1, v35
	s_and_b32 vcc_lo, exec_lo, s3
	s_delay_alu instid0(VALU_DEP_1)
	v_cmp_eq_u32_e64 s1, 1, v35
	s_cbranch_vccz .LBB731_475
; %bb.455:
	s_delay_alu instid0(VALU_DEP_1)
	s_and_saveexec_b32 s3, s1
	s_cbranch_execz .LBB731_457
; %bb.456:
	v_subrev_nc_u32_e32 v40, s12, v53
	s_delay_alu instid0(VALU_DEP_1)
	v_lshlrev_b32_e32 v40, 3, v40
	ds_store_b64 v40, v[29:30]
.LBB731_457:
	s_or_b32 exec_lo, exec_lo, s3
	v_and_b32_e32 v29, 1, v58
	s_mov_b32 s1, exec_lo
	s_delay_alu instid0(VALU_DEP_1)
	v_cmpx_eq_u32_e32 1, v29
	s_cbranch_execz .LBB731_459
; %bb.458:
	v_subrev_nc_u32_e32 v29, s12, v51
	s_delay_alu instid0(VALU_DEP_1)
	v_lshlrev_b32_e32 v29, 3, v29
	ds_store_b64 v29, v[31:32]
.LBB731_459:
	s_or_b32 exec_lo, exec_lo, s1
	v_and_b32_e32 v29, 1, v57
	s_mov_b32 s1, exec_lo
	s_delay_alu instid0(VALU_DEP_1)
	v_cmpx_eq_u32_e32 1, v29
	;; [unrolled: 12-line block ×7, first 2 shown]
	s_cbranch_execz .LBB731_471
; %bb.470:
	v_subrev_nc_u32_e32 v17, s12, v39
	s_delay_alu instid0(VALU_DEP_1)
	v_lshlrev_b32_e32 v17, 3, v17
	ds_store_b64 v17, v[19:20]
.LBB731_471:
	s_or_b32 exec_lo, exec_lo, s1
	s_delay_alu instid0(SALU_CYCLE_1)
	s_mov_b32 s3, exec_lo
	s_waitcnt lgkmcnt(0)
	s_waitcnt_vscnt null, 0x0
	s_barrier
	buffer_gl0_inv
	v_cmpx_lt_u32_e64 v0, v33
	s_cbranch_execz .LBB731_474
; %bb.472:
	s_mov_b32 s13, 0
	s_lshl_b64 s[4:5], s[10:11], 3
	s_lshl_b64 s[6:7], s[12:13], 3
	v_dual_mov_b32 v19, v55 :: v_dual_mov_b32 v20, v0
	s_add_u32 s1, s4, s6
	s_addc_u32 s4, s5, s7
	s_add_u32 s1, s16, s1
	s_addc_u32 s4, s17, s4
	v_add_co_u32 v17, s1, s1, v55
	s_delay_alu instid0(VALU_DEP_1)
	v_add_co_ci_u32_e64 v18, null, s4, 0, s1
	.p2align	6
.LBB731_473:                            ; =>This Inner Loop Header: Depth=1
	ds_load_b64 v[21:22], v19
	v_add_nc_u32_e32 v20, 0x200, v20
	v_add_nc_u32_e32 v19, 0x1000, v19
	s_delay_alu instid0(VALU_DEP_2) | instskip(SKIP_4) | instid1(VALU_DEP_1)
	v_cmp_ge_u32_e32 vcc_lo, v20, v33
	s_or_b32 s13, vcc_lo, s13
	s_waitcnt lgkmcnt(0)
	global_store_b64 v[17:18], v[21:22], off
	v_add_co_u32 v17, s1, 0x1000, v17
	v_add_co_ci_u32_e64 v18, s1, 0, v18, s1
	s_and_not1_b32 exec_lo, exec_lo, s13
	s_cbranch_execnz .LBB731_473
.LBB731_474:
	s_or_b32 exec_lo, exec_lo, s3
.LBB731_475:
	s_delay_alu instid0(SALU_CYCLE_1)
	s_and_b32 vcc_lo, exec_lo, s0
	s_mov_b32 s0, -1
	s_waitcnt_vscnt null, 0x0
	s_barrier
	buffer_gl0_inv
	s_cbranch_vccz .LBB731_503
; %bb.476:
	v_cmp_lt_u32_e32 vcc_lo, v53, v59
	s_or_b32 s1, s29, vcc_lo
	s_delay_alu instid0(SALU_CYCLE_1)
	s_and_saveexec_b32 s0, s1
	s_cbranch_execz .LBB731_479
; %bb.477:
	v_cmp_eq_u32_e32 vcc_lo, 1, v35
	s_and_b32 exec_lo, exec_lo, vcc_lo
	s_cbranch_execz .LBB731_479
; %bb.478:
	v_mov_b32_e32 v54, 0
	s_lshl_b64 s[4:5], s[10:11], 3
	s_delay_alu instid0(SALU_CYCLE_1) | instskip(SKIP_1) | instid1(VALU_DEP_1)
	s_add_u32 s1, s18, s4
	s_addc_u32 s3, s19, s5
	v_lshlrev_b64 v[17:18], 3, v[53:54]
	s_delay_alu instid0(VALU_DEP_1) | instskip(NEXT) | instid1(VALU_DEP_2)
	v_add_co_u32 v17, vcc_lo, s1, v17
	v_add_co_ci_u32_e32 v18, vcc_lo, s3, v18, vcc_lo
	global_store_b64 v[17:18], v[13:14], off
.LBB731_479:
	s_or_b32 exec_lo, exec_lo, s0
	v_cmp_lt_u32_e32 vcc_lo, v51, v59
	s_or_b32 s1, s29, vcc_lo
	s_delay_alu instid0(SALU_CYCLE_1)
	s_and_saveexec_b32 s0, s1
	s_cbranch_execz .LBB731_482
; %bb.480:
	v_and_b32_e32 v17, 1, v58
	s_delay_alu instid0(VALU_DEP_1)
	v_cmp_eq_u32_e32 vcc_lo, 1, v17
	s_and_b32 exec_lo, exec_lo, vcc_lo
	s_cbranch_execz .LBB731_482
; %bb.481:
	v_mov_b32_e32 v52, 0
	s_lshl_b64 s[4:5], s[10:11], 3
	s_delay_alu instid0(SALU_CYCLE_1) | instskip(SKIP_1) | instid1(VALU_DEP_1)
	s_add_u32 s1, s18, s4
	s_addc_u32 s3, s19, s5
	v_lshlrev_b64 v[17:18], 3, v[51:52]
	s_delay_alu instid0(VALU_DEP_1) | instskip(NEXT) | instid1(VALU_DEP_2)
	v_add_co_u32 v17, vcc_lo, s1, v17
	v_add_co_ci_u32_e32 v18, vcc_lo, s3, v18, vcc_lo
	global_store_b64 v[17:18], v[15:16], off
.LBB731_482:
	s_or_b32 exec_lo, exec_lo, s0
	v_cmp_lt_u32_e32 vcc_lo, v49, v59
	s_or_b32 s1, s29, vcc_lo
	s_delay_alu instid0(SALU_CYCLE_1)
	s_and_saveexec_b32 s0, s1
	s_cbranch_execz .LBB731_485
; %bb.483:
	v_and_b32_e32 v17, 1, v57
	s_delay_alu instid0(VALU_DEP_1)
	v_cmp_eq_u32_e32 vcc_lo, 1, v17
	s_and_b32 exec_lo, exec_lo, vcc_lo
	s_cbranch_execz .LBB731_485
; %bb.484:
	v_mov_b32_e32 v50, 0
	s_lshl_b64 s[4:5], s[10:11], 3
	s_delay_alu instid0(SALU_CYCLE_1) | instskip(SKIP_1) | instid1(VALU_DEP_1)
	s_add_u32 s1, s18, s4
	s_addc_u32 s3, s19, s5
	v_lshlrev_b64 v[17:18], 3, v[49:50]
	s_delay_alu instid0(VALU_DEP_1) | instskip(NEXT) | instid1(VALU_DEP_2)
	v_add_co_u32 v17, vcc_lo, s1, v17
	v_add_co_ci_u32_e32 v18, vcc_lo, s3, v18, vcc_lo
	global_store_b64 v[17:18], v[9:10], off
.LBB731_485:
	;; [unrolled: 24-line block ×7, first 2 shown]
	s_or_b32 exec_lo, exec_lo, s0
.LBB731_501:
	s_and_b32 s0, s2, s28
	s_delay_alu instid0(SALU_CYCLE_1)
	s_and_saveexec_b32 s1, s0
	s_cbranch_execz .LBB731_524
.LBB731_502:
	v_add_co_u32 v0, s0, s10, v33
	s_delay_alu instid0(VALU_DEP_1) | instskip(SKIP_1) | instid1(VALU_DEP_3)
	v_add_co_ci_u32_e64 v1, null, s11, 0, s0
	v_mov_b32_e32 v2, 0
	v_add_co_u32 v0, vcc_lo, v0, s12
	s_delay_alu instid0(VALU_DEP_3)
	v_add_co_ci_u32_e32 v1, vcc_lo, 0, v1, vcc_lo
	global_store_b64 v2, v[0:1], s[8:9]
	s_nop 0
	s_sendmsg sendmsg(MSG_DEALLOC_VGPRS)
	s_endpgm
.LBB731_503:
	s_and_b32 vcc_lo, exec_lo, s0
	s_cbranch_vccz .LBB731_501
; %bb.504:
	s_mov_b32 s0, exec_lo
	v_cmpx_eq_u32_e32 1, v35
	s_cbranch_execz .LBB731_506
; %bb.505:
	v_subrev_nc_u32_e32 v17, s12, v53
	s_delay_alu instid0(VALU_DEP_1)
	v_lshlrev_b32_e32 v17, 3, v17
	ds_store_b64 v17, v[13:14]
.LBB731_506:
	s_or_b32 exec_lo, exec_lo, s0
	v_and_b32_e32 v13, 1, v58
	s_mov_b32 s0, exec_lo
	s_delay_alu instid0(VALU_DEP_1)
	v_cmpx_eq_u32_e32 1, v13
	s_cbranch_execz .LBB731_508
; %bb.507:
	v_subrev_nc_u32_e32 v13, s12, v51
	s_delay_alu instid0(VALU_DEP_1)
	v_lshlrev_b32_e32 v13, 3, v13
	ds_store_b64 v13, v[15:16]
.LBB731_508:
	s_or_b32 exec_lo, exec_lo, s0
	v_and_b32_e32 v13, 1, v57
	s_mov_b32 s0, exec_lo
	s_delay_alu instid0(VALU_DEP_1)
	;; [unrolled: 12-line block ×7, first 2 shown]
	v_cmpx_eq_u32_e32 1, v1
	s_cbranch_execz .LBB731_520
; %bb.519:
	v_subrev_nc_u32_e32 v1, s12, v39
	s_delay_alu instid0(VALU_DEP_1)
	v_lshlrev_b32_e32 v1, 3, v1
	ds_store_b64 v1, v[3:4]
.LBB731_520:
	s_or_b32 exec_lo, exec_lo, s0
	s_delay_alu instid0(SALU_CYCLE_1)
	s_mov_b32 s1, exec_lo
	s_waitcnt lgkmcnt(0)
	s_waitcnt_vscnt null, 0x0
	s_barrier
	buffer_gl0_inv
	v_cmpx_lt_u32_e64 v0, v33
	s_cbranch_execz .LBB731_523
; %bb.521:
	s_mov_b32 s13, 0
	s_lshl_b64 s[4:5], s[10:11], 3
	s_lshl_b64 s[6:7], s[12:13], 3
	s_delay_alu instid0(SALU_CYCLE_1) | instskip(SKIP_4) | instid1(VALU_DEP_1)
	s_add_u32 s0, s4, s6
	s_addc_u32 s3, s5, s7
	s_add_u32 s0, s18, s0
	s_addc_u32 s3, s19, s3
	v_add_co_u32 v1, s0, s0, v55
	v_add_co_ci_u32_e64 v2, null, s3, 0, s0
	.p2align	6
.LBB731_522:                            ; =>This Inner Loop Header: Depth=1
	ds_load_b64 v[3:4], v55
	v_add_nc_u32_e32 v0, 0x200, v0
	v_add_nc_u32_e32 v55, 0x1000, v55
	s_delay_alu instid0(VALU_DEP_2) | instskip(SKIP_4) | instid1(VALU_DEP_1)
	v_cmp_ge_u32_e32 vcc_lo, v0, v33
	s_or_b32 s13, vcc_lo, s13
	s_waitcnt lgkmcnt(0)
	global_store_b64 v[1:2], v[3:4], off
	v_add_co_u32 v1, s0, 0x1000, v1
	v_add_co_ci_u32_e64 v2, s0, 0, v2, s0
	s_and_not1_b32 exec_lo, exec_lo, s13
	s_cbranch_execnz .LBB731_522
.LBB731_523:
	s_or_b32 exec_lo, exec_lo, s1
	s_and_b32 s0, s2, s28
	s_delay_alu instid0(SALU_CYCLE_1)
	s_and_saveexec_b32 s1, s0
	s_cbranch_execnz .LBB731_502
.LBB731_524:
	s_nop 0
	s_sendmsg sendmsg(MSG_DEALLOC_VGPRS)
	s_endpgm
	.section	.rodata,"a",@progbits
	.p2align	6, 0x0
	.amdhsa_kernel _ZN7rocprim17ROCPRIM_400000_NS6detail17trampoline_kernelINS0_14default_configENS1_25partition_config_selectorILNS1_17partition_subalgoE9EllbEEZZNS1_14partition_implILS5_9ELb0ES3_jPlS8_PNS0_10empty_typeENS0_5tupleIJS8_S9_EEENSB_IJS8_SA_EEENS0_18inequality_wrapperIZN2at6native12_GLOBAL__N_124unique_dim_cuda_templateIsEESt5tupleIJNSF_6TensorESK_SK_EERKSK_lbbbEUlllE0_EEPmJS9_EEE10hipError_tPvRmT3_T4_T5_T6_T7_T9_mT8_P12ihipStream_tbDpT10_ENKUlT_T0_E_clISt17integral_constantIbLb1EES1A_EEDaS15_S16_EUlS15_E_NS1_11comp_targetILNS1_3genE9ELNS1_11target_archE1100ELNS1_3gpuE3ELNS1_3repE0EEENS1_30default_config_static_selectorELNS0_4arch9wavefront6targetE0EEEvT1_
		.amdhsa_group_segment_fixed_size 33804
		.amdhsa_private_segment_fixed_size 0
		.amdhsa_kernarg_size 136
		.amdhsa_user_sgpr_count 15
		.amdhsa_user_sgpr_dispatch_ptr 0
		.amdhsa_user_sgpr_queue_ptr 0
		.amdhsa_user_sgpr_kernarg_segment_ptr 1
		.amdhsa_user_sgpr_dispatch_id 0
		.amdhsa_user_sgpr_private_segment_size 0
		.amdhsa_wavefront_size32 1
		.amdhsa_uses_dynamic_stack 0
		.amdhsa_enable_private_segment 0
		.amdhsa_system_sgpr_workgroup_id_x 1
		.amdhsa_system_sgpr_workgroup_id_y 0
		.amdhsa_system_sgpr_workgroup_id_z 0
		.amdhsa_system_sgpr_workgroup_info 0
		.amdhsa_system_vgpr_workitem_id 0
		.amdhsa_next_free_vgpr 68
		.amdhsa_next_free_sgpr 40
		.amdhsa_reserve_vcc 1
		.amdhsa_float_round_mode_32 0
		.amdhsa_float_round_mode_16_64 0
		.amdhsa_float_denorm_mode_32 3
		.amdhsa_float_denorm_mode_16_64 3
		.amdhsa_dx10_clamp 1
		.amdhsa_ieee_mode 1
		.amdhsa_fp16_overflow 0
		.amdhsa_workgroup_processor_mode 1
		.amdhsa_memory_ordered 1
		.amdhsa_forward_progress 0
		.amdhsa_shared_vgpr_count 0
		.amdhsa_exception_fp_ieee_invalid_op 0
		.amdhsa_exception_fp_denorm_src 0
		.amdhsa_exception_fp_ieee_div_zero 0
		.amdhsa_exception_fp_ieee_overflow 0
		.amdhsa_exception_fp_ieee_underflow 0
		.amdhsa_exception_fp_ieee_inexact 0
		.amdhsa_exception_int_div_zero 0
	.end_amdhsa_kernel
	.section	.text._ZN7rocprim17ROCPRIM_400000_NS6detail17trampoline_kernelINS0_14default_configENS1_25partition_config_selectorILNS1_17partition_subalgoE9EllbEEZZNS1_14partition_implILS5_9ELb0ES3_jPlS8_PNS0_10empty_typeENS0_5tupleIJS8_S9_EEENSB_IJS8_SA_EEENS0_18inequality_wrapperIZN2at6native12_GLOBAL__N_124unique_dim_cuda_templateIsEESt5tupleIJNSF_6TensorESK_SK_EERKSK_lbbbEUlllE0_EEPmJS9_EEE10hipError_tPvRmT3_T4_T5_T6_T7_T9_mT8_P12ihipStream_tbDpT10_ENKUlT_T0_E_clISt17integral_constantIbLb1EES1A_EEDaS15_S16_EUlS15_E_NS1_11comp_targetILNS1_3genE9ELNS1_11target_archE1100ELNS1_3gpuE3ELNS1_3repE0EEENS1_30default_config_static_selectorELNS0_4arch9wavefront6targetE0EEEvT1_,"axG",@progbits,_ZN7rocprim17ROCPRIM_400000_NS6detail17trampoline_kernelINS0_14default_configENS1_25partition_config_selectorILNS1_17partition_subalgoE9EllbEEZZNS1_14partition_implILS5_9ELb0ES3_jPlS8_PNS0_10empty_typeENS0_5tupleIJS8_S9_EEENSB_IJS8_SA_EEENS0_18inequality_wrapperIZN2at6native12_GLOBAL__N_124unique_dim_cuda_templateIsEESt5tupleIJNSF_6TensorESK_SK_EERKSK_lbbbEUlllE0_EEPmJS9_EEE10hipError_tPvRmT3_T4_T5_T6_T7_T9_mT8_P12ihipStream_tbDpT10_ENKUlT_T0_E_clISt17integral_constantIbLb1EES1A_EEDaS15_S16_EUlS15_E_NS1_11comp_targetILNS1_3genE9ELNS1_11target_archE1100ELNS1_3gpuE3ELNS1_3repE0EEENS1_30default_config_static_selectorELNS0_4arch9wavefront6targetE0EEEvT1_,comdat
.Lfunc_end731:
	.size	_ZN7rocprim17ROCPRIM_400000_NS6detail17trampoline_kernelINS0_14default_configENS1_25partition_config_selectorILNS1_17partition_subalgoE9EllbEEZZNS1_14partition_implILS5_9ELb0ES3_jPlS8_PNS0_10empty_typeENS0_5tupleIJS8_S9_EEENSB_IJS8_SA_EEENS0_18inequality_wrapperIZN2at6native12_GLOBAL__N_124unique_dim_cuda_templateIsEESt5tupleIJNSF_6TensorESK_SK_EERKSK_lbbbEUlllE0_EEPmJS9_EEE10hipError_tPvRmT3_T4_T5_T6_T7_T9_mT8_P12ihipStream_tbDpT10_ENKUlT_T0_E_clISt17integral_constantIbLb1EES1A_EEDaS15_S16_EUlS15_E_NS1_11comp_targetILNS1_3genE9ELNS1_11target_archE1100ELNS1_3gpuE3ELNS1_3repE0EEENS1_30default_config_static_selectorELNS0_4arch9wavefront6targetE0EEEvT1_, .Lfunc_end731-_ZN7rocprim17ROCPRIM_400000_NS6detail17trampoline_kernelINS0_14default_configENS1_25partition_config_selectorILNS1_17partition_subalgoE9EllbEEZZNS1_14partition_implILS5_9ELb0ES3_jPlS8_PNS0_10empty_typeENS0_5tupleIJS8_S9_EEENSB_IJS8_SA_EEENS0_18inequality_wrapperIZN2at6native12_GLOBAL__N_124unique_dim_cuda_templateIsEESt5tupleIJNSF_6TensorESK_SK_EERKSK_lbbbEUlllE0_EEPmJS9_EEE10hipError_tPvRmT3_T4_T5_T6_T7_T9_mT8_P12ihipStream_tbDpT10_ENKUlT_T0_E_clISt17integral_constantIbLb1EES1A_EEDaS15_S16_EUlS15_E_NS1_11comp_targetILNS1_3genE9ELNS1_11target_archE1100ELNS1_3gpuE3ELNS1_3repE0EEENS1_30default_config_static_selectorELNS0_4arch9wavefront6targetE0EEEvT1_
                                        ; -- End function
	.section	.AMDGPU.csdata,"",@progbits
; Kernel info:
; codeLenInByte = 20732
; NumSgprs: 42
; NumVgprs: 68
; ScratchSize: 0
; MemoryBound: 0
; FloatMode: 240
; IeeeMode: 1
; LDSByteSize: 33804 bytes/workgroup (compile time only)
; SGPRBlocks: 5
; VGPRBlocks: 8
; NumSGPRsForWavesPerEU: 42
; NumVGPRsForWavesPerEU: 68
; Occupancy: 12
; WaveLimiterHint : 1
; COMPUTE_PGM_RSRC2:SCRATCH_EN: 0
; COMPUTE_PGM_RSRC2:USER_SGPR: 15
; COMPUTE_PGM_RSRC2:TRAP_HANDLER: 0
; COMPUTE_PGM_RSRC2:TGID_X_EN: 1
; COMPUTE_PGM_RSRC2:TGID_Y_EN: 0
; COMPUTE_PGM_RSRC2:TGID_Z_EN: 0
; COMPUTE_PGM_RSRC2:TIDIG_COMP_CNT: 0
	.section	.text._ZN7rocprim17ROCPRIM_400000_NS6detail17trampoline_kernelINS0_14default_configENS1_25partition_config_selectorILNS1_17partition_subalgoE9EllbEEZZNS1_14partition_implILS5_9ELb0ES3_jPlS8_PNS0_10empty_typeENS0_5tupleIJS8_S9_EEENSB_IJS8_SA_EEENS0_18inequality_wrapperIZN2at6native12_GLOBAL__N_124unique_dim_cuda_templateIsEESt5tupleIJNSF_6TensorESK_SK_EERKSK_lbbbEUlllE0_EEPmJS9_EEE10hipError_tPvRmT3_T4_T5_T6_T7_T9_mT8_P12ihipStream_tbDpT10_ENKUlT_T0_E_clISt17integral_constantIbLb1EES1A_EEDaS15_S16_EUlS15_E_NS1_11comp_targetILNS1_3genE8ELNS1_11target_archE1030ELNS1_3gpuE2ELNS1_3repE0EEENS1_30default_config_static_selectorELNS0_4arch9wavefront6targetE0EEEvT1_,"axG",@progbits,_ZN7rocprim17ROCPRIM_400000_NS6detail17trampoline_kernelINS0_14default_configENS1_25partition_config_selectorILNS1_17partition_subalgoE9EllbEEZZNS1_14partition_implILS5_9ELb0ES3_jPlS8_PNS0_10empty_typeENS0_5tupleIJS8_S9_EEENSB_IJS8_SA_EEENS0_18inequality_wrapperIZN2at6native12_GLOBAL__N_124unique_dim_cuda_templateIsEESt5tupleIJNSF_6TensorESK_SK_EERKSK_lbbbEUlllE0_EEPmJS9_EEE10hipError_tPvRmT3_T4_T5_T6_T7_T9_mT8_P12ihipStream_tbDpT10_ENKUlT_T0_E_clISt17integral_constantIbLb1EES1A_EEDaS15_S16_EUlS15_E_NS1_11comp_targetILNS1_3genE8ELNS1_11target_archE1030ELNS1_3gpuE2ELNS1_3repE0EEENS1_30default_config_static_selectorELNS0_4arch9wavefront6targetE0EEEvT1_,comdat
	.globl	_ZN7rocprim17ROCPRIM_400000_NS6detail17trampoline_kernelINS0_14default_configENS1_25partition_config_selectorILNS1_17partition_subalgoE9EllbEEZZNS1_14partition_implILS5_9ELb0ES3_jPlS8_PNS0_10empty_typeENS0_5tupleIJS8_S9_EEENSB_IJS8_SA_EEENS0_18inequality_wrapperIZN2at6native12_GLOBAL__N_124unique_dim_cuda_templateIsEESt5tupleIJNSF_6TensorESK_SK_EERKSK_lbbbEUlllE0_EEPmJS9_EEE10hipError_tPvRmT3_T4_T5_T6_T7_T9_mT8_P12ihipStream_tbDpT10_ENKUlT_T0_E_clISt17integral_constantIbLb1EES1A_EEDaS15_S16_EUlS15_E_NS1_11comp_targetILNS1_3genE8ELNS1_11target_archE1030ELNS1_3gpuE2ELNS1_3repE0EEENS1_30default_config_static_selectorELNS0_4arch9wavefront6targetE0EEEvT1_ ; -- Begin function _ZN7rocprim17ROCPRIM_400000_NS6detail17trampoline_kernelINS0_14default_configENS1_25partition_config_selectorILNS1_17partition_subalgoE9EllbEEZZNS1_14partition_implILS5_9ELb0ES3_jPlS8_PNS0_10empty_typeENS0_5tupleIJS8_S9_EEENSB_IJS8_SA_EEENS0_18inequality_wrapperIZN2at6native12_GLOBAL__N_124unique_dim_cuda_templateIsEESt5tupleIJNSF_6TensorESK_SK_EERKSK_lbbbEUlllE0_EEPmJS9_EEE10hipError_tPvRmT3_T4_T5_T6_T7_T9_mT8_P12ihipStream_tbDpT10_ENKUlT_T0_E_clISt17integral_constantIbLb1EES1A_EEDaS15_S16_EUlS15_E_NS1_11comp_targetILNS1_3genE8ELNS1_11target_archE1030ELNS1_3gpuE2ELNS1_3repE0EEENS1_30default_config_static_selectorELNS0_4arch9wavefront6targetE0EEEvT1_
	.p2align	8
	.type	_ZN7rocprim17ROCPRIM_400000_NS6detail17trampoline_kernelINS0_14default_configENS1_25partition_config_selectorILNS1_17partition_subalgoE9EllbEEZZNS1_14partition_implILS5_9ELb0ES3_jPlS8_PNS0_10empty_typeENS0_5tupleIJS8_S9_EEENSB_IJS8_SA_EEENS0_18inequality_wrapperIZN2at6native12_GLOBAL__N_124unique_dim_cuda_templateIsEESt5tupleIJNSF_6TensorESK_SK_EERKSK_lbbbEUlllE0_EEPmJS9_EEE10hipError_tPvRmT3_T4_T5_T6_T7_T9_mT8_P12ihipStream_tbDpT10_ENKUlT_T0_E_clISt17integral_constantIbLb1EES1A_EEDaS15_S16_EUlS15_E_NS1_11comp_targetILNS1_3genE8ELNS1_11target_archE1030ELNS1_3gpuE2ELNS1_3repE0EEENS1_30default_config_static_selectorELNS0_4arch9wavefront6targetE0EEEvT1_,@function
_ZN7rocprim17ROCPRIM_400000_NS6detail17trampoline_kernelINS0_14default_configENS1_25partition_config_selectorILNS1_17partition_subalgoE9EllbEEZZNS1_14partition_implILS5_9ELb0ES3_jPlS8_PNS0_10empty_typeENS0_5tupleIJS8_S9_EEENSB_IJS8_SA_EEENS0_18inequality_wrapperIZN2at6native12_GLOBAL__N_124unique_dim_cuda_templateIsEESt5tupleIJNSF_6TensorESK_SK_EERKSK_lbbbEUlllE0_EEPmJS9_EEE10hipError_tPvRmT3_T4_T5_T6_T7_T9_mT8_P12ihipStream_tbDpT10_ENKUlT_T0_E_clISt17integral_constantIbLb1EES1A_EEDaS15_S16_EUlS15_E_NS1_11comp_targetILNS1_3genE8ELNS1_11target_archE1030ELNS1_3gpuE2ELNS1_3repE0EEENS1_30default_config_static_selectorELNS0_4arch9wavefront6targetE0EEEvT1_: ; @_ZN7rocprim17ROCPRIM_400000_NS6detail17trampoline_kernelINS0_14default_configENS1_25partition_config_selectorILNS1_17partition_subalgoE9EllbEEZZNS1_14partition_implILS5_9ELb0ES3_jPlS8_PNS0_10empty_typeENS0_5tupleIJS8_S9_EEENSB_IJS8_SA_EEENS0_18inequality_wrapperIZN2at6native12_GLOBAL__N_124unique_dim_cuda_templateIsEESt5tupleIJNSF_6TensorESK_SK_EERKSK_lbbbEUlllE0_EEPmJS9_EEE10hipError_tPvRmT3_T4_T5_T6_T7_T9_mT8_P12ihipStream_tbDpT10_ENKUlT_T0_E_clISt17integral_constantIbLb1EES1A_EEDaS15_S16_EUlS15_E_NS1_11comp_targetILNS1_3genE8ELNS1_11target_archE1030ELNS1_3gpuE2ELNS1_3repE0EEENS1_30default_config_static_selectorELNS0_4arch9wavefront6targetE0EEEvT1_
; %bb.0:
	.section	.rodata,"a",@progbits
	.p2align	6, 0x0
	.amdhsa_kernel _ZN7rocprim17ROCPRIM_400000_NS6detail17trampoline_kernelINS0_14default_configENS1_25partition_config_selectorILNS1_17partition_subalgoE9EllbEEZZNS1_14partition_implILS5_9ELb0ES3_jPlS8_PNS0_10empty_typeENS0_5tupleIJS8_S9_EEENSB_IJS8_SA_EEENS0_18inequality_wrapperIZN2at6native12_GLOBAL__N_124unique_dim_cuda_templateIsEESt5tupleIJNSF_6TensorESK_SK_EERKSK_lbbbEUlllE0_EEPmJS9_EEE10hipError_tPvRmT3_T4_T5_T6_T7_T9_mT8_P12ihipStream_tbDpT10_ENKUlT_T0_E_clISt17integral_constantIbLb1EES1A_EEDaS15_S16_EUlS15_E_NS1_11comp_targetILNS1_3genE8ELNS1_11target_archE1030ELNS1_3gpuE2ELNS1_3repE0EEENS1_30default_config_static_selectorELNS0_4arch9wavefront6targetE0EEEvT1_
		.amdhsa_group_segment_fixed_size 0
		.amdhsa_private_segment_fixed_size 0
		.amdhsa_kernarg_size 136
		.amdhsa_user_sgpr_count 15
		.amdhsa_user_sgpr_dispatch_ptr 0
		.amdhsa_user_sgpr_queue_ptr 0
		.amdhsa_user_sgpr_kernarg_segment_ptr 1
		.amdhsa_user_sgpr_dispatch_id 0
		.amdhsa_user_sgpr_private_segment_size 0
		.amdhsa_wavefront_size32 1
		.amdhsa_uses_dynamic_stack 0
		.amdhsa_enable_private_segment 0
		.amdhsa_system_sgpr_workgroup_id_x 1
		.amdhsa_system_sgpr_workgroup_id_y 0
		.amdhsa_system_sgpr_workgroup_id_z 0
		.amdhsa_system_sgpr_workgroup_info 0
		.amdhsa_system_vgpr_workitem_id 0
		.amdhsa_next_free_vgpr 1
		.amdhsa_next_free_sgpr 1
		.amdhsa_reserve_vcc 0
		.amdhsa_float_round_mode_32 0
		.amdhsa_float_round_mode_16_64 0
		.amdhsa_float_denorm_mode_32 3
		.amdhsa_float_denorm_mode_16_64 3
		.amdhsa_dx10_clamp 1
		.amdhsa_ieee_mode 1
		.amdhsa_fp16_overflow 0
		.amdhsa_workgroup_processor_mode 1
		.amdhsa_memory_ordered 1
		.amdhsa_forward_progress 0
		.amdhsa_shared_vgpr_count 0
		.amdhsa_exception_fp_ieee_invalid_op 0
		.amdhsa_exception_fp_denorm_src 0
		.amdhsa_exception_fp_ieee_div_zero 0
		.amdhsa_exception_fp_ieee_overflow 0
		.amdhsa_exception_fp_ieee_underflow 0
		.amdhsa_exception_fp_ieee_inexact 0
		.amdhsa_exception_int_div_zero 0
	.end_amdhsa_kernel
	.section	.text._ZN7rocprim17ROCPRIM_400000_NS6detail17trampoline_kernelINS0_14default_configENS1_25partition_config_selectorILNS1_17partition_subalgoE9EllbEEZZNS1_14partition_implILS5_9ELb0ES3_jPlS8_PNS0_10empty_typeENS0_5tupleIJS8_S9_EEENSB_IJS8_SA_EEENS0_18inequality_wrapperIZN2at6native12_GLOBAL__N_124unique_dim_cuda_templateIsEESt5tupleIJNSF_6TensorESK_SK_EERKSK_lbbbEUlllE0_EEPmJS9_EEE10hipError_tPvRmT3_T4_T5_T6_T7_T9_mT8_P12ihipStream_tbDpT10_ENKUlT_T0_E_clISt17integral_constantIbLb1EES1A_EEDaS15_S16_EUlS15_E_NS1_11comp_targetILNS1_3genE8ELNS1_11target_archE1030ELNS1_3gpuE2ELNS1_3repE0EEENS1_30default_config_static_selectorELNS0_4arch9wavefront6targetE0EEEvT1_,"axG",@progbits,_ZN7rocprim17ROCPRIM_400000_NS6detail17trampoline_kernelINS0_14default_configENS1_25partition_config_selectorILNS1_17partition_subalgoE9EllbEEZZNS1_14partition_implILS5_9ELb0ES3_jPlS8_PNS0_10empty_typeENS0_5tupleIJS8_S9_EEENSB_IJS8_SA_EEENS0_18inequality_wrapperIZN2at6native12_GLOBAL__N_124unique_dim_cuda_templateIsEESt5tupleIJNSF_6TensorESK_SK_EERKSK_lbbbEUlllE0_EEPmJS9_EEE10hipError_tPvRmT3_T4_T5_T6_T7_T9_mT8_P12ihipStream_tbDpT10_ENKUlT_T0_E_clISt17integral_constantIbLb1EES1A_EEDaS15_S16_EUlS15_E_NS1_11comp_targetILNS1_3genE8ELNS1_11target_archE1030ELNS1_3gpuE2ELNS1_3repE0EEENS1_30default_config_static_selectorELNS0_4arch9wavefront6targetE0EEEvT1_,comdat
.Lfunc_end732:
	.size	_ZN7rocprim17ROCPRIM_400000_NS6detail17trampoline_kernelINS0_14default_configENS1_25partition_config_selectorILNS1_17partition_subalgoE9EllbEEZZNS1_14partition_implILS5_9ELb0ES3_jPlS8_PNS0_10empty_typeENS0_5tupleIJS8_S9_EEENSB_IJS8_SA_EEENS0_18inequality_wrapperIZN2at6native12_GLOBAL__N_124unique_dim_cuda_templateIsEESt5tupleIJNSF_6TensorESK_SK_EERKSK_lbbbEUlllE0_EEPmJS9_EEE10hipError_tPvRmT3_T4_T5_T6_T7_T9_mT8_P12ihipStream_tbDpT10_ENKUlT_T0_E_clISt17integral_constantIbLb1EES1A_EEDaS15_S16_EUlS15_E_NS1_11comp_targetILNS1_3genE8ELNS1_11target_archE1030ELNS1_3gpuE2ELNS1_3repE0EEENS1_30default_config_static_selectorELNS0_4arch9wavefront6targetE0EEEvT1_, .Lfunc_end732-_ZN7rocprim17ROCPRIM_400000_NS6detail17trampoline_kernelINS0_14default_configENS1_25partition_config_selectorILNS1_17partition_subalgoE9EllbEEZZNS1_14partition_implILS5_9ELb0ES3_jPlS8_PNS0_10empty_typeENS0_5tupleIJS8_S9_EEENSB_IJS8_SA_EEENS0_18inequality_wrapperIZN2at6native12_GLOBAL__N_124unique_dim_cuda_templateIsEESt5tupleIJNSF_6TensorESK_SK_EERKSK_lbbbEUlllE0_EEPmJS9_EEE10hipError_tPvRmT3_T4_T5_T6_T7_T9_mT8_P12ihipStream_tbDpT10_ENKUlT_T0_E_clISt17integral_constantIbLb1EES1A_EEDaS15_S16_EUlS15_E_NS1_11comp_targetILNS1_3genE8ELNS1_11target_archE1030ELNS1_3gpuE2ELNS1_3repE0EEENS1_30default_config_static_selectorELNS0_4arch9wavefront6targetE0EEEvT1_
                                        ; -- End function
	.section	.AMDGPU.csdata,"",@progbits
; Kernel info:
; codeLenInByte = 0
; NumSgprs: 0
; NumVgprs: 0
; ScratchSize: 0
; MemoryBound: 0
; FloatMode: 240
; IeeeMode: 1
; LDSByteSize: 0 bytes/workgroup (compile time only)
; SGPRBlocks: 0
; VGPRBlocks: 0
; NumSGPRsForWavesPerEU: 1
; NumVGPRsForWavesPerEU: 1
; Occupancy: 16
; WaveLimiterHint : 0
; COMPUTE_PGM_RSRC2:SCRATCH_EN: 0
; COMPUTE_PGM_RSRC2:USER_SGPR: 15
; COMPUTE_PGM_RSRC2:TRAP_HANDLER: 0
; COMPUTE_PGM_RSRC2:TGID_X_EN: 1
; COMPUTE_PGM_RSRC2:TGID_Y_EN: 0
; COMPUTE_PGM_RSRC2:TGID_Z_EN: 0
; COMPUTE_PGM_RSRC2:TIDIG_COMP_CNT: 0
	.section	.text._ZN7rocprim17ROCPRIM_400000_NS6detail17trampoline_kernelINS0_14default_configENS1_25partition_config_selectorILNS1_17partition_subalgoE9EllbEEZZNS1_14partition_implILS5_9ELb0ES3_jPlS8_PNS0_10empty_typeENS0_5tupleIJS8_S9_EEENSB_IJS8_SA_EEENS0_18inequality_wrapperIZN2at6native12_GLOBAL__N_124unique_dim_cuda_templateIsEESt5tupleIJNSF_6TensorESK_SK_EERKSK_lbbbEUlllE0_EEPmJS9_EEE10hipError_tPvRmT3_T4_T5_T6_T7_T9_mT8_P12ihipStream_tbDpT10_ENKUlT_T0_E_clISt17integral_constantIbLb1EES19_IbLb0EEEEDaS15_S16_EUlS15_E_NS1_11comp_targetILNS1_3genE0ELNS1_11target_archE4294967295ELNS1_3gpuE0ELNS1_3repE0EEENS1_30default_config_static_selectorELNS0_4arch9wavefront6targetE0EEEvT1_,"axG",@progbits,_ZN7rocprim17ROCPRIM_400000_NS6detail17trampoline_kernelINS0_14default_configENS1_25partition_config_selectorILNS1_17partition_subalgoE9EllbEEZZNS1_14partition_implILS5_9ELb0ES3_jPlS8_PNS0_10empty_typeENS0_5tupleIJS8_S9_EEENSB_IJS8_SA_EEENS0_18inequality_wrapperIZN2at6native12_GLOBAL__N_124unique_dim_cuda_templateIsEESt5tupleIJNSF_6TensorESK_SK_EERKSK_lbbbEUlllE0_EEPmJS9_EEE10hipError_tPvRmT3_T4_T5_T6_T7_T9_mT8_P12ihipStream_tbDpT10_ENKUlT_T0_E_clISt17integral_constantIbLb1EES19_IbLb0EEEEDaS15_S16_EUlS15_E_NS1_11comp_targetILNS1_3genE0ELNS1_11target_archE4294967295ELNS1_3gpuE0ELNS1_3repE0EEENS1_30default_config_static_selectorELNS0_4arch9wavefront6targetE0EEEvT1_,comdat
	.globl	_ZN7rocprim17ROCPRIM_400000_NS6detail17trampoline_kernelINS0_14default_configENS1_25partition_config_selectorILNS1_17partition_subalgoE9EllbEEZZNS1_14partition_implILS5_9ELb0ES3_jPlS8_PNS0_10empty_typeENS0_5tupleIJS8_S9_EEENSB_IJS8_SA_EEENS0_18inequality_wrapperIZN2at6native12_GLOBAL__N_124unique_dim_cuda_templateIsEESt5tupleIJNSF_6TensorESK_SK_EERKSK_lbbbEUlllE0_EEPmJS9_EEE10hipError_tPvRmT3_T4_T5_T6_T7_T9_mT8_P12ihipStream_tbDpT10_ENKUlT_T0_E_clISt17integral_constantIbLb1EES19_IbLb0EEEEDaS15_S16_EUlS15_E_NS1_11comp_targetILNS1_3genE0ELNS1_11target_archE4294967295ELNS1_3gpuE0ELNS1_3repE0EEENS1_30default_config_static_selectorELNS0_4arch9wavefront6targetE0EEEvT1_ ; -- Begin function _ZN7rocprim17ROCPRIM_400000_NS6detail17trampoline_kernelINS0_14default_configENS1_25partition_config_selectorILNS1_17partition_subalgoE9EllbEEZZNS1_14partition_implILS5_9ELb0ES3_jPlS8_PNS0_10empty_typeENS0_5tupleIJS8_S9_EEENSB_IJS8_SA_EEENS0_18inequality_wrapperIZN2at6native12_GLOBAL__N_124unique_dim_cuda_templateIsEESt5tupleIJNSF_6TensorESK_SK_EERKSK_lbbbEUlllE0_EEPmJS9_EEE10hipError_tPvRmT3_T4_T5_T6_T7_T9_mT8_P12ihipStream_tbDpT10_ENKUlT_T0_E_clISt17integral_constantIbLb1EES19_IbLb0EEEEDaS15_S16_EUlS15_E_NS1_11comp_targetILNS1_3genE0ELNS1_11target_archE4294967295ELNS1_3gpuE0ELNS1_3repE0EEENS1_30default_config_static_selectorELNS0_4arch9wavefront6targetE0EEEvT1_
	.p2align	8
	.type	_ZN7rocprim17ROCPRIM_400000_NS6detail17trampoline_kernelINS0_14default_configENS1_25partition_config_selectorILNS1_17partition_subalgoE9EllbEEZZNS1_14partition_implILS5_9ELb0ES3_jPlS8_PNS0_10empty_typeENS0_5tupleIJS8_S9_EEENSB_IJS8_SA_EEENS0_18inequality_wrapperIZN2at6native12_GLOBAL__N_124unique_dim_cuda_templateIsEESt5tupleIJNSF_6TensorESK_SK_EERKSK_lbbbEUlllE0_EEPmJS9_EEE10hipError_tPvRmT3_T4_T5_T6_T7_T9_mT8_P12ihipStream_tbDpT10_ENKUlT_T0_E_clISt17integral_constantIbLb1EES19_IbLb0EEEEDaS15_S16_EUlS15_E_NS1_11comp_targetILNS1_3genE0ELNS1_11target_archE4294967295ELNS1_3gpuE0ELNS1_3repE0EEENS1_30default_config_static_selectorELNS0_4arch9wavefront6targetE0EEEvT1_,@function
_ZN7rocprim17ROCPRIM_400000_NS6detail17trampoline_kernelINS0_14default_configENS1_25partition_config_selectorILNS1_17partition_subalgoE9EllbEEZZNS1_14partition_implILS5_9ELb0ES3_jPlS8_PNS0_10empty_typeENS0_5tupleIJS8_S9_EEENSB_IJS8_SA_EEENS0_18inequality_wrapperIZN2at6native12_GLOBAL__N_124unique_dim_cuda_templateIsEESt5tupleIJNSF_6TensorESK_SK_EERKSK_lbbbEUlllE0_EEPmJS9_EEE10hipError_tPvRmT3_T4_T5_T6_T7_T9_mT8_P12ihipStream_tbDpT10_ENKUlT_T0_E_clISt17integral_constantIbLb1EES19_IbLb0EEEEDaS15_S16_EUlS15_E_NS1_11comp_targetILNS1_3genE0ELNS1_11target_archE4294967295ELNS1_3gpuE0ELNS1_3repE0EEENS1_30default_config_static_selectorELNS0_4arch9wavefront6targetE0EEEvT1_: ; @_ZN7rocprim17ROCPRIM_400000_NS6detail17trampoline_kernelINS0_14default_configENS1_25partition_config_selectorILNS1_17partition_subalgoE9EllbEEZZNS1_14partition_implILS5_9ELb0ES3_jPlS8_PNS0_10empty_typeENS0_5tupleIJS8_S9_EEENSB_IJS8_SA_EEENS0_18inequality_wrapperIZN2at6native12_GLOBAL__N_124unique_dim_cuda_templateIsEESt5tupleIJNSF_6TensorESK_SK_EERKSK_lbbbEUlllE0_EEPmJS9_EEE10hipError_tPvRmT3_T4_T5_T6_T7_T9_mT8_P12ihipStream_tbDpT10_ENKUlT_T0_E_clISt17integral_constantIbLb1EES19_IbLb0EEEEDaS15_S16_EUlS15_E_NS1_11comp_targetILNS1_3genE0ELNS1_11target_archE4294967295ELNS1_3gpuE0ELNS1_3repE0EEENS1_30default_config_static_selectorELNS0_4arch9wavefront6targetE0EEEvT1_
; %bb.0:
	.section	.rodata,"a",@progbits
	.p2align	6, 0x0
	.amdhsa_kernel _ZN7rocprim17ROCPRIM_400000_NS6detail17trampoline_kernelINS0_14default_configENS1_25partition_config_selectorILNS1_17partition_subalgoE9EllbEEZZNS1_14partition_implILS5_9ELb0ES3_jPlS8_PNS0_10empty_typeENS0_5tupleIJS8_S9_EEENSB_IJS8_SA_EEENS0_18inequality_wrapperIZN2at6native12_GLOBAL__N_124unique_dim_cuda_templateIsEESt5tupleIJNSF_6TensorESK_SK_EERKSK_lbbbEUlllE0_EEPmJS9_EEE10hipError_tPvRmT3_T4_T5_T6_T7_T9_mT8_P12ihipStream_tbDpT10_ENKUlT_T0_E_clISt17integral_constantIbLb1EES19_IbLb0EEEEDaS15_S16_EUlS15_E_NS1_11comp_targetILNS1_3genE0ELNS1_11target_archE4294967295ELNS1_3gpuE0ELNS1_3repE0EEENS1_30default_config_static_selectorELNS0_4arch9wavefront6targetE0EEEvT1_
		.amdhsa_group_segment_fixed_size 0
		.amdhsa_private_segment_fixed_size 0
		.amdhsa_kernarg_size 120
		.amdhsa_user_sgpr_count 15
		.amdhsa_user_sgpr_dispatch_ptr 0
		.amdhsa_user_sgpr_queue_ptr 0
		.amdhsa_user_sgpr_kernarg_segment_ptr 1
		.amdhsa_user_sgpr_dispatch_id 0
		.amdhsa_user_sgpr_private_segment_size 0
		.amdhsa_wavefront_size32 1
		.amdhsa_uses_dynamic_stack 0
		.amdhsa_enable_private_segment 0
		.amdhsa_system_sgpr_workgroup_id_x 1
		.amdhsa_system_sgpr_workgroup_id_y 0
		.amdhsa_system_sgpr_workgroup_id_z 0
		.amdhsa_system_sgpr_workgroup_info 0
		.amdhsa_system_vgpr_workitem_id 0
		.amdhsa_next_free_vgpr 1
		.amdhsa_next_free_sgpr 1
		.amdhsa_reserve_vcc 0
		.amdhsa_float_round_mode_32 0
		.amdhsa_float_round_mode_16_64 0
		.amdhsa_float_denorm_mode_32 3
		.amdhsa_float_denorm_mode_16_64 3
		.amdhsa_dx10_clamp 1
		.amdhsa_ieee_mode 1
		.amdhsa_fp16_overflow 0
		.amdhsa_workgroup_processor_mode 1
		.amdhsa_memory_ordered 1
		.amdhsa_forward_progress 0
		.amdhsa_shared_vgpr_count 0
		.amdhsa_exception_fp_ieee_invalid_op 0
		.amdhsa_exception_fp_denorm_src 0
		.amdhsa_exception_fp_ieee_div_zero 0
		.amdhsa_exception_fp_ieee_overflow 0
		.amdhsa_exception_fp_ieee_underflow 0
		.amdhsa_exception_fp_ieee_inexact 0
		.amdhsa_exception_int_div_zero 0
	.end_amdhsa_kernel
	.section	.text._ZN7rocprim17ROCPRIM_400000_NS6detail17trampoline_kernelINS0_14default_configENS1_25partition_config_selectorILNS1_17partition_subalgoE9EllbEEZZNS1_14partition_implILS5_9ELb0ES3_jPlS8_PNS0_10empty_typeENS0_5tupleIJS8_S9_EEENSB_IJS8_SA_EEENS0_18inequality_wrapperIZN2at6native12_GLOBAL__N_124unique_dim_cuda_templateIsEESt5tupleIJNSF_6TensorESK_SK_EERKSK_lbbbEUlllE0_EEPmJS9_EEE10hipError_tPvRmT3_T4_T5_T6_T7_T9_mT8_P12ihipStream_tbDpT10_ENKUlT_T0_E_clISt17integral_constantIbLb1EES19_IbLb0EEEEDaS15_S16_EUlS15_E_NS1_11comp_targetILNS1_3genE0ELNS1_11target_archE4294967295ELNS1_3gpuE0ELNS1_3repE0EEENS1_30default_config_static_selectorELNS0_4arch9wavefront6targetE0EEEvT1_,"axG",@progbits,_ZN7rocprim17ROCPRIM_400000_NS6detail17trampoline_kernelINS0_14default_configENS1_25partition_config_selectorILNS1_17partition_subalgoE9EllbEEZZNS1_14partition_implILS5_9ELb0ES3_jPlS8_PNS0_10empty_typeENS0_5tupleIJS8_S9_EEENSB_IJS8_SA_EEENS0_18inequality_wrapperIZN2at6native12_GLOBAL__N_124unique_dim_cuda_templateIsEESt5tupleIJNSF_6TensorESK_SK_EERKSK_lbbbEUlllE0_EEPmJS9_EEE10hipError_tPvRmT3_T4_T5_T6_T7_T9_mT8_P12ihipStream_tbDpT10_ENKUlT_T0_E_clISt17integral_constantIbLb1EES19_IbLb0EEEEDaS15_S16_EUlS15_E_NS1_11comp_targetILNS1_3genE0ELNS1_11target_archE4294967295ELNS1_3gpuE0ELNS1_3repE0EEENS1_30default_config_static_selectorELNS0_4arch9wavefront6targetE0EEEvT1_,comdat
.Lfunc_end733:
	.size	_ZN7rocprim17ROCPRIM_400000_NS6detail17trampoline_kernelINS0_14default_configENS1_25partition_config_selectorILNS1_17partition_subalgoE9EllbEEZZNS1_14partition_implILS5_9ELb0ES3_jPlS8_PNS0_10empty_typeENS0_5tupleIJS8_S9_EEENSB_IJS8_SA_EEENS0_18inequality_wrapperIZN2at6native12_GLOBAL__N_124unique_dim_cuda_templateIsEESt5tupleIJNSF_6TensorESK_SK_EERKSK_lbbbEUlllE0_EEPmJS9_EEE10hipError_tPvRmT3_T4_T5_T6_T7_T9_mT8_P12ihipStream_tbDpT10_ENKUlT_T0_E_clISt17integral_constantIbLb1EES19_IbLb0EEEEDaS15_S16_EUlS15_E_NS1_11comp_targetILNS1_3genE0ELNS1_11target_archE4294967295ELNS1_3gpuE0ELNS1_3repE0EEENS1_30default_config_static_selectorELNS0_4arch9wavefront6targetE0EEEvT1_, .Lfunc_end733-_ZN7rocprim17ROCPRIM_400000_NS6detail17trampoline_kernelINS0_14default_configENS1_25partition_config_selectorILNS1_17partition_subalgoE9EllbEEZZNS1_14partition_implILS5_9ELb0ES3_jPlS8_PNS0_10empty_typeENS0_5tupleIJS8_S9_EEENSB_IJS8_SA_EEENS0_18inequality_wrapperIZN2at6native12_GLOBAL__N_124unique_dim_cuda_templateIsEESt5tupleIJNSF_6TensorESK_SK_EERKSK_lbbbEUlllE0_EEPmJS9_EEE10hipError_tPvRmT3_T4_T5_T6_T7_T9_mT8_P12ihipStream_tbDpT10_ENKUlT_T0_E_clISt17integral_constantIbLb1EES19_IbLb0EEEEDaS15_S16_EUlS15_E_NS1_11comp_targetILNS1_3genE0ELNS1_11target_archE4294967295ELNS1_3gpuE0ELNS1_3repE0EEENS1_30default_config_static_selectorELNS0_4arch9wavefront6targetE0EEEvT1_
                                        ; -- End function
	.section	.AMDGPU.csdata,"",@progbits
; Kernel info:
; codeLenInByte = 0
; NumSgprs: 0
; NumVgprs: 0
; ScratchSize: 0
; MemoryBound: 0
; FloatMode: 240
; IeeeMode: 1
; LDSByteSize: 0 bytes/workgroup (compile time only)
; SGPRBlocks: 0
; VGPRBlocks: 0
; NumSGPRsForWavesPerEU: 1
; NumVGPRsForWavesPerEU: 1
; Occupancy: 16
; WaveLimiterHint : 0
; COMPUTE_PGM_RSRC2:SCRATCH_EN: 0
; COMPUTE_PGM_RSRC2:USER_SGPR: 15
; COMPUTE_PGM_RSRC2:TRAP_HANDLER: 0
; COMPUTE_PGM_RSRC2:TGID_X_EN: 1
; COMPUTE_PGM_RSRC2:TGID_Y_EN: 0
; COMPUTE_PGM_RSRC2:TGID_Z_EN: 0
; COMPUTE_PGM_RSRC2:TIDIG_COMP_CNT: 0
	.section	.text._ZN7rocprim17ROCPRIM_400000_NS6detail17trampoline_kernelINS0_14default_configENS1_25partition_config_selectorILNS1_17partition_subalgoE9EllbEEZZNS1_14partition_implILS5_9ELb0ES3_jPlS8_PNS0_10empty_typeENS0_5tupleIJS8_S9_EEENSB_IJS8_SA_EEENS0_18inequality_wrapperIZN2at6native12_GLOBAL__N_124unique_dim_cuda_templateIsEESt5tupleIJNSF_6TensorESK_SK_EERKSK_lbbbEUlllE0_EEPmJS9_EEE10hipError_tPvRmT3_T4_T5_T6_T7_T9_mT8_P12ihipStream_tbDpT10_ENKUlT_T0_E_clISt17integral_constantIbLb1EES19_IbLb0EEEEDaS15_S16_EUlS15_E_NS1_11comp_targetILNS1_3genE5ELNS1_11target_archE942ELNS1_3gpuE9ELNS1_3repE0EEENS1_30default_config_static_selectorELNS0_4arch9wavefront6targetE0EEEvT1_,"axG",@progbits,_ZN7rocprim17ROCPRIM_400000_NS6detail17trampoline_kernelINS0_14default_configENS1_25partition_config_selectorILNS1_17partition_subalgoE9EllbEEZZNS1_14partition_implILS5_9ELb0ES3_jPlS8_PNS0_10empty_typeENS0_5tupleIJS8_S9_EEENSB_IJS8_SA_EEENS0_18inequality_wrapperIZN2at6native12_GLOBAL__N_124unique_dim_cuda_templateIsEESt5tupleIJNSF_6TensorESK_SK_EERKSK_lbbbEUlllE0_EEPmJS9_EEE10hipError_tPvRmT3_T4_T5_T6_T7_T9_mT8_P12ihipStream_tbDpT10_ENKUlT_T0_E_clISt17integral_constantIbLb1EES19_IbLb0EEEEDaS15_S16_EUlS15_E_NS1_11comp_targetILNS1_3genE5ELNS1_11target_archE942ELNS1_3gpuE9ELNS1_3repE0EEENS1_30default_config_static_selectorELNS0_4arch9wavefront6targetE0EEEvT1_,comdat
	.globl	_ZN7rocprim17ROCPRIM_400000_NS6detail17trampoline_kernelINS0_14default_configENS1_25partition_config_selectorILNS1_17partition_subalgoE9EllbEEZZNS1_14partition_implILS5_9ELb0ES3_jPlS8_PNS0_10empty_typeENS0_5tupleIJS8_S9_EEENSB_IJS8_SA_EEENS0_18inequality_wrapperIZN2at6native12_GLOBAL__N_124unique_dim_cuda_templateIsEESt5tupleIJNSF_6TensorESK_SK_EERKSK_lbbbEUlllE0_EEPmJS9_EEE10hipError_tPvRmT3_T4_T5_T6_T7_T9_mT8_P12ihipStream_tbDpT10_ENKUlT_T0_E_clISt17integral_constantIbLb1EES19_IbLb0EEEEDaS15_S16_EUlS15_E_NS1_11comp_targetILNS1_3genE5ELNS1_11target_archE942ELNS1_3gpuE9ELNS1_3repE0EEENS1_30default_config_static_selectorELNS0_4arch9wavefront6targetE0EEEvT1_ ; -- Begin function _ZN7rocprim17ROCPRIM_400000_NS6detail17trampoline_kernelINS0_14default_configENS1_25partition_config_selectorILNS1_17partition_subalgoE9EllbEEZZNS1_14partition_implILS5_9ELb0ES3_jPlS8_PNS0_10empty_typeENS0_5tupleIJS8_S9_EEENSB_IJS8_SA_EEENS0_18inequality_wrapperIZN2at6native12_GLOBAL__N_124unique_dim_cuda_templateIsEESt5tupleIJNSF_6TensorESK_SK_EERKSK_lbbbEUlllE0_EEPmJS9_EEE10hipError_tPvRmT3_T4_T5_T6_T7_T9_mT8_P12ihipStream_tbDpT10_ENKUlT_T0_E_clISt17integral_constantIbLb1EES19_IbLb0EEEEDaS15_S16_EUlS15_E_NS1_11comp_targetILNS1_3genE5ELNS1_11target_archE942ELNS1_3gpuE9ELNS1_3repE0EEENS1_30default_config_static_selectorELNS0_4arch9wavefront6targetE0EEEvT1_
	.p2align	8
	.type	_ZN7rocprim17ROCPRIM_400000_NS6detail17trampoline_kernelINS0_14default_configENS1_25partition_config_selectorILNS1_17partition_subalgoE9EllbEEZZNS1_14partition_implILS5_9ELb0ES3_jPlS8_PNS0_10empty_typeENS0_5tupleIJS8_S9_EEENSB_IJS8_SA_EEENS0_18inequality_wrapperIZN2at6native12_GLOBAL__N_124unique_dim_cuda_templateIsEESt5tupleIJNSF_6TensorESK_SK_EERKSK_lbbbEUlllE0_EEPmJS9_EEE10hipError_tPvRmT3_T4_T5_T6_T7_T9_mT8_P12ihipStream_tbDpT10_ENKUlT_T0_E_clISt17integral_constantIbLb1EES19_IbLb0EEEEDaS15_S16_EUlS15_E_NS1_11comp_targetILNS1_3genE5ELNS1_11target_archE942ELNS1_3gpuE9ELNS1_3repE0EEENS1_30default_config_static_selectorELNS0_4arch9wavefront6targetE0EEEvT1_,@function
_ZN7rocprim17ROCPRIM_400000_NS6detail17trampoline_kernelINS0_14default_configENS1_25partition_config_selectorILNS1_17partition_subalgoE9EllbEEZZNS1_14partition_implILS5_9ELb0ES3_jPlS8_PNS0_10empty_typeENS0_5tupleIJS8_S9_EEENSB_IJS8_SA_EEENS0_18inequality_wrapperIZN2at6native12_GLOBAL__N_124unique_dim_cuda_templateIsEESt5tupleIJNSF_6TensorESK_SK_EERKSK_lbbbEUlllE0_EEPmJS9_EEE10hipError_tPvRmT3_T4_T5_T6_T7_T9_mT8_P12ihipStream_tbDpT10_ENKUlT_T0_E_clISt17integral_constantIbLb1EES19_IbLb0EEEEDaS15_S16_EUlS15_E_NS1_11comp_targetILNS1_3genE5ELNS1_11target_archE942ELNS1_3gpuE9ELNS1_3repE0EEENS1_30default_config_static_selectorELNS0_4arch9wavefront6targetE0EEEvT1_: ; @_ZN7rocprim17ROCPRIM_400000_NS6detail17trampoline_kernelINS0_14default_configENS1_25partition_config_selectorILNS1_17partition_subalgoE9EllbEEZZNS1_14partition_implILS5_9ELb0ES3_jPlS8_PNS0_10empty_typeENS0_5tupleIJS8_S9_EEENSB_IJS8_SA_EEENS0_18inequality_wrapperIZN2at6native12_GLOBAL__N_124unique_dim_cuda_templateIsEESt5tupleIJNSF_6TensorESK_SK_EERKSK_lbbbEUlllE0_EEPmJS9_EEE10hipError_tPvRmT3_T4_T5_T6_T7_T9_mT8_P12ihipStream_tbDpT10_ENKUlT_T0_E_clISt17integral_constantIbLb1EES19_IbLb0EEEEDaS15_S16_EUlS15_E_NS1_11comp_targetILNS1_3genE5ELNS1_11target_archE942ELNS1_3gpuE9ELNS1_3repE0EEENS1_30default_config_static_selectorELNS0_4arch9wavefront6targetE0EEEvT1_
; %bb.0:
	.section	.rodata,"a",@progbits
	.p2align	6, 0x0
	.amdhsa_kernel _ZN7rocprim17ROCPRIM_400000_NS6detail17trampoline_kernelINS0_14default_configENS1_25partition_config_selectorILNS1_17partition_subalgoE9EllbEEZZNS1_14partition_implILS5_9ELb0ES3_jPlS8_PNS0_10empty_typeENS0_5tupleIJS8_S9_EEENSB_IJS8_SA_EEENS0_18inequality_wrapperIZN2at6native12_GLOBAL__N_124unique_dim_cuda_templateIsEESt5tupleIJNSF_6TensorESK_SK_EERKSK_lbbbEUlllE0_EEPmJS9_EEE10hipError_tPvRmT3_T4_T5_T6_T7_T9_mT8_P12ihipStream_tbDpT10_ENKUlT_T0_E_clISt17integral_constantIbLb1EES19_IbLb0EEEEDaS15_S16_EUlS15_E_NS1_11comp_targetILNS1_3genE5ELNS1_11target_archE942ELNS1_3gpuE9ELNS1_3repE0EEENS1_30default_config_static_selectorELNS0_4arch9wavefront6targetE0EEEvT1_
		.amdhsa_group_segment_fixed_size 0
		.amdhsa_private_segment_fixed_size 0
		.amdhsa_kernarg_size 120
		.amdhsa_user_sgpr_count 15
		.amdhsa_user_sgpr_dispatch_ptr 0
		.amdhsa_user_sgpr_queue_ptr 0
		.amdhsa_user_sgpr_kernarg_segment_ptr 1
		.amdhsa_user_sgpr_dispatch_id 0
		.amdhsa_user_sgpr_private_segment_size 0
		.amdhsa_wavefront_size32 1
		.amdhsa_uses_dynamic_stack 0
		.amdhsa_enable_private_segment 0
		.amdhsa_system_sgpr_workgroup_id_x 1
		.amdhsa_system_sgpr_workgroup_id_y 0
		.amdhsa_system_sgpr_workgroup_id_z 0
		.amdhsa_system_sgpr_workgroup_info 0
		.amdhsa_system_vgpr_workitem_id 0
		.amdhsa_next_free_vgpr 1
		.amdhsa_next_free_sgpr 1
		.amdhsa_reserve_vcc 0
		.amdhsa_float_round_mode_32 0
		.amdhsa_float_round_mode_16_64 0
		.amdhsa_float_denorm_mode_32 3
		.amdhsa_float_denorm_mode_16_64 3
		.amdhsa_dx10_clamp 1
		.amdhsa_ieee_mode 1
		.amdhsa_fp16_overflow 0
		.amdhsa_workgroup_processor_mode 1
		.amdhsa_memory_ordered 1
		.amdhsa_forward_progress 0
		.amdhsa_shared_vgpr_count 0
		.amdhsa_exception_fp_ieee_invalid_op 0
		.amdhsa_exception_fp_denorm_src 0
		.amdhsa_exception_fp_ieee_div_zero 0
		.amdhsa_exception_fp_ieee_overflow 0
		.amdhsa_exception_fp_ieee_underflow 0
		.amdhsa_exception_fp_ieee_inexact 0
		.amdhsa_exception_int_div_zero 0
	.end_amdhsa_kernel
	.section	.text._ZN7rocprim17ROCPRIM_400000_NS6detail17trampoline_kernelINS0_14default_configENS1_25partition_config_selectorILNS1_17partition_subalgoE9EllbEEZZNS1_14partition_implILS5_9ELb0ES3_jPlS8_PNS0_10empty_typeENS0_5tupleIJS8_S9_EEENSB_IJS8_SA_EEENS0_18inequality_wrapperIZN2at6native12_GLOBAL__N_124unique_dim_cuda_templateIsEESt5tupleIJNSF_6TensorESK_SK_EERKSK_lbbbEUlllE0_EEPmJS9_EEE10hipError_tPvRmT3_T4_T5_T6_T7_T9_mT8_P12ihipStream_tbDpT10_ENKUlT_T0_E_clISt17integral_constantIbLb1EES19_IbLb0EEEEDaS15_S16_EUlS15_E_NS1_11comp_targetILNS1_3genE5ELNS1_11target_archE942ELNS1_3gpuE9ELNS1_3repE0EEENS1_30default_config_static_selectorELNS0_4arch9wavefront6targetE0EEEvT1_,"axG",@progbits,_ZN7rocprim17ROCPRIM_400000_NS6detail17trampoline_kernelINS0_14default_configENS1_25partition_config_selectorILNS1_17partition_subalgoE9EllbEEZZNS1_14partition_implILS5_9ELb0ES3_jPlS8_PNS0_10empty_typeENS0_5tupleIJS8_S9_EEENSB_IJS8_SA_EEENS0_18inequality_wrapperIZN2at6native12_GLOBAL__N_124unique_dim_cuda_templateIsEESt5tupleIJNSF_6TensorESK_SK_EERKSK_lbbbEUlllE0_EEPmJS9_EEE10hipError_tPvRmT3_T4_T5_T6_T7_T9_mT8_P12ihipStream_tbDpT10_ENKUlT_T0_E_clISt17integral_constantIbLb1EES19_IbLb0EEEEDaS15_S16_EUlS15_E_NS1_11comp_targetILNS1_3genE5ELNS1_11target_archE942ELNS1_3gpuE9ELNS1_3repE0EEENS1_30default_config_static_selectorELNS0_4arch9wavefront6targetE0EEEvT1_,comdat
.Lfunc_end734:
	.size	_ZN7rocprim17ROCPRIM_400000_NS6detail17trampoline_kernelINS0_14default_configENS1_25partition_config_selectorILNS1_17partition_subalgoE9EllbEEZZNS1_14partition_implILS5_9ELb0ES3_jPlS8_PNS0_10empty_typeENS0_5tupleIJS8_S9_EEENSB_IJS8_SA_EEENS0_18inequality_wrapperIZN2at6native12_GLOBAL__N_124unique_dim_cuda_templateIsEESt5tupleIJNSF_6TensorESK_SK_EERKSK_lbbbEUlllE0_EEPmJS9_EEE10hipError_tPvRmT3_T4_T5_T6_T7_T9_mT8_P12ihipStream_tbDpT10_ENKUlT_T0_E_clISt17integral_constantIbLb1EES19_IbLb0EEEEDaS15_S16_EUlS15_E_NS1_11comp_targetILNS1_3genE5ELNS1_11target_archE942ELNS1_3gpuE9ELNS1_3repE0EEENS1_30default_config_static_selectorELNS0_4arch9wavefront6targetE0EEEvT1_, .Lfunc_end734-_ZN7rocprim17ROCPRIM_400000_NS6detail17trampoline_kernelINS0_14default_configENS1_25partition_config_selectorILNS1_17partition_subalgoE9EllbEEZZNS1_14partition_implILS5_9ELb0ES3_jPlS8_PNS0_10empty_typeENS0_5tupleIJS8_S9_EEENSB_IJS8_SA_EEENS0_18inequality_wrapperIZN2at6native12_GLOBAL__N_124unique_dim_cuda_templateIsEESt5tupleIJNSF_6TensorESK_SK_EERKSK_lbbbEUlllE0_EEPmJS9_EEE10hipError_tPvRmT3_T4_T5_T6_T7_T9_mT8_P12ihipStream_tbDpT10_ENKUlT_T0_E_clISt17integral_constantIbLb1EES19_IbLb0EEEEDaS15_S16_EUlS15_E_NS1_11comp_targetILNS1_3genE5ELNS1_11target_archE942ELNS1_3gpuE9ELNS1_3repE0EEENS1_30default_config_static_selectorELNS0_4arch9wavefront6targetE0EEEvT1_
                                        ; -- End function
	.section	.AMDGPU.csdata,"",@progbits
; Kernel info:
; codeLenInByte = 0
; NumSgprs: 0
; NumVgprs: 0
; ScratchSize: 0
; MemoryBound: 0
; FloatMode: 240
; IeeeMode: 1
; LDSByteSize: 0 bytes/workgroup (compile time only)
; SGPRBlocks: 0
; VGPRBlocks: 0
; NumSGPRsForWavesPerEU: 1
; NumVGPRsForWavesPerEU: 1
; Occupancy: 16
; WaveLimiterHint : 0
; COMPUTE_PGM_RSRC2:SCRATCH_EN: 0
; COMPUTE_PGM_RSRC2:USER_SGPR: 15
; COMPUTE_PGM_RSRC2:TRAP_HANDLER: 0
; COMPUTE_PGM_RSRC2:TGID_X_EN: 1
; COMPUTE_PGM_RSRC2:TGID_Y_EN: 0
; COMPUTE_PGM_RSRC2:TGID_Z_EN: 0
; COMPUTE_PGM_RSRC2:TIDIG_COMP_CNT: 0
	.section	.text._ZN7rocprim17ROCPRIM_400000_NS6detail17trampoline_kernelINS0_14default_configENS1_25partition_config_selectorILNS1_17partition_subalgoE9EllbEEZZNS1_14partition_implILS5_9ELb0ES3_jPlS8_PNS0_10empty_typeENS0_5tupleIJS8_S9_EEENSB_IJS8_SA_EEENS0_18inequality_wrapperIZN2at6native12_GLOBAL__N_124unique_dim_cuda_templateIsEESt5tupleIJNSF_6TensorESK_SK_EERKSK_lbbbEUlllE0_EEPmJS9_EEE10hipError_tPvRmT3_T4_T5_T6_T7_T9_mT8_P12ihipStream_tbDpT10_ENKUlT_T0_E_clISt17integral_constantIbLb1EES19_IbLb0EEEEDaS15_S16_EUlS15_E_NS1_11comp_targetILNS1_3genE4ELNS1_11target_archE910ELNS1_3gpuE8ELNS1_3repE0EEENS1_30default_config_static_selectorELNS0_4arch9wavefront6targetE0EEEvT1_,"axG",@progbits,_ZN7rocprim17ROCPRIM_400000_NS6detail17trampoline_kernelINS0_14default_configENS1_25partition_config_selectorILNS1_17partition_subalgoE9EllbEEZZNS1_14partition_implILS5_9ELb0ES3_jPlS8_PNS0_10empty_typeENS0_5tupleIJS8_S9_EEENSB_IJS8_SA_EEENS0_18inequality_wrapperIZN2at6native12_GLOBAL__N_124unique_dim_cuda_templateIsEESt5tupleIJNSF_6TensorESK_SK_EERKSK_lbbbEUlllE0_EEPmJS9_EEE10hipError_tPvRmT3_T4_T5_T6_T7_T9_mT8_P12ihipStream_tbDpT10_ENKUlT_T0_E_clISt17integral_constantIbLb1EES19_IbLb0EEEEDaS15_S16_EUlS15_E_NS1_11comp_targetILNS1_3genE4ELNS1_11target_archE910ELNS1_3gpuE8ELNS1_3repE0EEENS1_30default_config_static_selectorELNS0_4arch9wavefront6targetE0EEEvT1_,comdat
	.globl	_ZN7rocprim17ROCPRIM_400000_NS6detail17trampoline_kernelINS0_14default_configENS1_25partition_config_selectorILNS1_17partition_subalgoE9EllbEEZZNS1_14partition_implILS5_9ELb0ES3_jPlS8_PNS0_10empty_typeENS0_5tupleIJS8_S9_EEENSB_IJS8_SA_EEENS0_18inequality_wrapperIZN2at6native12_GLOBAL__N_124unique_dim_cuda_templateIsEESt5tupleIJNSF_6TensorESK_SK_EERKSK_lbbbEUlllE0_EEPmJS9_EEE10hipError_tPvRmT3_T4_T5_T6_T7_T9_mT8_P12ihipStream_tbDpT10_ENKUlT_T0_E_clISt17integral_constantIbLb1EES19_IbLb0EEEEDaS15_S16_EUlS15_E_NS1_11comp_targetILNS1_3genE4ELNS1_11target_archE910ELNS1_3gpuE8ELNS1_3repE0EEENS1_30default_config_static_selectorELNS0_4arch9wavefront6targetE0EEEvT1_ ; -- Begin function _ZN7rocprim17ROCPRIM_400000_NS6detail17trampoline_kernelINS0_14default_configENS1_25partition_config_selectorILNS1_17partition_subalgoE9EllbEEZZNS1_14partition_implILS5_9ELb0ES3_jPlS8_PNS0_10empty_typeENS0_5tupleIJS8_S9_EEENSB_IJS8_SA_EEENS0_18inequality_wrapperIZN2at6native12_GLOBAL__N_124unique_dim_cuda_templateIsEESt5tupleIJNSF_6TensorESK_SK_EERKSK_lbbbEUlllE0_EEPmJS9_EEE10hipError_tPvRmT3_T4_T5_T6_T7_T9_mT8_P12ihipStream_tbDpT10_ENKUlT_T0_E_clISt17integral_constantIbLb1EES19_IbLb0EEEEDaS15_S16_EUlS15_E_NS1_11comp_targetILNS1_3genE4ELNS1_11target_archE910ELNS1_3gpuE8ELNS1_3repE0EEENS1_30default_config_static_selectorELNS0_4arch9wavefront6targetE0EEEvT1_
	.p2align	8
	.type	_ZN7rocprim17ROCPRIM_400000_NS6detail17trampoline_kernelINS0_14default_configENS1_25partition_config_selectorILNS1_17partition_subalgoE9EllbEEZZNS1_14partition_implILS5_9ELb0ES3_jPlS8_PNS0_10empty_typeENS0_5tupleIJS8_S9_EEENSB_IJS8_SA_EEENS0_18inequality_wrapperIZN2at6native12_GLOBAL__N_124unique_dim_cuda_templateIsEESt5tupleIJNSF_6TensorESK_SK_EERKSK_lbbbEUlllE0_EEPmJS9_EEE10hipError_tPvRmT3_T4_T5_T6_T7_T9_mT8_P12ihipStream_tbDpT10_ENKUlT_T0_E_clISt17integral_constantIbLb1EES19_IbLb0EEEEDaS15_S16_EUlS15_E_NS1_11comp_targetILNS1_3genE4ELNS1_11target_archE910ELNS1_3gpuE8ELNS1_3repE0EEENS1_30default_config_static_selectorELNS0_4arch9wavefront6targetE0EEEvT1_,@function
_ZN7rocprim17ROCPRIM_400000_NS6detail17trampoline_kernelINS0_14default_configENS1_25partition_config_selectorILNS1_17partition_subalgoE9EllbEEZZNS1_14partition_implILS5_9ELb0ES3_jPlS8_PNS0_10empty_typeENS0_5tupleIJS8_S9_EEENSB_IJS8_SA_EEENS0_18inequality_wrapperIZN2at6native12_GLOBAL__N_124unique_dim_cuda_templateIsEESt5tupleIJNSF_6TensorESK_SK_EERKSK_lbbbEUlllE0_EEPmJS9_EEE10hipError_tPvRmT3_T4_T5_T6_T7_T9_mT8_P12ihipStream_tbDpT10_ENKUlT_T0_E_clISt17integral_constantIbLb1EES19_IbLb0EEEEDaS15_S16_EUlS15_E_NS1_11comp_targetILNS1_3genE4ELNS1_11target_archE910ELNS1_3gpuE8ELNS1_3repE0EEENS1_30default_config_static_selectorELNS0_4arch9wavefront6targetE0EEEvT1_: ; @_ZN7rocprim17ROCPRIM_400000_NS6detail17trampoline_kernelINS0_14default_configENS1_25partition_config_selectorILNS1_17partition_subalgoE9EllbEEZZNS1_14partition_implILS5_9ELb0ES3_jPlS8_PNS0_10empty_typeENS0_5tupleIJS8_S9_EEENSB_IJS8_SA_EEENS0_18inequality_wrapperIZN2at6native12_GLOBAL__N_124unique_dim_cuda_templateIsEESt5tupleIJNSF_6TensorESK_SK_EERKSK_lbbbEUlllE0_EEPmJS9_EEE10hipError_tPvRmT3_T4_T5_T6_T7_T9_mT8_P12ihipStream_tbDpT10_ENKUlT_T0_E_clISt17integral_constantIbLb1EES19_IbLb0EEEEDaS15_S16_EUlS15_E_NS1_11comp_targetILNS1_3genE4ELNS1_11target_archE910ELNS1_3gpuE8ELNS1_3repE0EEENS1_30default_config_static_selectorELNS0_4arch9wavefront6targetE0EEEvT1_
; %bb.0:
	.section	.rodata,"a",@progbits
	.p2align	6, 0x0
	.amdhsa_kernel _ZN7rocprim17ROCPRIM_400000_NS6detail17trampoline_kernelINS0_14default_configENS1_25partition_config_selectorILNS1_17partition_subalgoE9EllbEEZZNS1_14partition_implILS5_9ELb0ES3_jPlS8_PNS0_10empty_typeENS0_5tupleIJS8_S9_EEENSB_IJS8_SA_EEENS0_18inequality_wrapperIZN2at6native12_GLOBAL__N_124unique_dim_cuda_templateIsEESt5tupleIJNSF_6TensorESK_SK_EERKSK_lbbbEUlllE0_EEPmJS9_EEE10hipError_tPvRmT3_T4_T5_T6_T7_T9_mT8_P12ihipStream_tbDpT10_ENKUlT_T0_E_clISt17integral_constantIbLb1EES19_IbLb0EEEEDaS15_S16_EUlS15_E_NS1_11comp_targetILNS1_3genE4ELNS1_11target_archE910ELNS1_3gpuE8ELNS1_3repE0EEENS1_30default_config_static_selectorELNS0_4arch9wavefront6targetE0EEEvT1_
		.amdhsa_group_segment_fixed_size 0
		.amdhsa_private_segment_fixed_size 0
		.amdhsa_kernarg_size 120
		.amdhsa_user_sgpr_count 15
		.amdhsa_user_sgpr_dispatch_ptr 0
		.amdhsa_user_sgpr_queue_ptr 0
		.amdhsa_user_sgpr_kernarg_segment_ptr 1
		.amdhsa_user_sgpr_dispatch_id 0
		.amdhsa_user_sgpr_private_segment_size 0
		.amdhsa_wavefront_size32 1
		.amdhsa_uses_dynamic_stack 0
		.amdhsa_enable_private_segment 0
		.amdhsa_system_sgpr_workgroup_id_x 1
		.amdhsa_system_sgpr_workgroup_id_y 0
		.amdhsa_system_sgpr_workgroup_id_z 0
		.amdhsa_system_sgpr_workgroup_info 0
		.amdhsa_system_vgpr_workitem_id 0
		.amdhsa_next_free_vgpr 1
		.amdhsa_next_free_sgpr 1
		.amdhsa_reserve_vcc 0
		.amdhsa_float_round_mode_32 0
		.amdhsa_float_round_mode_16_64 0
		.amdhsa_float_denorm_mode_32 3
		.amdhsa_float_denorm_mode_16_64 3
		.amdhsa_dx10_clamp 1
		.amdhsa_ieee_mode 1
		.amdhsa_fp16_overflow 0
		.amdhsa_workgroup_processor_mode 1
		.amdhsa_memory_ordered 1
		.amdhsa_forward_progress 0
		.amdhsa_shared_vgpr_count 0
		.amdhsa_exception_fp_ieee_invalid_op 0
		.amdhsa_exception_fp_denorm_src 0
		.amdhsa_exception_fp_ieee_div_zero 0
		.amdhsa_exception_fp_ieee_overflow 0
		.amdhsa_exception_fp_ieee_underflow 0
		.amdhsa_exception_fp_ieee_inexact 0
		.amdhsa_exception_int_div_zero 0
	.end_amdhsa_kernel
	.section	.text._ZN7rocprim17ROCPRIM_400000_NS6detail17trampoline_kernelINS0_14default_configENS1_25partition_config_selectorILNS1_17partition_subalgoE9EllbEEZZNS1_14partition_implILS5_9ELb0ES3_jPlS8_PNS0_10empty_typeENS0_5tupleIJS8_S9_EEENSB_IJS8_SA_EEENS0_18inequality_wrapperIZN2at6native12_GLOBAL__N_124unique_dim_cuda_templateIsEESt5tupleIJNSF_6TensorESK_SK_EERKSK_lbbbEUlllE0_EEPmJS9_EEE10hipError_tPvRmT3_T4_T5_T6_T7_T9_mT8_P12ihipStream_tbDpT10_ENKUlT_T0_E_clISt17integral_constantIbLb1EES19_IbLb0EEEEDaS15_S16_EUlS15_E_NS1_11comp_targetILNS1_3genE4ELNS1_11target_archE910ELNS1_3gpuE8ELNS1_3repE0EEENS1_30default_config_static_selectorELNS0_4arch9wavefront6targetE0EEEvT1_,"axG",@progbits,_ZN7rocprim17ROCPRIM_400000_NS6detail17trampoline_kernelINS0_14default_configENS1_25partition_config_selectorILNS1_17partition_subalgoE9EllbEEZZNS1_14partition_implILS5_9ELb0ES3_jPlS8_PNS0_10empty_typeENS0_5tupleIJS8_S9_EEENSB_IJS8_SA_EEENS0_18inequality_wrapperIZN2at6native12_GLOBAL__N_124unique_dim_cuda_templateIsEESt5tupleIJNSF_6TensorESK_SK_EERKSK_lbbbEUlllE0_EEPmJS9_EEE10hipError_tPvRmT3_T4_T5_T6_T7_T9_mT8_P12ihipStream_tbDpT10_ENKUlT_T0_E_clISt17integral_constantIbLb1EES19_IbLb0EEEEDaS15_S16_EUlS15_E_NS1_11comp_targetILNS1_3genE4ELNS1_11target_archE910ELNS1_3gpuE8ELNS1_3repE0EEENS1_30default_config_static_selectorELNS0_4arch9wavefront6targetE0EEEvT1_,comdat
.Lfunc_end735:
	.size	_ZN7rocprim17ROCPRIM_400000_NS6detail17trampoline_kernelINS0_14default_configENS1_25partition_config_selectorILNS1_17partition_subalgoE9EllbEEZZNS1_14partition_implILS5_9ELb0ES3_jPlS8_PNS0_10empty_typeENS0_5tupleIJS8_S9_EEENSB_IJS8_SA_EEENS0_18inequality_wrapperIZN2at6native12_GLOBAL__N_124unique_dim_cuda_templateIsEESt5tupleIJNSF_6TensorESK_SK_EERKSK_lbbbEUlllE0_EEPmJS9_EEE10hipError_tPvRmT3_T4_T5_T6_T7_T9_mT8_P12ihipStream_tbDpT10_ENKUlT_T0_E_clISt17integral_constantIbLb1EES19_IbLb0EEEEDaS15_S16_EUlS15_E_NS1_11comp_targetILNS1_3genE4ELNS1_11target_archE910ELNS1_3gpuE8ELNS1_3repE0EEENS1_30default_config_static_selectorELNS0_4arch9wavefront6targetE0EEEvT1_, .Lfunc_end735-_ZN7rocprim17ROCPRIM_400000_NS6detail17trampoline_kernelINS0_14default_configENS1_25partition_config_selectorILNS1_17partition_subalgoE9EllbEEZZNS1_14partition_implILS5_9ELb0ES3_jPlS8_PNS0_10empty_typeENS0_5tupleIJS8_S9_EEENSB_IJS8_SA_EEENS0_18inequality_wrapperIZN2at6native12_GLOBAL__N_124unique_dim_cuda_templateIsEESt5tupleIJNSF_6TensorESK_SK_EERKSK_lbbbEUlllE0_EEPmJS9_EEE10hipError_tPvRmT3_T4_T5_T6_T7_T9_mT8_P12ihipStream_tbDpT10_ENKUlT_T0_E_clISt17integral_constantIbLb1EES19_IbLb0EEEEDaS15_S16_EUlS15_E_NS1_11comp_targetILNS1_3genE4ELNS1_11target_archE910ELNS1_3gpuE8ELNS1_3repE0EEENS1_30default_config_static_selectorELNS0_4arch9wavefront6targetE0EEEvT1_
                                        ; -- End function
	.section	.AMDGPU.csdata,"",@progbits
; Kernel info:
; codeLenInByte = 0
; NumSgprs: 0
; NumVgprs: 0
; ScratchSize: 0
; MemoryBound: 0
; FloatMode: 240
; IeeeMode: 1
; LDSByteSize: 0 bytes/workgroup (compile time only)
; SGPRBlocks: 0
; VGPRBlocks: 0
; NumSGPRsForWavesPerEU: 1
; NumVGPRsForWavesPerEU: 1
; Occupancy: 16
; WaveLimiterHint : 0
; COMPUTE_PGM_RSRC2:SCRATCH_EN: 0
; COMPUTE_PGM_RSRC2:USER_SGPR: 15
; COMPUTE_PGM_RSRC2:TRAP_HANDLER: 0
; COMPUTE_PGM_RSRC2:TGID_X_EN: 1
; COMPUTE_PGM_RSRC2:TGID_Y_EN: 0
; COMPUTE_PGM_RSRC2:TGID_Z_EN: 0
; COMPUTE_PGM_RSRC2:TIDIG_COMP_CNT: 0
	.section	.text._ZN7rocprim17ROCPRIM_400000_NS6detail17trampoline_kernelINS0_14default_configENS1_25partition_config_selectorILNS1_17partition_subalgoE9EllbEEZZNS1_14partition_implILS5_9ELb0ES3_jPlS8_PNS0_10empty_typeENS0_5tupleIJS8_S9_EEENSB_IJS8_SA_EEENS0_18inequality_wrapperIZN2at6native12_GLOBAL__N_124unique_dim_cuda_templateIsEESt5tupleIJNSF_6TensorESK_SK_EERKSK_lbbbEUlllE0_EEPmJS9_EEE10hipError_tPvRmT3_T4_T5_T6_T7_T9_mT8_P12ihipStream_tbDpT10_ENKUlT_T0_E_clISt17integral_constantIbLb1EES19_IbLb0EEEEDaS15_S16_EUlS15_E_NS1_11comp_targetILNS1_3genE3ELNS1_11target_archE908ELNS1_3gpuE7ELNS1_3repE0EEENS1_30default_config_static_selectorELNS0_4arch9wavefront6targetE0EEEvT1_,"axG",@progbits,_ZN7rocprim17ROCPRIM_400000_NS6detail17trampoline_kernelINS0_14default_configENS1_25partition_config_selectorILNS1_17partition_subalgoE9EllbEEZZNS1_14partition_implILS5_9ELb0ES3_jPlS8_PNS0_10empty_typeENS0_5tupleIJS8_S9_EEENSB_IJS8_SA_EEENS0_18inequality_wrapperIZN2at6native12_GLOBAL__N_124unique_dim_cuda_templateIsEESt5tupleIJNSF_6TensorESK_SK_EERKSK_lbbbEUlllE0_EEPmJS9_EEE10hipError_tPvRmT3_T4_T5_T6_T7_T9_mT8_P12ihipStream_tbDpT10_ENKUlT_T0_E_clISt17integral_constantIbLb1EES19_IbLb0EEEEDaS15_S16_EUlS15_E_NS1_11comp_targetILNS1_3genE3ELNS1_11target_archE908ELNS1_3gpuE7ELNS1_3repE0EEENS1_30default_config_static_selectorELNS0_4arch9wavefront6targetE0EEEvT1_,comdat
	.globl	_ZN7rocprim17ROCPRIM_400000_NS6detail17trampoline_kernelINS0_14default_configENS1_25partition_config_selectorILNS1_17partition_subalgoE9EllbEEZZNS1_14partition_implILS5_9ELb0ES3_jPlS8_PNS0_10empty_typeENS0_5tupleIJS8_S9_EEENSB_IJS8_SA_EEENS0_18inequality_wrapperIZN2at6native12_GLOBAL__N_124unique_dim_cuda_templateIsEESt5tupleIJNSF_6TensorESK_SK_EERKSK_lbbbEUlllE0_EEPmJS9_EEE10hipError_tPvRmT3_T4_T5_T6_T7_T9_mT8_P12ihipStream_tbDpT10_ENKUlT_T0_E_clISt17integral_constantIbLb1EES19_IbLb0EEEEDaS15_S16_EUlS15_E_NS1_11comp_targetILNS1_3genE3ELNS1_11target_archE908ELNS1_3gpuE7ELNS1_3repE0EEENS1_30default_config_static_selectorELNS0_4arch9wavefront6targetE0EEEvT1_ ; -- Begin function _ZN7rocprim17ROCPRIM_400000_NS6detail17trampoline_kernelINS0_14default_configENS1_25partition_config_selectorILNS1_17partition_subalgoE9EllbEEZZNS1_14partition_implILS5_9ELb0ES3_jPlS8_PNS0_10empty_typeENS0_5tupleIJS8_S9_EEENSB_IJS8_SA_EEENS0_18inequality_wrapperIZN2at6native12_GLOBAL__N_124unique_dim_cuda_templateIsEESt5tupleIJNSF_6TensorESK_SK_EERKSK_lbbbEUlllE0_EEPmJS9_EEE10hipError_tPvRmT3_T4_T5_T6_T7_T9_mT8_P12ihipStream_tbDpT10_ENKUlT_T0_E_clISt17integral_constantIbLb1EES19_IbLb0EEEEDaS15_S16_EUlS15_E_NS1_11comp_targetILNS1_3genE3ELNS1_11target_archE908ELNS1_3gpuE7ELNS1_3repE0EEENS1_30default_config_static_selectorELNS0_4arch9wavefront6targetE0EEEvT1_
	.p2align	8
	.type	_ZN7rocprim17ROCPRIM_400000_NS6detail17trampoline_kernelINS0_14default_configENS1_25partition_config_selectorILNS1_17partition_subalgoE9EllbEEZZNS1_14partition_implILS5_9ELb0ES3_jPlS8_PNS0_10empty_typeENS0_5tupleIJS8_S9_EEENSB_IJS8_SA_EEENS0_18inequality_wrapperIZN2at6native12_GLOBAL__N_124unique_dim_cuda_templateIsEESt5tupleIJNSF_6TensorESK_SK_EERKSK_lbbbEUlllE0_EEPmJS9_EEE10hipError_tPvRmT3_T4_T5_T6_T7_T9_mT8_P12ihipStream_tbDpT10_ENKUlT_T0_E_clISt17integral_constantIbLb1EES19_IbLb0EEEEDaS15_S16_EUlS15_E_NS1_11comp_targetILNS1_3genE3ELNS1_11target_archE908ELNS1_3gpuE7ELNS1_3repE0EEENS1_30default_config_static_selectorELNS0_4arch9wavefront6targetE0EEEvT1_,@function
_ZN7rocprim17ROCPRIM_400000_NS6detail17trampoline_kernelINS0_14default_configENS1_25partition_config_selectorILNS1_17partition_subalgoE9EllbEEZZNS1_14partition_implILS5_9ELb0ES3_jPlS8_PNS0_10empty_typeENS0_5tupleIJS8_S9_EEENSB_IJS8_SA_EEENS0_18inequality_wrapperIZN2at6native12_GLOBAL__N_124unique_dim_cuda_templateIsEESt5tupleIJNSF_6TensorESK_SK_EERKSK_lbbbEUlllE0_EEPmJS9_EEE10hipError_tPvRmT3_T4_T5_T6_T7_T9_mT8_P12ihipStream_tbDpT10_ENKUlT_T0_E_clISt17integral_constantIbLb1EES19_IbLb0EEEEDaS15_S16_EUlS15_E_NS1_11comp_targetILNS1_3genE3ELNS1_11target_archE908ELNS1_3gpuE7ELNS1_3repE0EEENS1_30default_config_static_selectorELNS0_4arch9wavefront6targetE0EEEvT1_: ; @_ZN7rocprim17ROCPRIM_400000_NS6detail17trampoline_kernelINS0_14default_configENS1_25partition_config_selectorILNS1_17partition_subalgoE9EllbEEZZNS1_14partition_implILS5_9ELb0ES3_jPlS8_PNS0_10empty_typeENS0_5tupleIJS8_S9_EEENSB_IJS8_SA_EEENS0_18inequality_wrapperIZN2at6native12_GLOBAL__N_124unique_dim_cuda_templateIsEESt5tupleIJNSF_6TensorESK_SK_EERKSK_lbbbEUlllE0_EEPmJS9_EEE10hipError_tPvRmT3_T4_T5_T6_T7_T9_mT8_P12ihipStream_tbDpT10_ENKUlT_T0_E_clISt17integral_constantIbLb1EES19_IbLb0EEEEDaS15_S16_EUlS15_E_NS1_11comp_targetILNS1_3genE3ELNS1_11target_archE908ELNS1_3gpuE7ELNS1_3repE0EEENS1_30default_config_static_selectorELNS0_4arch9wavefront6targetE0EEEvT1_
; %bb.0:
	.section	.rodata,"a",@progbits
	.p2align	6, 0x0
	.amdhsa_kernel _ZN7rocprim17ROCPRIM_400000_NS6detail17trampoline_kernelINS0_14default_configENS1_25partition_config_selectorILNS1_17partition_subalgoE9EllbEEZZNS1_14partition_implILS5_9ELb0ES3_jPlS8_PNS0_10empty_typeENS0_5tupleIJS8_S9_EEENSB_IJS8_SA_EEENS0_18inequality_wrapperIZN2at6native12_GLOBAL__N_124unique_dim_cuda_templateIsEESt5tupleIJNSF_6TensorESK_SK_EERKSK_lbbbEUlllE0_EEPmJS9_EEE10hipError_tPvRmT3_T4_T5_T6_T7_T9_mT8_P12ihipStream_tbDpT10_ENKUlT_T0_E_clISt17integral_constantIbLb1EES19_IbLb0EEEEDaS15_S16_EUlS15_E_NS1_11comp_targetILNS1_3genE3ELNS1_11target_archE908ELNS1_3gpuE7ELNS1_3repE0EEENS1_30default_config_static_selectorELNS0_4arch9wavefront6targetE0EEEvT1_
		.amdhsa_group_segment_fixed_size 0
		.amdhsa_private_segment_fixed_size 0
		.amdhsa_kernarg_size 120
		.amdhsa_user_sgpr_count 15
		.amdhsa_user_sgpr_dispatch_ptr 0
		.amdhsa_user_sgpr_queue_ptr 0
		.amdhsa_user_sgpr_kernarg_segment_ptr 1
		.amdhsa_user_sgpr_dispatch_id 0
		.amdhsa_user_sgpr_private_segment_size 0
		.amdhsa_wavefront_size32 1
		.amdhsa_uses_dynamic_stack 0
		.amdhsa_enable_private_segment 0
		.amdhsa_system_sgpr_workgroup_id_x 1
		.amdhsa_system_sgpr_workgroup_id_y 0
		.amdhsa_system_sgpr_workgroup_id_z 0
		.amdhsa_system_sgpr_workgroup_info 0
		.amdhsa_system_vgpr_workitem_id 0
		.amdhsa_next_free_vgpr 1
		.amdhsa_next_free_sgpr 1
		.amdhsa_reserve_vcc 0
		.amdhsa_float_round_mode_32 0
		.amdhsa_float_round_mode_16_64 0
		.amdhsa_float_denorm_mode_32 3
		.amdhsa_float_denorm_mode_16_64 3
		.amdhsa_dx10_clamp 1
		.amdhsa_ieee_mode 1
		.amdhsa_fp16_overflow 0
		.amdhsa_workgroup_processor_mode 1
		.amdhsa_memory_ordered 1
		.amdhsa_forward_progress 0
		.amdhsa_shared_vgpr_count 0
		.amdhsa_exception_fp_ieee_invalid_op 0
		.amdhsa_exception_fp_denorm_src 0
		.amdhsa_exception_fp_ieee_div_zero 0
		.amdhsa_exception_fp_ieee_overflow 0
		.amdhsa_exception_fp_ieee_underflow 0
		.amdhsa_exception_fp_ieee_inexact 0
		.amdhsa_exception_int_div_zero 0
	.end_amdhsa_kernel
	.section	.text._ZN7rocprim17ROCPRIM_400000_NS6detail17trampoline_kernelINS0_14default_configENS1_25partition_config_selectorILNS1_17partition_subalgoE9EllbEEZZNS1_14partition_implILS5_9ELb0ES3_jPlS8_PNS0_10empty_typeENS0_5tupleIJS8_S9_EEENSB_IJS8_SA_EEENS0_18inequality_wrapperIZN2at6native12_GLOBAL__N_124unique_dim_cuda_templateIsEESt5tupleIJNSF_6TensorESK_SK_EERKSK_lbbbEUlllE0_EEPmJS9_EEE10hipError_tPvRmT3_T4_T5_T6_T7_T9_mT8_P12ihipStream_tbDpT10_ENKUlT_T0_E_clISt17integral_constantIbLb1EES19_IbLb0EEEEDaS15_S16_EUlS15_E_NS1_11comp_targetILNS1_3genE3ELNS1_11target_archE908ELNS1_3gpuE7ELNS1_3repE0EEENS1_30default_config_static_selectorELNS0_4arch9wavefront6targetE0EEEvT1_,"axG",@progbits,_ZN7rocprim17ROCPRIM_400000_NS6detail17trampoline_kernelINS0_14default_configENS1_25partition_config_selectorILNS1_17partition_subalgoE9EllbEEZZNS1_14partition_implILS5_9ELb0ES3_jPlS8_PNS0_10empty_typeENS0_5tupleIJS8_S9_EEENSB_IJS8_SA_EEENS0_18inequality_wrapperIZN2at6native12_GLOBAL__N_124unique_dim_cuda_templateIsEESt5tupleIJNSF_6TensorESK_SK_EERKSK_lbbbEUlllE0_EEPmJS9_EEE10hipError_tPvRmT3_T4_T5_T6_T7_T9_mT8_P12ihipStream_tbDpT10_ENKUlT_T0_E_clISt17integral_constantIbLb1EES19_IbLb0EEEEDaS15_S16_EUlS15_E_NS1_11comp_targetILNS1_3genE3ELNS1_11target_archE908ELNS1_3gpuE7ELNS1_3repE0EEENS1_30default_config_static_selectorELNS0_4arch9wavefront6targetE0EEEvT1_,comdat
.Lfunc_end736:
	.size	_ZN7rocprim17ROCPRIM_400000_NS6detail17trampoline_kernelINS0_14default_configENS1_25partition_config_selectorILNS1_17partition_subalgoE9EllbEEZZNS1_14partition_implILS5_9ELb0ES3_jPlS8_PNS0_10empty_typeENS0_5tupleIJS8_S9_EEENSB_IJS8_SA_EEENS0_18inequality_wrapperIZN2at6native12_GLOBAL__N_124unique_dim_cuda_templateIsEESt5tupleIJNSF_6TensorESK_SK_EERKSK_lbbbEUlllE0_EEPmJS9_EEE10hipError_tPvRmT3_T4_T5_T6_T7_T9_mT8_P12ihipStream_tbDpT10_ENKUlT_T0_E_clISt17integral_constantIbLb1EES19_IbLb0EEEEDaS15_S16_EUlS15_E_NS1_11comp_targetILNS1_3genE3ELNS1_11target_archE908ELNS1_3gpuE7ELNS1_3repE0EEENS1_30default_config_static_selectorELNS0_4arch9wavefront6targetE0EEEvT1_, .Lfunc_end736-_ZN7rocprim17ROCPRIM_400000_NS6detail17trampoline_kernelINS0_14default_configENS1_25partition_config_selectorILNS1_17partition_subalgoE9EllbEEZZNS1_14partition_implILS5_9ELb0ES3_jPlS8_PNS0_10empty_typeENS0_5tupleIJS8_S9_EEENSB_IJS8_SA_EEENS0_18inequality_wrapperIZN2at6native12_GLOBAL__N_124unique_dim_cuda_templateIsEESt5tupleIJNSF_6TensorESK_SK_EERKSK_lbbbEUlllE0_EEPmJS9_EEE10hipError_tPvRmT3_T4_T5_T6_T7_T9_mT8_P12ihipStream_tbDpT10_ENKUlT_T0_E_clISt17integral_constantIbLb1EES19_IbLb0EEEEDaS15_S16_EUlS15_E_NS1_11comp_targetILNS1_3genE3ELNS1_11target_archE908ELNS1_3gpuE7ELNS1_3repE0EEENS1_30default_config_static_selectorELNS0_4arch9wavefront6targetE0EEEvT1_
                                        ; -- End function
	.section	.AMDGPU.csdata,"",@progbits
; Kernel info:
; codeLenInByte = 0
; NumSgprs: 0
; NumVgprs: 0
; ScratchSize: 0
; MemoryBound: 0
; FloatMode: 240
; IeeeMode: 1
; LDSByteSize: 0 bytes/workgroup (compile time only)
; SGPRBlocks: 0
; VGPRBlocks: 0
; NumSGPRsForWavesPerEU: 1
; NumVGPRsForWavesPerEU: 1
; Occupancy: 16
; WaveLimiterHint : 0
; COMPUTE_PGM_RSRC2:SCRATCH_EN: 0
; COMPUTE_PGM_RSRC2:USER_SGPR: 15
; COMPUTE_PGM_RSRC2:TRAP_HANDLER: 0
; COMPUTE_PGM_RSRC2:TGID_X_EN: 1
; COMPUTE_PGM_RSRC2:TGID_Y_EN: 0
; COMPUTE_PGM_RSRC2:TGID_Z_EN: 0
; COMPUTE_PGM_RSRC2:TIDIG_COMP_CNT: 0
	.section	.text._ZN7rocprim17ROCPRIM_400000_NS6detail17trampoline_kernelINS0_14default_configENS1_25partition_config_selectorILNS1_17partition_subalgoE9EllbEEZZNS1_14partition_implILS5_9ELb0ES3_jPlS8_PNS0_10empty_typeENS0_5tupleIJS8_S9_EEENSB_IJS8_SA_EEENS0_18inequality_wrapperIZN2at6native12_GLOBAL__N_124unique_dim_cuda_templateIsEESt5tupleIJNSF_6TensorESK_SK_EERKSK_lbbbEUlllE0_EEPmJS9_EEE10hipError_tPvRmT3_T4_T5_T6_T7_T9_mT8_P12ihipStream_tbDpT10_ENKUlT_T0_E_clISt17integral_constantIbLb1EES19_IbLb0EEEEDaS15_S16_EUlS15_E_NS1_11comp_targetILNS1_3genE2ELNS1_11target_archE906ELNS1_3gpuE6ELNS1_3repE0EEENS1_30default_config_static_selectorELNS0_4arch9wavefront6targetE0EEEvT1_,"axG",@progbits,_ZN7rocprim17ROCPRIM_400000_NS6detail17trampoline_kernelINS0_14default_configENS1_25partition_config_selectorILNS1_17partition_subalgoE9EllbEEZZNS1_14partition_implILS5_9ELb0ES3_jPlS8_PNS0_10empty_typeENS0_5tupleIJS8_S9_EEENSB_IJS8_SA_EEENS0_18inequality_wrapperIZN2at6native12_GLOBAL__N_124unique_dim_cuda_templateIsEESt5tupleIJNSF_6TensorESK_SK_EERKSK_lbbbEUlllE0_EEPmJS9_EEE10hipError_tPvRmT3_T4_T5_T6_T7_T9_mT8_P12ihipStream_tbDpT10_ENKUlT_T0_E_clISt17integral_constantIbLb1EES19_IbLb0EEEEDaS15_S16_EUlS15_E_NS1_11comp_targetILNS1_3genE2ELNS1_11target_archE906ELNS1_3gpuE6ELNS1_3repE0EEENS1_30default_config_static_selectorELNS0_4arch9wavefront6targetE0EEEvT1_,comdat
	.globl	_ZN7rocprim17ROCPRIM_400000_NS6detail17trampoline_kernelINS0_14default_configENS1_25partition_config_selectorILNS1_17partition_subalgoE9EllbEEZZNS1_14partition_implILS5_9ELb0ES3_jPlS8_PNS0_10empty_typeENS0_5tupleIJS8_S9_EEENSB_IJS8_SA_EEENS0_18inequality_wrapperIZN2at6native12_GLOBAL__N_124unique_dim_cuda_templateIsEESt5tupleIJNSF_6TensorESK_SK_EERKSK_lbbbEUlllE0_EEPmJS9_EEE10hipError_tPvRmT3_T4_T5_T6_T7_T9_mT8_P12ihipStream_tbDpT10_ENKUlT_T0_E_clISt17integral_constantIbLb1EES19_IbLb0EEEEDaS15_S16_EUlS15_E_NS1_11comp_targetILNS1_3genE2ELNS1_11target_archE906ELNS1_3gpuE6ELNS1_3repE0EEENS1_30default_config_static_selectorELNS0_4arch9wavefront6targetE0EEEvT1_ ; -- Begin function _ZN7rocprim17ROCPRIM_400000_NS6detail17trampoline_kernelINS0_14default_configENS1_25partition_config_selectorILNS1_17partition_subalgoE9EllbEEZZNS1_14partition_implILS5_9ELb0ES3_jPlS8_PNS0_10empty_typeENS0_5tupleIJS8_S9_EEENSB_IJS8_SA_EEENS0_18inequality_wrapperIZN2at6native12_GLOBAL__N_124unique_dim_cuda_templateIsEESt5tupleIJNSF_6TensorESK_SK_EERKSK_lbbbEUlllE0_EEPmJS9_EEE10hipError_tPvRmT3_T4_T5_T6_T7_T9_mT8_P12ihipStream_tbDpT10_ENKUlT_T0_E_clISt17integral_constantIbLb1EES19_IbLb0EEEEDaS15_S16_EUlS15_E_NS1_11comp_targetILNS1_3genE2ELNS1_11target_archE906ELNS1_3gpuE6ELNS1_3repE0EEENS1_30default_config_static_selectorELNS0_4arch9wavefront6targetE0EEEvT1_
	.p2align	8
	.type	_ZN7rocprim17ROCPRIM_400000_NS6detail17trampoline_kernelINS0_14default_configENS1_25partition_config_selectorILNS1_17partition_subalgoE9EllbEEZZNS1_14partition_implILS5_9ELb0ES3_jPlS8_PNS0_10empty_typeENS0_5tupleIJS8_S9_EEENSB_IJS8_SA_EEENS0_18inequality_wrapperIZN2at6native12_GLOBAL__N_124unique_dim_cuda_templateIsEESt5tupleIJNSF_6TensorESK_SK_EERKSK_lbbbEUlllE0_EEPmJS9_EEE10hipError_tPvRmT3_T4_T5_T6_T7_T9_mT8_P12ihipStream_tbDpT10_ENKUlT_T0_E_clISt17integral_constantIbLb1EES19_IbLb0EEEEDaS15_S16_EUlS15_E_NS1_11comp_targetILNS1_3genE2ELNS1_11target_archE906ELNS1_3gpuE6ELNS1_3repE0EEENS1_30default_config_static_selectorELNS0_4arch9wavefront6targetE0EEEvT1_,@function
_ZN7rocprim17ROCPRIM_400000_NS6detail17trampoline_kernelINS0_14default_configENS1_25partition_config_selectorILNS1_17partition_subalgoE9EllbEEZZNS1_14partition_implILS5_9ELb0ES3_jPlS8_PNS0_10empty_typeENS0_5tupleIJS8_S9_EEENSB_IJS8_SA_EEENS0_18inequality_wrapperIZN2at6native12_GLOBAL__N_124unique_dim_cuda_templateIsEESt5tupleIJNSF_6TensorESK_SK_EERKSK_lbbbEUlllE0_EEPmJS9_EEE10hipError_tPvRmT3_T4_T5_T6_T7_T9_mT8_P12ihipStream_tbDpT10_ENKUlT_T0_E_clISt17integral_constantIbLb1EES19_IbLb0EEEEDaS15_S16_EUlS15_E_NS1_11comp_targetILNS1_3genE2ELNS1_11target_archE906ELNS1_3gpuE6ELNS1_3repE0EEENS1_30default_config_static_selectorELNS0_4arch9wavefront6targetE0EEEvT1_: ; @_ZN7rocprim17ROCPRIM_400000_NS6detail17trampoline_kernelINS0_14default_configENS1_25partition_config_selectorILNS1_17partition_subalgoE9EllbEEZZNS1_14partition_implILS5_9ELb0ES3_jPlS8_PNS0_10empty_typeENS0_5tupleIJS8_S9_EEENSB_IJS8_SA_EEENS0_18inequality_wrapperIZN2at6native12_GLOBAL__N_124unique_dim_cuda_templateIsEESt5tupleIJNSF_6TensorESK_SK_EERKSK_lbbbEUlllE0_EEPmJS9_EEE10hipError_tPvRmT3_T4_T5_T6_T7_T9_mT8_P12ihipStream_tbDpT10_ENKUlT_T0_E_clISt17integral_constantIbLb1EES19_IbLb0EEEEDaS15_S16_EUlS15_E_NS1_11comp_targetILNS1_3genE2ELNS1_11target_archE906ELNS1_3gpuE6ELNS1_3repE0EEENS1_30default_config_static_selectorELNS0_4arch9wavefront6targetE0EEEvT1_
; %bb.0:
	.section	.rodata,"a",@progbits
	.p2align	6, 0x0
	.amdhsa_kernel _ZN7rocprim17ROCPRIM_400000_NS6detail17trampoline_kernelINS0_14default_configENS1_25partition_config_selectorILNS1_17partition_subalgoE9EllbEEZZNS1_14partition_implILS5_9ELb0ES3_jPlS8_PNS0_10empty_typeENS0_5tupleIJS8_S9_EEENSB_IJS8_SA_EEENS0_18inequality_wrapperIZN2at6native12_GLOBAL__N_124unique_dim_cuda_templateIsEESt5tupleIJNSF_6TensorESK_SK_EERKSK_lbbbEUlllE0_EEPmJS9_EEE10hipError_tPvRmT3_T4_T5_T6_T7_T9_mT8_P12ihipStream_tbDpT10_ENKUlT_T0_E_clISt17integral_constantIbLb1EES19_IbLb0EEEEDaS15_S16_EUlS15_E_NS1_11comp_targetILNS1_3genE2ELNS1_11target_archE906ELNS1_3gpuE6ELNS1_3repE0EEENS1_30default_config_static_selectorELNS0_4arch9wavefront6targetE0EEEvT1_
		.amdhsa_group_segment_fixed_size 0
		.amdhsa_private_segment_fixed_size 0
		.amdhsa_kernarg_size 120
		.amdhsa_user_sgpr_count 15
		.amdhsa_user_sgpr_dispatch_ptr 0
		.amdhsa_user_sgpr_queue_ptr 0
		.amdhsa_user_sgpr_kernarg_segment_ptr 1
		.amdhsa_user_sgpr_dispatch_id 0
		.amdhsa_user_sgpr_private_segment_size 0
		.amdhsa_wavefront_size32 1
		.amdhsa_uses_dynamic_stack 0
		.amdhsa_enable_private_segment 0
		.amdhsa_system_sgpr_workgroup_id_x 1
		.amdhsa_system_sgpr_workgroup_id_y 0
		.amdhsa_system_sgpr_workgroup_id_z 0
		.amdhsa_system_sgpr_workgroup_info 0
		.amdhsa_system_vgpr_workitem_id 0
		.amdhsa_next_free_vgpr 1
		.amdhsa_next_free_sgpr 1
		.amdhsa_reserve_vcc 0
		.amdhsa_float_round_mode_32 0
		.amdhsa_float_round_mode_16_64 0
		.amdhsa_float_denorm_mode_32 3
		.amdhsa_float_denorm_mode_16_64 3
		.amdhsa_dx10_clamp 1
		.amdhsa_ieee_mode 1
		.amdhsa_fp16_overflow 0
		.amdhsa_workgroup_processor_mode 1
		.amdhsa_memory_ordered 1
		.amdhsa_forward_progress 0
		.amdhsa_shared_vgpr_count 0
		.amdhsa_exception_fp_ieee_invalid_op 0
		.amdhsa_exception_fp_denorm_src 0
		.amdhsa_exception_fp_ieee_div_zero 0
		.amdhsa_exception_fp_ieee_overflow 0
		.amdhsa_exception_fp_ieee_underflow 0
		.amdhsa_exception_fp_ieee_inexact 0
		.amdhsa_exception_int_div_zero 0
	.end_amdhsa_kernel
	.section	.text._ZN7rocprim17ROCPRIM_400000_NS6detail17trampoline_kernelINS0_14default_configENS1_25partition_config_selectorILNS1_17partition_subalgoE9EllbEEZZNS1_14partition_implILS5_9ELb0ES3_jPlS8_PNS0_10empty_typeENS0_5tupleIJS8_S9_EEENSB_IJS8_SA_EEENS0_18inequality_wrapperIZN2at6native12_GLOBAL__N_124unique_dim_cuda_templateIsEESt5tupleIJNSF_6TensorESK_SK_EERKSK_lbbbEUlllE0_EEPmJS9_EEE10hipError_tPvRmT3_T4_T5_T6_T7_T9_mT8_P12ihipStream_tbDpT10_ENKUlT_T0_E_clISt17integral_constantIbLb1EES19_IbLb0EEEEDaS15_S16_EUlS15_E_NS1_11comp_targetILNS1_3genE2ELNS1_11target_archE906ELNS1_3gpuE6ELNS1_3repE0EEENS1_30default_config_static_selectorELNS0_4arch9wavefront6targetE0EEEvT1_,"axG",@progbits,_ZN7rocprim17ROCPRIM_400000_NS6detail17trampoline_kernelINS0_14default_configENS1_25partition_config_selectorILNS1_17partition_subalgoE9EllbEEZZNS1_14partition_implILS5_9ELb0ES3_jPlS8_PNS0_10empty_typeENS0_5tupleIJS8_S9_EEENSB_IJS8_SA_EEENS0_18inequality_wrapperIZN2at6native12_GLOBAL__N_124unique_dim_cuda_templateIsEESt5tupleIJNSF_6TensorESK_SK_EERKSK_lbbbEUlllE0_EEPmJS9_EEE10hipError_tPvRmT3_T4_T5_T6_T7_T9_mT8_P12ihipStream_tbDpT10_ENKUlT_T0_E_clISt17integral_constantIbLb1EES19_IbLb0EEEEDaS15_S16_EUlS15_E_NS1_11comp_targetILNS1_3genE2ELNS1_11target_archE906ELNS1_3gpuE6ELNS1_3repE0EEENS1_30default_config_static_selectorELNS0_4arch9wavefront6targetE0EEEvT1_,comdat
.Lfunc_end737:
	.size	_ZN7rocprim17ROCPRIM_400000_NS6detail17trampoline_kernelINS0_14default_configENS1_25partition_config_selectorILNS1_17partition_subalgoE9EllbEEZZNS1_14partition_implILS5_9ELb0ES3_jPlS8_PNS0_10empty_typeENS0_5tupleIJS8_S9_EEENSB_IJS8_SA_EEENS0_18inequality_wrapperIZN2at6native12_GLOBAL__N_124unique_dim_cuda_templateIsEESt5tupleIJNSF_6TensorESK_SK_EERKSK_lbbbEUlllE0_EEPmJS9_EEE10hipError_tPvRmT3_T4_T5_T6_T7_T9_mT8_P12ihipStream_tbDpT10_ENKUlT_T0_E_clISt17integral_constantIbLb1EES19_IbLb0EEEEDaS15_S16_EUlS15_E_NS1_11comp_targetILNS1_3genE2ELNS1_11target_archE906ELNS1_3gpuE6ELNS1_3repE0EEENS1_30default_config_static_selectorELNS0_4arch9wavefront6targetE0EEEvT1_, .Lfunc_end737-_ZN7rocprim17ROCPRIM_400000_NS6detail17trampoline_kernelINS0_14default_configENS1_25partition_config_selectorILNS1_17partition_subalgoE9EllbEEZZNS1_14partition_implILS5_9ELb0ES3_jPlS8_PNS0_10empty_typeENS0_5tupleIJS8_S9_EEENSB_IJS8_SA_EEENS0_18inequality_wrapperIZN2at6native12_GLOBAL__N_124unique_dim_cuda_templateIsEESt5tupleIJNSF_6TensorESK_SK_EERKSK_lbbbEUlllE0_EEPmJS9_EEE10hipError_tPvRmT3_T4_T5_T6_T7_T9_mT8_P12ihipStream_tbDpT10_ENKUlT_T0_E_clISt17integral_constantIbLb1EES19_IbLb0EEEEDaS15_S16_EUlS15_E_NS1_11comp_targetILNS1_3genE2ELNS1_11target_archE906ELNS1_3gpuE6ELNS1_3repE0EEENS1_30default_config_static_selectorELNS0_4arch9wavefront6targetE0EEEvT1_
                                        ; -- End function
	.section	.AMDGPU.csdata,"",@progbits
; Kernel info:
; codeLenInByte = 0
; NumSgprs: 0
; NumVgprs: 0
; ScratchSize: 0
; MemoryBound: 0
; FloatMode: 240
; IeeeMode: 1
; LDSByteSize: 0 bytes/workgroup (compile time only)
; SGPRBlocks: 0
; VGPRBlocks: 0
; NumSGPRsForWavesPerEU: 1
; NumVGPRsForWavesPerEU: 1
; Occupancy: 15
; WaveLimiterHint : 0
; COMPUTE_PGM_RSRC2:SCRATCH_EN: 0
; COMPUTE_PGM_RSRC2:USER_SGPR: 15
; COMPUTE_PGM_RSRC2:TRAP_HANDLER: 0
; COMPUTE_PGM_RSRC2:TGID_X_EN: 1
; COMPUTE_PGM_RSRC2:TGID_Y_EN: 0
; COMPUTE_PGM_RSRC2:TGID_Z_EN: 0
; COMPUTE_PGM_RSRC2:TIDIG_COMP_CNT: 0
	.section	.text._ZN7rocprim17ROCPRIM_400000_NS6detail17trampoline_kernelINS0_14default_configENS1_25partition_config_selectorILNS1_17partition_subalgoE9EllbEEZZNS1_14partition_implILS5_9ELb0ES3_jPlS8_PNS0_10empty_typeENS0_5tupleIJS8_S9_EEENSB_IJS8_SA_EEENS0_18inequality_wrapperIZN2at6native12_GLOBAL__N_124unique_dim_cuda_templateIsEESt5tupleIJNSF_6TensorESK_SK_EERKSK_lbbbEUlllE0_EEPmJS9_EEE10hipError_tPvRmT3_T4_T5_T6_T7_T9_mT8_P12ihipStream_tbDpT10_ENKUlT_T0_E_clISt17integral_constantIbLb1EES19_IbLb0EEEEDaS15_S16_EUlS15_E_NS1_11comp_targetILNS1_3genE10ELNS1_11target_archE1200ELNS1_3gpuE4ELNS1_3repE0EEENS1_30default_config_static_selectorELNS0_4arch9wavefront6targetE0EEEvT1_,"axG",@progbits,_ZN7rocprim17ROCPRIM_400000_NS6detail17trampoline_kernelINS0_14default_configENS1_25partition_config_selectorILNS1_17partition_subalgoE9EllbEEZZNS1_14partition_implILS5_9ELb0ES3_jPlS8_PNS0_10empty_typeENS0_5tupleIJS8_S9_EEENSB_IJS8_SA_EEENS0_18inequality_wrapperIZN2at6native12_GLOBAL__N_124unique_dim_cuda_templateIsEESt5tupleIJNSF_6TensorESK_SK_EERKSK_lbbbEUlllE0_EEPmJS9_EEE10hipError_tPvRmT3_T4_T5_T6_T7_T9_mT8_P12ihipStream_tbDpT10_ENKUlT_T0_E_clISt17integral_constantIbLb1EES19_IbLb0EEEEDaS15_S16_EUlS15_E_NS1_11comp_targetILNS1_3genE10ELNS1_11target_archE1200ELNS1_3gpuE4ELNS1_3repE0EEENS1_30default_config_static_selectorELNS0_4arch9wavefront6targetE0EEEvT1_,comdat
	.globl	_ZN7rocprim17ROCPRIM_400000_NS6detail17trampoline_kernelINS0_14default_configENS1_25partition_config_selectorILNS1_17partition_subalgoE9EllbEEZZNS1_14partition_implILS5_9ELb0ES3_jPlS8_PNS0_10empty_typeENS0_5tupleIJS8_S9_EEENSB_IJS8_SA_EEENS0_18inequality_wrapperIZN2at6native12_GLOBAL__N_124unique_dim_cuda_templateIsEESt5tupleIJNSF_6TensorESK_SK_EERKSK_lbbbEUlllE0_EEPmJS9_EEE10hipError_tPvRmT3_T4_T5_T6_T7_T9_mT8_P12ihipStream_tbDpT10_ENKUlT_T0_E_clISt17integral_constantIbLb1EES19_IbLb0EEEEDaS15_S16_EUlS15_E_NS1_11comp_targetILNS1_3genE10ELNS1_11target_archE1200ELNS1_3gpuE4ELNS1_3repE0EEENS1_30default_config_static_selectorELNS0_4arch9wavefront6targetE0EEEvT1_ ; -- Begin function _ZN7rocprim17ROCPRIM_400000_NS6detail17trampoline_kernelINS0_14default_configENS1_25partition_config_selectorILNS1_17partition_subalgoE9EllbEEZZNS1_14partition_implILS5_9ELb0ES3_jPlS8_PNS0_10empty_typeENS0_5tupleIJS8_S9_EEENSB_IJS8_SA_EEENS0_18inequality_wrapperIZN2at6native12_GLOBAL__N_124unique_dim_cuda_templateIsEESt5tupleIJNSF_6TensorESK_SK_EERKSK_lbbbEUlllE0_EEPmJS9_EEE10hipError_tPvRmT3_T4_T5_T6_T7_T9_mT8_P12ihipStream_tbDpT10_ENKUlT_T0_E_clISt17integral_constantIbLb1EES19_IbLb0EEEEDaS15_S16_EUlS15_E_NS1_11comp_targetILNS1_3genE10ELNS1_11target_archE1200ELNS1_3gpuE4ELNS1_3repE0EEENS1_30default_config_static_selectorELNS0_4arch9wavefront6targetE0EEEvT1_
	.p2align	8
	.type	_ZN7rocprim17ROCPRIM_400000_NS6detail17trampoline_kernelINS0_14default_configENS1_25partition_config_selectorILNS1_17partition_subalgoE9EllbEEZZNS1_14partition_implILS5_9ELb0ES3_jPlS8_PNS0_10empty_typeENS0_5tupleIJS8_S9_EEENSB_IJS8_SA_EEENS0_18inequality_wrapperIZN2at6native12_GLOBAL__N_124unique_dim_cuda_templateIsEESt5tupleIJNSF_6TensorESK_SK_EERKSK_lbbbEUlllE0_EEPmJS9_EEE10hipError_tPvRmT3_T4_T5_T6_T7_T9_mT8_P12ihipStream_tbDpT10_ENKUlT_T0_E_clISt17integral_constantIbLb1EES19_IbLb0EEEEDaS15_S16_EUlS15_E_NS1_11comp_targetILNS1_3genE10ELNS1_11target_archE1200ELNS1_3gpuE4ELNS1_3repE0EEENS1_30default_config_static_selectorELNS0_4arch9wavefront6targetE0EEEvT1_,@function
_ZN7rocprim17ROCPRIM_400000_NS6detail17trampoline_kernelINS0_14default_configENS1_25partition_config_selectorILNS1_17partition_subalgoE9EllbEEZZNS1_14partition_implILS5_9ELb0ES3_jPlS8_PNS0_10empty_typeENS0_5tupleIJS8_S9_EEENSB_IJS8_SA_EEENS0_18inequality_wrapperIZN2at6native12_GLOBAL__N_124unique_dim_cuda_templateIsEESt5tupleIJNSF_6TensorESK_SK_EERKSK_lbbbEUlllE0_EEPmJS9_EEE10hipError_tPvRmT3_T4_T5_T6_T7_T9_mT8_P12ihipStream_tbDpT10_ENKUlT_T0_E_clISt17integral_constantIbLb1EES19_IbLb0EEEEDaS15_S16_EUlS15_E_NS1_11comp_targetILNS1_3genE10ELNS1_11target_archE1200ELNS1_3gpuE4ELNS1_3repE0EEENS1_30default_config_static_selectorELNS0_4arch9wavefront6targetE0EEEvT1_: ; @_ZN7rocprim17ROCPRIM_400000_NS6detail17trampoline_kernelINS0_14default_configENS1_25partition_config_selectorILNS1_17partition_subalgoE9EllbEEZZNS1_14partition_implILS5_9ELb0ES3_jPlS8_PNS0_10empty_typeENS0_5tupleIJS8_S9_EEENSB_IJS8_SA_EEENS0_18inequality_wrapperIZN2at6native12_GLOBAL__N_124unique_dim_cuda_templateIsEESt5tupleIJNSF_6TensorESK_SK_EERKSK_lbbbEUlllE0_EEPmJS9_EEE10hipError_tPvRmT3_T4_T5_T6_T7_T9_mT8_P12ihipStream_tbDpT10_ENKUlT_T0_E_clISt17integral_constantIbLb1EES19_IbLb0EEEEDaS15_S16_EUlS15_E_NS1_11comp_targetILNS1_3genE10ELNS1_11target_archE1200ELNS1_3gpuE4ELNS1_3repE0EEENS1_30default_config_static_selectorELNS0_4arch9wavefront6targetE0EEEvT1_
; %bb.0:
	.section	.rodata,"a",@progbits
	.p2align	6, 0x0
	.amdhsa_kernel _ZN7rocprim17ROCPRIM_400000_NS6detail17trampoline_kernelINS0_14default_configENS1_25partition_config_selectorILNS1_17partition_subalgoE9EllbEEZZNS1_14partition_implILS5_9ELb0ES3_jPlS8_PNS0_10empty_typeENS0_5tupleIJS8_S9_EEENSB_IJS8_SA_EEENS0_18inequality_wrapperIZN2at6native12_GLOBAL__N_124unique_dim_cuda_templateIsEESt5tupleIJNSF_6TensorESK_SK_EERKSK_lbbbEUlllE0_EEPmJS9_EEE10hipError_tPvRmT3_T4_T5_T6_T7_T9_mT8_P12ihipStream_tbDpT10_ENKUlT_T0_E_clISt17integral_constantIbLb1EES19_IbLb0EEEEDaS15_S16_EUlS15_E_NS1_11comp_targetILNS1_3genE10ELNS1_11target_archE1200ELNS1_3gpuE4ELNS1_3repE0EEENS1_30default_config_static_selectorELNS0_4arch9wavefront6targetE0EEEvT1_
		.amdhsa_group_segment_fixed_size 0
		.amdhsa_private_segment_fixed_size 0
		.amdhsa_kernarg_size 120
		.amdhsa_user_sgpr_count 15
		.amdhsa_user_sgpr_dispatch_ptr 0
		.amdhsa_user_sgpr_queue_ptr 0
		.amdhsa_user_sgpr_kernarg_segment_ptr 1
		.amdhsa_user_sgpr_dispatch_id 0
		.amdhsa_user_sgpr_private_segment_size 0
		.amdhsa_wavefront_size32 1
		.amdhsa_uses_dynamic_stack 0
		.amdhsa_enable_private_segment 0
		.amdhsa_system_sgpr_workgroup_id_x 1
		.amdhsa_system_sgpr_workgroup_id_y 0
		.amdhsa_system_sgpr_workgroup_id_z 0
		.amdhsa_system_sgpr_workgroup_info 0
		.amdhsa_system_vgpr_workitem_id 0
		.amdhsa_next_free_vgpr 1
		.amdhsa_next_free_sgpr 1
		.amdhsa_reserve_vcc 0
		.amdhsa_float_round_mode_32 0
		.amdhsa_float_round_mode_16_64 0
		.amdhsa_float_denorm_mode_32 3
		.amdhsa_float_denorm_mode_16_64 3
		.amdhsa_dx10_clamp 1
		.amdhsa_ieee_mode 1
		.amdhsa_fp16_overflow 0
		.amdhsa_workgroup_processor_mode 1
		.amdhsa_memory_ordered 1
		.amdhsa_forward_progress 0
		.amdhsa_shared_vgpr_count 0
		.amdhsa_exception_fp_ieee_invalid_op 0
		.amdhsa_exception_fp_denorm_src 0
		.amdhsa_exception_fp_ieee_div_zero 0
		.amdhsa_exception_fp_ieee_overflow 0
		.amdhsa_exception_fp_ieee_underflow 0
		.amdhsa_exception_fp_ieee_inexact 0
		.amdhsa_exception_int_div_zero 0
	.end_amdhsa_kernel
	.section	.text._ZN7rocprim17ROCPRIM_400000_NS6detail17trampoline_kernelINS0_14default_configENS1_25partition_config_selectorILNS1_17partition_subalgoE9EllbEEZZNS1_14partition_implILS5_9ELb0ES3_jPlS8_PNS0_10empty_typeENS0_5tupleIJS8_S9_EEENSB_IJS8_SA_EEENS0_18inequality_wrapperIZN2at6native12_GLOBAL__N_124unique_dim_cuda_templateIsEESt5tupleIJNSF_6TensorESK_SK_EERKSK_lbbbEUlllE0_EEPmJS9_EEE10hipError_tPvRmT3_T4_T5_T6_T7_T9_mT8_P12ihipStream_tbDpT10_ENKUlT_T0_E_clISt17integral_constantIbLb1EES19_IbLb0EEEEDaS15_S16_EUlS15_E_NS1_11comp_targetILNS1_3genE10ELNS1_11target_archE1200ELNS1_3gpuE4ELNS1_3repE0EEENS1_30default_config_static_selectorELNS0_4arch9wavefront6targetE0EEEvT1_,"axG",@progbits,_ZN7rocprim17ROCPRIM_400000_NS6detail17trampoline_kernelINS0_14default_configENS1_25partition_config_selectorILNS1_17partition_subalgoE9EllbEEZZNS1_14partition_implILS5_9ELb0ES3_jPlS8_PNS0_10empty_typeENS0_5tupleIJS8_S9_EEENSB_IJS8_SA_EEENS0_18inequality_wrapperIZN2at6native12_GLOBAL__N_124unique_dim_cuda_templateIsEESt5tupleIJNSF_6TensorESK_SK_EERKSK_lbbbEUlllE0_EEPmJS9_EEE10hipError_tPvRmT3_T4_T5_T6_T7_T9_mT8_P12ihipStream_tbDpT10_ENKUlT_T0_E_clISt17integral_constantIbLb1EES19_IbLb0EEEEDaS15_S16_EUlS15_E_NS1_11comp_targetILNS1_3genE10ELNS1_11target_archE1200ELNS1_3gpuE4ELNS1_3repE0EEENS1_30default_config_static_selectorELNS0_4arch9wavefront6targetE0EEEvT1_,comdat
.Lfunc_end738:
	.size	_ZN7rocprim17ROCPRIM_400000_NS6detail17trampoline_kernelINS0_14default_configENS1_25partition_config_selectorILNS1_17partition_subalgoE9EllbEEZZNS1_14partition_implILS5_9ELb0ES3_jPlS8_PNS0_10empty_typeENS0_5tupleIJS8_S9_EEENSB_IJS8_SA_EEENS0_18inequality_wrapperIZN2at6native12_GLOBAL__N_124unique_dim_cuda_templateIsEESt5tupleIJNSF_6TensorESK_SK_EERKSK_lbbbEUlllE0_EEPmJS9_EEE10hipError_tPvRmT3_T4_T5_T6_T7_T9_mT8_P12ihipStream_tbDpT10_ENKUlT_T0_E_clISt17integral_constantIbLb1EES19_IbLb0EEEEDaS15_S16_EUlS15_E_NS1_11comp_targetILNS1_3genE10ELNS1_11target_archE1200ELNS1_3gpuE4ELNS1_3repE0EEENS1_30default_config_static_selectorELNS0_4arch9wavefront6targetE0EEEvT1_, .Lfunc_end738-_ZN7rocprim17ROCPRIM_400000_NS6detail17trampoline_kernelINS0_14default_configENS1_25partition_config_selectorILNS1_17partition_subalgoE9EllbEEZZNS1_14partition_implILS5_9ELb0ES3_jPlS8_PNS0_10empty_typeENS0_5tupleIJS8_S9_EEENSB_IJS8_SA_EEENS0_18inequality_wrapperIZN2at6native12_GLOBAL__N_124unique_dim_cuda_templateIsEESt5tupleIJNSF_6TensorESK_SK_EERKSK_lbbbEUlllE0_EEPmJS9_EEE10hipError_tPvRmT3_T4_T5_T6_T7_T9_mT8_P12ihipStream_tbDpT10_ENKUlT_T0_E_clISt17integral_constantIbLb1EES19_IbLb0EEEEDaS15_S16_EUlS15_E_NS1_11comp_targetILNS1_3genE10ELNS1_11target_archE1200ELNS1_3gpuE4ELNS1_3repE0EEENS1_30default_config_static_selectorELNS0_4arch9wavefront6targetE0EEEvT1_
                                        ; -- End function
	.section	.AMDGPU.csdata,"",@progbits
; Kernel info:
; codeLenInByte = 0
; NumSgprs: 0
; NumVgprs: 0
; ScratchSize: 0
; MemoryBound: 0
; FloatMode: 240
; IeeeMode: 1
; LDSByteSize: 0 bytes/workgroup (compile time only)
; SGPRBlocks: 0
; VGPRBlocks: 0
; NumSGPRsForWavesPerEU: 1
; NumVGPRsForWavesPerEU: 1
; Occupancy: 15
; WaveLimiterHint : 0
; COMPUTE_PGM_RSRC2:SCRATCH_EN: 0
; COMPUTE_PGM_RSRC2:USER_SGPR: 15
; COMPUTE_PGM_RSRC2:TRAP_HANDLER: 0
; COMPUTE_PGM_RSRC2:TGID_X_EN: 1
; COMPUTE_PGM_RSRC2:TGID_Y_EN: 0
; COMPUTE_PGM_RSRC2:TGID_Z_EN: 0
; COMPUTE_PGM_RSRC2:TIDIG_COMP_CNT: 0
	.section	.text._ZN7rocprim17ROCPRIM_400000_NS6detail17trampoline_kernelINS0_14default_configENS1_25partition_config_selectorILNS1_17partition_subalgoE9EllbEEZZNS1_14partition_implILS5_9ELb0ES3_jPlS8_PNS0_10empty_typeENS0_5tupleIJS8_S9_EEENSB_IJS8_SA_EEENS0_18inequality_wrapperIZN2at6native12_GLOBAL__N_124unique_dim_cuda_templateIsEESt5tupleIJNSF_6TensorESK_SK_EERKSK_lbbbEUlllE0_EEPmJS9_EEE10hipError_tPvRmT3_T4_T5_T6_T7_T9_mT8_P12ihipStream_tbDpT10_ENKUlT_T0_E_clISt17integral_constantIbLb1EES19_IbLb0EEEEDaS15_S16_EUlS15_E_NS1_11comp_targetILNS1_3genE9ELNS1_11target_archE1100ELNS1_3gpuE3ELNS1_3repE0EEENS1_30default_config_static_selectorELNS0_4arch9wavefront6targetE0EEEvT1_,"axG",@progbits,_ZN7rocprim17ROCPRIM_400000_NS6detail17trampoline_kernelINS0_14default_configENS1_25partition_config_selectorILNS1_17partition_subalgoE9EllbEEZZNS1_14partition_implILS5_9ELb0ES3_jPlS8_PNS0_10empty_typeENS0_5tupleIJS8_S9_EEENSB_IJS8_SA_EEENS0_18inequality_wrapperIZN2at6native12_GLOBAL__N_124unique_dim_cuda_templateIsEESt5tupleIJNSF_6TensorESK_SK_EERKSK_lbbbEUlllE0_EEPmJS9_EEE10hipError_tPvRmT3_T4_T5_T6_T7_T9_mT8_P12ihipStream_tbDpT10_ENKUlT_T0_E_clISt17integral_constantIbLb1EES19_IbLb0EEEEDaS15_S16_EUlS15_E_NS1_11comp_targetILNS1_3genE9ELNS1_11target_archE1100ELNS1_3gpuE3ELNS1_3repE0EEENS1_30default_config_static_selectorELNS0_4arch9wavefront6targetE0EEEvT1_,comdat
	.globl	_ZN7rocprim17ROCPRIM_400000_NS6detail17trampoline_kernelINS0_14default_configENS1_25partition_config_selectorILNS1_17partition_subalgoE9EllbEEZZNS1_14partition_implILS5_9ELb0ES3_jPlS8_PNS0_10empty_typeENS0_5tupleIJS8_S9_EEENSB_IJS8_SA_EEENS0_18inequality_wrapperIZN2at6native12_GLOBAL__N_124unique_dim_cuda_templateIsEESt5tupleIJNSF_6TensorESK_SK_EERKSK_lbbbEUlllE0_EEPmJS9_EEE10hipError_tPvRmT3_T4_T5_T6_T7_T9_mT8_P12ihipStream_tbDpT10_ENKUlT_T0_E_clISt17integral_constantIbLb1EES19_IbLb0EEEEDaS15_S16_EUlS15_E_NS1_11comp_targetILNS1_3genE9ELNS1_11target_archE1100ELNS1_3gpuE3ELNS1_3repE0EEENS1_30default_config_static_selectorELNS0_4arch9wavefront6targetE0EEEvT1_ ; -- Begin function _ZN7rocprim17ROCPRIM_400000_NS6detail17trampoline_kernelINS0_14default_configENS1_25partition_config_selectorILNS1_17partition_subalgoE9EllbEEZZNS1_14partition_implILS5_9ELb0ES3_jPlS8_PNS0_10empty_typeENS0_5tupleIJS8_S9_EEENSB_IJS8_SA_EEENS0_18inequality_wrapperIZN2at6native12_GLOBAL__N_124unique_dim_cuda_templateIsEESt5tupleIJNSF_6TensorESK_SK_EERKSK_lbbbEUlllE0_EEPmJS9_EEE10hipError_tPvRmT3_T4_T5_T6_T7_T9_mT8_P12ihipStream_tbDpT10_ENKUlT_T0_E_clISt17integral_constantIbLb1EES19_IbLb0EEEEDaS15_S16_EUlS15_E_NS1_11comp_targetILNS1_3genE9ELNS1_11target_archE1100ELNS1_3gpuE3ELNS1_3repE0EEENS1_30default_config_static_selectorELNS0_4arch9wavefront6targetE0EEEvT1_
	.p2align	8
	.type	_ZN7rocprim17ROCPRIM_400000_NS6detail17trampoline_kernelINS0_14default_configENS1_25partition_config_selectorILNS1_17partition_subalgoE9EllbEEZZNS1_14partition_implILS5_9ELb0ES3_jPlS8_PNS0_10empty_typeENS0_5tupleIJS8_S9_EEENSB_IJS8_SA_EEENS0_18inequality_wrapperIZN2at6native12_GLOBAL__N_124unique_dim_cuda_templateIsEESt5tupleIJNSF_6TensorESK_SK_EERKSK_lbbbEUlllE0_EEPmJS9_EEE10hipError_tPvRmT3_T4_T5_T6_T7_T9_mT8_P12ihipStream_tbDpT10_ENKUlT_T0_E_clISt17integral_constantIbLb1EES19_IbLb0EEEEDaS15_S16_EUlS15_E_NS1_11comp_targetILNS1_3genE9ELNS1_11target_archE1100ELNS1_3gpuE3ELNS1_3repE0EEENS1_30default_config_static_selectorELNS0_4arch9wavefront6targetE0EEEvT1_,@function
_ZN7rocprim17ROCPRIM_400000_NS6detail17trampoline_kernelINS0_14default_configENS1_25partition_config_selectorILNS1_17partition_subalgoE9EllbEEZZNS1_14partition_implILS5_9ELb0ES3_jPlS8_PNS0_10empty_typeENS0_5tupleIJS8_S9_EEENSB_IJS8_SA_EEENS0_18inequality_wrapperIZN2at6native12_GLOBAL__N_124unique_dim_cuda_templateIsEESt5tupleIJNSF_6TensorESK_SK_EERKSK_lbbbEUlllE0_EEPmJS9_EEE10hipError_tPvRmT3_T4_T5_T6_T7_T9_mT8_P12ihipStream_tbDpT10_ENKUlT_T0_E_clISt17integral_constantIbLb1EES19_IbLb0EEEEDaS15_S16_EUlS15_E_NS1_11comp_targetILNS1_3genE9ELNS1_11target_archE1100ELNS1_3gpuE3ELNS1_3repE0EEENS1_30default_config_static_selectorELNS0_4arch9wavefront6targetE0EEEvT1_: ; @_ZN7rocprim17ROCPRIM_400000_NS6detail17trampoline_kernelINS0_14default_configENS1_25partition_config_selectorILNS1_17partition_subalgoE9EllbEEZZNS1_14partition_implILS5_9ELb0ES3_jPlS8_PNS0_10empty_typeENS0_5tupleIJS8_S9_EEENSB_IJS8_SA_EEENS0_18inequality_wrapperIZN2at6native12_GLOBAL__N_124unique_dim_cuda_templateIsEESt5tupleIJNSF_6TensorESK_SK_EERKSK_lbbbEUlllE0_EEPmJS9_EEE10hipError_tPvRmT3_T4_T5_T6_T7_T9_mT8_P12ihipStream_tbDpT10_ENKUlT_T0_E_clISt17integral_constantIbLb1EES19_IbLb0EEEEDaS15_S16_EUlS15_E_NS1_11comp_targetILNS1_3genE9ELNS1_11target_archE1100ELNS1_3gpuE3ELNS1_3repE0EEENS1_30default_config_static_selectorELNS0_4arch9wavefront6targetE0EEEvT1_
; %bb.0:
	s_clause 0x3
	s_load_b128 s[4:7], s[0:1], 0x8
	s_load_b32 s8, s[0:1], 0x70
	s_load_b256 s[16:23], s[0:1], 0x40
	s_load_b64 s[24:25], s[0:1], 0x18
	s_mov_b32 s3, 0
	v_lshlrev_b32_e32 v55, 3, v0
	v_lshrrev_b32_e32 v33, 2, v0
	v_or_b32_e32 v38, 0x200, v0
	v_or_b32_e32 v36, 0x400, v0
	;; [unrolled: 1-line block ×7, first 2 shown]
	s_waitcnt lgkmcnt(0)
	s_lshl_b64 s[26:27], s[6:7], 3
	s_delay_alu instid0(SALU_CYCLE_1)
	s_add_u32 s9, s4, s26
	s_addc_u32 s10, s5, s27
	s_add_i32 s11, s8, -1
	s_load_b64 s[12:13], s[18:19], 0x0
	s_lshl_b32 s4, s11, 12
	s_lshl_b32 s5, s8, 12
	s_add_i32 s4, s6, s4
	s_lshl_b32 s2, s15, 12
	s_sub_i32 s28, s20, s4
	s_add_u32 s4, s6, s5
	s_addc_u32 s5, s7, 0
	s_cmp_eq_u32 s15, s11
	v_cmp_ge_u64_e64 s4, s[4:5], s[20:21]
	s_cselect_b32 s14, -1, 0
	s_lshl_b64 s[18:19], s[2:3], 3
	s_mov_b32 s3, -1
	s_delay_alu instid0(VALU_DEP_1) | instskip(NEXT) | instid1(SALU_CYCLE_1)
	s_and_b32 s21, s14, s4
	s_xor_b32 s20, s21, -1
	s_add_u32 s4, s9, s18
	s_addc_u32 s5, s10, s19
	s_and_b32 vcc_lo, exec_lo, s20
	s_cbranch_vccz .LBB739_2
; %bb.1:
	v_add_co_u32 v9, s2, s4, v55
	s_delay_alu instid0(VALU_DEP_1)
	v_add_co_ci_u32_e64 v10, null, s5, 0, s2
	global_load_b64 v[1:2], v55, s[4:5]
	v_add_co_u32 v3, vcc_lo, v9, 0x2000
	v_add_co_ci_u32_e32 v4, vcc_lo, 0, v10, vcc_lo
	v_add_co_u32 v5, vcc_lo, v9, 0x4000
	v_add_co_ci_u32_e32 v6, vcc_lo, 0, v10, vcc_lo
	;; [unrolled: 2-line block ×4, first 2 shown]
	s_clause 0x6
	global_load_b64 v[11:12], v[3:4], off offset:-4096
	global_load_b64 v[3:4], v[3:4], off
	global_load_b64 v[13:14], v[5:6], off offset:-4096
	global_load_b64 v[5:6], v[5:6], off
	global_load_b64 v[15:16], v[7:8], off offset:-4096
	global_load_b64 v[7:8], v[7:8], off
	global_load_b64 v[9:10], v[9:10], off
	v_lshrrev_b32_e32 v18, 2, v38
	v_lshrrev_b32_e32 v19, 2, v36
	;; [unrolled: 1-line block ×4, first 2 shown]
	v_and_b32_e32 v17, 0x78, v33
	v_lshrrev_b32_e32 v22, 2, v37
	v_lshrrev_b32_e32 v23, 2, v34
	;; [unrolled: 1-line block ×3, first 2 shown]
	v_and_b32_e32 v18, 0xf8, v18
	v_and_b32_e32 v19, 0x178, v19
	;; [unrolled: 1-line block ×4, first 2 shown]
	v_add_nc_u32_e32 v17, v17, v55
	v_and_b32_e32 v22, 0x2f8, v22
	v_and_b32_e32 v23, 0x378, v23
	;; [unrolled: 1-line block ×3, first 2 shown]
	v_add_nc_u32_e32 v18, v18, v55
	v_add_nc_u32_e32 v19, v19, v55
	;; [unrolled: 1-line block ×4, first 2 shown]
	s_mov_b32 s3, 0
	v_add_nc_u32_e32 v22, v22, v55
	v_add_nc_u32_e32 v23, v23, v55
	;; [unrolled: 1-line block ×3, first 2 shown]
	s_waitcnt vmcnt(7)
	ds_store_b64 v17, v[1:2]
	s_waitcnt vmcnt(6)
	ds_store_b64 v18, v[11:12] offset:4096
	s_waitcnt vmcnt(5)
	ds_store_b64 v19, v[3:4] offset:8192
	;; [unrolled: 2-line block ×7, first 2 shown]
	s_waitcnt lgkmcnt(0)
	s_barrier
.LBB739_2:
	s_load_b128 s[8:11], s[0:1], 0x60
	v_cmp_gt_u32_e64 s2, s28, v0
	s_and_not1_b32 vcc_lo, exec_lo, s3
	s_cbranch_vccnz .LBB739_20
; %bb.3:
                                        ; implicit-def: $vgpr1_vgpr2_vgpr3_vgpr4_vgpr5_vgpr6_vgpr7_vgpr8_vgpr9_vgpr10_vgpr11_vgpr12_vgpr13_vgpr14_vgpr15_vgpr16
	s_delay_alu instid0(VALU_DEP_1)
	s_and_saveexec_b32 s3, s2
	s_cbranch_execz .LBB739_11
; %bb.4:
	global_load_b64 v[1:2], v55, s[4:5]
	s_or_b32 exec_lo, exec_lo, s3
	s_delay_alu instid0(SALU_CYCLE_1)
	s_mov_b32 s2, exec_lo
	v_cmpx_gt_u32_e64 s28, v38
	s_cbranch_execnz .LBB739_12
.LBB739_5:
	s_or_b32 exec_lo, exec_lo, s2
	s_delay_alu instid0(SALU_CYCLE_1)
	s_mov_b32 s2, exec_lo
	v_cmpx_gt_u32_e64 s28, v36
	s_cbranch_execz .LBB739_13
.LBB739_6:
	v_lshlrev_b32_e32 v5, 3, v36
	global_load_b64 v[5:6], v5, s[4:5]
	s_or_b32 exec_lo, exec_lo, s2
	s_delay_alu instid0(SALU_CYCLE_1)
	s_mov_b32 s2, exec_lo
	v_cmpx_gt_u32_e64 s28, v40
	s_cbranch_execnz .LBB739_14
.LBB739_7:
	s_or_b32 exec_lo, exec_lo, s2
	s_delay_alu instid0(SALU_CYCLE_1)
	s_mov_b32 s2, exec_lo
	v_cmpx_gt_u32_e64 s28, v39
	s_cbranch_execz .LBB739_15
.LBB739_8:
	v_lshlrev_b32_e32 v9, 3, v39
	global_load_b64 v[9:10], v9, s[4:5]
	s_or_b32 exec_lo, exec_lo, s2
	s_delay_alu instid0(SALU_CYCLE_1)
	s_mov_b32 s2, exec_lo
	v_cmpx_gt_u32_e64 s28, v37
	s_cbranch_execnz .LBB739_16
.LBB739_9:
	s_or_b32 exec_lo, exec_lo, s2
	s_delay_alu instid0(SALU_CYCLE_1)
	s_mov_b32 s2, exec_lo
	v_cmpx_gt_u32_e64 s28, v34
	s_cbranch_execz .LBB739_17
.LBB739_10:
	v_lshlrev_b32_e32 v13, 3, v34
	global_load_b64 v[13:14], v13, s[4:5]
	s_or_b32 exec_lo, exec_lo, s2
	s_delay_alu instid0(SALU_CYCLE_1)
	s_mov_b32 s2, exec_lo
	v_cmpx_gt_u32_e64 s28, v35
	s_cbranch_execnz .LBB739_18
	s_branch .LBB739_19
.LBB739_11:
	s_or_b32 exec_lo, exec_lo, s3
	s_delay_alu instid0(SALU_CYCLE_1)
	s_mov_b32 s2, exec_lo
	v_cmpx_gt_u32_e64 s28, v38
	s_cbranch_execz .LBB739_5
.LBB739_12:
	v_lshlrev_b32_e32 v3, 3, v38
	global_load_b64 v[3:4], v3, s[4:5]
	s_or_b32 exec_lo, exec_lo, s2
	s_delay_alu instid0(SALU_CYCLE_1)
	s_mov_b32 s2, exec_lo
	v_cmpx_gt_u32_e64 s28, v36
	s_cbranch_execnz .LBB739_6
.LBB739_13:
	s_or_b32 exec_lo, exec_lo, s2
	s_delay_alu instid0(SALU_CYCLE_1)
	s_mov_b32 s2, exec_lo
	v_cmpx_gt_u32_e64 s28, v40
	s_cbranch_execz .LBB739_7
.LBB739_14:
	v_lshlrev_b32_e32 v7, 3, v40
	global_load_b64 v[7:8], v7, s[4:5]
	s_or_b32 exec_lo, exec_lo, s2
	s_delay_alu instid0(SALU_CYCLE_1)
	s_mov_b32 s2, exec_lo
	v_cmpx_gt_u32_e64 s28, v39
	s_cbranch_execnz .LBB739_8
.LBB739_15:
	s_or_b32 exec_lo, exec_lo, s2
	s_delay_alu instid0(SALU_CYCLE_1)
	s_mov_b32 s2, exec_lo
	v_cmpx_gt_u32_e64 s28, v37
	s_cbranch_execz .LBB739_9
.LBB739_16:
	v_lshlrev_b32_e32 v11, 3, v37
	global_load_b64 v[11:12], v11, s[4:5]
	s_or_b32 exec_lo, exec_lo, s2
	s_delay_alu instid0(SALU_CYCLE_1)
	s_mov_b32 s2, exec_lo
	v_cmpx_gt_u32_e64 s28, v34
	s_cbranch_execnz .LBB739_10
.LBB739_17:
	s_or_b32 exec_lo, exec_lo, s2
	s_delay_alu instid0(SALU_CYCLE_1)
	s_mov_b32 s2, exec_lo
	v_cmpx_gt_u32_e64 s28, v35
	s_cbranch_execz .LBB739_19
.LBB739_18:
	v_lshlrev_b32_e32 v15, 3, v35
	global_load_b64 v[15:16], v15, s[4:5]
.LBB739_19:
	s_or_b32 exec_lo, exec_lo, s2
	v_lshrrev_b32_e32 v17, 2, v38
	v_lshrrev_b32_e32 v18, 2, v36
	;; [unrolled: 1-line block ×4, first 2 shown]
	v_and_b32_e32 v19, 0x78, v33
	v_lshrrev_b32_e32 v22, 2, v37
	v_lshrrev_b32_e32 v23, 2, v34
	v_lshrrev_b32_e32 v24, 2, v35
	v_and_b32_e32 v17, 0xf8, v17
	v_and_b32_e32 v18, 0x1f8, v18
	;; [unrolled: 1-line block ×4, first 2 shown]
	v_add_nc_u32_e32 v19, v19, v55
	v_and_b32_e32 v22, 0x3f8, v22
	v_and_b32_e32 v23, 0x3f8, v23
	;; [unrolled: 1-line block ×3, first 2 shown]
	v_add_nc_u32_e32 v17, v17, v55
	v_add_nc_u32_e32 v18, v18, v55
	;; [unrolled: 1-line block ×7, first 2 shown]
	s_waitcnt vmcnt(0)
	ds_store_b64 v19, v[1:2]
	ds_store_b64 v17, v[3:4] offset:4096
	ds_store_b64 v18, v[5:6] offset:8192
	;; [unrolled: 1-line block ×7, first 2 shown]
	s_waitcnt lgkmcnt(0)
	s_barrier
.LBB739_20:
	v_add_lshl_u32 v41, v33, v55, 3
	s_waitcnt lgkmcnt(0)
	buffer_gl0_inv
	s_add_u32 s2, s24, s26
	s_addc_u32 s3, s25, s27
	s_add_u32 s2, s2, s18
	ds_load_2addr_b64 v[29:32], v41 offset1:1
	ds_load_2addr_b64 v[25:28], v41 offset0:2 offset1:3
	ds_load_2addr_b64 v[21:24], v41 offset0:4 offset1:5
	;; [unrolled: 1-line block ×3, first 2 shown]
	s_addc_u32 s3, s3, s19
	s_and_b32 vcc_lo, exec_lo, s20
	s_mov_b32 s18, -1
	s_waitcnt lgkmcnt(0)
	s_barrier
	buffer_gl0_inv
	s_cbranch_vccz .LBB739_22
; %bb.21:
	v_add_co_u32 v9, s18, s2, v55
	s_delay_alu instid0(VALU_DEP_1)
	v_add_co_ci_u32_e64 v10, null, s3, 0, s18
	global_load_b64 v[1:2], v55, s[2:3]
	v_add_co_u32 v3, vcc_lo, v9, 0x2000
	v_add_co_ci_u32_e32 v4, vcc_lo, 0, v10, vcc_lo
	v_add_co_u32 v5, vcc_lo, v9, 0x4000
	v_add_co_ci_u32_e32 v6, vcc_lo, 0, v10, vcc_lo
	;; [unrolled: 2-line block ×4, first 2 shown]
	s_clause 0x6
	global_load_b64 v[11:12], v[3:4], off offset:-4096
	global_load_b64 v[3:4], v[3:4], off
	global_load_b64 v[13:14], v[5:6], off offset:-4096
	global_load_b64 v[5:6], v[5:6], off
	global_load_b64 v[15:16], v[7:8], off offset:-4096
	global_load_b64 v[7:8], v[7:8], off
	global_load_b64 v[9:10], v[9:10], off
	v_lshrrev_b32_e32 v43, 2, v38
	v_lshrrev_b32_e32 v44, 2, v36
	;; [unrolled: 1-line block ×4, first 2 shown]
	v_and_b32_e32 v42, 0x78, v33
	v_lshrrev_b32_e32 v47, 2, v37
	v_lshrrev_b32_e32 v48, 2, v34
	;; [unrolled: 1-line block ×3, first 2 shown]
	v_and_b32_e32 v43, 0xf8, v43
	v_and_b32_e32 v44, 0x178, v44
	;; [unrolled: 1-line block ×4, first 2 shown]
	v_add_nc_u32_e32 v42, v42, v55
	v_and_b32_e32 v47, 0x2f8, v47
	v_and_b32_e32 v48, 0x378, v48
	v_and_b32_e32 v49, 0x3f8, v49
	v_add_nc_u32_e32 v43, v43, v55
	v_add_nc_u32_e32 v44, v44, v55
	v_add_nc_u32_e32 v45, v45, v55
	v_add_nc_u32_e32 v46, v46, v55
	s_mov_b32 s18, 0
	v_add_nc_u32_e32 v47, v47, v55
	v_add_nc_u32_e32 v48, v48, v55
	;; [unrolled: 1-line block ×3, first 2 shown]
	s_waitcnt vmcnt(7)
	ds_store_b64 v42, v[1:2]
	s_waitcnt vmcnt(6)
	ds_store_b64 v43, v[11:12] offset:4096
	s_waitcnt vmcnt(5)
	ds_store_b64 v44, v[3:4] offset:8192
	;; [unrolled: 2-line block ×7, first 2 shown]
	s_waitcnt lgkmcnt(0)
	s_barrier
.LBB739_22:
	s_and_not1_b32 vcc_lo, exec_lo, s18
	s_cbranch_vccnz .LBB739_40
; %bb.23:
	s_mov_b32 s18, exec_lo
                                        ; implicit-def: $vgpr1_vgpr2
	v_cmpx_gt_u32_e64 s28, v0
	s_cbranch_execz .LBB739_25
; %bb.24:
	global_load_b64 v[1:2], v55, s[2:3]
.LBB739_25:
	s_or_b32 exec_lo, exec_lo, s18
	s_delay_alu instid0(SALU_CYCLE_1)
	s_mov_b32 s18, exec_lo
                                        ; implicit-def: $vgpr3_vgpr4
	v_cmpx_gt_u32_e64 s28, v38
	s_cbranch_execz .LBB739_27
; %bb.26:
	v_lshlrev_b32_e32 v3, 3, v38
	global_load_b64 v[3:4], v3, s[2:3]
.LBB739_27:
	s_or_b32 exec_lo, exec_lo, s18
	s_delay_alu instid0(SALU_CYCLE_1)
	s_mov_b32 s18, exec_lo
                                        ; implicit-def: $vgpr5_vgpr6
	v_cmpx_gt_u32_e64 s28, v36
	s_cbranch_execz .LBB739_29
; %bb.28:
	v_lshlrev_b32_e32 v5, 3, v36
	global_load_b64 v[5:6], v5, s[2:3]
.LBB739_29:
	s_or_b32 exec_lo, exec_lo, s18
	s_delay_alu instid0(SALU_CYCLE_1)
	s_mov_b32 s18, exec_lo
                                        ; implicit-def: $vgpr7_vgpr8
	v_cmpx_gt_u32_e64 s28, v40
	s_cbranch_execz .LBB739_31
; %bb.30:
	v_lshlrev_b32_e32 v7, 3, v40
	global_load_b64 v[7:8], v7, s[2:3]
.LBB739_31:
	s_or_b32 exec_lo, exec_lo, s18
	s_delay_alu instid0(SALU_CYCLE_1)
	s_mov_b32 s18, exec_lo
                                        ; implicit-def: $vgpr9_vgpr10
	v_cmpx_gt_u32_e64 s28, v39
	s_cbranch_execz .LBB739_33
; %bb.32:
	v_lshlrev_b32_e32 v9, 3, v39
	global_load_b64 v[9:10], v9, s[2:3]
.LBB739_33:
	s_or_b32 exec_lo, exec_lo, s18
	s_delay_alu instid0(SALU_CYCLE_1)
	s_mov_b32 s18, exec_lo
                                        ; implicit-def: $vgpr11_vgpr12
	v_cmpx_gt_u32_e64 s28, v37
	s_cbranch_execz .LBB739_35
; %bb.34:
	v_lshlrev_b32_e32 v11, 3, v37
	global_load_b64 v[11:12], v11, s[2:3]
.LBB739_35:
	s_or_b32 exec_lo, exec_lo, s18
	s_delay_alu instid0(SALU_CYCLE_1)
	s_mov_b32 s18, exec_lo
                                        ; implicit-def: $vgpr13_vgpr14
	v_cmpx_gt_u32_e64 s28, v34
	s_cbranch_execz .LBB739_37
; %bb.36:
	v_lshlrev_b32_e32 v13, 3, v34
	global_load_b64 v[13:14], v13, s[2:3]
.LBB739_37:
	s_or_b32 exec_lo, exec_lo, s18
	s_delay_alu instid0(SALU_CYCLE_1)
	s_mov_b32 s18, exec_lo
                                        ; implicit-def: $vgpr15_vgpr16
	v_cmpx_gt_u32_e64 s28, v35
	s_cbranch_execz .LBB739_39
; %bb.38:
	v_lshlrev_b32_e32 v15, 3, v35
	global_load_b64 v[15:16], v15, s[2:3]
.LBB739_39:
	s_or_b32 exec_lo, exec_lo, s18
	v_lshrrev_b32_e32 v38, 2, v38
	v_lshrrev_b32_e32 v36, 2, v36
	;; [unrolled: 1-line block ×4, first 2 shown]
	v_and_b32_e32 v33, 0x78, v33
	v_lshrrev_b32_e32 v37, 2, v37
	v_lshrrev_b32_e32 v34, 2, v34
	;; [unrolled: 1-line block ×3, first 2 shown]
	v_and_b32_e32 v38, 0xf8, v38
	v_and_b32_e32 v36, 0x1f8, v36
	;; [unrolled: 1-line block ×4, first 2 shown]
	v_add_nc_u32_e32 v33, v33, v55
	v_and_b32_e32 v37, 0x3f8, v37
	v_and_b32_e32 v34, 0x3f8, v34
	;; [unrolled: 1-line block ×3, first 2 shown]
	v_add_nc_u32_e32 v38, v38, v55
	v_add_nc_u32_e32 v36, v36, v55
	;; [unrolled: 1-line block ×7, first 2 shown]
	s_waitcnt vmcnt(0)
	ds_store_b64 v33, v[1:2]
	ds_store_b64 v38, v[3:4] offset:4096
	ds_store_b64 v36, v[5:6] offset:8192
	;; [unrolled: 1-line block ×7, first 2 shown]
	s_waitcnt lgkmcnt(0)
	s_barrier
.LBB739_40:
	buffer_gl0_inv
	ds_load_2addr_b64 v[13:16], v41 offset1:1
	ds_load_2addr_b64 v[9:12], v41 offset0:2 offset1:3
	ds_load_2addr_b64 v[5:8], v41 offset0:4 offset1:5
	;; [unrolled: 1-line block ×3, first 2 shown]
	s_cmp_lg_u32 s15, 0
	v_cmp_gt_i64_e64 s25, s[22:23], 0
	s_cselect_b32 s24, -1, 0
	s_cmp_lg_u64 s[6:7], 0
	s_mov_b32 s3, 0
	s_cselect_b32 s2, -1, 0
	s_waitcnt lgkmcnt(0)
	s_or_b32 s2, s24, s2
	s_barrier
	s_and_b32 vcc_lo, exec_lo, s2
	buffer_gl0_inv
	s_cbranch_vccz .LBB739_49
; %bb.41:
	s_add_u32 s2, s4, -8
	s_addc_u32 s3, s5, -1
	v_cndmask_b32_e64 v41, 0, 1, s25
	s_load_b64 s[4:5], s[2:3], 0x0
	s_and_b32 vcc_lo, exec_lo, s20
	ds_store_b64 v55, v[19:20]
	v_cmp_ne_u32_e64 s2, 1, v41
	s_cbranch_vccz .LBB739_50
; %bb.42:
	v_mul_lo_u32 v35, v18, s22
	v_mul_lo_u32 v36, v17, s23
	v_mad_u64_u32 v[33:34], null, v17, s22, 0
	s_mov_b32 s3, 0
	s_and_b32 vcc_lo, exec_lo, s2
	s_mov_b32 s26, 0
	s_delay_alu instid0(VALU_DEP_1) | instskip(NEXT) | instid1(VALU_DEP_1)
	v_add3_u32 v34, v34, v36, v35
	v_lshlrev_b64 v[33:34], 1, v[33:34]
	s_cbranch_vccnz .LBB739_53
; %bb.43:
	v_mul_lo_u32 v37, v20, s22
	v_mul_lo_u32 v38, v19, s23
	v_mad_u64_u32 v[35:36], null, v19, s22, 0
	s_mov_b32 s26, -1
	s_mov_b32 s27, exec_lo
	s_delay_alu instid0(VALU_DEP_1) | instskip(SKIP_2) | instid1(VALU_DEP_3)
	v_add3_u32 v36, v36, v38, v37
	v_add_co_u32 v37, vcc_lo, s8, v33
	v_add_co_ci_u32_e32 v38, vcc_lo, s9, v34, vcc_lo
	v_lshlrev_b64 v[35:36], 1, v[35:36]
	s_delay_alu instid0(VALU_DEP_1) | instskip(NEXT) | instid1(VALU_DEP_2)
	v_add_co_u32 v35, vcc_lo, s8, v35
	v_add_co_ci_u32_e32 v36, vcc_lo, s9, v36, vcc_lo
	s_clause 0x1
	global_load_u16 v39, v[37:38], off
	global_load_u16 v40, v[35:36], off
	s_waitcnt vmcnt(0)
	v_cmpx_eq_u16_e64 v39, v40
	s_cbranch_execz .LBB739_52
; %bb.44:
	v_add_co_u32 v35, vcc_lo, v35, 2
	v_add_co_ci_u32_e32 v36, vcc_lo, 0, v36, vcc_lo
	v_add_co_u32 v37, vcc_lo, v37, 2
	v_add_co_ci_u32_e32 v38, vcc_lo, 0, v38, vcc_lo
	s_add_u32 s6, s22, -1
	s_addc_u32 s7, s23, -1
	s_mov_b64 s[18:19], 0
	s_mov_b32 s26, 0
                                        ; implicit-def: $sgpr29
	s_set_inst_prefetch_distance 0x1
	s_branch .LBB739_47
	.p2align	6
.LBB739_45:                             ;   in Loop: Header=BB739_47 Depth=1
	global_load_u16 v39, v[37:38], off
	global_load_u16 v40, v[35:36], off
	v_add_co_u32 v35, vcc_lo, v35, 2
	v_add_co_ci_u32_e32 v36, vcc_lo, 0, v36, vcc_lo
	v_add_co_u32 v37, s2, v37, 2
	s_delay_alu instid0(VALU_DEP_1)
	v_add_co_ci_u32_e64 v38, s2, 0, v38, s2
	s_add_u32 s18, s18, 1
	s_addc_u32 s19, s19, 0
	s_and_not1_b32 s2, s29, exec_lo
	s_waitcnt vmcnt(0)
	v_cmp_ne_u16_e32 vcc_lo, v39, v40
	s_and_b32 s29, vcc_lo, exec_lo
	s_delay_alu instid0(SALU_CYCLE_1)
	s_or_b32 s29, s2, s29
.LBB739_46:                             ;   in Loop: Header=BB739_47 Depth=1
	v_dual_mov_b32 v40, s19 :: v_dual_mov_b32 v39, s18
	s_and_b32 s2, exec_lo, s29
	s_delay_alu instid0(SALU_CYCLE_1) | instskip(NEXT) | instid1(SALU_CYCLE_1)
	s_or_b32 s26, s2, s26
	s_and_not1_b32 exec_lo, exec_lo, s26
	s_cbranch_execz .LBB739_51
.LBB739_47:                             ; =>This Inner Loop Header: Depth=1
	s_or_b32 s29, s29, exec_lo
	s_cmp_eq_u64 s[6:7], s[18:19]
	s_cbranch_scc0 .LBB739_45
; %bb.48:                               ;   in Loop: Header=BB739_47 Depth=1
	s_mov_b64 s[18:19], s[22:23]
                                        ; implicit-def: $vgpr35_vgpr36
                                        ; implicit-def: $vgpr37_vgpr38
	s_branch .LBB739_46
.LBB739_49:
                                        ; implicit-def: $sgpr2
                                        ; implicit-def: $vgpr34
	s_branch .LBB739_211
.LBB739_50:
                                        ; implicit-def: $sgpr2
                                        ; implicit-def: $vgpr34
	s_cbranch_execnz .LBB739_119
	s_branch .LBB739_210
.LBB739_51:
	s_set_inst_prefetch_distance 0x2
	s_or_b32 exec_lo, exec_lo, s26
	v_cmp_gt_i64_e32 vcc_lo, s[22:23], v[39:40]
	s_or_not1_b32 s26, vcc_lo, exec_lo
.LBB739_52:
	s_or_b32 exec_lo, exec_lo, s27
.LBB739_53:
	v_mul_lo_u32 v37, v24, s22
	v_mul_lo_u32 v38, v23, s23
	v_mad_u64_u32 v[35:36], null, v23, s22, 0
	s_and_not1_b32 vcc_lo, exec_lo, s25
	s_delay_alu instid0(VALU_DEP_1) | instskip(NEXT) | instid1(VALU_DEP_1)
	v_add3_u32 v36, v36, v38, v37
	v_lshlrev_b64 v[35:36], 1, v[35:36]
	s_cbranch_vccnz .LBB739_62
; %bb.54:
	s_delay_alu instid0(VALU_DEP_1) | instskip(NEXT) | instid1(VALU_DEP_2)
	v_add_co_u32 v37, vcc_lo, s8, v35
	v_add_co_ci_u32_e32 v38, vcc_lo, s9, v36, vcc_lo
	v_add_co_u32 v33, vcc_lo, s8, v33
	v_add_co_ci_u32_e32 v34, vcc_lo, s9, v34, vcc_lo
	s_mov_b32 s3, -1
	s_clause 0x1
	global_load_u16 v39, v[37:38], off
	global_load_u16 v40, v[33:34], off
	s_mov_b32 s27, exec_lo
	s_waitcnt vmcnt(0)
	v_cmpx_eq_u16_e64 v39, v40
	s_cbranch_execz .LBB739_61
; %bb.55:
	v_add_co_u32 v33, vcc_lo, v33, 2
	v_add_co_ci_u32_e32 v34, vcc_lo, 0, v34, vcc_lo
	v_add_co_u32 v37, vcc_lo, v37, 2
	v_add_co_ci_u32_e32 v38, vcc_lo, 0, v38, vcc_lo
	s_add_u32 s6, s22, -1
	s_addc_u32 s7, s23, -1
	s_mov_b64 s[18:19], 0
	s_mov_b32 s3, 0
                                        ; implicit-def: $sgpr29
	s_set_inst_prefetch_distance 0x1
	s_branch .LBB739_58
	.p2align	6
.LBB739_56:                             ;   in Loop: Header=BB739_58 Depth=1
	global_load_u16 v39, v[37:38], off
	global_load_u16 v40, v[33:34], off
	v_add_co_u32 v33, vcc_lo, v33, 2
	v_add_co_ci_u32_e32 v34, vcc_lo, 0, v34, vcc_lo
	v_add_co_u32 v37, s2, v37, 2
	s_delay_alu instid0(VALU_DEP_1)
	v_add_co_ci_u32_e64 v38, s2, 0, v38, s2
	s_add_u32 s18, s18, 1
	s_addc_u32 s19, s19, 0
	s_and_not1_b32 s2, s29, exec_lo
	s_waitcnt vmcnt(0)
	v_cmp_ne_u16_e32 vcc_lo, v39, v40
	s_and_b32 s29, vcc_lo, exec_lo
	s_delay_alu instid0(SALU_CYCLE_1)
	s_or_b32 s29, s2, s29
.LBB739_57:                             ;   in Loop: Header=BB739_58 Depth=1
	v_dual_mov_b32 v40, s19 :: v_dual_mov_b32 v39, s18
	s_and_b32 s2, exec_lo, s29
	s_delay_alu instid0(SALU_CYCLE_1) | instskip(NEXT) | instid1(SALU_CYCLE_1)
	s_or_b32 s3, s2, s3
	s_and_not1_b32 exec_lo, exec_lo, s3
	s_cbranch_execz .LBB739_60
.LBB739_58:                             ; =>This Inner Loop Header: Depth=1
	s_or_b32 s29, s29, exec_lo
	s_cmp_eq_u64 s[6:7], s[18:19]
	s_cbranch_scc0 .LBB739_56
; %bb.59:                               ;   in Loop: Header=BB739_58 Depth=1
	s_mov_b64 s[18:19], s[22:23]
                                        ; implicit-def: $vgpr33_vgpr34
                                        ; implicit-def: $vgpr37_vgpr38
	s_branch .LBB739_57
.LBB739_60:
	s_set_inst_prefetch_distance 0x2
	s_or_b32 exec_lo, exec_lo, s3
	v_cmp_gt_i64_e32 vcc_lo, s[22:23], v[39:40]
	s_or_not1_b32 s3, vcc_lo, exec_lo
.LBB739_61:
	s_or_b32 exec_lo, exec_lo, s27
.LBB739_62:
	v_mul_lo_u32 v37, v22, s22
	v_mul_lo_u32 v38, v21, s23
	v_mad_u64_u32 v[33:34], null, v21, s22, 0
	s_mov_b32 s27, 0
	s_and_not1_b32 vcc_lo, exec_lo, s25
	s_mov_b32 s29, 0
	s_delay_alu instid0(VALU_DEP_1) | instskip(NEXT) | instid1(VALU_DEP_1)
	v_add3_u32 v34, v34, v38, v37
	v_lshlrev_b64 v[37:38], 1, v[33:34]
	s_cbranch_vccnz .LBB739_71
; %bb.63:
	s_delay_alu instid0(VALU_DEP_1) | instskip(NEXT) | instid1(VALU_DEP_2)
	v_add_co_u32 v39, vcc_lo, s8, v37
	v_add_co_ci_u32_e32 v40, vcc_lo, s9, v38, vcc_lo
	v_add_co_u32 v33, vcc_lo, s8, v35
	v_add_co_ci_u32_e32 v34, vcc_lo, s9, v36, vcc_lo
	s_mov_b32 s29, -1
	s_clause 0x1
	global_load_u16 v35, v[39:40], off
	global_load_u16 v36, v[33:34], off
	s_mov_b32 s30, exec_lo
	s_waitcnt vmcnt(0)
	v_cmpx_eq_u16_e64 v35, v36
	s_cbranch_execz .LBB739_70
; %bb.64:
	v_add_co_u32 v33, vcc_lo, v33, 2
	v_add_co_ci_u32_e32 v34, vcc_lo, 0, v34, vcc_lo
	v_add_co_u32 v35, vcc_lo, v39, 2
	v_add_co_ci_u32_e32 v36, vcc_lo, 0, v40, vcc_lo
	s_add_u32 s6, s22, -1
	s_addc_u32 s7, s23, -1
	s_mov_b64 s[18:19], 0
	s_mov_b32 s29, 0
                                        ; implicit-def: $sgpr31
	s_set_inst_prefetch_distance 0x1
	s_branch .LBB739_67
	.p2align	6
.LBB739_65:                             ;   in Loop: Header=BB739_67 Depth=1
	global_load_u16 v39, v[35:36], off
	global_load_u16 v40, v[33:34], off
	v_add_co_u32 v33, vcc_lo, v33, 2
	v_add_co_ci_u32_e32 v34, vcc_lo, 0, v34, vcc_lo
	v_add_co_u32 v35, s2, v35, 2
	s_delay_alu instid0(VALU_DEP_1)
	v_add_co_ci_u32_e64 v36, s2, 0, v36, s2
	s_add_u32 s18, s18, 1
	s_addc_u32 s19, s19, 0
	s_and_not1_b32 s2, s31, exec_lo
	s_waitcnt vmcnt(0)
	v_cmp_ne_u16_e32 vcc_lo, v39, v40
	s_and_b32 s31, vcc_lo, exec_lo
	s_delay_alu instid0(SALU_CYCLE_1)
	s_or_b32 s31, s2, s31
.LBB739_66:                             ;   in Loop: Header=BB739_67 Depth=1
	v_dual_mov_b32 v40, s19 :: v_dual_mov_b32 v39, s18
	s_and_b32 s2, exec_lo, s31
	s_delay_alu instid0(SALU_CYCLE_1) | instskip(NEXT) | instid1(SALU_CYCLE_1)
	s_or_b32 s29, s2, s29
	s_and_not1_b32 exec_lo, exec_lo, s29
	s_cbranch_execz .LBB739_69
.LBB739_67:                             ; =>This Inner Loop Header: Depth=1
	s_or_b32 s31, s31, exec_lo
	s_cmp_eq_u64 s[6:7], s[18:19]
	s_cbranch_scc0 .LBB739_65
; %bb.68:                               ;   in Loop: Header=BB739_67 Depth=1
	s_mov_b64 s[18:19], s[22:23]
                                        ; implicit-def: $vgpr33_vgpr34
                                        ; implicit-def: $vgpr35_vgpr36
	s_branch .LBB739_66
.LBB739_69:
	s_set_inst_prefetch_distance 0x2
	s_or_b32 exec_lo, exec_lo, s29
	v_cmp_gt_i64_e32 vcc_lo, s[22:23], v[39:40]
	s_or_not1_b32 s29, vcc_lo, exec_lo
.LBB739_70:
	s_or_b32 exec_lo, exec_lo, s30
.LBB739_71:
	v_mul_lo_u32 v35, v28, s22
	v_mul_lo_u32 v36, v27, s23
	v_mad_u64_u32 v[33:34], null, v27, s22, 0
	s_and_not1_b32 vcc_lo, exec_lo, s25
	s_delay_alu instid0(VALU_DEP_1) | instskip(NEXT) | instid1(VALU_DEP_1)
	v_add3_u32 v34, v34, v36, v35
	v_lshlrev_b64 v[33:34], 1, v[33:34]
	s_cbranch_vccnz .LBB739_80
; %bb.72:
	s_delay_alu instid0(VALU_DEP_1) | instskip(NEXT) | instid1(VALU_DEP_2)
	v_add_co_u32 v39, vcc_lo, s8, v33
	v_add_co_ci_u32_e32 v40, vcc_lo, s9, v34, vcc_lo
	v_add_co_u32 v35, vcc_lo, s8, v37
	v_add_co_ci_u32_e32 v36, vcc_lo, s9, v38, vcc_lo
	s_mov_b32 s27, -1
	s_clause 0x1
	global_load_u16 v37, v[39:40], off
	global_load_u16 v38, v[35:36], off
	s_mov_b32 s30, exec_lo
	s_waitcnt vmcnt(0)
	v_cmpx_eq_u16_e64 v37, v38
	s_cbranch_execz .LBB739_79
; %bb.73:
	v_add_co_u32 v35, vcc_lo, v35, 2
	v_add_co_ci_u32_e32 v36, vcc_lo, 0, v36, vcc_lo
	v_add_co_u32 v37, vcc_lo, v39, 2
	v_add_co_ci_u32_e32 v38, vcc_lo, 0, v40, vcc_lo
	s_add_u32 s6, s22, -1
	s_addc_u32 s7, s23, -1
	s_mov_b64 s[18:19], 0
	s_mov_b32 s27, 0
                                        ; implicit-def: $sgpr31
	s_set_inst_prefetch_distance 0x1
	s_branch .LBB739_76
	.p2align	6
.LBB739_74:                             ;   in Loop: Header=BB739_76 Depth=1
	global_load_u16 v39, v[37:38], off
	global_load_u16 v40, v[35:36], off
	v_add_co_u32 v35, vcc_lo, v35, 2
	v_add_co_ci_u32_e32 v36, vcc_lo, 0, v36, vcc_lo
	v_add_co_u32 v37, s2, v37, 2
	s_delay_alu instid0(VALU_DEP_1)
	v_add_co_ci_u32_e64 v38, s2, 0, v38, s2
	s_add_u32 s18, s18, 1
	s_addc_u32 s19, s19, 0
	s_and_not1_b32 s2, s31, exec_lo
	s_waitcnt vmcnt(0)
	v_cmp_ne_u16_e32 vcc_lo, v39, v40
	s_and_b32 s31, vcc_lo, exec_lo
	s_delay_alu instid0(SALU_CYCLE_1)
	s_or_b32 s31, s2, s31
.LBB739_75:                             ;   in Loop: Header=BB739_76 Depth=1
	v_dual_mov_b32 v40, s19 :: v_dual_mov_b32 v39, s18
	s_and_b32 s2, exec_lo, s31
	s_delay_alu instid0(SALU_CYCLE_1) | instskip(NEXT) | instid1(SALU_CYCLE_1)
	s_or_b32 s27, s2, s27
	s_and_not1_b32 exec_lo, exec_lo, s27
	s_cbranch_execz .LBB739_78
.LBB739_76:                             ; =>This Inner Loop Header: Depth=1
	s_or_b32 s31, s31, exec_lo
	s_cmp_eq_u64 s[6:7], s[18:19]
	s_cbranch_scc0 .LBB739_74
; %bb.77:                               ;   in Loop: Header=BB739_76 Depth=1
	s_mov_b64 s[18:19], s[22:23]
                                        ; implicit-def: $vgpr35_vgpr36
                                        ; implicit-def: $vgpr37_vgpr38
	s_branch .LBB739_75
.LBB739_78:
	s_set_inst_prefetch_distance 0x2
	s_or_b32 exec_lo, exec_lo, s27
	v_cmp_gt_i64_e32 vcc_lo, s[22:23], v[39:40]
	s_or_not1_b32 s27, vcc_lo, exec_lo
.LBB739_79:
	s_or_b32 exec_lo, exec_lo, s30
.LBB739_80:
	v_mul_lo_u32 v37, v26, s22
	v_mul_lo_u32 v38, v25, s23
	v_mad_u64_u32 v[35:36], null, v25, s22, 0
	s_mov_b32 s30, 0
	s_and_not1_b32 vcc_lo, exec_lo, s25
	s_mov_b32 s31, 0
	s_delay_alu instid0(VALU_DEP_1) | instskip(NEXT) | instid1(VALU_DEP_1)
	v_add3_u32 v36, v36, v38, v37
	v_lshlrev_b64 v[37:38], 1, v[35:36]
	s_cbranch_vccnz .LBB739_89
; %bb.81:
	s_delay_alu instid0(VALU_DEP_1) | instskip(NEXT) | instid1(VALU_DEP_2)
	v_add_co_u32 v35, vcc_lo, s8, v37
	v_add_co_ci_u32_e32 v36, vcc_lo, s9, v38, vcc_lo
	v_add_co_u32 v33, vcc_lo, s8, v33
	v_add_co_ci_u32_e32 v34, vcc_lo, s9, v34, vcc_lo
	s_mov_b32 s31, -1
	s_clause 0x1
	global_load_u16 v39, v[35:36], off
	global_load_u16 v40, v[33:34], off
	s_mov_b32 s33, exec_lo
	s_waitcnt vmcnt(0)
	v_cmpx_eq_u16_e64 v39, v40
	s_cbranch_execz .LBB739_88
; %bb.82:
	v_add_co_u32 v33, vcc_lo, v33, 2
	v_add_co_ci_u32_e32 v34, vcc_lo, 0, v34, vcc_lo
	v_add_co_u32 v35, vcc_lo, v35, 2
	v_add_co_ci_u32_e32 v36, vcc_lo, 0, v36, vcc_lo
	s_add_u32 s6, s22, -1
	s_addc_u32 s7, s23, -1
	s_mov_b64 s[18:19], 0
	s_mov_b32 s31, 0
                                        ; implicit-def: $sgpr34
	s_set_inst_prefetch_distance 0x1
	s_branch .LBB739_85
	.p2align	6
.LBB739_83:                             ;   in Loop: Header=BB739_85 Depth=1
	global_load_u16 v39, v[35:36], off
	global_load_u16 v40, v[33:34], off
	v_add_co_u32 v33, vcc_lo, v33, 2
	v_add_co_ci_u32_e32 v34, vcc_lo, 0, v34, vcc_lo
	v_add_co_u32 v35, s2, v35, 2
	s_delay_alu instid0(VALU_DEP_1)
	v_add_co_ci_u32_e64 v36, s2, 0, v36, s2
	s_add_u32 s18, s18, 1
	s_addc_u32 s19, s19, 0
	s_and_not1_b32 s2, s34, exec_lo
	s_waitcnt vmcnt(0)
	v_cmp_ne_u16_e32 vcc_lo, v39, v40
	s_and_b32 s34, vcc_lo, exec_lo
	s_delay_alu instid0(SALU_CYCLE_1)
	s_or_b32 s34, s2, s34
.LBB739_84:                             ;   in Loop: Header=BB739_85 Depth=1
	v_dual_mov_b32 v40, s19 :: v_dual_mov_b32 v39, s18
	s_and_b32 s2, exec_lo, s34
	s_delay_alu instid0(SALU_CYCLE_1) | instskip(NEXT) | instid1(SALU_CYCLE_1)
	s_or_b32 s31, s2, s31
	s_and_not1_b32 exec_lo, exec_lo, s31
	s_cbranch_execz .LBB739_87
.LBB739_85:                             ; =>This Inner Loop Header: Depth=1
	s_or_b32 s34, s34, exec_lo
	s_cmp_eq_u64 s[6:7], s[18:19]
	s_cbranch_scc0 .LBB739_83
; %bb.86:                               ;   in Loop: Header=BB739_85 Depth=1
	s_mov_b64 s[18:19], s[22:23]
                                        ; implicit-def: $vgpr33_vgpr34
                                        ; implicit-def: $vgpr35_vgpr36
	s_branch .LBB739_84
.LBB739_87:
	s_set_inst_prefetch_distance 0x2
	s_or_b32 exec_lo, exec_lo, s31
	v_cmp_gt_i64_e32 vcc_lo, s[22:23], v[39:40]
	s_or_not1_b32 s31, vcc_lo, exec_lo
.LBB739_88:
	s_or_b32 exec_lo, exec_lo, s33
.LBB739_89:
	v_mul_lo_u32 v35, v32, s22
	v_mul_lo_u32 v36, v31, s23
	v_mad_u64_u32 v[33:34], null, v31, s22, 0
	s_and_not1_b32 vcc_lo, exec_lo, s25
	s_delay_alu instid0(VALU_DEP_1) | instskip(NEXT) | instid1(VALU_DEP_1)
	v_add3_u32 v34, v34, v36, v35
	v_lshlrev_b64 v[35:36], 1, v[33:34]
	s_cbranch_vccnz .LBB739_98
; %bb.90:
	s_delay_alu instid0(VALU_DEP_1) | instskip(NEXT) | instid1(VALU_DEP_2)
	v_add_co_u32 v39, vcc_lo, s8, v35
	v_add_co_ci_u32_e32 v40, vcc_lo, s9, v36, vcc_lo
	v_add_co_u32 v33, vcc_lo, s8, v37
	v_add_co_ci_u32_e32 v34, vcc_lo, s9, v38, vcc_lo
	s_mov_b32 s30, -1
	s_clause 0x1
	global_load_u16 v37, v[39:40], off
	global_load_u16 v38, v[33:34], off
	s_mov_b32 s33, exec_lo
	s_waitcnt vmcnt(0)
	v_cmpx_eq_u16_e64 v37, v38
	s_cbranch_execz .LBB739_97
; %bb.91:
	v_add_co_u32 v33, vcc_lo, v33, 2
	v_add_co_ci_u32_e32 v34, vcc_lo, 0, v34, vcc_lo
	v_add_co_u32 v37, vcc_lo, v39, 2
	v_add_co_ci_u32_e32 v38, vcc_lo, 0, v40, vcc_lo
	s_add_u32 s6, s22, -1
	s_addc_u32 s7, s23, -1
	s_mov_b64 s[18:19], 0
	s_mov_b32 s30, 0
                                        ; implicit-def: $sgpr34
	s_set_inst_prefetch_distance 0x1
	s_branch .LBB739_94
	.p2align	6
.LBB739_92:                             ;   in Loop: Header=BB739_94 Depth=1
	global_load_u16 v39, v[37:38], off
	global_load_u16 v40, v[33:34], off
	v_add_co_u32 v33, vcc_lo, v33, 2
	v_add_co_ci_u32_e32 v34, vcc_lo, 0, v34, vcc_lo
	v_add_co_u32 v37, s2, v37, 2
	s_delay_alu instid0(VALU_DEP_1)
	v_add_co_ci_u32_e64 v38, s2, 0, v38, s2
	s_add_u32 s18, s18, 1
	s_addc_u32 s19, s19, 0
	s_and_not1_b32 s2, s34, exec_lo
	s_waitcnt vmcnt(0)
	v_cmp_ne_u16_e32 vcc_lo, v39, v40
	s_and_b32 s34, vcc_lo, exec_lo
	s_delay_alu instid0(SALU_CYCLE_1)
	s_or_b32 s34, s2, s34
.LBB739_93:                             ;   in Loop: Header=BB739_94 Depth=1
	v_dual_mov_b32 v40, s19 :: v_dual_mov_b32 v39, s18
	s_and_b32 s2, exec_lo, s34
	s_delay_alu instid0(SALU_CYCLE_1) | instskip(NEXT) | instid1(SALU_CYCLE_1)
	s_or_b32 s30, s2, s30
	s_and_not1_b32 exec_lo, exec_lo, s30
	s_cbranch_execz .LBB739_96
.LBB739_94:                             ; =>This Inner Loop Header: Depth=1
	s_or_b32 s34, s34, exec_lo
	s_cmp_eq_u64 s[6:7], s[18:19]
	s_cbranch_scc0 .LBB739_92
; %bb.95:                               ;   in Loop: Header=BB739_94 Depth=1
	s_mov_b64 s[18:19], s[22:23]
                                        ; implicit-def: $vgpr33_vgpr34
                                        ; implicit-def: $vgpr37_vgpr38
	s_branch .LBB739_93
.LBB739_96:
	s_set_inst_prefetch_distance 0x2
	s_or_b32 exec_lo, exec_lo, s30
	v_cmp_gt_i64_e32 vcc_lo, s[22:23], v[39:40]
	s_or_not1_b32 s30, vcc_lo, exec_lo
.LBB739_97:
	s_or_b32 exec_lo, exec_lo, s33
.LBB739_98:
	v_mul_lo_u32 v37, v30, s22
	v_mul_lo_u32 v38, v29, s23
	v_mad_u64_u32 v[33:34], null, v29, s22, 0
	s_and_not1_b32 vcc_lo, exec_lo, s25
	s_mov_b32 s2, 0
	s_delay_alu instid0(VALU_DEP_1) | instskip(NEXT) | instid1(VALU_DEP_1)
	v_add3_u32 v34, v34, v38, v37
	v_lshlrev_b64 v[33:34], 1, v[33:34]
	s_cbranch_vccnz .LBB739_107
; %bb.99:
	s_delay_alu instid0(VALU_DEP_1) | instskip(NEXT) | instid1(VALU_DEP_2)
	v_add_co_u32 v37, vcc_lo, s8, v33
	v_add_co_ci_u32_e32 v38, vcc_lo, s9, v34, vcc_lo
	v_add_co_u32 v35, vcc_lo, s8, v35
	v_add_co_ci_u32_e32 v36, vcc_lo, s9, v36, vcc_lo
	s_mov_b32 s2, -1
	s_clause 0x1
	global_load_u16 v39, v[37:38], off
	global_load_u16 v40, v[35:36], off
	s_mov_b32 s33, exec_lo
	s_waitcnt vmcnt(0)
	v_cmpx_eq_u16_e64 v39, v40
	s_cbranch_execz .LBB739_106
; %bb.100:
	v_add_co_u32 v35, vcc_lo, v35, 2
	v_add_co_ci_u32_e32 v36, vcc_lo, 0, v36, vcc_lo
	v_add_co_u32 v37, vcc_lo, v37, 2
	v_add_co_ci_u32_e32 v38, vcc_lo, 0, v38, vcc_lo
	s_add_u32 s6, s22, -1
	s_addc_u32 s7, s23, -1
	s_mov_b64 s[18:19], 0
	s_mov_b32 s34, 0
                                        ; implicit-def: $sgpr35
	s_set_inst_prefetch_distance 0x1
	s_branch .LBB739_103
	.p2align	6
.LBB739_101:                            ;   in Loop: Header=BB739_103 Depth=1
	global_load_u16 v39, v[37:38], off
	global_load_u16 v40, v[35:36], off
	v_add_co_u32 v35, vcc_lo, v35, 2
	v_add_co_ci_u32_e32 v36, vcc_lo, 0, v36, vcc_lo
	v_add_co_u32 v37, s2, v37, 2
	s_delay_alu instid0(VALU_DEP_1)
	v_add_co_ci_u32_e64 v38, s2, 0, v38, s2
	s_add_u32 s18, s18, 1
	s_addc_u32 s19, s19, 0
	s_and_not1_b32 s2, s35, exec_lo
	s_waitcnt vmcnt(0)
	v_cmp_ne_u16_e32 vcc_lo, v39, v40
	s_and_b32 s35, vcc_lo, exec_lo
	s_delay_alu instid0(SALU_CYCLE_1)
	s_or_b32 s35, s2, s35
.LBB739_102:                            ;   in Loop: Header=BB739_103 Depth=1
	v_dual_mov_b32 v40, s19 :: v_dual_mov_b32 v39, s18
	s_and_b32 s2, exec_lo, s35
	s_delay_alu instid0(SALU_CYCLE_1) | instskip(NEXT) | instid1(SALU_CYCLE_1)
	s_or_b32 s34, s2, s34
	s_and_not1_b32 exec_lo, exec_lo, s34
	s_cbranch_execz .LBB739_105
.LBB739_103:                            ; =>This Inner Loop Header: Depth=1
	s_or_b32 s35, s35, exec_lo
	s_cmp_eq_u64 s[6:7], s[18:19]
	s_cbranch_scc0 .LBB739_101
; %bb.104:                              ;   in Loop: Header=BB739_103 Depth=1
	s_mov_b64 s[18:19], s[22:23]
                                        ; implicit-def: $vgpr35_vgpr36
                                        ; implicit-def: $vgpr37_vgpr38
	s_branch .LBB739_102
.LBB739_105:
	s_set_inst_prefetch_distance 0x2
	s_or_b32 exec_lo, exec_lo, s34
	v_cmp_gt_i64_e32 vcc_lo, s[22:23], v[39:40]
	s_or_not1_b32 s2, vcc_lo, exec_lo
.LBB739_106:
	s_or_b32 exec_lo, exec_lo, s33
.LBB739_107:
	s_waitcnt lgkmcnt(0)
	v_dual_mov_b32 v36, s5 :: v_dual_mov_b32 v35, s4
	s_mov_b32 s6, exec_lo
	s_barrier
	buffer_gl0_inv
	v_cmpx_ne_u32_e32 0, v0
	s_cbranch_execz .LBB739_109
; %bb.108:
	v_add_nc_u32_e32 v35, -8, v55
	ds_load_b64 v[35:36], v35
.LBB739_109:
	s_or_b32 exec_lo, exec_lo, s6
	v_cndmask_b32_e64 v38, 0, 1, s31
	v_cndmask_b32_e64 v40, 0, 1, s29
	;; [unrolled: 1-line block ×7, first 2 shown]
	v_lshlrev_b16 v38, 8, v38
	v_lshlrev_b16 v40, 8, v40
	;; [unrolled: 1-line block ×4, first 2 shown]
	s_mov_b32 s3, 0
	v_or_b32_e32 v37, v37, v38
	v_or_b32_e32 v38, v39, v40
	;; [unrolled: 1-line block ×3, first 2 shown]
	v_and_b32_e32 v39, 0xffff, v43
	s_and_not1_b32 vcc_lo, exec_lo, s25
	v_lshlrev_b32_e32 v40, 16, v37
	v_and_b32_e32 v42, 0xffff, v38
	v_lshlrev_b32_e32 v43, 16, v44
	s_mov_b32 s2, 0
	s_cbranch_vccnz .LBB739_118
; %bb.110:
	s_waitcnt lgkmcnt(0)
	v_mul_lo_u32 v38, v36, s22
	v_mul_lo_u32 v44, v35, s23
	v_mad_u64_u32 v[36:37], null, v35, s22, 0
	s_mov_b32 s2, -1
	s_mov_b32 s26, exec_lo
	s_delay_alu instid0(VALU_DEP_1) | instskip(NEXT) | instid1(VALU_DEP_1)
	v_add3_u32 v37, v37, v44, v38
	v_lshlrev_b64 v[35:36], 1, v[36:37]
	s_delay_alu instid0(VALU_DEP_1) | instskip(NEXT) | instid1(VALU_DEP_2)
	v_add_co_u32 v35, vcc_lo, s8, v35
	v_add_co_ci_u32_e32 v36, vcc_lo, s9, v36, vcc_lo
	v_add_co_u32 v33, vcc_lo, s8, v33
	v_add_co_ci_u32_e32 v34, vcc_lo, s9, v34, vcc_lo
	s_clause 0x1
	global_load_u16 v37, v[35:36], off
	global_load_u16 v38, v[33:34], off
	s_waitcnt vmcnt(0)
	v_cmpx_eq_u16_e64 v37, v38
	s_cbranch_execz .LBB739_117
; %bb.111:
	v_add_co_u32 v33, vcc_lo, v33, 2
	v_add_co_ci_u32_e32 v34, vcc_lo, 0, v34, vcc_lo
	v_add_co_u32 v35, vcc_lo, v35, 2
	v_add_co_ci_u32_e32 v36, vcc_lo, 0, v36, vcc_lo
	s_add_u32 s6, s22, -1
	s_addc_u32 s7, s23, -1
	s_mov_b64 s[18:19], 0
	s_mov_b32 s27, 0
                                        ; implicit-def: $sgpr29
	s_set_inst_prefetch_distance 0x1
	s_branch .LBB739_114
	.p2align	6
.LBB739_112:                            ;   in Loop: Header=BB739_114 Depth=1
	global_load_u16 v37, v[35:36], off
	global_load_u16 v38, v[33:34], off
	v_add_co_u32 v33, vcc_lo, v33, 2
	v_add_co_ci_u32_e32 v34, vcc_lo, 0, v34, vcc_lo
	v_add_co_u32 v35, s2, v35, 2
	s_delay_alu instid0(VALU_DEP_1)
	v_add_co_ci_u32_e64 v36, s2, 0, v36, s2
	s_add_u32 s18, s18, 1
	s_addc_u32 s19, s19, 0
	s_and_not1_b32 s2, s29, exec_lo
	s_waitcnt vmcnt(0)
	v_cmp_ne_u16_e32 vcc_lo, v37, v38
	s_and_b32 s29, vcc_lo, exec_lo
	s_delay_alu instid0(SALU_CYCLE_1)
	s_or_b32 s29, s2, s29
.LBB739_113:                            ;   in Loop: Header=BB739_114 Depth=1
	v_dual_mov_b32 v38, s19 :: v_dual_mov_b32 v37, s18
	s_and_b32 s2, exec_lo, s29
	s_delay_alu instid0(SALU_CYCLE_1) | instskip(NEXT) | instid1(SALU_CYCLE_1)
	s_or_b32 s27, s2, s27
	s_and_not1_b32 exec_lo, exec_lo, s27
	s_cbranch_execz .LBB739_116
.LBB739_114:                            ; =>This Inner Loop Header: Depth=1
	s_or_b32 s29, s29, exec_lo
	s_cmp_eq_u64 s[6:7], s[18:19]
	s_cbranch_scc0 .LBB739_112
; %bb.115:                              ;   in Loop: Header=BB739_114 Depth=1
	s_mov_b64 s[18:19], s[22:23]
                                        ; implicit-def: $vgpr33_vgpr34
                                        ; implicit-def: $vgpr35_vgpr36
	s_branch .LBB739_113
.LBB739_116:
	s_set_inst_prefetch_distance 0x2
	s_or_b32 exec_lo, exec_lo, s27
	v_cmp_gt_i64_e32 vcc_lo, s[22:23], v[37:38]
	s_or_not1_b32 s2, vcc_lo, exec_lo
.LBB739_117:
	s_or_b32 exec_lo, exec_lo, s26
.LBB739_118:
	v_or_b32_e32 v33, v39, v40
	s_delay_alu instid0(VALU_DEP_2)
	v_or_b32_e32 v34, v42, v43
	s_and_b32 vcc_lo, exec_lo, s3
	s_cbranch_vccz .LBB739_210
.LBB739_119:
	v_or_b32_e32 v33, 7, v55
	s_mov_b32 s3, 0
	s_mov_b32 s26, 0
	s_mov_b32 s27, exec_lo
	s_delay_alu instid0(VALU_DEP_1)
	v_cmpx_gt_u32_e64 s28, v33
	s_cbranch_execz .LBB739_130
; %bb.120:
	s_and_not1_b32 vcc_lo, exec_lo, s25
	s_mov_b32 s2, 0
	s_cbranch_vccnz .LBB739_129
; %bb.121:
	v_mul_lo_u32 v37, v18, s22
	v_mul_lo_u32 v38, v17, s23
	v_mad_u64_u32 v[33:34], null, v17, s22, 0
	v_mul_lo_u32 v39, v20, s22
	v_mul_lo_u32 v40, v19, s23
	s_waitcnt lgkmcnt(0)
	v_mad_u64_u32 v[35:36], null, v19, s22, 0
	s_mov_b32 s2, -1
	s_mov_b32 s25, exec_lo
	s_delay_alu instid0(VALU_DEP_4) | instskip(NEXT) | instid1(VALU_DEP_2)
	v_add3_u32 v34, v34, v38, v37
	v_add3_u32 v36, v36, v40, v39
	s_delay_alu instid0(VALU_DEP_2) | instskip(NEXT) | instid1(VALU_DEP_2)
	v_lshlrev_b64 v[33:34], 1, v[33:34]
	v_lshlrev_b64 v[37:38], 1, v[35:36]
	s_delay_alu instid0(VALU_DEP_2) | instskip(NEXT) | instid1(VALU_DEP_3)
	v_add_co_u32 v35, vcc_lo, s8, v33
	v_add_co_ci_u32_e32 v36, vcc_lo, s9, v34, vcc_lo
	s_delay_alu instid0(VALU_DEP_3) | instskip(NEXT) | instid1(VALU_DEP_4)
	v_add_co_u32 v33, vcc_lo, s8, v37
	v_add_co_ci_u32_e32 v34, vcc_lo, s9, v38, vcc_lo
	s_clause 0x1
	global_load_u16 v37, v[35:36], off
	global_load_u16 v38, v[33:34], off
	s_waitcnt vmcnt(0)
	v_cmpx_eq_u16_e64 v37, v38
	s_cbranch_execz .LBB739_128
; %bb.122:
	v_add_co_u32 v33, vcc_lo, v33, 2
	v_add_co_ci_u32_e32 v34, vcc_lo, 0, v34, vcc_lo
	v_add_co_u32 v35, vcc_lo, v35, 2
	v_add_co_ci_u32_e32 v36, vcc_lo, 0, v36, vcc_lo
	s_add_u32 s6, s22, -1
	s_addc_u32 s7, s23, -1
	s_mov_b64 s[18:19], 0
                                        ; implicit-def: $sgpr29
	s_set_inst_prefetch_distance 0x1
	s_branch .LBB739_125
	.p2align	6
.LBB739_123:                            ;   in Loop: Header=BB739_125 Depth=1
	global_load_u16 v37, v[35:36], off
	global_load_u16 v38, v[33:34], off
	v_add_co_u32 v33, vcc_lo, v33, 2
	v_add_co_ci_u32_e32 v34, vcc_lo, 0, v34, vcc_lo
	v_add_co_u32 v35, s2, v35, 2
	s_delay_alu instid0(VALU_DEP_1)
	v_add_co_ci_u32_e64 v36, s2, 0, v36, s2
	s_add_u32 s18, s18, 1
	s_addc_u32 s19, s19, 0
	s_and_not1_b32 s2, s29, exec_lo
	s_waitcnt vmcnt(0)
	v_cmp_ne_u16_e32 vcc_lo, v37, v38
	s_and_b32 s29, vcc_lo, exec_lo
	s_delay_alu instid0(SALU_CYCLE_1)
	s_or_b32 s29, s2, s29
.LBB739_124:                            ;   in Loop: Header=BB739_125 Depth=1
	v_dual_mov_b32 v38, s19 :: v_dual_mov_b32 v37, s18
	s_and_b32 s2, exec_lo, s29
	s_delay_alu instid0(SALU_CYCLE_1) | instskip(NEXT) | instid1(SALU_CYCLE_1)
	s_or_b32 s26, s2, s26
	s_and_not1_b32 exec_lo, exec_lo, s26
	s_cbranch_execz .LBB739_127
.LBB739_125:                            ; =>This Inner Loop Header: Depth=1
	s_or_b32 s29, s29, exec_lo
	s_cmp_eq_u64 s[6:7], s[18:19]
	s_cbranch_scc0 .LBB739_123
; %bb.126:                              ;   in Loop: Header=BB739_125 Depth=1
	s_mov_b64 s[18:19], s[22:23]
                                        ; implicit-def: $vgpr33_vgpr34
                                        ; implicit-def: $vgpr35_vgpr36
	s_branch .LBB739_124
.LBB739_127:
	s_set_inst_prefetch_distance 0x2
	s_or_b32 exec_lo, exec_lo, s26
	v_cmp_gt_i64_e32 vcc_lo, s[22:23], v[37:38]
	s_or_not1_b32 s2, vcc_lo, exec_lo
.LBB739_128:
	s_or_b32 exec_lo, exec_lo, s25
.LBB739_129:
	s_delay_alu instid0(SALU_CYCLE_1)
	s_and_b32 s26, s2, exec_lo
.LBB739_130:
	s_or_b32 exec_lo, exec_lo, s27
	v_or_b32_e32 v33, 6, v55
	s_mov_b32 s25, exec_lo
	s_delay_alu instid0(VALU_DEP_1)
	v_cmpx_gt_u32_e64 s28, v33
	s_cbranch_execz .LBB739_141
; %bb.131:
	v_cmp_ne_u32_e32 vcc_lo, 1, v41
	s_mov_b32 s2, 0
	s_cbranch_vccnz .LBB739_140
; %bb.132:
	v_mul_lo_u32 v37, v24, s22
	v_mul_lo_u32 v38, v23, s23
	v_mad_u64_u32 v[33:34], null, v23, s22, 0
	v_mul_lo_u32 v39, v18, s22
	v_mul_lo_u32 v40, v17, s23
	s_waitcnt lgkmcnt(0)
	v_mad_u64_u32 v[35:36], null, v17, s22, 0
	s_mov_b32 s2, -1
	s_mov_b32 s3, exec_lo
	s_delay_alu instid0(VALU_DEP_4) | instskip(NEXT) | instid1(VALU_DEP_2)
	v_add3_u32 v34, v34, v38, v37
	v_add3_u32 v36, v36, v40, v39
	s_delay_alu instid0(VALU_DEP_2) | instskip(NEXT) | instid1(VALU_DEP_2)
	v_lshlrev_b64 v[33:34], 1, v[33:34]
	v_lshlrev_b64 v[37:38], 1, v[35:36]
	s_delay_alu instid0(VALU_DEP_2) | instskip(NEXT) | instid1(VALU_DEP_3)
	v_add_co_u32 v35, vcc_lo, s8, v33
	v_add_co_ci_u32_e32 v36, vcc_lo, s9, v34, vcc_lo
	s_delay_alu instid0(VALU_DEP_3) | instskip(NEXT) | instid1(VALU_DEP_4)
	v_add_co_u32 v33, vcc_lo, s8, v37
	v_add_co_ci_u32_e32 v34, vcc_lo, s9, v38, vcc_lo
	s_clause 0x1
	global_load_u16 v37, v[35:36], off
	global_load_u16 v38, v[33:34], off
	s_waitcnt vmcnt(0)
	v_cmpx_eq_u16_e64 v37, v38
	s_cbranch_execz .LBB739_139
; %bb.133:
	v_add_co_u32 v33, vcc_lo, v33, 2
	v_add_co_ci_u32_e32 v34, vcc_lo, 0, v34, vcc_lo
	v_add_co_u32 v35, vcc_lo, v35, 2
	v_add_co_ci_u32_e32 v36, vcc_lo, 0, v36, vcc_lo
	s_add_u32 s6, s22, -1
	s_addc_u32 s7, s23, -1
	s_mov_b64 s[18:19], 0
	s_mov_b32 s27, 0
                                        ; implicit-def: $sgpr29
	s_set_inst_prefetch_distance 0x1
	s_branch .LBB739_136
	.p2align	6
.LBB739_134:                            ;   in Loop: Header=BB739_136 Depth=1
	global_load_u16 v37, v[35:36], off
	global_load_u16 v38, v[33:34], off
	v_add_co_u32 v33, vcc_lo, v33, 2
	v_add_co_ci_u32_e32 v34, vcc_lo, 0, v34, vcc_lo
	v_add_co_u32 v35, s2, v35, 2
	s_delay_alu instid0(VALU_DEP_1)
	v_add_co_ci_u32_e64 v36, s2, 0, v36, s2
	s_add_u32 s18, s18, 1
	s_addc_u32 s19, s19, 0
	s_and_not1_b32 s2, s29, exec_lo
	s_waitcnt vmcnt(0)
	v_cmp_ne_u16_e32 vcc_lo, v37, v38
	s_and_b32 s29, vcc_lo, exec_lo
	s_delay_alu instid0(SALU_CYCLE_1)
	s_or_b32 s29, s2, s29
.LBB739_135:                            ;   in Loop: Header=BB739_136 Depth=1
	v_dual_mov_b32 v38, s19 :: v_dual_mov_b32 v37, s18
	s_and_b32 s2, exec_lo, s29
	s_delay_alu instid0(SALU_CYCLE_1) | instskip(NEXT) | instid1(SALU_CYCLE_1)
	s_or_b32 s27, s2, s27
	s_and_not1_b32 exec_lo, exec_lo, s27
	s_cbranch_execz .LBB739_138
.LBB739_136:                            ; =>This Inner Loop Header: Depth=1
	s_or_b32 s29, s29, exec_lo
	s_cmp_eq_u64 s[6:7], s[18:19]
	s_cbranch_scc0 .LBB739_134
; %bb.137:                              ;   in Loop: Header=BB739_136 Depth=1
	s_mov_b64 s[18:19], s[22:23]
                                        ; implicit-def: $vgpr33_vgpr34
                                        ; implicit-def: $vgpr35_vgpr36
	s_branch .LBB739_135
.LBB739_138:
	s_set_inst_prefetch_distance 0x2
	s_or_b32 exec_lo, exec_lo, s27
	v_cmp_gt_i64_e32 vcc_lo, s[22:23], v[37:38]
	s_or_not1_b32 s2, vcc_lo, exec_lo
.LBB739_139:
	s_or_b32 exec_lo, exec_lo, s3
.LBB739_140:
	s_delay_alu instid0(SALU_CYCLE_1)
	s_and_b32 s3, s2, exec_lo
.LBB739_141:
	s_or_b32 exec_lo, exec_lo, s25
	v_or_b32_e32 v33, 5, v55
	s_mov_b32 s27, 0
	s_mov_b32 s25, 0
	s_mov_b32 s29, exec_lo
	s_delay_alu instid0(VALU_DEP_1)
	v_cmpx_gt_u32_e64 s28, v33
	s_cbranch_execz .LBB739_152
; %bb.142:
	v_cmp_ne_u32_e32 vcc_lo, 1, v41
	s_mov_b32 s2, 0
	s_cbranch_vccnz .LBB739_151
; %bb.143:
	v_mul_lo_u32 v37, v22, s22
	v_mul_lo_u32 v38, v21, s23
	v_mad_u64_u32 v[33:34], null, v21, s22, 0
	v_mul_lo_u32 v39, v24, s22
	v_mul_lo_u32 v40, v23, s23
	s_waitcnt lgkmcnt(0)
	v_mad_u64_u32 v[35:36], null, v23, s22, 0
	s_mov_b32 s2, -1
	s_mov_b32 s25, exec_lo
	s_delay_alu instid0(VALU_DEP_4) | instskip(NEXT) | instid1(VALU_DEP_2)
	v_add3_u32 v34, v34, v38, v37
	v_add3_u32 v36, v36, v40, v39
	s_delay_alu instid0(VALU_DEP_2) | instskip(NEXT) | instid1(VALU_DEP_2)
	v_lshlrev_b64 v[33:34], 1, v[33:34]
	v_lshlrev_b64 v[37:38], 1, v[35:36]
	s_delay_alu instid0(VALU_DEP_2) | instskip(NEXT) | instid1(VALU_DEP_3)
	v_add_co_u32 v35, vcc_lo, s8, v33
	v_add_co_ci_u32_e32 v36, vcc_lo, s9, v34, vcc_lo
	s_delay_alu instid0(VALU_DEP_3) | instskip(NEXT) | instid1(VALU_DEP_4)
	v_add_co_u32 v33, vcc_lo, s8, v37
	v_add_co_ci_u32_e32 v34, vcc_lo, s9, v38, vcc_lo
	s_clause 0x1
	global_load_u16 v37, v[35:36], off
	global_load_u16 v38, v[33:34], off
	s_waitcnt vmcnt(0)
	v_cmpx_eq_u16_e64 v37, v38
	s_cbranch_execz .LBB739_150
; %bb.144:
	v_add_co_u32 v33, vcc_lo, v33, 2
	v_add_co_ci_u32_e32 v34, vcc_lo, 0, v34, vcc_lo
	v_add_co_u32 v35, vcc_lo, v35, 2
	v_add_co_ci_u32_e32 v36, vcc_lo, 0, v36, vcc_lo
	s_add_u32 s6, s22, -1
	s_addc_u32 s7, s23, -1
	s_mov_b64 s[18:19], 0
	s_mov_b32 s30, 0
                                        ; implicit-def: $sgpr31
	s_set_inst_prefetch_distance 0x1
	s_branch .LBB739_147
	.p2align	6
.LBB739_145:                            ;   in Loop: Header=BB739_147 Depth=1
	global_load_u16 v37, v[35:36], off
	global_load_u16 v38, v[33:34], off
	v_add_co_u32 v33, vcc_lo, v33, 2
	v_add_co_ci_u32_e32 v34, vcc_lo, 0, v34, vcc_lo
	v_add_co_u32 v35, s2, v35, 2
	s_delay_alu instid0(VALU_DEP_1)
	v_add_co_ci_u32_e64 v36, s2, 0, v36, s2
	s_add_u32 s18, s18, 1
	s_addc_u32 s19, s19, 0
	s_and_not1_b32 s2, s31, exec_lo
	s_waitcnt vmcnt(0)
	v_cmp_ne_u16_e32 vcc_lo, v37, v38
	s_and_b32 s31, vcc_lo, exec_lo
	s_delay_alu instid0(SALU_CYCLE_1)
	s_or_b32 s31, s2, s31
.LBB739_146:                            ;   in Loop: Header=BB739_147 Depth=1
	v_dual_mov_b32 v38, s19 :: v_dual_mov_b32 v37, s18
	s_and_b32 s2, exec_lo, s31
	s_delay_alu instid0(SALU_CYCLE_1) | instskip(NEXT) | instid1(SALU_CYCLE_1)
	s_or_b32 s30, s2, s30
	s_and_not1_b32 exec_lo, exec_lo, s30
	s_cbranch_execz .LBB739_149
.LBB739_147:                            ; =>This Inner Loop Header: Depth=1
	s_or_b32 s31, s31, exec_lo
	s_cmp_eq_u64 s[6:7], s[18:19]
	s_cbranch_scc0 .LBB739_145
; %bb.148:                              ;   in Loop: Header=BB739_147 Depth=1
	s_mov_b64 s[18:19], s[22:23]
                                        ; implicit-def: $vgpr33_vgpr34
                                        ; implicit-def: $vgpr35_vgpr36
	s_branch .LBB739_146
.LBB739_149:
	s_set_inst_prefetch_distance 0x2
	s_or_b32 exec_lo, exec_lo, s30
	v_cmp_gt_i64_e32 vcc_lo, s[22:23], v[37:38]
	s_or_not1_b32 s2, vcc_lo, exec_lo
.LBB739_150:
	s_or_b32 exec_lo, exec_lo, s25
.LBB739_151:
	s_delay_alu instid0(SALU_CYCLE_1)
	s_and_b32 s25, s2, exec_lo
.LBB739_152:
	s_or_b32 exec_lo, exec_lo, s29
	v_or_b32_e32 v33, 4, v55
	s_mov_b32 s29, exec_lo
	s_delay_alu instid0(VALU_DEP_1)
	v_cmpx_gt_u32_e64 s28, v33
	s_cbranch_execz .LBB739_163
; %bb.153:
	v_cmp_ne_u32_e32 vcc_lo, 1, v41
	s_mov_b32 s2, 0
	s_cbranch_vccnz .LBB739_162
; %bb.154:
	v_mul_lo_u32 v37, v28, s22
	v_mul_lo_u32 v38, v27, s23
	v_mad_u64_u32 v[33:34], null, v27, s22, 0
	v_mul_lo_u32 v39, v22, s22
	v_mul_lo_u32 v40, v21, s23
	s_waitcnt lgkmcnt(0)
	v_mad_u64_u32 v[35:36], null, v21, s22, 0
	s_mov_b32 s2, -1
	s_mov_b32 s27, exec_lo
	s_delay_alu instid0(VALU_DEP_4) | instskip(NEXT) | instid1(VALU_DEP_2)
	v_add3_u32 v34, v34, v38, v37
	v_add3_u32 v36, v36, v40, v39
	s_delay_alu instid0(VALU_DEP_2) | instskip(NEXT) | instid1(VALU_DEP_2)
	v_lshlrev_b64 v[33:34], 1, v[33:34]
	v_lshlrev_b64 v[37:38], 1, v[35:36]
	s_delay_alu instid0(VALU_DEP_2) | instskip(NEXT) | instid1(VALU_DEP_3)
	v_add_co_u32 v35, vcc_lo, s8, v33
	v_add_co_ci_u32_e32 v36, vcc_lo, s9, v34, vcc_lo
	s_delay_alu instid0(VALU_DEP_3) | instskip(NEXT) | instid1(VALU_DEP_4)
	v_add_co_u32 v33, vcc_lo, s8, v37
	v_add_co_ci_u32_e32 v34, vcc_lo, s9, v38, vcc_lo
	s_clause 0x1
	global_load_u16 v37, v[35:36], off
	global_load_u16 v38, v[33:34], off
	s_waitcnt vmcnt(0)
	v_cmpx_eq_u16_e64 v37, v38
	s_cbranch_execz .LBB739_161
; %bb.155:
	v_add_co_u32 v33, vcc_lo, v33, 2
	v_add_co_ci_u32_e32 v34, vcc_lo, 0, v34, vcc_lo
	v_add_co_u32 v35, vcc_lo, v35, 2
	v_add_co_ci_u32_e32 v36, vcc_lo, 0, v36, vcc_lo
	s_add_u32 s6, s22, -1
	s_addc_u32 s7, s23, -1
	s_mov_b64 s[18:19], 0
	s_mov_b32 s30, 0
                                        ; implicit-def: $sgpr31
	s_set_inst_prefetch_distance 0x1
	s_branch .LBB739_158
	.p2align	6
.LBB739_156:                            ;   in Loop: Header=BB739_158 Depth=1
	global_load_u16 v37, v[35:36], off
	global_load_u16 v38, v[33:34], off
	v_add_co_u32 v33, vcc_lo, v33, 2
	v_add_co_ci_u32_e32 v34, vcc_lo, 0, v34, vcc_lo
	v_add_co_u32 v35, s2, v35, 2
	s_delay_alu instid0(VALU_DEP_1)
	v_add_co_ci_u32_e64 v36, s2, 0, v36, s2
	s_add_u32 s18, s18, 1
	s_addc_u32 s19, s19, 0
	s_and_not1_b32 s2, s31, exec_lo
	s_waitcnt vmcnt(0)
	v_cmp_ne_u16_e32 vcc_lo, v37, v38
	s_and_b32 s31, vcc_lo, exec_lo
	s_delay_alu instid0(SALU_CYCLE_1)
	s_or_b32 s31, s2, s31
.LBB739_157:                            ;   in Loop: Header=BB739_158 Depth=1
	v_dual_mov_b32 v38, s19 :: v_dual_mov_b32 v37, s18
	s_and_b32 s2, exec_lo, s31
	s_delay_alu instid0(SALU_CYCLE_1) | instskip(NEXT) | instid1(SALU_CYCLE_1)
	s_or_b32 s30, s2, s30
	s_and_not1_b32 exec_lo, exec_lo, s30
	s_cbranch_execz .LBB739_160
.LBB739_158:                            ; =>This Inner Loop Header: Depth=1
	s_or_b32 s31, s31, exec_lo
	s_cmp_eq_u64 s[6:7], s[18:19]
	s_cbranch_scc0 .LBB739_156
; %bb.159:                              ;   in Loop: Header=BB739_158 Depth=1
	s_mov_b64 s[18:19], s[22:23]
                                        ; implicit-def: $vgpr33_vgpr34
                                        ; implicit-def: $vgpr35_vgpr36
	s_branch .LBB739_157
.LBB739_160:
	s_set_inst_prefetch_distance 0x2
	s_or_b32 exec_lo, exec_lo, s30
	v_cmp_gt_i64_e32 vcc_lo, s[22:23], v[37:38]
	s_or_not1_b32 s2, vcc_lo, exec_lo
.LBB739_161:
	s_or_b32 exec_lo, exec_lo, s27
.LBB739_162:
	s_delay_alu instid0(SALU_CYCLE_1)
	s_and_b32 s27, s2, exec_lo
.LBB739_163:
	s_or_b32 exec_lo, exec_lo, s29
	v_or_b32_e32 v33, 3, v55
	s_mov_b32 s30, 0
	s_mov_b32 s29, 0
	s_mov_b32 s31, exec_lo
	s_delay_alu instid0(VALU_DEP_1)
	v_cmpx_gt_u32_e64 s28, v33
	s_cbranch_execz .LBB739_174
; %bb.164:
	v_cmp_ne_u32_e32 vcc_lo, 1, v41
	s_mov_b32 s2, 0
	s_cbranch_vccnz .LBB739_173
; %bb.165:
	v_mul_lo_u32 v37, v26, s22
	v_mul_lo_u32 v38, v25, s23
	v_mad_u64_u32 v[33:34], null, v25, s22, 0
	v_mul_lo_u32 v39, v28, s22
	v_mul_lo_u32 v40, v27, s23
	s_waitcnt lgkmcnt(0)
	v_mad_u64_u32 v[35:36], null, v27, s22, 0
	s_mov_b32 s2, -1
	s_mov_b32 s29, exec_lo
	s_delay_alu instid0(VALU_DEP_4) | instskip(NEXT) | instid1(VALU_DEP_2)
	v_add3_u32 v34, v34, v38, v37
	v_add3_u32 v36, v36, v40, v39
	s_delay_alu instid0(VALU_DEP_2) | instskip(NEXT) | instid1(VALU_DEP_2)
	v_lshlrev_b64 v[33:34], 1, v[33:34]
	v_lshlrev_b64 v[37:38], 1, v[35:36]
	s_delay_alu instid0(VALU_DEP_2) | instskip(NEXT) | instid1(VALU_DEP_3)
	v_add_co_u32 v35, vcc_lo, s8, v33
	v_add_co_ci_u32_e32 v36, vcc_lo, s9, v34, vcc_lo
	s_delay_alu instid0(VALU_DEP_3) | instskip(NEXT) | instid1(VALU_DEP_4)
	v_add_co_u32 v33, vcc_lo, s8, v37
	v_add_co_ci_u32_e32 v34, vcc_lo, s9, v38, vcc_lo
	s_clause 0x1
	global_load_u16 v37, v[35:36], off
	global_load_u16 v38, v[33:34], off
	s_waitcnt vmcnt(0)
	v_cmpx_eq_u16_e64 v37, v38
	s_cbranch_execz .LBB739_172
; %bb.166:
	v_add_co_u32 v33, vcc_lo, v33, 2
	v_add_co_ci_u32_e32 v34, vcc_lo, 0, v34, vcc_lo
	v_add_co_u32 v35, vcc_lo, v35, 2
	v_add_co_ci_u32_e32 v36, vcc_lo, 0, v36, vcc_lo
	s_add_u32 s6, s22, -1
	s_addc_u32 s7, s23, -1
	s_mov_b64 s[18:19], 0
	s_mov_b32 s33, 0
                                        ; implicit-def: $sgpr34
	s_set_inst_prefetch_distance 0x1
	s_branch .LBB739_169
	.p2align	6
.LBB739_167:                            ;   in Loop: Header=BB739_169 Depth=1
	global_load_u16 v37, v[35:36], off
	global_load_u16 v38, v[33:34], off
	v_add_co_u32 v33, vcc_lo, v33, 2
	v_add_co_ci_u32_e32 v34, vcc_lo, 0, v34, vcc_lo
	v_add_co_u32 v35, s2, v35, 2
	s_delay_alu instid0(VALU_DEP_1)
	v_add_co_ci_u32_e64 v36, s2, 0, v36, s2
	s_add_u32 s18, s18, 1
	s_addc_u32 s19, s19, 0
	s_and_not1_b32 s2, s34, exec_lo
	s_waitcnt vmcnt(0)
	v_cmp_ne_u16_e32 vcc_lo, v37, v38
	s_and_b32 s34, vcc_lo, exec_lo
	s_delay_alu instid0(SALU_CYCLE_1)
	s_or_b32 s34, s2, s34
.LBB739_168:                            ;   in Loop: Header=BB739_169 Depth=1
	v_dual_mov_b32 v38, s19 :: v_dual_mov_b32 v37, s18
	s_and_b32 s2, exec_lo, s34
	s_delay_alu instid0(SALU_CYCLE_1) | instskip(NEXT) | instid1(SALU_CYCLE_1)
	s_or_b32 s33, s2, s33
	s_and_not1_b32 exec_lo, exec_lo, s33
	s_cbranch_execz .LBB739_171
.LBB739_169:                            ; =>This Inner Loop Header: Depth=1
	s_or_b32 s34, s34, exec_lo
	s_cmp_eq_u64 s[6:7], s[18:19]
	s_cbranch_scc0 .LBB739_167
; %bb.170:                              ;   in Loop: Header=BB739_169 Depth=1
	s_mov_b64 s[18:19], s[22:23]
                                        ; implicit-def: $vgpr33_vgpr34
                                        ; implicit-def: $vgpr35_vgpr36
	s_branch .LBB739_168
.LBB739_171:
	s_set_inst_prefetch_distance 0x2
	s_or_b32 exec_lo, exec_lo, s33
	v_cmp_gt_i64_e32 vcc_lo, s[22:23], v[37:38]
	s_or_not1_b32 s2, vcc_lo, exec_lo
.LBB739_172:
	s_or_b32 exec_lo, exec_lo, s29
.LBB739_173:
	s_delay_alu instid0(SALU_CYCLE_1)
	s_and_b32 s29, s2, exec_lo
.LBB739_174:
	s_or_b32 exec_lo, exec_lo, s31
	v_or_b32_e32 v33, 2, v55
	s_mov_b32 s31, exec_lo
	s_delay_alu instid0(VALU_DEP_1)
	v_cmpx_gt_u32_e64 s28, v33
	s_cbranch_execz .LBB739_185
; %bb.175:
	v_cmp_ne_u32_e32 vcc_lo, 1, v41
	s_mov_b32 s2, 0
	s_cbranch_vccnz .LBB739_184
; %bb.176:
	v_mul_lo_u32 v37, v32, s22
	v_mul_lo_u32 v38, v31, s23
	v_mad_u64_u32 v[33:34], null, v31, s22, 0
	v_mul_lo_u32 v39, v26, s22
	v_mul_lo_u32 v40, v25, s23
	s_waitcnt lgkmcnt(0)
	v_mad_u64_u32 v[35:36], null, v25, s22, 0
	s_mov_b32 s2, -1
	s_mov_b32 s30, exec_lo
	s_delay_alu instid0(VALU_DEP_4) | instskip(NEXT) | instid1(VALU_DEP_2)
	v_add3_u32 v34, v34, v38, v37
	v_add3_u32 v36, v36, v40, v39
	s_delay_alu instid0(VALU_DEP_2) | instskip(NEXT) | instid1(VALU_DEP_2)
	v_lshlrev_b64 v[33:34], 1, v[33:34]
	v_lshlrev_b64 v[37:38], 1, v[35:36]
	s_delay_alu instid0(VALU_DEP_2) | instskip(NEXT) | instid1(VALU_DEP_3)
	v_add_co_u32 v35, vcc_lo, s8, v33
	v_add_co_ci_u32_e32 v36, vcc_lo, s9, v34, vcc_lo
	s_delay_alu instid0(VALU_DEP_3) | instskip(NEXT) | instid1(VALU_DEP_4)
	v_add_co_u32 v33, vcc_lo, s8, v37
	v_add_co_ci_u32_e32 v34, vcc_lo, s9, v38, vcc_lo
	s_clause 0x1
	global_load_u16 v37, v[35:36], off
	global_load_u16 v38, v[33:34], off
	s_waitcnt vmcnt(0)
	v_cmpx_eq_u16_e64 v37, v38
	s_cbranch_execz .LBB739_183
; %bb.177:
	v_add_co_u32 v33, vcc_lo, v33, 2
	v_add_co_ci_u32_e32 v34, vcc_lo, 0, v34, vcc_lo
	v_add_co_u32 v35, vcc_lo, v35, 2
	v_add_co_ci_u32_e32 v36, vcc_lo, 0, v36, vcc_lo
	s_add_u32 s6, s22, -1
	s_addc_u32 s7, s23, -1
	s_mov_b64 s[18:19], 0
	s_mov_b32 s33, 0
                                        ; implicit-def: $sgpr34
	s_set_inst_prefetch_distance 0x1
	s_branch .LBB739_180
	.p2align	6
.LBB739_178:                            ;   in Loop: Header=BB739_180 Depth=1
	global_load_u16 v37, v[35:36], off
	global_load_u16 v38, v[33:34], off
	v_add_co_u32 v33, vcc_lo, v33, 2
	v_add_co_ci_u32_e32 v34, vcc_lo, 0, v34, vcc_lo
	v_add_co_u32 v35, s2, v35, 2
	s_delay_alu instid0(VALU_DEP_1)
	v_add_co_ci_u32_e64 v36, s2, 0, v36, s2
	s_add_u32 s18, s18, 1
	s_addc_u32 s19, s19, 0
	s_and_not1_b32 s2, s34, exec_lo
	s_waitcnt vmcnt(0)
	v_cmp_ne_u16_e32 vcc_lo, v37, v38
	s_and_b32 s34, vcc_lo, exec_lo
	s_delay_alu instid0(SALU_CYCLE_1)
	s_or_b32 s34, s2, s34
.LBB739_179:                            ;   in Loop: Header=BB739_180 Depth=1
	v_dual_mov_b32 v38, s19 :: v_dual_mov_b32 v37, s18
	s_and_b32 s2, exec_lo, s34
	s_delay_alu instid0(SALU_CYCLE_1) | instskip(NEXT) | instid1(SALU_CYCLE_1)
	s_or_b32 s33, s2, s33
	s_and_not1_b32 exec_lo, exec_lo, s33
	s_cbranch_execz .LBB739_182
.LBB739_180:                            ; =>This Inner Loop Header: Depth=1
	s_or_b32 s34, s34, exec_lo
	s_cmp_eq_u64 s[6:7], s[18:19]
	s_cbranch_scc0 .LBB739_178
; %bb.181:                              ;   in Loop: Header=BB739_180 Depth=1
	s_mov_b64 s[18:19], s[22:23]
                                        ; implicit-def: $vgpr33_vgpr34
                                        ; implicit-def: $vgpr35_vgpr36
	s_branch .LBB739_179
.LBB739_182:
	s_set_inst_prefetch_distance 0x2
	s_or_b32 exec_lo, exec_lo, s33
	v_cmp_gt_i64_e32 vcc_lo, s[22:23], v[37:38]
	s_or_not1_b32 s2, vcc_lo, exec_lo
.LBB739_183:
	s_or_b32 exec_lo, exec_lo, s30
.LBB739_184:
	s_delay_alu instid0(SALU_CYCLE_1)
	s_and_b32 s30, s2, exec_lo
.LBB739_185:
	s_or_b32 exec_lo, exec_lo, s31
	v_or_b32_e32 v33, 1, v55
	s_mov_b32 s2, 0
	s_mov_b32 s31, exec_lo
	s_delay_alu instid0(VALU_DEP_1)
	v_cmpx_gt_u32_e64 s28, v33
	s_cbranch_execz .LBB739_196
; %bb.186:
	v_cmp_ne_u32_e32 vcc_lo, 1, v41
	s_cbranch_vccnz .LBB739_195
; %bb.187:
	v_mul_lo_u32 v37, v30, s22
	v_mul_lo_u32 v38, v29, s23
	v_mad_u64_u32 v[33:34], null, v29, s22, 0
	v_mul_lo_u32 v39, v32, s22
	v_mul_lo_u32 v40, v31, s23
	s_waitcnt lgkmcnt(0)
	v_mad_u64_u32 v[35:36], null, v31, s22, 0
	s_mov_b32 s2, -1
	s_mov_b32 s33, exec_lo
	s_delay_alu instid0(VALU_DEP_4) | instskip(NEXT) | instid1(VALU_DEP_2)
	v_add3_u32 v34, v34, v38, v37
	v_add3_u32 v36, v36, v40, v39
	s_delay_alu instid0(VALU_DEP_2) | instskip(NEXT) | instid1(VALU_DEP_2)
	v_lshlrev_b64 v[33:34], 1, v[33:34]
	v_lshlrev_b64 v[37:38], 1, v[35:36]
	s_delay_alu instid0(VALU_DEP_2) | instskip(NEXT) | instid1(VALU_DEP_3)
	v_add_co_u32 v35, vcc_lo, s8, v33
	v_add_co_ci_u32_e32 v36, vcc_lo, s9, v34, vcc_lo
	s_delay_alu instid0(VALU_DEP_3) | instskip(NEXT) | instid1(VALU_DEP_4)
	v_add_co_u32 v33, vcc_lo, s8, v37
	v_add_co_ci_u32_e32 v34, vcc_lo, s9, v38, vcc_lo
	s_clause 0x1
	global_load_u16 v37, v[35:36], off
	global_load_u16 v38, v[33:34], off
	s_waitcnt vmcnt(0)
	v_cmpx_eq_u16_e64 v37, v38
	s_cbranch_execz .LBB739_194
; %bb.188:
	v_add_co_u32 v33, vcc_lo, v33, 2
	v_add_co_ci_u32_e32 v34, vcc_lo, 0, v34, vcc_lo
	v_add_co_u32 v35, vcc_lo, v35, 2
	v_add_co_ci_u32_e32 v36, vcc_lo, 0, v36, vcc_lo
	s_add_u32 s6, s22, -1
	s_addc_u32 s7, s23, -1
	s_mov_b64 s[18:19], 0
	s_mov_b32 s34, 0
                                        ; implicit-def: $sgpr35
	s_set_inst_prefetch_distance 0x1
	s_branch .LBB739_191
	.p2align	6
.LBB739_189:                            ;   in Loop: Header=BB739_191 Depth=1
	global_load_u16 v37, v[35:36], off
	global_load_u16 v38, v[33:34], off
	v_add_co_u32 v33, vcc_lo, v33, 2
	v_add_co_ci_u32_e32 v34, vcc_lo, 0, v34, vcc_lo
	v_add_co_u32 v35, s2, v35, 2
	s_delay_alu instid0(VALU_DEP_1)
	v_add_co_ci_u32_e64 v36, s2, 0, v36, s2
	s_add_u32 s18, s18, 1
	s_addc_u32 s19, s19, 0
	s_and_not1_b32 s2, s35, exec_lo
	s_waitcnt vmcnt(0)
	v_cmp_ne_u16_e32 vcc_lo, v37, v38
	s_and_b32 s35, vcc_lo, exec_lo
	s_delay_alu instid0(SALU_CYCLE_1)
	s_or_b32 s35, s2, s35
.LBB739_190:                            ;   in Loop: Header=BB739_191 Depth=1
	v_dual_mov_b32 v38, s19 :: v_dual_mov_b32 v37, s18
	s_and_b32 s2, exec_lo, s35
	s_delay_alu instid0(SALU_CYCLE_1) | instskip(NEXT) | instid1(SALU_CYCLE_1)
	s_or_b32 s34, s2, s34
	s_and_not1_b32 exec_lo, exec_lo, s34
	s_cbranch_execz .LBB739_193
.LBB739_191:                            ; =>This Inner Loop Header: Depth=1
	s_or_b32 s35, s35, exec_lo
	s_cmp_eq_u64 s[6:7], s[18:19]
	s_cbranch_scc0 .LBB739_189
; %bb.192:                              ;   in Loop: Header=BB739_191 Depth=1
	s_mov_b64 s[18:19], s[22:23]
                                        ; implicit-def: $vgpr33_vgpr34
                                        ; implicit-def: $vgpr35_vgpr36
	s_branch .LBB739_190
.LBB739_193:
	s_set_inst_prefetch_distance 0x2
	s_or_b32 exec_lo, exec_lo, s34
	v_cmp_gt_i64_e32 vcc_lo, s[22:23], v[37:38]
	s_or_not1_b32 s2, vcc_lo, exec_lo
.LBB739_194:
	s_or_b32 exec_lo, exec_lo, s33
.LBB739_195:
	s_delay_alu instid0(SALU_CYCLE_1)
	s_and_b32 s2, s2, exec_lo
.LBB739_196:
	s_or_b32 exec_lo, exec_lo, s31
	s_waitcnt lgkmcnt(0)
	v_dual_mov_b32 v34, s5 :: v_dual_mov_b32 v33, s4
	s_mov_b32 s4, exec_lo
	s_barrier
	buffer_gl0_inv
	v_cmpx_ne_u32_e32 0, v0
	s_cbranch_execz .LBB739_198
; %bb.197:
	v_add_nc_u32_e32 v33, -8, v55
	ds_load_b64 v[33:34], v33
.LBB739_198:
	s_or_b32 exec_lo, exec_lo, s4
	v_cndmask_b32_e64 v36, 0, 1, s29
	v_cndmask_b32_e64 v38, 0, 1, s25
	;; [unrolled: 1-line block ×7, first 2 shown]
	v_lshlrev_b16 v36, 8, v36
	v_lshlrev_b16 v38, 8, v38
	;; [unrolled: 1-line block ×3, first 2 shown]
	s_mov_b32 s2, 0
	v_lshlrev_b16 v42, 8, v42
	v_or_b32_e32 v35, v35, v36
	v_or_b32_e32 v36, v37, v38
	;; [unrolled: 1-line block ×3, first 2 shown]
	s_mov_b32 s3, exec_lo
	v_and_b32_e32 v39, 0xffff, v42
	v_lshlrev_b32_e32 v40, 16, v35
	v_and_b32_e32 v42, 0xffff, v36
	v_lshlrev_b32_e32 v43, 16, v37
	v_cmpx_gt_u32_e64 s28, v55
	s_cbranch_execz .LBB739_209
; %bb.199:
	v_cmp_ne_u32_e32 vcc_lo, 1, v41
	s_cbranch_vccnz .LBB739_208
; %bb.200:
	s_waitcnt lgkmcnt(0)
	v_mul_lo_u32 v38, v34, s22
	v_mul_lo_u32 v41, v33, s23
	v_mad_u64_u32 v[34:35], null, v33, s22, 0
	v_mul_lo_u32 v33, v30, s22
	v_mul_lo_u32 v44, v29, s23
	v_mad_u64_u32 v[36:37], null, v29, s22, 0
	s_mov_b32 s2, -1
	s_mov_b32 s18, exec_lo
	s_delay_alu instid0(VALU_DEP_4) | instskip(NEXT) | instid1(VALU_DEP_2)
	v_add3_u32 v35, v35, v41, v38
	v_add3_u32 v37, v37, v44, v33
	s_delay_alu instid0(VALU_DEP_2) | instskip(NEXT) | instid1(VALU_DEP_2)
	v_lshlrev_b64 v[33:34], 1, v[34:35]
	v_lshlrev_b64 v[37:38], 1, v[36:37]
	s_delay_alu instid0(VALU_DEP_2) | instskip(NEXT) | instid1(VALU_DEP_3)
	v_add_co_u32 v35, vcc_lo, s8, v33
	v_add_co_ci_u32_e32 v36, vcc_lo, s9, v34, vcc_lo
	s_delay_alu instid0(VALU_DEP_3) | instskip(NEXT) | instid1(VALU_DEP_4)
	v_add_co_u32 v33, vcc_lo, s8, v37
	v_add_co_ci_u32_e32 v34, vcc_lo, s9, v38, vcc_lo
	s_clause 0x1
	global_load_u16 v37, v[35:36], off
	global_load_u16 v38, v[33:34], off
	s_waitcnt vmcnt(0)
	v_cmpx_eq_u16_e64 v37, v38
	s_cbranch_execz .LBB739_207
; %bb.201:
	v_add_co_u32 v33, vcc_lo, v33, 2
	v_add_co_ci_u32_e32 v34, vcc_lo, 0, v34, vcc_lo
	v_add_co_u32 v35, vcc_lo, v35, 2
	v_add_co_ci_u32_e32 v36, vcc_lo, 0, v36, vcc_lo
	s_add_u32 s4, s22, -1
	s_addc_u32 s5, s23, -1
	s_mov_b64 s[6:7], 0
	s_mov_b32 s19, 0
                                        ; implicit-def: $sgpr25
	s_set_inst_prefetch_distance 0x1
	s_branch .LBB739_204
	.p2align	6
.LBB739_202:                            ;   in Loop: Header=BB739_204 Depth=1
	global_load_u16 v37, v[35:36], off
	global_load_u16 v38, v[33:34], off
	v_add_co_u32 v33, vcc_lo, v33, 2
	v_add_co_ci_u32_e32 v34, vcc_lo, 0, v34, vcc_lo
	v_add_co_u32 v35, s2, v35, 2
	s_delay_alu instid0(VALU_DEP_1)
	v_add_co_ci_u32_e64 v36, s2, 0, v36, s2
	s_add_u32 s6, s6, 1
	s_addc_u32 s7, s7, 0
	s_and_not1_b32 s2, s25, exec_lo
	s_waitcnt vmcnt(0)
	v_cmp_ne_u16_e32 vcc_lo, v37, v38
	s_and_b32 s25, vcc_lo, exec_lo
	s_delay_alu instid0(SALU_CYCLE_1)
	s_or_b32 s25, s2, s25
.LBB739_203:                            ;   in Loop: Header=BB739_204 Depth=1
	v_dual_mov_b32 v38, s7 :: v_dual_mov_b32 v37, s6
	s_and_b32 s2, exec_lo, s25
	s_delay_alu instid0(SALU_CYCLE_1) | instskip(NEXT) | instid1(SALU_CYCLE_1)
	s_or_b32 s19, s2, s19
	s_and_not1_b32 exec_lo, exec_lo, s19
	s_cbranch_execz .LBB739_206
.LBB739_204:                            ; =>This Inner Loop Header: Depth=1
	s_or_b32 s25, s25, exec_lo
	s_cmp_eq_u64 s[4:5], s[6:7]
	s_cbranch_scc0 .LBB739_202
; %bb.205:                              ;   in Loop: Header=BB739_204 Depth=1
	s_mov_b64 s[6:7], s[22:23]
                                        ; implicit-def: $vgpr33_vgpr34
                                        ; implicit-def: $vgpr35_vgpr36
	s_branch .LBB739_203
.LBB739_206:
	s_set_inst_prefetch_distance 0x2
	s_or_b32 exec_lo, exec_lo, s19
	v_cmp_gt_i64_e32 vcc_lo, s[22:23], v[37:38]
	s_or_not1_b32 s2, vcc_lo, exec_lo
.LBB739_207:
	s_or_b32 exec_lo, exec_lo, s18
.LBB739_208:
	s_delay_alu instid0(SALU_CYCLE_1)
	s_and_b32 s2, s2, exec_lo
.LBB739_209:
	s_or_b32 exec_lo, exec_lo, s3
	s_waitcnt lgkmcnt(0)
	v_or_b32_e32 v33, v39, v40
	v_or_b32_e32 v34, v42, v43
.LBB739_210:
	s_waitcnt lgkmcnt(0)
	s_mov_b32 s3, -1
	s_cbranch_execnz .LBB739_379
.LBB739_211:
	v_cmp_gt_i64_e64 s18, s[22:23], 0
	s_and_b32 vcc_lo, exec_lo, s20
	ds_store_b64 v55, v[19:20]
	s_cbranch_vccz .LBB739_219
; %bb.212:
	v_mul_lo_u32 v35, v18, s22
	v_mul_lo_u32 v36, v17, s23
	v_mad_u64_u32 v[33:34], null, v17, s22, 0
	s_mov_b32 s19, 0
	s_and_not1_b32 vcc_lo, exec_lo, s18
	s_mov_b32 s25, 0
	s_delay_alu instid0(VALU_DEP_1) | instskip(NEXT) | instid1(VALU_DEP_1)
	v_add3_u32 v34, v34, v36, v35
	v_lshlrev_b64 v[33:34], 1, v[33:34]
	s_cbranch_vccnz .LBB739_222
; %bb.213:
	v_mul_lo_u32 v37, v20, s22
	v_mul_lo_u32 v38, v19, s23
	v_mad_u64_u32 v[35:36], null, v19, s22, 0
	s_mov_b32 s25, -1
	s_mov_b32 s26, exec_lo
	s_delay_alu instid0(VALU_DEP_1) | instskip(SKIP_2) | instid1(VALU_DEP_3)
	v_add3_u32 v36, v36, v38, v37
	v_add_co_u32 v37, vcc_lo, s8, v33
	v_add_co_ci_u32_e32 v38, vcc_lo, s9, v34, vcc_lo
	v_lshlrev_b64 v[35:36], 1, v[35:36]
	s_delay_alu instid0(VALU_DEP_1) | instskip(NEXT) | instid1(VALU_DEP_2)
	v_add_co_u32 v35, vcc_lo, s8, v35
	v_add_co_ci_u32_e32 v36, vcc_lo, s9, v36, vcc_lo
	s_clause 0x1
	global_load_u16 v39, v[37:38], off
	global_load_u16 v40, v[35:36], off
	s_waitcnt vmcnt(0)
	v_cmpx_eq_u16_e64 v39, v40
	s_cbranch_execz .LBB739_221
; %bb.214:
	v_add_co_u32 v35, vcc_lo, v35, 2
	v_add_co_ci_u32_e32 v36, vcc_lo, 0, v36, vcc_lo
	v_add_co_u32 v37, vcc_lo, v37, 2
	v_add_co_ci_u32_e32 v38, vcc_lo, 0, v38, vcc_lo
	s_add_u32 s4, s22, -1
	s_addc_u32 s5, s23, -1
	s_mov_b64 s[6:7], 0
	s_mov_b32 s25, 0
                                        ; implicit-def: $sgpr27
	s_set_inst_prefetch_distance 0x1
	s_branch .LBB739_217
	.p2align	6
.LBB739_215:                            ;   in Loop: Header=BB739_217 Depth=1
	global_load_u16 v39, v[37:38], off
	global_load_u16 v40, v[35:36], off
	v_add_co_u32 v35, vcc_lo, v35, 2
	v_add_co_ci_u32_e32 v36, vcc_lo, 0, v36, vcc_lo
	v_add_co_u32 v37, s2, v37, 2
	s_delay_alu instid0(VALU_DEP_1)
	v_add_co_ci_u32_e64 v38, s2, 0, v38, s2
	s_add_u32 s6, s6, 1
	s_addc_u32 s7, s7, 0
	s_and_not1_b32 s2, s27, exec_lo
	s_waitcnt vmcnt(0)
	v_cmp_ne_u16_e32 vcc_lo, v39, v40
	s_and_b32 s27, vcc_lo, exec_lo
	s_delay_alu instid0(SALU_CYCLE_1)
	s_or_b32 s27, s2, s27
.LBB739_216:                            ;   in Loop: Header=BB739_217 Depth=1
	v_dual_mov_b32 v40, s7 :: v_dual_mov_b32 v39, s6
	s_and_b32 s2, exec_lo, s27
	s_delay_alu instid0(SALU_CYCLE_1) | instskip(NEXT) | instid1(SALU_CYCLE_1)
	s_or_b32 s25, s2, s25
	s_and_not1_b32 exec_lo, exec_lo, s25
	s_cbranch_execz .LBB739_220
.LBB739_217:                            ; =>This Inner Loop Header: Depth=1
	s_or_b32 s27, s27, exec_lo
	s_cmp_eq_u64 s[4:5], s[6:7]
	s_cbranch_scc0 .LBB739_215
; %bb.218:                              ;   in Loop: Header=BB739_217 Depth=1
	s_mov_b64 s[6:7], s[22:23]
                                        ; implicit-def: $vgpr35_vgpr36
                                        ; implicit-def: $vgpr37_vgpr38
	s_branch .LBB739_216
.LBB739_219:
                                        ; implicit-def: $sgpr2
                                        ; implicit-def: $vgpr34
	s_cbranch_execnz .LBB739_288
	s_branch .LBB739_379
.LBB739_220:
	s_set_inst_prefetch_distance 0x2
	s_or_b32 exec_lo, exec_lo, s25
	v_cmp_gt_i64_e32 vcc_lo, s[22:23], v[39:40]
	s_or_not1_b32 s25, vcc_lo, exec_lo
.LBB739_221:
	s_or_b32 exec_lo, exec_lo, s26
.LBB739_222:
	v_mul_lo_u32 v37, v24, s22
	v_mul_lo_u32 v38, v23, s23
	v_mad_u64_u32 v[35:36], null, v23, s22, 0
	s_and_not1_b32 vcc_lo, exec_lo, s18
	s_delay_alu instid0(VALU_DEP_1) | instskip(NEXT) | instid1(VALU_DEP_1)
	v_add3_u32 v36, v36, v38, v37
	v_lshlrev_b64 v[35:36], 1, v[35:36]
	s_cbranch_vccnz .LBB739_231
; %bb.223:
	s_delay_alu instid0(VALU_DEP_1) | instskip(NEXT) | instid1(VALU_DEP_2)
	v_add_co_u32 v37, vcc_lo, s8, v35
	v_add_co_ci_u32_e32 v38, vcc_lo, s9, v36, vcc_lo
	v_add_co_u32 v33, vcc_lo, s8, v33
	v_add_co_ci_u32_e32 v34, vcc_lo, s9, v34, vcc_lo
	s_mov_b32 s19, -1
	s_clause 0x1
	global_load_u16 v39, v[37:38], off
	global_load_u16 v40, v[33:34], off
	s_mov_b32 s26, exec_lo
	s_waitcnt vmcnt(0)
	v_cmpx_eq_u16_e64 v39, v40
	s_cbranch_execz .LBB739_230
; %bb.224:
	v_add_co_u32 v33, vcc_lo, v33, 2
	v_add_co_ci_u32_e32 v34, vcc_lo, 0, v34, vcc_lo
	v_add_co_u32 v37, vcc_lo, v37, 2
	v_add_co_ci_u32_e32 v38, vcc_lo, 0, v38, vcc_lo
	s_add_u32 s4, s22, -1
	s_addc_u32 s5, s23, -1
	s_mov_b64 s[6:7], 0
	s_mov_b32 s19, 0
                                        ; implicit-def: $sgpr27
	s_set_inst_prefetch_distance 0x1
	s_branch .LBB739_227
	.p2align	6
.LBB739_225:                            ;   in Loop: Header=BB739_227 Depth=1
	global_load_u16 v39, v[37:38], off
	global_load_u16 v40, v[33:34], off
	v_add_co_u32 v33, vcc_lo, v33, 2
	v_add_co_ci_u32_e32 v34, vcc_lo, 0, v34, vcc_lo
	v_add_co_u32 v37, s2, v37, 2
	s_delay_alu instid0(VALU_DEP_1)
	v_add_co_ci_u32_e64 v38, s2, 0, v38, s2
	s_add_u32 s6, s6, 1
	s_addc_u32 s7, s7, 0
	s_and_not1_b32 s2, s27, exec_lo
	s_waitcnt vmcnt(0)
	v_cmp_ne_u16_e32 vcc_lo, v39, v40
	s_and_b32 s27, vcc_lo, exec_lo
	s_delay_alu instid0(SALU_CYCLE_1)
	s_or_b32 s27, s2, s27
.LBB739_226:                            ;   in Loop: Header=BB739_227 Depth=1
	v_dual_mov_b32 v40, s7 :: v_dual_mov_b32 v39, s6
	s_and_b32 s2, exec_lo, s27
	s_delay_alu instid0(SALU_CYCLE_1) | instskip(NEXT) | instid1(SALU_CYCLE_1)
	s_or_b32 s19, s2, s19
	s_and_not1_b32 exec_lo, exec_lo, s19
	s_cbranch_execz .LBB739_229
.LBB739_227:                            ; =>This Inner Loop Header: Depth=1
	s_or_b32 s27, s27, exec_lo
	s_cmp_eq_u64 s[4:5], s[6:7]
	s_cbranch_scc0 .LBB739_225
; %bb.228:                              ;   in Loop: Header=BB739_227 Depth=1
	s_mov_b64 s[6:7], s[22:23]
                                        ; implicit-def: $vgpr33_vgpr34
                                        ; implicit-def: $vgpr37_vgpr38
	s_branch .LBB739_226
.LBB739_229:
	s_set_inst_prefetch_distance 0x2
	s_or_b32 exec_lo, exec_lo, s19
	v_cmp_gt_i64_e32 vcc_lo, s[22:23], v[39:40]
	s_or_not1_b32 s19, vcc_lo, exec_lo
.LBB739_230:
	s_or_b32 exec_lo, exec_lo, s26
.LBB739_231:
	v_mul_lo_u32 v37, v22, s22
	v_mul_lo_u32 v38, v21, s23
	v_mad_u64_u32 v[33:34], null, v21, s22, 0
	s_mov_b32 s26, 0
	s_and_not1_b32 vcc_lo, exec_lo, s18
	s_mov_b32 s27, 0
	s_delay_alu instid0(VALU_DEP_1) | instskip(NEXT) | instid1(VALU_DEP_1)
	v_add3_u32 v34, v34, v38, v37
	v_lshlrev_b64 v[37:38], 1, v[33:34]
	s_cbranch_vccnz .LBB739_240
; %bb.232:
	s_delay_alu instid0(VALU_DEP_1) | instskip(NEXT) | instid1(VALU_DEP_2)
	v_add_co_u32 v39, vcc_lo, s8, v37
	v_add_co_ci_u32_e32 v40, vcc_lo, s9, v38, vcc_lo
	v_add_co_u32 v33, vcc_lo, s8, v35
	v_add_co_ci_u32_e32 v34, vcc_lo, s9, v36, vcc_lo
	s_mov_b32 s27, -1
	s_clause 0x1
	global_load_u16 v35, v[39:40], off
	global_load_u16 v36, v[33:34], off
	s_mov_b32 s29, exec_lo
	s_waitcnt vmcnt(0)
	v_cmpx_eq_u16_e64 v35, v36
	s_cbranch_execz .LBB739_239
; %bb.233:
	v_add_co_u32 v33, vcc_lo, v33, 2
	v_add_co_ci_u32_e32 v34, vcc_lo, 0, v34, vcc_lo
	v_add_co_u32 v35, vcc_lo, v39, 2
	v_add_co_ci_u32_e32 v36, vcc_lo, 0, v40, vcc_lo
	s_add_u32 s4, s22, -1
	s_addc_u32 s5, s23, -1
	s_mov_b64 s[6:7], 0
	s_mov_b32 s27, 0
                                        ; implicit-def: $sgpr30
	s_set_inst_prefetch_distance 0x1
	s_branch .LBB739_236
	.p2align	6
.LBB739_234:                            ;   in Loop: Header=BB739_236 Depth=1
	global_load_u16 v39, v[35:36], off
	global_load_u16 v40, v[33:34], off
	v_add_co_u32 v33, vcc_lo, v33, 2
	v_add_co_ci_u32_e32 v34, vcc_lo, 0, v34, vcc_lo
	v_add_co_u32 v35, s2, v35, 2
	s_delay_alu instid0(VALU_DEP_1)
	v_add_co_ci_u32_e64 v36, s2, 0, v36, s2
	s_add_u32 s6, s6, 1
	s_addc_u32 s7, s7, 0
	s_and_not1_b32 s2, s30, exec_lo
	s_waitcnt vmcnt(0)
	v_cmp_ne_u16_e32 vcc_lo, v39, v40
	s_and_b32 s30, vcc_lo, exec_lo
	s_delay_alu instid0(SALU_CYCLE_1)
	s_or_b32 s30, s2, s30
.LBB739_235:                            ;   in Loop: Header=BB739_236 Depth=1
	v_dual_mov_b32 v40, s7 :: v_dual_mov_b32 v39, s6
	s_and_b32 s2, exec_lo, s30
	s_delay_alu instid0(SALU_CYCLE_1) | instskip(NEXT) | instid1(SALU_CYCLE_1)
	s_or_b32 s27, s2, s27
	s_and_not1_b32 exec_lo, exec_lo, s27
	s_cbranch_execz .LBB739_238
.LBB739_236:                            ; =>This Inner Loop Header: Depth=1
	s_or_b32 s30, s30, exec_lo
	s_cmp_eq_u64 s[4:5], s[6:7]
	s_cbranch_scc0 .LBB739_234
; %bb.237:                              ;   in Loop: Header=BB739_236 Depth=1
	s_mov_b64 s[6:7], s[22:23]
                                        ; implicit-def: $vgpr33_vgpr34
                                        ; implicit-def: $vgpr35_vgpr36
	s_branch .LBB739_235
.LBB739_238:
	s_set_inst_prefetch_distance 0x2
	s_or_b32 exec_lo, exec_lo, s27
	v_cmp_gt_i64_e32 vcc_lo, s[22:23], v[39:40]
	s_or_not1_b32 s27, vcc_lo, exec_lo
.LBB739_239:
	s_or_b32 exec_lo, exec_lo, s29
.LBB739_240:
	v_mul_lo_u32 v35, v28, s22
	v_mul_lo_u32 v36, v27, s23
	v_mad_u64_u32 v[33:34], null, v27, s22, 0
	s_and_not1_b32 vcc_lo, exec_lo, s18
	s_delay_alu instid0(VALU_DEP_1) | instskip(NEXT) | instid1(VALU_DEP_1)
	v_add3_u32 v34, v34, v36, v35
	v_lshlrev_b64 v[33:34], 1, v[33:34]
	s_cbranch_vccnz .LBB739_249
; %bb.241:
	s_delay_alu instid0(VALU_DEP_1) | instskip(NEXT) | instid1(VALU_DEP_2)
	v_add_co_u32 v39, vcc_lo, s8, v33
	v_add_co_ci_u32_e32 v40, vcc_lo, s9, v34, vcc_lo
	v_add_co_u32 v35, vcc_lo, s8, v37
	v_add_co_ci_u32_e32 v36, vcc_lo, s9, v38, vcc_lo
	s_mov_b32 s26, -1
	s_clause 0x1
	global_load_u16 v37, v[39:40], off
	global_load_u16 v38, v[35:36], off
	s_mov_b32 s29, exec_lo
	s_waitcnt vmcnt(0)
	v_cmpx_eq_u16_e64 v37, v38
	s_cbranch_execz .LBB739_248
; %bb.242:
	v_add_co_u32 v35, vcc_lo, v35, 2
	v_add_co_ci_u32_e32 v36, vcc_lo, 0, v36, vcc_lo
	v_add_co_u32 v37, vcc_lo, v39, 2
	v_add_co_ci_u32_e32 v38, vcc_lo, 0, v40, vcc_lo
	s_add_u32 s4, s22, -1
	s_addc_u32 s5, s23, -1
	s_mov_b64 s[6:7], 0
	s_mov_b32 s26, 0
                                        ; implicit-def: $sgpr30
	s_set_inst_prefetch_distance 0x1
	s_branch .LBB739_245
	.p2align	6
.LBB739_243:                            ;   in Loop: Header=BB739_245 Depth=1
	global_load_u16 v39, v[37:38], off
	global_load_u16 v40, v[35:36], off
	v_add_co_u32 v35, vcc_lo, v35, 2
	v_add_co_ci_u32_e32 v36, vcc_lo, 0, v36, vcc_lo
	v_add_co_u32 v37, s2, v37, 2
	s_delay_alu instid0(VALU_DEP_1)
	v_add_co_ci_u32_e64 v38, s2, 0, v38, s2
	s_add_u32 s6, s6, 1
	s_addc_u32 s7, s7, 0
	s_and_not1_b32 s2, s30, exec_lo
	s_waitcnt vmcnt(0)
	v_cmp_ne_u16_e32 vcc_lo, v39, v40
	s_and_b32 s30, vcc_lo, exec_lo
	s_delay_alu instid0(SALU_CYCLE_1)
	s_or_b32 s30, s2, s30
.LBB739_244:                            ;   in Loop: Header=BB739_245 Depth=1
	v_dual_mov_b32 v40, s7 :: v_dual_mov_b32 v39, s6
	s_and_b32 s2, exec_lo, s30
	s_delay_alu instid0(SALU_CYCLE_1) | instskip(NEXT) | instid1(SALU_CYCLE_1)
	s_or_b32 s26, s2, s26
	s_and_not1_b32 exec_lo, exec_lo, s26
	s_cbranch_execz .LBB739_247
.LBB739_245:                            ; =>This Inner Loop Header: Depth=1
	s_or_b32 s30, s30, exec_lo
	s_cmp_eq_u64 s[4:5], s[6:7]
	s_cbranch_scc0 .LBB739_243
; %bb.246:                              ;   in Loop: Header=BB739_245 Depth=1
	s_mov_b64 s[6:7], s[22:23]
                                        ; implicit-def: $vgpr35_vgpr36
                                        ; implicit-def: $vgpr37_vgpr38
	s_branch .LBB739_244
.LBB739_247:
	s_set_inst_prefetch_distance 0x2
	s_or_b32 exec_lo, exec_lo, s26
	v_cmp_gt_i64_e32 vcc_lo, s[22:23], v[39:40]
	s_or_not1_b32 s26, vcc_lo, exec_lo
.LBB739_248:
	s_or_b32 exec_lo, exec_lo, s29
.LBB739_249:
	v_mul_lo_u32 v37, v26, s22
	v_mul_lo_u32 v38, v25, s23
	v_mad_u64_u32 v[35:36], null, v25, s22, 0
	s_mov_b32 s29, 0
	s_and_not1_b32 vcc_lo, exec_lo, s18
	s_mov_b32 s30, 0
	s_delay_alu instid0(VALU_DEP_1) | instskip(NEXT) | instid1(VALU_DEP_1)
	v_add3_u32 v36, v36, v38, v37
	v_lshlrev_b64 v[35:36], 1, v[35:36]
	s_cbranch_vccnz .LBB739_258
; %bb.250:
	s_delay_alu instid0(VALU_DEP_1) | instskip(NEXT) | instid1(VALU_DEP_2)
	v_add_co_u32 v37, vcc_lo, s8, v35
	v_add_co_ci_u32_e32 v38, vcc_lo, s9, v36, vcc_lo
	v_add_co_u32 v33, vcc_lo, s8, v33
	v_add_co_ci_u32_e32 v34, vcc_lo, s9, v34, vcc_lo
	s_mov_b32 s30, -1
	s_clause 0x1
	global_load_u16 v39, v[37:38], off
	global_load_u16 v40, v[33:34], off
	s_mov_b32 s31, exec_lo
	s_waitcnt vmcnt(0)
	v_cmpx_eq_u16_e64 v39, v40
	s_cbranch_execz .LBB739_257
; %bb.251:
	v_add_co_u32 v33, vcc_lo, v33, 2
	v_add_co_ci_u32_e32 v34, vcc_lo, 0, v34, vcc_lo
	v_add_co_u32 v37, vcc_lo, v37, 2
	v_add_co_ci_u32_e32 v38, vcc_lo, 0, v38, vcc_lo
	s_add_u32 s4, s22, -1
	s_addc_u32 s5, s23, -1
	s_mov_b64 s[6:7], 0
	s_mov_b32 s30, 0
                                        ; implicit-def: $sgpr33
	s_set_inst_prefetch_distance 0x1
	s_branch .LBB739_254
	.p2align	6
.LBB739_252:                            ;   in Loop: Header=BB739_254 Depth=1
	global_load_u16 v39, v[37:38], off
	global_load_u16 v40, v[33:34], off
	v_add_co_u32 v33, vcc_lo, v33, 2
	v_add_co_ci_u32_e32 v34, vcc_lo, 0, v34, vcc_lo
	v_add_co_u32 v37, s2, v37, 2
	s_delay_alu instid0(VALU_DEP_1)
	v_add_co_ci_u32_e64 v38, s2, 0, v38, s2
	s_add_u32 s6, s6, 1
	s_addc_u32 s7, s7, 0
	s_and_not1_b32 s2, s33, exec_lo
	s_waitcnt vmcnt(0)
	v_cmp_ne_u16_e32 vcc_lo, v39, v40
	s_and_b32 s33, vcc_lo, exec_lo
	s_delay_alu instid0(SALU_CYCLE_1)
	s_or_b32 s33, s2, s33
.LBB739_253:                            ;   in Loop: Header=BB739_254 Depth=1
	v_dual_mov_b32 v40, s7 :: v_dual_mov_b32 v39, s6
	s_and_b32 s2, exec_lo, s33
	s_delay_alu instid0(SALU_CYCLE_1) | instskip(NEXT) | instid1(SALU_CYCLE_1)
	s_or_b32 s30, s2, s30
	s_and_not1_b32 exec_lo, exec_lo, s30
	s_cbranch_execz .LBB739_256
.LBB739_254:                            ; =>This Inner Loop Header: Depth=1
	s_or_b32 s33, s33, exec_lo
	s_cmp_eq_u64 s[4:5], s[6:7]
	s_cbranch_scc0 .LBB739_252
; %bb.255:                              ;   in Loop: Header=BB739_254 Depth=1
	s_mov_b64 s[6:7], s[22:23]
                                        ; implicit-def: $vgpr33_vgpr34
                                        ; implicit-def: $vgpr37_vgpr38
	s_branch .LBB739_253
.LBB739_256:
	s_set_inst_prefetch_distance 0x2
	s_or_b32 exec_lo, exec_lo, s30
	v_cmp_gt_i64_e32 vcc_lo, s[22:23], v[39:40]
	s_or_not1_b32 s30, vcc_lo, exec_lo
.LBB739_257:
	s_or_b32 exec_lo, exec_lo, s31
.LBB739_258:
	v_mul_lo_u32 v37, v32, s22
	v_mul_lo_u32 v38, v31, s23
	v_mad_u64_u32 v[33:34], null, v31, s22, 0
	s_and_not1_b32 vcc_lo, exec_lo, s18
	s_delay_alu instid0(VALU_DEP_1) | instskip(NEXT) | instid1(VALU_DEP_1)
	v_add3_u32 v34, v34, v38, v37
	v_lshlrev_b64 v[33:34], 1, v[33:34]
	s_cbranch_vccnz .LBB739_267
; %bb.259:
	s_delay_alu instid0(VALU_DEP_1) | instskip(NEXT) | instid1(VALU_DEP_2)
	v_add_co_u32 v37, vcc_lo, s8, v33
	v_add_co_ci_u32_e32 v38, vcc_lo, s9, v34, vcc_lo
	v_add_co_u32 v35, vcc_lo, s8, v35
	v_add_co_ci_u32_e32 v36, vcc_lo, s9, v36, vcc_lo
	s_mov_b32 s29, -1
	s_clause 0x1
	global_load_u16 v39, v[37:38], off
	global_load_u16 v40, v[35:36], off
	s_mov_b32 s31, exec_lo
	s_waitcnt vmcnt(0)
	v_cmpx_eq_u16_e64 v39, v40
	s_cbranch_execz .LBB739_266
; %bb.260:
	v_add_co_u32 v35, vcc_lo, v35, 2
	v_add_co_ci_u32_e32 v36, vcc_lo, 0, v36, vcc_lo
	v_add_co_u32 v37, vcc_lo, v37, 2
	v_add_co_ci_u32_e32 v38, vcc_lo, 0, v38, vcc_lo
	s_add_u32 s4, s22, -1
	s_addc_u32 s5, s23, -1
	s_mov_b64 s[6:7], 0
	s_mov_b32 s29, 0
                                        ; implicit-def: $sgpr33
	s_set_inst_prefetch_distance 0x1
	s_branch .LBB739_263
	.p2align	6
.LBB739_261:                            ;   in Loop: Header=BB739_263 Depth=1
	global_load_u16 v39, v[37:38], off
	global_load_u16 v40, v[35:36], off
	v_add_co_u32 v35, vcc_lo, v35, 2
	v_add_co_ci_u32_e32 v36, vcc_lo, 0, v36, vcc_lo
	v_add_co_u32 v37, s2, v37, 2
	s_delay_alu instid0(VALU_DEP_1)
	v_add_co_ci_u32_e64 v38, s2, 0, v38, s2
	s_add_u32 s6, s6, 1
	s_addc_u32 s7, s7, 0
	s_and_not1_b32 s2, s33, exec_lo
	s_waitcnt vmcnt(0)
	v_cmp_ne_u16_e32 vcc_lo, v39, v40
	s_and_b32 s33, vcc_lo, exec_lo
	s_delay_alu instid0(SALU_CYCLE_1)
	s_or_b32 s33, s2, s33
.LBB739_262:                            ;   in Loop: Header=BB739_263 Depth=1
	v_dual_mov_b32 v40, s7 :: v_dual_mov_b32 v39, s6
	s_and_b32 s2, exec_lo, s33
	s_delay_alu instid0(SALU_CYCLE_1) | instskip(NEXT) | instid1(SALU_CYCLE_1)
	s_or_b32 s29, s2, s29
	s_and_not1_b32 exec_lo, exec_lo, s29
	s_cbranch_execz .LBB739_265
.LBB739_263:                            ; =>This Inner Loop Header: Depth=1
	s_or_b32 s33, s33, exec_lo
	s_cmp_eq_u64 s[4:5], s[6:7]
	s_cbranch_scc0 .LBB739_261
; %bb.264:                              ;   in Loop: Header=BB739_263 Depth=1
	s_mov_b64 s[6:7], s[22:23]
                                        ; implicit-def: $vgpr35_vgpr36
                                        ; implicit-def: $vgpr37_vgpr38
	s_branch .LBB739_262
.LBB739_265:
	s_set_inst_prefetch_distance 0x2
	s_or_b32 exec_lo, exec_lo, s29
	v_cmp_gt_i64_e32 vcc_lo, s[22:23], v[39:40]
	s_or_not1_b32 s29, vcc_lo, exec_lo
.LBB739_266:
	s_or_b32 exec_lo, exec_lo, s31
.LBB739_267:
	v_mul_lo_u32 v37, v30, s22
	v_mul_lo_u32 v38, v29, s23
	v_mad_u64_u32 v[35:36], null, v29, s22, 0
	s_and_not1_b32 vcc_lo, exec_lo, s18
	s_mov_b32 s2, 0
	s_delay_alu instid0(VALU_DEP_1)
	v_add3_u32 v36, v36, v38, v37
	s_cbranch_vccnz .LBB739_276
; %bb.268:
	s_delay_alu instid0(VALU_DEP_1) | instskip(SKIP_2) | instid1(VALU_DEP_1)
	v_lshlrev_b64 v[37:38], 1, v[35:36]
	s_mov_b32 s2, -1
	s_mov_b32 s31, exec_lo
	v_add_co_u32 v37, vcc_lo, s8, v37
	s_delay_alu instid0(VALU_DEP_2)
	v_add_co_ci_u32_e32 v38, vcc_lo, s9, v38, vcc_lo
	v_add_co_u32 v33, vcc_lo, s8, v33
	v_add_co_ci_u32_e32 v34, vcc_lo, s9, v34, vcc_lo
	s_clause 0x1
	global_load_u16 v39, v[37:38], off
	global_load_u16 v40, v[33:34], off
	s_waitcnt vmcnt(0)
	v_cmpx_eq_u16_e64 v39, v40
	s_cbranch_execz .LBB739_275
; %bb.269:
	v_add_co_u32 v33, vcc_lo, v33, 2
	v_add_co_ci_u32_e32 v34, vcc_lo, 0, v34, vcc_lo
	v_add_co_u32 v37, vcc_lo, v37, 2
	v_add_co_ci_u32_e32 v38, vcc_lo, 0, v38, vcc_lo
	s_add_u32 s4, s22, -1
	s_addc_u32 s5, s23, -1
	s_mov_b64 s[6:7], 0
	s_mov_b32 s33, 0
                                        ; implicit-def: $sgpr34
	s_set_inst_prefetch_distance 0x1
	s_branch .LBB739_272
	.p2align	6
.LBB739_270:                            ;   in Loop: Header=BB739_272 Depth=1
	global_load_u16 v39, v[37:38], off
	global_load_u16 v40, v[33:34], off
	v_add_co_u32 v33, vcc_lo, v33, 2
	v_add_co_ci_u32_e32 v34, vcc_lo, 0, v34, vcc_lo
	v_add_co_u32 v37, s2, v37, 2
	s_delay_alu instid0(VALU_DEP_1)
	v_add_co_ci_u32_e64 v38, s2, 0, v38, s2
	s_add_u32 s6, s6, 1
	s_addc_u32 s7, s7, 0
	s_and_not1_b32 s2, s34, exec_lo
	s_waitcnt vmcnt(0)
	v_cmp_ne_u16_e32 vcc_lo, v39, v40
	s_and_b32 s34, vcc_lo, exec_lo
	s_delay_alu instid0(SALU_CYCLE_1)
	s_or_b32 s34, s2, s34
.LBB739_271:                            ;   in Loop: Header=BB739_272 Depth=1
	v_dual_mov_b32 v40, s7 :: v_dual_mov_b32 v39, s6
	s_and_b32 s2, exec_lo, s34
	s_delay_alu instid0(SALU_CYCLE_1) | instskip(NEXT) | instid1(SALU_CYCLE_1)
	s_or_b32 s33, s2, s33
	s_and_not1_b32 exec_lo, exec_lo, s33
	s_cbranch_execz .LBB739_274
.LBB739_272:                            ; =>This Inner Loop Header: Depth=1
	s_or_b32 s34, s34, exec_lo
	s_cmp_eq_u64 s[4:5], s[6:7]
	s_cbranch_scc0 .LBB739_270
; %bb.273:                              ;   in Loop: Header=BB739_272 Depth=1
	s_mov_b64 s[6:7], s[22:23]
                                        ; implicit-def: $vgpr33_vgpr34
                                        ; implicit-def: $vgpr37_vgpr38
	s_branch .LBB739_271
.LBB739_274:
	s_set_inst_prefetch_distance 0x2
	s_or_b32 exec_lo, exec_lo, s33
	v_cmp_gt_i64_e32 vcc_lo, s[22:23], v[39:40]
	s_or_not1_b32 s2, vcc_lo, exec_lo
.LBB739_275:
	s_or_b32 exec_lo, exec_lo, s31
.LBB739_276:
	v_cndmask_b32_e64 v34, 0, 1, s30
	v_cndmask_b32_e64 v37, 0, 1, s27
	;; [unrolled: 1-line block ×7, first 2 shown]
	v_lshlrev_b16 v37, 8, v37
	v_lshlrev_b16 v38, 8, v38
	;; [unrolled: 1-line block ×4, first 2 shown]
	s_waitcnt lgkmcnt(0)
	v_or_b32_e32 v37, v40, v37
	v_or_b32_e32 v38, v41, v38
	;; [unrolled: 1-line block ×4, first 2 shown]
	s_barrier
	v_and_b32_e32 v34, 0xffff, v37
	v_lshlrev_b32_e32 v37, 16, v38
	v_and_b32_e32 v38, 0xffff, v39
	v_lshlrev_b32_e32 v33, 16, v33
	buffer_gl0_inv
                                        ; implicit-def: $sgpr2
	s_mov_b32 s4, exec_lo
	v_or_b32_e32 v34, v34, v37
	v_or_b32_e32 v33, v38, v33
	v_cmpx_ne_u32_e32 0, v0
	s_xor_b32 s19, exec_lo, s4
	s_cbranch_execz .LBB739_287
; %bb.277:
	s_and_not1_b32 vcc_lo, exec_lo, s18
	s_mov_b32 s2, 0
	s_cbranch_vccnz .LBB739_286
; %bb.278:
	v_add_nc_u32_e32 v37, -8, v55
	v_lshlrev_b64 v[35:36], 1, v[35:36]
	s_mov_b32 s2, -1
	s_mov_b32 s25, exec_lo
	ds_load_b64 v[37:38], v37
	s_waitcnt lgkmcnt(0)
	v_mul_lo_u32 v40, v38, s22
	v_mul_lo_u32 v41, v37, s23
	v_mad_u64_u32 v[38:39], null, v37, s22, 0
	s_delay_alu instid0(VALU_DEP_1) | instskip(NEXT) | instid1(VALU_DEP_1)
	v_add3_u32 v39, v39, v41, v40
	v_lshlrev_b64 v[37:38], 1, v[38:39]
	s_delay_alu instid0(VALU_DEP_1) | instskip(NEXT) | instid1(VALU_DEP_2)
	v_add_co_u32 v37, vcc_lo, s8, v37
	v_add_co_ci_u32_e32 v38, vcc_lo, s9, v38, vcc_lo
	v_add_co_u32 v35, vcc_lo, s8, v35
	v_add_co_ci_u32_e32 v36, vcc_lo, s9, v36, vcc_lo
	s_clause 0x1
	global_load_u16 v39, v[37:38], off
	global_load_u16 v40, v[35:36], off
	s_waitcnt vmcnt(0)
	v_cmpx_eq_u16_e64 v39, v40
	s_cbranch_execz .LBB739_285
; %bb.279:
	v_add_co_u32 v35, vcc_lo, v35, 2
	v_add_co_ci_u32_e32 v36, vcc_lo, 0, v36, vcc_lo
	v_add_co_u32 v37, vcc_lo, v37, 2
	v_add_co_ci_u32_e32 v38, vcc_lo, 0, v38, vcc_lo
	s_add_u32 s4, s22, -1
	s_addc_u32 s5, s23, -1
	s_mov_b64 s[6:7], 0
	s_mov_b32 s26, 0
                                        ; implicit-def: $sgpr27
	s_set_inst_prefetch_distance 0x1
	s_branch .LBB739_282
	.p2align	6
.LBB739_280:                            ;   in Loop: Header=BB739_282 Depth=1
	global_load_u16 v39, v[37:38], off
	global_load_u16 v40, v[35:36], off
	v_add_co_u32 v35, vcc_lo, v35, 2
	v_add_co_ci_u32_e32 v36, vcc_lo, 0, v36, vcc_lo
	v_add_co_u32 v37, s2, v37, 2
	s_delay_alu instid0(VALU_DEP_1)
	v_add_co_ci_u32_e64 v38, s2, 0, v38, s2
	s_add_u32 s6, s6, 1
	s_addc_u32 s7, s7, 0
	s_and_not1_b32 s2, s27, exec_lo
	s_waitcnt vmcnt(0)
	v_cmp_ne_u16_e32 vcc_lo, v39, v40
	s_and_b32 s27, vcc_lo, exec_lo
	s_delay_alu instid0(SALU_CYCLE_1)
	s_or_b32 s27, s2, s27
.LBB739_281:                            ;   in Loop: Header=BB739_282 Depth=1
	v_dual_mov_b32 v40, s7 :: v_dual_mov_b32 v39, s6
	s_and_b32 s2, exec_lo, s27
	s_delay_alu instid0(SALU_CYCLE_1) | instskip(NEXT) | instid1(SALU_CYCLE_1)
	s_or_b32 s26, s2, s26
	s_and_not1_b32 exec_lo, exec_lo, s26
	s_cbranch_execz .LBB739_284
.LBB739_282:                            ; =>This Inner Loop Header: Depth=1
	s_or_b32 s27, s27, exec_lo
	s_cmp_eq_u64 s[4:5], s[6:7]
	s_cbranch_scc0 .LBB739_280
; %bb.283:                              ;   in Loop: Header=BB739_282 Depth=1
	s_mov_b64 s[6:7], s[22:23]
                                        ; implicit-def: $vgpr35_vgpr36
                                        ; implicit-def: $vgpr37_vgpr38
	s_branch .LBB739_281
.LBB739_284:
	s_set_inst_prefetch_distance 0x2
	s_or_b32 exec_lo, exec_lo, s26
	v_cmp_gt_i64_e32 vcc_lo, s[22:23], v[39:40]
	s_or_not1_b32 s2, vcc_lo, exec_lo
.LBB739_285:
	s_or_b32 exec_lo, exec_lo, s25
.LBB739_286:
	s_delay_alu instid0(SALU_CYCLE_1)
	s_and_b32 s2, s2, exec_lo
	s_or_b32 s3, s3, exec_lo
.LBB739_287:
	s_or_b32 exec_lo, exec_lo, s19
	s_branch .LBB739_379
.LBB739_288:
	v_or_b32_e32 v33, 7, v55
	s_mov_b32 s19, 0
	s_mov_b32 s25, 0
	s_mov_b32 s26, exec_lo
	s_delay_alu instid0(VALU_DEP_1)
	v_cmpx_gt_u32_e64 s28, v33
	s_cbranch_execz .LBB739_299
; %bb.289:
	s_and_not1_b32 vcc_lo, exec_lo, s18
	s_mov_b32 s2, 0
	s_cbranch_vccnz .LBB739_298
; %bb.290:
	v_mul_lo_u32 v37, v18, s22
	v_mul_lo_u32 v38, v17, s23
	v_mad_u64_u32 v[33:34], null, v17, s22, 0
	v_mul_lo_u32 v39, v20, s22
	v_mul_lo_u32 v40, v19, s23
	v_mad_u64_u32 v[35:36], null, v19, s22, 0
	s_mov_b32 s2, -1
	s_mov_b32 s25, exec_lo
	s_delay_alu instid0(VALU_DEP_4) | instskip(NEXT) | instid1(VALU_DEP_2)
	v_add3_u32 v34, v34, v38, v37
	v_add3_u32 v36, v36, v40, v39
	s_delay_alu instid0(VALU_DEP_2) | instskip(NEXT) | instid1(VALU_DEP_2)
	v_lshlrev_b64 v[33:34], 1, v[33:34]
	v_lshlrev_b64 v[37:38], 1, v[35:36]
	s_delay_alu instid0(VALU_DEP_2) | instskip(NEXT) | instid1(VALU_DEP_3)
	v_add_co_u32 v35, vcc_lo, s8, v33
	v_add_co_ci_u32_e32 v36, vcc_lo, s9, v34, vcc_lo
	s_delay_alu instid0(VALU_DEP_3) | instskip(NEXT) | instid1(VALU_DEP_4)
	v_add_co_u32 v33, vcc_lo, s8, v37
	v_add_co_ci_u32_e32 v34, vcc_lo, s9, v38, vcc_lo
	s_clause 0x1
	global_load_u16 v37, v[35:36], off
	global_load_u16 v38, v[33:34], off
	s_waitcnt vmcnt(0)
	v_cmpx_eq_u16_e64 v37, v38
	s_cbranch_execz .LBB739_297
; %bb.291:
	v_add_co_u32 v33, vcc_lo, v33, 2
	v_add_co_ci_u32_e32 v34, vcc_lo, 0, v34, vcc_lo
	v_add_co_u32 v35, vcc_lo, v35, 2
	v_add_co_ci_u32_e32 v36, vcc_lo, 0, v36, vcc_lo
	s_add_u32 s4, s22, -1
	s_addc_u32 s5, s23, -1
	s_mov_b64 s[6:7], 0
	s_mov_b32 s27, 0
                                        ; implicit-def: $sgpr29
	s_set_inst_prefetch_distance 0x1
	s_branch .LBB739_294
	.p2align	6
.LBB739_292:                            ;   in Loop: Header=BB739_294 Depth=1
	global_load_u16 v37, v[35:36], off
	global_load_u16 v38, v[33:34], off
	v_add_co_u32 v33, vcc_lo, v33, 2
	v_add_co_ci_u32_e32 v34, vcc_lo, 0, v34, vcc_lo
	v_add_co_u32 v35, s2, v35, 2
	s_delay_alu instid0(VALU_DEP_1)
	v_add_co_ci_u32_e64 v36, s2, 0, v36, s2
	s_add_u32 s6, s6, 1
	s_addc_u32 s7, s7, 0
	s_and_not1_b32 s2, s29, exec_lo
	s_waitcnt vmcnt(0)
	v_cmp_ne_u16_e32 vcc_lo, v37, v38
	s_and_b32 s29, vcc_lo, exec_lo
	s_delay_alu instid0(SALU_CYCLE_1)
	s_or_b32 s29, s2, s29
.LBB739_293:                            ;   in Loop: Header=BB739_294 Depth=1
	v_dual_mov_b32 v38, s7 :: v_dual_mov_b32 v37, s6
	s_and_b32 s2, exec_lo, s29
	s_delay_alu instid0(SALU_CYCLE_1) | instskip(NEXT) | instid1(SALU_CYCLE_1)
	s_or_b32 s27, s2, s27
	s_and_not1_b32 exec_lo, exec_lo, s27
	s_cbranch_execz .LBB739_296
.LBB739_294:                            ; =>This Inner Loop Header: Depth=1
	s_or_b32 s29, s29, exec_lo
	s_cmp_eq_u64 s[4:5], s[6:7]
	s_cbranch_scc0 .LBB739_292
; %bb.295:                              ;   in Loop: Header=BB739_294 Depth=1
	s_mov_b64 s[6:7], s[22:23]
                                        ; implicit-def: $vgpr33_vgpr34
                                        ; implicit-def: $vgpr35_vgpr36
	s_branch .LBB739_293
.LBB739_296:
	s_set_inst_prefetch_distance 0x2
	s_or_b32 exec_lo, exec_lo, s27
	v_cmp_gt_i64_e32 vcc_lo, s[22:23], v[37:38]
	s_or_not1_b32 s2, vcc_lo, exec_lo
.LBB739_297:
	s_or_b32 exec_lo, exec_lo, s25
.LBB739_298:
	s_delay_alu instid0(SALU_CYCLE_1)
	s_and_b32 s25, s2, exec_lo
.LBB739_299:
	s_or_b32 exec_lo, exec_lo, s26
	v_or_b32_e32 v33, 6, v55
	s_mov_b32 s26, exec_lo
	s_delay_alu instid0(VALU_DEP_1)
	v_cmpx_gt_u32_e64 s28, v33
	s_cbranch_execz .LBB739_310
; %bb.300:
	s_and_not1_b32 vcc_lo, exec_lo, s18
	s_mov_b32 s2, 0
	s_cbranch_vccnz .LBB739_309
; %bb.301:
	v_mul_lo_u32 v37, v24, s22
	v_mul_lo_u32 v38, v23, s23
	v_mad_u64_u32 v[33:34], null, v23, s22, 0
	v_mul_lo_u32 v39, v18, s22
	v_mul_lo_u32 v40, v17, s23
	v_mad_u64_u32 v[35:36], null, v17, s22, 0
	s_mov_b32 s2, -1
	s_mov_b32 s19, exec_lo
	s_delay_alu instid0(VALU_DEP_4) | instskip(NEXT) | instid1(VALU_DEP_2)
	v_add3_u32 v34, v34, v38, v37
	v_add3_u32 v36, v36, v40, v39
	s_delay_alu instid0(VALU_DEP_2) | instskip(NEXT) | instid1(VALU_DEP_2)
	v_lshlrev_b64 v[33:34], 1, v[33:34]
	v_lshlrev_b64 v[37:38], 1, v[35:36]
	s_delay_alu instid0(VALU_DEP_2) | instskip(NEXT) | instid1(VALU_DEP_3)
	v_add_co_u32 v35, vcc_lo, s8, v33
	v_add_co_ci_u32_e32 v36, vcc_lo, s9, v34, vcc_lo
	s_delay_alu instid0(VALU_DEP_3) | instskip(NEXT) | instid1(VALU_DEP_4)
	v_add_co_u32 v33, vcc_lo, s8, v37
	v_add_co_ci_u32_e32 v34, vcc_lo, s9, v38, vcc_lo
	s_clause 0x1
	global_load_u16 v37, v[35:36], off
	global_load_u16 v38, v[33:34], off
	s_waitcnt vmcnt(0)
	v_cmpx_eq_u16_e64 v37, v38
	s_cbranch_execz .LBB739_308
; %bb.302:
	v_add_co_u32 v33, vcc_lo, v33, 2
	v_add_co_ci_u32_e32 v34, vcc_lo, 0, v34, vcc_lo
	v_add_co_u32 v35, vcc_lo, v35, 2
	v_add_co_ci_u32_e32 v36, vcc_lo, 0, v36, vcc_lo
	s_add_u32 s4, s22, -1
	s_addc_u32 s5, s23, -1
	s_mov_b64 s[6:7], 0
	s_mov_b32 s27, 0
                                        ; implicit-def: $sgpr29
	s_set_inst_prefetch_distance 0x1
	s_branch .LBB739_305
	.p2align	6
.LBB739_303:                            ;   in Loop: Header=BB739_305 Depth=1
	global_load_u16 v37, v[35:36], off
	global_load_u16 v38, v[33:34], off
	v_add_co_u32 v33, vcc_lo, v33, 2
	v_add_co_ci_u32_e32 v34, vcc_lo, 0, v34, vcc_lo
	v_add_co_u32 v35, s2, v35, 2
	s_delay_alu instid0(VALU_DEP_1)
	v_add_co_ci_u32_e64 v36, s2, 0, v36, s2
	s_add_u32 s6, s6, 1
	s_addc_u32 s7, s7, 0
	s_and_not1_b32 s2, s29, exec_lo
	s_waitcnt vmcnt(0)
	v_cmp_ne_u16_e32 vcc_lo, v37, v38
	s_and_b32 s29, vcc_lo, exec_lo
	s_delay_alu instid0(SALU_CYCLE_1)
	s_or_b32 s29, s2, s29
.LBB739_304:                            ;   in Loop: Header=BB739_305 Depth=1
	v_dual_mov_b32 v38, s7 :: v_dual_mov_b32 v37, s6
	s_and_b32 s2, exec_lo, s29
	s_delay_alu instid0(SALU_CYCLE_1) | instskip(NEXT) | instid1(SALU_CYCLE_1)
	s_or_b32 s27, s2, s27
	s_and_not1_b32 exec_lo, exec_lo, s27
	s_cbranch_execz .LBB739_307
.LBB739_305:                            ; =>This Inner Loop Header: Depth=1
	s_or_b32 s29, s29, exec_lo
	s_cmp_eq_u64 s[4:5], s[6:7]
	s_cbranch_scc0 .LBB739_303
; %bb.306:                              ;   in Loop: Header=BB739_305 Depth=1
	s_mov_b64 s[6:7], s[22:23]
                                        ; implicit-def: $vgpr33_vgpr34
                                        ; implicit-def: $vgpr35_vgpr36
	s_branch .LBB739_304
.LBB739_307:
	s_set_inst_prefetch_distance 0x2
	s_or_b32 exec_lo, exec_lo, s27
	v_cmp_gt_i64_e32 vcc_lo, s[22:23], v[37:38]
	s_or_not1_b32 s2, vcc_lo, exec_lo
.LBB739_308:
	s_or_b32 exec_lo, exec_lo, s19
.LBB739_309:
	s_delay_alu instid0(SALU_CYCLE_1)
	s_and_b32 s19, s2, exec_lo
.LBB739_310:
	s_or_b32 exec_lo, exec_lo, s26
	v_or_b32_e32 v33, 5, v55
	s_mov_b32 s26, 0
	s_mov_b32 s27, 0
	s_mov_b32 s29, exec_lo
	s_delay_alu instid0(VALU_DEP_1)
	v_cmpx_gt_u32_e64 s28, v33
	s_cbranch_execz .LBB739_321
; %bb.311:
	s_and_not1_b32 vcc_lo, exec_lo, s18
	s_mov_b32 s2, 0
	s_cbranch_vccnz .LBB739_320
; %bb.312:
	v_mul_lo_u32 v37, v22, s22
	v_mul_lo_u32 v38, v21, s23
	v_mad_u64_u32 v[33:34], null, v21, s22, 0
	v_mul_lo_u32 v39, v24, s22
	v_mul_lo_u32 v40, v23, s23
	v_mad_u64_u32 v[35:36], null, v23, s22, 0
	s_mov_b32 s2, -1
	s_mov_b32 s27, exec_lo
	s_delay_alu instid0(VALU_DEP_4) | instskip(NEXT) | instid1(VALU_DEP_2)
	v_add3_u32 v34, v34, v38, v37
	v_add3_u32 v36, v36, v40, v39
	s_delay_alu instid0(VALU_DEP_2) | instskip(NEXT) | instid1(VALU_DEP_2)
	v_lshlrev_b64 v[33:34], 1, v[33:34]
	v_lshlrev_b64 v[37:38], 1, v[35:36]
	s_delay_alu instid0(VALU_DEP_2) | instskip(NEXT) | instid1(VALU_DEP_3)
	v_add_co_u32 v35, vcc_lo, s8, v33
	v_add_co_ci_u32_e32 v36, vcc_lo, s9, v34, vcc_lo
	s_delay_alu instid0(VALU_DEP_3) | instskip(NEXT) | instid1(VALU_DEP_4)
	v_add_co_u32 v33, vcc_lo, s8, v37
	v_add_co_ci_u32_e32 v34, vcc_lo, s9, v38, vcc_lo
	s_clause 0x1
	global_load_u16 v37, v[35:36], off
	global_load_u16 v38, v[33:34], off
	s_waitcnt vmcnt(0)
	v_cmpx_eq_u16_e64 v37, v38
	s_cbranch_execz .LBB739_319
; %bb.313:
	v_add_co_u32 v33, vcc_lo, v33, 2
	v_add_co_ci_u32_e32 v34, vcc_lo, 0, v34, vcc_lo
	v_add_co_u32 v35, vcc_lo, v35, 2
	v_add_co_ci_u32_e32 v36, vcc_lo, 0, v36, vcc_lo
	s_add_u32 s4, s22, -1
	s_addc_u32 s5, s23, -1
	s_mov_b64 s[6:7], 0
	s_mov_b32 s30, 0
                                        ; implicit-def: $sgpr31
	s_set_inst_prefetch_distance 0x1
	s_branch .LBB739_316
	.p2align	6
.LBB739_314:                            ;   in Loop: Header=BB739_316 Depth=1
	global_load_u16 v37, v[35:36], off
	global_load_u16 v38, v[33:34], off
	v_add_co_u32 v33, vcc_lo, v33, 2
	v_add_co_ci_u32_e32 v34, vcc_lo, 0, v34, vcc_lo
	v_add_co_u32 v35, s2, v35, 2
	s_delay_alu instid0(VALU_DEP_1)
	v_add_co_ci_u32_e64 v36, s2, 0, v36, s2
	s_add_u32 s6, s6, 1
	s_addc_u32 s7, s7, 0
	s_and_not1_b32 s2, s31, exec_lo
	s_waitcnt vmcnt(0)
	v_cmp_ne_u16_e32 vcc_lo, v37, v38
	s_and_b32 s31, vcc_lo, exec_lo
	s_delay_alu instid0(SALU_CYCLE_1)
	s_or_b32 s31, s2, s31
.LBB739_315:                            ;   in Loop: Header=BB739_316 Depth=1
	v_dual_mov_b32 v38, s7 :: v_dual_mov_b32 v37, s6
	s_and_b32 s2, exec_lo, s31
	s_delay_alu instid0(SALU_CYCLE_1) | instskip(NEXT) | instid1(SALU_CYCLE_1)
	s_or_b32 s30, s2, s30
	s_and_not1_b32 exec_lo, exec_lo, s30
	s_cbranch_execz .LBB739_318
.LBB739_316:                            ; =>This Inner Loop Header: Depth=1
	s_or_b32 s31, s31, exec_lo
	s_cmp_eq_u64 s[4:5], s[6:7]
	s_cbranch_scc0 .LBB739_314
; %bb.317:                              ;   in Loop: Header=BB739_316 Depth=1
	s_mov_b64 s[6:7], s[22:23]
                                        ; implicit-def: $vgpr33_vgpr34
                                        ; implicit-def: $vgpr35_vgpr36
	s_branch .LBB739_315
.LBB739_318:
	s_set_inst_prefetch_distance 0x2
	s_or_b32 exec_lo, exec_lo, s30
	v_cmp_gt_i64_e32 vcc_lo, s[22:23], v[37:38]
	s_or_not1_b32 s2, vcc_lo, exec_lo
.LBB739_319:
	s_or_b32 exec_lo, exec_lo, s27
.LBB739_320:
	s_delay_alu instid0(SALU_CYCLE_1)
	s_and_b32 s27, s2, exec_lo
.LBB739_321:
	s_or_b32 exec_lo, exec_lo, s29
	v_or_b32_e32 v33, 4, v55
	s_mov_b32 s29, exec_lo
	s_delay_alu instid0(VALU_DEP_1)
	v_cmpx_gt_u32_e64 s28, v33
	s_cbranch_execz .LBB739_332
; %bb.322:
	s_and_not1_b32 vcc_lo, exec_lo, s18
	s_mov_b32 s2, 0
	s_cbranch_vccnz .LBB739_331
; %bb.323:
	v_mul_lo_u32 v37, v28, s22
	v_mul_lo_u32 v38, v27, s23
	v_mad_u64_u32 v[33:34], null, v27, s22, 0
	v_mul_lo_u32 v39, v22, s22
	v_mul_lo_u32 v40, v21, s23
	v_mad_u64_u32 v[35:36], null, v21, s22, 0
	s_mov_b32 s2, -1
	s_mov_b32 s26, exec_lo
	s_delay_alu instid0(VALU_DEP_4) | instskip(NEXT) | instid1(VALU_DEP_2)
	v_add3_u32 v34, v34, v38, v37
	v_add3_u32 v36, v36, v40, v39
	s_delay_alu instid0(VALU_DEP_2) | instskip(NEXT) | instid1(VALU_DEP_2)
	v_lshlrev_b64 v[33:34], 1, v[33:34]
	v_lshlrev_b64 v[37:38], 1, v[35:36]
	s_delay_alu instid0(VALU_DEP_2) | instskip(NEXT) | instid1(VALU_DEP_3)
	v_add_co_u32 v35, vcc_lo, s8, v33
	v_add_co_ci_u32_e32 v36, vcc_lo, s9, v34, vcc_lo
	s_delay_alu instid0(VALU_DEP_3) | instskip(NEXT) | instid1(VALU_DEP_4)
	v_add_co_u32 v33, vcc_lo, s8, v37
	v_add_co_ci_u32_e32 v34, vcc_lo, s9, v38, vcc_lo
	s_clause 0x1
	global_load_u16 v37, v[35:36], off
	global_load_u16 v38, v[33:34], off
	s_waitcnt vmcnt(0)
	v_cmpx_eq_u16_e64 v37, v38
	s_cbranch_execz .LBB739_330
; %bb.324:
	v_add_co_u32 v33, vcc_lo, v33, 2
	v_add_co_ci_u32_e32 v34, vcc_lo, 0, v34, vcc_lo
	v_add_co_u32 v35, vcc_lo, v35, 2
	v_add_co_ci_u32_e32 v36, vcc_lo, 0, v36, vcc_lo
	s_add_u32 s4, s22, -1
	s_addc_u32 s5, s23, -1
	s_mov_b64 s[6:7], 0
	s_mov_b32 s30, 0
                                        ; implicit-def: $sgpr31
	s_set_inst_prefetch_distance 0x1
	s_branch .LBB739_327
	.p2align	6
.LBB739_325:                            ;   in Loop: Header=BB739_327 Depth=1
	global_load_u16 v37, v[35:36], off
	global_load_u16 v38, v[33:34], off
	v_add_co_u32 v33, vcc_lo, v33, 2
	v_add_co_ci_u32_e32 v34, vcc_lo, 0, v34, vcc_lo
	v_add_co_u32 v35, s2, v35, 2
	s_delay_alu instid0(VALU_DEP_1)
	v_add_co_ci_u32_e64 v36, s2, 0, v36, s2
	s_add_u32 s6, s6, 1
	s_addc_u32 s7, s7, 0
	s_and_not1_b32 s2, s31, exec_lo
	s_waitcnt vmcnt(0)
	v_cmp_ne_u16_e32 vcc_lo, v37, v38
	s_and_b32 s31, vcc_lo, exec_lo
	s_delay_alu instid0(SALU_CYCLE_1)
	s_or_b32 s31, s2, s31
.LBB739_326:                            ;   in Loop: Header=BB739_327 Depth=1
	v_dual_mov_b32 v38, s7 :: v_dual_mov_b32 v37, s6
	s_and_b32 s2, exec_lo, s31
	s_delay_alu instid0(SALU_CYCLE_1) | instskip(NEXT) | instid1(SALU_CYCLE_1)
	s_or_b32 s30, s2, s30
	s_and_not1_b32 exec_lo, exec_lo, s30
	s_cbranch_execz .LBB739_329
.LBB739_327:                            ; =>This Inner Loop Header: Depth=1
	s_or_b32 s31, s31, exec_lo
	s_cmp_eq_u64 s[4:5], s[6:7]
	s_cbranch_scc0 .LBB739_325
; %bb.328:                              ;   in Loop: Header=BB739_327 Depth=1
	s_mov_b64 s[6:7], s[22:23]
                                        ; implicit-def: $vgpr33_vgpr34
                                        ; implicit-def: $vgpr35_vgpr36
	s_branch .LBB739_326
.LBB739_329:
	s_set_inst_prefetch_distance 0x2
	s_or_b32 exec_lo, exec_lo, s30
	v_cmp_gt_i64_e32 vcc_lo, s[22:23], v[37:38]
	s_or_not1_b32 s2, vcc_lo, exec_lo
.LBB739_330:
	s_or_b32 exec_lo, exec_lo, s26
.LBB739_331:
	s_delay_alu instid0(SALU_CYCLE_1)
	s_and_b32 s26, s2, exec_lo
.LBB739_332:
	s_or_b32 exec_lo, exec_lo, s29
	v_or_b32_e32 v33, 3, v55
	s_mov_b32 s30, 0
	s_mov_b32 s29, 0
	s_mov_b32 s31, exec_lo
	s_delay_alu instid0(VALU_DEP_1)
	v_cmpx_gt_u32_e64 s28, v33
	s_cbranch_execz .LBB739_343
; %bb.333:
	s_and_not1_b32 vcc_lo, exec_lo, s18
	s_mov_b32 s2, 0
	s_cbranch_vccnz .LBB739_342
; %bb.334:
	v_mul_lo_u32 v37, v26, s22
	v_mul_lo_u32 v38, v25, s23
	v_mad_u64_u32 v[33:34], null, v25, s22, 0
	v_mul_lo_u32 v39, v28, s22
	v_mul_lo_u32 v40, v27, s23
	v_mad_u64_u32 v[35:36], null, v27, s22, 0
	s_mov_b32 s2, -1
	s_mov_b32 s29, exec_lo
	s_delay_alu instid0(VALU_DEP_4) | instskip(NEXT) | instid1(VALU_DEP_2)
	v_add3_u32 v34, v34, v38, v37
	v_add3_u32 v36, v36, v40, v39
	s_delay_alu instid0(VALU_DEP_2) | instskip(NEXT) | instid1(VALU_DEP_2)
	v_lshlrev_b64 v[33:34], 1, v[33:34]
	v_lshlrev_b64 v[37:38], 1, v[35:36]
	s_delay_alu instid0(VALU_DEP_2) | instskip(NEXT) | instid1(VALU_DEP_3)
	v_add_co_u32 v35, vcc_lo, s8, v33
	v_add_co_ci_u32_e32 v36, vcc_lo, s9, v34, vcc_lo
	s_delay_alu instid0(VALU_DEP_3) | instskip(NEXT) | instid1(VALU_DEP_4)
	v_add_co_u32 v33, vcc_lo, s8, v37
	v_add_co_ci_u32_e32 v34, vcc_lo, s9, v38, vcc_lo
	s_clause 0x1
	global_load_u16 v37, v[35:36], off
	global_load_u16 v38, v[33:34], off
	s_waitcnt vmcnt(0)
	v_cmpx_eq_u16_e64 v37, v38
	s_cbranch_execz .LBB739_341
; %bb.335:
	v_add_co_u32 v33, vcc_lo, v33, 2
	v_add_co_ci_u32_e32 v34, vcc_lo, 0, v34, vcc_lo
	v_add_co_u32 v35, vcc_lo, v35, 2
	v_add_co_ci_u32_e32 v36, vcc_lo, 0, v36, vcc_lo
	s_add_u32 s4, s22, -1
	s_addc_u32 s5, s23, -1
	s_mov_b64 s[6:7], 0
	s_mov_b32 s33, 0
                                        ; implicit-def: $sgpr34
	s_set_inst_prefetch_distance 0x1
	s_branch .LBB739_338
	.p2align	6
.LBB739_336:                            ;   in Loop: Header=BB739_338 Depth=1
	global_load_u16 v37, v[35:36], off
	global_load_u16 v38, v[33:34], off
	v_add_co_u32 v33, vcc_lo, v33, 2
	v_add_co_ci_u32_e32 v34, vcc_lo, 0, v34, vcc_lo
	v_add_co_u32 v35, s2, v35, 2
	s_delay_alu instid0(VALU_DEP_1)
	v_add_co_ci_u32_e64 v36, s2, 0, v36, s2
	s_add_u32 s6, s6, 1
	s_addc_u32 s7, s7, 0
	s_and_not1_b32 s2, s34, exec_lo
	s_waitcnt vmcnt(0)
	v_cmp_ne_u16_e32 vcc_lo, v37, v38
	s_and_b32 s34, vcc_lo, exec_lo
	s_delay_alu instid0(SALU_CYCLE_1)
	s_or_b32 s34, s2, s34
.LBB739_337:                            ;   in Loop: Header=BB739_338 Depth=1
	v_dual_mov_b32 v38, s7 :: v_dual_mov_b32 v37, s6
	s_and_b32 s2, exec_lo, s34
	s_delay_alu instid0(SALU_CYCLE_1) | instskip(NEXT) | instid1(SALU_CYCLE_1)
	s_or_b32 s33, s2, s33
	s_and_not1_b32 exec_lo, exec_lo, s33
	s_cbranch_execz .LBB739_340
.LBB739_338:                            ; =>This Inner Loop Header: Depth=1
	s_or_b32 s34, s34, exec_lo
	s_cmp_eq_u64 s[4:5], s[6:7]
	s_cbranch_scc0 .LBB739_336
; %bb.339:                              ;   in Loop: Header=BB739_338 Depth=1
	s_mov_b64 s[6:7], s[22:23]
                                        ; implicit-def: $vgpr33_vgpr34
                                        ; implicit-def: $vgpr35_vgpr36
	s_branch .LBB739_337
.LBB739_340:
	s_set_inst_prefetch_distance 0x2
	s_or_b32 exec_lo, exec_lo, s33
	v_cmp_gt_i64_e32 vcc_lo, s[22:23], v[37:38]
	s_or_not1_b32 s2, vcc_lo, exec_lo
.LBB739_341:
	s_or_b32 exec_lo, exec_lo, s29
.LBB739_342:
	s_delay_alu instid0(SALU_CYCLE_1)
	s_and_b32 s29, s2, exec_lo
.LBB739_343:
	s_or_b32 exec_lo, exec_lo, s31
	v_or_b32_e32 v33, 2, v55
	s_mov_b32 s31, exec_lo
	s_delay_alu instid0(VALU_DEP_1)
	v_cmpx_gt_u32_e64 s28, v33
	s_cbranch_execz .LBB739_354
; %bb.344:
	s_and_not1_b32 vcc_lo, exec_lo, s18
	s_mov_b32 s2, 0
	s_cbranch_vccnz .LBB739_353
; %bb.345:
	v_mul_lo_u32 v37, v32, s22
	v_mul_lo_u32 v38, v31, s23
	v_mad_u64_u32 v[33:34], null, v31, s22, 0
	v_mul_lo_u32 v39, v26, s22
	v_mul_lo_u32 v40, v25, s23
	v_mad_u64_u32 v[35:36], null, v25, s22, 0
	s_mov_b32 s2, -1
	s_mov_b32 s30, exec_lo
	s_delay_alu instid0(VALU_DEP_4) | instskip(NEXT) | instid1(VALU_DEP_2)
	v_add3_u32 v34, v34, v38, v37
	v_add3_u32 v36, v36, v40, v39
	s_delay_alu instid0(VALU_DEP_2) | instskip(NEXT) | instid1(VALU_DEP_2)
	v_lshlrev_b64 v[33:34], 1, v[33:34]
	v_lshlrev_b64 v[37:38], 1, v[35:36]
	s_delay_alu instid0(VALU_DEP_2) | instskip(NEXT) | instid1(VALU_DEP_3)
	v_add_co_u32 v35, vcc_lo, s8, v33
	v_add_co_ci_u32_e32 v36, vcc_lo, s9, v34, vcc_lo
	s_delay_alu instid0(VALU_DEP_3) | instskip(NEXT) | instid1(VALU_DEP_4)
	v_add_co_u32 v33, vcc_lo, s8, v37
	v_add_co_ci_u32_e32 v34, vcc_lo, s9, v38, vcc_lo
	s_clause 0x1
	global_load_u16 v37, v[35:36], off
	global_load_u16 v38, v[33:34], off
	s_waitcnt vmcnt(0)
	v_cmpx_eq_u16_e64 v37, v38
	s_cbranch_execz .LBB739_352
; %bb.346:
	v_add_co_u32 v33, vcc_lo, v33, 2
	v_add_co_ci_u32_e32 v34, vcc_lo, 0, v34, vcc_lo
	v_add_co_u32 v35, vcc_lo, v35, 2
	v_add_co_ci_u32_e32 v36, vcc_lo, 0, v36, vcc_lo
	s_add_u32 s4, s22, -1
	s_addc_u32 s5, s23, -1
	s_mov_b64 s[6:7], 0
	s_mov_b32 s33, 0
                                        ; implicit-def: $sgpr34
	s_set_inst_prefetch_distance 0x1
	s_branch .LBB739_349
	.p2align	6
.LBB739_347:                            ;   in Loop: Header=BB739_349 Depth=1
	global_load_u16 v37, v[35:36], off
	global_load_u16 v38, v[33:34], off
	v_add_co_u32 v33, vcc_lo, v33, 2
	v_add_co_ci_u32_e32 v34, vcc_lo, 0, v34, vcc_lo
	v_add_co_u32 v35, s2, v35, 2
	s_delay_alu instid0(VALU_DEP_1)
	v_add_co_ci_u32_e64 v36, s2, 0, v36, s2
	s_add_u32 s6, s6, 1
	s_addc_u32 s7, s7, 0
	s_and_not1_b32 s2, s34, exec_lo
	s_waitcnt vmcnt(0)
	v_cmp_ne_u16_e32 vcc_lo, v37, v38
	s_and_b32 s34, vcc_lo, exec_lo
	s_delay_alu instid0(SALU_CYCLE_1)
	s_or_b32 s34, s2, s34
.LBB739_348:                            ;   in Loop: Header=BB739_349 Depth=1
	v_dual_mov_b32 v38, s7 :: v_dual_mov_b32 v37, s6
	s_and_b32 s2, exec_lo, s34
	s_delay_alu instid0(SALU_CYCLE_1) | instskip(NEXT) | instid1(SALU_CYCLE_1)
	s_or_b32 s33, s2, s33
	s_and_not1_b32 exec_lo, exec_lo, s33
	s_cbranch_execz .LBB739_351
.LBB739_349:                            ; =>This Inner Loop Header: Depth=1
	s_or_b32 s34, s34, exec_lo
	s_cmp_eq_u64 s[4:5], s[6:7]
	s_cbranch_scc0 .LBB739_347
; %bb.350:                              ;   in Loop: Header=BB739_349 Depth=1
	s_mov_b64 s[6:7], s[22:23]
                                        ; implicit-def: $vgpr33_vgpr34
                                        ; implicit-def: $vgpr35_vgpr36
	s_branch .LBB739_348
.LBB739_351:
	s_set_inst_prefetch_distance 0x2
	s_or_b32 exec_lo, exec_lo, s33
	v_cmp_gt_i64_e32 vcc_lo, s[22:23], v[37:38]
	s_or_not1_b32 s2, vcc_lo, exec_lo
.LBB739_352:
	s_or_b32 exec_lo, exec_lo, s30
.LBB739_353:
	s_delay_alu instid0(SALU_CYCLE_1)
	s_and_b32 s30, s2, exec_lo
.LBB739_354:
	s_or_b32 exec_lo, exec_lo, s31
	v_or_b32_e32 v33, 1, v55
	s_mov_b32 s2, 0
	s_mov_b32 s31, exec_lo
	s_delay_alu instid0(VALU_DEP_1)
	v_cmpx_gt_u32_e64 s28, v33
	s_cbranch_execz .LBB739_365
; %bb.355:
	s_and_not1_b32 vcc_lo, exec_lo, s18
	s_cbranch_vccnz .LBB739_364
; %bb.356:
	v_mul_lo_u32 v37, v30, s22
	v_mul_lo_u32 v38, v29, s23
	v_mad_u64_u32 v[33:34], null, v29, s22, 0
	v_mul_lo_u32 v39, v32, s22
	v_mul_lo_u32 v40, v31, s23
	v_mad_u64_u32 v[35:36], null, v31, s22, 0
	s_mov_b32 s2, -1
	s_mov_b32 s33, exec_lo
	s_delay_alu instid0(VALU_DEP_4) | instskip(NEXT) | instid1(VALU_DEP_2)
	v_add3_u32 v34, v34, v38, v37
	v_add3_u32 v36, v36, v40, v39
	s_delay_alu instid0(VALU_DEP_2) | instskip(NEXT) | instid1(VALU_DEP_2)
	v_lshlrev_b64 v[33:34], 1, v[33:34]
	v_lshlrev_b64 v[37:38], 1, v[35:36]
	s_delay_alu instid0(VALU_DEP_2) | instskip(NEXT) | instid1(VALU_DEP_3)
	v_add_co_u32 v35, vcc_lo, s8, v33
	v_add_co_ci_u32_e32 v36, vcc_lo, s9, v34, vcc_lo
	s_delay_alu instid0(VALU_DEP_3) | instskip(NEXT) | instid1(VALU_DEP_4)
	v_add_co_u32 v33, vcc_lo, s8, v37
	v_add_co_ci_u32_e32 v34, vcc_lo, s9, v38, vcc_lo
	s_clause 0x1
	global_load_u16 v37, v[35:36], off
	global_load_u16 v38, v[33:34], off
	s_waitcnt vmcnt(0)
	v_cmpx_eq_u16_e64 v37, v38
	s_cbranch_execz .LBB739_363
; %bb.357:
	v_add_co_u32 v33, vcc_lo, v33, 2
	v_add_co_ci_u32_e32 v34, vcc_lo, 0, v34, vcc_lo
	v_add_co_u32 v35, vcc_lo, v35, 2
	v_add_co_ci_u32_e32 v36, vcc_lo, 0, v36, vcc_lo
	s_add_u32 s4, s22, -1
	s_addc_u32 s5, s23, -1
	s_mov_b64 s[6:7], 0
	s_mov_b32 s34, 0
                                        ; implicit-def: $sgpr35
	s_set_inst_prefetch_distance 0x1
	s_branch .LBB739_360
	.p2align	6
.LBB739_358:                            ;   in Loop: Header=BB739_360 Depth=1
	global_load_u16 v37, v[35:36], off
	global_load_u16 v38, v[33:34], off
	v_add_co_u32 v33, vcc_lo, v33, 2
	v_add_co_ci_u32_e32 v34, vcc_lo, 0, v34, vcc_lo
	v_add_co_u32 v35, s2, v35, 2
	s_delay_alu instid0(VALU_DEP_1)
	v_add_co_ci_u32_e64 v36, s2, 0, v36, s2
	s_add_u32 s6, s6, 1
	s_addc_u32 s7, s7, 0
	s_and_not1_b32 s2, s35, exec_lo
	s_waitcnt vmcnt(0)
	v_cmp_ne_u16_e32 vcc_lo, v37, v38
	s_and_b32 s35, vcc_lo, exec_lo
	s_delay_alu instid0(SALU_CYCLE_1)
	s_or_b32 s35, s2, s35
.LBB739_359:                            ;   in Loop: Header=BB739_360 Depth=1
	v_dual_mov_b32 v38, s7 :: v_dual_mov_b32 v37, s6
	s_and_b32 s2, exec_lo, s35
	s_delay_alu instid0(SALU_CYCLE_1) | instskip(NEXT) | instid1(SALU_CYCLE_1)
	s_or_b32 s34, s2, s34
	s_and_not1_b32 exec_lo, exec_lo, s34
	s_cbranch_execz .LBB739_362
.LBB739_360:                            ; =>This Inner Loop Header: Depth=1
	s_or_b32 s35, s35, exec_lo
	s_cmp_eq_u64 s[4:5], s[6:7]
	s_cbranch_scc0 .LBB739_358
; %bb.361:                              ;   in Loop: Header=BB739_360 Depth=1
	s_mov_b64 s[6:7], s[22:23]
                                        ; implicit-def: $vgpr33_vgpr34
                                        ; implicit-def: $vgpr35_vgpr36
	s_branch .LBB739_359
.LBB739_362:
	s_set_inst_prefetch_distance 0x2
	s_or_b32 exec_lo, exec_lo, s34
	v_cmp_gt_i64_e32 vcc_lo, s[22:23], v[37:38]
	s_or_not1_b32 s2, vcc_lo, exec_lo
.LBB739_363:
	s_or_b32 exec_lo, exec_lo, s33
.LBB739_364:
	s_delay_alu instid0(SALU_CYCLE_1)
	s_and_b32 s2, s2, exec_lo
.LBB739_365:
	s_or_b32 exec_lo, exec_lo, s31
	v_cndmask_b32_e64 v34, 0, 1, s29
	v_cndmask_b32_e64 v35, 0, 1, s27
	;; [unrolled: 1-line block ×7, first 2 shown]
	v_lshlrev_b16 v35, 8, v35
	v_lshlrev_b16 v36, 8, v36
	;; [unrolled: 1-line block ×4, first 2 shown]
	s_mov_b32 s19, exec_lo
	v_or_b32_e32 v35, v38, v35
	v_or_b32_e32 v36, v39, v36
	;; [unrolled: 1-line block ×4, first 2 shown]
	s_waitcnt lgkmcnt(0)
	v_and_b32_e32 v34, 0xffff, v35
	v_lshlrev_b32_e32 v35, 16, v36
	v_and_b32_e32 v36, 0xffff, v37
	v_lshlrev_b32_e32 v33, 16, v33
	s_barrier
	buffer_gl0_inv
	v_or_b32_e32 v34, v34, v35
                                        ; implicit-def: $sgpr2
	v_or_b32_e32 v33, v36, v33
	v_cmpx_ne_u32_e32 0, v0
	s_cbranch_execz .LBB739_378
; %bb.366:
	s_mov_b32 s2, 0
	s_mov_b32 s25, exec_lo
	v_cmpx_gt_u32_e64 s28, v55
	s_cbranch_execz .LBB739_377
; %bb.367:
	s_and_not1_b32 vcc_lo, exec_lo, s18
	s_cbranch_vccnz .LBB739_376
; %bb.368:
	v_add_nc_u32_e32 v35, -8, v55
	v_mul_lo_u32 v42, v29, s23
	v_mad_u64_u32 v[38:39], null, v29, s22, 0
	s_mov_b32 s2, -1
	ds_load_b64 v[35:36], v35
	s_waitcnt lgkmcnt(0)
	v_mul_lo_u32 v40, v36, s22
	v_mul_lo_u32 v41, v35, s23
	v_mad_u64_u32 v[36:37], null, v35, s22, 0
	v_mul_lo_u32 v35, v30, s22
	s_delay_alu instid0(VALU_DEP_2) | instskip(NEXT) | instid1(VALU_DEP_2)
	v_add3_u32 v37, v37, v41, v40
	v_add3_u32 v39, v39, v42, v35
	s_delay_alu instid0(VALU_DEP_2) | instskip(NEXT) | instid1(VALU_DEP_2)
	v_lshlrev_b64 v[35:36], 1, v[36:37]
	v_lshlrev_b64 v[39:40], 1, v[38:39]
	s_delay_alu instid0(VALU_DEP_2) | instskip(NEXT) | instid1(VALU_DEP_3)
	v_add_co_u32 v37, vcc_lo, s8, v35
	v_add_co_ci_u32_e32 v38, vcc_lo, s9, v36, vcc_lo
	s_delay_alu instid0(VALU_DEP_3) | instskip(NEXT) | instid1(VALU_DEP_4)
	v_add_co_u32 v35, vcc_lo, s8, v39
	v_add_co_ci_u32_e32 v36, vcc_lo, s9, v40, vcc_lo
	s_clause 0x1
	global_load_u16 v39, v[37:38], off
	global_load_u16 v40, v[35:36], off
	s_mov_b32 s8, exec_lo
	s_waitcnt vmcnt(0)
	v_cmpx_eq_u16_e64 v39, v40
	s_cbranch_execz .LBB739_375
; %bb.369:
	v_add_co_u32 v35, vcc_lo, v35, 2
	v_add_co_ci_u32_e32 v36, vcc_lo, 0, v36, vcc_lo
	v_add_co_u32 v37, vcc_lo, v37, 2
	v_add_co_ci_u32_e32 v38, vcc_lo, 0, v38, vcc_lo
	s_add_u32 s4, s22, -1
	s_addc_u32 s5, s23, -1
	s_mov_b64 s[6:7], 0
	s_mov_b32 s9, 0
                                        ; implicit-def: $sgpr18
	s_set_inst_prefetch_distance 0x1
	s_branch .LBB739_372
	.p2align	6
.LBB739_370:                            ;   in Loop: Header=BB739_372 Depth=1
	global_load_u16 v39, v[37:38], off
	global_load_u16 v40, v[35:36], off
	v_add_co_u32 v35, vcc_lo, v35, 2
	v_add_co_ci_u32_e32 v36, vcc_lo, 0, v36, vcc_lo
	v_add_co_u32 v37, s2, v37, 2
	s_delay_alu instid0(VALU_DEP_1)
	v_add_co_ci_u32_e64 v38, s2, 0, v38, s2
	s_add_u32 s6, s6, 1
	s_addc_u32 s7, s7, 0
	s_and_not1_b32 s2, s18, exec_lo
	s_waitcnt vmcnt(0)
	v_cmp_ne_u16_e32 vcc_lo, v39, v40
	s_and_b32 s18, vcc_lo, exec_lo
	s_delay_alu instid0(SALU_CYCLE_1)
	s_or_b32 s18, s2, s18
.LBB739_371:                            ;   in Loop: Header=BB739_372 Depth=1
	v_dual_mov_b32 v40, s7 :: v_dual_mov_b32 v39, s6
	s_and_b32 s2, exec_lo, s18
	s_delay_alu instid0(SALU_CYCLE_1) | instskip(NEXT) | instid1(SALU_CYCLE_1)
	s_or_b32 s9, s2, s9
	s_and_not1_b32 exec_lo, exec_lo, s9
	s_cbranch_execz .LBB739_374
.LBB739_372:                            ; =>This Inner Loop Header: Depth=1
	s_or_b32 s18, s18, exec_lo
	s_cmp_eq_u64 s[4:5], s[6:7]
	s_cbranch_scc0 .LBB739_370
; %bb.373:                              ;   in Loop: Header=BB739_372 Depth=1
	s_mov_b64 s[6:7], s[22:23]
                                        ; implicit-def: $vgpr35_vgpr36
                                        ; implicit-def: $vgpr37_vgpr38
	s_branch .LBB739_371
.LBB739_374:
	s_set_inst_prefetch_distance 0x2
	s_or_b32 exec_lo, exec_lo, s9
	v_cmp_gt_i64_e32 vcc_lo, s[22:23], v[39:40]
	s_or_not1_b32 s2, vcc_lo, exec_lo
.LBB739_375:
	s_or_b32 exec_lo, exec_lo, s8
.LBB739_376:
	s_delay_alu instid0(SALU_CYCLE_1)
	s_and_b32 s2, s2, exec_lo
.LBB739_377:
	s_or_b32 exec_lo, exec_lo, s25
	s_delay_alu instid0(SALU_CYCLE_1)
	s_and_b32 s2, s2, exec_lo
	s_or_b32 s3, s3, exec_lo
.LBB739_378:
	s_or_b32 exec_lo, exec_lo, s19
.LBB739_379:
	s_and_saveexec_b32 s4, s3
; %bb.380:
	v_and_b32_e32 v35, 0xffffff00, v33
	v_cndmask_b32_e64 v36, 0, 1, s2
	s_delay_alu instid0(VALU_DEP_1) | instskip(NEXT) | instid1(VALU_DEP_1)
	v_or_b32_e32 v35, v36, v35
	v_and_b32_e32 v35, 0xffff, v35
	s_delay_alu instid0(VALU_DEP_1)
	v_and_or_b32 v33, 0xffff0000, v33, v35
; %bb.381:
	s_or_b32 exec_lo, exec_lo, s4
	s_delay_alu instid0(SALU_CYCLE_1)
	s_and_not1_b32 vcc_lo, exec_lo, s21
	s_cbranch_vccnz .LBB739_383
; %bb.382:
	v_cmp_gt_u32_e32 vcc_lo, s28, v55
	v_or_b32_e32 v36, 1, v55
	v_and_b32_e32 v37, 0xffffff00, v34
	v_or_b32_e32 v38, 2, v55
	v_cndmask_b32_e32 v35, 0, v33, vcc_lo
	s_delay_alu instid0(VALU_DEP_4) | instskip(SKIP_1) | instid1(VALU_DEP_4)
	v_cmp_gt_u32_e32 vcc_lo, s28, v36
	v_or_b32_e32 v36, 4, v55
	v_cmp_gt_u32_e64 s2, s28, v38
	v_or_b32_e32 v38, 3, v55
	v_and_b32_e32 v35, 0xff, v35
	s_delay_alu instid0(VALU_DEP_2) | instskip(NEXT) | instid1(VALU_DEP_2)
	v_cmp_gt_u32_e64 s3, s28, v38
	v_cndmask_b32_e32 v35, v35, v33, vcc_lo
	v_cmp_gt_u32_e32 vcc_lo, s28, v36
	v_cndmask_b32_e32 v36, v37, v34, vcc_lo
	v_or_b32_e32 v37, 5, v55
	s_delay_alu instid0(VALU_DEP_2) | instskip(SKIP_1) | instid1(VALU_DEP_1)
	v_and_b32_e32 v36, 0xffff00ff, v36
	v_and_b32_e32 v35, 0xffff, v35
	v_cndmask_b32_e64 v35, v35, v33, s2
	s_delay_alu instid0(VALU_DEP_4) | instskip(SKIP_1) | instid1(VALU_DEP_3)
	v_cmp_gt_u32_e64 s2, s28, v37
	v_or_b32_e32 v37, 6, v55
	v_and_b32_e32 v35, 0xffffff, v35
	s_delay_alu instid0(VALU_DEP_3) | instskip(NEXT) | instid1(VALU_DEP_2)
	v_cndmask_b32_e64 v36, v36, v34, s2
	v_cndmask_b32_e64 v35, v35, v33, s3
	s_delay_alu instid0(VALU_DEP_1) | instskip(SKIP_2) | instid1(VALU_DEP_3)
	v_dual_cndmask_b32 v35, v35, v33 :: v_dual_and_b32 v36, 0xff00ffff, v36
	v_cmp_gt_u32_e32 vcc_lo, s28, v37
	v_or_b32_e32 v37, 7, v55
	v_cndmask_b32_e64 v35, v35, v33, s2
	s_delay_alu instid0(VALU_DEP_1) | instskip(NEXT) | instid1(VALU_DEP_1)
	v_dual_cndmask_b32 v36, v36, v34 :: v_dual_cndmask_b32 v35, v35, v33
	v_and_b32_e32 v36, 0xffffff, v36
	s_delay_alu instid0(VALU_DEP_4) | instskip(NEXT) | instid1(VALU_DEP_2)
	v_cmp_gt_u32_e32 vcc_lo, s28, v37
	v_dual_cndmask_b32 v34, v36, v34 :: v_dual_cndmask_b32 v33, v35, v33
.LBB739_383:
	s_delay_alu instid0(VALU_DEP_1) | instskip(NEXT) | instid1(VALU_DEP_2)
	v_and_b32_e32 v42, 0xff, v33
	v_alignbit_b32 v35, v34, v33, 24
	v_bfe_u32 v44, v33, 8, 8
	v_bfe_u32 v46, v33, 16, 8
	v_and_b32_e32 v50, 0xff, v34
	v_bfe_u32 v52, v34, 8, 8
	v_and_b32_e32 v48, 0xff, v35
	v_add_nc_u32_e32 v35, v44, v42
	v_mbcnt_lo_u32_b32 v57, -1, 0
	v_bfe_u32 v54, v34, 16, 8
	v_lshrrev_b32_e32 v56, 24, v34
	v_lshrrev_b32_e32 v58, 5, v0
	v_add3_u32 v35, v35, v46, v48
	v_and_b32_e32 v36, 15, v57
	v_and_b32_e32 v37, 16, v57
	s_and_b32 vcc_lo, exec_lo, s24
	s_mov_b32 s9, -1
	v_add3_u32 v35, v35, v50, v52
	v_cmp_eq_u32_e64 s4, 0, v36
	v_cmp_lt_u32_e64 s2, 1, v36
	v_cmp_lt_u32_e64 s5, 3, v36
	;; [unrolled: 1-line block ×3, first 2 shown]
	v_add3_u32 v59, v35, v54, v56
	v_or_b32_e32 v35, 31, v0
	v_cmp_eq_u32_e64 s7, 0, v37
	s_waitcnt lgkmcnt(0)
	s_barrier
	buffer_gl0_inv
	v_cmp_eq_u32_e64 s6, v35, v0
	s_cbranch_vccz .LBB739_414
; %bb.384:
	v_mov_b32_dpp v35, v59 row_shr:1 row_mask:0xf bank_mask:0xf
	s_delay_alu instid0(VALU_DEP_1) | instskip(NEXT) | instid1(VALU_DEP_1)
	v_cndmask_b32_e64 v35, v35, 0, s4
	v_add_nc_u32_e32 v35, v35, v59
	s_delay_alu instid0(VALU_DEP_1) | instskip(NEXT) | instid1(VALU_DEP_1)
	v_mov_b32_dpp v36, v35 row_shr:2 row_mask:0xf bank_mask:0xf
	v_cndmask_b32_e64 v36, 0, v36, s2
	s_delay_alu instid0(VALU_DEP_1) | instskip(NEXT) | instid1(VALU_DEP_1)
	v_add_nc_u32_e32 v35, v35, v36
	v_mov_b32_dpp v36, v35 row_shr:4 row_mask:0xf bank_mask:0xf
	s_delay_alu instid0(VALU_DEP_1) | instskip(NEXT) | instid1(VALU_DEP_1)
	v_cndmask_b32_e64 v36, 0, v36, s5
	v_add_nc_u32_e32 v35, v35, v36
	s_delay_alu instid0(VALU_DEP_1) | instskip(NEXT) | instid1(VALU_DEP_1)
	v_mov_b32_dpp v36, v35 row_shr:8 row_mask:0xf bank_mask:0xf
	v_cndmask_b32_e64 v36, 0, v36, s3
	s_delay_alu instid0(VALU_DEP_1) | instskip(SKIP_3) | instid1(VALU_DEP_1)
	v_add_nc_u32_e32 v35, v35, v36
	ds_swizzle_b32 v36, v35 offset:swizzle(BROADCAST,32,15)
	s_waitcnt lgkmcnt(0)
	v_cndmask_b32_e64 v36, v36, 0, s7
	v_add_nc_u32_e32 v35, v35, v36
	s_and_saveexec_b32 s8, s6
	s_cbranch_execz .LBB739_386
; %bb.385:
	v_lshlrev_b32_e32 v36, 2, v58
	ds_store_b32 v36, v35
.LBB739_386:
	s_or_b32 exec_lo, exec_lo, s8
	s_delay_alu instid0(SALU_CYCLE_1)
	s_mov_b32 s8, exec_lo
	s_waitcnt lgkmcnt(0)
	s_barrier
	buffer_gl0_inv
	v_cmpx_gt_u32_e32 16, v0
	s_cbranch_execz .LBB739_388
; %bb.387:
	v_lshlrev_b32_e32 v36, 2, v0
	ds_load_b32 v37, v36
	s_waitcnt lgkmcnt(0)
	v_mov_b32_dpp v38, v37 row_shr:1 row_mask:0xf bank_mask:0xf
	s_delay_alu instid0(VALU_DEP_1) | instskip(NEXT) | instid1(VALU_DEP_1)
	v_cndmask_b32_e64 v38, v38, 0, s4
	v_add_nc_u32_e32 v37, v38, v37
	s_delay_alu instid0(VALU_DEP_1) | instskip(NEXT) | instid1(VALU_DEP_1)
	v_mov_b32_dpp v38, v37 row_shr:2 row_mask:0xf bank_mask:0xf
	v_cndmask_b32_e64 v38, 0, v38, s2
	s_delay_alu instid0(VALU_DEP_1) | instskip(NEXT) | instid1(VALU_DEP_1)
	v_add_nc_u32_e32 v37, v37, v38
	v_mov_b32_dpp v38, v37 row_shr:4 row_mask:0xf bank_mask:0xf
	s_delay_alu instid0(VALU_DEP_1) | instskip(NEXT) | instid1(VALU_DEP_1)
	v_cndmask_b32_e64 v38, 0, v38, s5
	v_add_nc_u32_e32 v37, v37, v38
	s_delay_alu instid0(VALU_DEP_1) | instskip(NEXT) | instid1(VALU_DEP_1)
	v_mov_b32_dpp v38, v37 row_shr:8 row_mask:0xf bank_mask:0xf
	v_cndmask_b32_e64 v38, 0, v38, s3
	s_delay_alu instid0(VALU_DEP_1)
	v_add_nc_u32_e32 v37, v37, v38
	ds_store_b32 v36, v37
.LBB739_388:
	s_or_b32 exec_lo, exec_lo, s8
	v_cmp_gt_u32_e32 vcc_lo, 32, v0
	s_mov_b32 s9, exec_lo
	s_waitcnt lgkmcnt(0)
	s_barrier
	buffer_gl0_inv
                                        ; implicit-def: $vgpr43
	v_cmpx_lt_u32_e32 31, v0
	s_cbranch_execz .LBB739_390
; %bb.389:
	v_lshl_add_u32 v36, v58, 2, -4
	ds_load_b32 v43, v36
	s_waitcnt lgkmcnt(0)
	v_add_nc_u32_e32 v35, v43, v35
.LBB739_390:
	s_or_b32 exec_lo, exec_lo, s9
	v_add_nc_u32_e32 v36, -1, v57
	s_delay_alu instid0(VALU_DEP_1) | instskip(NEXT) | instid1(VALU_DEP_1)
	v_cmp_gt_i32_e64 s8, 0, v36
	v_cndmask_b32_e64 v36, v36, v57, s8
	v_cmp_eq_u32_e64 s8, 0, v57
	s_delay_alu instid0(VALU_DEP_2)
	v_lshlrev_b32_e32 v36, 2, v36
	ds_bpermute_b32 v45, v36, v35
	s_and_saveexec_b32 s9, vcc_lo
	s_cbranch_execz .LBB739_413
; %bb.391:
	v_mov_b32_e32 v38, 0
	ds_load_b32 v35, v38 offset:60
	s_and_saveexec_b32 s18, s8
	s_cbranch_execz .LBB739_393
; %bb.392:
	s_add_i32 s22, s15, 32
	s_mov_b32 s23, 0
	v_mov_b32_e32 v36, 1
	s_lshl_b64 s[22:23], s[22:23], 3
	s_delay_alu instid0(SALU_CYCLE_1)
	s_add_u32 s22, s10, s22
	s_addc_u32 s23, s11, s23
	s_waitcnt lgkmcnt(0)
	global_store_b64 v38, v[35:36], s[22:23]
.LBB739_393:
	s_or_b32 exec_lo, exec_lo, s18
	v_xad_u32 v36, v57, -1, s15
	s_mov_b32 s19, 0
	s_mov_b32 s18, exec_lo
	s_delay_alu instid0(VALU_DEP_1) | instskip(NEXT) | instid1(VALU_DEP_1)
	v_add_nc_u32_e32 v37, 32, v36
	v_lshlrev_b64 v[37:38], 3, v[37:38]
	s_delay_alu instid0(VALU_DEP_1) | instskip(NEXT) | instid1(VALU_DEP_2)
	v_add_co_u32 v40, vcc_lo, s10, v37
	v_add_co_ci_u32_e32 v41, vcc_lo, s11, v38, vcc_lo
	global_load_b64 v[38:39], v[40:41], off glc
	s_waitcnt vmcnt(0)
	v_and_b32_e32 v37, 0xff, v39
	s_delay_alu instid0(VALU_DEP_1)
	v_cmpx_eq_u16_e32 0, v37
	s_cbranch_execz .LBB739_399
; %bb.394:
	s_mov_b32 s21, 1
	.p2align	6
.LBB739_395:                            ; =>This Loop Header: Depth=1
                                        ;     Child Loop BB739_396 Depth 2
	s_delay_alu instid0(SALU_CYCLE_1)
	s_max_u32 s22, s21, 1
.LBB739_396:                            ;   Parent Loop BB739_395 Depth=1
                                        ; =>  This Inner Loop Header: Depth=2
	s_delay_alu instid0(SALU_CYCLE_1)
	s_add_i32 s22, s22, -1
	s_sleep 1
	s_cmp_eq_u32 s22, 0
	s_cbranch_scc0 .LBB739_396
; %bb.397:                              ;   in Loop: Header=BB739_395 Depth=1
	global_load_b64 v[38:39], v[40:41], off glc
	s_cmp_lt_u32 s21, 32
	s_cselect_b32 s22, -1, 0
	s_delay_alu instid0(SALU_CYCLE_1) | instskip(SKIP_3) | instid1(VALU_DEP_1)
	s_cmp_lg_u32 s22, 0
	s_addc_u32 s21, s21, 0
	s_waitcnt vmcnt(0)
	v_and_b32_e32 v37, 0xff, v39
	v_cmp_ne_u16_e32 vcc_lo, 0, v37
	s_or_b32 s19, vcc_lo, s19
	s_delay_alu instid0(SALU_CYCLE_1)
	s_and_not1_b32 exec_lo, exec_lo, s19
	s_cbranch_execnz .LBB739_395
; %bb.398:
	s_or_b32 exec_lo, exec_lo, s19
.LBB739_399:
	s_delay_alu instid0(SALU_CYCLE_1)
	s_or_b32 exec_lo, exec_lo, s18
	v_cmp_ne_u32_e32 vcc_lo, 31, v57
	v_lshlrev_b32_e64 v49, v57, -1
	v_add_nc_u32_e32 v53, 2, v57
	v_add_nc_u32_e32 v62, 4, v57
	;; [unrolled: 1-line block ×3, first 2 shown]
	v_add_co_ci_u32_e32 v37, vcc_lo, 0, v57, vcc_lo
	v_add_nc_u32_e32 v66, 16, v57
	s_delay_alu instid0(VALU_DEP_2)
	v_lshlrev_b32_e32 v47, 2, v37
	v_and_b32_e32 v37, 0xff, v39
	ds_bpermute_b32 v40, v47, v38
	v_cmp_eq_u16_e32 vcc_lo, 2, v37
	v_and_or_b32 v37, vcc_lo, v49, 0x80000000
	v_cmp_gt_u32_e32 vcc_lo, 30, v57
	s_delay_alu instid0(VALU_DEP_2) | instskip(SKIP_1) | instid1(VALU_DEP_2)
	v_ctz_i32_b32_e32 v37, v37
	v_cndmask_b32_e64 v41, 0, 1, vcc_lo
	v_cmp_lt_u32_e32 vcc_lo, v57, v37
	s_waitcnt lgkmcnt(0)
	s_delay_alu instid0(VALU_DEP_2) | instskip(NEXT) | instid1(VALU_DEP_1)
	v_dual_cndmask_b32 v40, 0, v40 :: v_dual_lshlrev_b32 v41, 1, v41
	v_add_lshl_u32 v51, v41, v57, 2
	v_cmp_gt_u32_e32 vcc_lo, 28, v57
	s_delay_alu instid0(VALU_DEP_3) | instskip(SKIP_4) | instid1(VALU_DEP_1)
	v_add_nc_u32_e32 v38, v40, v38
	v_cndmask_b32_e64 v41, 0, 1, vcc_lo
	v_cmp_le_u32_e32 vcc_lo, v53, v37
	ds_bpermute_b32 v40, v51, v38
	v_lshlrev_b32_e32 v41, 2, v41
	v_add_lshl_u32 v60, v41, v57, 2
	s_waitcnt lgkmcnt(0)
	v_cndmask_b32_e32 v40, 0, v40, vcc_lo
	v_cmp_gt_u32_e32 vcc_lo, 24, v57
	s_delay_alu instid0(VALU_DEP_2) | instskip(SKIP_4) | instid1(VALU_DEP_1)
	v_add_nc_u32_e32 v38, v38, v40
	v_cndmask_b32_e64 v41, 0, 1, vcc_lo
	v_cmp_le_u32_e32 vcc_lo, v62, v37
	ds_bpermute_b32 v40, v60, v38
	v_lshlrev_b32_e32 v41, 3, v41
	v_add_lshl_u32 v63, v41, v57, 2
	s_waitcnt lgkmcnt(0)
	v_cndmask_b32_e32 v40, 0, v40, vcc_lo
	v_cmp_gt_u32_e32 vcc_lo, 16, v57
	s_delay_alu instid0(VALU_DEP_2) | instskip(SKIP_4) | instid1(VALU_DEP_1)
	v_add_nc_u32_e32 v38, v38, v40
	v_cndmask_b32_e64 v41, 0, 1, vcc_lo
	v_cmp_le_u32_e32 vcc_lo, v64, v37
	ds_bpermute_b32 v40, v63, v38
	v_lshlrev_b32_e32 v41, 4, v41
	v_add_lshl_u32 v65, v41, v57, 2
	s_waitcnt lgkmcnt(0)
	v_cndmask_b32_e32 v40, 0, v40, vcc_lo
	v_cmp_le_u32_e32 vcc_lo, v66, v37
	s_delay_alu instid0(VALU_DEP_2) | instskip(SKIP_3) | instid1(VALU_DEP_1)
	v_add_nc_u32_e32 v38, v38, v40
	ds_bpermute_b32 v40, v65, v38
	s_waitcnt lgkmcnt(0)
	v_cndmask_b32_e32 v37, 0, v40, vcc_lo
	v_dual_mov_b32 v37, 0 :: v_dual_add_nc_u32 v38, v38, v37
	s_branch .LBB739_401
.LBB739_400:                            ;   in Loop: Header=BB739_401 Depth=1
	s_or_b32 exec_lo, exec_lo, s18
	ds_bpermute_b32 v41, v47, v38
	v_and_b32_e32 v40, 0xff, v39
	v_subrev_nc_u32_e32 v36, 32, v36
	s_delay_alu instid0(VALU_DEP_2) | instskip(SKIP_1) | instid1(VALU_DEP_1)
	v_cmp_eq_u16_e32 vcc_lo, 2, v40
	v_and_or_b32 v40, vcc_lo, v49, 0x80000000
	v_ctz_i32_b32_e32 v40, v40
	s_delay_alu instid0(VALU_DEP_1) | instskip(SKIP_3) | instid1(VALU_DEP_2)
	v_cmp_lt_u32_e32 vcc_lo, v57, v40
	s_waitcnt lgkmcnt(0)
	v_cndmask_b32_e32 v41, 0, v41, vcc_lo
	v_cmp_le_u32_e32 vcc_lo, v53, v40
	v_add_nc_u32_e32 v38, v41, v38
	ds_bpermute_b32 v41, v51, v38
	s_waitcnt lgkmcnt(0)
	v_cndmask_b32_e32 v41, 0, v41, vcc_lo
	v_cmp_le_u32_e32 vcc_lo, v62, v40
	s_delay_alu instid0(VALU_DEP_2) | instskip(SKIP_4) | instid1(VALU_DEP_2)
	v_add_nc_u32_e32 v38, v38, v41
	ds_bpermute_b32 v41, v60, v38
	s_waitcnt lgkmcnt(0)
	v_cndmask_b32_e32 v41, 0, v41, vcc_lo
	v_cmp_le_u32_e32 vcc_lo, v64, v40
	v_add_nc_u32_e32 v38, v38, v41
	ds_bpermute_b32 v41, v63, v38
	s_waitcnt lgkmcnt(0)
	v_cndmask_b32_e32 v41, 0, v41, vcc_lo
	v_cmp_le_u32_e32 vcc_lo, v66, v40
	s_delay_alu instid0(VALU_DEP_2) | instskip(SKIP_3) | instid1(VALU_DEP_1)
	v_add_nc_u32_e32 v38, v38, v41
	ds_bpermute_b32 v41, v65, v38
	s_waitcnt lgkmcnt(0)
	v_cndmask_b32_e32 v40, 0, v41, vcc_lo
	v_add3_u32 v38, v40, v61, v38
.LBB739_401:                            ; =>This Loop Header: Depth=1
                                        ;     Child Loop BB739_404 Depth 2
                                        ;       Child Loop BB739_405 Depth 3
	v_and_b32_e32 v39, 0xff, v39
	s_delay_alu instid0(VALU_DEP_2) | instskip(NEXT) | instid1(VALU_DEP_2)
	v_mov_b32_e32 v61, v38
	v_cmp_ne_u16_e32 vcc_lo, 2, v39
	v_cndmask_b32_e64 v39, 0, 1, vcc_lo
	;;#ASMSTART
	;;#ASMEND
	s_delay_alu instid0(VALU_DEP_1)
	v_cmp_ne_u32_e32 vcc_lo, 0, v39
	s_cmp_lg_u32 vcc_lo, exec_lo
	s_cbranch_scc1 .LBB739_408
; %bb.402:                              ;   in Loop: Header=BB739_401 Depth=1
	v_lshlrev_b64 v[38:39], 3, v[36:37]
	s_mov_b32 s18, exec_lo
	s_delay_alu instid0(VALU_DEP_1) | instskip(NEXT) | instid1(VALU_DEP_2)
	v_add_co_u32 v40, vcc_lo, s10, v38
	v_add_co_ci_u32_e32 v41, vcc_lo, s11, v39, vcc_lo
	global_load_b64 v[38:39], v[40:41], off glc
	s_waitcnt vmcnt(0)
	v_and_b32_e32 v67, 0xff, v39
	s_delay_alu instid0(VALU_DEP_1)
	v_cmpx_eq_u16_e32 0, v67
	s_cbranch_execz .LBB739_400
; %bb.403:                              ;   in Loop: Header=BB739_401 Depth=1
	s_mov_b32 s21, 1
	s_mov_b32 s19, 0
	.p2align	6
.LBB739_404:                            ;   Parent Loop BB739_401 Depth=1
                                        ; =>  This Loop Header: Depth=2
                                        ;       Child Loop BB739_405 Depth 3
	s_max_u32 s22, s21, 1
.LBB739_405:                            ;   Parent Loop BB739_401 Depth=1
                                        ;     Parent Loop BB739_404 Depth=2
                                        ; =>    This Inner Loop Header: Depth=3
	s_delay_alu instid0(SALU_CYCLE_1)
	s_add_i32 s22, s22, -1
	s_sleep 1
	s_cmp_eq_u32 s22, 0
	s_cbranch_scc0 .LBB739_405
; %bb.406:                              ;   in Loop: Header=BB739_404 Depth=2
	global_load_b64 v[38:39], v[40:41], off glc
	s_cmp_lt_u32 s21, 32
	s_cselect_b32 s22, -1, 0
	s_delay_alu instid0(SALU_CYCLE_1) | instskip(SKIP_3) | instid1(VALU_DEP_1)
	s_cmp_lg_u32 s22, 0
	s_addc_u32 s21, s21, 0
	s_waitcnt vmcnt(0)
	v_and_b32_e32 v67, 0xff, v39
	v_cmp_ne_u16_e32 vcc_lo, 0, v67
	s_or_b32 s19, vcc_lo, s19
	s_delay_alu instid0(SALU_CYCLE_1)
	s_and_not1_b32 exec_lo, exec_lo, s19
	s_cbranch_execnz .LBB739_404
; %bb.407:                              ;   in Loop: Header=BB739_401 Depth=1
	s_or_b32 exec_lo, exec_lo, s19
	s_branch .LBB739_400
.LBB739_408:                            ;   in Loop: Header=BB739_401 Depth=1
                                        ; implicit-def: $vgpr38
                                        ; implicit-def: $vgpr39
	s_cbranch_execz .LBB739_401
; %bb.409:
	s_and_saveexec_b32 s18, s8
	s_cbranch_execz .LBB739_411
; %bb.410:
	s_add_i32 s22, s15, 32
	s_mov_b32 s23, 0
	v_dual_mov_b32 v37, 2 :: v_dual_add_nc_u32 v36, v61, v35
	s_lshl_b64 s[22:23], s[22:23], 3
	v_mov_b32_e32 v38, 0
	v_add_nc_u32_e64 v39, 0x8400, 0
	s_add_u32 s22, s10, s22
	s_addc_u32 s23, s11, s23
	global_store_b64 v38, v[36:37], s[22:23]
	ds_store_2addr_b32 v39, v35, v61 offset1:2
.LBB739_411:
	s_or_b32 exec_lo, exec_lo, s18
	v_cmp_eq_u32_e32 vcc_lo, 0, v0
	s_and_b32 exec_lo, exec_lo, vcc_lo
	s_cbranch_execz .LBB739_413
; %bb.412:
	v_mov_b32_e32 v35, 0
	ds_store_b32 v35, v61 offset:60
.LBB739_413:
	s_or_b32 exec_lo, exec_lo, s9
	s_waitcnt lgkmcnt(0)
	v_cndmask_b32_e64 v36, v45, v43, s8
	v_cmp_ne_u32_e32 vcc_lo, 0, v0
	v_mov_b32_e32 v35, 0
	s_waitcnt_vscnt null, 0x0
	s_barrier
	buffer_gl0_inv
	v_cndmask_b32_e32 v36, 0, v36, vcc_lo
	ds_load_b32 v35, v35 offset:60
	s_waitcnt lgkmcnt(0)
	s_barrier
	buffer_gl0_inv
	v_add_nc_u32_e32 v53, v35, v36
	v_add_nc_u32_e64 v35, 0x8400, 0
	s_delay_alu instid0(VALU_DEP_2) | instskip(SKIP_2) | instid1(VALU_DEP_1)
	v_add_nc_u32_e32 v51, v53, v42
	ds_load_2addr_b32 v[35:36], v35 offset1:2
	v_add_nc_u32_e32 v49, v51, v44
	v_add_nc_u32_e32 v47, v49, v46
	s_delay_alu instid0(VALU_DEP_1) | instskip(NEXT) | instid1(VALU_DEP_1)
	v_add_nc_u32_e32 v45, v47, v48
	v_add_nc_u32_e32 v43, v45, v50
	s_waitcnt lgkmcnt(0)
	v_readfirstlane_b32 s8, v36
	s_delay_alu instid0(VALU_DEP_2) | instskip(NEXT) | instid1(VALU_DEP_1)
	v_add_nc_u32_e32 v41, v43, v52
	v_add_nc_u32_e32 v39, v41, v54
	v_lshrrev_b64 v[37:38], 24, v[33:34]
	s_branch .LBB739_424
.LBB739_414:
                                        ; implicit-def: $vgpr39
                                        ; implicit-def: $vgpr41
                                        ; implicit-def: $vgpr43
                                        ; implicit-def: $vgpr45
                                        ; implicit-def: $vgpr47
                                        ; implicit-def: $vgpr49
                                        ; implicit-def: $vgpr51
                                        ; implicit-def: $vgpr53
                                        ; implicit-def: $sgpr8
                                        ; implicit-def: $vgpr35
	v_lshrrev_b64 v[37:38], 24, v[33:34]
	s_and_b32 vcc_lo, exec_lo, s9
	s_cbranch_vccz .LBB739_424
; %bb.415:
	v_mov_b32_dpp v35, v59 row_shr:1 row_mask:0xf bank_mask:0xf
	s_delay_alu instid0(VALU_DEP_1) | instskip(NEXT) | instid1(VALU_DEP_1)
	v_cndmask_b32_e64 v35, v35, 0, s4
	v_add_nc_u32_e32 v35, v35, v59
	s_delay_alu instid0(VALU_DEP_1) | instskip(NEXT) | instid1(VALU_DEP_1)
	v_mov_b32_dpp v36, v35 row_shr:2 row_mask:0xf bank_mask:0xf
	v_cndmask_b32_e64 v36, 0, v36, s2
	s_delay_alu instid0(VALU_DEP_1) | instskip(NEXT) | instid1(VALU_DEP_1)
	v_add_nc_u32_e32 v35, v35, v36
	v_mov_b32_dpp v36, v35 row_shr:4 row_mask:0xf bank_mask:0xf
	s_delay_alu instid0(VALU_DEP_1) | instskip(NEXT) | instid1(VALU_DEP_1)
	v_cndmask_b32_e64 v36, 0, v36, s5
	v_add_nc_u32_e32 v35, v35, v36
	s_delay_alu instid0(VALU_DEP_1) | instskip(NEXT) | instid1(VALU_DEP_1)
	v_mov_b32_dpp v36, v35 row_shr:8 row_mask:0xf bank_mask:0xf
	v_cndmask_b32_e64 v36, 0, v36, s3
	s_delay_alu instid0(VALU_DEP_1) | instskip(SKIP_3) | instid1(VALU_DEP_1)
	v_add_nc_u32_e32 v35, v35, v36
	ds_swizzle_b32 v36, v35 offset:swizzle(BROADCAST,32,15)
	s_waitcnt lgkmcnt(0)
	v_cndmask_b32_e64 v36, v36, 0, s7
	v_add_nc_u32_e32 v35, v35, v36
	s_and_saveexec_b32 s7, s6
	s_cbranch_execz .LBB739_417
; %bb.416:
	v_lshlrev_b32_e32 v36, 2, v58
	ds_store_b32 v36, v35
.LBB739_417:
	s_or_b32 exec_lo, exec_lo, s7
	s_delay_alu instid0(SALU_CYCLE_1)
	s_mov_b32 s6, exec_lo
	s_waitcnt lgkmcnt(0)
	s_barrier
	buffer_gl0_inv
	v_cmpx_gt_u32_e32 16, v0
	s_cbranch_execz .LBB739_419
; %bb.418:
	v_lshlrev_b32_e32 v36, 2, v0
	ds_load_b32 v38, v36
	s_waitcnt lgkmcnt(0)
	v_mov_b32_dpp v39, v38 row_shr:1 row_mask:0xf bank_mask:0xf
	s_delay_alu instid0(VALU_DEP_1) | instskip(NEXT) | instid1(VALU_DEP_1)
	v_cndmask_b32_e64 v39, v39, 0, s4
	v_add_nc_u32_e32 v38, v39, v38
	s_delay_alu instid0(VALU_DEP_1) | instskip(NEXT) | instid1(VALU_DEP_1)
	v_mov_b32_dpp v39, v38 row_shr:2 row_mask:0xf bank_mask:0xf
	v_cndmask_b32_e64 v39, 0, v39, s2
	s_delay_alu instid0(VALU_DEP_1) | instskip(NEXT) | instid1(VALU_DEP_1)
	v_add_nc_u32_e32 v38, v38, v39
	v_mov_b32_dpp v39, v38 row_shr:4 row_mask:0xf bank_mask:0xf
	s_delay_alu instid0(VALU_DEP_1) | instskip(NEXT) | instid1(VALU_DEP_1)
	v_cndmask_b32_e64 v39, 0, v39, s5
	v_add_nc_u32_e32 v38, v38, v39
	s_delay_alu instid0(VALU_DEP_1) | instskip(NEXT) | instid1(VALU_DEP_1)
	v_mov_b32_dpp v39, v38 row_shr:8 row_mask:0xf bank_mask:0xf
	v_cndmask_b32_e64 v39, 0, v39, s3
	s_delay_alu instid0(VALU_DEP_1)
	v_add_nc_u32_e32 v38, v38, v39
	ds_store_b32 v36, v38
.LBB739_419:
	s_or_b32 exec_lo, exec_lo, s6
	v_mov_b32_e32 v36, 0
	v_mov_b32_e32 v38, 0
	s_mov_b32 s2, exec_lo
	s_waitcnt lgkmcnt(0)
	s_barrier
	buffer_gl0_inv
	v_cmpx_lt_u32_e32 31, v0
	s_cbranch_execz .LBB739_421
; %bb.420:
	v_lshl_add_u32 v38, v58, 2, -4
	ds_load_b32 v38, v38
.LBB739_421:
	s_or_b32 exec_lo, exec_lo, s2
	v_add_nc_u32_e32 v39, -1, v57
	s_waitcnt lgkmcnt(0)
	v_add_nc_u32_e32 v35, v38, v35
	s_mov_b32 s8, 0
	s_delay_alu instid0(VALU_DEP_2) | instskip(SKIP_2) | instid1(VALU_DEP_2)
	v_cmp_gt_i32_e32 vcc_lo, 0, v39
	v_cndmask_b32_e32 v39, v39, v57, vcc_lo
	v_cmp_eq_u32_e32 vcc_lo, 0, v0
	v_lshlrev_b32_e32 v39, 2, v39
	ds_bpermute_b32 v39, v39, v35
	ds_load_b32 v35, v36 offset:60
	s_and_saveexec_b32 s2, vcc_lo
	s_cbranch_execz .LBB739_423
; %bb.422:
	v_mov_b32_e32 v40, 0
	v_mov_b32_e32 v36, 2
	s_waitcnt lgkmcnt(0)
	global_store_b64 v40, v[35:36], s[10:11] offset:256
.LBB739_423:
	s_or_b32 exec_lo, exec_lo, s2
	v_cmp_eq_u32_e64 s2, 0, v57
	s_waitcnt lgkmcnt(0)
	s_waitcnt_vscnt null, 0x0
	s_barrier
	buffer_gl0_inv
	v_cndmask_b32_e64 v36, v39, v38, s2
	s_delay_alu instid0(VALU_DEP_1) | instskip(NEXT) | instid1(VALU_DEP_1)
	v_cndmask_b32_e64 v53, v36, 0, vcc_lo
	v_add_nc_u32_e32 v51, v53, v42
	s_delay_alu instid0(VALU_DEP_1) | instskip(NEXT) | instid1(VALU_DEP_1)
	v_add_nc_u32_e32 v49, v51, v44
	v_add_nc_u32_e32 v47, v49, v46
	s_delay_alu instid0(VALU_DEP_1) | instskip(NEXT) | instid1(VALU_DEP_1)
	v_add_nc_u32_e32 v45, v47, v48
	;; [unrolled: 3-line block ×3, first 2 shown]
	v_add_nc_u32_e32 v39, v41, v54
.LBB739_424:
	s_load_b128 s[4:7], s[0:1], 0x28
	v_add_nc_u32_e32 v59, s8, v35
	v_cmp_gt_u32_e64 s0, 0x201, v35
	v_lshrrev_b32_e32 v58, 8, v33
	v_lshrrev_b32_e32 v57, 16, v33
	;; [unrolled: 1-line block ×4, first 2 shown]
	v_cmp_lt_u32_e64 s1, v53, v59
	s_and_b32 vcc_lo, exec_lo, s0
	s_mov_b32 s2, -1
	s_cbranch_vccz .LBB739_450
; %bb.425:
	s_delay_alu instid0(VALU_DEP_1) | instskip(NEXT) | instid1(SALU_CYCLE_1)
	s_or_b32 s2, s20, s1
	s_and_saveexec_b32 s1, s2
	s_cbranch_execz .LBB739_428
; %bb.426:
	v_and_b32_e32 v40, 1, v33
	s_delay_alu instid0(VALU_DEP_1)
	v_cmp_eq_u32_e32 vcc_lo, 1, v40
	s_and_b32 exec_lo, exec_lo, vcc_lo
	s_cbranch_execz .LBB739_428
; %bb.427:
	v_mov_b32_e32 v54, 0
	s_lshl_b64 s[2:3], s[12:13], 3
	s_waitcnt lgkmcnt(0)
	s_add_u32 s2, s4, s2
	s_addc_u32 s3, s5, s3
	v_lshlrev_b64 v[60:61], 3, v[53:54]
	s_delay_alu instid0(VALU_DEP_1) | instskip(NEXT) | instid1(VALU_DEP_2)
	v_add_co_u32 v60, vcc_lo, s2, v60
	v_add_co_ci_u32_e32 v61, vcc_lo, s3, v61, vcc_lo
	global_store_b64 v[60:61], v[29:30], off
.LBB739_428:
	s_or_b32 exec_lo, exec_lo, s1
	v_cmp_lt_u32_e32 vcc_lo, v51, v59
	s_or_b32 s2, s20, vcc_lo
	s_delay_alu instid0(SALU_CYCLE_1)
	s_and_saveexec_b32 s1, s2
	s_cbranch_execz .LBB739_431
; %bb.429:
	v_and_b32_e32 v40, 1, v58
	s_delay_alu instid0(VALU_DEP_1)
	v_cmp_eq_u32_e32 vcc_lo, 1, v40
	s_and_b32 exec_lo, exec_lo, vcc_lo
	s_cbranch_execz .LBB739_431
; %bb.430:
	v_mov_b32_e32 v52, 0
	s_lshl_b64 s[2:3], s[12:13], 3
	s_waitcnt lgkmcnt(0)
	s_add_u32 s2, s4, s2
	s_addc_u32 s3, s5, s3
	v_lshlrev_b64 v[60:61], 3, v[51:52]
	s_delay_alu instid0(VALU_DEP_1) | instskip(NEXT) | instid1(VALU_DEP_2)
	v_add_co_u32 v60, vcc_lo, s2, v60
	v_add_co_ci_u32_e32 v61, vcc_lo, s3, v61, vcc_lo
	global_store_b64 v[60:61], v[31:32], off
.LBB739_431:
	s_or_b32 exec_lo, exec_lo, s1
	v_cmp_lt_u32_e32 vcc_lo, v49, v59
	s_or_b32 s2, s20, vcc_lo
	s_delay_alu instid0(SALU_CYCLE_1)
	;; [unrolled: 24-line block ×7, first 2 shown]
	s_and_saveexec_b32 s1, s2
	s_cbranch_execz .LBB739_449
; %bb.447:
	v_and_b32_e32 v40, 1, v56
	s_delay_alu instid0(VALU_DEP_1)
	v_cmp_eq_u32_e32 vcc_lo, 1, v40
	s_and_b32 exec_lo, exec_lo, vcc_lo
	s_cbranch_execz .LBB739_449
; %bb.448:
	v_mov_b32_e32 v40, 0
	s_lshl_b64 s[2:3], s[12:13], 3
	s_waitcnt lgkmcnt(0)
	s_add_u32 s2, s4, s2
	s_addc_u32 s3, s5, s3
	v_lshlrev_b64 v[60:61], 3, v[39:40]
	s_delay_alu instid0(VALU_DEP_1) | instskip(NEXT) | instid1(VALU_DEP_2)
	v_add_co_u32 v60, vcc_lo, s2, v60
	v_add_co_ci_u32_e32 v61, vcc_lo, s3, v61, vcc_lo
	global_store_b64 v[60:61], v[19:20], off
.LBB739_449:
	s_or_b32 exec_lo, exec_lo, s1
	s_mov_b32 s2, 0
.LBB739_450:
	v_and_b32_e32 v33, 1, v33
	s_and_b32 vcc_lo, exec_lo, s2
	s_delay_alu instid0(VALU_DEP_1)
	v_cmp_eq_u32_e64 s1, 1, v33
	s_cbranch_vccz .LBB739_471
; %bb.451:
	s_delay_alu instid0(VALU_DEP_1)
	s_and_saveexec_b32 s2, s1
	s_cbranch_execz .LBB739_453
; %bb.452:
	v_subrev_nc_u32_e32 v40, s8, v53
	s_delay_alu instid0(VALU_DEP_1)
	v_lshlrev_b32_e32 v40, 3, v40
	ds_store_b64 v40, v[29:30]
.LBB739_453:
	s_or_b32 exec_lo, exec_lo, s2
	v_and_b32_e32 v29, 1, v58
	s_mov_b32 s1, exec_lo
	s_delay_alu instid0(VALU_DEP_1)
	v_cmpx_eq_u32_e32 1, v29
	s_cbranch_execz .LBB739_455
; %bb.454:
	v_subrev_nc_u32_e32 v29, s8, v51
	s_delay_alu instid0(VALU_DEP_1)
	v_lshlrev_b32_e32 v29, 3, v29
	ds_store_b64 v29, v[31:32]
.LBB739_455:
	s_or_b32 exec_lo, exec_lo, s1
	v_and_b32_e32 v29, 1, v57
	s_mov_b32 s1, exec_lo
	s_delay_alu instid0(VALU_DEP_1)
	v_cmpx_eq_u32_e32 1, v29
	s_cbranch_execz .LBB739_457
; %bb.456:
	v_subrev_nc_u32_e32 v29, s8, v49
	s_delay_alu instid0(VALU_DEP_1)
	v_lshlrev_b32_e32 v29, 3, v29
	ds_store_b64 v29, v[25:26]
.LBB739_457:
	s_or_b32 exec_lo, exec_lo, s1
	v_and_b32_e32 v25, 1, v37
	s_mov_b32 s1, exec_lo
	s_delay_alu instid0(VALU_DEP_1)
	v_cmpx_eq_u32_e32 1, v25
	s_cbranch_execz .LBB739_459
; %bb.458:
	v_subrev_nc_u32_e32 v25, s8, v47
	s_delay_alu instid0(VALU_DEP_1)
	v_lshlrev_b32_e32 v25, 3, v25
	ds_store_b64 v25, v[27:28]
.LBB739_459:
	s_or_b32 exec_lo, exec_lo, s1
	v_and_b32_e32 v25, 1, v34
	s_mov_b32 s1, exec_lo
	s_delay_alu instid0(VALU_DEP_1)
	v_cmpx_eq_u32_e32 1, v25
	s_cbranch_execz .LBB739_461
; %bb.460:
	v_subrev_nc_u32_e32 v25, s8, v45
	s_delay_alu instid0(VALU_DEP_1)
	v_lshlrev_b32_e32 v25, 3, v25
	ds_store_b64 v25, v[21:22]
.LBB739_461:
	s_or_b32 exec_lo, exec_lo, s1
	v_and_b32_e32 v21, 1, v38
	s_mov_b32 s1, exec_lo
	s_delay_alu instid0(VALU_DEP_1)
	v_cmpx_eq_u32_e32 1, v21
	s_cbranch_execz .LBB739_463
; %bb.462:
	v_subrev_nc_u32_e32 v21, s8, v43
	s_delay_alu instid0(VALU_DEP_1)
	v_lshlrev_b32_e32 v21, 3, v21
	ds_store_b64 v21, v[23:24]
.LBB739_463:
	s_or_b32 exec_lo, exec_lo, s1
	v_and_b32_e32 v21, 1, v36
	s_mov_b32 s1, exec_lo
	s_delay_alu instid0(VALU_DEP_1)
	v_cmpx_eq_u32_e32 1, v21
	s_cbranch_execz .LBB739_465
; %bb.464:
	v_subrev_nc_u32_e32 v21, s8, v41
	s_delay_alu instid0(VALU_DEP_1)
	v_lshlrev_b32_e32 v21, 3, v21
	ds_store_b64 v21, v[17:18]
.LBB739_465:
	s_or_b32 exec_lo, exec_lo, s1
	v_and_b32_e32 v17, 1, v56
	s_mov_b32 s1, exec_lo
	s_delay_alu instid0(VALU_DEP_1)
	v_cmpx_eq_u32_e32 1, v17
	s_cbranch_execz .LBB739_467
; %bb.466:
	v_subrev_nc_u32_e32 v17, s8, v39
	s_delay_alu instid0(VALU_DEP_1)
	v_lshlrev_b32_e32 v17, 3, v17
	ds_store_b64 v17, v[19:20]
.LBB739_467:
	s_or_b32 exec_lo, exec_lo, s1
	s_delay_alu instid0(SALU_CYCLE_1)
	s_mov_b32 s2, exec_lo
	s_waitcnt lgkmcnt(0)
	s_waitcnt_vscnt null, 0x0
	s_barrier
	buffer_gl0_inv
	v_cmpx_lt_u32_e64 v0, v35
	s_cbranch_execz .LBB739_470
; %bb.468:
	s_mov_b32 s9, 0
	s_lshl_b64 s[10:11], s[12:13], 3
	s_lshl_b64 s[18:19], s[8:9], 3
	v_dual_mov_b32 v19, v55 :: v_dual_mov_b32 v20, v0
	s_add_u32 s1, s10, s18
	s_addc_u32 s3, s11, s19
	s_add_u32 s1, s4, s1
	s_addc_u32 s3, s5, s3
	v_add_co_u32 v17, s1, s1, v55
	s_delay_alu instid0(VALU_DEP_1)
	v_add_co_ci_u32_e64 v18, null, s3, 0, s1
	.p2align	6
.LBB739_469:                            ; =>This Inner Loop Header: Depth=1
	ds_load_b64 v[21:22], v19
	v_add_nc_u32_e32 v20, 0x200, v20
	v_add_nc_u32_e32 v19, 0x1000, v19
	s_delay_alu instid0(VALU_DEP_2) | instskip(SKIP_4) | instid1(VALU_DEP_1)
	v_cmp_ge_u32_e32 vcc_lo, v20, v35
	s_or_b32 s9, vcc_lo, s9
	s_waitcnt lgkmcnt(0)
	global_store_b64 v[17:18], v[21:22], off
	v_add_co_u32 v17, s1, 0x1000, v17
	v_add_co_ci_u32_e64 v18, s1, 0, v18, s1
	s_and_not1_b32 exec_lo, exec_lo, s9
	s_cbranch_execnz .LBB739_469
.LBB739_470:
	s_or_b32 exec_lo, exec_lo, s2
.LBB739_471:
	s_delay_alu instid0(SALU_CYCLE_1)
	s_and_b32 vcc_lo, exec_lo, s0
	s_mov_b32 s0, -1
	s_waitcnt lgkmcnt(0)
	s_waitcnt_vscnt null, 0x0
	s_barrier
	buffer_gl0_inv
	s_cbranch_vccz .LBB739_499
; %bb.472:
	v_cmp_lt_u32_e32 vcc_lo, v53, v59
	s_or_b32 s1, s20, vcc_lo
	s_delay_alu instid0(SALU_CYCLE_1)
	s_and_saveexec_b32 s0, s1
	s_cbranch_execz .LBB739_475
; %bb.473:
	v_cmp_eq_u32_e32 vcc_lo, 1, v33
	s_and_b32 exec_lo, exec_lo, vcc_lo
	s_cbranch_execz .LBB739_475
; %bb.474:
	v_mov_b32_e32 v54, 0
	s_lshl_b64 s[2:3], s[12:13], 3
	s_delay_alu instid0(SALU_CYCLE_1) | instskip(SKIP_1) | instid1(VALU_DEP_1)
	s_add_u32 s1, s6, s2
	s_addc_u32 s2, s7, s3
	v_lshlrev_b64 v[17:18], 3, v[53:54]
	s_delay_alu instid0(VALU_DEP_1) | instskip(NEXT) | instid1(VALU_DEP_2)
	v_add_co_u32 v17, vcc_lo, s1, v17
	v_add_co_ci_u32_e32 v18, vcc_lo, s2, v18, vcc_lo
	global_store_b64 v[17:18], v[13:14], off
.LBB739_475:
	s_or_b32 exec_lo, exec_lo, s0
	v_cmp_lt_u32_e32 vcc_lo, v51, v59
	s_or_b32 s1, s20, vcc_lo
	s_delay_alu instid0(SALU_CYCLE_1)
	s_and_saveexec_b32 s0, s1
	s_cbranch_execz .LBB739_478
; %bb.476:
	v_and_b32_e32 v17, 1, v58
	s_delay_alu instid0(VALU_DEP_1)
	v_cmp_eq_u32_e32 vcc_lo, 1, v17
	s_and_b32 exec_lo, exec_lo, vcc_lo
	s_cbranch_execz .LBB739_478
; %bb.477:
	v_mov_b32_e32 v52, 0
	s_lshl_b64 s[2:3], s[12:13], 3
	s_delay_alu instid0(SALU_CYCLE_1) | instskip(SKIP_1) | instid1(VALU_DEP_1)
	s_add_u32 s1, s6, s2
	s_addc_u32 s2, s7, s3
	v_lshlrev_b64 v[17:18], 3, v[51:52]
	s_delay_alu instid0(VALU_DEP_1) | instskip(NEXT) | instid1(VALU_DEP_2)
	v_add_co_u32 v17, vcc_lo, s1, v17
	v_add_co_ci_u32_e32 v18, vcc_lo, s2, v18, vcc_lo
	global_store_b64 v[17:18], v[15:16], off
.LBB739_478:
	s_or_b32 exec_lo, exec_lo, s0
	v_cmp_lt_u32_e32 vcc_lo, v49, v59
	s_or_b32 s1, s20, vcc_lo
	s_delay_alu instid0(SALU_CYCLE_1)
	s_and_saveexec_b32 s0, s1
	s_cbranch_execz .LBB739_481
; %bb.479:
	v_and_b32_e32 v17, 1, v57
	s_delay_alu instid0(VALU_DEP_1)
	v_cmp_eq_u32_e32 vcc_lo, 1, v17
	s_and_b32 exec_lo, exec_lo, vcc_lo
	s_cbranch_execz .LBB739_481
; %bb.480:
	v_mov_b32_e32 v50, 0
	s_lshl_b64 s[2:3], s[12:13], 3
	s_delay_alu instid0(SALU_CYCLE_1) | instskip(SKIP_1) | instid1(VALU_DEP_1)
	s_add_u32 s1, s6, s2
	s_addc_u32 s2, s7, s3
	v_lshlrev_b64 v[17:18], 3, v[49:50]
	s_delay_alu instid0(VALU_DEP_1) | instskip(NEXT) | instid1(VALU_DEP_2)
	v_add_co_u32 v17, vcc_lo, s1, v17
	v_add_co_ci_u32_e32 v18, vcc_lo, s2, v18, vcc_lo
	global_store_b64 v[17:18], v[9:10], off
.LBB739_481:
	;; [unrolled: 24-line block ×7, first 2 shown]
	s_or_b32 exec_lo, exec_lo, s0
.LBB739_497:
	v_cmp_eq_u32_e32 vcc_lo, 0, v0
	s_and_b32 s0, vcc_lo, s14
	s_delay_alu instid0(SALU_CYCLE_1)
	s_and_saveexec_b32 s1, s0
	s_cbranch_execz .LBB739_520
.LBB739_498:
	v_add_co_u32 v0, s0, s12, v35
	s_delay_alu instid0(VALU_DEP_1) | instskip(SKIP_1) | instid1(VALU_DEP_3)
	v_add_co_ci_u32_e64 v1, null, s13, 0, s0
	v_mov_b32_e32 v2, 0
	v_add_co_u32 v0, vcc_lo, v0, s8
	s_delay_alu instid0(VALU_DEP_3)
	v_add_co_ci_u32_e32 v1, vcc_lo, 0, v1, vcc_lo
	global_store_b64 v2, v[0:1], s[16:17]
	s_nop 0
	s_sendmsg sendmsg(MSG_DEALLOC_VGPRS)
	s_endpgm
.LBB739_499:
	s_and_b32 vcc_lo, exec_lo, s0
	s_cbranch_vccz .LBB739_497
; %bb.500:
	s_mov_b32 s0, exec_lo
	v_cmpx_eq_u32_e32 1, v33
	s_cbranch_execz .LBB739_502
; %bb.501:
	v_subrev_nc_u32_e32 v17, s8, v53
	s_delay_alu instid0(VALU_DEP_1)
	v_lshlrev_b32_e32 v17, 3, v17
	ds_store_b64 v17, v[13:14]
.LBB739_502:
	s_or_b32 exec_lo, exec_lo, s0
	v_and_b32_e32 v13, 1, v58
	s_mov_b32 s0, exec_lo
	s_delay_alu instid0(VALU_DEP_1)
	v_cmpx_eq_u32_e32 1, v13
	s_cbranch_execz .LBB739_504
; %bb.503:
	v_subrev_nc_u32_e32 v13, s8, v51
	s_delay_alu instid0(VALU_DEP_1)
	v_lshlrev_b32_e32 v13, 3, v13
	ds_store_b64 v13, v[15:16]
.LBB739_504:
	s_or_b32 exec_lo, exec_lo, s0
	v_and_b32_e32 v13, 1, v57
	s_mov_b32 s0, exec_lo
	s_delay_alu instid0(VALU_DEP_1)
	;; [unrolled: 12-line block ×7, first 2 shown]
	v_cmpx_eq_u32_e32 1, v1
	s_cbranch_execz .LBB739_516
; %bb.515:
	v_subrev_nc_u32_e32 v1, s8, v39
	s_delay_alu instid0(VALU_DEP_1)
	v_lshlrev_b32_e32 v1, 3, v1
	ds_store_b64 v1, v[3:4]
.LBB739_516:
	s_or_b32 exec_lo, exec_lo, s0
	s_delay_alu instid0(SALU_CYCLE_1)
	s_mov_b32 s1, exec_lo
	s_waitcnt lgkmcnt(0)
	s_waitcnt_vscnt null, 0x0
	s_barrier
	buffer_gl0_inv
	v_cmpx_lt_u32_e64 v0, v35
	s_cbranch_execz .LBB739_519
; %bb.517:
	s_mov_b32 s9, 0
	s_lshl_b64 s[2:3], s[12:13], 3
	s_lshl_b64 s[4:5], s[8:9], 3
	v_mov_b32_e32 v3, v0
	s_add_u32 s0, s2, s4
	s_addc_u32 s2, s3, s5
	s_add_u32 s0, s6, s0
	s_addc_u32 s2, s7, s2
	v_add_co_u32 v1, s0, s0, v55
	s_delay_alu instid0(VALU_DEP_1)
	v_add_co_ci_u32_e64 v2, null, s2, 0, s0
	.p2align	6
.LBB739_518:                            ; =>This Inner Loop Header: Depth=1
	ds_load_b64 v[4:5], v55
	v_add_nc_u32_e32 v3, 0x200, v3
	v_add_nc_u32_e32 v55, 0x1000, v55
	s_delay_alu instid0(VALU_DEP_2) | instskip(SKIP_4) | instid1(VALU_DEP_1)
	v_cmp_ge_u32_e32 vcc_lo, v3, v35
	s_or_b32 s9, vcc_lo, s9
	s_waitcnt lgkmcnt(0)
	global_store_b64 v[1:2], v[4:5], off
	v_add_co_u32 v1, s0, 0x1000, v1
	v_add_co_ci_u32_e64 v2, s0, 0, v2, s0
	s_and_not1_b32 exec_lo, exec_lo, s9
	s_cbranch_execnz .LBB739_518
.LBB739_519:
	s_or_b32 exec_lo, exec_lo, s1
	v_cmp_eq_u32_e32 vcc_lo, 0, v0
	s_and_b32 s0, vcc_lo, s14
	s_delay_alu instid0(SALU_CYCLE_1)
	s_and_saveexec_b32 s1, s0
	s_cbranch_execnz .LBB739_498
.LBB739_520:
	s_nop 0
	s_sendmsg sendmsg(MSG_DEALLOC_VGPRS)
	s_endpgm
	.section	.rodata,"a",@progbits
	.p2align	6, 0x0
	.amdhsa_kernel _ZN7rocprim17ROCPRIM_400000_NS6detail17trampoline_kernelINS0_14default_configENS1_25partition_config_selectorILNS1_17partition_subalgoE9EllbEEZZNS1_14partition_implILS5_9ELb0ES3_jPlS8_PNS0_10empty_typeENS0_5tupleIJS8_S9_EEENSB_IJS8_SA_EEENS0_18inequality_wrapperIZN2at6native12_GLOBAL__N_124unique_dim_cuda_templateIsEESt5tupleIJNSF_6TensorESK_SK_EERKSK_lbbbEUlllE0_EEPmJS9_EEE10hipError_tPvRmT3_T4_T5_T6_T7_T9_mT8_P12ihipStream_tbDpT10_ENKUlT_T0_E_clISt17integral_constantIbLb1EES19_IbLb0EEEEDaS15_S16_EUlS15_E_NS1_11comp_targetILNS1_3genE9ELNS1_11target_archE1100ELNS1_3gpuE3ELNS1_3repE0EEENS1_30default_config_static_selectorELNS0_4arch9wavefront6targetE0EEEvT1_
		.amdhsa_group_segment_fixed_size 33804
		.amdhsa_private_segment_fixed_size 0
		.amdhsa_kernarg_size 120
		.amdhsa_user_sgpr_count 15
		.amdhsa_user_sgpr_dispatch_ptr 0
		.amdhsa_user_sgpr_queue_ptr 0
		.amdhsa_user_sgpr_kernarg_segment_ptr 1
		.amdhsa_user_sgpr_dispatch_id 0
		.amdhsa_user_sgpr_private_segment_size 0
		.amdhsa_wavefront_size32 1
		.amdhsa_uses_dynamic_stack 0
		.amdhsa_enable_private_segment 0
		.amdhsa_system_sgpr_workgroup_id_x 1
		.amdhsa_system_sgpr_workgroup_id_y 0
		.amdhsa_system_sgpr_workgroup_id_z 0
		.amdhsa_system_sgpr_workgroup_info 0
		.amdhsa_system_vgpr_workitem_id 0
		.amdhsa_next_free_vgpr 68
		.amdhsa_next_free_sgpr 36
		.amdhsa_reserve_vcc 1
		.amdhsa_float_round_mode_32 0
		.amdhsa_float_round_mode_16_64 0
		.amdhsa_float_denorm_mode_32 3
		.amdhsa_float_denorm_mode_16_64 3
		.amdhsa_dx10_clamp 1
		.amdhsa_ieee_mode 1
		.amdhsa_fp16_overflow 0
		.amdhsa_workgroup_processor_mode 1
		.amdhsa_memory_ordered 1
		.amdhsa_forward_progress 0
		.amdhsa_shared_vgpr_count 0
		.amdhsa_exception_fp_ieee_invalid_op 0
		.amdhsa_exception_fp_denorm_src 0
		.amdhsa_exception_fp_ieee_div_zero 0
		.amdhsa_exception_fp_ieee_overflow 0
		.amdhsa_exception_fp_ieee_underflow 0
		.amdhsa_exception_fp_ieee_inexact 0
		.amdhsa_exception_int_div_zero 0
	.end_amdhsa_kernel
	.section	.text._ZN7rocprim17ROCPRIM_400000_NS6detail17trampoline_kernelINS0_14default_configENS1_25partition_config_selectorILNS1_17partition_subalgoE9EllbEEZZNS1_14partition_implILS5_9ELb0ES3_jPlS8_PNS0_10empty_typeENS0_5tupleIJS8_S9_EEENSB_IJS8_SA_EEENS0_18inequality_wrapperIZN2at6native12_GLOBAL__N_124unique_dim_cuda_templateIsEESt5tupleIJNSF_6TensorESK_SK_EERKSK_lbbbEUlllE0_EEPmJS9_EEE10hipError_tPvRmT3_T4_T5_T6_T7_T9_mT8_P12ihipStream_tbDpT10_ENKUlT_T0_E_clISt17integral_constantIbLb1EES19_IbLb0EEEEDaS15_S16_EUlS15_E_NS1_11comp_targetILNS1_3genE9ELNS1_11target_archE1100ELNS1_3gpuE3ELNS1_3repE0EEENS1_30default_config_static_selectorELNS0_4arch9wavefront6targetE0EEEvT1_,"axG",@progbits,_ZN7rocprim17ROCPRIM_400000_NS6detail17trampoline_kernelINS0_14default_configENS1_25partition_config_selectorILNS1_17partition_subalgoE9EllbEEZZNS1_14partition_implILS5_9ELb0ES3_jPlS8_PNS0_10empty_typeENS0_5tupleIJS8_S9_EEENSB_IJS8_SA_EEENS0_18inequality_wrapperIZN2at6native12_GLOBAL__N_124unique_dim_cuda_templateIsEESt5tupleIJNSF_6TensorESK_SK_EERKSK_lbbbEUlllE0_EEPmJS9_EEE10hipError_tPvRmT3_T4_T5_T6_T7_T9_mT8_P12ihipStream_tbDpT10_ENKUlT_T0_E_clISt17integral_constantIbLb1EES19_IbLb0EEEEDaS15_S16_EUlS15_E_NS1_11comp_targetILNS1_3genE9ELNS1_11target_archE1100ELNS1_3gpuE3ELNS1_3repE0EEENS1_30default_config_static_selectorELNS0_4arch9wavefront6targetE0EEEvT1_,comdat
.Lfunc_end739:
	.size	_ZN7rocprim17ROCPRIM_400000_NS6detail17trampoline_kernelINS0_14default_configENS1_25partition_config_selectorILNS1_17partition_subalgoE9EllbEEZZNS1_14partition_implILS5_9ELb0ES3_jPlS8_PNS0_10empty_typeENS0_5tupleIJS8_S9_EEENSB_IJS8_SA_EEENS0_18inequality_wrapperIZN2at6native12_GLOBAL__N_124unique_dim_cuda_templateIsEESt5tupleIJNSF_6TensorESK_SK_EERKSK_lbbbEUlllE0_EEPmJS9_EEE10hipError_tPvRmT3_T4_T5_T6_T7_T9_mT8_P12ihipStream_tbDpT10_ENKUlT_T0_E_clISt17integral_constantIbLb1EES19_IbLb0EEEEDaS15_S16_EUlS15_E_NS1_11comp_targetILNS1_3genE9ELNS1_11target_archE1100ELNS1_3gpuE3ELNS1_3repE0EEENS1_30default_config_static_selectorELNS0_4arch9wavefront6targetE0EEEvT1_, .Lfunc_end739-_ZN7rocprim17ROCPRIM_400000_NS6detail17trampoline_kernelINS0_14default_configENS1_25partition_config_selectorILNS1_17partition_subalgoE9EllbEEZZNS1_14partition_implILS5_9ELb0ES3_jPlS8_PNS0_10empty_typeENS0_5tupleIJS8_S9_EEENSB_IJS8_SA_EEENS0_18inequality_wrapperIZN2at6native12_GLOBAL__N_124unique_dim_cuda_templateIsEESt5tupleIJNSF_6TensorESK_SK_EERKSK_lbbbEUlllE0_EEPmJS9_EEE10hipError_tPvRmT3_T4_T5_T6_T7_T9_mT8_P12ihipStream_tbDpT10_ENKUlT_T0_E_clISt17integral_constantIbLb1EES19_IbLb0EEEEDaS15_S16_EUlS15_E_NS1_11comp_targetILNS1_3genE9ELNS1_11target_archE1100ELNS1_3gpuE3ELNS1_3repE0EEENS1_30default_config_static_selectorELNS0_4arch9wavefront6targetE0EEEvT1_
                                        ; -- End function
	.section	.AMDGPU.csdata,"",@progbits
; Kernel info:
; codeLenInByte = 20588
; NumSgprs: 38
; NumVgprs: 68
; ScratchSize: 0
; MemoryBound: 0
; FloatMode: 240
; IeeeMode: 1
; LDSByteSize: 33804 bytes/workgroup (compile time only)
; SGPRBlocks: 4
; VGPRBlocks: 8
; NumSGPRsForWavesPerEU: 38
; NumVGPRsForWavesPerEU: 68
; Occupancy: 12
; WaveLimiterHint : 1
; COMPUTE_PGM_RSRC2:SCRATCH_EN: 0
; COMPUTE_PGM_RSRC2:USER_SGPR: 15
; COMPUTE_PGM_RSRC2:TRAP_HANDLER: 0
; COMPUTE_PGM_RSRC2:TGID_X_EN: 1
; COMPUTE_PGM_RSRC2:TGID_Y_EN: 0
; COMPUTE_PGM_RSRC2:TGID_Z_EN: 0
; COMPUTE_PGM_RSRC2:TIDIG_COMP_CNT: 0
	.section	.text._ZN7rocprim17ROCPRIM_400000_NS6detail17trampoline_kernelINS0_14default_configENS1_25partition_config_selectorILNS1_17partition_subalgoE9EllbEEZZNS1_14partition_implILS5_9ELb0ES3_jPlS8_PNS0_10empty_typeENS0_5tupleIJS8_S9_EEENSB_IJS8_SA_EEENS0_18inequality_wrapperIZN2at6native12_GLOBAL__N_124unique_dim_cuda_templateIsEESt5tupleIJNSF_6TensorESK_SK_EERKSK_lbbbEUlllE0_EEPmJS9_EEE10hipError_tPvRmT3_T4_T5_T6_T7_T9_mT8_P12ihipStream_tbDpT10_ENKUlT_T0_E_clISt17integral_constantIbLb1EES19_IbLb0EEEEDaS15_S16_EUlS15_E_NS1_11comp_targetILNS1_3genE8ELNS1_11target_archE1030ELNS1_3gpuE2ELNS1_3repE0EEENS1_30default_config_static_selectorELNS0_4arch9wavefront6targetE0EEEvT1_,"axG",@progbits,_ZN7rocprim17ROCPRIM_400000_NS6detail17trampoline_kernelINS0_14default_configENS1_25partition_config_selectorILNS1_17partition_subalgoE9EllbEEZZNS1_14partition_implILS5_9ELb0ES3_jPlS8_PNS0_10empty_typeENS0_5tupleIJS8_S9_EEENSB_IJS8_SA_EEENS0_18inequality_wrapperIZN2at6native12_GLOBAL__N_124unique_dim_cuda_templateIsEESt5tupleIJNSF_6TensorESK_SK_EERKSK_lbbbEUlllE0_EEPmJS9_EEE10hipError_tPvRmT3_T4_T5_T6_T7_T9_mT8_P12ihipStream_tbDpT10_ENKUlT_T0_E_clISt17integral_constantIbLb1EES19_IbLb0EEEEDaS15_S16_EUlS15_E_NS1_11comp_targetILNS1_3genE8ELNS1_11target_archE1030ELNS1_3gpuE2ELNS1_3repE0EEENS1_30default_config_static_selectorELNS0_4arch9wavefront6targetE0EEEvT1_,comdat
	.globl	_ZN7rocprim17ROCPRIM_400000_NS6detail17trampoline_kernelINS0_14default_configENS1_25partition_config_selectorILNS1_17partition_subalgoE9EllbEEZZNS1_14partition_implILS5_9ELb0ES3_jPlS8_PNS0_10empty_typeENS0_5tupleIJS8_S9_EEENSB_IJS8_SA_EEENS0_18inequality_wrapperIZN2at6native12_GLOBAL__N_124unique_dim_cuda_templateIsEESt5tupleIJNSF_6TensorESK_SK_EERKSK_lbbbEUlllE0_EEPmJS9_EEE10hipError_tPvRmT3_T4_T5_T6_T7_T9_mT8_P12ihipStream_tbDpT10_ENKUlT_T0_E_clISt17integral_constantIbLb1EES19_IbLb0EEEEDaS15_S16_EUlS15_E_NS1_11comp_targetILNS1_3genE8ELNS1_11target_archE1030ELNS1_3gpuE2ELNS1_3repE0EEENS1_30default_config_static_selectorELNS0_4arch9wavefront6targetE0EEEvT1_ ; -- Begin function _ZN7rocprim17ROCPRIM_400000_NS6detail17trampoline_kernelINS0_14default_configENS1_25partition_config_selectorILNS1_17partition_subalgoE9EllbEEZZNS1_14partition_implILS5_9ELb0ES3_jPlS8_PNS0_10empty_typeENS0_5tupleIJS8_S9_EEENSB_IJS8_SA_EEENS0_18inequality_wrapperIZN2at6native12_GLOBAL__N_124unique_dim_cuda_templateIsEESt5tupleIJNSF_6TensorESK_SK_EERKSK_lbbbEUlllE0_EEPmJS9_EEE10hipError_tPvRmT3_T4_T5_T6_T7_T9_mT8_P12ihipStream_tbDpT10_ENKUlT_T0_E_clISt17integral_constantIbLb1EES19_IbLb0EEEEDaS15_S16_EUlS15_E_NS1_11comp_targetILNS1_3genE8ELNS1_11target_archE1030ELNS1_3gpuE2ELNS1_3repE0EEENS1_30default_config_static_selectorELNS0_4arch9wavefront6targetE0EEEvT1_
	.p2align	8
	.type	_ZN7rocprim17ROCPRIM_400000_NS6detail17trampoline_kernelINS0_14default_configENS1_25partition_config_selectorILNS1_17partition_subalgoE9EllbEEZZNS1_14partition_implILS5_9ELb0ES3_jPlS8_PNS0_10empty_typeENS0_5tupleIJS8_S9_EEENSB_IJS8_SA_EEENS0_18inequality_wrapperIZN2at6native12_GLOBAL__N_124unique_dim_cuda_templateIsEESt5tupleIJNSF_6TensorESK_SK_EERKSK_lbbbEUlllE0_EEPmJS9_EEE10hipError_tPvRmT3_T4_T5_T6_T7_T9_mT8_P12ihipStream_tbDpT10_ENKUlT_T0_E_clISt17integral_constantIbLb1EES19_IbLb0EEEEDaS15_S16_EUlS15_E_NS1_11comp_targetILNS1_3genE8ELNS1_11target_archE1030ELNS1_3gpuE2ELNS1_3repE0EEENS1_30default_config_static_selectorELNS0_4arch9wavefront6targetE0EEEvT1_,@function
_ZN7rocprim17ROCPRIM_400000_NS6detail17trampoline_kernelINS0_14default_configENS1_25partition_config_selectorILNS1_17partition_subalgoE9EllbEEZZNS1_14partition_implILS5_9ELb0ES3_jPlS8_PNS0_10empty_typeENS0_5tupleIJS8_S9_EEENSB_IJS8_SA_EEENS0_18inequality_wrapperIZN2at6native12_GLOBAL__N_124unique_dim_cuda_templateIsEESt5tupleIJNSF_6TensorESK_SK_EERKSK_lbbbEUlllE0_EEPmJS9_EEE10hipError_tPvRmT3_T4_T5_T6_T7_T9_mT8_P12ihipStream_tbDpT10_ENKUlT_T0_E_clISt17integral_constantIbLb1EES19_IbLb0EEEEDaS15_S16_EUlS15_E_NS1_11comp_targetILNS1_3genE8ELNS1_11target_archE1030ELNS1_3gpuE2ELNS1_3repE0EEENS1_30default_config_static_selectorELNS0_4arch9wavefront6targetE0EEEvT1_: ; @_ZN7rocprim17ROCPRIM_400000_NS6detail17trampoline_kernelINS0_14default_configENS1_25partition_config_selectorILNS1_17partition_subalgoE9EllbEEZZNS1_14partition_implILS5_9ELb0ES3_jPlS8_PNS0_10empty_typeENS0_5tupleIJS8_S9_EEENSB_IJS8_SA_EEENS0_18inequality_wrapperIZN2at6native12_GLOBAL__N_124unique_dim_cuda_templateIsEESt5tupleIJNSF_6TensorESK_SK_EERKSK_lbbbEUlllE0_EEPmJS9_EEE10hipError_tPvRmT3_T4_T5_T6_T7_T9_mT8_P12ihipStream_tbDpT10_ENKUlT_T0_E_clISt17integral_constantIbLb1EES19_IbLb0EEEEDaS15_S16_EUlS15_E_NS1_11comp_targetILNS1_3genE8ELNS1_11target_archE1030ELNS1_3gpuE2ELNS1_3repE0EEENS1_30default_config_static_selectorELNS0_4arch9wavefront6targetE0EEEvT1_
; %bb.0:
	.section	.rodata,"a",@progbits
	.p2align	6, 0x0
	.amdhsa_kernel _ZN7rocprim17ROCPRIM_400000_NS6detail17trampoline_kernelINS0_14default_configENS1_25partition_config_selectorILNS1_17partition_subalgoE9EllbEEZZNS1_14partition_implILS5_9ELb0ES3_jPlS8_PNS0_10empty_typeENS0_5tupleIJS8_S9_EEENSB_IJS8_SA_EEENS0_18inequality_wrapperIZN2at6native12_GLOBAL__N_124unique_dim_cuda_templateIsEESt5tupleIJNSF_6TensorESK_SK_EERKSK_lbbbEUlllE0_EEPmJS9_EEE10hipError_tPvRmT3_T4_T5_T6_T7_T9_mT8_P12ihipStream_tbDpT10_ENKUlT_T0_E_clISt17integral_constantIbLb1EES19_IbLb0EEEEDaS15_S16_EUlS15_E_NS1_11comp_targetILNS1_3genE8ELNS1_11target_archE1030ELNS1_3gpuE2ELNS1_3repE0EEENS1_30default_config_static_selectorELNS0_4arch9wavefront6targetE0EEEvT1_
		.amdhsa_group_segment_fixed_size 0
		.amdhsa_private_segment_fixed_size 0
		.amdhsa_kernarg_size 120
		.amdhsa_user_sgpr_count 15
		.amdhsa_user_sgpr_dispatch_ptr 0
		.amdhsa_user_sgpr_queue_ptr 0
		.amdhsa_user_sgpr_kernarg_segment_ptr 1
		.amdhsa_user_sgpr_dispatch_id 0
		.amdhsa_user_sgpr_private_segment_size 0
		.amdhsa_wavefront_size32 1
		.amdhsa_uses_dynamic_stack 0
		.amdhsa_enable_private_segment 0
		.amdhsa_system_sgpr_workgroup_id_x 1
		.amdhsa_system_sgpr_workgroup_id_y 0
		.amdhsa_system_sgpr_workgroup_id_z 0
		.amdhsa_system_sgpr_workgroup_info 0
		.amdhsa_system_vgpr_workitem_id 0
		.amdhsa_next_free_vgpr 1
		.amdhsa_next_free_sgpr 1
		.amdhsa_reserve_vcc 0
		.amdhsa_float_round_mode_32 0
		.amdhsa_float_round_mode_16_64 0
		.amdhsa_float_denorm_mode_32 3
		.amdhsa_float_denorm_mode_16_64 3
		.amdhsa_dx10_clamp 1
		.amdhsa_ieee_mode 1
		.amdhsa_fp16_overflow 0
		.amdhsa_workgroup_processor_mode 1
		.amdhsa_memory_ordered 1
		.amdhsa_forward_progress 0
		.amdhsa_shared_vgpr_count 0
		.amdhsa_exception_fp_ieee_invalid_op 0
		.amdhsa_exception_fp_denorm_src 0
		.amdhsa_exception_fp_ieee_div_zero 0
		.amdhsa_exception_fp_ieee_overflow 0
		.amdhsa_exception_fp_ieee_underflow 0
		.amdhsa_exception_fp_ieee_inexact 0
		.amdhsa_exception_int_div_zero 0
	.end_amdhsa_kernel
	.section	.text._ZN7rocprim17ROCPRIM_400000_NS6detail17trampoline_kernelINS0_14default_configENS1_25partition_config_selectorILNS1_17partition_subalgoE9EllbEEZZNS1_14partition_implILS5_9ELb0ES3_jPlS8_PNS0_10empty_typeENS0_5tupleIJS8_S9_EEENSB_IJS8_SA_EEENS0_18inequality_wrapperIZN2at6native12_GLOBAL__N_124unique_dim_cuda_templateIsEESt5tupleIJNSF_6TensorESK_SK_EERKSK_lbbbEUlllE0_EEPmJS9_EEE10hipError_tPvRmT3_T4_T5_T6_T7_T9_mT8_P12ihipStream_tbDpT10_ENKUlT_T0_E_clISt17integral_constantIbLb1EES19_IbLb0EEEEDaS15_S16_EUlS15_E_NS1_11comp_targetILNS1_3genE8ELNS1_11target_archE1030ELNS1_3gpuE2ELNS1_3repE0EEENS1_30default_config_static_selectorELNS0_4arch9wavefront6targetE0EEEvT1_,"axG",@progbits,_ZN7rocprim17ROCPRIM_400000_NS6detail17trampoline_kernelINS0_14default_configENS1_25partition_config_selectorILNS1_17partition_subalgoE9EllbEEZZNS1_14partition_implILS5_9ELb0ES3_jPlS8_PNS0_10empty_typeENS0_5tupleIJS8_S9_EEENSB_IJS8_SA_EEENS0_18inequality_wrapperIZN2at6native12_GLOBAL__N_124unique_dim_cuda_templateIsEESt5tupleIJNSF_6TensorESK_SK_EERKSK_lbbbEUlllE0_EEPmJS9_EEE10hipError_tPvRmT3_T4_T5_T6_T7_T9_mT8_P12ihipStream_tbDpT10_ENKUlT_T0_E_clISt17integral_constantIbLb1EES19_IbLb0EEEEDaS15_S16_EUlS15_E_NS1_11comp_targetILNS1_3genE8ELNS1_11target_archE1030ELNS1_3gpuE2ELNS1_3repE0EEENS1_30default_config_static_selectorELNS0_4arch9wavefront6targetE0EEEvT1_,comdat
.Lfunc_end740:
	.size	_ZN7rocprim17ROCPRIM_400000_NS6detail17trampoline_kernelINS0_14default_configENS1_25partition_config_selectorILNS1_17partition_subalgoE9EllbEEZZNS1_14partition_implILS5_9ELb0ES3_jPlS8_PNS0_10empty_typeENS0_5tupleIJS8_S9_EEENSB_IJS8_SA_EEENS0_18inequality_wrapperIZN2at6native12_GLOBAL__N_124unique_dim_cuda_templateIsEESt5tupleIJNSF_6TensorESK_SK_EERKSK_lbbbEUlllE0_EEPmJS9_EEE10hipError_tPvRmT3_T4_T5_T6_T7_T9_mT8_P12ihipStream_tbDpT10_ENKUlT_T0_E_clISt17integral_constantIbLb1EES19_IbLb0EEEEDaS15_S16_EUlS15_E_NS1_11comp_targetILNS1_3genE8ELNS1_11target_archE1030ELNS1_3gpuE2ELNS1_3repE0EEENS1_30default_config_static_selectorELNS0_4arch9wavefront6targetE0EEEvT1_, .Lfunc_end740-_ZN7rocprim17ROCPRIM_400000_NS6detail17trampoline_kernelINS0_14default_configENS1_25partition_config_selectorILNS1_17partition_subalgoE9EllbEEZZNS1_14partition_implILS5_9ELb0ES3_jPlS8_PNS0_10empty_typeENS0_5tupleIJS8_S9_EEENSB_IJS8_SA_EEENS0_18inequality_wrapperIZN2at6native12_GLOBAL__N_124unique_dim_cuda_templateIsEESt5tupleIJNSF_6TensorESK_SK_EERKSK_lbbbEUlllE0_EEPmJS9_EEE10hipError_tPvRmT3_T4_T5_T6_T7_T9_mT8_P12ihipStream_tbDpT10_ENKUlT_T0_E_clISt17integral_constantIbLb1EES19_IbLb0EEEEDaS15_S16_EUlS15_E_NS1_11comp_targetILNS1_3genE8ELNS1_11target_archE1030ELNS1_3gpuE2ELNS1_3repE0EEENS1_30default_config_static_selectorELNS0_4arch9wavefront6targetE0EEEvT1_
                                        ; -- End function
	.section	.AMDGPU.csdata,"",@progbits
; Kernel info:
; codeLenInByte = 0
; NumSgprs: 0
; NumVgprs: 0
; ScratchSize: 0
; MemoryBound: 0
; FloatMode: 240
; IeeeMode: 1
; LDSByteSize: 0 bytes/workgroup (compile time only)
; SGPRBlocks: 0
; VGPRBlocks: 0
; NumSGPRsForWavesPerEU: 1
; NumVGPRsForWavesPerEU: 1
; Occupancy: 16
; WaveLimiterHint : 0
; COMPUTE_PGM_RSRC2:SCRATCH_EN: 0
; COMPUTE_PGM_RSRC2:USER_SGPR: 15
; COMPUTE_PGM_RSRC2:TRAP_HANDLER: 0
; COMPUTE_PGM_RSRC2:TGID_X_EN: 1
; COMPUTE_PGM_RSRC2:TGID_Y_EN: 0
; COMPUTE_PGM_RSRC2:TGID_Z_EN: 0
; COMPUTE_PGM_RSRC2:TIDIG_COMP_CNT: 0
	.section	.text._ZN7rocprim17ROCPRIM_400000_NS6detail17trampoline_kernelINS0_14default_configENS1_25partition_config_selectorILNS1_17partition_subalgoE9EllbEEZZNS1_14partition_implILS5_9ELb0ES3_jPlS8_PNS0_10empty_typeENS0_5tupleIJS8_S9_EEENSB_IJS8_SA_EEENS0_18inequality_wrapperIZN2at6native12_GLOBAL__N_124unique_dim_cuda_templateIsEESt5tupleIJNSF_6TensorESK_SK_EERKSK_lbbbEUlllE0_EEPmJS9_EEE10hipError_tPvRmT3_T4_T5_T6_T7_T9_mT8_P12ihipStream_tbDpT10_ENKUlT_T0_E_clISt17integral_constantIbLb0EES19_IbLb1EEEEDaS15_S16_EUlS15_E_NS1_11comp_targetILNS1_3genE0ELNS1_11target_archE4294967295ELNS1_3gpuE0ELNS1_3repE0EEENS1_30default_config_static_selectorELNS0_4arch9wavefront6targetE0EEEvT1_,"axG",@progbits,_ZN7rocprim17ROCPRIM_400000_NS6detail17trampoline_kernelINS0_14default_configENS1_25partition_config_selectorILNS1_17partition_subalgoE9EllbEEZZNS1_14partition_implILS5_9ELb0ES3_jPlS8_PNS0_10empty_typeENS0_5tupleIJS8_S9_EEENSB_IJS8_SA_EEENS0_18inequality_wrapperIZN2at6native12_GLOBAL__N_124unique_dim_cuda_templateIsEESt5tupleIJNSF_6TensorESK_SK_EERKSK_lbbbEUlllE0_EEPmJS9_EEE10hipError_tPvRmT3_T4_T5_T6_T7_T9_mT8_P12ihipStream_tbDpT10_ENKUlT_T0_E_clISt17integral_constantIbLb0EES19_IbLb1EEEEDaS15_S16_EUlS15_E_NS1_11comp_targetILNS1_3genE0ELNS1_11target_archE4294967295ELNS1_3gpuE0ELNS1_3repE0EEENS1_30default_config_static_selectorELNS0_4arch9wavefront6targetE0EEEvT1_,comdat
	.globl	_ZN7rocprim17ROCPRIM_400000_NS6detail17trampoline_kernelINS0_14default_configENS1_25partition_config_selectorILNS1_17partition_subalgoE9EllbEEZZNS1_14partition_implILS5_9ELb0ES3_jPlS8_PNS0_10empty_typeENS0_5tupleIJS8_S9_EEENSB_IJS8_SA_EEENS0_18inequality_wrapperIZN2at6native12_GLOBAL__N_124unique_dim_cuda_templateIsEESt5tupleIJNSF_6TensorESK_SK_EERKSK_lbbbEUlllE0_EEPmJS9_EEE10hipError_tPvRmT3_T4_T5_T6_T7_T9_mT8_P12ihipStream_tbDpT10_ENKUlT_T0_E_clISt17integral_constantIbLb0EES19_IbLb1EEEEDaS15_S16_EUlS15_E_NS1_11comp_targetILNS1_3genE0ELNS1_11target_archE4294967295ELNS1_3gpuE0ELNS1_3repE0EEENS1_30default_config_static_selectorELNS0_4arch9wavefront6targetE0EEEvT1_ ; -- Begin function _ZN7rocprim17ROCPRIM_400000_NS6detail17trampoline_kernelINS0_14default_configENS1_25partition_config_selectorILNS1_17partition_subalgoE9EllbEEZZNS1_14partition_implILS5_9ELb0ES3_jPlS8_PNS0_10empty_typeENS0_5tupleIJS8_S9_EEENSB_IJS8_SA_EEENS0_18inequality_wrapperIZN2at6native12_GLOBAL__N_124unique_dim_cuda_templateIsEESt5tupleIJNSF_6TensorESK_SK_EERKSK_lbbbEUlllE0_EEPmJS9_EEE10hipError_tPvRmT3_T4_T5_T6_T7_T9_mT8_P12ihipStream_tbDpT10_ENKUlT_T0_E_clISt17integral_constantIbLb0EES19_IbLb1EEEEDaS15_S16_EUlS15_E_NS1_11comp_targetILNS1_3genE0ELNS1_11target_archE4294967295ELNS1_3gpuE0ELNS1_3repE0EEENS1_30default_config_static_selectorELNS0_4arch9wavefront6targetE0EEEvT1_
	.p2align	8
	.type	_ZN7rocprim17ROCPRIM_400000_NS6detail17trampoline_kernelINS0_14default_configENS1_25partition_config_selectorILNS1_17partition_subalgoE9EllbEEZZNS1_14partition_implILS5_9ELb0ES3_jPlS8_PNS0_10empty_typeENS0_5tupleIJS8_S9_EEENSB_IJS8_SA_EEENS0_18inequality_wrapperIZN2at6native12_GLOBAL__N_124unique_dim_cuda_templateIsEESt5tupleIJNSF_6TensorESK_SK_EERKSK_lbbbEUlllE0_EEPmJS9_EEE10hipError_tPvRmT3_T4_T5_T6_T7_T9_mT8_P12ihipStream_tbDpT10_ENKUlT_T0_E_clISt17integral_constantIbLb0EES19_IbLb1EEEEDaS15_S16_EUlS15_E_NS1_11comp_targetILNS1_3genE0ELNS1_11target_archE4294967295ELNS1_3gpuE0ELNS1_3repE0EEENS1_30default_config_static_selectorELNS0_4arch9wavefront6targetE0EEEvT1_,@function
_ZN7rocprim17ROCPRIM_400000_NS6detail17trampoline_kernelINS0_14default_configENS1_25partition_config_selectorILNS1_17partition_subalgoE9EllbEEZZNS1_14partition_implILS5_9ELb0ES3_jPlS8_PNS0_10empty_typeENS0_5tupleIJS8_S9_EEENSB_IJS8_SA_EEENS0_18inequality_wrapperIZN2at6native12_GLOBAL__N_124unique_dim_cuda_templateIsEESt5tupleIJNSF_6TensorESK_SK_EERKSK_lbbbEUlllE0_EEPmJS9_EEE10hipError_tPvRmT3_T4_T5_T6_T7_T9_mT8_P12ihipStream_tbDpT10_ENKUlT_T0_E_clISt17integral_constantIbLb0EES19_IbLb1EEEEDaS15_S16_EUlS15_E_NS1_11comp_targetILNS1_3genE0ELNS1_11target_archE4294967295ELNS1_3gpuE0ELNS1_3repE0EEENS1_30default_config_static_selectorELNS0_4arch9wavefront6targetE0EEEvT1_: ; @_ZN7rocprim17ROCPRIM_400000_NS6detail17trampoline_kernelINS0_14default_configENS1_25partition_config_selectorILNS1_17partition_subalgoE9EllbEEZZNS1_14partition_implILS5_9ELb0ES3_jPlS8_PNS0_10empty_typeENS0_5tupleIJS8_S9_EEENSB_IJS8_SA_EEENS0_18inequality_wrapperIZN2at6native12_GLOBAL__N_124unique_dim_cuda_templateIsEESt5tupleIJNSF_6TensorESK_SK_EERKSK_lbbbEUlllE0_EEPmJS9_EEE10hipError_tPvRmT3_T4_T5_T6_T7_T9_mT8_P12ihipStream_tbDpT10_ENKUlT_T0_E_clISt17integral_constantIbLb0EES19_IbLb1EEEEDaS15_S16_EUlS15_E_NS1_11comp_targetILNS1_3genE0ELNS1_11target_archE4294967295ELNS1_3gpuE0ELNS1_3repE0EEENS1_30default_config_static_selectorELNS0_4arch9wavefront6targetE0EEEvT1_
; %bb.0:
	.section	.rodata,"a",@progbits
	.p2align	6, 0x0
	.amdhsa_kernel _ZN7rocprim17ROCPRIM_400000_NS6detail17trampoline_kernelINS0_14default_configENS1_25partition_config_selectorILNS1_17partition_subalgoE9EllbEEZZNS1_14partition_implILS5_9ELb0ES3_jPlS8_PNS0_10empty_typeENS0_5tupleIJS8_S9_EEENSB_IJS8_SA_EEENS0_18inequality_wrapperIZN2at6native12_GLOBAL__N_124unique_dim_cuda_templateIsEESt5tupleIJNSF_6TensorESK_SK_EERKSK_lbbbEUlllE0_EEPmJS9_EEE10hipError_tPvRmT3_T4_T5_T6_T7_T9_mT8_P12ihipStream_tbDpT10_ENKUlT_T0_E_clISt17integral_constantIbLb0EES19_IbLb1EEEEDaS15_S16_EUlS15_E_NS1_11comp_targetILNS1_3genE0ELNS1_11target_archE4294967295ELNS1_3gpuE0ELNS1_3repE0EEENS1_30default_config_static_selectorELNS0_4arch9wavefront6targetE0EEEvT1_
		.amdhsa_group_segment_fixed_size 0
		.amdhsa_private_segment_fixed_size 0
		.amdhsa_kernarg_size 136
		.amdhsa_user_sgpr_count 15
		.amdhsa_user_sgpr_dispatch_ptr 0
		.amdhsa_user_sgpr_queue_ptr 0
		.amdhsa_user_sgpr_kernarg_segment_ptr 1
		.amdhsa_user_sgpr_dispatch_id 0
		.amdhsa_user_sgpr_private_segment_size 0
		.amdhsa_wavefront_size32 1
		.amdhsa_uses_dynamic_stack 0
		.amdhsa_enable_private_segment 0
		.amdhsa_system_sgpr_workgroup_id_x 1
		.amdhsa_system_sgpr_workgroup_id_y 0
		.amdhsa_system_sgpr_workgroup_id_z 0
		.amdhsa_system_sgpr_workgroup_info 0
		.amdhsa_system_vgpr_workitem_id 0
		.amdhsa_next_free_vgpr 1
		.amdhsa_next_free_sgpr 1
		.amdhsa_reserve_vcc 0
		.amdhsa_float_round_mode_32 0
		.amdhsa_float_round_mode_16_64 0
		.amdhsa_float_denorm_mode_32 3
		.amdhsa_float_denorm_mode_16_64 3
		.amdhsa_dx10_clamp 1
		.amdhsa_ieee_mode 1
		.amdhsa_fp16_overflow 0
		.amdhsa_workgroup_processor_mode 1
		.amdhsa_memory_ordered 1
		.amdhsa_forward_progress 0
		.amdhsa_shared_vgpr_count 0
		.amdhsa_exception_fp_ieee_invalid_op 0
		.amdhsa_exception_fp_denorm_src 0
		.amdhsa_exception_fp_ieee_div_zero 0
		.amdhsa_exception_fp_ieee_overflow 0
		.amdhsa_exception_fp_ieee_underflow 0
		.amdhsa_exception_fp_ieee_inexact 0
		.amdhsa_exception_int_div_zero 0
	.end_amdhsa_kernel
	.section	.text._ZN7rocprim17ROCPRIM_400000_NS6detail17trampoline_kernelINS0_14default_configENS1_25partition_config_selectorILNS1_17partition_subalgoE9EllbEEZZNS1_14partition_implILS5_9ELb0ES3_jPlS8_PNS0_10empty_typeENS0_5tupleIJS8_S9_EEENSB_IJS8_SA_EEENS0_18inequality_wrapperIZN2at6native12_GLOBAL__N_124unique_dim_cuda_templateIsEESt5tupleIJNSF_6TensorESK_SK_EERKSK_lbbbEUlllE0_EEPmJS9_EEE10hipError_tPvRmT3_T4_T5_T6_T7_T9_mT8_P12ihipStream_tbDpT10_ENKUlT_T0_E_clISt17integral_constantIbLb0EES19_IbLb1EEEEDaS15_S16_EUlS15_E_NS1_11comp_targetILNS1_3genE0ELNS1_11target_archE4294967295ELNS1_3gpuE0ELNS1_3repE0EEENS1_30default_config_static_selectorELNS0_4arch9wavefront6targetE0EEEvT1_,"axG",@progbits,_ZN7rocprim17ROCPRIM_400000_NS6detail17trampoline_kernelINS0_14default_configENS1_25partition_config_selectorILNS1_17partition_subalgoE9EllbEEZZNS1_14partition_implILS5_9ELb0ES3_jPlS8_PNS0_10empty_typeENS0_5tupleIJS8_S9_EEENSB_IJS8_SA_EEENS0_18inequality_wrapperIZN2at6native12_GLOBAL__N_124unique_dim_cuda_templateIsEESt5tupleIJNSF_6TensorESK_SK_EERKSK_lbbbEUlllE0_EEPmJS9_EEE10hipError_tPvRmT3_T4_T5_T6_T7_T9_mT8_P12ihipStream_tbDpT10_ENKUlT_T0_E_clISt17integral_constantIbLb0EES19_IbLb1EEEEDaS15_S16_EUlS15_E_NS1_11comp_targetILNS1_3genE0ELNS1_11target_archE4294967295ELNS1_3gpuE0ELNS1_3repE0EEENS1_30default_config_static_selectorELNS0_4arch9wavefront6targetE0EEEvT1_,comdat
.Lfunc_end741:
	.size	_ZN7rocprim17ROCPRIM_400000_NS6detail17trampoline_kernelINS0_14default_configENS1_25partition_config_selectorILNS1_17partition_subalgoE9EllbEEZZNS1_14partition_implILS5_9ELb0ES3_jPlS8_PNS0_10empty_typeENS0_5tupleIJS8_S9_EEENSB_IJS8_SA_EEENS0_18inequality_wrapperIZN2at6native12_GLOBAL__N_124unique_dim_cuda_templateIsEESt5tupleIJNSF_6TensorESK_SK_EERKSK_lbbbEUlllE0_EEPmJS9_EEE10hipError_tPvRmT3_T4_T5_T6_T7_T9_mT8_P12ihipStream_tbDpT10_ENKUlT_T0_E_clISt17integral_constantIbLb0EES19_IbLb1EEEEDaS15_S16_EUlS15_E_NS1_11comp_targetILNS1_3genE0ELNS1_11target_archE4294967295ELNS1_3gpuE0ELNS1_3repE0EEENS1_30default_config_static_selectorELNS0_4arch9wavefront6targetE0EEEvT1_, .Lfunc_end741-_ZN7rocprim17ROCPRIM_400000_NS6detail17trampoline_kernelINS0_14default_configENS1_25partition_config_selectorILNS1_17partition_subalgoE9EllbEEZZNS1_14partition_implILS5_9ELb0ES3_jPlS8_PNS0_10empty_typeENS0_5tupleIJS8_S9_EEENSB_IJS8_SA_EEENS0_18inequality_wrapperIZN2at6native12_GLOBAL__N_124unique_dim_cuda_templateIsEESt5tupleIJNSF_6TensorESK_SK_EERKSK_lbbbEUlllE0_EEPmJS9_EEE10hipError_tPvRmT3_T4_T5_T6_T7_T9_mT8_P12ihipStream_tbDpT10_ENKUlT_T0_E_clISt17integral_constantIbLb0EES19_IbLb1EEEEDaS15_S16_EUlS15_E_NS1_11comp_targetILNS1_3genE0ELNS1_11target_archE4294967295ELNS1_3gpuE0ELNS1_3repE0EEENS1_30default_config_static_selectorELNS0_4arch9wavefront6targetE0EEEvT1_
                                        ; -- End function
	.section	.AMDGPU.csdata,"",@progbits
; Kernel info:
; codeLenInByte = 0
; NumSgprs: 0
; NumVgprs: 0
; ScratchSize: 0
; MemoryBound: 0
; FloatMode: 240
; IeeeMode: 1
; LDSByteSize: 0 bytes/workgroup (compile time only)
; SGPRBlocks: 0
; VGPRBlocks: 0
; NumSGPRsForWavesPerEU: 1
; NumVGPRsForWavesPerEU: 1
; Occupancy: 16
; WaveLimiterHint : 0
; COMPUTE_PGM_RSRC2:SCRATCH_EN: 0
; COMPUTE_PGM_RSRC2:USER_SGPR: 15
; COMPUTE_PGM_RSRC2:TRAP_HANDLER: 0
; COMPUTE_PGM_RSRC2:TGID_X_EN: 1
; COMPUTE_PGM_RSRC2:TGID_Y_EN: 0
; COMPUTE_PGM_RSRC2:TGID_Z_EN: 0
; COMPUTE_PGM_RSRC2:TIDIG_COMP_CNT: 0
	.section	.text._ZN7rocprim17ROCPRIM_400000_NS6detail17trampoline_kernelINS0_14default_configENS1_25partition_config_selectorILNS1_17partition_subalgoE9EllbEEZZNS1_14partition_implILS5_9ELb0ES3_jPlS8_PNS0_10empty_typeENS0_5tupleIJS8_S9_EEENSB_IJS8_SA_EEENS0_18inequality_wrapperIZN2at6native12_GLOBAL__N_124unique_dim_cuda_templateIsEESt5tupleIJNSF_6TensorESK_SK_EERKSK_lbbbEUlllE0_EEPmJS9_EEE10hipError_tPvRmT3_T4_T5_T6_T7_T9_mT8_P12ihipStream_tbDpT10_ENKUlT_T0_E_clISt17integral_constantIbLb0EES19_IbLb1EEEEDaS15_S16_EUlS15_E_NS1_11comp_targetILNS1_3genE5ELNS1_11target_archE942ELNS1_3gpuE9ELNS1_3repE0EEENS1_30default_config_static_selectorELNS0_4arch9wavefront6targetE0EEEvT1_,"axG",@progbits,_ZN7rocprim17ROCPRIM_400000_NS6detail17trampoline_kernelINS0_14default_configENS1_25partition_config_selectorILNS1_17partition_subalgoE9EllbEEZZNS1_14partition_implILS5_9ELb0ES3_jPlS8_PNS0_10empty_typeENS0_5tupleIJS8_S9_EEENSB_IJS8_SA_EEENS0_18inequality_wrapperIZN2at6native12_GLOBAL__N_124unique_dim_cuda_templateIsEESt5tupleIJNSF_6TensorESK_SK_EERKSK_lbbbEUlllE0_EEPmJS9_EEE10hipError_tPvRmT3_T4_T5_T6_T7_T9_mT8_P12ihipStream_tbDpT10_ENKUlT_T0_E_clISt17integral_constantIbLb0EES19_IbLb1EEEEDaS15_S16_EUlS15_E_NS1_11comp_targetILNS1_3genE5ELNS1_11target_archE942ELNS1_3gpuE9ELNS1_3repE0EEENS1_30default_config_static_selectorELNS0_4arch9wavefront6targetE0EEEvT1_,comdat
	.globl	_ZN7rocprim17ROCPRIM_400000_NS6detail17trampoline_kernelINS0_14default_configENS1_25partition_config_selectorILNS1_17partition_subalgoE9EllbEEZZNS1_14partition_implILS5_9ELb0ES3_jPlS8_PNS0_10empty_typeENS0_5tupleIJS8_S9_EEENSB_IJS8_SA_EEENS0_18inequality_wrapperIZN2at6native12_GLOBAL__N_124unique_dim_cuda_templateIsEESt5tupleIJNSF_6TensorESK_SK_EERKSK_lbbbEUlllE0_EEPmJS9_EEE10hipError_tPvRmT3_T4_T5_T6_T7_T9_mT8_P12ihipStream_tbDpT10_ENKUlT_T0_E_clISt17integral_constantIbLb0EES19_IbLb1EEEEDaS15_S16_EUlS15_E_NS1_11comp_targetILNS1_3genE5ELNS1_11target_archE942ELNS1_3gpuE9ELNS1_3repE0EEENS1_30default_config_static_selectorELNS0_4arch9wavefront6targetE0EEEvT1_ ; -- Begin function _ZN7rocprim17ROCPRIM_400000_NS6detail17trampoline_kernelINS0_14default_configENS1_25partition_config_selectorILNS1_17partition_subalgoE9EllbEEZZNS1_14partition_implILS5_9ELb0ES3_jPlS8_PNS0_10empty_typeENS0_5tupleIJS8_S9_EEENSB_IJS8_SA_EEENS0_18inequality_wrapperIZN2at6native12_GLOBAL__N_124unique_dim_cuda_templateIsEESt5tupleIJNSF_6TensorESK_SK_EERKSK_lbbbEUlllE0_EEPmJS9_EEE10hipError_tPvRmT3_T4_T5_T6_T7_T9_mT8_P12ihipStream_tbDpT10_ENKUlT_T0_E_clISt17integral_constantIbLb0EES19_IbLb1EEEEDaS15_S16_EUlS15_E_NS1_11comp_targetILNS1_3genE5ELNS1_11target_archE942ELNS1_3gpuE9ELNS1_3repE0EEENS1_30default_config_static_selectorELNS0_4arch9wavefront6targetE0EEEvT1_
	.p2align	8
	.type	_ZN7rocprim17ROCPRIM_400000_NS6detail17trampoline_kernelINS0_14default_configENS1_25partition_config_selectorILNS1_17partition_subalgoE9EllbEEZZNS1_14partition_implILS5_9ELb0ES3_jPlS8_PNS0_10empty_typeENS0_5tupleIJS8_S9_EEENSB_IJS8_SA_EEENS0_18inequality_wrapperIZN2at6native12_GLOBAL__N_124unique_dim_cuda_templateIsEESt5tupleIJNSF_6TensorESK_SK_EERKSK_lbbbEUlllE0_EEPmJS9_EEE10hipError_tPvRmT3_T4_T5_T6_T7_T9_mT8_P12ihipStream_tbDpT10_ENKUlT_T0_E_clISt17integral_constantIbLb0EES19_IbLb1EEEEDaS15_S16_EUlS15_E_NS1_11comp_targetILNS1_3genE5ELNS1_11target_archE942ELNS1_3gpuE9ELNS1_3repE0EEENS1_30default_config_static_selectorELNS0_4arch9wavefront6targetE0EEEvT1_,@function
_ZN7rocprim17ROCPRIM_400000_NS6detail17trampoline_kernelINS0_14default_configENS1_25partition_config_selectorILNS1_17partition_subalgoE9EllbEEZZNS1_14partition_implILS5_9ELb0ES3_jPlS8_PNS0_10empty_typeENS0_5tupleIJS8_S9_EEENSB_IJS8_SA_EEENS0_18inequality_wrapperIZN2at6native12_GLOBAL__N_124unique_dim_cuda_templateIsEESt5tupleIJNSF_6TensorESK_SK_EERKSK_lbbbEUlllE0_EEPmJS9_EEE10hipError_tPvRmT3_T4_T5_T6_T7_T9_mT8_P12ihipStream_tbDpT10_ENKUlT_T0_E_clISt17integral_constantIbLb0EES19_IbLb1EEEEDaS15_S16_EUlS15_E_NS1_11comp_targetILNS1_3genE5ELNS1_11target_archE942ELNS1_3gpuE9ELNS1_3repE0EEENS1_30default_config_static_selectorELNS0_4arch9wavefront6targetE0EEEvT1_: ; @_ZN7rocprim17ROCPRIM_400000_NS6detail17trampoline_kernelINS0_14default_configENS1_25partition_config_selectorILNS1_17partition_subalgoE9EllbEEZZNS1_14partition_implILS5_9ELb0ES3_jPlS8_PNS0_10empty_typeENS0_5tupleIJS8_S9_EEENSB_IJS8_SA_EEENS0_18inequality_wrapperIZN2at6native12_GLOBAL__N_124unique_dim_cuda_templateIsEESt5tupleIJNSF_6TensorESK_SK_EERKSK_lbbbEUlllE0_EEPmJS9_EEE10hipError_tPvRmT3_T4_T5_T6_T7_T9_mT8_P12ihipStream_tbDpT10_ENKUlT_T0_E_clISt17integral_constantIbLb0EES19_IbLb1EEEEDaS15_S16_EUlS15_E_NS1_11comp_targetILNS1_3genE5ELNS1_11target_archE942ELNS1_3gpuE9ELNS1_3repE0EEENS1_30default_config_static_selectorELNS0_4arch9wavefront6targetE0EEEvT1_
; %bb.0:
	.section	.rodata,"a",@progbits
	.p2align	6, 0x0
	.amdhsa_kernel _ZN7rocprim17ROCPRIM_400000_NS6detail17trampoline_kernelINS0_14default_configENS1_25partition_config_selectorILNS1_17partition_subalgoE9EllbEEZZNS1_14partition_implILS5_9ELb0ES3_jPlS8_PNS0_10empty_typeENS0_5tupleIJS8_S9_EEENSB_IJS8_SA_EEENS0_18inequality_wrapperIZN2at6native12_GLOBAL__N_124unique_dim_cuda_templateIsEESt5tupleIJNSF_6TensorESK_SK_EERKSK_lbbbEUlllE0_EEPmJS9_EEE10hipError_tPvRmT3_T4_T5_T6_T7_T9_mT8_P12ihipStream_tbDpT10_ENKUlT_T0_E_clISt17integral_constantIbLb0EES19_IbLb1EEEEDaS15_S16_EUlS15_E_NS1_11comp_targetILNS1_3genE5ELNS1_11target_archE942ELNS1_3gpuE9ELNS1_3repE0EEENS1_30default_config_static_selectorELNS0_4arch9wavefront6targetE0EEEvT1_
		.amdhsa_group_segment_fixed_size 0
		.amdhsa_private_segment_fixed_size 0
		.amdhsa_kernarg_size 136
		.amdhsa_user_sgpr_count 15
		.amdhsa_user_sgpr_dispatch_ptr 0
		.amdhsa_user_sgpr_queue_ptr 0
		.amdhsa_user_sgpr_kernarg_segment_ptr 1
		.amdhsa_user_sgpr_dispatch_id 0
		.amdhsa_user_sgpr_private_segment_size 0
		.amdhsa_wavefront_size32 1
		.amdhsa_uses_dynamic_stack 0
		.amdhsa_enable_private_segment 0
		.amdhsa_system_sgpr_workgroup_id_x 1
		.amdhsa_system_sgpr_workgroup_id_y 0
		.amdhsa_system_sgpr_workgroup_id_z 0
		.amdhsa_system_sgpr_workgroup_info 0
		.amdhsa_system_vgpr_workitem_id 0
		.amdhsa_next_free_vgpr 1
		.amdhsa_next_free_sgpr 1
		.amdhsa_reserve_vcc 0
		.amdhsa_float_round_mode_32 0
		.amdhsa_float_round_mode_16_64 0
		.amdhsa_float_denorm_mode_32 3
		.amdhsa_float_denorm_mode_16_64 3
		.amdhsa_dx10_clamp 1
		.amdhsa_ieee_mode 1
		.amdhsa_fp16_overflow 0
		.amdhsa_workgroup_processor_mode 1
		.amdhsa_memory_ordered 1
		.amdhsa_forward_progress 0
		.amdhsa_shared_vgpr_count 0
		.amdhsa_exception_fp_ieee_invalid_op 0
		.amdhsa_exception_fp_denorm_src 0
		.amdhsa_exception_fp_ieee_div_zero 0
		.amdhsa_exception_fp_ieee_overflow 0
		.amdhsa_exception_fp_ieee_underflow 0
		.amdhsa_exception_fp_ieee_inexact 0
		.amdhsa_exception_int_div_zero 0
	.end_amdhsa_kernel
	.section	.text._ZN7rocprim17ROCPRIM_400000_NS6detail17trampoline_kernelINS0_14default_configENS1_25partition_config_selectorILNS1_17partition_subalgoE9EllbEEZZNS1_14partition_implILS5_9ELb0ES3_jPlS8_PNS0_10empty_typeENS0_5tupleIJS8_S9_EEENSB_IJS8_SA_EEENS0_18inequality_wrapperIZN2at6native12_GLOBAL__N_124unique_dim_cuda_templateIsEESt5tupleIJNSF_6TensorESK_SK_EERKSK_lbbbEUlllE0_EEPmJS9_EEE10hipError_tPvRmT3_T4_T5_T6_T7_T9_mT8_P12ihipStream_tbDpT10_ENKUlT_T0_E_clISt17integral_constantIbLb0EES19_IbLb1EEEEDaS15_S16_EUlS15_E_NS1_11comp_targetILNS1_3genE5ELNS1_11target_archE942ELNS1_3gpuE9ELNS1_3repE0EEENS1_30default_config_static_selectorELNS0_4arch9wavefront6targetE0EEEvT1_,"axG",@progbits,_ZN7rocprim17ROCPRIM_400000_NS6detail17trampoline_kernelINS0_14default_configENS1_25partition_config_selectorILNS1_17partition_subalgoE9EllbEEZZNS1_14partition_implILS5_9ELb0ES3_jPlS8_PNS0_10empty_typeENS0_5tupleIJS8_S9_EEENSB_IJS8_SA_EEENS0_18inequality_wrapperIZN2at6native12_GLOBAL__N_124unique_dim_cuda_templateIsEESt5tupleIJNSF_6TensorESK_SK_EERKSK_lbbbEUlllE0_EEPmJS9_EEE10hipError_tPvRmT3_T4_T5_T6_T7_T9_mT8_P12ihipStream_tbDpT10_ENKUlT_T0_E_clISt17integral_constantIbLb0EES19_IbLb1EEEEDaS15_S16_EUlS15_E_NS1_11comp_targetILNS1_3genE5ELNS1_11target_archE942ELNS1_3gpuE9ELNS1_3repE0EEENS1_30default_config_static_selectorELNS0_4arch9wavefront6targetE0EEEvT1_,comdat
.Lfunc_end742:
	.size	_ZN7rocprim17ROCPRIM_400000_NS6detail17trampoline_kernelINS0_14default_configENS1_25partition_config_selectorILNS1_17partition_subalgoE9EllbEEZZNS1_14partition_implILS5_9ELb0ES3_jPlS8_PNS0_10empty_typeENS0_5tupleIJS8_S9_EEENSB_IJS8_SA_EEENS0_18inequality_wrapperIZN2at6native12_GLOBAL__N_124unique_dim_cuda_templateIsEESt5tupleIJNSF_6TensorESK_SK_EERKSK_lbbbEUlllE0_EEPmJS9_EEE10hipError_tPvRmT3_T4_T5_T6_T7_T9_mT8_P12ihipStream_tbDpT10_ENKUlT_T0_E_clISt17integral_constantIbLb0EES19_IbLb1EEEEDaS15_S16_EUlS15_E_NS1_11comp_targetILNS1_3genE5ELNS1_11target_archE942ELNS1_3gpuE9ELNS1_3repE0EEENS1_30default_config_static_selectorELNS0_4arch9wavefront6targetE0EEEvT1_, .Lfunc_end742-_ZN7rocprim17ROCPRIM_400000_NS6detail17trampoline_kernelINS0_14default_configENS1_25partition_config_selectorILNS1_17partition_subalgoE9EllbEEZZNS1_14partition_implILS5_9ELb0ES3_jPlS8_PNS0_10empty_typeENS0_5tupleIJS8_S9_EEENSB_IJS8_SA_EEENS0_18inequality_wrapperIZN2at6native12_GLOBAL__N_124unique_dim_cuda_templateIsEESt5tupleIJNSF_6TensorESK_SK_EERKSK_lbbbEUlllE0_EEPmJS9_EEE10hipError_tPvRmT3_T4_T5_T6_T7_T9_mT8_P12ihipStream_tbDpT10_ENKUlT_T0_E_clISt17integral_constantIbLb0EES19_IbLb1EEEEDaS15_S16_EUlS15_E_NS1_11comp_targetILNS1_3genE5ELNS1_11target_archE942ELNS1_3gpuE9ELNS1_3repE0EEENS1_30default_config_static_selectorELNS0_4arch9wavefront6targetE0EEEvT1_
                                        ; -- End function
	.section	.AMDGPU.csdata,"",@progbits
; Kernel info:
; codeLenInByte = 0
; NumSgprs: 0
; NumVgprs: 0
; ScratchSize: 0
; MemoryBound: 0
; FloatMode: 240
; IeeeMode: 1
; LDSByteSize: 0 bytes/workgroup (compile time only)
; SGPRBlocks: 0
; VGPRBlocks: 0
; NumSGPRsForWavesPerEU: 1
; NumVGPRsForWavesPerEU: 1
; Occupancy: 16
; WaveLimiterHint : 0
; COMPUTE_PGM_RSRC2:SCRATCH_EN: 0
; COMPUTE_PGM_RSRC2:USER_SGPR: 15
; COMPUTE_PGM_RSRC2:TRAP_HANDLER: 0
; COMPUTE_PGM_RSRC2:TGID_X_EN: 1
; COMPUTE_PGM_RSRC2:TGID_Y_EN: 0
; COMPUTE_PGM_RSRC2:TGID_Z_EN: 0
; COMPUTE_PGM_RSRC2:TIDIG_COMP_CNT: 0
	.section	.text._ZN7rocprim17ROCPRIM_400000_NS6detail17trampoline_kernelINS0_14default_configENS1_25partition_config_selectorILNS1_17partition_subalgoE9EllbEEZZNS1_14partition_implILS5_9ELb0ES3_jPlS8_PNS0_10empty_typeENS0_5tupleIJS8_S9_EEENSB_IJS8_SA_EEENS0_18inequality_wrapperIZN2at6native12_GLOBAL__N_124unique_dim_cuda_templateIsEESt5tupleIJNSF_6TensorESK_SK_EERKSK_lbbbEUlllE0_EEPmJS9_EEE10hipError_tPvRmT3_T4_T5_T6_T7_T9_mT8_P12ihipStream_tbDpT10_ENKUlT_T0_E_clISt17integral_constantIbLb0EES19_IbLb1EEEEDaS15_S16_EUlS15_E_NS1_11comp_targetILNS1_3genE4ELNS1_11target_archE910ELNS1_3gpuE8ELNS1_3repE0EEENS1_30default_config_static_selectorELNS0_4arch9wavefront6targetE0EEEvT1_,"axG",@progbits,_ZN7rocprim17ROCPRIM_400000_NS6detail17trampoline_kernelINS0_14default_configENS1_25partition_config_selectorILNS1_17partition_subalgoE9EllbEEZZNS1_14partition_implILS5_9ELb0ES3_jPlS8_PNS0_10empty_typeENS0_5tupleIJS8_S9_EEENSB_IJS8_SA_EEENS0_18inequality_wrapperIZN2at6native12_GLOBAL__N_124unique_dim_cuda_templateIsEESt5tupleIJNSF_6TensorESK_SK_EERKSK_lbbbEUlllE0_EEPmJS9_EEE10hipError_tPvRmT3_T4_T5_T6_T7_T9_mT8_P12ihipStream_tbDpT10_ENKUlT_T0_E_clISt17integral_constantIbLb0EES19_IbLb1EEEEDaS15_S16_EUlS15_E_NS1_11comp_targetILNS1_3genE4ELNS1_11target_archE910ELNS1_3gpuE8ELNS1_3repE0EEENS1_30default_config_static_selectorELNS0_4arch9wavefront6targetE0EEEvT1_,comdat
	.globl	_ZN7rocprim17ROCPRIM_400000_NS6detail17trampoline_kernelINS0_14default_configENS1_25partition_config_selectorILNS1_17partition_subalgoE9EllbEEZZNS1_14partition_implILS5_9ELb0ES3_jPlS8_PNS0_10empty_typeENS0_5tupleIJS8_S9_EEENSB_IJS8_SA_EEENS0_18inequality_wrapperIZN2at6native12_GLOBAL__N_124unique_dim_cuda_templateIsEESt5tupleIJNSF_6TensorESK_SK_EERKSK_lbbbEUlllE0_EEPmJS9_EEE10hipError_tPvRmT3_T4_T5_T6_T7_T9_mT8_P12ihipStream_tbDpT10_ENKUlT_T0_E_clISt17integral_constantIbLb0EES19_IbLb1EEEEDaS15_S16_EUlS15_E_NS1_11comp_targetILNS1_3genE4ELNS1_11target_archE910ELNS1_3gpuE8ELNS1_3repE0EEENS1_30default_config_static_selectorELNS0_4arch9wavefront6targetE0EEEvT1_ ; -- Begin function _ZN7rocprim17ROCPRIM_400000_NS6detail17trampoline_kernelINS0_14default_configENS1_25partition_config_selectorILNS1_17partition_subalgoE9EllbEEZZNS1_14partition_implILS5_9ELb0ES3_jPlS8_PNS0_10empty_typeENS0_5tupleIJS8_S9_EEENSB_IJS8_SA_EEENS0_18inequality_wrapperIZN2at6native12_GLOBAL__N_124unique_dim_cuda_templateIsEESt5tupleIJNSF_6TensorESK_SK_EERKSK_lbbbEUlllE0_EEPmJS9_EEE10hipError_tPvRmT3_T4_T5_T6_T7_T9_mT8_P12ihipStream_tbDpT10_ENKUlT_T0_E_clISt17integral_constantIbLb0EES19_IbLb1EEEEDaS15_S16_EUlS15_E_NS1_11comp_targetILNS1_3genE4ELNS1_11target_archE910ELNS1_3gpuE8ELNS1_3repE0EEENS1_30default_config_static_selectorELNS0_4arch9wavefront6targetE0EEEvT1_
	.p2align	8
	.type	_ZN7rocprim17ROCPRIM_400000_NS6detail17trampoline_kernelINS0_14default_configENS1_25partition_config_selectorILNS1_17partition_subalgoE9EllbEEZZNS1_14partition_implILS5_9ELb0ES3_jPlS8_PNS0_10empty_typeENS0_5tupleIJS8_S9_EEENSB_IJS8_SA_EEENS0_18inequality_wrapperIZN2at6native12_GLOBAL__N_124unique_dim_cuda_templateIsEESt5tupleIJNSF_6TensorESK_SK_EERKSK_lbbbEUlllE0_EEPmJS9_EEE10hipError_tPvRmT3_T4_T5_T6_T7_T9_mT8_P12ihipStream_tbDpT10_ENKUlT_T0_E_clISt17integral_constantIbLb0EES19_IbLb1EEEEDaS15_S16_EUlS15_E_NS1_11comp_targetILNS1_3genE4ELNS1_11target_archE910ELNS1_3gpuE8ELNS1_3repE0EEENS1_30default_config_static_selectorELNS0_4arch9wavefront6targetE0EEEvT1_,@function
_ZN7rocprim17ROCPRIM_400000_NS6detail17trampoline_kernelINS0_14default_configENS1_25partition_config_selectorILNS1_17partition_subalgoE9EllbEEZZNS1_14partition_implILS5_9ELb0ES3_jPlS8_PNS0_10empty_typeENS0_5tupleIJS8_S9_EEENSB_IJS8_SA_EEENS0_18inequality_wrapperIZN2at6native12_GLOBAL__N_124unique_dim_cuda_templateIsEESt5tupleIJNSF_6TensorESK_SK_EERKSK_lbbbEUlllE0_EEPmJS9_EEE10hipError_tPvRmT3_T4_T5_T6_T7_T9_mT8_P12ihipStream_tbDpT10_ENKUlT_T0_E_clISt17integral_constantIbLb0EES19_IbLb1EEEEDaS15_S16_EUlS15_E_NS1_11comp_targetILNS1_3genE4ELNS1_11target_archE910ELNS1_3gpuE8ELNS1_3repE0EEENS1_30default_config_static_selectorELNS0_4arch9wavefront6targetE0EEEvT1_: ; @_ZN7rocprim17ROCPRIM_400000_NS6detail17trampoline_kernelINS0_14default_configENS1_25partition_config_selectorILNS1_17partition_subalgoE9EllbEEZZNS1_14partition_implILS5_9ELb0ES3_jPlS8_PNS0_10empty_typeENS0_5tupleIJS8_S9_EEENSB_IJS8_SA_EEENS0_18inequality_wrapperIZN2at6native12_GLOBAL__N_124unique_dim_cuda_templateIsEESt5tupleIJNSF_6TensorESK_SK_EERKSK_lbbbEUlllE0_EEPmJS9_EEE10hipError_tPvRmT3_T4_T5_T6_T7_T9_mT8_P12ihipStream_tbDpT10_ENKUlT_T0_E_clISt17integral_constantIbLb0EES19_IbLb1EEEEDaS15_S16_EUlS15_E_NS1_11comp_targetILNS1_3genE4ELNS1_11target_archE910ELNS1_3gpuE8ELNS1_3repE0EEENS1_30default_config_static_selectorELNS0_4arch9wavefront6targetE0EEEvT1_
; %bb.0:
	.section	.rodata,"a",@progbits
	.p2align	6, 0x0
	.amdhsa_kernel _ZN7rocprim17ROCPRIM_400000_NS6detail17trampoline_kernelINS0_14default_configENS1_25partition_config_selectorILNS1_17partition_subalgoE9EllbEEZZNS1_14partition_implILS5_9ELb0ES3_jPlS8_PNS0_10empty_typeENS0_5tupleIJS8_S9_EEENSB_IJS8_SA_EEENS0_18inequality_wrapperIZN2at6native12_GLOBAL__N_124unique_dim_cuda_templateIsEESt5tupleIJNSF_6TensorESK_SK_EERKSK_lbbbEUlllE0_EEPmJS9_EEE10hipError_tPvRmT3_T4_T5_T6_T7_T9_mT8_P12ihipStream_tbDpT10_ENKUlT_T0_E_clISt17integral_constantIbLb0EES19_IbLb1EEEEDaS15_S16_EUlS15_E_NS1_11comp_targetILNS1_3genE4ELNS1_11target_archE910ELNS1_3gpuE8ELNS1_3repE0EEENS1_30default_config_static_selectorELNS0_4arch9wavefront6targetE0EEEvT1_
		.amdhsa_group_segment_fixed_size 0
		.amdhsa_private_segment_fixed_size 0
		.amdhsa_kernarg_size 136
		.amdhsa_user_sgpr_count 15
		.amdhsa_user_sgpr_dispatch_ptr 0
		.amdhsa_user_sgpr_queue_ptr 0
		.amdhsa_user_sgpr_kernarg_segment_ptr 1
		.amdhsa_user_sgpr_dispatch_id 0
		.amdhsa_user_sgpr_private_segment_size 0
		.amdhsa_wavefront_size32 1
		.amdhsa_uses_dynamic_stack 0
		.amdhsa_enable_private_segment 0
		.amdhsa_system_sgpr_workgroup_id_x 1
		.amdhsa_system_sgpr_workgroup_id_y 0
		.amdhsa_system_sgpr_workgroup_id_z 0
		.amdhsa_system_sgpr_workgroup_info 0
		.amdhsa_system_vgpr_workitem_id 0
		.amdhsa_next_free_vgpr 1
		.amdhsa_next_free_sgpr 1
		.amdhsa_reserve_vcc 0
		.amdhsa_float_round_mode_32 0
		.amdhsa_float_round_mode_16_64 0
		.amdhsa_float_denorm_mode_32 3
		.amdhsa_float_denorm_mode_16_64 3
		.amdhsa_dx10_clamp 1
		.amdhsa_ieee_mode 1
		.amdhsa_fp16_overflow 0
		.amdhsa_workgroup_processor_mode 1
		.amdhsa_memory_ordered 1
		.amdhsa_forward_progress 0
		.amdhsa_shared_vgpr_count 0
		.amdhsa_exception_fp_ieee_invalid_op 0
		.amdhsa_exception_fp_denorm_src 0
		.amdhsa_exception_fp_ieee_div_zero 0
		.amdhsa_exception_fp_ieee_overflow 0
		.amdhsa_exception_fp_ieee_underflow 0
		.amdhsa_exception_fp_ieee_inexact 0
		.amdhsa_exception_int_div_zero 0
	.end_amdhsa_kernel
	.section	.text._ZN7rocprim17ROCPRIM_400000_NS6detail17trampoline_kernelINS0_14default_configENS1_25partition_config_selectorILNS1_17partition_subalgoE9EllbEEZZNS1_14partition_implILS5_9ELb0ES3_jPlS8_PNS0_10empty_typeENS0_5tupleIJS8_S9_EEENSB_IJS8_SA_EEENS0_18inequality_wrapperIZN2at6native12_GLOBAL__N_124unique_dim_cuda_templateIsEESt5tupleIJNSF_6TensorESK_SK_EERKSK_lbbbEUlllE0_EEPmJS9_EEE10hipError_tPvRmT3_T4_T5_T6_T7_T9_mT8_P12ihipStream_tbDpT10_ENKUlT_T0_E_clISt17integral_constantIbLb0EES19_IbLb1EEEEDaS15_S16_EUlS15_E_NS1_11comp_targetILNS1_3genE4ELNS1_11target_archE910ELNS1_3gpuE8ELNS1_3repE0EEENS1_30default_config_static_selectorELNS0_4arch9wavefront6targetE0EEEvT1_,"axG",@progbits,_ZN7rocprim17ROCPRIM_400000_NS6detail17trampoline_kernelINS0_14default_configENS1_25partition_config_selectorILNS1_17partition_subalgoE9EllbEEZZNS1_14partition_implILS5_9ELb0ES3_jPlS8_PNS0_10empty_typeENS0_5tupleIJS8_S9_EEENSB_IJS8_SA_EEENS0_18inequality_wrapperIZN2at6native12_GLOBAL__N_124unique_dim_cuda_templateIsEESt5tupleIJNSF_6TensorESK_SK_EERKSK_lbbbEUlllE0_EEPmJS9_EEE10hipError_tPvRmT3_T4_T5_T6_T7_T9_mT8_P12ihipStream_tbDpT10_ENKUlT_T0_E_clISt17integral_constantIbLb0EES19_IbLb1EEEEDaS15_S16_EUlS15_E_NS1_11comp_targetILNS1_3genE4ELNS1_11target_archE910ELNS1_3gpuE8ELNS1_3repE0EEENS1_30default_config_static_selectorELNS0_4arch9wavefront6targetE0EEEvT1_,comdat
.Lfunc_end743:
	.size	_ZN7rocprim17ROCPRIM_400000_NS6detail17trampoline_kernelINS0_14default_configENS1_25partition_config_selectorILNS1_17partition_subalgoE9EllbEEZZNS1_14partition_implILS5_9ELb0ES3_jPlS8_PNS0_10empty_typeENS0_5tupleIJS8_S9_EEENSB_IJS8_SA_EEENS0_18inequality_wrapperIZN2at6native12_GLOBAL__N_124unique_dim_cuda_templateIsEESt5tupleIJNSF_6TensorESK_SK_EERKSK_lbbbEUlllE0_EEPmJS9_EEE10hipError_tPvRmT3_T4_T5_T6_T7_T9_mT8_P12ihipStream_tbDpT10_ENKUlT_T0_E_clISt17integral_constantIbLb0EES19_IbLb1EEEEDaS15_S16_EUlS15_E_NS1_11comp_targetILNS1_3genE4ELNS1_11target_archE910ELNS1_3gpuE8ELNS1_3repE0EEENS1_30default_config_static_selectorELNS0_4arch9wavefront6targetE0EEEvT1_, .Lfunc_end743-_ZN7rocprim17ROCPRIM_400000_NS6detail17trampoline_kernelINS0_14default_configENS1_25partition_config_selectorILNS1_17partition_subalgoE9EllbEEZZNS1_14partition_implILS5_9ELb0ES3_jPlS8_PNS0_10empty_typeENS0_5tupleIJS8_S9_EEENSB_IJS8_SA_EEENS0_18inequality_wrapperIZN2at6native12_GLOBAL__N_124unique_dim_cuda_templateIsEESt5tupleIJNSF_6TensorESK_SK_EERKSK_lbbbEUlllE0_EEPmJS9_EEE10hipError_tPvRmT3_T4_T5_T6_T7_T9_mT8_P12ihipStream_tbDpT10_ENKUlT_T0_E_clISt17integral_constantIbLb0EES19_IbLb1EEEEDaS15_S16_EUlS15_E_NS1_11comp_targetILNS1_3genE4ELNS1_11target_archE910ELNS1_3gpuE8ELNS1_3repE0EEENS1_30default_config_static_selectorELNS0_4arch9wavefront6targetE0EEEvT1_
                                        ; -- End function
	.section	.AMDGPU.csdata,"",@progbits
; Kernel info:
; codeLenInByte = 0
; NumSgprs: 0
; NumVgprs: 0
; ScratchSize: 0
; MemoryBound: 0
; FloatMode: 240
; IeeeMode: 1
; LDSByteSize: 0 bytes/workgroup (compile time only)
; SGPRBlocks: 0
; VGPRBlocks: 0
; NumSGPRsForWavesPerEU: 1
; NumVGPRsForWavesPerEU: 1
; Occupancy: 16
; WaveLimiterHint : 0
; COMPUTE_PGM_RSRC2:SCRATCH_EN: 0
; COMPUTE_PGM_RSRC2:USER_SGPR: 15
; COMPUTE_PGM_RSRC2:TRAP_HANDLER: 0
; COMPUTE_PGM_RSRC2:TGID_X_EN: 1
; COMPUTE_PGM_RSRC2:TGID_Y_EN: 0
; COMPUTE_PGM_RSRC2:TGID_Z_EN: 0
; COMPUTE_PGM_RSRC2:TIDIG_COMP_CNT: 0
	.section	.text._ZN7rocprim17ROCPRIM_400000_NS6detail17trampoline_kernelINS0_14default_configENS1_25partition_config_selectorILNS1_17partition_subalgoE9EllbEEZZNS1_14partition_implILS5_9ELb0ES3_jPlS8_PNS0_10empty_typeENS0_5tupleIJS8_S9_EEENSB_IJS8_SA_EEENS0_18inequality_wrapperIZN2at6native12_GLOBAL__N_124unique_dim_cuda_templateIsEESt5tupleIJNSF_6TensorESK_SK_EERKSK_lbbbEUlllE0_EEPmJS9_EEE10hipError_tPvRmT3_T4_T5_T6_T7_T9_mT8_P12ihipStream_tbDpT10_ENKUlT_T0_E_clISt17integral_constantIbLb0EES19_IbLb1EEEEDaS15_S16_EUlS15_E_NS1_11comp_targetILNS1_3genE3ELNS1_11target_archE908ELNS1_3gpuE7ELNS1_3repE0EEENS1_30default_config_static_selectorELNS0_4arch9wavefront6targetE0EEEvT1_,"axG",@progbits,_ZN7rocprim17ROCPRIM_400000_NS6detail17trampoline_kernelINS0_14default_configENS1_25partition_config_selectorILNS1_17partition_subalgoE9EllbEEZZNS1_14partition_implILS5_9ELb0ES3_jPlS8_PNS0_10empty_typeENS0_5tupleIJS8_S9_EEENSB_IJS8_SA_EEENS0_18inequality_wrapperIZN2at6native12_GLOBAL__N_124unique_dim_cuda_templateIsEESt5tupleIJNSF_6TensorESK_SK_EERKSK_lbbbEUlllE0_EEPmJS9_EEE10hipError_tPvRmT3_T4_T5_T6_T7_T9_mT8_P12ihipStream_tbDpT10_ENKUlT_T0_E_clISt17integral_constantIbLb0EES19_IbLb1EEEEDaS15_S16_EUlS15_E_NS1_11comp_targetILNS1_3genE3ELNS1_11target_archE908ELNS1_3gpuE7ELNS1_3repE0EEENS1_30default_config_static_selectorELNS0_4arch9wavefront6targetE0EEEvT1_,comdat
	.globl	_ZN7rocprim17ROCPRIM_400000_NS6detail17trampoline_kernelINS0_14default_configENS1_25partition_config_selectorILNS1_17partition_subalgoE9EllbEEZZNS1_14partition_implILS5_9ELb0ES3_jPlS8_PNS0_10empty_typeENS0_5tupleIJS8_S9_EEENSB_IJS8_SA_EEENS0_18inequality_wrapperIZN2at6native12_GLOBAL__N_124unique_dim_cuda_templateIsEESt5tupleIJNSF_6TensorESK_SK_EERKSK_lbbbEUlllE0_EEPmJS9_EEE10hipError_tPvRmT3_T4_T5_T6_T7_T9_mT8_P12ihipStream_tbDpT10_ENKUlT_T0_E_clISt17integral_constantIbLb0EES19_IbLb1EEEEDaS15_S16_EUlS15_E_NS1_11comp_targetILNS1_3genE3ELNS1_11target_archE908ELNS1_3gpuE7ELNS1_3repE0EEENS1_30default_config_static_selectorELNS0_4arch9wavefront6targetE0EEEvT1_ ; -- Begin function _ZN7rocprim17ROCPRIM_400000_NS6detail17trampoline_kernelINS0_14default_configENS1_25partition_config_selectorILNS1_17partition_subalgoE9EllbEEZZNS1_14partition_implILS5_9ELb0ES3_jPlS8_PNS0_10empty_typeENS0_5tupleIJS8_S9_EEENSB_IJS8_SA_EEENS0_18inequality_wrapperIZN2at6native12_GLOBAL__N_124unique_dim_cuda_templateIsEESt5tupleIJNSF_6TensorESK_SK_EERKSK_lbbbEUlllE0_EEPmJS9_EEE10hipError_tPvRmT3_T4_T5_T6_T7_T9_mT8_P12ihipStream_tbDpT10_ENKUlT_T0_E_clISt17integral_constantIbLb0EES19_IbLb1EEEEDaS15_S16_EUlS15_E_NS1_11comp_targetILNS1_3genE3ELNS1_11target_archE908ELNS1_3gpuE7ELNS1_3repE0EEENS1_30default_config_static_selectorELNS0_4arch9wavefront6targetE0EEEvT1_
	.p2align	8
	.type	_ZN7rocprim17ROCPRIM_400000_NS6detail17trampoline_kernelINS0_14default_configENS1_25partition_config_selectorILNS1_17partition_subalgoE9EllbEEZZNS1_14partition_implILS5_9ELb0ES3_jPlS8_PNS0_10empty_typeENS0_5tupleIJS8_S9_EEENSB_IJS8_SA_EEENS0_18inequality_wrapperIZN2at6native12_GLOBAL__N_124unique_dim_cuda_templateIsEESt5tupleIJNSF_6TensorESK_SK_EERKSK_lbbbEUlllE0_EEPmJS9_EEE10hipError_tPvRmT3_T4_T5_T6_T7_T9_mT8_P12ihipStream_tbDpT10_ENKUlT_T0_E_clISt17integral_constantIbLb0EES19_IbLb1EEEEDaS15_S16_EUlS15_E_NS1_11comp_targetILNS1_3genE3ELNS1_11target_archE908ELNS1_3gpuE7ELNS1_3repE0EEENS1_30default_config_static_selectorELNS0_4arch9wavefront6targetE0EEEvT1_,@function
_ZN7rocprim17ROCPRIM_400000_NS6detail17trampoline_kernelINS0_14default_configENS1_25partition_config_selectorILNS1_17partition_subalgoE9EllbEEZZNS1_14partition_implILS5_9ELb0ES3_jPlS8_PNS0_10empty_typeENS0_5tupleIJS8_S9_EEENSB_IJS8_SA_EEENS0_18inequality_wrapperIZN2at6native12_GLOBAL__N_124unique_dim_cuda_templateIsEESt5tupleIJNSF_6TensorESK_SK_EERKSK_lbbbEUlllE0_EEPmJS9_EEE10hipError_tPvRmT3_T4_T5_T6_T7_T9_mT8_P12ihipStream_tbDpT10_ENKUlT_T0_E_clISt17integral_constantIbLb0EES19_IbLb1EEEEDaS15_S16_EUlS15_E_NS1_11comp_targetILNS1_3genE3ELNS1_11target_archE908ELNS1_3gpuE7ELNS1_3repE0EEENS1_30default_config_static_selectorELNS0_4arch9wavefront6targetE0EEEvT1_: ; @_ZN7rocprim17ROCPRIM_400000_NS6detail17trampoline_kernelINS0_14default_configENS1_25partition_config_selectorILNS1_17partition_subalgoE9EllbEEZZNS1_14partition_implILS5_9ELb0ES3_jPlS8_PNS0_10empty_typeENS0_5tupleIJS8_S9_EEENSB_IJS8_SA_EEENS0_18inequality_wrapperIZN2at6native12_GLOBAL__N_124unique_dim_cuda_templateIsEESt5tupleIJNSF_6TensorESK_SK_EERKSK_lbbbEUlllE0_EEPmJS9_EEE10hipError_tPvRmT3_T4_T5_T6_T7_T9_mT8_P12ihipStream_tbDpT10_ENKUlT_T0_E_clISt17integral_constantIbLb0EES19_IbLb1EEEEDaS15_S16_EUlS15_E_NS1_11comp_targetILNS1_3genE3ELNS1_11target_archE908ELNS1_3gpuE7ELNS1_3repE0EEENS1_30default_config_static_selectorELNS0_4arch9wavefront6targetE0EEEvT1_
; %bb.0:
	.section	.rodata,"a",@progbits
	.p2align	6, 0x0
	.amdhsa_kernel _ZN7rocprim17ROCPRIM_400000_NS6detail17trampoline_kernelINS0_14default_configENS1_25partition_config_selectorILNS1_17partition_subalgoE9EllbEEZZNS1_14partition_implILS5_9ELb0ES3_jPlS8_PNS0_10empty_typeENS0_5tupleIJS8_S9_EEENSB_IJS8_SA_EEENS0_18inequality_wrapperIZN2at6native12_GLOBAL__N_124unique_dim_cuda_templateIsEESt5tupleIJNSF_6TensorESK_SK_EERKSK_lbbbEUlllE0_EEPmJS9_EEE10hipError_tPvRmT3_T4_T5_T6_T7_T9_mT8_P12ihipStream_tbDpT10_ENKUlT_T0_E_clISt17integral_constantIbLb0EES19_IbLb1EEEEDaS15_S16_EUlS15_E_NS1_11comp_targetILNS1_3genE3ELNS1_11target_archE908ELNS1_3gpuE7ELNS1_3repE0EEENS1_30default_config_static_selectorELNS0_4arch9wavefront6targetE0EEEvT1_
		.amdhsa_group_segment_fixed_size 0
		.amdhsa_private_segment_fixed_size 0
		.amdhsa_kernarg_size 136
		.amdhsa_user_sgpr_count 15
		.amdhsa_user_sgpr_dispatch_ptr 0
		.amdhsa_user_sgpr_queue_ptr 0
		.amdhsa_user_sgpr_kernarg_segment_ptr 1
		.amdhsa_user_sgpr_dispatch_id 0
		.amdhsa_user_sgpr_private_segment_size 0
		.amdhsa_wavefront_size32 1
		.amdhsa_uses_dynamic_stack 0
		.amdhsa_enable_private_segment 0
		.amdhsa_system_sgpr_workgroup_id_x 1
		.amdhsa_system_sgpr_workgroup_id_y 0
		.amdhsa_system_sgpr_workgroup_id_z 0
		.amdhsa_system_sgpr_workgroup_info 0
		.amdhsa_system_vgpr_workitem_id 0
		.amdhsa_next_free_vgpr 1
		.amdhsa_next_free_sgpr 1
		.amdhsa_reserve_vcc 0
		.amdhsa_float_round_mode_32 0
		.amdhsa_float_round_mode_16_64 0
		.amdhsa_float_denorm_mode_32 3
		.amdhsa_float_denorm_mode_16_64 3
		.amdhsa_dx10_clamp 1
		.amdhsa_ieee_mode 1
		.amdhsa_fp16_overflow 0
		.amdhsa_workgroup_processor_mode 1
		.amdhsa_memory_ordered 1
		.amdhsa_forward_progress 0
		.amdhsa_shared_vgpr_count 0
		.amdhsa_exception_fp_ieee_invalid_op 0
		.amdhsa_exception_fp_denorm_src 0
		.amdhsa_exception_fp_ieee_div_zero 0
		.amdhsa_exception_fp_ieee_overflow 0
		.amdhsa_exception_fp_ieee_underflow 0
		.amdhsa_exception_fp_ieee_inexact 0
		.amdhsa_exception_int_div_zero 0
	.end_amdhsa_kernel
	.section	.text._ZN7rocprim17ROCPRIM_400000_NS6detail17trampoline_kernelINS0_14default_configENS1_25partition_config_selectorILNS1_17partition_subalgoE9EllbEEZZNS1_14partition_implILS5_9ELb0ES3_jPlS8_PNS0_10empty_typeENS0_5tupleIJS8_S9_EEENSB_IJS8_SA_EEENS0_18inequality_wrapperIZN2at6native12_GLOBAL__N_124unique_dim_cuda_templateIsEESt5tupleIJNSF_6TensorESK_SK_EERKSK_lbbbEUlllE0_EEPmJS9_EEE10hipError_tPvRmT3_T4_T5_T6_T7_T9_mT8_P12ihipStream_tbDpT10_ENKUlT_T0_E_clISt17integral_constantIbLb0EES19_IbLb1EEEEDaS15_S16_EUlS15_E_NS1_11comp_targetILNS1_3genE3ELNS1_11target_archE908ELNS1_3gpuE7ELNS1_3repE0EEENS1_30default_config_static_selectorELNS0_4arch9wavefront6targetE0EEEvT1_,"axG",@progbits,_ZN7rocprim17ROCPRIM_400000_NS6detail17trampoline_kernelINS0_14default_configENS1_25partition_config_selectorILNS1_17partition_subalgoE9EllbEEZZNS1_14partition_implILS5_9ELb0ES3_jPlS8_PNS0_10empty_typeENS0_5tupleIJS8_S9_EEENSB_IJS8_SA_EEENS0_18inequality_wrapperIZN2at6native12_GLOBAL__N_124unique_dim_cuda_templateIsEESt5tupleIJNSF_6TensorESK_SK_EERKSK_lbbbEUlllE0_EEPmJS9_EEE10hipError_tPvRmT3_T4_T5_T6_T7_T9_mT8_P12ihipStream_tbDpT10_ENKUlT_T0_E_clISt17integral_constantIbLb0EES19_IbLb1EEEEDaS15_S16_EUlS15_E_NS1_11comp_targetILNS1_3genE3ELNS1_11target_archE908ELNS1_3gpuE7ELNS1_3repE0EEENS1_30default_config_static_selectorELNS0_4arch9wavefront6targetE0EEEvT1_,comdat
.Lfunc_end744:
	.size	_ZN7rocprim17ROCPRIM_400000_NS6detail17trampoline_kernelINS0_14default_configENS1_25partition_config_selectorILNS1_17partition_subalgoE9EllbEEZZNS1_14partition_implILS5_9ELb0ES3_jPlS8_PNS0_10empty_typeENS0_5tupleIJS8_S9_EEENSB_IJS8_SA_EEENS0_18inequality_wrapperIZN2at6native12_GLOBAL__N_124unique_dim_cuda_templateIsEESt5tupleIJNSF_6TensorESK_SK_EERKSK_lbbbEUlllE0_EEPmJS9_EEE10hipError_tPvRmT3_T4_T5_T6_T7_T9_mT8_P12ihipStream_tbDpT10_ENKUlT_T0_E_clISt17integral_constantIbLb0EES19_IbLb1EEEEDaS15_S16_EUlS15_E_NS1_11comp_targetILNS1_3genE3ELNS1_11target_archE908ELNS1_3gpuE7ELNS1_3repE0EEENS1_30default_config_static_selectorELNS0_4arch9wavefront6targetE0EEEvT1_, .Lfunc_end744-_ZN7rocprim17ROCPRIM_400000_NS6detail17trampoline_kernelINS0_14default_configENS1_25partition_config_selectorILNS1_17partition_subalgoE9EllbEEZZNS1_14partition_implILS5_9ELb0ES3_jPlS8_PNS0_10empty_typeENS0_5tupleIJS8_S9_EEENSB_IJS8_SA_EEENS0_18inequality_wrapperIZN2at6native12_GLOBAL__N_124unique_dim_cuda_templateIsEESt5tupleIJNSF_6TensorESK_SK_EERKSK_lbbbEUlllE0_EEPmJS9_EEE10hipError_tPvRmT3_T4_T5_T6_T7_T9_mT8_P12ihipStream_tbDpT10_ENKUlT_T0_E_clISt17integral_constantIbLb0EES19_IbLb1EEEEDaS15_S16_EUlS15_E_NS1_11comp_targetILNS1_3genE3ELNS1_11target_archE908ELNS1_3gpuE7ELNS1_3repE0EEENS1_30default_config_static_selectorELNS0_4arch9wavefront6targetE0EEEvT1_
                                        ; -- End function
	.section	.AMDGPU.csdata,"",@progbits
; Kernel info:
; codeLenInByte = 0
; NumSgprs: 0
; NumVgprs: 0
; ScratchSize: 0
; MemoryBound: 0
; FloatMode: 240
; IeeeMode: 1
; LDSByteSize: 0 bytes/workgroup (compile time only)
; SGPRBlocks: 0
; VGPRBlocks: 0
; NumSGPRsForWavesPerEU: 1
; NumVGPRsForWavesPerEU: 1
; Occupancy: 16
; WaveLimiterHint : 0
; COMPUTE_PGM_RSRC2:SCRATCH_EN: 0
; COMPUTE_PGM_RSRC2:USER_SGPR: 15
; COMPUTE_PGM_RSRC2:TRAP_HANDLER: 0
; COMPUTE_PGM_RSRC2:TGID_X_EN: 1
; COMPUTE_PGM_RSRC2:TGID_Y_EN: 0
; COMPUTE_PGM_RSRC2:TGID_Z_EN: 0
; COMPUTE_PGM_RSRC2:TIDIG_COMP_CNT: 0
	.section	.text._ZN7rocprim17ROCPRIM_400000_NS6detail17trampoline_kernelINS0_14default_configENS1_25partition_config_selectorILNS1_17partition_subalgoE9EllbEEZZNS1_14partition_implILS5_9ELb0ES3_jPlS8_PNS0_10empty_typeENS0_5tupleIJS8_S9_EEENSB_IJS8_SA_EEENS0_18inequality_wrapperIZN2at6native12_GLOBAL__N_124unique_dim_cuda_templateIsEESt5tupleIJNSF_6TensorESK_SK_EERKSK_lbbbEUlllE0_EEPmJS9_EEE10hipError_tPvRmT3_T4_T5_T6_T7_T9_mT8_P12ihipStream_tbDpT10_ENKUlT_T0_E_clISt17integral_constantIbLb0EES19_IbLb1EEEEDaS15_S16_EUlS15_E_NS1_11comp_targetILNS1_3genE2ELNS1_11target_archE906ELNS1_3gpuE6ELNS1_3repE0EEENS1_30default_config_static_selectorELNS0_4arch9wavefront6targetE0EEEvT1_,"axG",@progbits,_ZN7rocprim17ROCPRIM_400000_NS6detail17trampoline_kernelINS0_14default_configENS1_25partition_config_selectorILNS1_17partition_subalgoE9EllbEEZZNS1_14partition_implILS5_9ELb0ES3_jPlS8_PNS0_10empty_typeENS0_5tupleIJS8_S9_EEENSB_IJS8_SA_EEENS0_18inequality_wrapperIZN2at6native12_GLOBAL__N_124unique_dim_cuda_templateIsEESt5tupleIJNSF_6TensorESK_SK_EERKSK_lbbbEUlllE0_EEPmJS9_EEE10hipError_tPvRmT3_T4_T5_T6_T7_T9_mT8_P12ihipStream_tbDpT10_ENKUlT_T0_E_clISt17integral_constantIbLb0EES19_IbLb1EEEEDaS15_S16_EUlS15_E_NS1_11comp_targetILNS1_3genE2ELNS1_11target_archE906ELNS1_3gpuE6ELNS1_3repE0EEENS1_30default_config_static_selectorELNS0_4arch9wavefront6targetE0EEEvT1_,comdat
	.globl	_ZN7rocprim17ROCPRIM_400000_NS6detail17trampoline_kernelINS0_14default_configENS1_25partition_config_selectorILNS1_17partition_subalgoE9EllbEEZZNS1_14partition_implILS5_9ELb0ES3_jPlS8_PNS0_10empty_typeENS0_5tupleIJS8_S9_EEENSB_IJS8_SA_EEENS0_18inequality_wrapperIZN2at6native12_GLOBAL__N_124unique_dim_cuda_templateIsEESt5tupleIJNSF_6TensorESK_SK_EERKSK_lbbbEUlllE0_EEPmJS9_EEE10hipError_tPvRmT3_T4_T5_T6_T7_T9_mT8_P12ihipStream_tbDpT10_ENKUlT_T0_E_clISt17integral_constantIbLb0EES19_IbLb1EEEEDaS15_S16_EUlS15_E_NS1_11comp_targetILNS1_3genE2ELNS1_11target_archE906ELNS1_3gpuE6ELNS1_3repE0EEENS1_30default_config_static_selectorELNS0_4arch9wavefront6targetE0EEEvT1_ ; -- Begin function _ZN7rocprim17ROCPRIM_400000_NS6detail17trampoline_kernelINS0_14default_configENS1_25partition_config_selectorILNS1_17partition_subalgoE9EllbEEZZNS1_14partition_implILS5_9ELb0ES3_jPlS8_PNS0_10empty_typeENS0_5tupleIJS8_S9_EEENSB_IJS8_SA_EEENS0_18inequality_wrapperIZN2at6native12_GLOBAL__N_124unique_dim_cuda_templateIsEESt5tupleIJNSF_6TensorESK_SK_EERKSK_lbbbEUlllE0_EEPmJS9_EEE10hipError_tPvRmT3_T4_T5_T6_T7_T9_mT8_P12ihipStream_tbDpT10_ENKUlT_T0_E_clISt17integral_constantIbLb0EES19_IbLb1EEEEDaS15_S16_EUlS15_E_NS1_11comp_targetILNS1_3genE2ELNS1_11target_archE906ELNS1_3gpuE6ELNS1_3repE0EEENS1_30default_config_static_selectorELNS0_4arch9wavefront6targetE0EEEvT1_
	.p2align	8
	.type	_ZN7rocprim17ROCPRIM_400000_NS6detail17trampoline_kernelINS0_14default_configENS1_25partition_config_selectorILNS1_17partition_subalgoE9EllbEEZZNS1_14partition_implILS5_9ELb0ES3_jPlS8_PNS0_10empty_typeENS0_5tupleIJS8_S9_EEENSB_IJS8_SA_EEENS0_18inequality_wrapperIZN2at6native12_GLOBAL__N_124unique_dim_cuda_templateIsEESt5tupleIJNSF_6TensorESK_SK_EERKSK_lbbbEUlllE0_EEPmJS9_EEE10hipError_tPvRmT3_T4_T5_T6_T7_T9_mT8_P12ihipStream_tbDpT10_ENKUlT_T0_E_clISt17integral_constantIbLb0EES19_IbLb1EEEEDaS15_S16_EUlS15_E_NS1_11comp_targetILNS1_3genE2ELNS1_11target_archE906ELNS1_3gpuE6ELNS1_3repE0EEENS1_30default_config_static_selectorELNS0_4arch9wavefront6targetE0EEEvT1_,@function
_ZN7rocprim17ROCPRIM_400000_NS6detail17trampoline_kernelINS0_14default_configENS1_25partition_config_selectorILNS1_17partition_subalgoE9EllbEEZZNS1_14partition_implILS5_9ELb0ES3_jPlS8_PNS0_10empty_typeENS0_5tupleIJS8_S9_EEENSB_IJS8_SA_EEENS0_18inequality_wrapperIZN2at6native12_GLOBAL__N_124unique_dim_cuda_templateIsEESt5tupleIJNSF_6TensorESK_SK_EERKSK_lbbbEUlllE0_EEPmJS9_EEE10hipError_tPvRmT3_T4_T5_T6_T7_T9_mT8_P12ihipStream_tbDpT10_ENKUlT_T0_E_clISt17integral_constantIbLb0EES19_IbLb1EEEEDaS15_S16_EUlS15_E_NS1_11comp_targetILNS1_3genE2ELNS1_11target_archE906ELNS1_3gpuE6ELNS1_3repE0EEENS1_30default_config_static_selectorELNS0_4arch9wavefront6targetE0EEEvT1_: ; @_ZN7rocprim17ROCPRIM_400000_NS6detail17trampoline_kernelINS0_14default_configENS1_25partition_config_selectorILNS1_17partition_subalgoE9EllbEEZZNS1_14partition_implILS5_9ELb0ES3_jPlS8_PNS0_10empty_typeENS0_5tupleIJS8_S9_EEENSB_IJS8_SA_EEENS0_18inequality_wrapperIZN2at6native12_GLOBAL__N_124unique_dim_cuda_templateIsEESt5tupleIJNSF_6TensorESK_SK_EERKSK_lbbbEUlllE0_EEPmJS9_EEE10hipError_tPvRmT3_T4_T5_T6_T7_T9_mT8_P12ihipStream_tbDpT10_ENKUlT_T0_E_clISt17integral_constantIbLb0EES19_IbLb1EEEEDaS15_S16_EUlS15_E_NS1_11comp_targetILNS1_3genE2ELNS1_11target_archE906ELNS1_3gpuE6ELNS1_3repE0EEENS1_30default_config_static_selectorELNS0_4arch9wavefront6targetE0EEEvT1_
; %bb.0:
	.section	.rodata,"a",@progbits
	.p2align	6, 0x0
	.amdhsa_kernel _ZN7rocprim17ROCPRIM_400000_NS6detail17trampoline_kernelINS0_14default_configENS1_25partition_config_selectorILNS1_17partition_subalgoE9EllbEEZZNS1_14partition_implILS5_9ELb0ES3_jPlS8_PNS0_10empty_typeENS0_5tupleIJS8_S9_EEENSB_IJS8_SA_EEENS0_18inequality_wrapperIZN2at6native12_GLOBAL__N_124unique_dim_cuda_templateIsEESt5tupleIJNSF_6TensorESK_SK_EERKSK_lbbbEUlllE0_EEPmJS9_EEE10hipError_tPvRmT3_T4_T5_T6_T7_T9_mT8_P12ihipStream_tbDpT10_ENKUlT_T0_E_clISt17integral_constantIbLb0EES19_IbLb1EEEEDaS15_S16_EUlS15_E_NS1_11comp_targetILNS1_3genE2ELNS1_11target_archE906ELNS1_3gpuE6ELNS1_3repE0EEENS1_30default_config_static_selectorELNS0_4arch9wavefront6targetE0EEEvT1_
		.amdhsa_group_segment_fixed_size 0
		.amdhsa_private_segment_fixed_size 0
		.amdhsa_kernarg_size 136
		.amdhsa_user_sgpr_count 15
		.amdhsa_user_sgpr_dispatch_ptr 0
		.amdhsa_user_sgpr_queue_ptr 0
		.amdhsa_user_sgpr_kernarg_segment_ptr 1
		.amdhsa_user_sgpr_dispatch_id 0
		.amdhsa_user_sgpr_private_segment_size 0
		.amdhsa_wavefront_size32 1
		.amdhsa_uses_dynamic_stack 0
		.amdhsa_enable_private_segment 0
		.amdhsa_system_sgpr_workgroup_id_x 1
		.amdhsa_system_sgpr_workgroup_id_y 0
		.amdhsa_system_sgpr_workgroup_id_z 0
		.amdhsa_system_sgpr_workgroup_info 0
		.amdhsa_system_vgpr_workitem_id 0
		.amdhsa_next_free_vgpr 1
		.amdhsa_next_free_sgpr 1
		.amdhsa_reserve_vcc 0
		.amdhsa_float_round_mode_32 0
		.amdhsa_float_round_mode_16_64 0
		.amdhsa_float_denorm_mode_32 3
		.amdhsa_float_denorm_mode_16_64 3
		.amdhsa_dx10_clamp 1
		.amdhsa_ieee_mode 1
		.amdhsa_fp16_overflow 0
		.amdhsa_workgroup_processor_mode 1
		.amdhsa_memory_ordered 1
		.amdhsa_forward_progress 0
		.amdhsa_shared_vgpr_count 0
		.amdhsa_exception_fp_ieee_invalid_op 0
		.amdhsa_exception_fp_denorm_src 0
		.amdhsa_exception_fp_ieee_div_zero 0
		.amdhsa_exception_fp_ieee_overflow 0
		.amdhsa_exception_fp_ieee_underflow 0
		.amdhsa_exception_fp_ieee_inexact 0
		.amdhsa_exception_int_div_zero 0
	.end_amdhsa_kernel
	.section	.text._ZN7rocprim17ROCPRIM_400000_NS6detail17trampoline_kernelINS0_14default_configENS1_25partition_config_selectorILNS1_17partition_subalgoE9EllbEEZZNS1_14partition_implILS5_9ELb0ES3_jPlS8_PNS0_10empty_typeENS0_5tupleIJS8_S9_EEENSB_IJS8_SA_EEENS0_18inequality_wrapperIZN2at6native12_GLOBAL__N_124unique_dim_cuda_templateIsEESt5tupleIJNSF_6TensorESK_SK_EERKSK_lbbbEUlllE0_EEPmJS9_EEE10hipError_tPvRmT3_T4_T5_T6_T7_T9_mT8_P12ihipStream_tbDpT10_ENKUlT_T0_E_clISt17integral_constantIbLb0EES19_IbLb1EEEEDaS15_S16_EUlS15_E_NS1_11comp_targetILNS1_3genE2ELNS1_11target_archE906ELNS1_3gpuE6ELNS1_3repE0EEENS1_30default_config_static_selectorELNS0_4arch9wavefront6targetE0EEEvT1_,"axG",@progbits,_ZN7rocprim17ROCPRIM_400000_NS6detail17trampoline_kernelINS0_14default_configENS1_25partition_config_selectorILNS1_17partition_subalgoE9EllbEEZZNS1_14partition_implILS5_9ELb0ES3_jPlS8_PNS0_10empty_typeENS0_5tupleIJS8_S9_EEENSB_IJS8_SA_EEENS0_18inequality_wrapperIZN2at6native12_GLOBAL__N_124unique_dim_cuda_templateIsEESt5tupleIJNSF_6TensorESK_SK_EERKSK_lbbbEUlllE0_EEPmJS9_EEE10hipError_tPvRmT3_T4_T5_T6_T7_T9_mT8_P12ihipStream_tbDpT10_ENKUlT_T0_E_clISt17integral_constantIbLb0EES19_IbLb1EEEEDaS15_S16_EUlS15_E_NS1_11comp_targetILNS1_3genE2ELNS1_11target_archE906ELNS1_3gpuE6ELNS1_3repE0EEENS1_30default_config_static_selectorELNS0_4arch9wavefront6targetE0EEEvT1_,comdat
.Lfunc_end745:
	.size	_ZN7rocprim17ROCPRIM_400000_NS6detail17trampoline_kernelINS0_14default_configENS1_25partition_config_selectorILNS1_17partition_subalgoE9EllbEEZZNS1_14partition_implILS5_9ELb0ES3_jPlS8_PNS0_10empty_typeENS0_5tupleIJS8_S9_EEENSB_IJS8_SA_EEENS0_18inequality_wrapperIZN2at6native12_GLOBAL__N_124unique_dim_cuda_templateIsEESt5tupleIJNSF_6TensorESK_SK_EERKSK_lbbbEUlllE0_EEPmJS9_EEE10hipError_tPvRmT3_T4_T5_T6_T7_T9_mT8_P12ihipStream_tbDpT10_ENKUlT_T0_E_clISt17integral_constantIbLb0EES19_IbLb1EEEEDaS15_S16_EUlS15_E_NS1_11comp_targetILNS1_3genE2ELNS1_11target_archE906ELNS1_3gpuE6ELNS1_3repE0EEENS1_30default_config_static_selectorELNS0_4arch9wavefront6targetE0EEEvT1_, .Lfunc_end745-_ZN7rocprim17ROCPRIM_400000_NS6detail17trampoline_kernelINS0_14default_configENS1_25partition_config_selectorILNS1_17partition_subalgoE9EllbEEZZNS1_14partition_implILS5_9ELb0ES3_jPlS8_PNS0_10empty_typeENS0_5tupleIJS8_S9_EEENSB_IJS8_SA_EEENS0_18inequality_wrapperIZN2at6native12_GLOBAL__N_124unique_dim_cuda_templateIsEESt5tupleIJNSF_6TensorESK_SK_EERKSK_lbbbEUlllE0_EEPmJS9_EEE10hipError_tPvRmT3_T4_T5_T6_T7_T9_mT8_P12ihipStream_tbDpT10_ENKUlT_T0_E_clISt17integral_constantIbLb0EES19_IbLb1EEEEDaS15_S16_EUlS15_E_NS1_11comp_targetILNS1_3genE2ELNS1_11target_archE906ELNS1_3gpuE6ELNS1_3repE0EEENS1_30default_config_static_selectorELNS0_4arch9wavefront6targetE0EEEvT1_
                                        ; -- End function
	.section	.AMDGPU.csdata,"",@progbits
; Kernel info:
; codeLenInByte = 0
; NumSgprs: 0
; NumVgprs: 0
; ScratchSize: 0
; MemoryBound: 0
; FloatMode: 240
; IeeeMode: 1
; LDSByteSize: 0 bytes/workgroup (compile time only)
; SGPRBlocks: 0
; VGPRBlocks: 0
; NumSGPRsForWavesPerEU: 1
; NumVGPRsForWavesPerEU: 1
; Occupancy: 15
; WaveLimiterHint : 0
; COMPUTE_PGM_RSRC2:SCRATCH_EN: 0
; COMPUTE_PGM_RSRC2:USER_SGPR: 15
; COMPUTE_PGM_RSRC2:TRAP_HANDLER: 0
; COMPUTE_PGM_RSRC2:TGID_X_EN: 1
; COMPUTE_PGM_RSRC2:TGID_Y_EN: 0
; COMPUTE_PGM_RSRC2:TGID_Z_EN: 0
; COMPUTE_PGM_RSRC2:TIDIG_COMP_CNT: 0
	.section	.text._ZN7rocprim17ROCPRIM_400000_NS6detail17trampoline_kernelINS0_14default_configENS1_25partition_config_selectorILNS1_17partition_subalgoE9EllbEEZZNS1_14partition_implILS5_9ELb0ES3_jPlS8_PNS0_10empty_typeENS0_5tupleIJS8_S9_EEENSB_IJS8_SA_EEENS0_18inequality_wrapperIZN2at6native12_GLOBAL__N_124unique_dim_cuda_templateIsEESt5tupleIJNSF_6TensorESK_SK_EERKSK_lbbbEUlllE0_EEPmJS9_EEE10hipError_tPvRmT3_T4_T5_T6_T7_T9_mT8_P12ihipStream_tbDpT10_ENKUlT_T0_E_clISt17integral_constantIbLb0EES19_IbLb1EEEEDaS15_S16_EUlS15_E_NS1_11comp_targetILNS1_3genE10ELNS1_11target_archE1200ELNS1_3gpuE4ELNS1_3repE0EEENS1_30default_config_static_selectorELNS0_4arch9wavefront6targetE0EEEvT1_,"axG",@progbits,_ZN7rocprim17ROCPRIM_400000_NS6detail17trampoline_kernelINS0_14default_configENS1_25partition_config_selectorILNS1_17partition_subalgoE9EllbEEZZNS1_14partition_implILS5_9ELb0ES3_jPlS8_PNS0_10empty_typeENS0_5tupleIJS8_S9_EEENSB_IJS8_SA_EEENS0_18inequality_wrapperIZN2at6native12_GLOBAL__N_124unique_dim_cuda_templateIsEESt5tupleIJNSF_6TensorESK_SK_EERKSK_lbbbEUlllE0_EEPmJS9_EEE10hipError_tPvRmT3_T4_T5_T6_T7_T9_mT8_P12ihipStream_tbDpT10_ENKUlT_T0_E_clISt17integral_constantIbLb0EES19_IbLb1EEEEDaS15_S16_EUlS15_E_NS1_11comp_targetILNS1_3genE10ELNS1_11target_archE1200ELNS1_3gpuE4ELNS1_3repE0EEENS1_30default_config_static_selectorELNS0_4arch9wavefront6targetE0EEEvT1_,comdat
	.globl	_ZN7rocprim17ROCPRIM_400000_NS6detail17trampoline_kernelINS0_14default_configENS1_25partition_config_selectorILNS1_17partition_subalgoE9EllbEEZZNS1_14partition_implILS5_9ELb0ES3_jPlS8_PNS0_10empty_typeENS0_5tupleIJS8_S9_EEENSB_IJS8_SA_EEENS0_18inequality_wrapperIZN2at6native12_GLOBAL__N_124unique_dim_cuda_templateIsEESt5tupleIJNSF_6TensorESK_SK_EERKSK_lbbbEUlllE0_EEPmJS9_EEE10hipError_tPvRmT3_T4_T5_T6_T7_T9_mT8_P12ihipStream_tbDpT10_ENKUlT_T0_E_clISt17integral_constantIbLb0EES19_IbLb1EEEEDaS15_S16_EUlS15_E_NS1_11comp_targetILNS1_3genE10ELNS1_11target_archE1200ELNS1_3gpuE4ELNS1_3repE0EEENS1_30default_config_static_selectorELNS0_4arch9wavefront6targetE0EEEvT1_ ; -- Begin function _ZN7rocprim17ROCPRIM_400000_NS6detail17trampoline_kernelINS0_14default_configENS1_25partition_config_selectorILNS1_17partition_subalgoE9EllbEEZZNS1_14partition_implILS5_9ELb0ES3_jPlS8_PNS0_10empty_typeENS0_5tupleIJS8_S9_EEENSB_IJS8_SA_EEENS0_18inequality_wrapperIZN2at6native12_GLOBAL__N_124unique_dim_cuda_templateIsEESt5tupleIJNSF_6TensorESK_SK_EERKSK_lbbbEUlllE0_EEPmJS9_EEE10hipError_tPvRmT3_T4_T5_T6_T7_T9_mT8_P12ihipStream_tbDpT10_ENKUlT_T0_E_clISt17integral_constantIbLb0EES19_IbLb1EEEEDaS15_S16_EUlS15_E_NS1_11comp_targetILNS1_3genE10ELNS1_11target_archE1200ELNS1_3gpuE4ELNS1_3repE0EEENS1_30default_config_static_selectorELNS0_4arch9wavefront6targetE0EEEvT1_
	.p2align	8
	.type	_ZN7rocprim17ROCPRIM_400000_NS6detail17trampoline_kernelINS0_14default_configENS1_25partition_config_selectorILNS1_17partition_subalgoE9EllbEEZZNS1_14partition_implILS5_9ELb0ES3_jPlS8_PNS0_10empty_typeENS0_5tupleIJS8_S9_EEENSB_IJS8_SA_EEENS0_18inequality_wrapperIZN2at6native12_GLOBAL__N_124unique_dim_cuda_templateIsEESt5tupleIJNSF_6TensorESK_SK_EERKSK_lbbbEUlllE0_EEPmJS9_EEE10hipError_tPvRmT3_T4_T5_T6_T7_T9_mT8_P12ihipStream_tbDpT10_ENKUlT_T0_E_clISt17integral_constantIbLb0EES19_IbLb1EEEEDaS15_S16_EUlS15_E_NS1_11comp_targetILNS1_3genE10ELNS1_11target_archE1200ELNS1_3gpuE4ELNS1_3repE0EEENS1_30default_config_static_selectorELNS0_4arch9wavefront6targetE0EEEvT1_,@function
_ZN7rocprim17ROCPRIM_400000_NS6detail17trampoline_kernelINS0_14default_configENS1_25partition_config_selectorILNS1_17partition_subalgoE9EllbEEZZNS1_14partition_implILS5_9ELb0ES3_jPlS8_PNS0_10empty_typeENS0_5tupleIJS8_S9_EEENSB_IJS8_SA_EEENS0_18inequality_wrapperIZN2at6native12_GLOBAL__N_124unique_dim_cuda_templateIsEESt5tupleIJNSF_6TensorESK_SK_EERKSK_lbbbEUlllE0_EEPmJS9_EEE10hipError_tPvRmT3_T4_T5_T6_T7_T9_mT8_P12ihipStream_tbDpT10_ENKUlT_T0_E_clISt17integral_constantIbLb0EES19_IbLb1EEEEDaS15_S16_EUlS15_E_NS1_11comp_targetILNS1_3genE10ELNS1_11target_archE1200ELNS1_3gpuE4ELNS1_3repE0EEENS1_30default_config_static_selectorELNS0_4arch9wavefront6targetE0EEEvT1_: ; @_ZN7rocprim17ROCPRIM_400000_NS6detail17trampoline_kernelINS0_14default_configENS1_25partition_config_selectorILNS1_17partition_subalgoE9EllbEEZZNS1_14partition_implILS5_9ELb0ES3_jPlS8_PNS0_10empty_typeENS0_5tupleIJS8_S9_EEENSB_IJS8_SA_EEENS0_18inequality_wrapperIZN2at6native12_GLOBAL__N_124unique_dim_cuda_templateIsEESt5tupleIJNSF_6TensorESK_SK_EERKSK_lbbbEUlllE0_EEPmJS9_EEE10hipError_tPvRmT3_T4_T5_T6_T7_T9_mT8_P12ihipStream_tbDpT10_ENKUlT_T0_E_clISt17integral_constantIbLb0EES19_IbLb1EEEEDaS15_S16_EUlS15_E_NS1_11comp_targetILNS1_3genE10ELNS1_11target_archE1200ELNS1_3gpuE4ELNS1_3repE0EEENS1_30default_config_static_selectorELNS0_4arch9wavefront6targetE0EEEvT1_
; %bb.0:
	.section	.rodata,"a",@progbits
	.p2align	6, 0x0
	.amdhsa_kernel _ZN7rocprim17ROCPRIM_400000_NS6detail17trampoline_kernelINS0_14default_configENS1_25partition_config_selectorILNS1_17partition_subalgoE9EllbEEZZNS1_14partition_implILS5_9ELb0ES3_jPlS8_PNS0_10empty_typeENS0_5tupleIJS8_S9_EEENSB_IJS8_SA_EEENS0_18inequality_wrapperIZN2at6native12_GLOBAL__N_124unique_dim_cuda_templateIsEESt5tupleIJNSF_6TensorESK_SK_EERKSK_lbbbEUlllE0_EEPmJS9_EEE10hipError_tPvRmT3_T4_T5_T6_T7_T9_mT8_P12ihipStream_tbDpT10_ENKUlT_T0_E_clISt17integral_constantIbLb0EES19_IbLb1EEEEDaS15_S16_EUlS15_E_NS1_11comp_targetILNS1_3genE10ELNS1_11target_archE1200ELNS1_3gpuE4ELNS1_3repE0EEENS1_30default_config_static_selectorELNS0_4arch9wavefront6targetE0EEEvT1_
		.amdhsa_group_segment_fixed_size 0
		.amdhsa_private_segment_fixed_size 0
		.amdhsa_kernarg_size 136
		.amdhsa_user_sgpr_count 15
		.amdhsa_user_sgpr_dispatch_ptr 0
		.amdhsa_user_sgpr_queue_ptr 0
		.amdhsa_user_sgpr_kernarg_segment_ptr 1
		.amdhsa_user_sgpr_dispatch_id 0
		.amdhsa_user_sgpr_private_segment_size 0
		.amdhsa_wavefront_size32 1
		.amdhsa_uses_dynamic_stack 0
		.amdhsa_enable_private_segment 0
		.amdhsa_system_sgpr_workgroup_id_x 1
		.amdhsa_system_sgpr_workgroup_id_y 0
		.amdhsa_system_sgpr_workgroup_id_z 0
		.amdhsa_system_sgpr_workgroup_info 0
		.amdhsa_system_vgpr_workitem_id 0
		.amdhsa_next_free_vgpr 1
		.amdhsa_next_free_sgpr 1
		.amdhsa_reserve_vcc 0
		.amdhsa_float_round_mode_32 0
		.amdhsa_float_round_mode_16_64 0
		.amdhsa_float_denorm_mode_32 3
		.amdhsa_float_denorm_mode_16_64 3
		.amdhsa_dx10_clamp 1
		.amdhsa_ieee_mode 1
		.amdhsa_fp16_overflow 0
		.amdhsa_workgroup_processor_mode 1
		.amdhsa_memory_ordered 1
		.amdhsa_forward_progress 0
		.amdhsa_shared_vgpr_count 0
		.amdhsa_exception_fp_ieee_invalid_op 0
		.amdhsa_exception_fp_denorm_src 0
		.amdhsa_exception_fp_ieee_div_zero 0
		.amdhsa_exception_fp_ieee_overflow 0
		.amdhsa_exception_fp_ieee_underflow 0
		.amdhsa_exception_fp_ieee_inexact 0
		.amdhsa_exception_int_div_zero 0
	.end_amdhsa_kernel
	.section	.text._ZN7rocprim17ROCPRIM_400000_NS6detail17trampoline_kernelINS0_14default_configENS1_25partition_config_selectorILNS1_17partition_subalgoE9EllbEEZZNS1_14partition_implILS5_9ELb0ES3_jPlS8_PNS0_10empty_typeENS0_5tupleIJS8_S9_EEENSB_IJS8_SA_EEENS0_18inequality_wrapperIZN2at6native12_GLOBAL__N_124unique_dim_cuda_templateIsEESt5tupleIJNSF_6TensorESK_SK_EERKSK_lbbbEUlllE0_EEPmJS9_EEE10hipError_tPvRmT3_T4_T5_T6_T7_T9_mT8_P12ihipStream_tbDpT10_ENKUlT_T0_E_clISt17integral_constantIbLb0EES19_IbLb1EEEEDaS15_S16_EUlS15_E_NS1_11comp_targetILNS1_3genE10ELNS1_11target_archE1200ELNS1_3gpuE4ELNS1_3repE0EEENS1_30default_config_static_selectorELNS0_4arch9wavefront6targetE0EEEvT1_,"axG",@progbits,_ZN7rocprim17ROCPRIM_400000_NS6detail17trampoline_kernelINS0_14default_configENS1_25partition_config_selectorILNS1_17partition_subalgoE9EllbEEZZNS1_14partition_implILS5_9ELb0ES3_jPlS8_PNS0_10empty_typeENS0_5tupleIJS8_S9_EEENSB_IJS8_SA_EEENS0_18inequality_wrapperIZN2at6native12_GLOBAL__N_124unique_dim_cuda_templateIsEESt5tupleIJNSF_6TensorESK_SK_EERKSK_lbbbEUlllE0_EEPmJS9_EEE10hipError_tPvRmT3_T4_T5_T6_T7_T9_mT8_P12ihipStream_tbDpT10_ENKUlT_T0_E_clISt17integral_constantIbLb0EES19_IbLb1EEEEDaS15_S16_EUlS15_E_NS1_11comp_targetILNS1_3genE10ELNS1_11target_archE1200ELNS1_3gpuE4ELNS1_3repE0EEENS1_30default_config_static_selectorELNS0_4arch9wavefront6targetE0EEEvT1_,comdat
.Lfunc_end746:
	.size	_ZN7rocprim17ROCPRIM_400000_NS6detail17trampoline_kernelINS0_14default_configENS1_25partition_config_selectorILNS1_17partition_subalgoE9EllbEEZZNS1_14partition_implILS5_9ELb0ES3_jPlS8_PNS0_10empty_typeENS0_5tupleIJS8_S9_EEENSB_IJS8_SA_EEENS0_18inequality_wrapperIZN2at6native12_GLOBAL__N_124unique_dim_cuda_templateIsEESt5tupleIJNSF_6TensorESK_SK_EERKSK_lbbbEUlllE0_EEPmJS9_EEE10hipError_tPvRmT3_T4_T5_T6_T7_T9_mT8_P12ihipStream_tbDpT10_ENKUlT_T0_E_clISt17integral_constantIbLb0EES19_IbLb1EEEEDaS15_S16_EUlS15_E_NS1_11comp_targetILNS1_3genE10ELNS1_11target_archE1200ELNS1_3gpuE4ELNS1_3repE0EEENS1_30default_config_static_selectorELNS0_4arch9wavefront6targetE0EEEvT1_, .Lfunc_end746-_ZN7rocprim17ROCPRIM_400000_NS6detail17trampoline_kernelINS0_14default_configENS1_25partition_config_selectorILNS1_17partition_subalgoE9EllbEEZZNS1_14partition_implILS5_9ELb0ES3_jPlS8_PNS0_10empty_typeENS0_5tupleIJS8_S9_EEENSB_IJS8_SA_EEENS0_18inequality_wrapperIZN2at6native12_GLOBAL__N_124unique_dim_cuda_templateIsEESt5tupleIJNSF_6TensorESK_SK_EERKSK_lbbbEUlllE0_EEPmJS9_EEE10hipError_tPvRmT3_T4_T5_T6_T7_T9_mT8_P12ihipStream_tbDpT10_ENKUlT_T0_E_clISt17integral_constantIbLb0EES19_IbLb1EEEEDaS15_S16_EUlS15_E_NS1_11comp_targetILNS1_3genE10ELNS1_11target_archE1200ELNS1_3gpuE4ELNS1_3repE0EEENS1_30default_config_static_selectorELNS0_4arch9wavefront6targetE0EEEvT1_
                                        ; -- End function
	.section	.AMDGPU.csdata,"",@progbits
; Kernel info:
; codeLenInByte = 0
; NumSgprs: 0
; NumVgprs: 0
; ScratchSize: 0
; MemoryBound: 0
; FloatMode: 240
; IeeeMode: 1
; LDSByteSize: 0 bytes/workgroup (compile time only)
; SGPRBlocks: 0
; VGPRBlocks: 0
; NumSGPRsForWavesPerEU: 1
; NumVGPRsForWavesPerEU: 1
; Occupancy: 15
; WaveLimiterHint : 0
; COMPUTE_PGM_RSRC2:SCRATCH_EN: 0
; COMPUTE_PGM_RSRC2:USER_SGPR: 15
; COMPUTE_PGM_RSRC2:TRAP_HANDLER: 0
; COMPUTE_PGM_RSRC2:TGID_X_EN: 1
; COMPUTE_PGM_RSRC2:TGID_Y_EN: 0
; COMPUTE_PGM_RSRC2:TGID_Z_EN: 0
; COMPUTE_PGM_RSRC2:TIDIG_COMP_CNT: 0
	.section	.text._ZN7rocprim17ROCPRIM_400000_NS6detail17trampoline_kernelINS0_14default_configENS1_25partition_config_selectorILNS1_17partition_subalgoE9EllbEEZZNS1_14partition_implILS5_9ELb0ES3_jPlS8_PNS0_10empty_typeENS0_5tupleIJS8_S9_EEENSB_IJS8_SA_EEENS0_18inequality_wrapperIZN2at6native12_GLOBAL__N_124unique_dim_cuda_templateIsEESt5tupleIJNSF_6TensorESK_SK_EERKSK_lbbbEUlllE0_EEPmJS9_EEE10hipError_tPvRmT3_T4_T5_T6_T7_T9_mT8_P12ihipStream_tbDpT10_ENKUlT_T0_E_clISt17integral_constantIbLb0EES19_IbLb1EEEEDaS15_S16_EUlS15_E_NS1_11comp_targetILNS1_3genE9ELNS1_11target_archE1100ELNS1_3gpuE3ELNS1_3repE0EEENS1_30default_config_static_selectorELNS0_4arch9wavefront6targetE0EEEvT1_,"axG",@progbits,_ZN7rocprim17ROCPRIM_400000_NS6detail17trampoline_kernelINS0_14default_configENS1_25partition_config_selectorILNS1_17partition_subalgoE9EllbEEZZNS1_14partition_implILS5_9ELb0ES3_jPlS8_PNS0_10empty_typeENS0_5tupleIJS8_S9_EEENSB_IJS8_SA_EEENS0_18inequality_wrapperIZN2at6native12_GLOBAL__N_124unique_dim_cuda_templateIsEESt5tupleIJNSF_6TensorESK_SK_EERKSK_lbbbEUlllE0_EEPmJS9_EEE10hipError_tPvRmT3_T4_T5_T6_T7_T9_mT8_P12ihipStream_tbDpT10_ENKUlT_T0_E_clISt17integral_constantIbLb0EES19_IbLb1EEEEDaS15_S16_EUlS15_E_NS1_11comp_targetILNS1_3genE9ELNS1_11target_archE1100ELNS1_3gpuE3ELNS1_3repE0EEENS1_30default_config_static_selectorELNS0_4arch9wavefront6targetE0EEEvT1_,comdat
	.globl	_ZN7rocprim17ROCPRIM_400000_NS6detail17trampoline_kernelINS0_14default_configENS1_25partition_config_selectorILNS1_17partition_subalgoE9EllbEEZZNS1_14partition_implILS5_9ELb0ES3_jPlS8_PNS0_10empty_typeENS0_5tupleIJS8_S9_EEENSB_IJS8_SA_EEENS0_18inequality_wrapperIZN2at6native12_GLOBAL__N_124unique_dim_cuda_templateIsEESt5tupleIJNSF_6TensorESK_SK_EERKSK_lbbbEUlllE0_EEPmJS9_EEE10hipError_tPvRmT3_T4_T5_T6_T7_T9_mT8_P12ihipStream_tbDpT10_ENKUlT_T0_E_clISt17integral_constantIbLb0EES19_IbLb1EEEEDaS15_S16_EUlS15_E_NS1_11comp_targetILNS1_3genE9ELNS1_11target_archE1100ELNS1_3gpuE3ELNS1_3repE0EEENS1_30default_config_static_selectorELNS0_4arch9wavefront6targetE0EEEvT1_ ; -- Begin function _ZN7rocprim17ROCPRIM_400000_NS6detail17trampoline_kernelINS0_14default_configENS1_25partition_config_selectorILNS1_17partition_subalgoE9EllbEEZZNS1_14partition_implILS5_9ELb0ES3_jPlS8_PNS0_10empty_typeENS0_5tupleIJS8_S9_EEENSB_IJS8_SA_EEENS0_18inequality_wrapperIZN2at6native12_GLOBAL__N_124unique_dim_cuda_templateIsEESt5tupleIJNSF_6TensorESK_SK_EERKSK_lbbbEUlllE0_EEPmJS9_EEE10hipError_tPvRmT3_T4_T5_T6_T7_T9_mT8_P12ihipStream_tbDpT10_ENKUlT_T0_E_clISt17integral_constantIbLb0EES19_IbLb1EEEEDaS15_S16_EUlS15_E_NS1_11comp_targetILNS1_3genE9ELNS1_11target_archE1100ELNS1_3gpuE3ELNS1_3repE0EEENS1_30default_config_static_selectorELNS0_4arch9wavefront6targetE0EEEvT1_
	.p2align	8
	.type	_ZN7rocprim17ROCPRIM_400000_NS6detail17trampoline_kernelINS0_14default_configENS1_25partition_config_selectorILNS1_17partition_subalgoE9EllbEEZZNS1_14partition_implILS5_9ELb0ES3_jPlS8_PNS0_10empty_typeENS0_5tupleIJS8_S9_EEENSB_IJS8_SA_EEENS0_18inequality_wrapperIZN2at6native12_GLOBAL__N_124unique_dim_cuda_templateIsEESt5tupleIJNSF_6TensorESK_SK_EERKSK_lbbbEUlllE0_EEPmJS9_EEE10hipError_tPvRmT3_T4_T5_T6_T7_T9_mT8_P12ihipStream_tbDpT10_ENKUlT_T0_E_clISt17integral_constantIbLb0EES19_IbLb1EEEEDaS15_S16_EUlS15_E_NS1_11comp_targetILNS1_3genE9ELNS1_11target_archE1100ELNS1_3gpuE3ELNS1_3repE0EEENS1_30default_config_static_selectorELNS0_4arch9wavefront6targetE0EEEvT1_,@function
_ZN7rocprim17ROCPRIM_400000_NS6detail17trampoline_kernelINS0_14default_configENS1_25partition_config_selectorILNS1_17partition_subalgoE9EllbEEZZNS1_14partition_implILS5_9ELb0ES3_jPlS8_PNS0_10empty_typeENS0_5tupleIJS8_S9_EEENSB_IJS8_SA_EEENS0_18inequality_wrapperIZN2at6native12_GLOBAL__N_124unique_dim_cuda_templateIsEESt5tupleIJNSF_6TensorESK_SK_EERKSK_lbbbEUlllE0_EEPmJS9_EEE10hipError_tPvRmT3_T4_T5_T6_T7_T9_mT8_P12ihipStream_tbDpT10_ENKUlT_T0_E_clISt17integral_constantIbLb0EES19_IbLb1EEEEDaS15_S16_EUlS15_E_NS1_11comp_targetILNS1_3genE9ELNS1_11target_archE1100ELNS1_3gpuE3ELNS1_3repE0EEENS1_30default_config_static_selectorELNS0_4arch9wavefront6targetE0EEEvT1_: ; @_ZN7rocprim17ROCPRIM_400000_NS6detail17trampoline_kernelINS0_14default_configENS1_25partition_config_selectorILNS1_17partition_subalgoE9EllbEEZZNS1_14partition_implILS5_9ELb0ES3_jPlS8_PNS0_10empty_typeENS0_5tupleIJS8_S9_EEENSB_IJS8_SA_EEENS0_18inequality_wrapperIZN2at6native12_GLOBAL__N_124unique_dim_cuda_templateIsEESt5tupleIJNSF_6TensorESK_SK_EERKSK_lbbbEUlllE0_EEPmJS9_EEE10hipError_tPvRmT3_T4_T5_T6_T7_T9_mT8_P12ihipStream_tbDpT10_ENKUlT_T0_E_clISt17integral_constantIbLb0EES19_IbLb1EEEEDaS15_S16_EUlS15_E_NS1_11comp_targetILNS1_3genE9ELNS1_11target_archE1100ELNS1_3gpuE3ELNS1_3repE0EEENS1_30default_config_static_selectorELNS0_4arch9wavefront6targetE0EEEvT1_
; %bb.0:
	s_clause 0x3
	s_load_b128 s[4:7], s[0:1], 0x8
	s_load_b64 s[24:25], s[0:1], 0x18
	s_load_b256 s[8:15], s[0:1], 0x40
	s_load_b128 s[20:23], s[0:1], 0x60
	v_cmp_ne_u32_e64 s3, 0, v0
	v_cmp_eq_u32_e64 s2, 0, v0
	s_delay_alu instid0(VALU_DEP_1)
	s_and_saveexec_b32 s16, s2
	s_cbranch_execz .LBB747_4
; %bb.1:
	s_mov_b32 s18, exec_lo
	s_mov_b32 s17, exec_lo
	v_mbcnt_lo_u32_b32 v1, s18, 0
                                        ; implicit-def: $vgpr2
	s_delay_alu instid0(VALU_DEP_1)
	v_cmpx_eq_u32_e32 0, v1
	s_cbranch_execz .LBB747_3
; %bb.2:
	s_load_b64 s[26:27], s[0:1], 0x78
	s_bcnt1_i32_b32 s18, s18
	s_delay_alu instid0(SALU_CYCLE_1)
	v_dual_mov_b32 v2, 0 :: v_dual_mov_b32 v3, s18
	s_waitcnt lgkmcnt(0)
	global_atomic_add_u32 v2, v2, v3, s[26:27] glc
.LBB747_3:
	s_or_b32 exec_lo, exec_lo, s17
	s_waitcnt vmcnt(0)
	v_readfirstlane_b32 s17, v2
	s_delay_alu instid0(VALU_DEP_1)
	v_dual_mov_b32 v2, 0 :: v_dual_add_nc_u32 v1, s17, v1
	ds_store_b32 v2, v1
.LBB747_4:
	s_or_b32 exec_lo, exec_lo, s16
	v_mov_b32_e32 v1, 0
	s_clause 0x1
	s_load_b128 s[16:19], s[0:1], 0x28
	s_load_b32 s0, s[0:1], 0x70
	s_waitcnt lgkmcnt(0)
	s_barrier
	buffer_gl0_inv
	ds_load_b32 v3, v1
	s_waitcnt lgkmcnt(0)
	s_barrier
	buffer_gl0_inv
	global_load_b64 v[1:2], v1, s[10:11]
	s_lshl_b64 s[26:27], s[6:7], 3
	s_mov_b32 s1, 0
	s_add_u32 s10, s4, s26
	s_addc_u32 s11, s5, s27
	v_lshlrev_b32_e32 v55, 3, v0
	v_lshrrev_b32_e32 v34, 2, v0
	v_or_b32_e32 v39, 0x200, v0
	v_or_b32_e32 v38, 0x400, v0
	;; [unrolled: 1-line block ×5, first 2 shown]
	s_add_i32 s28, s0, -1
	s_lshl_b32 s5, s0, 12
	s_lshl_b32 s4, s28, 12
	v_or_b32_e32 v33, 0xc00, v0
	v_readfirstlane_b32 s30, v3
	s_add_i32 s4, s6, s4
	v_or_b32_e32 v36, 0xe00, v0
	s_sub_i32 s31, s12, s4
	s_delay_alu instid0(VALU_DEP_2)
	s_lshl_b32 s0, s30, 12
	s_add_u32 s4, s6, s5
	s_addc_u32 s5, s7, 0
	s_cmp_eq_u32 s30, s28
	v_cmp_ge_u64_e64 s4, s[4:5], s[12:13]
	s_cselect_b32 s28, -1, 0
	s_lshl_b64 s[12:13], s[0:1], 3
	s_mov_b32 s1, -1
	s_delay_alu instid0(VALU_DEP_1) | instskip(NEXT) | instid1(SALU_CYCLE_1)
	s_and_b32 s33, s4, s28
	s_xor_b32 s29, s33, -1
	s_add_u32 s4, s10, s12
	s_addc_u32 s5, s11, s13
	s_and_b32 vcc_lo, exec_lo, s29
	s_waitcnt vmcnt(0)
	v_readfirstlane_b32 s10, v1
	v_readfirstlane_b32 s11, v2
	s_cbranch_vccz .LBB747_6
; %bb.5:
	v_add_co_u32 v9, s0, s4, v55
	s_delay_alu instid0(VALU_DEP_1)
	v_add_co_ci_u32_e64 v10, null, s5, 0, s0
	global_load_b64 v[1:2], v55, s[4:5]
	v_add_co_u32 v3, vcc_lo, v9, 0x2000
	v_add_co_ci_u32_e32 v4, vcc_lo, 0, v10, vcc_lo
	v_add_co_u32 v5, vcc_lo, v9, 0x4000
	v_add_co_ci_u32_e32 v6, vcc_lo, 0, v10, vcc_lo
	;; [unrolled: 2-line block ×4, first 2 shown]
	s_clause 0x6
	global_load_b64 v[11:12], v[3:4], off offset:-4096
	global_load_b64 v[3:4], v[3:4], off
	global_load_b64 v[13:14], v[5:6], off offset:-4096
	global_load_b64 v[5:6], v[5:6], off
	;; [unrolled: 2-line block ×3, first 2 shown]
	global_load_b64 v[9:10], v[9:10], off
	v_lshrrev_b32_e32 v18, 2, v39
	v_lshrrev_b32_e32 v19, 2, v38
	;; [unrolled: 1-line block ×4, first 2 shown]
	v_and_b32_e32 v17, 0x78, v34
	v_lshrrev_b32_e32 v22, 2, v35
	v_lshrrev_b32_e32 v23, 2, v33
	;; [unrolled: 1-line block ×3, first 2 shown]
	v_and_b32_e32 v18, 0xf8, v18
	v_and_b32_e32 v19, 0x178, v19
	;; [unrolled: 1-line block ×4, first 2 shown]
	v_add_nc_u32_e32 v17, v17, v55
	v_and_b32_e32 v22, 0x2f8, v22
	v_and_b32_e32 v23, 0x378, v23
	;; [unrolled: 1-line block ×3, first 2 shown]
	v_add_nc_u32_e32 v18, v18, v55
	v_add_nc_u32_e32 v19, v19, v55
	v_add_nc_u32_e32 v20, v20, v55
	v_add_nc_u32_e32 v21, v21, v55
	s_mov_b32 s1, 0
	v_add_nc_u32_e32 v22, v22, v55
	v_add_nc_u32_e32 v23, v23, v55
	v_add_nc_u32_e32 v24, v24, v55
	s_waitcnt vmcnt(7)
	ds_store_b64 v17, v[1:2]
	s_waitcnt vmcnt(6)
	ds_store_b64 v18, v[11:12] offset:4096
	s_waitcnt vmcnt(5)
	ds_store_b64 v19, v[3:4] offset:8192
	;; [unrolled: 2-line block ×7, first 2 shown]
	s_waitcnt lgkmcnt(0)
	s_barrier
.LBB747_6:
	v_cmp_gt_u32_e64 s0, s31, v0
	s_and_not1_b32 vcc_lo, exec_lo, s1
	s_cbranch_vccnz .LBB747_24
; %bb.7:
                                        ; implicit-def: $vgpr1_vgpr2_vgpr3_vgpr4_vgpr5_vgpr6_vgpr7_vgpr8_vgpr9_vgpr10_vgpr11_vgpr12_vgpr13_vgpr14_vgpr15_vgpr16
	s_delay_alu instid0(VALU_DEP_1)
	s_and_saveexec_b32 s1, s0
	s_cbranch_execz .LBB747_15
; %bb.8:
	global_load_b64 v[1:2], v55, s[4:5]
	s_or_b32 exec_lo, exec_lo, s1
	s_delay_alu instid0(SALU_CYCLE_1)
	s_mov_b32 s0, exec_lo
	v_cmpx_gt_u32_e64 s31, v39
	s_cbranch_execnz .LBB747_16
.LBB747_9:
	s_or_b32 exec_lo, exec_lo, s0
	s_delay_alu instid0(SALU_CYCLE_1)
	s_mov_b32 s0, exec_lo
	v_cmpx_gt_u32_e64 s31, v38
	s_cbranch_execz .LBB747_17
.LBB747_10:
	v_lshlrev_b32_e32 v5, 3, v38
	global_load_b64 v[5:6], v5, s[4:5]
	s_or_b32 exec_lo, exec_lo, s0
	s_delay_alu instid0(SALU_CYCLE_1)
	s_mov_b32 s0, exec_lo
	v_cmpx_gt_u32_e64 s31, v40
	s_cbranch_execnz .LBB747_18
.LBB747_11:
	s_or_b32 exec_lo, exec_lo, s0
	s_delay_alu instid0(SALU_CYCLE_1)
	s_mov_b32 s0, exec_lo
	v_cmpx_gt_u32_e64 s31, v37
	s_cbranch_execz .LBB747_19
.LBB747_12:
	v_lshlrev_b32_e32 v9, 3, v37
	global_load_b64 v[9:10], v9, s[4:5]
	s_or_b32 exec_lo, exec_lo, s0
	s_delay_alu instid0(SALU_CYCLE_1)
	s_mov_b32 s0, exec_lo
	v_cmpx_gt_u32_e64 s31, v35
	s_cbranch_execnz .LBB747_20
.LBB747_13:
	s_or_b32 exec_lo, exec_lo, s0
	s_delay_alu instid0(SALU_CYCLE_1)
	s_mov_b32 s0, exec_lo
	v_cmpx_gt_u32_e64 s31, v33
	s_cbranch_execz .LBB747_21
.LBB747_14:
	v_lshlrev_b32_e32 v13, 3, v33
	global_load_b64 v[13:14], v13, s[4:5]
	s_or_b32 exec_lo, exec_lo, s0
	s_delay_alu instid0(SALU_CYCLE_1)
	s_mov_b32 s0, exec_lo
	v_cmpx_gt_u32_e64 s31, v36
	s_cbranch_execnz .LBB747_22
	s_branch .LBB747_23
.LBB747_15:
	s_or_b32 exec_lo, exec_lo, s1
	s_delay_alu instid0(SALU_CYCLE_1)
	s_mov_b32 s0, exec_lo
	v_cmpx_gt_u32_e64 s31, v39
	s_cbranch_execz .LBB747_9
.LBB747_16:
	v_lshlrev_b32_e32 v3, 3, v39
	global_load_b64 v[3:4], v3, s[4:5]
	s_or_b32 exec_lo, exec_lo, s0
	s_delay_alu instid0(SALU_CYCLE_1)
	s_mov_b32 s0, exec_lo
	v_cmpx_gt_u32_e64 s31, v38
	s_cbranch_execnz .LBB747_10
.LBB747_17:
	s_or_b32 exec_lo, exec_lo, s0
	s_delay_alu instid0(SALU_CYCLE_1)
	s_mov_b32 s0, exec_lo
	v_cmpx_gt_u32_e64 s31, v40
	s_cbranch_execz .LBB747_11
.LBB747_18:
	v_lshlrev_b32_e32 v7, 3, v40
	global_load_b64 v[7:8], v7, s[4:5]
	s_or_b32 exec_lo, exec_lo, s0
	s_delay_alu instid0(SALU_CYCLE_1)
	s_mov_b32 s0, exec_lo
	v_cmpx_gt_u32_e64 s31, v37
	s_cbranch_execnz .LBB747_12
.LBB747_19:
	s_or_b32 exec_lo, exec_lo, s0
	s_delay_alu instid0(SALU_CYCLE_1)
	s_mov_b32 s0, exec_lo
	v_cmpx_gt_u32_e64 s31, v35
	s_cbranch_execz .LBB747_13
.LBB747_20:
	v_lshlrev_b32_e32 v11, 3, v35
	global_load_b64 v[11:12], v11, s[4:5]
	s_or_b32 exec_lo, exec_lo, s0
	s_delay_alu instid0(SALU_CYCLE_1)
	s_mov_b32 s0, exec_lo
	v_cmpx_gt_u32_e64 s31, v33
	s_cbranch_execnz .LBB747_14
.LBB747_21:
	s_or_b32 exec_lo, exec_lo, s0
	s_delay_alu instid0(SALU_CYCLE_1)
	s_mov_b32 s0, exec_lo
	v_cmpx_gt_u32_e64 s31, v36
	s_cbranch_execz .LBB747_23
.LBB747_22:
	v_lshlrev_b32_e32 v15, 3, v36
	global_load_b64 v[15:16], v15, s[4:5]
.LBB747_23:
	s_or_b32 exec_lo, exec_lo, s0
	v_lshrrev_b32_e32 v17, 2, v39
	v_lshrrev_b32_e32 v18, 2, v38
	;; [unrolled: 1-line block ×4, first 2 shown]
	v_and_b32_e32 v19, 0x78, v34
	v_lshrrev_b32_e32 v22, 2, v35
	v_lshrrev_b32_e32 v23, 2, v33
	;; [unrolled: 1-line block ×3, first 2 shown]
	v_and_b32_e32 v17, 0xf8, v17
	v_and_b32_e32 v18, 0x1f8, v18
	;; [unrolled: 1-line block ×4, first 2 shown]
	v_add_nc_u32_e32 v19, v19, v55
	v_and_b32_e32 v22, 0x3f8, v22
	v_and_b32_e32 v23, 0x3f8, v23
	;; [unrolled: 1-line block ×3, first 2 shown]
	v_add_nc_u32_e32 v17, v17, v55
	v_add_nc_u32_e32 v18, v18, v55
	;; [unrolled: 1-line block ×7, first 2 shown]
	s_waitcnt vmcnt(0)
	ds_store_b64 v19, v[1:2]
	ds_store_b64 v17, v[3:4] offset:4096
	ds_store_b64 v18, v[5:6] offset:8192
	;; [unrolled: 1-line block ×7, first 2 shown]
	s_waitcnt lgkmcnt(0)
	s_barrier
.LBB747_24:
	v_add_lshl_u32 v41, v34, v55, 3
	buffer_gl0_inv
	s_add_u32 s0, s24, s26
	s_addc_u32 s1, s25, s27
	s_add_u32 s0, s0, s12
	ds_load_2addr_b64 v[29:32], v41 offset1:1
	ds_load_2addr_b64 v[25:28], v41 offset0:2 offset1:3
	ds_load_2addr_b64 v[21:24], v41 offset0:4 offset1:5
	;; [unrolled: 1-line block ×3, first 2 shown]
	s_addc_u32 s1, s1, s13
	s_and_b32 vcc_lo, exec_lo, s29
	s_mov_b32 s12, -1
	s_waitcnt lgkmcnt(0)
	s_barrier
	buffer_gl0_inv
	s_cbranch_vccz .LBB747_26
; %bb.25:
	v_add_co_u32 v9, s12, s0, v55
	s_delay_alu instid0(VALU_DEP_1)
	v_add_co_ci_u32_e64 v10, null, s1, 0, s12
	global_load_b64 v[1:2], v55, s[0:1]
	v_add_co_u32 v3, vcc_lo, v9, 0x2000
	v_add_co_ci_u32_e32 v4, vcc_lo, 0, v10, vcc_lo
	v_add_co_u32 v5, vcc_lo, v9, 0x4000
	v_add_co_ci_u32_e32 v6, vcc_lo, 0, v10, vcc_lo
	;; [unrolled: 2-line block ×4, first 2 shown]
	s_clause 0x6
	global_load_b64 v[11:12], v[3:4], off offset:-4096
	global_load_b64 v[3:4], v[3:4], off
	global_load_b64 v[13:14], v[5:6], off offset:-4096
	global_load_b64 v[5:6], v[5:6], off
	;; [unrolled: 2-line block ×3, first 2 shown]
	global_load_b64 v[9:10], v[9:10], off
	v_lshrrev_b32_e32 v43, 2, v39
	v_lshrrev_b32_e32 v44, 2, v38
	;; [unrolled: 1-line block ×4, first 2 shown]
	v_and_b32_e32 v42, 0x78, v34
	v_lshrrev_b32_e32 v47, 2, v35
	v_lshrrev_b32_e32 v48, 2, v33
	;; [unrolled: 1-line block ×3, first 2 shown]
	v_and_b32_e32 v43, 0xf8, v43
	v_and_b32_e32 v44, 0x178, v44
	;; [unrolled: 1-line block ×4, first 2 shown]
	v_add_nc_u32_e32 v42, v42, v55
	v_and_b32_e32 v47, 0x2f8, v47
	v_and_b32_e32 v48, 0x378, v48
	;; [unrolled: 1-line block ×3, first 2 shown]
	v_add_nc_u32_e32 v43, v43, v55
	v_add_nc_u32_e32 v44, v44, v55
	;; [unrolled: 1-line block ×4, first 2 shown]
	s_mov_b32 s12, 0
	v_add_nc_u32_e32 v47, v47, v55
	v_add_nc_u32_e32 v48, v48, v55
	;; [unrolled: 1-line block ×3, first 2 shown]
	s_waitcnt vmcnt(7)
	ds_store_b64 v42, v[1:2]
	s_waitcnt vmcnt(6)
	ds_store_b64 v43, v[11:12] offset:4096
	s_waitcnt vmcnt(5)
	ds_store_b64 v44, v[3:4] offset:8192
	;; [unrolled: 2-line block ×7, first 2 shown]
	s_waitcnt lgkmcnt(0)
	s_barrier
.LBB747_26:
	s_and_not1_b32 vcc_lo, exec_lo, s12
	s_cbranch_vccnz .LBB747_44
; %bb.27:
	s_mov_b32 s12, exec_lo
                                        ; implicit-def: $vgpr1_vgpr2
	v_cmpx_gt_u32_e64 s31, v0
	s_cbranch_execz .LBB747_29
; %bb.28:
	global_load_b64 v[1:2], v55, s[0:1]
.LBB747_29:
	s_or_b32 exec_lo, exec_lo, s12
	s_delay_alu instid0(SALU_CYCLE_1)
	s_mov_b32 s12, exec_lo
                                        ; implicit-def: $vgpr3_vgpr4
	v_cmpx_gt_u32_e64 s31, v39
	s_cbranch_execz .LBB747_31
; %bb.30:
	v_lshlrev_b32_e32 v3, 3, v39
	global_load_b64 v[3:4], v3, s[0:1]
.LBB747_31:
	s_or_b32 exec_lo, exec_lo, s12
	s_delay_alu instid0(SALU_CYCLE_1)
	s_mov_b32 s12, exec_lo
                                        ; implicit-def: $vgpr5_vgpr6
	v_cmpx_gt_u32_e64 s31, v38
	s_cbranch_execz .LBB747_33
; %bb.32:
	v_lshlrev_b32_e32 v5, 3, v38
	global_load_b64 v[5:6], v5, s[0:1]
.LBB747_33:
	s_or_b32 exec_lo, exec_lo, s12
	s_delay_alu instid0(SALU_CYCLE_1)
	s_mov_b32 s12, exec_lo
                                        ; implicit-def: $vgpr7_vgpr8
	v_cmpx_gt_u32_e64 s31, v40
	s_cbranch_execz .LBB747_35
; %bb.34:
	v_lshlrev_b32_e32 v7, 3, v40
	global_load_b64 v[7:8], v7, s[0:1]
.LBB747_35:
	s_or_b32 exec_lo, exec_lo, s12
	s_delay_alu instid0(SALU_CYCLE_1)
	s_mov_b32 s12, exec_lo
                                        ; implicit-def: $vgpr9_vgpr10
	v_cmpx_gt_u32_e64 s31, v37
	s_cbranch_execz .LBB747_37
; %bb.36:
	v_lshlrev_b32_e32 v9, 3, v37
	global_load_b64 v[9:10], v9, s[0:1]
.LBB747_37:
	s_or_b32 exec_lo, exec_lo, s12
	s_delay_alu instid0(SALU_CYCLE_1)
	s_mov_b32 s12, exec_lo
                                        ; implicit-def: $vgpr11_vgpr12
	v_cmpx_gt_u32_e64 s31, v35
	s_cbranch_execz .LBB747_39
; %bb.38:
	v_lshlrev_b32_e32 v11, 3, v35
	global_load_b64 v[11:12], v11, s[0:1]
.LBB747_39:
	s_or_b32 exec_lo, exec_lo, s12
	s_delay_alu instid0(SALU_CYCLE_1)
	s_mov_b32 s12, exec_lo
                                        ; implicit-def: $vgpr13_vgpr14
	v_cmpx_gt_u32_e64 s31, v33
	s_cbranch_execz .LBB747_41
; %bb.40:
	v_lshlrev_b32_e32 v13, 3, v33
	global_load_b64 v[13:14], v13, s[0:1]
.LBB747_41:
	s_or_b32 exec_lo, exec_lo, s12
	s_delay_alu instid0(SALU_CYCLE_1)
	s_mov_b32 s12, exec_lo
                                        ; implicit-def: $vgpr15_vgpr16
	v_cmpx_gt_u32_e64 s31, v36
	s_cbranch_execz .LBB747_43
; %bb.42:
	v_lshlrev_b32_e32 v15, 3, v36
	global_load_b64 v[15:16], v15, s[0:1]
.LBB747_43:
	s_or_b32 exec_lo, exec_lo, s12
	v_lshrrev_b32_e32 v39, 2, v39
	v_lshrrev_b32_e32 v38, 2, v38
	v_lshrrev_b32_e32 v40, 2, v40
	v_lshrrev_b32_e32 v37, 2, v37
	v_and_b32_e32 v34, 0x78, v34
	v_lshrrev_b32_e32 v35, 2, v35
	v_lshrrev_b32_e32 v33, 2, v33
	;; [unrolled: 1-line block ×3, first 2 shown]
	v_and_b32_e32 v39, 0xf8, v39
	v_and_b32_e32 v38, 0x1f8, v38
	;; [unrolled: 1-line block ×4, first 2 shown]
	v_add_nc_u32_e32 v34, v34, v55
	v_and_b32_e32 v35, 0x3f8, v35
	v_and_b32_e32 v33, 0x3f8, v33
	v_and_b32_e32 v36, 0x3f8, v36
	v_add_nc_u32_e32 v39, v39, v55
	v_add_nc_u32_e32 v38, v38, v55
	;; [unrolled: 1-line block ×7, first 2 shown]
	s_waitcnt vmcnt(0)
	ds_store_b64 v34, v[1:2]
	ds_store_b64 v39, v[3:4] offset:4096
	ds_store_b64 v38, v[5:6] offset:8192
	;; [unrolled: 1-line block ×7, first 2 shown]
	s_waitcnt lgkmcnt(0)
	s_barrier
.LBB747_44:
	buffer_gl0_inv
	ds_load_2addr_b64 v[13:16], v41 offset1:1
	ds_load_2addr_b64 v[9:12], v41 offset0:2 offset1:3
	ds_load_2addr_b64 v[5:8], v41 offset0:4 offset1:5
	;; [unrolled: 1-line block ×3, first 2 shown]
	s_cmp_lg_u32 s30, 0
	v_cmp_gt_i64_e64 s13, s[14:15], 0
	s_cselect_b32 s12, -1, 0
	s_cmp_lg_u64 s[6:7], 0
	s_mov_b32 s1, 0
	s_cselect_b32 s0, -1, 0
	s_waitcnt lgkmcnt(0)
	s_or_b32 s0, s0, s12
	s_barrier
	s_and_b32 vcc_lo, exec_lo, s0
	buffer_gl0_inv
	s_cbranch_vccz .LBB747_53
; %bb.45:
	v_mov_b32_e32 v33, 0
	v_cndmask_b32_e64 v43, 0, 1, s13
	s_and_b32 vcc_lo, exec_lo, s29
	ds_store_b64 v55, v[19:20]
	global_load_b64 v[33:34], v33, s[4:5] offset:-8
	v_cmp_ne_u32_e64 s0, 1, v43
	s_cbranch_vccz .LBB747_54
; %bb.46:
	v_mul_lo_u32 v37, v18, s14
	v_mul_lo_u32 v38, v17, s15
	v_mad_u64_u32 v[35:36], null, v17, s14, 0
	s_and_b32 vcc_lo, exec_lo, s0
	s_mov_b32 s24, 0
	s_delay_alu instid0(VALU_DEP_1) | instskip(NEXT) | instid1(VALU_DEP_1)
	v_add3_u32 v36, v36, v38, v37
	v_lshlrev_b64 v[35:36], 1, v[35:36]
	s_cbranch_vccnz .LBB747_57
; %bb.47:
	v_mul_lo_u32 v39, v20, s14
	v_mul_lo_u32 v40, v19, s15
	v_mad_u64_u32 v[37:38], null, v19, s14, 0
	s_mov_b32 s24, -1
	s_mov_b32 s25, exec_lo
	s_delay_alu instid0(VALU_DEP_1) | instskip(SKIP_2) | instid1(VALU_DEP_3)
	v_add3_u32 v38, v38, v40, v39
	v_add_co_u32 v39, vcc_lo, s20, v35
	v_add_co_ci_u32_e32 v40, vcc_lo, s21, v36, vcc_lo
	v_lshlrev_b64 v[37:38], 1, v[37:38]
	s_delay_alu instid0(VALU_DEP_1) | instskip(NEXT) | instid1(VALU_DEP_2)
	v_add_co_u32 v37, vcc_lo, s20, v37
	v_add_co_ci_u32_e32 v38, vcc_lo, s21, v38, vcc_lo
	s_clause 0x1
	global_load_u16 v41, v[39:40], off
	global_load_u16 v42, v[37:38], off
	s_waitcnt vmcnt(0)
	v_cmpx_eq_u16_e64 v41, v42
	s_cbranch_execz .LBB747_56
; %bb.48:
	v_add_co_u32 v37, vcc_lo, v37, 2
	v_add_co_ci_u32_e32 v38, vcc_lo, 0, v38, vcc_lo
	v_add_co_u32 v39, vcc_lo, v39, 2
	v_add_co_ci_u32_e32 v40, vcc_lo, 0, v40, vcc_lo
	s_add_u32 s4, s14, -1
	s_addc_u32 s5, s15, -1
	s_mov_b64 s[6:7], 0
	s_mov_b32 s24, 0
                                        ; implicit-def: $sgpr26
	s_set_inst_prefetch_distance 0x1
	s_branch .LBB747_51
	.p2align	6
.LBB747_49:                             ;   in Loop: Header=BB747_51 Depth=1
	global_load_u16 v41, v[39:40], off
	global_load_u16 v42, v[37:38], off
	v_add_co_u32 v37, vcc_lo, v37, 2
	v_add_co_ci_u32_e32 v38, vcc_lo, 0, v38, vcc_lo
	v_add_co_u32 v39, s0, v39, 2
	s_delay_alu instid0(VALU_DEP_1)
	v_add_co_ci_u32_e64 v40, s0, 0, v40, s0
	s_add_u32 s6, s6, 1
	s_addc_u32 s7, s7, 0
	s_and_not1_b32 s0, s26, exec_lo
	s_waitcnt vmcnt(0)
	v_cmp_ne_u16_e32 vcc_lo, v41, v42
	s_and_b32 s26, vcc_lo, exec_lo
	s_delay_alu instid0(SALU_CYCLE_1)
	s_or_b32 s26, s0, s26
.LBB747_50:                             ;   in Loop: Header=BB747_51 Depth=1
	v_dual_mov_b32 v42, s7 :: v_dual_mov_b32 v41, s6
	s_and_b32 s0, exec_lo, s26
	s_delay_alu instid0(SALU_CYCLE_1) | instskip(NEXT) | instid1(SALU_CYCLE_1)
	s_or_b32 s24, s0, s24
	s_and_not1_b32 exec_lo, exec_lo, s24
	s_cbranch_execz .LBB747_55
.LBB747_51:                             ; =>This Inner Loop Header: Depth=1
	s_or_b32 s26, s26, exec_lo
	s_cmp_eq_u64 s[4:5], s[6:7]
	s_cbranch_scc0 .LBB747_49
; %bb.52:                               ;   in Loop: Header=BB747_51 Depth=1
	s_mov_b64 s[6:7], s[14:15]
                                        ; implicit-def: $vgpr37_vgpr38
                                        ; implicit-def: $vgpr39_vgpr40
	s_branch .LBB747_50
.LBB747_53:
                                        ; implicit-def: $sgpr0
                                        ; implicit-def: $vgpr36
	s_branch .LBB747_215
.LBB747_54:
                                        ; implicit-def: $sgpr0
                                        ; implicit-def: $vgpr36
	s_cbranch_execnz .LBB747_123
	s_branch .LBB747_214
.LBB747_55:
	s_set_inst_prefetch_distance 0x2
	s_or_b32 exec_lo, exec_lo, s24
	v_cmp_gt_i64_e32 vcc_lo, s[14:15], v[41:42]
	s_or_not1_b32 s24, vcc_lo, exec_lo
.LBB747_56:
	s_or_b32 exec_lo, exec_lo, s25
.LBB747_57:
	v_mul_lo_u32 v39, v24, s14
	v_mul_lo_u32 v40, v23, s15
	v_mad_u64_u32 v[37:38], null, v23, s14, 0
	s_and_not1_b32 vcc_lo, exec_lo, s13
	s_delay_alu instid0(VALU_DEP_1) | instskip(NEXT) | instid1(VALU_DEP_1)
	v_add3_u32 v38, v38, v40, v39
	v_lshlrev_b64 v[37:38], 1, v[37:38]
	s_cbranch_vccnz .LBB747_66
; %bb.58:
	s_delay_alu instid0(VALU_DEP_1) | instskip(NEXT) | instid1(VALU_DEP_2)
	v_add_co_u32 v39, vcc_lo, s20, v37
	v_add_co_ci_u32_e32 v40, vcc_lo, s21, v38, vcc_lo
	v_add_co_u32 v35, vcc_lo, s20, v35
	v_add_co_ci_u32_e32 v36, vcc_lo, s21, v36, vcc_lo
	s_mov_b32 s1, -1
	s_clause 0x1
	global_load_u16 v41, v[39:40], off
	global_load_u16 v42, v[35:36], off
	s_mov_b32 s25, exec_lo
	s_waitcnt vmcnt(0)
	v_cmpx_eq_u16_e64 v41, v42
	s_cbranch_execz .LBB747_65
; %bb.59:
	v_add_co_u32 v35, vcc_lo, v35, 2
	v_add_co_ci_u32_e32 v36, vcc_lo, 0, v36, vcc_lo
	v_add_co_u32 v39, vcc_lo, v39, 2
	v_add_co_ci_u32_e32 v40, vcc_lo, 0, v40, vcc_lo
	s_add_u32 s4, s14, -1
	s_addc_u32 s5, s15, -1
	s_mov_b64 s[6:7], 0
	s_mov_b32 s1, 0
                                        ; implicit-def: $sgpr26
	s_set_inst_prefetch_distance 0x1
	s_branch .LBB747_62
	.p2align	6
.LBB747_60:                             ;   in Loop: Header=BB747_62 Depth=1
	global_load_u16 v41, v[39:40], off
	global_load_u16 v42, v[35:36], off
	v_add_co_u32 v35, vcc_lo, v35, 2
	v_add_co_ci_u32_e32 v36, vcc_lo, 0, v36, vcc_lo
	v_add_co_u32 v39, s0, v39, 2
	s_delay_alu instid0(VALU_DEP_1)
	v_add_co_ci_u32_e64 v40, s0, 0, v40, s0
	s_add_u32 s6, s6, 1
	s_addc_u32 s7, s7, 0
	s_and_not1_b32 s0, s26, exec_lo
	s_waitcnt vmcnt(0)
	v_cmp_ne_u16_e32 vcc_lo, v41, v42
	s_and_b32 s26, vcc_lo, exec_lo
	s_delay_alu instid0(SALU_CYCLE_1)
	s_or_b32 s26, s0, s26
.LBB747_61:                             ;   in Loop: Header=BB747_62 Depth=1
	v_dual_mov_b32 v42, s7 :: v_dual_mov_b32 v41, s6
	s_and_b32 s0, exec_lo, s26
	s_delay_alu instid0(SALU_CYCLE_1) | instskip(NEXT) | instid1(SALU_CYCLE_1)
	s_or_b32 s1, s0, s1
	s_and_not1_b32 exec_lo, exec_lo, s1
	s_cbranch_execz .LBB747_64
.LBB747_62:                             ; =>This Inner Loop Header: Depth=1
	s_or_b32 s26, s26, exec_lo
	s_cmp_eq_u64 s[4:5], s[6:7]
	s_cbranch_scc0 .LBB747_60
; %bb.63:                               ;   in Loop: Header=BB747_62 Depth=1
	s_mov_b64 s[6:7], s[14:15]
                                        ; implicit-def: $vgpr35_vgpr36
                                        ; implicit-def: $vgpr39_vgpr40
	s_branch .LBB747_61
.LBB747_64:
	s_set_inst_prefetch_distance 0x2
	s_or_b32 exec_lo, exec_lo, s1
	v_cmp_gt_i64_e32 vcc_lo, s[14:15], v[41:42]
	s_or_not1_b32 s1, vcc_lo, exec_lo
.LBB747_65:
	s_or_b32 exec_lo, exec_lo, s25
.LBB747_66:
	v_mul_lo_u32 v39, v22, s14
	v_mul_lo_u32 v40, v21, s15
	v_mad_u64_u32 v[35:36], null, v21, s14, 0
	s_mov_b32 s25, 0
	s_and_not1_b32 vcc_lo, exec_lo, s13
	s_mov_b32 s26, 0
	s_delay_alu instid0(VALU_DEP_1) | instskip(NEXT) | instid1(VALU_DEP_1)
	v_add3_u32 v36, v36, v40, v39
	v_lshlrev_b64 v[39:40], 1, v[35:36]
	s_cbranch_vccnz .LBB747_75
; %bb.67:
	s_delay_alu instid0(VALU_DEP_1) | instskip(NEXT) | instid1(VALU_DEP_2)
	v_add_co_u32 v41, vcc_lo, s20, v39
	v_add_co_ci_u32_e32 v42, vcc_lo, s21, v40, vcc_lo
	v_add_co_u32 v35, vcc_lo, s20, v37
	v_add_co_ci_u32_e32 v36, vcc_lo, s21, v38, vcc_lo
	s_mov_b32 s26, -1
	s_clause 0x1
	global_load_u16 v37, v[41:42], off
	global_load_u16 v38, v[35:36], off
	s_mov_b32 s27, exec_lo
	s_waitcnt vmcnt(0)
	v_cmpx_eq_u16_e64 v37, v38
	s_cbranch_execz .LBB747_74
; %bb.68:
	v_add_co_u32 v35, vcc_lo, v35, 2
	v_add_co_ci_u32_e32 v36, vcc_lo, 0, v36, vcc_lo
	v_add_co_u32 v37, vcc_lo, v41, 2
	v_add_co_ci_u32_e32 v38, vcc_lo, 0, v42, vcc_lo
	s_add_u32 s4, s14, -1
	s_addc_u32 s5, s15, -1
	s_mov_b64 s[6:7], 0
	s_mov_b32 s26, 0
                                        ; implicit-def: $sgpr34
	s_set_inst_prefetch_distance 0x1
	s_branch .LBB747_71
	.p2align	6
.LBB747_69:                             ;   in Loop: Header=BB747_71 Depth=1
	global_load_u16 v41, v[37:38], off
	global_load_u16 v42, v[35:36], off
	v_add_co_u32 v35, vcc_lo, v35, 2
	v_add_co_ci_u32_e32 v36, vcc_lo, 0, v36, vcc_lo
	v_add_co_u32 v37, s0, v37, 2
	s_delay_alu instid0(VALU_DEP_1)
	v_add_co_ci_u32_e64 v38, s0, 0, v38, s0
	s_add_u32 s6, s6, 1
	s_addc_u32 s7, s7, 0
	s_and_not1_b32 s0, s34, exec_lo
	s_waitcnt vmcnt(0)
	v_cmp_ne_u16_e32 vcc_lo, v41, v42
	s_and_b32 s34, vcc_lo, exec_lo
	s_delay_alu instid0(SALU_CYCLE_1)
	s_or_b32 s34, s0, s34
.LBB747_70:                             ;   in Loop: Header=BB747_71 Depth=1
	v_dual_mov_b32 v42, s7 :: v_dual_mov_b32 v41, s6
	s_and_b32 s0, exec_lo, s34
	s_delay_alu instid0(SALU_CYCLE_1) | instskip(NEXT) | instid1(SALU_CYCLE_1)
	s_or_b32 s26, s0, s26
	s_and_not1_b32 exec_lo, exec_lo, s26
	s_cbranch_execz .LBB747_73
.LBB747_71:                             ; =>This Inner Loop Header: Depth=1
	s_or_b32 s34, s34, exec_lo
	s_cmp_eq_u64 s[4:5], s[6:7]
	s_cbranch_scc0 .LBB747_69
; %bb.72:                               ;   in Loop: Header=BB747_71 Depth=1
	s_mov_b64 s[6:7], s[14:15]
                                        ; implicit-def: $vgpr35_vgpr36
                                        ; implicit-def: $vgpr37_vgpr38
	s_branch .LBB747_70
.LBB747_73:
	s_set_inst_prefetch_distance 0x2
	s_or_b32 exec_lo, exec_lo, s26
	v_cmp_gt_i64_e32 vcc_lo, s[14:15], v[41:42]
	s_or_not1_b32 s26, vcc_lo, exec_lo
.LBB747_74:
	s_or_b32 exec_lo, exec_lo, s27
.LBB747_75:
	v_mul_lo_u32 v37, v28, s14
	v_mul_lo_u32 v38, v27, s15
	v_mad_u64_u32 v[35:36], null, v27, s14, 0
	s_and_not1_b32 vcc_lo, exec_lo, s13
	s_delay_alu instid0(VALU_DEP_1) | instskip(NEXT) | instid1(VALU_DEP_1)
	v_add3_u32 v36, v36, v38, v37
	v_lshlrev_b64 v[35:36], 1, v[35:36]
	s_cbranch_vccnz .LBB747_84
; %bb.76:
	s_delay_alu instid0(VALU_DEP_1) | instskip(NEXT) | instid1(VALU_DEP_2)
	v_add_co_u32 v41, vcc_lo, s20, v35
	v_add_co_ci_u32_e32 v42, vcc_lo, s21, v36, vcc_lo
	v_add_co_u32 v37, vcc_lo, s20, v39
	v_add_co_ci_u32_e32 v38, vcc_lo, s21, v40, vcc_lo
	s_mov_b32 s25, -1
	s_clause 0x1
	global_load_u16 v39, v[41:42], off
	global_load_u16 v40, v[37:38], off
	s_mov_b32 s27, exec_lo
	s_waitcnt vmcnt(0)
	v_cmpx_eq_u16_e64 v39, v40
	s_cbranch_execz .LBB747_83
; %bb.77:
	v_add_co_u32 v37, vcc_lo, v37, 2
	v_add_co_ci_u32_e32 v38, vcc_lo, 0, v38, vcc_lo
	v_add_co_u32 v39, vcc_lo, v41, 2
	v_add_co_ci_u32_e32 v40, vcc_lo, 0, v42, vcc_lo
	s_add_u32 s4, s14, -1
	s_addc_u32 s5, s15, -1
	s_mov_b64 s[6:7], 0
	s_mov_b32 s25, 0
                                        ; implicit-def: $sgpr34
	s_set_inst_prefetch_distance 0x1
	s_branch .LBB747_80
	.p2align	6
.LBB747_78:                             ;   in Loop: Header=BB747_80 Depth=1
	global_load_u16 v41, v[39:40], off
	global_load_u16 v42, v[37:38], off
	v_add_co_u32 v37, vcc_lo, v37, 2
	v_add_co_ci_u32_e32 v38, vcc_lo, 0, v38, vcc_lo
	v_add_co_u32 v39, s0, v39, 2
	s_delay_alu instid0(VALU_DEP_1)
	v_add_co_ci_u32_e64 v40, s0, 0, v40, s0
	s_add_u32 s6, s6, 1
	s_addc_u32 s7, s7, 0
	s_and_not1_b32 s0, s34, exec_lo
	s_waitcnt vmcnt(0)
	v_cmp_ne_u16_e32 vcc_lo, v41, v42
	s_and_b32 s34, vcc_lo, exec_lo
	s_delay_alu instid0(SALU_CYCLE_1)
	s_or_b32 s34, s0, s34
.LBB747_79:                             ;   in Loop: Header=BB747_80 Depth=1
	v_dual_mov_b32 v42, s7 :: v_dual_mov_b32 v41, s6
	s_and_b32 s0, exec_lo, s34
	s_delay_alu instid0(SALU_CYCLE_1) | instskip(NEXT) | instid1(SALU_CYCLE_1)
	s_or_b32 s25, s0, s25
	s_and_not1_b32 exec_lo, exec_lo, s25
	s_cbranch_execz .LBB747_82
.LBB747_80:                             ; =>This Inner Loop Header: Depth=1
	s_or_b32 s34, s34, exec_lo
	s_cmp_eq_u64 s[4:5], s[6:7]
	s_cbranch_scc0 .LBB747_78
; %bb.81:                               ;   in Loop: Header=BB747_80 Depth=1
	s_mov_b64 s[6:7], s[14:15]
                                        ; implicit-def: $vgpr37_vgpr38
                                        ; implicit-def: $vgpr39_vgpr40
	s_branch .LBB747_79
.LBB747_82:
	s_set_inst_prefetch_distance 0x2
	s_or_b32 exec_lo, exec_lo, s25
	v_cmp_gt_i64_e32 vcc_lo, s[14:15], v[41:42]
	s_or_not1_b32 s25, vcc_lo, exec_lo
.LBB747_83:
	s_or_b32 exec_lo, exec_lo, s27
.LBB747_84:
	v_mul_lo_u32 v39, v26, s14
	v_mul_lo_u32 v40, v25, s15
	v_mad_u64_u32 v[37:38], null, v25, s14, 0
	s_mov_b32 s27, 0
	s_and_not1_b32 vcc_lo, exec_lo, s13
	s_mov_b32 s34, 0
	s_delay_alu instid0(VALU_DEP_1) | instskip(NEXT) | instid1(VALU_DEP_1)
	v_add3_u32 v38, v38, v40, v39
	v_lshlrev_b64 v[39:40], 1, v[37:38]
	s_cbranch_vccnz .LBB747_93
; %bb.85:
	s_delay_alu instid0(VALU_DEP_1) | instskip(NEXT) | instid1(VALU_DEP_2)
	v_add_co_u32 v37, vcc_lo, s20, v39
	v_add_co_ci_u32_e32 v38, vcc_lo, s21, v40, vcc_lo
	v_add_co_u32 v35, vcc_lo, s20, v35
	v_add_co_ci_u32_e32 v36, vcc_lo, s21, v36, vcc_lo
	s_mov_b32 s34, -1
	s_clause 0x1
	global_load_u16 v41, v[37:38], off
	global_load_u16 v42, v[35:36], off
	s_mov_b32 s35, exec_lo
	s_waitcnt vmcnt(0)
	v_cmpx_eq_u16_e64 v41, v42
	s_cbranch_execz .LBB747_92
; %bb.86:
	v_add_co_u32 v35, vcc_lo, v35, 2
	v_add_co_ci_u32_e32 v36, vcc_lo, 0, v36, vcc_lo
	v_add_co_u32 v37, vcc_lo, v37, 2
	v_add_co_ci_u32_e32 v38, vcc_lo, 0, v38, vcc_lo
	s_add_u32 s4, s14, -1
	s_addc_u32 s5, s15, -1
	s_mov_b64 s[6:7], 0
	s_mov_b32 s34, 0
                                        ; implicit-def: $sgpr36
	s_set_inst_prefetch_distance 0x1
	s_branch .LBB747_89
	.p2align	6
.LBB747_87:                             ;   in Loop: Header=BB747_89 Depth=1
	global_load_u16 v41, v[37:38], off
	global_load_u16 v42, v[35:36], off
	v_add_co_u32 v35, vcc_lo, v35, 2
	v_add_co_ci_u32_e32 v36, vcc_lo, 0, v36, vcc_lo
	v_add_co_u32 v37, s0, v37, 2
	s_delay_alu instid0(VALU_DEP_1)
	v_add_co_ci_u32_e64 v38, s0, 0, v38, s0
	s_add_u32 s6, s6, 1
	s_addc_u32 s7, s7, 0
	s_and_not1_b32 s0, s36, exec_lo
	s_waitcnt vmcnt(0)
	v_cmp_ne_u16_e32 vcc_lo, v41, v42
	s_and_b32 s36, vcc_lo, exec_lo
	s_delay_alu instid0(SALU_CYCLE_1)
	s_or_b32 s36, s0, s36
.LBB747_88:                             ;   in Loop: Header=BB747_89 Depth=1
	v_dual_mov_b32 v42, s7 :: v_dual_mov_b32 v41, s6
	s_and_b32 s0, exec_lo, s36
	s_delay_alu instid0(SALU_CYCLE_1) | instskip(NEXT) | instid1(SALU_CYCLE_1)
	s_or_b32 s34, s0, s34
	s_and_not1_b32 exec_lo, exec_lo, s34
	s_cbranch_execz .LBB747_91
.LBB747_89:                             ; =>This Inner Loop Header: Depth=1
	s_or_b32 s36, s36, exec_lo
	s_cmp_eq_u64 s[4:5], s[6:7]
	s_cbranch_scc0 .LBB747_87
; %bb.90:                               ;   in Loop: Header=BB747_89 Depth=1
	s_mov_b64 s[6:7], s[14:15]
                                        ; implicit-def: $vgpr35_vgpr36
                                        ; implicit-def: $vgpr37_vgpr38
	s_branch .LBB747_88
.LBB747_91:
	s_set_inst_prefetch_distance 0x2
	s_or_b32 exec_lo, exec_lo, s34
	v_cmp_gt_i64_e32 vcc_lo, s[14:15], v[41:42]
	s_or_not1_b32 s34, vcc_lo, exec_lo
.LBB747_92:
	s_or_b32 exec_lo, exec_lo, s35
.LBB747_93:
	v_mul_lo_u32 v37, v32, s14
	v_mul_lo_u32 v38, v31, s15
	v_mad_u64_u32 v[35:36], null, v31, s14, 0
	s_and_not1_b32 vcc_lo, exec_lo, s13
	s_delay_alu instid0(VALU_DEP_1) | instskip(NEXT) | instid1(VALU_DEP_1)
	v_add3_u32 v36, v36, v38, v37
	v_lshlrev_b64 v[37:38], 1, v[35:36]
	s_cbranch_vccnz .LBB747_102
; %bb.94:
	s_delay_alu instid0(VALU_DEP_1) | instskip(NEXT) | instid1(VALU_DEP_2)
	v_add_co_u32 v41, vcc_lo, s20, v37
	v_add_co_ci_u32_e32 v42, vcc_lo, s21, v38, vcc_lo
	v_add_co_u32 v35, vcc_lo, s20, v39
	v_add_co_ci_u32_e32 v36, vcc_lo, s21, v40, vcc_lo
	s_mov_b32 s27, -1
	s_clause 0x1
	global_load_u16 v39, v[41:42], off
	global_load_u16 v40, v[35:36], off
	s_mov_b32 s35, exec_lo
	s_waitcnt vmcnt(0)
	v_cmpx_eq_u16_e64 v39, v40
	s_cbranch_execz .LBB747_101
; %bb.95:
	v_add_co_u32 v35, vcc_lo, v35, 2
	v_add_co_ci_u32_e32 v36, vcc_lo, 0, v36, vcc_lo
	v_add_co_u32 v39, vcc_lo, v41, 2
	v_add_co_ci_u32_e32 v40, vcc_lo, 0, v42, vcc_lo
	s_add_u32 s4, s14, -1
	s_addc_u32 s5, s15, -1
	s_mov_b64 s[6:7], 0
	s_mov_b32 s27, 0
                                        ; implicit-def: $sgpr36
	s_set_inst_prefetch_distance 0x1
	s_branch .LBB747_98
	.p2align	6
.LBB747_96:                             ;   in Loop: Header=BB747_98 Depth=1
	global_load_u16 v41, v[39:40], off
	global_load_u16 v42, v[35:36], off
	v_add_co_u32 v35, vcc_lo, v35, 2
	v_add_co_ci_u32_e32 v36, vcc_lo, 0, v36, vcc_lo
	v_add_co_u32 v39, s0, v39, 2
	s_delay_alu instid0(VALU_DEP_1)
	v_add_co_ci_u32_e64 v40, s0, 0, v40, s0
	s_add_u32 s6, s6, 1
	s_addc_u32 s7, s7, 0
	s_and_not1_b32 s0, s36, exec_lo
	s_waitcnt vmcnt(0)
	v_cmp_ne_u16_e32 vcc_lo, v41, v42
	s_and_b32 s36, vcc_lo, exec_lo
	s_delay_alu instid0(SALU_CYCLE_1)
	s_or_b32 s36, s0, s36
.LBB747_97:                             ;   in Loop: Header=BB747_98 Depth=1
	v_dual_mov_b32 v42, s7 :: v_dual_mov_b32 v41, s6
	s_and_b32 s0, exec_lo, s36
	s_delay_alu instid0(SALU_CYCLE_1) | instskip(NEXT) | instid1(SALU_CYCLE_1)
	s_or_b32 s27, s0, s27
	s_and_not1_b32 exec_lo, exec_lo, s27
	s_cbranch_execz .LBB747_100
.LBB747_98:                             ; =>This Inner Loop Header: Depth=1
	s_or_b32 s36, s36, exec_lo
	s_cmp_eq_u64 s[4:5], s[6:7]
	s_cbranch_scc0 .LBB747_96
; %bb.99:                               ;   in Loop: Header=BB747_98 Depth=1
	s_mov_b64 s[6:7], s[14:15]
                                        ; implicit-def: $vgpr35_vgpr36
                                        ; implicit-def: $vgpr39_vgpr40
	s_branch .LBB747_97
.LBB747_100:
	s_set_inst_prefetch_distance 0x2
	s_or_b32 exec_lo, exec_lo, s27
	v_cmp_gt_i64_e32 vcc_lo, s[14:15], v[41:42]
	s_or_not1_b32 s27, vcc_lo, exec_lo
.LBB747_101:
	s_or_b32 exec_lo, exec_lo, s35
.LBB747_102:
	v_mul_lo_u32 v39, v30, s14
	v_mul_lo_u32 v40, v29, s15
	v_mad_u64_u32 v[35:36], null, v29, s14, 0
	s_and_not1_b32 vcc_lo, exec_lo, s13
	s_mov_b32 s0, 0
	s_delay_alu instid0(VALU_DEP_1) | instskip(NEXT) | instid1(VALU_DEP_1)
	v_add3_u32 v36, v36, v40, v39
	v_lshlrev_b64 v[35:36], 1, v[35:36]
	s_cbranch_vccnz .LBB747_111
; %bb.103:
	s_delay_alu instid0(VALU_DEP_1) | instskip(NEXT) | instid1(VALU_DEP_2)
	v_add_co_u32 v39, vcc_lo, s20, v35
	v_add_co_ci_u32_e32 v40, vcc_lo, s21, v36, vcc_lo
	v_add_co_u32 v37, vcc_lo, s20, v37
	v_add_co_ci_u32_e32 v38, vcc_lo, s21, v38, vcc_lo
	s_mov_b32 s0, -1
	s_clause 0x1
	global_load_u16 v41, v[39:40], off
	global_load_u16 v42, v[37:38], off
	s_mov_b32 s35, exec_lo
	s_waitcnt vmcnt(0)
	v_cmpx_eq_u16_e64 v41, v42
	s_cbranch_execz .LBB747_110
; %bb.104:
	v_add_co_u32 v37, vcc_lo, v37, 2
	v_add_co_ci_u32_e32 v38, vcc_lo, 0, v38, vcc_lo
	v_add_co_u32 v39, vcc_lo, v39, 2
	v_add_co_ci_u32_e32 v40, vcc_lo, 0, v40, vcc_lo
	s_add_u32 s4, s14, -1
	s_addc_u32 s5, s15, -1
	s_mov_b64 s[6:7], 0
	s_mov_b32 s36, 0
                                        ; implicit-def: $sgpr37
	s_set_inst_prefetch_distance 0x1
	s_branch .LBB747_107
	.p2align	6
.LBB747_105:                            ;   in Loop: Header=BB747_107 Depth=1
	global_load_u16 v41, v[39:40], off
	global_load_u16 v42, v[37:38], off
	v_add_co_u32 v37, vcc_lo, v37, 2
	v_add_co_ci_u32_e32 v38, vcc_lo, 0, v38, vcc_lo
	v_add_co_u32 v39, s0, v39, 2
	s_delay_alu instid0(VALU_DEP_1)
	v_add_co_ci_u32_e64 v40, s0, 0, v40, s0
	s_add_u32 s6, s6, 1
	s_addc_u32 s7, s7, 0
	s_and_not1_b32 s0, s37, exec_lo
	s_waitcnt vmcnt(0)
	v_cmp_ne_u16_e32 vcc_lo, v41, v42
	s_and_b32 s37, vcc_lo, exec_lo
	s_delay_alu instid0(SALU_CYCLE_1)
	s_or_b32 s37, s0, s37
.LBB747_106:                            ;   in Loop: Header=BB747_107 Depth=1
	v_dual_mov_b32 v42, s7 :: v_dual_mov_b32 v41, s6
	s_and_b32 s0, exec_lo, s37
	s_delay_alu instid0(SALU_CYCLE_1) | instskip(NEXT) | instid1(SALU_CYCLE_1)
	s_or_b32 s36, s0, s36
	s_and_not1_b32 exec_lo, exec_lo, s36
	s_cbranch_execz .LBB747_109
.LBB747_107:                            ; =>This Inner Loop Header: Depth=1
	s_or_b32 s37, s37, exec_lo
	s_cmp_eq_u64 s[4:5], s[6:7]
	s_cbranch_scc0 .LBB747_105
; %bb.108:                              ;   in Loop: Header=BB747_107 Depth=1
	s_mov_b64 s[6:7], s[14:15]
                                        ; implicit-def: $vgpr37_vgpr38
                                        ; implicit-def: $vgpr39_vgpr40
	s_branch .LBB747_106
.LBB747_109:
	s_set_inst_prefetch_distance 0x2
	s_or_b32 exec_lo, exec_lo, s36
	v_cmp_gt_i64_e32 vcc_lo, s[14:15], v[41:42]
	s_or_not1_b32 s0, vcc_lo, exec_lo
.LBB747_110:
	s_or_b32 exec_lo, exec_lo, s35
.LBB747_111:
	s_waitcnt vmcnt(0)
	v_dual_mov_b32 v38, v34 :: v_dual_mov_b32 v37, v33
	s_waitcnt lgkmcnt(0)
	s_barrier
	buffer_gl0_inv
	s_and_saveexec_b32 s4, s3
	s_cbranch_execz .LBB747_113
; %bb.112:
	v_add_nc_u32_e32 v37, -8, v55
	ds_load_b64 v[37:38], v37
.LBB747_113:
	s_or_b32 exec_lo, exec_lo, s4
	v_cndmask_b32_e64 v40, 0, 1, s34
	v_cndmask_b32_e64 v42, 0, 1, s26
	v_cndmask_b32_e64 v44, 0, 1, s24
	v_cndmask_b32_e64 v39, 0, 1, s27
	v_cndmask_b32_e64 v41, 0, 1, s25
	v_cndmask_b32_e64 v45, 0, 1, s0
	v_cndmask_b32_e64 v46, 0, 1, s1
	v_lshlrev_b16 v40, 8, v40
	v_lshlrev_b16 v42, 8, v42
	;; [unrolled: 1-line block ×4, first 2 shown]
	s_mov_b32 s1, 0
	v_or_b32_e32 v39, v39, v40
	v_or_b32_e32 v40, v41, v42
	;; [unrolled: 1-line block ×3, first 2 shown]
	v_and_b32_e32 v41, 0xffff, v45
	s_and_not1_b32 vcc_lo, exec_lo, s13
	v_lshlrev_b32_e32 v42, 16, v39
	v_and_b32_e32 v44, 0xffff, v40
	v_lshlrev_b32_e32 v45, 16, v46
	s_mov_b32 s0, 0
	s_cbranch_vccnz .LBB747_122
; %bb.114:
	s_waitcnt lgkmcnt(0)
	v_mul_lo_u32 v40, v38, s14
	v_mul_lo_u32 v46, v37, s15
	v_mad_u64_u32 v[38:39], null, v37, s14, 0
	s_mov_b32 s0, -1
	s_mov_b32 s24, exec_lo
	s_delay_alu instid0(VALU_DEP_1) | instskip(NEXT) | instid1(VALU_DEP_1)
	v_add3_u32 v39, v39, v46, v40
	v_lshlrev_b64 v[37:38], 1, v[38:39]
	s_delay_alu instid0(VALU_DEP_1) | instskip(NEXT) | instid1(VALU_DEP_2)
	v_add_co_u32 v37, vcc_lo, s20, v37
	v_add_co_ci_u32_e32 v38, vcc_lo, s21, v38, vcc_lo
	v_add_co_u32 v35, vcc_lo, s20, v35
	v_add_co_ci_u32_e32 v36, vcc_lo, s21, v36, vcc_lo
	s_clause 0x1
	global_load_u16 v39, v[37:38], off
	global_load_u16 v40, v[35:36], off
	s_waitcnt vmcnt(0)
	v_cmpx_eq_u16_e64 v39, v40
	s_cbranch_execz .LBB747_121
; %bb.115:
	v_add_co_u32 v35, vcc_lo, v35, 2
	v_add_co_ci_u32_e32 v36, vcc_lo, 0, v36, vcc_lo
	v_add_co_u32 v37, vcc_lo, v37, 2
	v_add_co_ci_u32_e32 v38, vcc_lo, 0, v38, vcc_lo
	s_add_u32 s4, s14, -1
	s_addc_u32 s5, s15, -1
	s_mov_b64 s[6:7], 0
	s_mov_b32 s25, 0
                                        ; implicit-def: $sgpr26
	s_set_inst_prefetch_distance 0x1
	s_branch .LBB747_118
	.p2align	6
.LBB747_116:                            ;   in Loop: Header=BB747_118 Depth=1
	global_load_u16 v39, v[37:38], off
	global_load_u16 v40, v[35:36], off
	v_add_co_u32 v35, vcc_lo, v35, 2
	v_add_co_ci_u32_e32 v36, vcc_lo, 0, v36, vcc_lo
	v_add_co_u32 v37, s0, v37, 2
	s_delay_alu instid0(VALU_DEP_1)
	v_add_co_ci_u32_e64 v38, s0, 0, v38, s0
	s_add_u32 s6, s6, 1
	s_addc_u32 s7, s7, 0
	s_and_not1_b32 s0, s26, exec_lo
	s_waitcnt vmcnt(0)
	v_cmp_ne_u16_e32 vcc_lo, v39, v40
	s_and_b32 s26, vcc_lo, exec_lo
	s_delay_alu instid0(SALU_CYCLE_1)
	s_or_b32 s26, s0, s26
.LBB747_117:                            ;   in Loop: Header=BB747_118 Depth=1
	v_dual_mov_b32 v40, s7 :: v_dual_mov_b32 v39, s6
	s_and_b32 s0, exec_lo, s26
	s_delay_alu instid0(SALU_CYCLE_1) | instskip(NEXT) | instid1(SALU_CYCLE_1)
	s_or_b32 s25, s0, s25
	s_and_not1_b32 exec_lo, exec_lo, s25
	s_cbranch_execz .LBB747_120
.LBB747_118:                            ; =>This Inner Loop Header: Depth=1
	s_or_b32 s26, s26, exec_lo
	s_cmp_eq_u64 s[4:5], s[6:7]
	s_cbranch_scc0 .LBB747_116
; %bb.119:                              ;   in Loop: Header=BB747_118 Depth=1
	s_mov_b64 s[6:7], s[14:15]
                                        ; implicit-def: $vgpr35_vgpr36
                                        ; implicit-def: $vgpr37_vgpr38
	s_branch .LBB747_117
.LBB747_120:
	s_set_inst_prefetch_distance 0x2
	s_or_b32 exec_lo, exec_lo, s25
	v_cmp_gt_i64_e32 vcc_lo, s[14:15], v[39:40]
	s_or_not1_b32 s0, vcc_lo, exec_lo
.LBB747_121:
	s_or_b32 exec_lo, exec_lo, s24
.LBB747_122:
	v_or_b32_e32 v35, v41, v42
	s_delay_alu instid0(VALU_DEP_2)
	v_or_b32_e32 v36, v44, v45
	s_and_b32 vcc_lo, exec_lo, s1
	s_cbranch_vccz .LBB747_214
.LBB747_123:
	v_or_b32_e32 v35, 7, v55
	s_mov_b32 s1, 0
	s_mov_b32 s24, 0
	s_mov_b32 s25, exec_lo
	s_delay_alu instid0(VALU_DEP_1)
	v_cmpx_gt_u32_e64 s31, v35
	s_cbranch_execz .LBB747_134
; %bb.124:
	s_and_not1_b32 vcc_lo, exec_lo, s13
	s_mov_b32 s0, 0
	s_cbranch_vccnz .LBB747_133
; %bb.125:
	v_mul_lo_u32 v39, v18, s14
	v_mul_lo_u32 v40, v17, s15
	v_mad_u64_u32 v[35:36], null, v17, s14, 0
	v_mul_lo_u32 v41, v20, s14
	v_mul_lo_u32 v42, v19, s15
	s_waitcnt lgkmcnt(0)
	v_mad_u64_u32 v[37:38], null, v19, s14, 0
	s_mov_b32 s0, -1
	s_mov_b32 s13, exec_lo
	s_delay_alu instid0(VALU_DEP_4) | instskip(NEXT) | instid1(VALU_DEP_2)
	v_add3_u32 v36, v36, v40, v39
	v_add3_u32 v38, v38, v42, v41
	s_delay_alu instid0(VALU_DEP_2) | instskip(NEXT) | instid1(VALU_DEP_2)
	v_lshlrev_b64 v[35:36], 1, v[35:36]
	v_lshlrev_b64 v[39:40], 1, v[37:38]
	s_delay_alu instid0(VALU_DEP_2) | instskip(NEXT) | instid1(VALU_DEP_3)
	v_add_co_u32 v37, vcc_lo, s20, v35
	v_add_co_ci_u32_e32 v38, vcc_lo, s21, v36, vcc_lo
	s_delay_alu instid0(VALU_DEP_3) | instskip(NEXT) | instid1(VALU_DEP_4)
	v_add_co_u32 v35, vcc_lo, s20, v39
	v_add_co_ci_u32_e32 v36, vcc_lo, s21, v40, vcc_lo
	s_clause 0x1
	global_load_u16 v39, v[37:38], off
	global_load_u16 v40, v[35:36], off
	s_waitcnt vmcnt(0)
	v_cmpx_eq_u16_e64 v39, v40
	s_cbranch_execz .LBB747_132
; %bb.126:
	v_add_co_u32 v35, vcc_lo, v35, 2
	v_add_co_ci_u32_e32 v36, vcc_lo, 0, v36, vcc_lo
	v_add_co_u32 v37, vcc_lo, v37, 2
	v_add_co_ci_u32_e32 v38, vcc_lo, 0, v38, vcc_lo
	s_add_u32 s4, s14, -1
	s_addc_u32 s5, s15, -1
	s_mov_b64 s[6:7], 0
                                        ; implicit-def: $sgpr26
	s_set_inst_prefetch_distance 0x1
	s_branch .LBB747_129
	.p2align	6
.LBB747_127:                            ;   in Loop: Header=BB747_129 Depth=1
	global_load_u16 v39, v[37:38], off
	global_load_u16 v40, v[35:36], off
	v_add_co_u32 v35, vcc_lo, v35, 2
	v_add_co_ci_u32_e32 v36, vcc_lo, 0, v36, vcc_lo
	v_add_co_u32 v37, s0, v37, 2
	s_delay_alu instid0(VALU_DEP_1)
	v_add_co_ci_u32_e64 v38, s0, 0, v38, s0
	s_add_u32 s6, s6, 1
	s_addc_u32 s7, s7, 0
	s_and_not1_b32 s0, s26, exec_lo
	s_waitcnt vmcnt(0)
	v_cmp_ne_u16_e32 vcc_lo, v39, v40
	s_and_b32 s26, vcc_lo, exec_lo
	s_delay_alu instid0(SALU_CYCLE_1)
	s_or_b32 s26, s0, s26
.LBB747_128:                            ;   in Loop: Header=BB747_129 Depth=1
	v_dual_mov_b32 v40, s7 :: v_dual_mov_b32 v39, s6
	s_and_b32 s0, exec_lo, s26
	s_delay_alu instid0(SALU_CYCLE_1) | instskip(NEXT) | instid1(SALU_CYCLE_1)
	s_or_b32 s24, s0, s24
	s_and_not1_b32 exec_lo, exec_lo, s24
	s_cbranch_execz .LBB747_131
.LBB747_129:                            ; =>This Inner Loop Header: Depth=1
	s_or_b32 s26, s26, exec_lo
	s_cmp_eq_u64 s[4:5], s[6:7]
	s_cbranch_scc0 .LBB747_127
; %bb.130:                              ;   in Loop: Header=BB747_129 Depth=1
	s_mov_b64 s[6:7], s[14:15]
                                        ; implicit-def: $vgpr35_vgpr36
                                        ; implicit-def: $vgpr37_vgpr38
	s_branch .LBB747_128
.LBB747_131:
	s_set_inst_prefetch_distance 0x2
	s_or_b32 exec_lo, exec_lo, s24
	v_cmp_gt_i64_e32 vcc_lo, s[14:15], v[39:40]
	s_or_not1_b32 s0, vcc_lo, exec_lo
.LBB747_132:
	s_or_b32 exec_lo, exec_lo, s13
.LBB747_133:
	s_delay_alu instid0(SALU_CYCLE_1)
	s_and_b32 s24, s0, exec_lo
.LBB747_134:
	s_or_b32 exec_lo, exec_lo, s25
	v_or_b32_e32 v35, 6, v55
	s_mov_b32 s13, exec_lo
	s_delay_alu instid0(VALU_DEP_1)
	v_cmpx_gt_u32_e64 s31, v35
	s_cbranch_execz .LBB747_145
; %bb.135:
	v_cmp_ne_u32_e32 vcc_lo, 1, v43
	s_mov_b32 s0, 0
	s_cbranch_vccnz .LBB747_144
; %bb.136:
	v_mul_lo_u32 v39, v24, s14
	v_mul_lo_u32 v40, v23, s15
	v_mad_u64_u32 v[35:36], null, v23, s14, 0
	v_mul_lo_u32 v41, v18, s14
	v_mul_lo_u32 v42, v17, s15
	s_waitcnt lgkmcnt(0)
	v_mad_u64_u32 v[37:38], null, v17, s14, 0
	s_mov_b32 s0, -1
	s_mov_b32 s1, exec_lo
	s_delay_alu instid0(VALU_DEP_4) | instskip(NEXT) | instid1(VALU_DEP_2)
	v_add3_u32 v36, v36, v40, v39
	v_add3_u32 v38, v38, v42, v41
	s_delay_alu instid0(VALU_DEP_2) | instskip(NEXT) | instid1(VALU_DEP_2)
	v_lshlrev_b64 v[35:36], 1, v[35:36]
	v_lshlrev_b64 v[39:40], 1, v[37:38]
	s_delay_alu instid0(VALU_DEP_2) | instskip(NEXT) | instid1(VALU_DEP_3)
	v_add_co_u32 v37, vcc_lo, s20, v35
	v_add_co_ci_u32_e32 v38, vcc_lo, s21, v36, vcc_lo
	s_delay_alu instid0(VALU_DEP_3) | instskip(NEXT) | instid1(VALU_DEP_4)
	v_add_co_u32 v35, vcc_lo, s20, v39
	v_add_co_ci_u32_e32 v36, vcc_lo, s21, v40, vcc_lo
	s_clause 0x1
	global_load_u16 v39, v[37:38], off
	global_load_u16 v40, v[35:36], off
	s_waitcnt vmcnt(0)
	v_cmpx_eq_u16_e64 v39, v40
	s_cbranch_execz .LBB747_143
; %bb.137:
	v_add_co_u32 v35, vcc_lo, v35, 2
	v_add_co_ci_u32_e32 v36, vcc_lo, 0, v36, vcc_lo
	v_add_co_u32 v37, vcc_lo, v37, 2
	v_add_co_ci_u32_e32 v38, vcc_lo, 0, v38, vcc_lo
	s_add_u32 s4, s14, -1
	s_addc_u32 s5, s15, -1
	s_mov_b64 s[6:7], 0
	s_mov_b32 s25, 0
                                        ; implicit-def: $sgpr26
	s_set_inst_prefetch_distance 0x1
	s_branch .LBB747_140
	.p2align	6
.LBB747_138:                            ;   in Loop: Header=BB747_140 Depth=1
	global_load_u16 v39, v[37:38], off
	global_load_u16 v40, v[35:36], off
	v_add_co_u32 v35, vcc_lo, v35, 2
	v_add_co_ci_u32_e32 v36, vcc_lo, 0, v36, vcc_lo
	v_add_co_u32 v37, s0, v37, 2
	s_delay_alu instid0(VALU_DEP_1)
	v_add_co_ci_u32_e64 v38, s0, 0, v38, s0
	s_add_u32 s6, s6, 1
	s_addc_u32 s7, s7, 0
	s_and_not1_b32 s0, s26, exec_lo
	s_waitcnt vmcnt(0)
	v_cmp_ne_u16_e32 vcc_lo, v39, v40
	s_and_b32 s26, vcc_lo, exec_lo
	s_delay_alu instid0(SALU_CYCLE_1)
	s_or_b32 s26, s0, s26
.LBB747_139:                            ;   in Loop: Header=BB747_140 Depth=1
	v_dual_mov_b32 v40, s7 :: v_dual_mov_b32 v39, s6
	s_and_b32 s0, exec_lo, s26
	s_delay_alu instid0(SALU_CYCLE_1) | instskip(NEXT) | instid1(SALU_CYCLE_1)
	s_or_b32 s25, s0, s25
	s_and_not1_b32 exec_lo, exec_lo, s25
	s_cbranch_execz .LBB747_142
.LBB747_140:                            ; =>This Inner Loop Header: Depth=1
	s_or_b32 s26, s26, exec_lo
	s_cmp_eq_u64 s[4:5], s[6:7]
	s_cbranch_scc0 .LBB747_138
; %bb.141:                              ;   in Loop: Header=BB747_140 Depth=1
	s_mov_b64 s[6:7], s[14:15]
                                        ; implicit-def: $vgpr35_vgpr36
                                        ; implicit-def: $vgpr37_vgpr38
	s_branch .LBB747_139
.LBB747_142:
	s_set_inst_prefetch_distance 0x2
	s_or_b32 exec_lo, exec_lo, s25
	v_cmp_gt_i64_e32 vcc_lo, s[14:15], v[39:40]
	s_or_not1_b32 s0, vcc_lo, exec_lo
.LBB747_143:
	s_or_b32 exec_lo, exec_lo, s1
.LBB747_144:
	s_delay_alu instid0(SALU_CYCLE_1)
	s_and_b32 s1, s0, exec_lo
.LBB747_145:
	s_or_b32 exec_lo, exec_lo, s13
	v_or_b32_e32 v35, 5, v55
	s_mov_b32 s25, 0
	s_mov_b32 s13, 0
	s_mov_b32 s26, exec_lo
	s_delay_alu instid0(VALU_DEP_1)
	v_cmpx_gt_u32_e64 s31, v35
	s_cbranch_execz .LBB747_156
; %bb.146:
	v_cmp_ne_u32_e32 vcc_lo, 1, v43
	s_mov_b32 s0, 0
	s_cbranch_vccnz .LBB747_155
; %bb.147:
	v_mul_lo_u32 v39, v22, s14
	v_mul_lo_u32 v40, v21, s15
	v_mad_u64_u32 v[35:36], null, v21, s14, 0
	v_mul_lo_u32 v41, v24, s14
	v_mul_lo_u32 v42, v23, s15
	s_waitcnt lgkmcnt(0)
	v_mad_u64_u32 v[37:38], null, v23, s14, 0
	s_mov_b32 s0, -1
	s_mov_b32 s13, exec_lo
	s_delay_alu instid0(VALU_DEP_4) | instskip(NEXT) | instid1(VALU_DEP_2)
	v_add3_u32 v36, v36, v40, v39
	v_add3_u32 v38, v38, v42, v41
	s_delay_alu instid0(VALU_DEP_2) | instskip(NEXT) | instid1(VALU_DEP_2)
	v_lshlrev_b64 v[35:36], 1, v[35:36]
	v_lshlrev_b64 v[39:40], 1, v[37:38]
	s_delay_alu instid0(VALU_DEP_2) | instskip(NEXT) | instid1(VALU_DEP_3)
	v_add_co_u32 v37, vcc_lo, s20, v35
	v_add_co_ci_u32_e32 v38, vcc_lo, s21, v36, vcc_lo
	s_delay_alu instid0(VALU_DEP_3) | instskip(NEXT) | instid1(VALU_DEP_4)
	v_add_co_u32 v35, vcc_lo, s20, v39
	v_add_co_ci_u32_e32 v36, vcc_lo, s21, v40, vcc_lo
	s_clause 0x1
	global_load_u16 v39, v[37:38], off
	global_load_u16 v40, v[35:36], off
	s_waitcnt vmcnt(0)
	v_cmpx_eq_u16_e64 v39, v40
	s_cbranch_execz .LBB747_154
; %bb.148:
	v_add_co_u32 v35, vcc_lo, v35, 2
	v_add_co_ci_u32_e32 v36, vcc_lo, 0, v36, vcc_lo
	v_add_co_u32 v37, vcc_lo, v37, 2
	v_add_co_ci_u32_e32 v38, vcc_lo, 0, v38, vcc_lo
	s_add_u32 s4, s14, -1
	s_addc_u32 s5, s15, -1
	s_mov_b64 s[6:7], 0
	s_mov_b32 s27, 0
                                        ; implicit-def: $sgpr34
	s_set_inst_prefetch_distance 0x1
	s_branch .LBB747_151
	.p2align	6
.LBB747_149:                            ;   in Loop: Header=BB747_151 Depth=1
	global_load_u16 v39, v[37:38], off
	global_load_u16 v40, v[35:36], off
	v_add_co_u32 v35, vcc_lo, v35, 2
	v_add_co_ci_u32_e32 v36, vcc_lo, 0, v36, vcc_lo
	v_add_co_u32 v37, s0, v37, 2
	s_delay_alu instid0(VALU_DEP_1)
	v_add_co_ci_u32_e64 v38, s0, 0, v38, s0
	s_add_u32 s6, s6, 1
	s_addc_u32 s7, s7, 0
	s_and_not1_b32 s0, s34, exec_lo
	s_waitcnt vmcnt(0)
	v_cmp_ne_u16_e32 vcc_lo, v39, v40
	s_and_b32 s34, vcc_lo, exec_lo
	s_delay_alu instid0(SALU_CYCLE_1)
	s_or_b32 s34, s0, s34
.LBB747_150:                            ;   in Loop: Header=BB747_151 Depth=1
	v_dual_mov_b32 v40, s7 :: v_dual_mov_b32 v39, s6
	s_and_b32 s0, exec_lo, s34
	s_delay_alu instid0(SALU_CYCLE_1) | instskip(NEXT) | instid1(SALU_CYCLE_1)
	s_or_b32 s27, s0, s27
	s_and_not1_b32 exec_lo, exec_lo, s27
	s_cbranch_execz .LBB747_153
.LBB747_151:                            ; =>This Inner Loop Header: Depth=1
	s_or_b32 s34, s34, exec_lo
	s_cmp_eq_u64 s[4:5], s[6:7]
	s_cbranch_scc0 .LBB747_149
; %bb.152:                              ;   in Loop: Header=BB747_151 Depth=1
	s_mov_b64 s[6:7], s[14:15]
                                        ; implicit-def: $vgpr35_vgpr36
                                        ; implicit-def: $vgpr37_vgpr38
	s_branch .LBB747_150
.LBB747_153:
	s_set_inst_prefetch_distance 0x2
	s_or_b32 exec_lo, exec_lo, s27
	v_cmp_gt_i64_e32 vcc_lo, s[14:15], v[39:40]
	s_or_not1_b32 s0, vcc_lo, exec_lo
.LBB747_154:
	s_or_b32 exec_lo, exec_lo, s13
.LBB747_155:
	s_delay_alu instid0(SALU_CYCLE_1)
	s_and_b32 s13, s0, exec_lo
.LBB747_156:
	s_or_b32 exec_lo, exec_lo, s26
	v_or_b32_e32 v35, 4, v55
	s_mov_b32 s26, exec_lo
	s_delay_alu instid0(VALU_DEP_1)
	v_cmpx_gt_u32_e64 s31, v35
	s_cbranch_execz .LBB747_167
; %bb.157:
	v_cmp_ne_u32_e32 vcc_lo, 1, v43
	s_mov_b32 s0, 0
	s_cbranch_vccnz .LBB747_166
; %bb.158:
	v_mul_lo_u32 v39, v28, s14
	v_mul_lo_u32 v40, v27, s15
	v_mad_u64_u32 v[35:36], null, v27, s14, 0
	v_mul_lo_u32 v41, v22, s14
	v_mul_lo_u32 v42, v21, s15
	s_waitcnt lgkmcnt(0)
	v_mad_u64_u32 v[37:38], null, v21, s14, 0
	s_mov_b32 s0, -1
	s_mov_b32 s25, exec_lo
	s_delay_alu instid0(VALU_DEP_4) | instskip(NEXT) | instid1(VALU_DEP_2)
	v_add3_u32 v36, v36, v40, v39
	v_add3_u32 v38, v38, v42, v41
	s_delay_alu instid0(VALU_DEP_2) | instskip(NEXT) | instid1(VALU_DEP_2)
	v_lshlrev_b64 v[35:36], 1, v[35:36]
	v_lshlrev_b64 v[39:40], 1, v[37:38]
	s_delay_alu instid0(VALU_DEP_2) | instskip(NEXT) | instid1(VALU_DEP_3)
	v_add_co_u32 v37, vcc_lo, s20, v35
	v_add_co_ci_u32_e32 v38, vcc_lo, s21, v36, vcc_lo
	s_delay_alu instid0(VALU_DEP_3) | instskip(NEXT) | instid1(VALU_DEP_4)
	v_add_co_u32 v35, vcc_lo, s20, v39
	v_add_co_ci_u32_e32 v36, vcc_lo, s21, v40, vcc_lo
	s_clause 0x1
	global_load_u16 v39, v[37:38], off
	global_load_u16 v40, v[35:36], off
	s_waitcnt vmcnt(0)
	v_cmpx_eq_u16_e64 v39, v40
	s_cbranch_execz .LBB747_165
; %bb.159:
	v_add_co_u32 v35, vcc_lo, v35, 2
	v_add_co_ci_u32_e32 v36, vcc_lo, 0, v36, vcc_lo
	v_add_co_u32 v37, vcc_lo, v37, 2
	v_add_co_ci_u32_e32 v38, vcc_lo, 0, v38, vcc_lo
	s_add_u32 s4, s14, -1
	s_addc_u32 s5, s15, -1
	s_mov_b64 s[6:7], 0
	s_mov_b32 s27, 0
                                        ; implicit-def: $sgpr34
	s_set_inst_prefetch_distance 0x1
	s_branch .LBB747_162
	.p2align	6
.LBB747_160:                            ;   in Loop: Header=BB747_162 Depth=1
	global_load_u16 v39, v[37:38], off
	global_load_u16 v40, v[35:36], off
	v_add_co_u32 v35, vcc_lo, v35, 2
	v_add_co_ci_u32_e32 v36, vcc_lo, 0, v36, vcc_lo
	v_add_co_u32 v37, s0, v37, 2
	s_delay_alu instid0(VALU_DEP_1)
	v_add_co_ci_u32_e64 v38, s0, 0, v38, s0
	s_add_u32 s6, s6, 1
	s_addc_u32 s7, s7, 0
	s_and_not1_b32 s0, s34, exec_lo
	s_waitcnt vmcnt(0)
	v_cmp_ne_u16_e32 vcc_lo, v39, v40
	s_and_b32 s34, vcc_lo, exec_lo
	s_delay_alu instid0(SALU_CYCLE_1)
	s_or_b32 s34, s0, s34
.LBB747_161:                            ;   in Loop: Header=BB747_162 Depth=1
	v_dual_mov_b32 v40, s7 :: v_dual_mov_b32 v39, s6
	s_and_b32 s0, exec_lo, s34
	s_delay_alu instid0(SALU_CYCLE_1) | instskip(NEXT) | instid1(SALU_CYCLE_1)
	s_or_b32 s27, s0, s27
	s_and_not1_b32 exec_lo, exec_lo, s27
	s_cbranch_execz .LBB747_164
.LBB747_162:                            ; =>This Inner Loop Header: Depth=1
	s_or_b32 s34, s34, exec_lo
	s_cmp_eq_u64 s[4:5], s[6:7]
	s_cbranch_scc0 .LBB747_160
; %bb.163:                              ;   in Loop: Header=BB747_162 Depth=1
	s_mov_b64 s[6:7], s[14:15]
                                        ; implicit-def: $vgpr35_vgpr36
                                        ; implicit-def: $vgpr37_vgpr38
	s_branch .LBB747_161
.LBB747_164:
	s_set_inst_prefetch_distance 0x2
	s_or_b32 exec_lo, exec_lo, s27
	v_cmp_gt_i64_e32 vcc_lo, s[14:15], v[39:40]
	s_or_not1_b32 s0, vcc_lo, exec_lo
.LBB747_165:
	s_or_b32 exec_lo, exec_lo, s25
.LBB747_166:
	s_delay_alu instid0(SALU_CYCLE_1)
	s_and_b32 s25, s0, exec_lo
.LBB747_167:
	s_or_b32 exec_lo, exec_lo, s26
	v_or_b32_e32 v35, 3, v55
	s_mov_b32 s27, 0
	s_mov_b32 s26, 0
	s_mov_b32 s34, exec_lo
	s_delay_alu instid0(VALU_DEP_1)
	v_cmpx_gt_u32_e64 s31, v35
	s_cbranch_execz .LBB747_178
; %bb.168:
	v_cmp_ne_u32_e32 vcc_lo, 1, v43
	s_mov_b32 s0, 0
	s_cbranch_vccnz .LBB747_177
; %bb.169:
	v_mul_lo_u32 v39, v26, s14
	v_mul_lo_u32 v40, v25, s15
	v_mad_u64_u32 v[35:36], null, v25, s14, 0
	v_mul_lo_u32 v41, v28, s14
	v_mul_lo_u32 v42, v27, s15
	s_waitcnt lgkmcnt(0)
	v_mad_u64_u32 v[37:38], null, v27, s14, 0
	s_mov_b32 s0, -1
	s_mov_b32 s26, exec_lo
	s_delay_alu instid0(VALU_DEP_4) | instskip(NEXT) | instid1(VALU_DEP_2)
	v_add3_u32 v36, v36, v40, v39
	v_add3_u32 v38, v38, v42, v41
	s_delay_alu instid0(VALU_DEP_2) | instskip(NEXT) | instid1(VALU_DEP_2)
	v_lshlrev_b64 v[35:36], 1, v[35:36]
	v_lshlrev_b64 v[39:40], 1, v[37:38]
	s_delay_alu instid0(VALU_DEP_2) | instskip(NEXT) | instid1(VALU_DEP_3)
	v_add_co_u32 v37, vcc_lo, s20, v35
	v_add_co_ci_u32_e32 v38, vcc_lo, s21, v36, vcc_lo
	s_delay_alu instid0(VALU_DEP_3) | instskip(NEXT) | instid1(VALU_DEP_4)
	v_add_co_u32 v35, vcc_lo, s20, v39
	v_add_co_ci_u32_e32 v36, vcc_lo, s21, v40, vcc_lo
	s_clause 0x1
	global_load_u16 v39, v[37:38], off
	global_load_u16 v40, v[35:36], off
	s_waitcnt vmcnt(0)
	v_cmpx_eq_u16_e64 v39, v40
	s_cbranch_execz .LBB747_176
; %bb.170:
	v_add_co_u32 v35, vcc_lo, v35, 2
	v_add_co_ci_u32_e32 v36, vcc_lo, 0, v36, vcc_lo
	v_add_co_u32 v37, vcc_lo, v37, 2
	v_add_co_ci_u32_e32 v38, vcc_lo, 0, v38, vcc_lo
	s_add_u32 s4, s14, -1
	s_addc_u32 s5, s15, -1
	s_mov_b64 s[6:7], 0
	s_mov_b32 s35, 0
                                        ; implicit-def: $sgpr36
	s_set_inst_prefetch_distance 0x1
	s_branch .LBB747_173
	.p2align	6
.LBB747_171:                            ;   in Loop: Header=BB747_173 Depth=1
	global_load_u16 v39, v[37:38], off
	global_load_u16 v40, v[35:36], off
	v_add_co_u32 v35, vcc_lo, v35, 2
	v_add_co_ci_u32_e32 v36, vcc_lo, 0, v36, vcc_lo
	v_add_co_u32 v37, s0, v37, 2
	s_delay_alu instid0(VALU_DEP_1)
	v_add_co_ci_u32_e64 v38, s0, 0, v38, s0
	s_add_u32 s6, s6, 1
	s_addc_u32 s7, s7, 0
	s_and_not1_b32 s0, s36, exec_lo
	s_waitcnt vmcnt(0)
	v_cmp_ne_u16_e32 vcc_lo, v39, v40
	s_and_b32 s36, vcc_lo, exec_lo
	s_delay_alu instid0(SALU_CYCLE_1)
	s_or_b32 s36, s0, s36
.LBB747_172:                            ;   in Loop: Header=BB747_173 Depth=1
	v_dual_mov_b32 v40, s7 :: v_dual_mov_b32 v39, s6
	s_and_b32 s0, exec_lo, s36
	s_delay_alu instid0(SALU_CYCLE_1) | instskip(NEXT) | instid1(SALU_CYCLE_1)
	s_or_b32 s35, s0, s35
	s_and_not1_b32 exec_lo, exec_lo, s35
	s_cbranch_execz .LBB747_175
.LBB747_173:                            ; =>This Inner Loop Header: Depth=1
	s_or_b32 s36, s36, exec_lo
	s_cmp_eq_u64 s[4:5], s[6:7]
	s_cbranch_scc0 .LBB747_171
; %bb.174:                              ;   in Loop: Header=BB747_173 Depth=1
	s_mov_b64 s[6:7], s[14:15]
                                        ; implicit-def: $vgpr35_vgpr36
                                        ; implicit-def: $vgpr37_vgpr38
	s_branch .LBB747_172
.LBB747_175:
	s_set_inst_prefetch_distance 0x2
	s_or_b32 exec_lo, exec_lo, s35
	v_cmp_gt_i64_e32 vcc_lo, s[14:15], v[39:40]
	s_or_not1_b32 s0, vcc_lo, exec_lo
.LBB747_176:
	s_or_b32 exec_lo, exec_lo, s26
.LBB747_177:
	s_delay_alu instid0(SALU_CYCLE_1)
	s_and_b32 s26, s0, exec_lo
.LBB747_178:
	s_or_b32 exec_lo, exec_lo, s34
	v_or_b32_e32 v35, 2, v55
	s_mov_b32 s34, exec_lo
	s_delay_alu instid0(VALU_DEP_1)
	v_cmpx_gt_u32_e64 s31, v35
	s_cbranch_execz .LBB747_189
; %bb.179:
	v_cmp_ne_u32_e32 vcc_lo, 1, v43
	s_mov_b32 s0, 0
	s_cbranch_vccnz .LBB747_188
; %bb.180:
	v_mul_lo_u32 v39, v32, s14
	v_mul_lo_u32 v40, v31, s15
	v_mad_u64_u32 v[35:36], null, v31, s14, 0
	v_mul_lo_u32 v41, v26, s14
	v_mul_lo_u32 v42, v25, s15
	s_waitcnt lgkmcnt(0)
	v_mad_u64_u32 v[37:38], null, v25, s14, 0
	s_mov_b32 s0, -1
	s_mov_b32 s27, exec_lo
	s_delay_alu instid0(VALU_DEP_4) | instskip(NEXT) | instid1(VALU_DEP_2)
	v_add3_u32 v36, v36, v40, v39
	v_add3_u32 v38, v38, v42, v41
	s_delay_alu instid0(VALU_DEP_2) | instskip(NEXT) | instid1(VALU_DEP_2)
	v_lshlrev_b64 v[35:36], 1, v[35:36]
	v_lshlrev_b64 v[39:40], 1, v[37:38]
	s_delay_alu instid0(VALU_DEP_2) | instskip(NEXT) | instid1(VALU_DEP_3)
	v_add_co_u32 v37, vcc_lo, s20, v35
	v_add_co_ci_u32_e32 v38, vcc_lo, s21, v36, vcc_lo
	s_delay_alu instid0(VALU_DEP_3) | instskip(NEXT) | instid1(VALU_DEP_4)
	v_add_co_u32 v35, vcc_lo, s20, v39
	v_add_co_ci_u32_e32 v36, vcc_lo, s21, v40, vcc_lo
	s_clause 0x1
	global_load_u16 v39, v[37:38], off
	global_load_u16 v40, v[35:36], off
	s_waitcnt vmcnt(0)
	v_cmpx_eq_u16_e64 v39, v40
	s_cbranch_execz .LBB747_187
; %bb.181:
	v_add_co_u32 v35, vcc_lo, v35, 2
	v_add_co_ci_u32_e32 v36, vcc_lo, 0, v36, vcc_lo
	v_add_co_u32 v37, vcc_lo, v37, 2
	v_add_co_ci_u32_e32 v38, vcc_lo, 0, v38, vcc_lo
	s_add_u32 s4, s14, -1
	s_addc_u32 s5, s15, -1
	s_mov_b64 s[6:7], 0
	s_mov_b32 s35, 0
                                        ; implicit-def: $sgpr36
	s_set_inst_prefetch_distance 0x1
	s_branch .LBB747_184
	.p2align	6
.LBB747_182:                            ;   in Loop: Header=BB747_184 Depth=1
	global_load_u16 v39, v[37:38], off
	global_load_u16 v40, v[35:36], off
	v_add_co_u32 v35, vcc_lo, v35, 2
	v_add_co_ci_u32_e32 v36, vcc_lo, 0, v36, vcc_lo
	v_add_co_u32 v37, s0, v37, 2
	s_delay_alu instid0(VALU_DEP_1)
	v_add_co_ci_u32_e64 v38, s0, 0, v38, s0
	s_add_u32 s6, s6, 1
	s_addc_u32 s7, s7, 0
	s_and_not1_b32 s0, s36, exec_lo
	s_waitcnt vmcnt(0)
	v_cmp_ne_u16_e32 vcc_lo, v39, v40
	s_and_b32 s36, vcc_lo, exec_lo
	s_delay_alu instid0(SALU_CYCLE_1)
	s_or_b32 s36, s0, s36
.LBB747_183:                            ;   in Loop: Header=BB747_184 Depth=1
	v_dual_mov_b32 v40, s7 :: v_dual_mov_b32 v39, s6
	s_and_b32 s0, exec_lo, s36
	s_delay_alu instid0(SALU_CYCLE_1) | instskip(NEXT) | instid1(SALU_CYCLE_1)
	s_or_b32 s35, s0, s35
	s_and_not1_b32 exec_lo, exec_lo, s35
	s_cbranch_execz .LBB747_186
.LBB747_184:                            ; =>This Inner Loop Header: Depth=1
	s_or_b32 s36, s36, exec_lo
	s_cmp_eq_u64 s[4:5], s[6:7]
	s_cbranch_scc0 .LBB747_182
; %bb.185:                              ;   in Loop: Header=BB747_184 Depth=1
	s_mov_b64 s[6:7], s[14:15]
                                        ; implicit-def: $vgpr35_vgpr36
                                        ; implicit-def: $vgpr37_vgpr38
	s_branch .LBB747_183
.LBB747_186:
	s_set_inst_prefetch_distance 0x2
	s_or_b32 exec_lo, exec_lo, s35
	v_cmp_gt_i64_e32 vcc_lo, s[14:15], v[39:40]
	s_or_not1_b32 s0, vcc_lo, exec_lo
.LBB747_187:
	s_or_b32 exec_lo, exec_lo, s27
.LBB747_188:
	s_delay_alu instid0(SALU_CYCLE_1)
	s_and_b32 s27, s0, exec_lo
.LBB747_189:
	s_or_b32 exec_lo, exec_lo, s34
	v_or_b32_e32 v35, 1, v55
	s_mov_b32 s0, 0
	s_mov_b32 s34, exec_lo
	s_delay_alu instid0(VALU_DEP_1)
	v_cmpx_gt_u32_e64 s31, v35
	s_cbranch_execz .LBB747_200
; %bb.190:
	v_cmp_ne_u32_e32 vcc_lo, 1, v43
	s_cbranch_vccnz .LBB747_199
; %bb.191:
	v_mul_lo_u32 v39, v30, s14
	v_mul_lo_u32 v40, v29, s15
	v_mad_u64_u32 v[35:36], null, v29, s14, 0
	v_mul_lo_u32 v41, v32, s14
	v_mul_lo_u32 v42, v31, s15
	s_waitcnt lgkmcnt(0)
	v_mad_u64_u32 v[37:38], null, v31, s14, 0
	s_mov_b32 s0, -1
	s_mov_b32 s35, exec_lo
	s_delay_alu instid0(VALU_DEP_4) | instskip(NEXT) | instid1(VALU_DEP_2)
	v_add3_u32 v36, v36, v40, v39
	v_add3_u32 v38, v38, v42, v41
	s_delay_alu instid0(VALU_DEP_2) | instskip(NEXT) | instid1(VALU_DEP_2)
	v_lshlrev_b64 v[35:36], 1, v[35:36]
	v_lshlrev_b64 v[39:40], 1, v[37:38]
	s_delay_alu instid0(VALU_DEP_2) | instskip(NEXT) | instid1(VALU_DEP_3)
	v_add_co_u32 v37, vcc_lo, s20, v35
	v_add_co_ci_u32_e32 v38, vcc_lo, s21, v36, vcc_lo
	s_delay_alu instid0(VALU_DEP_3) | instskip(NEXT) | instid1(VALU_DEP_4)
	v_add_co_u32 v35, vcc_lo, s20, v39
	v_add_co_ci_u32_e32 v36, vcc_lo, s21, v40, vcc_lo
	s_clause 0x1
	global_load_u16 v39, v[37:38], off
	global_load_u16 v40, v[35:36], off
	s_waitcnt vmcnt(0)
	v_cmpx_eq_u16_e64 v39, v40
	s_cbranch_execz .LBB747_198
; %bb.192:
	v_add_co_u32 v35, vcc_lo, v35, 2
	v_add_co_ci_u32_e32 v36, vcc_lo, 0, v36, vcc_lo
	v_add_co_u32 v37, vcc_lo, v37, 2
	v_add_co_ci_u32_e32 v38, vcc_lo, 0, v38, vcc_lo
	s_add_u32 s4, s14, -1
	s_addc_u32 s5, s15, -1
	s_mov_b64 s[6:7], 0
	s_mov_b32 s36, 0
                                        ; implicit-def: $sgpr37
	s_set_inst_prefetch_distance 0x1
	s_branch .LBB747_195
	.p2align	6
.LBB747_193:                            ;   in Loop: Header=BB747_195 Depth=1
	global_load_u16 v39, v[37:38], off
	global_load_u16 v40, v[35:36], off
	v_add_co_u32 v35, vcc_lo, v35, 2
	v_add_co_ci_u32_e32 v36, vcc_lo, 0, v36, vcc_lo
	v_add_co_u32 v37, s0, v37, 2
	s_delay_alu instid0(VALU_DEP_1)
	v_add_co_ci_u32_e64 v38, s0, 0, v38, s0
	s_add_u32 s6, s6, 1
	s_addc_u32 s7, s7, 0
	s_and_not1_b32 s0, s37, exec_lo
	s_waitcnt vmcnt(0)
	v_cmp_ne_u16_e32 vcc_lo, v39, v40
	s_and_b32 s37, vcc_lo, exec_lo
	s_delay_alu instid0(SALU_CYCLE_1)
	s_or_b32 s37, s0, s37
.LBB747_194:                            ;   in Loop: Header=BB747_195 Depth=1
	v_dual_mov_b32 v40, s7 :: v_dual_mov_b32 v39, s6
	s_and_b32 s0, exec_lo, s37
	s_delay_alu instid0(SALU_CYCLE_1) | instskip(NEXT) | instid1(SALU_CYCLE_1)
	s_or_b32 s36, s0, s36
	s_and_not1_b32 exec_lo, exec_lo, s36
	s_cbranch_execz .LBB747_197
.LBB747_195:                            ; =>This Inner Loop Header: Depth=1
	s_or_b32 s37, s37, exec_lo
	s_cmp_eq_u64 s[4:5], s[6:7]
	s_cbranch_scc0 .LBB747_193
; %bb.196:                              ;   in Loop: Header=BB747_195 Depth=1
	s_mov_b64 s[6:7], s[14:15]
                                        ; implicit-def: $vgpr35_vgpr36
                                        ; implicit-def: $vgpr37_vgpr38
	s_branch .LBB747_194
.LBB747_197:
	s_set_inst_prefetch_distance 0x2
	s_or_b32 exec_lo, exec_lo, s36
	v_cmp_gt_i64_e32 vcc_lo, s[14:15], v[39:40]
	s_or_not1_b32 s0, vcc_lo, exec_lo
.LBB747_198:
	s_or_b32 exec_lo, exec_lo, s35
.LBB747_199:
	s_delay_alu instid0(SALU_CYCLE_1)
	s_and_b32 s0, s0, exec_lo
.LBB747_200:
	s_or_b32 exec_lo, exec_lo, s34
	s_waitcnt vmcnt(0) lgkmcnt(0)
	s_barrier
	buffer_gl0_inv
	s_and_saveexec_b32 s4, s3
	s_cbranch_execz .LBB747_202
; %bb.201:
	v_add_nc_u32_e32 v33, -8, v55
	ds_load_b64 v[33:34], v33
.LBB747_202:
	s_or_b32 exec_lo, exec_lo, s4
	v_cndmask_b32_e64 v36, 0, 1, s26
	v_cndmask_b32_e64 v38, 0, 1, s13
	;; [unrolled: 1-line block ×7, first 2 shown]
	v_lshlrev_b16 v36, 8, v36
	v_lshlrev_b16 v38, 8, v38
	;; [unrolled: 1-line block ×3, first 2 shown]
	s_mov_b32 s0, 0
	v_lshlrev_b16 v41, 8, v41
	v_or_b32_e32 v35, v35, v36
	v_or_b32_e32 v36, v37, v38
	;; [unrolled: 1-line block ×3, first 2 shown]
	s_mov_b32 s1, exec_lo
	v_and_b32_e32 v39, 0xffff, v41
	v_lshlrev_b32_e32 v40, 16, v35
	v_and_b32_e32 v41, 0xffff, v36
	v_lshlrev_b32_e32 v42, 16, v37
	v_cmpx_gt_u32_e64 s31, v55
	s_cbranch_execz .LBB747_213
; %bb.203:
	v_cmp_ne_u32_e32 vcc_lo, 1, v43
	s_cbranch_vccnz .LBB747_212
; %bb.204:
	s_waitcnt lgkmcnt(0)
	v_mul_lo_u32 v38, v34, s14
	v_mul_lo_u32 v43, v33, s15
	v_mad_u64_u32 v[34:35], null, v33, s14, 0
	v_mul_lo_u32 v33, v30, s14
	v_mul_lo_u32 v44, v29, s15
	v_mad_u64_u32 v[36:37], null, v29, s14, 0
	s_mov_b32 s0, -1
	s_mov_b32 s13, exec_lo
	s_delay_alu instid0(VALU_DEP_4) | instskip(NEXT) | instid1(VALU_DEP_2)
	v_add3_u32 v35, v35, v43, v38
	v_add3_u32 v37, v37, v44, v33
	s_delay_alu instid0(VALU_DEP_2) | instskip(NEXT) | instid1(VALU_DEP_2)
	v_lshlrev_b64 v[33:34], 1, v[34:35]
	v_lshlrev_b64 v[37:38], 1, v[36:37]
	s_delay_alu instid0(VALU_DEP_2) | instskip(NEXT) | instid1(VALU_DEP_3)
	v_add_co_u32 v35, vcc_lo, s20, v33
	v_add_co_ci_u32_e32 v36, vcc_lo, s21, v34, vcc_lo
	s_delay_alu instid0(VALU_DEP_3) | instskip(NEXT) | instid1(VALU_DEP_4)
	v_add_co_u32 v33, vcc_lo, s20, v37
	v_add_co_ci_u32_e32 v34, vcc_lo, s21, v38, vcc_lo
	s_clause 0x1
	global_load_u16 v37, v[35:36], off
	global_load_u16 v38, v[33:34], off
	s_waitcnt vmcnt(0)
	v_cmpx_eq_u16_e64 v37, v38
	s_cbranch_execz .LBB747_211
; %bb.205:
	v_add_co_u32 v33, vcc_lo, v33, 2
	v_add_co_ci_u32_e32 v34, vcc_lo, 0, v34, vcc_lo
	v_add_co_u32 v35, vcc_lo, v35, 2
	v_add_co_ci_u32_e32 v36, vcc_lo, 0, v36, vcc_lo
	s_add_u32 s4, s14, -1
	s_addc_u32 s5, s15, -1
	s_mov_b64 s[6:7], 0
	s_mov_b32 s24, 0
                                        ; implicit-def: $sgpr25
	s_set_inst_prefetch_distance 0x1
	s_branch .LBB747_208
	.p2align	6
.LBB747_206:                            ;   in Loop: Header=BB747_208 Depth=1
	global_load_u16 v37, v[35:36], off
	global_load_u16 v38, v[33:34], off
	v_add_co_u32 v33, vcc_lo, v33, 2
	v_add_co_ci_u32_e32 v34, vcc_lo, 0, v34, vcc_lo
	v_add_co_u32 v35, s0, v35, 2
	s_delay_alu instid0(VALU_DEP_1)
	v_add_co_ci_u32_e64 v36, s0, 0, v36, s0
	s_add_u32 s6, s6, 1
	s_addc_u32 s7, s7, 0
	s_and_not1_b32 s0, s25, exec_lo
	s_waitcnt vmcnt(0)
	v_cmp_ne_u16_e32 vcc_lo, v37, v38
	s_and_b32 s25, vcc_lo, exec_lo
	s_delay_alu instid0(SALU_CYCLE_1)
	s_or_b32 s25, s0, s25
.LBB747_207:                            ;   in Loop: Header=BB747_208 Depth=1
	v_dual_mov_b32 v38, s7 :: v_dual_mov_b32 v37, s6
	s_and_b32 s0, exec_lo, s25
	s_delay_alu instid0(SALU_CYCLE_1) | instskip(NEXT) | instid1(SALU_CYCLE_1)
	s_or_b32 s24, s0, s24
	s_and_not1_b32 exec_lo, exec_lo, s24
	s_cbranch_execz .LBB747_210
.LBB747_208:                            ; =>This Inner Loop Header: Depth=1
	s_or_b32 s25, s25, exec_lo
	s_cmp_eq_u64 s[4:5], s[6:7]
	s_cbranch_scc0 .LBB747_206
; %bb.209:                              ;   in Loop: Header=BB747_208 Depth=1
	s_mov_b64 s[6:7], s[14:15]
                                        ; implicit-def: $vgpr33_vgpr34
                                        ; implicit-def: $vgpr35_vgpr36
	s_branch .LBB747_207
.LBB747_210:
	s_set_inst_prefetch_distance 0x2
	s_or_b32 exec_lo, exec_lo, s24
	v_cmp_gt_i64_e32 vcc_lo, s[14:15], v[37:38]
	s_or_not1_b32 s0, vcc_lo, exec_lo
.LBB747_211:
	s_or_b32 exec_lo, exec_lo, s13
.LBB747_212:
	s_delay_alu instid0(SALU_CYCLE_1)
	s_and_b32 s0, s0, exec_lo
.LBB747_213:
	s_or_b32 exec_lo, exec_lo, s1
	v_or_b32_e32 v35, v39, v40
	v_or_b32_e32 v36, v41, v42
.LBB747_214:
	s_mov_b32 s1, -1
	s_cbranch_execnz .LBB747_383
.LBB747_215:
	v_cmp_gt_i64_e64 s13, s[14:15], 0
	s_and_b32 vcc_lo, exec_lo, s29
	ds_store_b64 v55, v[19:20]
	s_cbranch_vccz .LBB747_223
; %bb.216:
	v_mul_lo_u32 v35, v18, s14
	v_mul_lo_u32 v36, v17, s15
	s_waitcnt vmcnt(0) lgkmcnt(1)
	v_mad_u64_u32 v[33:34], null, v17, s14, 0
	s_mov_b32 s24, 0
	s_and_not1_b32 vcc_lo, exec_lo, s13
	s_mov_b32 s25, 0
	s_delay_alu instid0(VALU_DEP_1) | instskip(NEXT) | instid1(VALU_DEP_1)
	v_add3_u32 v34, v34, v36, v35
	v_lshlrev_b64 v[33:34], 1, v[33:34]
	s_cbranch_vccnz .LBB747_226
; %bb.217:
	v_mul_lo_u32 v37, v20, s14
	v_mul_lo_u32 v38, v19, s15
	v_mad_u64_u32 v[35:36], null, v19, s14, 0
	s_mov_b32 s25, -1
	s_mov_b32 s26, exec_lo
	s_delay_alu instid0(VALU_DEP_1) | instskip(SKIP_2) | instid1(VALU_DEP_3)
	v_add3_u32 v36, v36, v38, v37
	v_add_co_u32 v37, vcc_lo, s20, v33
	v_add_co_ci_u32_e32 v38, vcc_lo, s21, v34, vcc_lo
	v_lshlrev_b64 v[35:36], 1, v[35:36]
	s_delay_alu instid0(VALU_DEP_1) | instskip(NEXT) | instid1(VALU_DEP_2)
	v_add_co_u32 v35, vcc_lo, s20, v35
	v_add_co_ci_u32_e32 v36, vcc_lo, s21, v36, vcc_lo
	s_clause 0x1
	global_load_u16 v39, v[37:38], off
	global_load_u16 v40, v[35:36], off
	s_waitcnt vmcnt(0)
	v_cmpx_eq_u16_e64 v39, v40
	s_cbranch_execz .LBB747_225
; %bb.218:
	v_add_co_u32 v35, vcc_lo, v35, 2
	v_add_co_ci_u32_e32 v36, vcc_lo, 0, v36, vcc_lo
	v_add_co_u32 v37, vcc_lo, v37, 2
	v_add_co_ci_u32_e32 v38, vcc_lo, 0, v38, vcc_lo
	s_add_u32 s4, s14, -1
	s_addc_u32 s5, s15, -1
	s_mov_b64 s[6:7], 0
	s_mov_b32 s25, 0
                                        ; implicit-def: $sgpr27
	s_set_inst_prefetch_distance 0x1
	s_branch .LBB747_221
	.p2align	6
.LBB747_219:                            ;   in Loop: Header=BB747_221 Depth=1
	global_load_u16 v39, v[37:38], off
	global_load_u16 v40, v[35:36], off
	v_add_co_u32 v35, vcc_lo, v35, 2
	v_add_co_ci_u32_e32 v36, vcc_lo, 0, v36, vcc_lo
	v_add_co_u32 v37, s0, v37, 2
	s_delay_alu instid0(VALU_DEP_1)
	v_add_co_ci_u32_e64 v38, s0, 0, v38, s0
	s_add_u32 s6, s6, 1
	s_addc_u32 s7, s7, 0
	s_and_not1_b32 s0, s27, exec_lo
	s_waitcnt vmcnt(0)
	v_cmp_ne_u16_e32 vcc_lo, v39, v40
	s_and_b32 s27, vcc_lo, exec_lo
	s_delay_alu instid0(SALU_CYCLE_1)
	s_or_b32 s27, s0, s27
.LBB747_220:                            ;   in Loop: Header=BB747_221 Depth=1
	v_dual_mov_b32 v40, s7 :: v_dual_mov_b32 v39, s6
	s_and_b32 s0, exec_lo, s27
	s_delay_alu instid0(SALU_CYCLE_1) | instskip(NEXT) | instid1(SALU_CYCLE_1)
	s_or_b32 s25, s0, s25
	s_and_not1_b32 exec_lo, exec_lo, s25
	s_cbranch_execz .LBB747_224
.LBB747_221:                            ; =>This Inner Loop Header: Depth=1
	s_or_b32 s27, s27, exec_lo
	s_cmp_eq_u64 s[4:5], s[6:7]
	s_cbranch_scc0 .LBB747_219
; %bb.222:                              ;   in Loop: Header=BB747_221 Depth=1
	s_mov_b64 s[6:7], s[14:15]
                                        ; implicit-def: $vgpr35_vgpr36
                                        ; implicit-def: $vgpr37_vgpr38
	s_branch .LBB747_220
.LBB747_223:
                                        ; implicit-def: $sgpr0
                                        ; implicit-def: $vgpr36
	s_cbranch_execnz .LBB747_292
	s_branch .LBB747_383
.LBB747_224:
	s_set_inst_prefetch_distance 0x2
	s_or_b32 exec_lo, exec_lo, s25
	v_cmp_gt_i64_e32 vcc_lo, s[14:15], v[39:40]
	s_or_not1_b32 s25, vcc_lo, exec_lo
.LBB747_225:
	s_or_b32 exec_lo, exec_lo, s26
.LBB747_226:
	v_mul_lo_u32 v37, v24, s14
	v_mul_lo_u32 v38, v23, s15
	v_mad_u64_u32 v[35:36], null, v23, s14, 0
	s_and_not1_b32 vcc_lo, exec_lo, s13
	s_delay_alu instid0(VALU_DEP_1) | instskip(NEXT) | instid1(VALU_DEP_1)
	v_add3_u32 v36, v36, v38, v37
	v_lshlrev_b64 v[35:36], 1, v[35:36]
	s_cbranch_vccnz .LBB747_235
; %bb.227:
	s_delay_alu instid0(VALU_DEP_1) | instskip(NEXT) | instid1(VALU_DEP_2)
	v_add_co_u32 v37, vcc_lo, s20, v35
	v_add_co_ci_u32_e32 v38, vcc_lo, s21, v36, vcc_lo
	v_add_co_u32 v33, vcc_lo, s20, v33
	v_add_co_ci_u32_e32 v34, vcc_lo, s21, v34, vcc_lo
	s_mov_b32 s24, -1
	s_clause 0x1
	global_load_u16 v39, v[37:38], off
	global_load_u16 v40, v[33:34], off
	s_mov_b32 s26, exec_lo
	s_waitcnt vmcnt(0)
	v_cmpx_eq_u16_e64 v39, v40
	s_cbranch_execz .LBB747_234
; %bb.228:
	v_add_co_u32 v33, vcc_lo, v33, 2
	v_add_co_ci_u32_e32 v34, vcc_lo, 0, v34, vcc_lo
	v_add_co_u32 v37, vcc_lo, v37, 2
	v_add_co_ci_u32_e32 v38, vcc_lo, 0, v38, vcc_lo
	s_add_u32 s4, s14, -1
	s_addc_u32 s5, s15, -1
	s_mov_b64 s[6:7], 0
	s_mov_b32 s24, 0
                                        ; implicit-def: $sgpr27
	s_set_inst_prefetch_distance 0x1
	s_branch .LBB747_231
	.p2align	6
.LBB747_229:                            ;   in Loop: Header=BB747_231 Depth=1
	global_load_u16 v39, v[37:38], off
	global_load_u16 v40, v[33:34], off
	v_add_co_u32 v33, vcc_lo, v33, 2
	v_add_co_ci_u32_e32 v34, vcc_lo, 0, v34, vcc_lo
	v_add_co_u32 v37, s0, v37, 2
	s_delay_alu instid0(VALU_DEP_1)
	v_add_co_ci_u32_e64 v38, s0, 0, v38, s0
	s_add_u32 s6, s6, 1
	s_addc_u32 s7, s7, 0
	s_and_not1_b32 s0, s27, exec_lo
	s_waitcnt vmcnt(0)
	v_cmp_ne_u16_e32 vcc_lo, v39, v40
	s_and_b32 s27, vcc_lo, exec_lo
	s_delay_alu instid0(SALU_CYCLE_1)
	s_or_b32 s27, s0, s27
.LBB747_230:                            ;   in Loop: Header=BB747_231 Depth=1
	v_dual_mov_b32 v40, s7 :: v_dual_mov_b32 v39, s6
	s_and_b32 s0, exec_lo, s27
	s_delay_alu instid0(SALU_CYCLE_1) | instskip(NEXT) | instid1(SALU_CYCLE_1)
	s_or_b32 s24, s0, s24
	s_and_not1_b32 exec_lo, exec_lo, s24
	s_cbranch_execz .LBB747_233
.LBB747_231:                            ; =>This Inner Loop Header: Depth=1
	s_or_b32 s27, s27, exec_lo
	s_cmp_eq_u64 s[4:5], s[6:7]
	s_cbranch_scc0 .LBB747_229
; %bb.232:                              ;   in Loop: Header=BB747_231 Depth=1
	s_mov_b64 s[6:7], s[14:15]
                                        ; implicit-def: $vgpr33_vgpr34
                                        ; implicit-def: $vgpr37_vgpr38
	s_branch .LBB747_230
.LBB747_233:
	s_set_inst_prefetch_distance 0x2
	s_or_b32 exec_lo, exec_lo, s24
	v_cmp_gt_i64_e32 vcc_lo, s[14:15], v[39:40]
	s_or_not1_b32 s24, vcc_lo, exec_lo
.LBB747_234:
	s_or_b32 exec_lo, exec_lo, s26
.LBB747_235:
	v_mul_lo_u32 v37, v22, s14
	v_mul_lo_u32 v38, v21, s15
	v_mad_u64_u32 v[33:34], null, v21, s14, 0
	s_mov_b32 s26, 0
	s_and_not1_b32 vcc_lo, exec_lo, s13
	s_mov_b32 s27, 0
	s_delay_alu instid0(VALU_DEP_1) | instskip(NEXT) | instid1(VALU_DEP_1)
	v_add3_u32 v34, v34, v38, v37
	v_lshlrev_b64 v[37:38], 1, v[33:34]
	s_cbranch_vccnz .LBB747_244
; %bb.236:
	s_delay_alu instid0(VALU_DEP_1) | instskip(NEXT) | instid1(VALU_DEP_2)
	v_add_co_u32 v39, vcc_lo, s20, v37
	v_add_co_ci_u32_e32 v40, vcc_lo, s21, v38, vcc_lo
	v_add_co_u32 v33, vcc_lo, s20, v35
	v_add_co_ci_u32_e32 v34, vcc_lo, s21, v36, vcc_lo
	s_mov_b32 s27, -1
	s_clause 0x1
	global_load_u16 v35, v[39:40], off
	global_load_u16 v36, v[33:34], off
	s_mov_b32 s34, exec_lo
	s_waitcnt vmcnt(0)
	v_cmpx_eq_u16_e64 v35, v36
	s_cbranch_execz .LBB747_243
; %bb.237:
	v_add_co_u32 v33, vcc_lo, v33, 2
	v_add_co_ci_u32_e32 v34, vcc_lo, 0, v34, vcc_lo
	v_add_co_u32 v35, vcc_lo, v39, 2
	v_add_co_ci_u32_e32 v36, vcc_lo, 0, v40, vcc_lo
	s_add_u32 s4, s14, -1
	s_addc_u32 s5, s15, -1
	s_mov_b64 s[6:7], 0
	s_mov_b32 s27, 0
                                        ; implicit-def: $sgpr35
	s_set_inst_prefetch_distance 0x1
	s_branch .LBB747_240
	.p2align	6
.LBB747_238:                            ;   in Loop: Header=BB747_240 Depth=1
	global_load_u16 v39, v[35:36], off
	global_load_u16 v40, v[33:34], off
	v_add_co_u32 v33, vcc_lo, v33, 2
	v_add_co_ci_u32_e32 v34, vcc_lo, 0, v34, vcc_lo
	v_add_co_u32 v35, s0, v35, 2
	s_delay_alu instid0(VALU_DEP_1)
	v_add_co_ci_u32_e64 v36, s0, 0, v36, s0
	s_add_u32 s6, s6, 1
	s_addc_u32 s7, s7, 0
	s_and_not1_b32 s0, s35, exec_lo
	s_waitcnt vmcnt(0)
	v_cmp_ne_u16_e32 vcc_lo, v39, v40
	s_and_b32 s35, vcc_lo, exec_lo
	s_delay_alu instid0(SALU_CYCLE_1)
	s_or_b32 s35, s0, s35
.LBB747_239:                            ;   in Loop: Header=BB747_240 Depth=1
	v_dual_mov_b32 v40, s7 :: v_dual_mov_b32 v39, s6
	s_and_b32 s0, exec_lo, s35
	s_delay_alu instid0(SALU_CYCLE_1) | instskip(NEXT) | instid1(SALU_CYCLE_1)
	s_or_b32 s27, s0, s27
	s_and_not1_b32 exec_lo, exec_lo, s27
	s_cbranch_execz .LBB747_242
.LBB747_240:                            ; =>This Inner Loop Header: Depth=1
	s_or_b32 s35, s35, exec_lo
	s_cmp_eq_u64 s[4:5], s[6:7]
	s_cbranch_scc0 .LBB747_238
; %bb.241:                              ;   in Loop: Header=BB747_240 Depth=1
	s_mov_b64 s[6:7], s[14:15]
                                        ; implicit-def: $vgpr33_vgpr34
                                        ; implicit-def: $vgpr35_vgpr36
	s_branch .LBB747_239
.LBB747_242:
	s_set_inst_prefetch_distance 0x2
	s_or_b32 exec_lo, exec_lo, s27
	v_cmp_gt_i64_e32 vcc_lo, s[14:15], v[39:40]
	s_or_not1_b32 s27, vcc_lo, exec_lo
.LBB747_243:
	s_or_b32 exec_lo, exec_lo, s34
.LBB747_244:
	v_mul_lo_u32 v35, v28, s14
	v_mul_lo_u32 v36, v27, s15
	v_mad_u64_u32 v[33:34], null, v27, s14, 0
	s_and_not1_b32 vcc_lo, exec_lo, s13
	s_delay_alu instid0(VALU_DEP_1) | instskip(NEXT) | instid1(VALU_DEP_1)
	v_add3_u32 v34, v34, v36, v35
	v_lshlrev_b64 v[33:34], 1, v[33:34]
	s_cbranch_vccnz .LBB747_253
; %bb.245:
	s_delay_alu instid0(VALU_DEP_1) | instskip(NEXT) | instid1(VALU_DEP_2)
	v_add_co_u32 v39, vcc_lo, s20, v33
	v_add_co_ci_u32_e32 v40, vcc_lo, s21, v34, vcc_lo
	v_add_co_u32 v35, vcc_lo, s20, v37
	v_add_co_ci_u32_e32 v36, vcc_lo, s21, v38, vcc_lo
	s_mov_b32 s26, -1
	s_clause 0x1
	global_load_u16 v37, v[39:40], off
	global_load_u16 v38, v[35:36], off
	s_mov_b32 s34, exec_lo
	s_waitcnt vmcnt(0)
	v_cmpx_eq_u16_e64 v37, v38
	s_cbranch_execz .LBB747_252
; %bb.246:
	v_add_co_u32 v35, vcc_lo, v35, 2
	v_add_co_ci_u32_e32 v36, vcc_lo, 0, v36, vcc_lo
	v_add_co_u32 v37, vcc_lo, v39, 2
	v_add_co_ci_u32_e32 v38, vcc_lo, 0, v40, vcc_lo
	s_add_u32 s4, s14, -1
	s_addc_u32 s5, s15, -1
	s_mov_b64 s[6:7], 0
	s_mov_b32 s26, 0
                                        ; implicit-def: $sgpr35
	s_set_inst_prefetch_distance 0x1
	s_branch .LBB747_249
	.p2align	6
.LBB747_247:                            ;   in Loop: Header=BB747_249 Depth=1
	global_load_u16 v39, v[37:38], off
	global_load_u16 v40, v[35:36], off
	v_add_co_u32 v35, vcc_lo, v35, 2
	v_add_co_ci_u32_e32 v36, vcc_lo, 0, v36, vcc_lo
	v_add_co_u32 v37, s0, v37, 2
	s_delay_alu instid0(VALU_DEP_1)
	v_add_co_ci_u32_e64 v38, s0, 0, v38, s0
	s_add_u32 s6, s6, 1
	s_addc_u32 s7, s7, 0
	s_and_not1_b32 s0, s35, exec_lo
	s_waitcnt vmcnt(0)
	v_cmp_ne_u16_e32 vcc_lo, v39, v40
	s_and_b32 s35, vcc_lo, exec_lo
	s_delay_alu instid0(SALU_CYCLE_1)
	s_or_b32 s35, s0, s35
.LBB747_248:                            ;   in Loop: Header=BB747_249 Depth=1
	v_dual_mov_b32 v40, s7 :: v_dual_mov_b32 v39, s6
	s_and_b32 s0, exec_lo, s35
	s_delay_alu instid0(SALU_CYCLE_1) | instskip(NEXT) | instid1(SALU_CYCLE_1)
	s_or_b32 s26, s0, s26
	s_and_not1_b32 exec_lo, exec_lo, s26
	s_cbranch_execz .LBB747_251
.LBB747_249:                            ; =>This Inner Loop Header: Depth=1
	s_or_b32 s35, s35, exec_lo
	s_cmp_eq_u64 s[4:5], s[6:7]
	s_cbranch_scc0 .LBB747_247
; %bb.250:                              ;   in Loop: Header=BB747_249 Depth=1
	s_mov_b64 s[6:7], s[14:15]
                                        ; implicit-def: $vgpr35_vgpr36
                                        ; implicit-def: $vgpr37_vgpr38
	s_branch .LBB747_248
.LBB747_251:
	s_set_inst_prefetch_distance 0x2
	s_or_b32 exec_lo, exec_lo, s26
	v_cmp_gt_i64_e32 vcc_lo, s[14:15], v[39:40]
	s_or_not1_b32 s26, vcc_lo, exec_lo
.LBB747_252:
	s_or_b32 exec_lo, exec_lo, s34
.LBB747_253:
	v_mul_lo_u32 v37, v26, s14
	v_mul_lo_u32 v38, v25, s15
	v_mad_u64_u32 v[35:36], null, v25, s14, 0
	s_mov_b32 s34, 0
	s_and_not1_b32 vcc_lo, exec_lo, s13
	s_mov_b32 s35, 0
	s_delay_alu instid0(VALU_DEP_1) | instskip(NEXT) | instid1(VALU_DEP_1)
	v_add3_u32 v36, v36, v38, v37
	v_lshlrev_b64 v[37:38], 1, v[35:36]
	s_cbranch_vccnz .LBB747_262
; %bb.254:
	s_delay_alu instid0(VALU_DEP_1) | instskip(NEXT) | instid1(VALU_DEP_2)
	v_add_co_u32 v35, vcc_lo, s20, v37
	v_add_co_ci_u32_e32 v36, vcc_lo, s21, v38, vcc_lo
	v_add_co_u32 v33, vcc_lo, s20, v33
	v_add_co_ci_u32_e32 v34, vcc_lo, s21, v34, vcc_lo
	s_mov_b32 s35, -1
	s_clause 0x1
	global_load_u16 v39, v[35:36], off
	global_load_u16 v40, v[33:34], off
	s_mov_b32 s36, exec_lo
	s_waitcnt vmcnt(0)
	v_cmpx_eq_u16_e64 v39, v40
	s_cbranch_execz .LBB747_261
; %bb.255:
	v_add_co_u32 v33, vcc_lo, v33, 2
	v_add_co_ci_u32_e32 v34, vcc_lo, 0, v34, vcc_lo
	v_add_co_u32 v35, vcc_lo, v35, 2
	v_add_co_ci_u32_e32 v36, vcc_lo, 0, v36, vcc_lo
	s_add_u32 s4, s14, -1
	s_addc_u32 s5, s15, -1
	s_mov_b64 s[6:7], 0
	s_mov_b32 s35, 0
                                        ; implicit-def: $sgpr37
	s_set_inst_prefetch_distance 0x1
	s_branch .LBB747_258
	.p2align	6
.LBB747_256:                            ;   in Loop: Header=BB747_258 Depth=1
	global_load_u16 v39, v[35:36], off
	global_load_u16 v40, v[33:34], off
	v_add_co_u32 v33, vcc_lo, v33, 2
	v_add_co_ci_u32_e32 v34, vcc_lo, 0, v34, vcc_lo
	v_add_co_u32 v35, s0, v35, 2
	s_delay_alu instid0(VALU_DEP_1)
	v_add_co_ci_u32_e64 v36, s0, 0, v36, s0
	s_add_u32 s6, s6, 1
	s_addc_u32 s7, s7, 0
	s_and_not1_b32 s0, s37, exec_lo
	s_waitcnt vmcnt(0)
	v_cmp_ne_u16_e32 vcc_lo, v39, v40
	s_and_b32 s37, vcc_lo, exec_lo
	s_delay_alu instid0(SALU_CYCLE_1)
	s_or_b32 s37, s0, s37
.LBB747_257:                            ;   in Loop: Header=BB747_258 Depth=1
	v_dual_mov_b32 v40, s7 :: v_dual_mov_b32 v39, s6
	s_and_b32 s0, exec_lo, s37
	s_delay_alu instid0(SALU_CYCLE_1) | instskip(NEXT) | instid1(SALU_CYCLE_1)
	s_or_b32 s35, s0, s35
	s_and_not1_b32 exec_lo, exec_lo, s35
	s_cbranch_execz .LBB747_260
.LBB747_258:                            ; =>This Inner Loop Header: Depth=1
	s_or_b32 s37, s37, exec_lo
	s_cmp_eq_u64 s[4:5], s[6:7]
	s_cbranch_scc0 .LBB747_256
; %bb.259:                              ;   in Loop: Header=BB747_258 Depth=1
	s_mov_b64 s[6:7], s[14:15]
                                        ; implicit-def: $vgpr33_vgpr34
                                        ; implicit-def: $vgpr35_vgpr36
	s_branch .LBB747_257
.LBB747_260:
	s_set_inst_prefetch_distance 0x2
	s_or_b32 exec_lo, exec_lo, s35
	v_cmp_gt_i64_e32 vcc_lo, s[14:15], v[39:40]
	s_or_not1_b32 s35, vcc_lo, exec_lo
.LBB747_261:
	s_or_b32 exec_lo, exec_lo, s36
.LBB747_262:
	v_mul_lo_u32 v35, v32, s14
	v_mul_lo_u32 v36, v31, s15
	v_mad_u64_u32 v[33:34], null, v31, s14, 0
	s_and_not1_b32 vcc_lo, exec_lo, s13
	s_delay_alu instid0(VALU_DEP_1) | instskip(NEXT) | instid1(VALU_DEP_1)
	v_add3_u32 v34, v34, v36, v35
	v_lshlrev_b64 v[35:36], 1, v[33:34]
	s_cbranch_vccnz .LBB747_271
; %bb.263:
	s_delay_alu instid0(VALU_DEP_1) | instskip(NEXT) | instid1(VALU_DEP_2)
	v_add_co_u32 v39, vcc_lo, s20, v35
	v_add_co_ci_u32_e32 v40, vcc_lo, s21, v36, vcc_lo
	v_add_co_u32 v33, vcc_lo, s20, v37
	v_add_co_ci_u32_e32 v34, vcc_lo, s21, v38, vcc_lo
	s_mov_b32 s34, -1
	s_clause 0x1
	global_load_u16 v37, v[39:40], off
	global_load_u16 v38, v[33:34], off
	s_mov_b32 s36, exec_lo
	s_waitcnt vmcnt(0)
	v_cmpx_eq_u16_e64 v37, v38
	s_cbranch_execz .LBB747_270
; %bb.264:
	v_add_co_u32 v33, vcc_lo, v33, 2
	v_add_co_ci_u32_e32 v34, vcc_lo, 0, v34, vcc_lo
	v_add_co_u32 v37, vcc_lo, v39, 2
	v_add_co_ci_u32_e32 v38, vcc_lo, 0, v40, vcc_lo
	s_add_u32 s4, s14, -1
	s_addc_u32 s5, s15, -1
	s_mov_b64 s[6:7], 0
	s_mov_b32 s34, 0
                                        ; implicit-def: $sgpr37
	s_set_inst_prefetch_distance 0x1
	s_branch .LBB747_267
	.p2align	6
.LBB747_265:                            ;   in Loop: Header=BB747_267 Depth=1
	global_load_u16 v39, v[37:38], off
	global_load_u16 v40, v[33:34], off
	v_add_co_u32 v33, vcc_lo, v33, 2
	v_add_co_ci_u32_e32 v34, vcc_lo, 0, v34, vcc_lo
	v_add_co_u32 v37, s0, v37, 2
	s_delay_alu instid0(VALU_DEP_1)
	v_add_co_ci_u32_e64 v38, s0, 0, v38, s0
	s_add_u32 s6, s6, 1
	s_addc_u32 s7, s7, 0
	s_and_not1_b32 s0, s37, exec_lo
	s_waitcnt vmcnt(0)
	v_cmp_ne_u16_e32 vcc_lo, v39, v40
	s_and_b32 s37, vcc_lo, exec_lo
	s_delay_alu instid0(SALU_CYCLE_1)
	s_or_b32 s37, s0, s37
.LBB747_266:                            ;   in Loop: Header=BB747_267 Depth=1
	v_dual_mov_b32 v40, s7 :: v_dual_mov_b32 v39, s6
	s_and_b32 s0, exec_lo, s37
	s_delay_alu instid0(SALU_CYCLE_1) | instskip(NEXT) | instid1(SALU_CYCLE_1)
	s_or_b32 s34, s0, s34
	s_and_not1_b32 exec_lo, exec_lo, s34
	s_cbranch_execz .LBB747_269
.LBB747_267:                            ; =>This Inner Loop Header: Depth=1
	s_or_b32 s37, s37, exec_lo
	s_cmp_eq_u64 s[4:5], s[6:7]
	s_cbranch_scc0 .LBB747_265
; %bb.268:                              ;   in Loop: Header=BB747_267 Depth=1
	s_mov_b64 s[6:7], s[14:15]
                                        ; implicit-def: $vgpr33_vgpr34
                                        ; implicit-def: $vgpr37_vgpr38
	s_branch .LBB747_266
.LBB747_269:
	s_set_inst_prefetch_distance 0x2
	s_or_b32 exec_lo, exec_lo, s34
	v_cmp_gt_i64_e32 vcc_lo, s[14:15], v[39:40]
	s_or_not1_b32 s34, vcc_lo, exec_lo
.LBB747_270:
	s_or_b32 exec_lo, exec_lo, s36
.LBB747_271:
	v_mul_lo_u32 v37, v30, s14
	v_mul_lo_u32 v38, v29, s15
	v_mad_u64_u32 v[33:34], null, v29, s14, 0
	s_and_not1_b32 vcc_lo, exec_lo, s13
	s_mov_b32 s0, 0
	s_delay_alu instid0(VALU_DEP_1)
	v_add3_u32 v34, v34, v38, v37
	s_cbranch_vccnz .LBB747_280
; %bb.272:
	s_delay_alu instid0(VALU_DEP_1) | instskip(SKIP_2) | instid1(VALU_DEP_1)
	v_lshlrev_b64 v[37:38], 1, v[33:34]
	s_mov_b32 s0, -1
	s_mov_b32 s36, exec_lo
	v_add_co_u32 v37, vcc_lo, s20, v37
	s_delay_alu instid0(VALU_DEP_2)
	v_add_co_ci_u32_e32 v38, vcc_lo, s21, v38, vcc_lo
	v_add_co_u32 v35, vcc_lo, s20, v35
	v_add_co_ci_u32_e32 v36, vcc_lo, s21, v36, vcc_lo
	s_clause 0x1
	global_load_u16 v39, v[37:38], off
	global_load_u16 v40, v[35:36], off
	s_waitcnt vmcnt(0)
	v_cmpx_eq_u16_e64 v39, v40
	s_cbranch_execz .LBB747_279
; %bb.273:
	v_add_co_u32 v35, vcc_lo, v35, 2
	v_add_co_ci_u32_e32 v36, vcc_lo, 0, v36, vcc_lo
	v_add_co_u32 v37, vcc_lo, v37, 2
	v_add_co_ci_u32_e32 v38, vcc_lo, 0, v38, vcc_lo
	s_add_u32 s4, s14, -1
	s_addc_u32 s5, s15, -1
	s_mov_b64 s[6:7], 0
	s_mov_b32 s37, 0
                                        ; implicit-def: $sgpr38
	s_set_inst_prefetch_distance 0x1
	s_branch .LBB747_276
	.p2align	6
.LBB747_274:                            ;   in Loop: Header=BB747_276 Depth=1
	global_load_u16 v39, v[37:38], off
	global_load_u16 v40, v[35:36], off
	v_add_co_u32 v35, vcc_lo, v35, 2
	v_add_co_ci_u32_e32 v36, vcc_lo, 0, v36, vcc_lo
	v_add_co_u32 v37, s0, v37, 2
	s_delay_alu instid0(VALU_DEP_1)
	v_add_co_ci_u32_e64 v38, s0, 0, v38, s0
	s_add_u32 s6, s6, 1
	s_addc_u32 s7, s7, 0
	s_and_not1_b32 s0, s38, exec_lo
	s_waitcnt vmcnt(0)
	v_cmp_ne_u16_e32 vcc_lo, v39, v40
	s_and_b32 s38, vcc_lo, exec_lo
	s_delay_alu instid0(SALU_CYCLE_1)
	s_or_b32 s38, s0, s38
.LBB747_275:                            ;   in Loop: Header=BB747_276 Depth=1
	v_dual_mov_b32 v40, s7 :: v_dual_mov_b32 v39, s6
	s_and_b32 s0, exec_lo, s38
	s_delay_alu instid0(SALU_CYCLE_1) | instskip(NEXT) | instid1(SALU_CYCLE_1)
	s_or_b32 s37, s0, s37
	s_and_not1_b32 exec_lo, exec_lo, s37
	s_cbranch_execz .LBB747_278
.LBB747_276:                            ; =>This Inner Loop Header: Depth=1
	s_or_b32 s38, s38, exec_lo
	s_cmp_eq_u64 s[4:5], s[6:7]
	s_cbranch_scc0 .LBB747_274
; %bb.277:                              ;   in Loop: Header=BB747_276 Depth=1
	s_mov_b64 s[6:7], s[14:15]
                                        ; implicit-def: $vgpr35_vgpr36
                                        ; implicit-def: $vgpr37_vgpr38
	s_branch .LBB747_275
.LBB747_278:
	s_set_inst_prefetch_distance 0x2
	s_or_b32 exec_lo, exec_lo, s37
	v_cmp_gt_i64_e32 vcc_lo, s[14:15], v[39:40]
	s_or_not1_b32 s0, vcc_lo, exec_lo
.LBB747_279:
	s_or_b32 exec_lo, exec_lo, s36
.LBB747_280:
	v_cndmask_b32_e64 v36, 0, 1, s35
	v_cndmask_b32_e64 v37, 0, 1, s27
	;; [unrolled: 1-line block ×7, first 2 shown]
	v_lshlrev_b16 v37, 8, v37
	v_lshlrev_b16 v38, 8, v38
	;; [unrolled: 1-line block ×4, first 2 shown]
	s_waitcnt lgkmcnt(0)
	v_or_b32_e32 v37, v40, v37
	v_or_b32_e32 v38, v41, v38
	;; [unrolled: 1-line block ×4, first 2 shown]
	s_barrier
	v_and_b32_e32 v36, 0xffff, v37
	v_lshlrev_b32_e32 v37, 16, v38
	v_and_b32_e32 v38, 0xffff, v39
	v_lshlrev_b32_e32 v35, 16, v35
	buffer_gl0_inv
                                        ; implicit-def: $sgpr0
	v_or_b32_e32 v36, v36, v37
	v_or_b32_e32 v35, v38, v35
	s_and_saveexec_b32 s4, s3
	s_delay_alu instid0(SALU_CYCLE_1)
	s_xor_b32 s24, exec_lo, s4
	s_cbranch_execz .LBB747_291
; %bb.281:
	s_and_not1_b32 vcc_lo, exec_lo, s13
	s_mov_b32 s0, 0
	s_cbranch_vccnz .LBB747_290
; %bb.282:
	v_add_nc_u32_e32 v37, -8, v55
	v_lshlrev_b64 v[33:34], 1, v[33:34]
	s_mov_b32 s0, -1
	s_mov_b32 s25, exec_lo
	ds_load_b64 v[37:38], v37
	s_waitcnt lgkmcnt(0)
	v_mul_lo_u32 v40, v38, s14
	v_mul_lo_u32 v41, v37, s15
	v_mad_u64_u32 v[38:39], null, v37, s14, 0
	s_delay_alu instid0(VALU_DEP_1) | instskip(NEXT) | instid1(VALU_DEP_1)
	v_add3_u32 v39, v39, v41, v40
	v_lshlrev_b64 v[37:38], 1, v[38:39]
	s_delay_alu instid0(VALU_DEP_1) | instskip(NEXT) | instid1(VALU_DEP_2)
	v_add_co_u32 v37, vcc_lo, s20, v37
	v_add_co_ci_u32_e32 v38, vcc_lo, s21, v38, vcc_lo
	v_add_co_u32 v33, vcc_lo, s20, v33
	v_add_co_ci_u32_e32 v34, vcc_lo, s21, v34, vcc_lo
	s_clause 0x1
	global_load_u16 v39, v[37:38], off
	global_load_u16 v40, v[33:34], off
	s_waitcnt vmcnt(0)
	v_cmpx_eq_u16_e64 v39, v40
	s_cbranch_execz .LBB747_289
; %bb.283:
	v_add_co_u32 v33, vcc_lo, v33, 2
	v_add_co_ci_u32_e32 v34, vcc_lo, 0, v34, vcc_lo
	v_add_co_u32 v37, vcc_lo, v37, 2
	v_add_co_ci_u32_e32 v38, vcc_lo, 0, v38, vcc_lo
	s_add_u32 s4, s14, -1
	s_addc_u32 s5, s15, -1
	s_mov_b64 s[6:7], 0
	s_mov_b32 s26, 0
                                        ; implicit-def: $sgpr27
	s_set_inst_prefetch_distance 0x1
	s_branch .LBB747_286
	.p2align	6
.LBB747_284:                            ;   in Loop: Header=BB747_286 Depth=1
	global_load_u16 v39, v[37:38], off
	global_load_u16 v40, v[33:34], off
	v_add_co_u32 v33, vcc_lo, v33, 2
	v_add_co_ci_u32_e32 v34, vcc_lo, 0, v34, vcc_lo
	v_add_co_u32 v37, s0, v37, 2
	s_delay_alu instid0(VALU_DEP_1)
	v_add_co_ci_u32_e64 v38, s0, 0, v38, s0
	s_add_u32 s6, s6, 1
	s_addc_u32 s7, s7, 0
	s_and_not1_b32 s0, s27, exec_lo
	s_waitcnt vmcnt(0)
	v_cmp_ne_u16_e32 vcc_lo, v39, v40
	s_and_b32 s27, vcc_lo, exec_lo
	s_delay_alu instid0(SALU_CYCLE_1)
	s_or_b32 s27, s0, s27
.LBB747_285:                            ;   in Loop: Header=BB747_286 Depth=1
	v_dual_mov_b32 v40, s7 :: v_dual_mov_b32 v39, s6
	s_and_b32 s0, exec_lo, s27
	s_delay_alu instid0(SALU_CYCLE_1) | instskip(NEXT) | instid1(SALU_CYCLE_1)
	s_or_b32 s26, s0, s26
	s_and_not1_b32 exec_lo, exec_lo, s26
	s_cbranch_execz .LBB747_288
.LBB747_286:                            ; =>This Inner Loop Header: Depth=1
	s_or_b32 s27, s27, exec_lo
	s_cmp_eq_u64 s[4:5], s[6:7]
	s_cbranch_scc0 .LBB747_284
; %bb.287:                              ;   in Loop: Header=BB747_286 Depth=1
	s_mov_b64 s[6:7], s[14:15]
                                        ; implicit-def: $vgpr33_vgpr34
                                        ; implicit-def: $vgpr37_vgpr38
	s_branch .LBB747_285
.LBB747_288:
	s_set_inst_prefetch_distance 0x2
	s_or_b32 exec_lo, exec_lo, s26
	v_cmp_gt_i64_e32 vcc_lo, s[14:15], v[39:40]
	s_or_not1_b32 s0, vcc_lo, exec_lo
.LBB747_289:
	s_or_b32 exec_lo, exec_lo, s25
.LBB747_290:
	s_delay_alu instid0(SALU_CYCLE_1)
	s_and_b32 s0, s0, exec_lo
	s_or_b32 s1, s1, exec_lo
.LBB747_291:
	s_or_b32 exec_lo, exec_lo, s24
	s_branch .LBB747_383
.LBB747_292:
	s_waitcnt vmcnt(0) lgkmcnt(1)
	v_or_b32_e32 v33, 7, v55
	s_mov_b32 s24, 0
	s_mov_b32 s25, 0
	s_mov_b32 s26, exec_lo
	s_delay_alu instid0(VALU_DEP_1)
	v_cmpx_gt_u32_e64 s31, v33
	s_cbranch_execz .LBB747_303
; %bb.293:
	s_and_not1_b32 vcc_lo, exec_lo, s13
	s_mov_b32 s0, 0
	s_cbranch_vccnz .LBB747_302
; %bb.294:
	v_mul_lo_u32 v37, v18, s14
	v_mul_lo_u32 v38, v17, s15
	v_mad_u64_u32 v[33:34], null, v17, s14, 0
	v_mul_lo_u32 v39, v20, s14
	v_mul_lo_u32 v40, v19, s15
	v_mad_u64_u32 v[35:36], null, v19, s14, 0
	s_mov_b32 s0, -1
	s_mov_b32 s25, exec_lo
	s_delay_alu instid0(VALU_DEP_4) | instskip(NEXT) | instid1(VALU_DEP_2)
	v_add3_u32 v34, v34, v38, v37
	v_add3_u32 v36, v36, v40, v39
	s_delay_alu instid0(VALU_DEP_2) | instskip(NEXT) | instid1(VALU_DEP_2)
	v_lshlrev_b64 v[33:34], 1, v[33:34]
	v_lshlrev_b64 v[37:38], 1, v[35:36]
	s_delay_alu instid0(VALU_DEP_2) | instskip(NEXT) | instid1(VALU_DEP_3)
	v_add_co_u32 v35, vcc_lo, s20, v33
	v_add_co_ci_u32_e32 v36, vcc_lo, s21, v34, vcc_lo
	s_delay_alu instid0(VALU_DEP_3) | instskip(NEXT) | instid1(VALU_DEP_4)
	v_add_co_u32 v33, vcc_lo, s20, v37
	v_add_co_ci_u32_e32 v34, vcc_lo, s21, v38, vcc_lo
	s_clause 0x1
	global_load_u16 v37, v[35:36], off
	global_load_u16 v38, v[33:34], off
	s_waitcnt vmcnt(0)
	v_cmpx_eq_u16_e64 v37, v38
	s_cbranch_execz .LBB747_301
; %bb.295:
	v_add_co_u32 v33, vcc_lo, v33, 2
	v_add_co_ci_u32_e32 v34, vcc_lo, 0, v34, vcc_lo
	v_add_co_u32 v35, vcc_lo, v35, 2
	v_add_co_ci_u32_e32 v36, vcc_lo, 0, v36, vcc_lo
	s_add_u32 s4, s14, -1
	s_addc_u32 s5, s15, -1
	s_mov_b64 s[6:7], 0
	s_mov_b32 s27, 0
                                        ; implicit-def: $sgpr34
	s_set_inst_prefetch_distance 0x1
	s_branch .LBB747_298
	.p2align	6
.LBB747_296:                            ;   in Loop: Header=BB747_298 Depth=1
	global_load_u16 v37, v[35:36], off
	global_load_u16 v38, v[33:34], off
	v_add_co_u32 v33, vcc_lo, v33, 2
	v_add_co_ci_u32_e32 v34, vcc_lo, 0, v34, vcc_lo
	v_add_co_u32 v35, s0, v35, 2
	s_delay_alu instid0(VALU_DEP_1)
	v_add_co_ci_u32_e64 v36, s0, 0, v36, s0
	s_add_u32 s6, s6, 1
	s_addc_u32 s7, s7, 0
	s_and_not1_b32 s0, s34, exec_lo
	s_waitcnt vmcnt(0)
	v_cmp_ne_u16_e32 vcc_lo, v37, v38
	s_and_b32 s34, vcc_lo, exec_lo
	s_delay_alu instid0(SALU_CYCLE_1)
	s_or_b32 s34, s0, s34
.LBB747_297:                            ;   in Loop: Header=BB747_298 Depth=1
	v_dual_mov_b32 v38, s7 :: v_dual_mov_b32 v37, s6
	s_and_b32 s0, exec_lo, s34
	s_delay_alu instid0(SALU_CYCLE_1) | instskip(NEXT) | instid1(SALU_CYCLE_1)
	s_or_b32 s27, s0, s27
	s_and_not1_b32 exec_lo, exec_lo, s27
	s_cbranch_execz .LBB747_300
.LBB747_298:                            ; =>This Inner Loop Header: Depth=1
	s_or_b32 s34, s34, exec_lo
	s_cmp_eq_u64 s[4:5], s[6:7]
	s_cbranch_scc0 .LBB747_296
; %bb.299:                              ;   in Loop: Header=BB747_298 Depth=1
	s_mov_b64 s[6:7], s[14:15]
                                        ; implicit-def: $vgpr33_vgpr34
                                        ; implicit-def: $vgpr35_vgpr36
	s_branch .LBB747_297
.LBB747_300:
	s_set_inst_prefetch_distance 0x2
	s_or_b32 exec_lo, exec_lo, s27
	v_cmp_gt_i64_e32 vcc_lo, s[14:15], v[37:38]
	s_or_not1_b32 s0, vcc_lo, exec_lo
.LBB747_301:
	s_or_b32 exec_lo, exec_lo, s25
.LBB747_302:
	s_delay_alu instid0(SALU_CYCLE_1)
	s_and_b32 s25, s0, exec_lo
.LBB747_303:
	s_or_b32 exec_lo, exec_lo, s26
	v_or_b32_e32 v33, 6, v55
	s_mov_b32 s26, exec_lo
	s_delay_alu instid0(VALU_DEP_1)
	v_cmpx_gt_u32_e64 s31, v33
	s_cbranch_execz .LBB747_314
; %bb.304:
	s_and_not1_b32 vcc_lo, exec_lo, s13
	s_mov_b32 s0, 0
	s_cbranch_vccnz .LBB747_313
; %bb.305:
	v_mul_lo_u32 v37, v24, s14
	v_mul_lo_u32 v38, v23, s15
	v_mad_u64_u32 v[33:34], null, v23, s14, 0
	v_mul_lo_u32 v39, v18, s14
	v_mul_lo_u32 v40, v17, s15
	v_mad_u64_u32 v[35:36], null, v17, s14, 0
	s_mov_b32 s0, -1
	s_mov_b32 s24, exec_lo
	s_delay_alu instid0(VALU_DEP_4) | instskip(NEXT) | instid1(VALU_DEP_2)
	v_add3_u32 v34, v34, v38, v37
	v_add3_u32 v36, v36, v40, v39
	s_delay_alu instid0(VALU_DEP_2) | instskip(NEXT) | instid1(VALU_DEP_2)
	v_lshlrev_b64 v[33:34], 1, v[33:34]
	v_lshlrev_b64 v[37:38], 1, v[35:36]
	s_delay_alu instid0(VALU_DEP_2) | instskip(NEXT) | instid1(VALU_DEP_3)
	v_add_co_u32 v35, vcc_lo, s20, v33
	v_add_co_ci_u32_e32 v36, vcc_lo, s21, v34, vcc_lo
	s_delay_alu instid0(VALU_DEP_3) | instskip(NEXT) | instid1(VALU_DEP_4)
	v_add_co_u32 v33, vcc_lo, s20, v37
	v_add_co_ci_u32_e32 v34, vcc_lo, s21, v38, vcc_lo
	s_clause 0x1
	global_load_u16 v37, v[35:36], off
	global_load_u16 v38, v[33:34], off
	s_waitcnt vmcnt(0)
	v_cmpx_eq_u16_e64 v37, v38
	s_cbranch_execz .LBB747_312
; %bb.306:
	v_add_co_u32 v33, vcc_lo, v33, 2
	v_add_co_ci_u32_e32 v34, vcc_lo, 0, v34, vcc_lo
	v_add_co_u32 v35, vcc_lo, v35, 2
	v_add_co_ci_u32_e32 v36, vcc_lo, 0, v36, vcc_lo
	s_add_u32 s4, s14, -1
	s_addc_u32 s5, s15, -1
	s_mov_b64 s[6:7], 0
	s_mov_b32 s27, 0
                                        ; implicit-def: $sgpr34
	s_set_inst_prefetch_distance 0x1
	s_branch .LBB747_309
	.p2align	6
.LBB747_307:                            ;   in Loop: Header=BB747_309 Depth=1
	global_load_u16 v37, v[35:36], off
	global_load_u16 v38, v[33:34], off
	v_add_co_u32 v33, vcc_lo, v33, 2
	v_add_co_ci_u32_e32 v34, vcc_lo, 0, v34, vcc_lo
	v_add_co_u32 v35, s0, v35, 2
	s_delay_alu instid0(VALU_DEP_1)
	v_add_co_ci_u32_e64 v36, s0, 0, v36, s0
	s_add_u32 s6, s6, 1
	s_addc_u32 s7, s7, 0
	s_and_not1_b32 s0, s34, exec_lo
	s_waitcnt vmcnt(0)
	v_cmp_ne_u16_e32 vcc_lo, v37, v38
	s_and_b32 s34, vcc_lo, exec_lo
	s_delay_alu instid0(SALU_CYCLE_1)
	s_or_b32 s34, s0, s34
.LBB747_308:                            ;   in Loop: Header=BB747_309 Depth=1
	v_dual_mov_b32 v38, s7 :: v_dual_mov_b32 v37, s6
	s_and_b32 s0, exec_lo, s34
	s_delay_alu instid0(SALU_CYCLE_1) | instskip(NEXT) | instid1(SALU_CYCLE_1)
	s_or_b32 s27, s0, s27
	s_and_not1_b32 exec_lo, exec_lo, s27
	s_cbranch_execz .LBB747_311
.LBB747_309:                            ; =>This Inner Loop Header: Depth=1
	s_or_b32 s34, s34, exec_lo
	s_cmp_eq_u64 s[4:5], s[6:7]
	s_cbranch_scc0 .LBB747_307
; %bb.310:                              ;   in Loop: Header=BB747_309 Depth=1
	s_mov_b64 s[6:7], s[14:15]
                                        ; implicit-def: $vgpr33_vgpr34
                                        ; implicit-def: $vgpr35_vgpr36
	s_branch .LBB747_308
.LBB747_311:
	s_set_inst_prefetch_distance 0x2
	s_or_b32 exec_lo, exec_lo, s27
	v_cmp_gt_i64_e32 vcc_lo, s[14:15], v[37:38]
	s_or_not1_b32 s0, vcc_lo, exec_lo
.LBB747_312:
	s_or_b32 exec_lo, exec_lo, s24
.LBB747_313:
	s_delay_alu instid0(SALU_CYCLE_1)
	s_and_b32 s24, s0, exec_lo
.LBB747_314:
	s_or_b32 exec_lo, exec_lo, s26
	v_or_b32_e32 v33, 5, v55
	s_mov_b32 s26, 0
	s_mov_b32 s27, 0
	s_mov_b32 s34, exec_lo
	s_delay_alu instid0(VALU_DEP_1)
	v_cmpx_gt_u32_e64 s31, v33
	s_cbranch_execz .LBB747_325
; %bb.315:
	s_and_not1_b32 vcc_lo, exec_lo, s13
	s_mov_b32 s0, 0
	s_cbranch_vccnz .LBB747_324
; %bb.316:
	v_mul_lo_u32 v37, v22, s14
	v_mul_lo_u32 v38, v21, s15
	v_mad_u64_u32 v[33:34], null, v21, s14, 0
	v_mul_lo_u32 v39, v24, s14
	v_mul_lo_u32 v40, v23, s15
	v_mad_u64_u32 v[35:36], null, v23, s14, 0
	s_mov_b32 s0, -1
	s_mov_b32 s27, exec_lo
	s_delay_alu instid0(VALU_DEP_4) | instskip(NEXT) | instid1(VALU_DEP_2)
	v_add3_u32 v34, v34, v38, v37
	v_add3_u32 v36, v36, v40, v39
	s_delay_alu instid0(VALU_DEP_2) | instskip(NEXT) | instid1(VALU_DEP_2)
	v_lshlrev_b64 v[33:34], 1, v[33:34]
	v_lshlrev_b64 v[37:38], 1, v[35:36]
	s_delay_alu instid0(VALU_DEP_2) | instskip(NEXT) | instid1(VALU_DEP_3)
	v_add_co_u32 v35, vcc_lo, s20, v33
	v_add_co_ci_u32_e32 v36, vcc_lo, s21, v34, vcc_lo
	s_delay_alu instid0(VALU_DEP_3) | instskip(NEXT) | instid1(VALU_DEP_4)
	v_add_co_u32 v33, vcc_lo, s20, v37
	v_add_co_ci_u32_e32 v34, vcc_lo, s21, v38, vcc_lo
	s_clause 0x1
	global_load_u16 v37, v[35:36], off
	global_load_u16 v38, v[33:34], off
	s_waitcnt vmcnt(0)
	v_cmpx_eq_u16_e64 v37, v38
	s_cbranch_execz .LBB747_323
; %bb.317:
	v_add_co_u32 v33, vcc_lo, v33, 2
	v_add_co_ci_u32_e32 v34, vcc_lo, 0, v34, vcc_lo
	v_add_co_u32 v35, vcc_lo, v35, 2
	v_add_co_ci_u32_e32 v36, vcc_lo, 0, v36, vcc_lo
	s_add_u32 s4, s14, -1
	s_addc_u32 s5, s15, -1
	s_mov_b64 s[6:7], 0
	s_mov_b32 s35, 0
                                        ; implicit-def: $sgpr36
	s_set_inst_prefetch_distance 0x1
	s_branch .LBB747_320
	.p2align	6
.LBB747_318:                            ;   in Loop: Header=BB747_320 Depth=1
	global_load_u16 v37, v[35:36], off
	global_load_u16 v38, v[33:34], off
	v_add_co_u32 v33, vcc_lo, v33, 2
	v_add_co_ci_u32_e32 v34, vcc_lo, 0, v34, vcc_lo
	v_add_co_u32 v35, s0, v35, 2
	s_delay_alu instid0(VALU_DEP_1)
	v_add_co_ci_u32_e64 v36, s0, 0, v36, s0
	s_add_u32 s6, s6, 1
	s_addc_u32 s7, s7, 0
	s_and_not1_b32 s0, s36, exec_lo
	s_waitcnt vmcnt(0)
	v_cmp_ne_u16_e32 vcc_lo, v37, v38
	s_and_b32 s36, vcc_lo, exec_lo
	s_delay_alu instid0(SALU_CYCLE_1)
	s_or_b32 s36, s0, s36
.LBB747_319:                            ;   in Loop: Header=BB747_320 Depth=1
	v_dual_mov_b32 v38, s7 :: v_dual_mov_b32 v37, s6
	s_and_b32 s0, exec_lo, s36
	s_delay_alu instid0(SALU_CYCLE_1) | instskip(NEXT) | instid1(SALU_CYCLE_1)
	s_or_b32 s35, s0, s35
	s_and_not1_b32 exec_lo, exec_lo, s35
	s_cbranch_execz .LBB747_322
.LBB747_320:                            ; =>This Inner Loop Header: Depth=1
	s_or_b32 s36, s36, exec_lo
	s_cmp_eq_u64 s[4:5], s[6:7]
	s_cbranch_scc0 .LBB747_318
; %bb.321:                              ;   in Loop: Header=BB747_320 Depth=1
	s_mov_b64 s[6:7], s[14:15]
                                        ; implicit-def: $vgpr33_vgpr34
                                        ; implicit-def: $vgpr35_vgpr36
	s_branch .LBB747_319
.LBB747_322:
	s_set_inst_prefetch_distance 0x2
	s_or_b32 exec_lo, exec_lo, s35
	v_cmp_gt_i64_e32 vcc_lo, s[14:15], v[37:38]
	s_or_not1_b32 s0, vcc_lo, exec_lo
.LBB747_323:
	s_or_b32 exec_lo, exec_lo, s27
.LBB747_324:
	s_delay_alu instid0(SALU_CYCLE_1)
	s_and_b32 s27, s0, exec_lo
.LBB747_325:
	s_or_b32 exec_lo, exec_lo, s34
	v_or_b32_e32 v33, 4, v55
	s_mov_b32 s34, exec_lo
	s_delay_alu instid0(VALU_DEP_1)
	v_cmpx_gt_u32_e64 s31, v33
	s_cbranch_execz .LBB747_336
; %bb.326:
	s_and_not1_b32 vcc_lo, exec_lo, s13
	s_mov_b32 s0, 0
	s_cbranch_vccnz .LBB747_335
; %bb.327:
	v_mul_lo_u32 v37, v28, s14
	v_mul_lo_u32 v38, v27, s15
	v_mad_u64_u32 v[33:34], null, v27, s14, 0
	v_mul_lo_u32 v39, v22, s14
	v_mul_lo_u32 v40, v21, s15
	v_mad_u64_u32 v[35:36], null, v21, s14, 0
	s_mov_b32 s0, -1
	s_mov_b32 s26, exec_lo
	s_delay_alu instid0(VALU_DEP_4) | instskip(NEXT) | instid1(VALU_DEP_2)
	v_add3_u32 v34, v34, v38, v37
	v_add3_u32 v36, v36, v40, v39
	s_delay_alu instid0(VALU_DEP_2) | instskip(NEXT) | instid1(VALU_DEP_2)
	v_lshlrev_b64 v[33:34], 1, v[33:34]
	v_lshlrev_b64 v[37:38], 1, v[35:36]
	s_delay_alu instid0(VALU_DEP_2) | instskip(NEXT) | instid1(VALU_DEP_3)
	v_add_co_u32 v35, vcc_lo, s20, v33
	v_add_co_ci_u32_e32 v36, vcc_lo, s21, v34, vcc_lo
	s_delay_alu instid0(VALU_DEP_3) | instskip(NEXT) | instid1(VALU_DEP_4)
	v_add_co_u32 v33, vcc_lo, s20, v37
	v_add_co_ci_u32_e32 v34, vcc_lo, s21, v38, vcc_lo
	s_clause 0x1
	global_load_u16 v37, v[35:36], off
	global_load_u16 v38, v[33:34], off
	s_waitcnt vmcnt(0)
	v_cmpx_eq_u16_e64 v37, v38
	s_cbranch_execz .LBB747_334
; %bb.328:
	v_add_co_u32 v33, vcc_lo, v33, 2
	v_add_co_ci_u32_e32 v34, vcc_lo, 0, v34, vcc_lo
	v_add_co_u32 v35, vcc_lo, v35, 2
	v_add_co_ci_u32_e32 v36, vcc_lo, 0, v36, vcc_lo
	s_add_u32 s4, s14, -1
	s_addc_u32 s5, s15, -1
	s_mov_b64 s[6:7], 0
	s_mov_b32 s35, 0
                                        ; implicit-def: $sgpr36
	s_set_inst_prefetch_distance 0x1
	s_branch .LBB747_331
	.p2align	6
.LBB747_329:                            ;   in Loop: Header=BB747_331 Depth=1
	global_load_u16 v37, v[35:36], off
	global_load_u16 v38, v[33:34], off
	v_add_co_u32 v33, vcc_lo, v33, 2
	v_add_co_ci_u32_e32 v34, vcc_lo, 0, v34, vcc_lo
	v_add_co_u32 v35, s0, v35, 2
	s_delay_alu instid0(VALU_DEP_1)
	v_add_co_ci_u32_e64 v36, s0, 0, v36, s0
	s_add_u32 s6, s6, 1
	s_addc_u32 s7, s7, 0
	s_and_not1_b32 s0, s36, exec_lo
	s_waitcnt vmcnt(0)
	v_cmp_ne_u16_e32 vcc_lo, v37, v38
	s_and_b32 s36, vcc_lo, exec_lo
	s_delay_alu instid0(SALU_CYCLE_1)
	s_or_b32 s36, s0, s36
.LBB747_330:                            ;   in Loop: Header=BB747_331 Depth=1
	v_dual_mov_b32 v38, s7 :: v_dual_mov_b32 v37, s6
	s_and_b32 s0, exec_lo, s36
	s_delay_alu instid0(SALU_CYCLE_1) | instskip(NEXT) | instid1(SALU_CYCLE_1)
	s_or_b32 s35, s0, s35
	s_and_not1_b32 exec_lo, exec_lo, s35
	s_cbranch_execz .LBB747_333
.LBB747_331:                            ; =>This Inner Loop Header: Depth=1
	s_or_b32 s36, s36, exec_lo
	s_cmp_eq_u64 s[4:5], s[6:7]
	s_cbranch_scc0 .LBB747_329
; %bb.332:                              ;   in Loop: Header=BB747_331 Depth=1
	s_mov_b64 s[6:7], s[14:15]
                                        ; implicit-def: $vgpr33_vgpr34
                                        ; implicit-def: $vgpr35_vgpr36
	s_branch .LBB747_330
.LBB747_333:
	s_set_inst_prefetch_distance 0x2
	s_or_b32 exec_lo, exec_lo, s35
	v_cmp_gt_i64_e32 vcc_lo, s[14:15], v[37:38]
	s_or_not1_b32 s0, vcc_lo, exec_lo
.LBB747_334:
	s_or_b32 exec_lo, exec_lo, s26
.LBB747_335:
	s_delay_alu instid0(SALU_CYCLE_1)
	s_and_b32 s26, s0, exec_lo
.LBB747_336:
	s_or_b32 exec_lo, exec_lo, s34
	v_or_b32_e32 v33, 3, v55
	s_mov_b32 s35, 0
	s_mov_b32 s34, 0
	s_mov_b32 s36, exec_lo
	s_delay_alu instid0(VALU_DEP_1)
	v_cmpx_gt_u32_e64 s31, v33
	s_cbranch_execz .LBB747_347
; %bb.337:
	s_and_not1_b32 vcc_lo, exec_lo, s13
	s_mov_b32 s0, 0
	s_cbranch_vccnz .LBB747_346
; %bb.338:
	v_mul_lo_u32 v37, v26, s14
	v_mul_lo_u32 v38, v25, s15
	v_mad_u64_u32 v[33:34], null, v25, s14, 0
	v_mul_lo_u32 v39, v28, s14
	v_mul_lo_u32 v40, v27, s15
	v_mad_u64_u32 v[35:36], null, v27, s14, 0
	s_mov_b32 s0, -1
	s_mov_b32 s34, exec_lo
	s_delay_alu instid0(VALU_DEP_4) | instskip(NEXT) | instid1(VALU_DEP_2)
	v_add3_u32 v34, v34, v38, v37
	v_add3_u32 v36, v36, v40, v39
	s_delay_alu instid0(VALU_DEP_2) | instskip(NEXT) | instid1(VALU_DEP_2)
	v_lshlrev_b64 v[33:34], 1, v[33:34]
	v_lshlrev_b64 v[37:38], 1, v[35:36]
	s_delay_alu instid0(VALU_DEP_2) | instskip(NEXT) | instid1(VALU_DEP_3)
	v_add_co_u32 v35, vcc_lo, s20, v33
	v_add_co_ci_u32_e32 v36, vcc_lo, s21, v34, vcc_lo
	s_delay_alu instid0(VALU_DEP_3) | instskip(NEXT) | instid1(VALU_DEP_4)
	v_add_co_u32 v33, vcc_lo, s20, v37
	v_add_co_ci_u32_e32 v34, vcc_lo, s21, v38, vcc_lo
	s_clause 0x1
	global_load_u16 v37, v[35:36], off
	global_load_u16 v38, v[33:34], off
	s_waitcnt vmcnt(0)
	v_cmpx_eq_u16_e64 v37, v38
	s_cbranch_execz .LBB747_345
; %bb.339:
	v_add_co_u32 v33, vcc_lo, v33, 2
	v_add_co_ci_u32_e32 v34, vcc_lo, 0, v34, vcc_lo
	v_add_co_u32 v35, vcc_lo, v35, 2
	v_add_co_ci_u32_e32 v36, vcc_lo, 0, v36, vcc_lo
	s_add_u32 s4, s14, -1
	s_addc_u32 s5, s15, -1
	s_mov_b64 s[6:7], 0
	s_mov_b32 s37, 0
                                        ; implicit-def: $sgpr38
	s_set_inst_prefetch_distance 0x1
	s_branch .LBB747_342
	.p2align	6
.LBB747_340:                            ;   in Loop: Header=BB747_342 Depth=1
	global_load_u16 v37, v[35:36], off
	global_load_u16 v38, v[33:34], off
	v_add_co_u32 v33, vcc_lo, v33, 2
	v_add_co_ci_u32_e32 v34, vcc_lo, 0, v34, vcc_lo
	v_add_co_u32 v35, s0, v35, 2
	s_delay_alu instid0(VALU_DEP_1)
	v_add_co_ci_u32_e64 v36, s0, 0, v36, s0
	s_add_u32 s6, s6, 1
	s_addc_u32 s7, s7, 0
	s_and_not1_b32 s0, s38, exec_lo
	s_waitcnt vmcnt(0)
	v_cmp_ne_u16_e32 vcc_lo, v37, v38
	s_and_b32 s38, vcc_lo, exec_lo
	s_delay_alu instid0(SALU_CYCLE_1)
	s_or_b32 s38, s0, s38
.LBB747_341:                            ;   in Loop: Header=BB747_342 Depth=1
	v_dual_mov_b32 v38, s7 :: v_dual_mov_b32 v37, s6
	s_and_b32 s0, exec_lo, s38
	s_delay_alu instid0(SALU_CYCLE_1) | instskip(NEXT) | instid1(SALU_CYCLE_1)
	s_or_b32 s37, s0, s37
	s_and_not1_b32 exec_lo, exec_lo, s37
	s_cbranch_execz .LBB747_344
.LBB747_342:                            ; =>This Inner Loop Header: Depth=1
	s_or_b32 s38, s38, exec_lo
	s_cmp_eq_u64 s[4:5], s[6:7]
	s_cbranch_scc0 .LBB747_340
; %bb.343:                              ;   in Loop: Header=BB747_342 Depth=1
	s_mov_b64 s[6:7], s[14:15]
                                        ; implicit-def: $vgpr33_vgpr34
                                        ; implicit-def: $vgpr35_vgpr36
	s_branch .LBB747_341
.LBB747_344:
	s_set_inst_prefetch_distance 0x2
	s_or_b32 exec_lo, exec_lo, s37
	v_cmp_gt_i64_e32 vcc_lo, s[14:15], v[37:38]
	s_or_not1_b32 s0, vcc_lo, exec_lo
.LBB747_345:
	s_or_b32 exec_lo, exec_lo, s34
.LBB747_346:
	s_delay_alu instid0(SALU_CYCLE_1)
	s_and_b32 s34, s0, exec_lo
.LBB747_347:
	s_or_b32 exec_lo, exec_lo, s36
	v_or_b32_e32 v33, 2, v55
	s_mov_b32 s36, exec_lo
	s_delay_alu instid0(VALU_DEP_1)
	v_cmpx_gt_u32_e64 s31, v33
	s_cbranch_execz .LBB747_358
; %bb.348:
	s_and_not1_b32 vcc_lo, exec_lo, s13
	s_mov_b32 s0, 0
	s_cbranch_vccnz .LBB747_357
; %bb.349:
	v_mul_lo_u32 v37, v32, s14
	v_mul_lo_u32 v38, v31, s15
	v_mad_u64_u32 v[33:34], null, v31, s14, 0
	v_mul_lo_u32 v39, v26, s14
	v_mul_lo_u32 v40, v25, s15
	v_mad_u64_u32 v[35:36], null, v25, s14, 0
	s_mov_b32 s0, -1
	s_mov_b32 s35, exec_lo
	s_delay_alu instid0(VALU_DEP_4) | instskip(NEXT) | instid1(VALU_DEP_2)
	v_add3_u32 v34, v34, v38, v37
	v_add3_u32 v36, v36, v40, v39
	s_delay_alu instid0(VALU_DEP_2) | instskip(NEXT) | instid1(VALU_DEP_2)
	v_lshlrev_b64 v[33:34], 1, v[33:34]
	v_lshlrev_b64 v[37:38], 1, v[35:36]
	s_delay_alu instid0(VALU_DEP_2) | instskip(NEXT) | instid1(VALU_DEP_3)
	v_add_co_u32 v35, vcc_lo, s20, v33
	v_add_co_ci_u32_e32 v36, vcc_lo, s21, v34, vcc_lo
	s_delay_alu instid0(VALU_DEP_3) | instskip(NEXT) | instid1(VALU_DEP_4)
	v_add_co_u32 v33, vcc_lo, s20, v37
	v_add_co_ci_u32_e32 v34, vcc_lo, s21, v38, vcc_lo
	s_clause 0x1
	global_load_u16 v37, v[35:36], off
	global_load_u16 v38, v[33:34], off
	s_waitcnt vmcnt(0)
	v_cmpx_eq_u16_e64 v37, v38
	s_cbranch_execz .LBB747_356
; %bb.350:
	v_add_co_u32 v33, vcc_lo, v33, 2
	v_add_co_ci_u32_e32 v34, vcc_lo, 0, v34, vcc_lo
	v_add_co_u32 v35, vcc_lo, v35, 2
	v_add_co_ci_u32_e32 v36, vcc_lo, 0, v36, vcc_lo
	s_add_u32 s4, s14, -1
	s_addc_u32 s5, s15, -1
	s_mov_b64 s[6:7], 0
	s_mov_b32 s37, 0
                                        ; implicit-def: $sgpr38
	s_set_inst_prefetch_distance 0x1
	s_branch .LBB747_353
	.p2align	6
.LBB747_351:                            ;   in Loop: Header=BB747_353 Depth=1
	global_load_u16 v37, v[35:36], off
	global_load_u16 v38, v[33:34], off
	v_add_co_u32 v33, vcc_lo, v33, 2
	v_add_co_ci_u32_e32 v34, vcc_lo, 0, v34, vcc_lo
	v_add_co_u32 v35, s0, v35, 2
	s_delay_alu instid0(VALU_DEP_1)
	v_add_co_ci_u32_e64 v36, s0, 0, v36, s0
	s_add_u32 s6, s6, 1
	s_addc_u32 s7, s7, 0
	s_and_not1_b32 s0, s38, exec_lo
	s_waitcnt vmcnt(0)
	v_cmp_ne_u16_e32 vcc_lo, v37, v38
	s_and_b32 s38, vcc_lo, exec_lo
	s_delay_alu instid0(SALU_CYCLE_1)
	s_or_b32 s38, s0, s38
.LBB747_352:                            ;   in Loop: Header=BB747_353 Depth=1
	v_dual_mov_b32 v38, s7 :: v_dual_mov_b32 v37, s6
	s_and_b32 s0, exec_lo, s38
	s_delay_alu instid0(SALU_CYCLE_1) | instskip(NEXT) | instid1(SALU_CYCLE_1)
	s_or_b32 s37, s0, s37
	s_and_not1_b32 exec_lo, exec_lo, s37
	s_cbranch_execz .LBB747_355
.LBB747_353:                            ; =>This Inner Loop Header: Depth=1
	s_or_b32 s38, s38, exec_lo
	s_cmp_eq_u64 s[4:5], s[6:7]
	s_cbranch_scc0 .LBB747_351
; %bb.354:                              ;   in Loop: Header=BB747_353 Depth=1
	s_mov_b64 s[6:7], s[14:15]
                                        ; implicit-def: $vgpr33_vgpr34
                                        ; implicit-def: $vgpr35_vgpr36
	s_branch .LBB747_352
.LBB747_355:
	s_set_inst_prefetch_distance 0x2
	s_or_b32 exec_lo, exec_lo, s37
	v_cmp_gt_i64_e32 vcc_lo, s[14:15], v[37:38]
	s_or_not1_b32 s0, vcc_lo, exec_lo
.LBB747_356:
	s_or_b32 exec_lo, exec_lo, s35
.LBB747_357:
	s_delay_alu instid0(SALU_CYCLE_1)
	s_and_b32 s35, s0, exec_lo
.LBB747_358:
	s_or_b32 exec_lo, exec_lo, s36
	v_or_b32_e32 v33, 1, v55
	s_mov_b32 s0, 0
	s_mov_b32 s36, exec_lo
	s_delay_alu instid0(VALU_DEP_1)
	v_cmpx_gt_u32_e64 s31, v33
	s_cbranch_execz .LBB747_369
; %bb.359:
	s_and_not1_b32 vcc_lo, exec_lo, s13
	s_cbranch_vccnz .LBB747_368
; %bb.360:
	v_mul_lo_u32 v37, v30, s14
	v_mul_lo_u32 v38, v29, s15
	v_mad_u64_u32 v[33:34], null, v29, s14, 0
	v_mul_lo_u32 v39, v32, s14
	v_mul_lo_u32 v40, v31, s15
	v_mad_u64_u32 v[35:36], null, v31, s14, 0
	s_mov_b32 s0, -1
	s_mov_b32 s37, exec_lo
	s_delay_alu instid0(VALU_DEP_4) | instskip(NEXT) | instid1(VALU_DEP_2)
	v_add3_u32 v34, v34, v38, v37
	v_add3_u32 v36, v36, v40, v39
	s_delay_alu instid0(VALU_DEP_2) | instskip(NEXT) | instid1(VALU_DEP_2)
	v_lshlrev_b64 v[33:34], 1, v[33:34]
	v_lshlrev_b64 v[37:38], 1, v[35:36]
	s_delay_alu instid0(VALU_DEP_2) | instskip(NEXT) | instid1(VALU_DEP_3)
	v_add_co_u32 v35, vcc_lo, s20, v33
	v_add_co_ci_u32_e32 v36, vcc_lo, s21, v34, vcc_lo
	s_delay_alu instid0(VALU_DEP_3) | instskip(NEXT) | instid1(VALU_DEP_4)
	v_add_co_u32 v33, vcc_lo, s20, v37
	v_add_co_ci_u32_e32 v34, vcc_lo, s21, v38, vcc_lo
	s_clause 0x1
	global_load_u16 v37, v[35:36], off
	global_load_u16 v38, v[33:34], off
	s_waitcnt vmcnt(0)
	v_cmpx_eq_u16_e64 v37, v38
	s_cbranch_execz .LBB747_367
; %bb.361:
	v_add_co_u32 v33, vcc_lo, v33, 2
	v_add_co_ci_u32_e32 v34, vcc_lo, 0, v34, vcc_lo
	v_add_co_u32 v35, vcc_lo, v35, 2
	v_add_co_ci_u32_e32 v36, vcc_lo, 0, v36, vcc_lo
	s_add_u32 s4, s14, -1
	s_addc_u32 s5, s15, -1
	s_mov_b64 s[6:7], 0
	s_mov_b32 s38, 0
                                        ; implicit-def: $sgpr39
	s_set_inst_prefetch_distance 0x1
	s_branch .LBB747_364
	.p2align	6
.LBB747_362:                            ;   in Loop: Header=BB747_364 Depth=1
	global_load_u16 v37, v[35:36], off
	global_load_u16 v38, v[33:34], off
	v_add_co_u32 v33, vcc_lo, v33, 2
	v_add_co_ci_u32_e32 v34, vcc_lo, 0, v34, vcc_lo
	v_add_co_u32 v35, s0, v35, 2
	s_delay_alu instid0(VALU_DEP_1)
	v_add_co_ci_u32_e64 v36, s0, 0, v36, s0
	s_add_u32 s6, s6, 1
	s_addc_u32 s7, s7, 0
	s_and_not1_b32 s0, s39, exec_lo
	s_waitcnt vmcnt(0)
	v_cmp_ne_u16_e32 vcc_lo, v37, v38
	s_and_b32 s39, vcc_lo, exec_lo
	s_delay_alu instid0(SALU_CYCLE_1)
	s_or_b32 s39, s0, s39
.LBB747_363:                            ;   in Loop: Header=BB747_364 Depth=1
	v_dual_mov_b32 v38, s7 :: v_dual_mov_b32 v37, s6
	s_and_b32 s0, exec_lo, s39
	s_delay_alu instid0(SALU_CYCLE_1) | instskip(NEXT) | instid1(SALU_CYCLE_1)
	s_or_b32 s38, s0, s38
	s_and_not1_b32 exec_lo, exec_lo, s38
	s_cbranch_execz .LBB747_366
.LBB747_364:                            ; =>This Inner Loop Header: Depth=1
	s_or_b32 s39, s39, exec_lo
	s_cmp_eq_u64 s[4:5], s[6:7]
	s_cbranch_scc0 .LBB747_362
; %bb.365:                              ;   in Loop: Header=BB747_364 Depth=1
	s_mov_b64 s[6:7], s[14:15]
                                        ; implicit-def: $vgpr33_vgpr34
                                        ; implicit-def: $vgpr35_vgpr36
	s_branch .LBB747_363
.LBB747_366:
	s_set_inst_prefetch_distance 0x2
	s_or_b32 exec_lo, exec_lo, s38
	v_cmp_gt_i64_e32 vcc_lo, s[14:15], v[37:38]
	s_or_not1_b32 s0, vcc_lo, exec_lo
.LBB747_367:
	s_or_b32 exec_lo, exec_lo, s37
.LBB747_368:
	s_delay_alu instid0(SALU_CYCLE_1)
	s_and_b32 s0, s0, exec_lo
.LBB747_369:
	s_or_b32 exec_lo, exec_lo, s36
	v_cndmask_b32_e64 v34, 0, 1, s34
	v_cndmask_b32_e64 v35, 0, 1, s27
	;; [unrolled: 1-line block ×7, first 2 shown]
	v_lshlrev_b16 v35, 8, v35
	v_lshlrev_b16 v36, 8, v36
	;; [unrolled: 1-line block ×4, first 2 shown]
	s_waitcnt lgkmcnt(0)
	v_or_b32_e32 v35, v38, v35
	v_or_b32_e32 v36, v39, v36
	v_or_b32_e32 v37, 1, v37
	v_or_b32_e32 v33, v33, v34
	s_barrier
	v_and_b32_e32 v34, 0xffff, v35
	v_lshlrev_b32_e32 v35, 16, v36
	v_and_b32_e32 v37, 0xffff, v37
	v_lshlrev_b32_e32 v33, 16, v33
	buffer_gl0_inv
                                        ; implicit-def: $sgpr0
	v_or_b32_e32 v36, v34, v35
	v_or_b32_e32 v35, v37, v33
	s_and_saveexec_b32 s24, s3
	s_cbranch_execz .LBB747_382
; %bb.370:
	s_mov_b32 s0, 0
	s_mov_b32 s3, exec_lo
	v_cmpx_gt_u32_e64 s31, v55
	s_cbranch_execz .LBB747_381
; %bb.371:
	s_and_not1_b32 vcc_lo, exec_lo, s13
	s_cbranch_vccnz .LBB747_380
; %bb.372:
	v_add_nc_u32_e32 v33, -8, v55
	v_mul_lo_u32 v41, v30, s14
	v_mul_lo_u32 v42, v29, s15
	s_mov_b32 s0, -1
	s_mov_b32 s13, exec_lo
	ds_load_b64 v[33:34], v33
	s_waitcnt lgkmcnt(0)
	v_mul_lo_u32 v39, v34, s14
	v_mul_lo_u32 v40, v33, s15
	v_mad_u64_u32 v[37:38], null, v33, s14, 0
	v_mad_u64_u32 v[33:34], null, v29, s14, 0
	s_delay_alu instid0(VALU_DEP_2) | instskip(NEXT) | instid1(VALU_DEP_2)
	v_add3_u32 v38, v38, v40, v39
	v_add3_u32 v34, v34, v42, v41
	s_delay_alu instid0(VALU_DEP_2) | instskip(NEXT) | instid1(VALU_DEP_2)
	v_lshlrev_b64 v[37:38], 1, v[37:38]
	v_lshlrev_b64 v[33:34], 1, v[33:34]
	s_delay_alu instid0(VALU_DEP_2) | instskip(NEXT) | instid1(VALU_DEP_3)
	v_add_co_u32 v37, vcc_lo, s20, v37
	v_add_co_ci_u32_e32 v38, vcc_lo, s21, v38, vcc_lo
	s_delay_alu instid0(VALU_DEP_3) | instskip(NEXT) | instid1(VALU_DEP_4)
	v_add_co_u32 v33, vcc_lo, s20, v33
	v_add_co_ci_u32_e32 v34, vcc_lo, s21, v34, vcc_lo
	s_clause 0x1
	global_load_u16 v39, v[37:38], off
	global_load_u16 v40, v[33:34], off
	s_waitcnt vmcnt(0)
	v_cmpx_eq_u16_e64 v39, v40
	s_cbranch_execz .LBB747_379
; %bb.373:
	v_add_co_u32 v33, vcc_lo, v33, 2
	v_add_co_ci_u32_e32 v34, vcc_lo, 0, v34, vcc_lo
	v_add_co_u32 v37, vcc_lo, v37, 2
	v_add_co_ci_u32_e32 v38, vcc_lo, 0, v38, vcc_lo
	s_add_u32 s4, s14, -1
	s_addc_u32 s5, s15, -1
	s_mov_b64 s[6:7], 0
	s_mov_b32 s20, 0
                                        ; implicit-def: $sgpr21
	s_set_inst_prefetch_distance 0x1
	s_branch .LBB747_376
	.p2align	6
.LBB747_374:                            ;   in Loop: Header=BB747_376 Depth=1
	global_load_u16 v39, v[37:38], off
	global_load_u16 v40, v[33:34], off
	v_add_co_u32 v33, vcc_lo, v33, 2
	v_add_co_ci_u32_e32 v34, vcc_lo, 0, v34, vcc_lo
	v_add_co_u32 v37, s0, v37, 2
	s_delay_alu instid0(VALU_DEP_1)
	v_add_co_ci_u32_e64 v38, s0, 0, v38, s0
	s_add_u32 s6, s6, 1
	s_addc_u32 s7, s7, 0
	s_and_not1_b32 s0, s21, exec_lo
	s_waitcnt vmcnt(0)
	v_cmp_ne_u16_e32 vcc_lo, v39, v40
	s_and_b32 s21, vcc_lo, exec_lo
	s_delay_alu instid0(SALU_CYCLE_1)
	s_or_b32 s21, s0, s21
.LBB747_375:                            ;   in Loop: Header=BB747_376 Depth=1
	v_dual_mov_b32 v40, s7 :: v_dual_mov_b32 v39, s6
	s_and_b32 s0, exec_lo, s21
	s_delay_alu instid0(SALU_CYCLE_1) | instskip(NEXT) | instid1(SALU_CYCLE_1)
	s_or_b32 s20, s0, s20
	s_and_not1_b32 exec_lo, exec_lo, s20
	s_cbranch_execz .LBB747_378
.LBB747_376:                            ; =>This Inner Loop Header: Depth=1
	s_or_b32 s21, s21, exec_lo
	s_cmp_eq_u64 s[4:5], s[6:7]
	s_cbranch_scc0 .LBB747_374
; %bb.377:                              ;   in Loop: Header=BB747_376 Depth=1
	s_mov_b64 s[6:7], s[14:15]
                                        ; implicit-def: $vgpr33_vgpr34
                                        ; implicit-def: $vgpr37_vgpr38
	s_branch .LBB747_375
.LBB747_378:
	s_set_inst_prefetch_distance 0x2
	s_or_b32 exec_lo, exec_lo, s20
	v_cmp_gt_i64_e32 vcc_lo, s[14:15], v[39:40]
	s_or_not1_b32 s0, vcc_lo, exec_lo
.LBB747_379:
	s_or_b32 exec_lo, exec_lo, s13
.LBB747_380:
	s_delay_alu instid0(SALU_CYCLE_1)
	s_and_b32 s0, s0, exec_lo
.LBB747_381:
	s_or_b32 exec_lo, exec_lo, s3
	s_delay_alu instid0(SALU_CYCLE_1)
	s_and_b32 s0, s0, exec_lo
	s_or_b32 s1, s1, exec_lo
.LBB747_382:
	s_or_b32 exec_lo, exec_lo, s24
.LBB747_383:
	s_and_saveexec_b32 s3, s1
	s_cbranch_execz .LBB747_385
; %bb.384:
	s_waitcnt vmcnt(0) lgkmcnt(0)
	v_and_b32_e32 v33, 0xffffff00, v35
	v_cndmask_b32_e64 v34, 0, 1, s0
	s_delay_alu instid0(VALU_DEP_1) | instskip(NEXT) | instid1(VALU_DEP_1)
	v_or_b32_e32 v33, v34, v33
	v_and_b32_e32 v33, 0xffff, v33
	s_delay_alu instid0(VALU_DEP_1)
	v_and_or_b32 v35, 0xffff0000, v35, v33
.LBB747_385:
	s_or_b32 exec_lo, exec_lo, s3
	s_delay_alu instid0(SALU_CYCLE_1)
	s_and_not1_b32 vcc_lo, exec_lo, s33
	s_cbranch_vccnz .LBB747_387
; %bb.386:
	v_cmp_gt_u32_e32 vcc_lo, s31, v55
	s_waitcnt vmcnt(0) lgkmcnt(0)
	v_or_b32_e32 v34, 1, v55
	v_and_b32_e32 v37, 0xffffff00, v36
	v_or_b32_e32 v38, 2, v55
	v_cndmask_b32_e32 v33, 0, v35, vcc_lo
	s_delay_alu instid0(VALU_DEP_4) | instskip(SKIP_1) | instid1(VALU_DEP_4)
	v_cmp_gt_u32_e32 vcc_lo, s31, v34
	v_or_b32_e32 v34, 4, v55
	v_cmp_gt_u32_e64 s0, s31, v38
	v_or_b32_e32 v38, 3, v55
	v_and_b32_e32 v33, 0xff, v33
	s_delay_alu instid0(VALU_DEP_2) | instskip(NEXT) | instid1(VALU_DEP_2)
	v_cmp_gt_u32_e64 s1, s31, v38
	v_cndmask_b32_e32 v33, v33, v35, vcc_lo
	v_cmp_gt_u32_e32 vcc_lo, s31, v34
	v_cndmask_b32_e32 v34, v37, v36, vcc_lo
	v_or_b32_e32 v37, 5, v55
	s_delay_alu instid0(VALU_DEP_2) | instskip(SKIP_1) | instid1(VALU_DEP_1)
	v_and_b32_e32 v34, 0xffff00ff, v34
	v_and_b32_e32 v33, 0xffff, v33
	v_cndmask_b32_e64 v33, v33, v35, s0
	s_delay_alu instid0(VALU_DEP_4) | instskip(SKIP_1) | instid1(VALU_DEP_3)
	v_cmp_gt_u32_e64 s0, s31, v37
	v_or_b32_e32 v37, 6, v55
	v_and_b32_e32 v33, 0xffffff, v33
	s_delay_alu instid0(VALU_DEP_3) | instskip(NEXT) | instid1(VALU_DEP_2)
	v_cndmask_b32_e64 v34, v34, v36, s0
	v_cndmask_b32_e64 v33, v33, v35, s1
	s_delay_alu instid0(VALU_DEP_1) | instskip(SKIP_2) | instid1(VALU_DEP_3)
	v_dual_cndmask_b32 v33, v33, v35 :: v_dual_and_b32 v34, 0xff00ffff, v34
	v_cmp_gt_u32_e32 vcc_lo, s31, v37
	v_or_b32_e32 v37, 7, v55
	v_cndmask_b32_e64 v33, v33, v35, s0
	s_delay_alu instid0(VALU_DEP_1) | instskip(NEXT) | instid1(VALU_DEP_1)
	v_dual_cndmask_b32 v34, v34, v36 :: v_dual_cndmask_b32 v33, v33, v35
	v_and_b32_e32 v34, 0xffffff, v34
	s_delay_alu instid0(VALU_DEP_4) | instskip(NEXT) | instid1(VALU_DEP_2)
	v_cmp_gt_u32_e32 vcc_lo, s31, v37
	v_dual_cndmask_b32 v36, v34, v36 :: v_dual_cndmask_b32 v35, v33, v35
.LBB747_387:
	s_delay_alu instid0(VALU_DEP_1) | instskip(SKIP_1) | instid1(VALU_DEP_2)
	v_and_b32_e32 v44, 0xff, v35
	s_waitcnt vmcnt(0) lgkmcnt(0)
	v_alignbit_b32 v33, v36, v35, 24
	v_bfe_u32 v46, v35, 8, 8
	v_bfe_u32 v48, v35, 16, 8
	v_and_b32_e32 v52, 0xff, v36
	v_bfe_u32 v54, v36, 8, 8
	v_and_b32_e32 v50, 0xff, v33
	v_add_nc_u32_e32 v33, v46, v44
	v_mbcnt_lo_u32_b32 v58, -1, 0
	v_bfe_u32 v57, v36, 16, 8
	v_lshrrev_b32_e32 v56, 24, v36
	v_lshrrev_b32_e32 v59, 5, v0
	v_add3_u32 v33, v33, v48, v50
	v_and_b32_e32 v34, 15, v58
	v_and_b32_e32 v37, 16, v58
	s_and_b32 vcc_lo, exec_lo, s12
	s_mov_b32 s7, -1
	v_add3_u32 v33, v33, v52, v54
	v_cmp_eq_u32_e64 s3, 0, v34
	v_cmp_lt_u32_e64 s0, 1, v34
	v_cmp_lt_u32_e64 s4, 3, v34
	v_cmp_lt_u32_e64 s1, 7, v34
	v_add3_u32 v60, v33, v57, v56
	v_or_b32_e32 v33, 31, v0
	v_cmp_eq_u32_e64 s6, 0, v37
	s_barrier
	buffer_gl0_inv
	v_cmp_eq_u32_e64 s5, v33, v0
	s_cbranch_vccz .LBB747_413
; %bb.388:
	v_mov_b32_dpp v33, v60 row_shr:1 row_mask:0xf bank_mask:0xf
	s_delay_alu instid0(VALU_DEP_1) | instskip(NEXT) | instid1(VALU_DEP_1)
	v_cndmask_b32_e64 v33, v33, 0, s3
	v_add_nc_u32_e32 v33, v33, v60
	s_delay_alu instid0(VALU_DEP_1) | instskip(NEXT) | instid1(VALU_DEP_1)
	v_mov_b32_dpp v34, v33 row_shr:2 row_mask:0xf bank_mask:0xf
	v_cndmask_b32_e64 v34, 0, v34, s0
	s_delay_alu instid0(VALU_DEP_1) | instskip(NEXT) | instid1(VALU_DEP_1)
	v_add_nc_u32_e32 v33, v33, v34
	v_mov_b32_dpp v34, v33 row_shr:4 row_mask:0xf bank_mask:0xf
	s_delay_alu instid0(VALU_DEP_1) | instskip(NEXT) | instid1(VALU_DEP_1)
	v_cndmask_b32_e64 v34, 0, v34, s4
	v_add_nc_u32_e32 v33, v33, v34
	s_delay_alu instid0(VALU_DEP_1) | instskip(NEXT) | instid1(VALU_DEP_1)
	v_mov_b32_dpp v34, v33 row_shr:8 row_mask:0xf bank_mask:0xf
	v_cndmask_b32_e64 v34, 0, v34, s1
	s_delay_alu instid0(VALU_DEP_1) | instskip(SKIP_3) | instid1(VALU_DEP_1)
	v_add_nc_u32_e32 v33, v33, v34
	ds_swizzle_b32 v34, v33 offset:swizzle(BROADCAST,32,15)
	s_waitcnt lgkmcnt(0)
	v_cndmask_b32_e64 v34, v34, 0, s6
	v_add_nc_u32_e32 v33, v33, v34
	s_and_saveexec_b32 s7, s5
	s_cbranch_execz .LBB747_390
; %bb.389:
	v_lshlrev_b32_e32 v34, 2, v59
	ds_store_b32 v34, v33
.LBB747_390:
	s_or_b32 exec_lo, exec_lo, s7
	s_delay_alu instid0(SALU_CYCLE_1)
	s_mov_b32 s7, exec_lo
	s_waitcnt lgkmcnt(0)
	s_barrier
	buffer_gl0_inv
	v_cmpx_gt_u32_e32 16, v0
	s_cbranch_execz .LBB747_392
; %bb.391:
	v_lshlrev_b32_e32 v34, 2, v0
	ds_load_b32 v37, v34
	s_waitcnt lgkmcnt(0)
	v_mov_b32_dpp v38, v37 row_shr:1 row_mask:0xf bank_mask:0xf
	s_delay_alu instid0(VALU_DEP_1) | instskip(NEXT) | instid1(VALU_DEP_1)
	v_cndmask_b32_e64 v38, v38, 0, s3
	v_add_nc_u32_e32 v37, v38, v37
	s_delay_alu instid0(VALU_DEP_1) | instskip(NEXT) | instid1(VALU_DEP_1)
	v_mov_b32_dpp v38, v37 row_shr:2 row_mask:0xf bank_mask:0xf
	v_cndmask_b32_e64 v38, 0, v38, s0
	s_delay_alu instid0(VALU_DEP_1) | instskip(NEXT) | instid1(VALU_DEP_1)
	v_add_nc_u32_e32 v37, v37, v38
	v_mov_b32_dpp v38, v37 row_shr:4 row_mask:0xf bank_mask:0xf
	s_delay_alu instid0(VALU_DEP_1) | instskip(NEXT) | instid1(VALU_DEP_1)
	v_cndmask_b32_e64 v38, 0, v38, s4
	v_add_nc_u32_e32 v37, v37, v38
	s_delay_alu instid0(VALU_DEP_1) | instskip(NEXT) | instid1(VALU_DEP_1)
	v_mov_b32_dpp v38, v37 row_shr:8 row_mask:0xf bank_mask:0xf
	v_cndmask_b32_e64 v38, 0, v38, s1
	s_delay_alu instid0(VALU_DEP_1)
	v_add_nc_u32_e32 v37, v37, v38
	ds_store_b32 v34, v37
.LBB747_392:
	s_or_b32 exec_lo, exec_lo, s7
	v_cmp_gt_u32_e32 vcc_lo, 32, v0
	s_mov_b32 s12, exec_lo
	s_waitcnt lgkmcnt(0)
	s_barrier
	buffer_gl0_inv
                                        ; implicit-def: $vgpr43
	v_cmpx_lt_u32_e32 31, v0
	s_cbranch_execz .LBB747_394
; %bb.393:
	v_lshl_add_u32 v34, v59, 2, -4
	ds_load_b32 v43, v34
	s_waitcnt lgkmcnt(0)
	v_add_nc_u32_e32 v33, v43, v33
.LBB747_394:
	s_or_b32 exec_lo, exec_lo, s12
	v_add_nc_u32_e32 v34, -1, v58
	s_delay_alu instid0(VALU_DEP_1) | instskip(NEXT) | instid1(VALU_DEP_1)
	v_cmp_gt_i32_e64 s7, 0, v34
	v_cndmask_b32_e64 v34, v34, v58, s7
	v_cmp_eq_u32_e64 s7, 0, v58
	s_delay_alu instid0(VALU_DEP_2)
	v_lshlrev_b32_e32 v34, 2, v34
	ds_bpermute_b32 v45, v34, v33
	s_and_saveexec_b32 s12, vcc_lo
	s_cbranch_execz .LBB747_412
; %bb.395:
	v_mov_b32_e32 v39, 0
	ds_load_b32 v33, v39 offset:60
	s_and_saveexec_b32 s13, s7
	s_cbranch_execz .LBB747_397
; %bb.396:
	s_add_i32 s14, s30, 32
	s_mov_b32 s15, 0
	v_mov_b32_e32 v34, 1
	s_lshl_b64 s[14:15], s[14:15], 3
	s_delay_alu instid0(SALU_CYCLE_1)
	s_add_u32 s14, s22, s14
	s_addc_u32 s15, s23, s15
	s_waitcnt lgkmcnt(0)
	global_store_b64 v39, v[33:34], s[14:15]
.LBB747_397:
	s_or_b32 exec_lo, exec_lo, s13
	v_xad_u32 v37, v58, -1, s30
	s_mov_b32 s14, 0
	s_mov_b32 s13, exec_lo
	s_delay_alu instid0(VALU_DEP_1) | instskip(NEXT) | instid1(VALU_DEP_1)
	v_add_nc_u32_e32 v38, 32, v37
	v_lshlrev_b64 v[38:39], 3, v[38:39]
	s_delay_alu instid0(VALU_DEP_1) | instskip(NEXT) | instid1(VALU_DEP_2)
	v_add_co_u32 v41, vcc_lo, s22, v38
	v_add_co_ci_u32_e32 v42, vcc_lo, s23, v39, vcc_lo
	global_load_b64 v[39:40], v[41:42], off glc
	s_waitcnt vmcnt(0)
	v_and_b32_e32 v34, 0xff, v40
	s_delay_alu instid0(VALU_DEP_1)
	v_cmpx_eq_u16_e32 0, v34
	s_cbranch_execz .LBB747_400
.LBB747_398:                            ; =>This Inner Loop Header: Depth=1
	global_load_b64 v[39:40], v[41:42], off glc
	s_waitcnt vmcnt(0)
	v_and_b32_e32 v34, 0xff, v40
	s_delay_alu instid0(VALU_DEP_1) | instskip(SKIP_1) | instid1(SALU_CYCLE_1)
	v_cmp_ne_u16_e32 vcc_lo, 0, v34
	s_or_b32 s14, vcc_lo, s14
	s_and_not1_b32 exec_lo, exec_lo, s14
	s_cbranch_execnz .LBB747_398
; %bb.399:
	s_or_b32 exec_lo, exec_lo, s14
.LBB747_400:
	s_delay_alu instid0(SALU_CYCLE_1)
	s_or_b32 exec_lo, exec_lo, s13
	v_cmp_ne_u32_e32 vcc_lo, 31, v58
	v_and_b32_e32 v38, 0xff, v40
	v_lshlrev_b32_e64 v47, v58, -1
	v_add_nc_u32_e32 v51, 2, v58
	v_add_nc_u32_e32 v61, 4, v58
	v_add_co_ci_u32_e32 v34, vcc_lo, 0, v58, vcc_lo
	v_cmp_eq_u16_e32 vcc_lo, 2, v38
	v_add_nc_u32_e32 v64, 8, v58
	v_add_nc_u32_e32 v66, 16, v58
	v_and_or_b32 v38, vcc_lo, v47, 0x80000000
	v_cmp_gt_u32_e32 vcc_lo, 30, v58
	s_delay_alu instid0(VALU_DEP_2) | instskip(SKIP_1) | instid1(VALU_DEP_2)
	v_ctz_i32_b32_e32 v38, v38
	v_cndmask_b32_e64 v42, 0, 1, vcc_lo
	v_cmp_lt_u32_e32 vcc_lo, v58, v38
	v_lshlrev_b32_e32 v34, 2, v34
	s_delay_alu instid0(VALU_DEP_3)
	v_lshlrev_b32_e32 v42, 1, v42
	ds_bpermute_b32 v41, v34, v39
	v_add_lshl_u32 v49, v42, v58, 2
	s_waitcnt lgkmcnt(0)
	v_cndmask_b32_e32 v41, 0, v41, vcc_lo
	v_cmp_gt_u32_e32 vcc_lo, 28, v58
	s_delay_alu instid0(VALU_DEP_2) | instskip(SKIP_4) | instid1(VALU_DEP_1)
	v_add_nc_u32_e32 v39, v41, v39
	v_cndmask_b32_e64 v42, 0, 1, vcc_lo
	v_cmp_le_u32_e32 vcc_lo, v51, v38
	ds_bpermute_b32 v41, v49, v39
	v_lshlrev_b32_e32 v42, 2, v42
	v_add_lshl_u32 v53, v42, v58, 2
	s_waitcnt lgkmcnt(0)
	v_cndmask_b32_e32 v41, 0, v41, vcc_lo
	v_cmp_gt_u32_e32 vcc_lo, 24, v58
	s_delay_alu instid0(VALU_DEP_2) | instskip(SKIP_4) | instid1(VALU_DEP_1)
	v_add_nc_u32_e32 v39, v39, v41
	v_cndmask_b32_e64 v42, 0, 1, vcc_lo
	v_cmp_le_u32_e32 vcc_lo, v61, v38
	ds_bpermute_b32 v41, v53, v39
	v_lshlrev_b32_e32 v42, 3, v42
	v_add_lshl_u32 v63, v42, v58, 2
	s_waitcnt lgkmcnt(0)
	v_cndmask_b32_e32 v41, 0, v41, vcc_lo
	v_cmp_gt_u32_e32 vcc_lo, 16, v58
	s_delay_alu instid0(VALU_DEP_2) | instskip(SKIP_4) | instid1(VALU_DEP_1)
	v_add_nc_u32_e32 v39, v39, v41
	v_cndmask_b32_e64 v42, 0, 1, vcc_lo
	v_cmp_le_u32_e32 vcc_lo, v64, v38
	ds_bpermute_b32 v41, v63, v39
	v_lshlrev_b32_e32 v42, 4, v42
	v_add_lshl_u32 v65, v42, v58, 2
	s_waitcnt lgkmcnt(0)
	v_cndmask_b32_e32 v41, 0, v41, vcc_lo
	v_cmp_le_u32_e32 vcc_lo, v66, v38
	s_delay_alu instid0(VALU_DEP_2) | instskip(SKIP_3) | instid1(VALU_DEP_1)
	v_add_nc_u32_e32 v39, v39, v41
	ds_bpermute_b32 v41, v65, v39
	s_waitcnt lgkmcnt(0)
	v_cndmask_b32_e32 v38, 0, v41, vcc_lo
	v_dual_mov_b32 v38, 0 :: v_dual_add_nc_u32 v39, v39, v38
	s_branch .LBB747_402
.LBB747_401:                            ;   in Loop: Header=BB747_402 Depth=1
	s_or_b32 exec_lo, exec_lo, s13
	ds_bpermute_b32 v42, v34, v39
	v_and_b32_e32 v41, 0xff, v40
	v_subrev_nc_u32_e32 v37, 32, v37
	s_delay_alu instid0(VALU_DEP_2) | instskip(SKIP_1) | instid1(VALU_DEP_1)
	v_cmp_eq_u16_e32 vcc_lo, 2, v41
	v_and_or_b32 v41, vcc_lo, v47, 0x80000000
	v_ctz_i32_b32_e32 v41, v41
	s_delay_alu instid0(VALU_DEP_1) | instskip(SKIP_3) | instid1(VALU_DEP_2)
	v_cmp_lt_u32_e32 vcc_lo, v58, v41
	s_waitcnt lgkmcnt(0)
	v_cndmask_b32_e32 v42, 0, v42, vcc_lo
	v_cmp_le_u32_e32 vcc_lo, v51, v41
	v_add_nc_u32_e32 v39, v42, v39
	ds_bpermute_b32 v42, v49, v39
	s_waitcnt lgkmcnt(0)
	v_cndmask_b32_e32 v42, 0, v42, vcc_lo
	v_cmp_le_u32_e32 vcc_lo, v61, v41
	s_delay_alu instid0(VALU_DEP_2) | instskip(SKIP_4) | instid1(VALU_DEP_2)
	v_add_nc_u32_e32 v39, v39, v42
	ds_bpermute_b32 v42, v53, v39
	s_waitcnt lgkmcnt(0)
	v_cndmask_b32_e32 v42, 0, v42, vcc_lo
	v_cmp_le_u32_e32 vcc_lo, v64, v41
	v_add_nc_u32_e32 v39, v39, v42
	ds_bpermute_b32 v42, v63, v39
	s_waitcnt lgkmcnt(0)
	v_cndmask_b32_e32 v42, 0, v42, vcc_lo
	v_cmp_le_u32_e32 vcc_lo, v66, v41
	s_delay_alu instid0(VALU_DEP_2) | instskip(SKIP_3) | instid1(VALU_DEP_1)
	v_add_nc_u32_e32 v39, v39, v42
	ds_bpermute_b32 v42, v65, v39
	s_waitcnt lgkmcnt(0)
	v_cndmask_b32_e32 v41, 0, v42, vcc_lo
	v_add3_u32 v39, v41, v62, v39
.LBB747_402:                            ; =>This Loop Header: Depth=1
                                        ;     Child Loop BB747_405 Depth 2
	v_and_b32_e32 v40, 0xff, v40
	s_delay_alu instid0(VALU_DEP_2) | instskip(NEXT) | instid1(VALU_DEP_2)
	v_mov_b32_e32 v62, v39
	v_cmp_ne_u16_e32 vcc_lo, 2, v40
	v_cndmask_b32_e64 v40, 0, 1, vcc_lo
	;;#ASMSTART
	;;#ASMEND
	s_delay_alu instid0(VALU_DEP_1)
	v_cmp_ne_u32_e32 vcc_lo, 0, v40
	s_cmp_lg_u32 vcc_lo, exec_lo
	s_cbranch_scc1 .LBB747_407
; %bb.403:                              ;   in Loop: Header=BB747_402 Depth=1
	v_lshlrev_b64 v[39:40], 3, v[37:38]
	s_mov_b32 s13, exec_lo
	s_delay_alu instid0(VALU_DEP_1) | instskip(NEXT) | instid1(VALU_DEP_2)
	v_add_co_u32 v41, vcc_lo, s22, v39
	v_add_co_ci_u32_e32 v42, vcc_lo, s23, v40, vcc_lo
	global_load_b64 v[39:40], v[41:42], off glc
	s_waitcnt vmcnt(0)
	v_and_b32_e32 v67, 0xff, v40
	s_delay_alu instid0(VALU_DEP_1)
	v_cmpx_eq_u16_e32 0, v67
	s_cbranch_execz .LBB747_401
; %bb.404:                              ;   in Loop: Header=BB747_402 Depth=1
	s_mov_b32 s14, 0
.LBB747_405:                            ;   Parent Loop BB747_402 Depth=1
                                        ; =>  This Inner Loop Header: Depth=2
	global_load_b64 v[39:40], v[41:42], off glc
	s_waitcnt vmcnt(0)
	v_and_b32_e32 v67, 0xff, v40
	s_delay_alu instid0(VALU_DEP_1) | instskip(SKIP_1) | instid1(SALU_CYCLE_1)
	v_cmp_ne_u16_e32 vcc_lo, 0, v67
	s_or_b32 s14, vcc_lo, s14
	s_and_not1_b32 exec_lo, exec_lo, s14
	s_cbranch_execnz .LBB747_405
; %bb.406:                              ;   in Loop: Header=BB747_402 Depth=1
	s_or_b32 exec_lo, exec_lo, s14
	s_branch .LBB747_401
.LBB747_407:                            ;   in Loop: Header=BB747_402 Depth=1
                                        ; implicit-def: $vgpr39
                                        ; implicit-def: $vgpr40
	s_cbranch_execz .LBB747_402
; %bb.408:
	s_and_saveexec_b32 s13, s7
	s_cbranch_execz .LBB747_410
; %bb.409:
	s_add_i32 s14, s30, 32
	s_mov_b32 s15, 0
	v_dual_mov_b32 v38, 2 :: v_dual_add_nc_u32 v37, v62, v33
	s_lshl_b64 s[14:15], s[14:15], 3
	v_mov_b32_e32 v34, 0
	v_add_nc_u32_e64 v39, 0x8400, 0
	s_add_u32 s14, s22, s14
	s_addc_u32 s15, s23, s15
	global_store_b64 v34, v[37:38], s[14:15]
	ds_store_2addr_b32 v39, v33, v62 offset1:2
.LBB747_410:
	s_or_b32 exec_lo, exec_lo, s13
	s_delay_alu instid0(SALU_CYCLE_1)
	s_and_b32 exec_lo, exec_lo, s2
	s_cbranch_execz .LBB747_412
; %bb.411:
	v_mov_b32_e32 v33, 0
	ds_store_b32 v33, v62 offset:60
.LBB747_412:
	s_or_b32 exec_lo, exec_lo, s12
	v_mov_b32_e32 v33, 0
	s_waitcnt lgkmcnt(0)
	s_waitcnt_vscnt null, 0x0
	s_barrier
	buffer_gl0_inv
	v_cndmask_b32_e64 v34, v45, v43, s7
	ds_load_b32 v33, v33 offset:60
	s_waitcnt lgkmcnt(0)
	s_barrier
	buffer_gl0_inv
	v_cndmask_b32_e64 v34, v34, 0, s2
	s_delay_alu instid0(VALU_DEP_1) | instskip(SKIP_1) | instid1(VALU_DEP_2)
	v_add_nc_u32_e32 v53, v33, v34
	v_add_nc_u32_e64 v33, 0x8400, 0
	v_add_nc_u32_e32 v51, v53, v44
	ds_load_2addr_b32 v[33:34], v33 offset1:2
	v_add_nc_u32_e32 v49, v51, v46
	s_delay_alu instid0(VALU_DEP_1) | instskip(NEXT) | instid1(VALU_DEP_1)
	v_add_nc_u32_e32 v47, v49, v48
	v_add_nc_u32_e32 v45, v47, v50
	s_delay_alu instid0(VALU_DEP_1) | instskip(SKIP_2) | instid1(VALU_DEP_2)
	v_add_nc_u32_e32 v43, v45, v52
	s_waitcnt lgkmcnt(0)
	v_readfirstlane_b32 s12, v34
	v_add_nc_u32_e32 v41, v43, v54
	s_delay_alu instid0(VALU_DEP_1)
	v_add_nc_u32_e32 v39, v41, v57
	v_lshrrev_b64 v[37:38], 24, v[35:36]
	s_branch .LBB747_423
.LBB747_413:
                                        ; implicit-def: $vgpr39
                                        ; implicit-def: $vgpr41
                                        ; implicit-def: $vgpr43
                                        ; implicit-def: $vgpr45
                                        ; implicit-def: $vgpr47
                                        ; implicit-def: $vgpr49
                                        ; implicit-def: $vgpr51
                                        ; implicit-def: $vgpr53
                                        ; implicit-def: $sgpr12
                                        ; implicit-def: $vgpr33
	v_lshrrev_b64 v[37:38], 24, v[35:36]
	s_and_b32 vcc_lo, exec_lo, s7
	s_cbranch_vccz .LBB747_423
; %bb.414:
	v_mov_b32_dpp v33, v60 row_shr:1 row_mask:0xf bank_mask:0xf
	s_delay_alu instid0(VALU_DEP_1) | instskip(NEXT) | instid1(VALU_DEP_1)
	v_cndmask_b32_e64 v33, v33, 0, s3
	v_add_nc_u32_e32 v33, v33, v60
	s_delay_alu instid0(VALU_DEP_1) | instskip(NEXT) | instid1(VALU_DEP_1)
	v_mov_b32_dpp v34, v33 row_shr:2 row_mask:0xf bank_mask:0xf
	v_cndmask_b32_e64 v34, 0, v34, s0
	s_delay_alu instid0(VALU_DEP_1) | instskip(NEXT) | instid1(VALU_DEP_1)
	v_add_nc_u32_e32 v33, v33, v34
	v_mov_b32_dpp v34, v33 row_shr:4 row_mask:0xf bank_mask:0xf
	s_delay_alu instid0(VALU_DEP_1) | instskip(NEXT) | instid1(VALU_DEP_1)
	v_cndmask_b32_e64 v34, 0, v34, s4
	v_add_nc_u32_e32 v33, v33, v34
	s_delay_alu instid0(VALU_DEP_1) | instskip(NEXT) | instid1(VALU_DEP_1)
	v_mov_b32_dpp v34, v33 row_shr:8 row_mask:0xf bank_mask:0xf
	v_cndmask_b32_e64 v34, 0, v34, s1
	s_delay_alu instid0(VALU_DEP_1) | instskip(SKIP_3) | instid1(VALU_DEP_1)
	v_add_nc_u32_e32 v33, v33, v34
	ds_swizzle_b32 v34, v33 offset:swizzle(BROADCAST,32,15)
	s_waitcnt lgkmcnt(0)
	v_cndmask_b32_e64 v34, v34, 0, s6
	v_add_nc_u32_e32 v33, v33, v34
	s_and_saveexec_b32 s6, s5
	s_cbranch_execz .LBB747_416
; %bb.415:
	v_lshlrev_b32_e32 v34, 2, v59
	ds_store_b32 v34, v33
.LBB747_416:
	s_or_b32 exec_lo, exec_lo, s6
	s_delay_alu instid0(SALU_CYCLE_1)
	s_mov_b32 s5, exec_lo
	s_waitcnt lgkmcnt(0)
	s_barrier
	buffer_gl0_inv
	v_cmpx_gt_u32_e32 16, v0
	s_cbranch_execz .LBB747_418
; %bb.417:
	v_lshlrev_b32_e32 v34, 2, v0
	ds_load_b32 v38, v34
	s_waitcnt lgkmcnt(0)
	v_mov_b32_dpp v39, v38 row_shr:1 row_mask:0xf bank_mask:0xf
	s_delay_alu instid0(VALU_DEP_1) | instskip(NEXT) | instid1(VALU_DEP_1)
	v_cndmask_b32_e64 v39, v39, 0, s3
	v_add_nc_u32_e32 v38, v39, v38
	s_delay_alu instid0(VALU_DEP_1) | instskip(NEXT) | instid1(VALU_DEP_1)
	v_mov_b32_dpp v39, v38 row_shr:2 row_mask:0xf bank_mask:0xf
	v_cndmask_b32_e64 v39, 0, v39, s0
	s_delay_alu instid0(VALU_DEP_1) | instskip(NEXT) | instid1(VALU_DEP_1)
	v_add_nc_u32_e32 v38, v38, v39
	v_mov_b32_dpp v39, v38 row_shr:4 row_mask:0xf bank_mask:0xf
	s_delay_alu instid0(VALU_DEP_1) | instskip(NEXT) | instid1(VALU_DEP_1)
	v_cndmask_b32_e64 v39, 0, v39, s4
	v_add_nc_u32_e32 v38, v38, v39
	s_delay_alu instid0(VALU_DEP_1) | instskip(NEXT) | instid1(VALU_DEP_1)
	v_mov_b32_dpp v39, v38 row_shr:8 row_mask:0xf bank_mask:0xf
	v_cndmask_b32_e64 v39, 0, v39, s1
	s_delay_alu instid0(VALU_DEP_1)
	v_add_nc_u32_e32 v38, v38, v39
	ds_store_b32 v34, v38
.LBB747_418:
	s_or_b32 exec_lo, exec_lo, s5
	v_mov_b32_e32 v34, 0
	v_mov_b32_e32 v38, 0
	s_mov_b32 s0, exec_lo
	s_waitcnt lgkmcnt(0)
	s_barrier
	buffer_gl0_inv
	v_cmpx_lt_u32_e32 31, v0
	s_cbranch_execz .LBB747_420
; %bb.419:
	v_lshl_add_u32 v38, v59, 2, -4
	ds_load_b32 v38, v38
.LBB747_420:
	s_or_b32 exec_lo, exec_lo, s0
	v_add_nc_u32_e32 v39, -1, v58
	s_waitcnt lgkmcnt(0)
	v_add_nc_u32_e32 v33, v38, v33
	s_mov_b32 s12, 0
	s_delay_alu instid0(VALU_DEP_2) | instskip(SKIP_1) | instid1(VALU_DEP_1)
	v_cmp_gt_i32_e32 vcc_lo, 0, v39
	v_cndmask_b32_e32 v39, v39, v58, vcc_lo
	v_lshlrev_b32_e32 v39, 2, v39
	ds_bpermute_b32 v39, v39, v33
	ds_load_b32 v33, v34 offset:60
	s_and_saveexec_b32 s0, s2
	s_cbranch_execz .LBB747_422
; %bb.421:
	v_mov_b32_e32 v40, 0
	v_mov_b32_e32 v34, 2
	s_waitcnt lgkmcnt(0)
	global_store_b64 v40, v[33:34], s[22:23] offset:256
.LBB747_422:
	s_or_b32 exec_lo, exec_lo, s0
	v_cmp_eq_u32_e32 vcc_lo, 0, v58
	s_waitcnt lgkmcnt(0)
	s_waitcnt_vscnt null, 0x0
	s_barrier
	buffer_gl0_inv
	v_cndmask_b32_e32 v34, v39, v38, vcc_lo
	s_delay_alu instid0(VALU_DEP_1) | instskip(NEXT) | instid1(VALU_DEP_1)
	v_cndmask_b32_e64 v53, v34, 0, s2
	v_add_nc_u32_e32 v51, v53, v44
	s_delay_alu instid0(VALU_DEP_1) | instskip(NEXT) | instid1(VALU_DEP_1)
	v_add_nc_u32_e32 v49, v51, v46
	v_add_nc_u32_e32 v47, v49, v48
	s_delay_alu instid0(VALU_DEP_1) | instskip(NEXT) | instid1(VALU_DEP_1)
	v_add_nc_u32_e32 v45, v47, v50
	;; [unrolled: 3-line block ×3, first 2 shown]
	v_add_nc_u32_e32 v39, v41, v57
.LBB747_423:
	v_add_nc_u32_e32 v59, s12, v33
	v_cmp_gt_u32_e64 s0, 0x201, v33
	v_lshrrev_b32_e32 v58, 8, v35
	v_lshrrev_b32_e32 v57, 16, v35
	;; [unrolled: 1-line block ×4, first 2 shown]
	v_cmp_lt_u32_e64 s1, v53, v59
	s_and_b32 vcc_lo, exec_lo, s0
	s_mov_b32 s3, -1
	s_cbranch_vccz .LBB747_449
; %bb.424:
	s_delay_alu instid0(VALU_DEP_1) | instskip(NEXT) | instid1(SALU_CYCLE_1)
	s_or_b32 s3, s29, s1
	s_and_saveexec_b32 s1, s3
	s_cbranch_execz .LBB747_427
; %bb.425:
	v_and_b32_e32 v40, 1, v35
	s_delay_alu instid0(VALU_DEP_1)
	v_cmp_eq_u32_e32 vcc_lo, 1, v40
	s_and_b32 exec_lo, exec_lo, vcc_lo
	s_cbranch_execz .LBB747_427
; %bb.426:
	v_mov_b32_e32 v54, 0
	s_lshl_b64 s[4:5], s[10:11], 3
	s_delay_alu instid0(SALU_CYCLE_1) | instskip(SKIP_1) | instid1(VALU_DEP_1)
	s_add_u32 s3, s16, s4
	s_addc_u32 s4, s17, s5
	v_lshlrev_b64 v[60:61], 3, v[53:54]
	s_delay_alu instid0(VALU_DEP_1) | instskip(NEXT) | instid1(VALU_DEP_2)
	v_add_co_u32 v60, vcc_lo, s3, v60
	v_add_co_ci_u32_e32 v61, vcc_lo, s4, v61, vcc_lo
	global_store_b64 v[60:61], v[29:30], off
.LBB747_427:
	s_or_b32 exec_lo, exec_lo, s1
	v_cmp_lt_u32_e32 vcc_lo, v51, v59
	s_or_b32 s3, s29, vcc_lo
	s_delay_alu instid0(SALU_CYCLE_1)
	s_and_saveexec_b32 s1, s3
	s_cbranch_execz .LBB747_430
; %bb.428:
	v_and_b32_e32 v40, 1, v58
	s_delay_alu instid0(VALU_DEP_1)
	v_cmp_eq_u32_e32 vcc_lo, 1, v40
	s_and_b32 exec_lo, exec_lo, vcc_lo
	s_cbranch_execz .LBB747_430
; %bb.429:
	v_mov_b32_e32 v52, 0
	s_lshl_b64 s[4:5], s[10:11], 3
	s_delay_alu instid0(SALU_CYCLE_1) | instskip(SKIP_1) | instid1(VALU_DEP_1)
	s_add_u32 s3, s16, s4
	s_addc_u32 s4, s17, s5
	v_lshlrev_b64 v[60:61], 3, v[51:52]
	s_delay_alu instid0(VALU_DEP_1) | instskip(NEXT) | instid1(VALU_DEP_2)
	v_add_co_u32 v60, vcc_lo, s3, v60
	v_add_co_ci_u32_e32 v61, vcc_lo, s4, v61, vcc_lo
	global_store_b64 v[60:61], v[31:32], off
.LBB747_430:
	s_or_b32 exec_lo, exec_lo, s1
	v_cmp_lt_u32_e32 vcc_lo, v49, v59
	s_or_b32 s3, s29, vcc_lo
	s_delay_alu instid0(SALU_CYCLE_1)
	s_and_saveexec_b32 s1, s3
	s_cbranch_execz .LBB747_433
; %bb.431:
	v_and_b32_e32 v40, 1, v57
	s_delay_alu instid0(VALU_DEP_1)
	v_cmp_eq_u32_e32 vcc_lo, 1, v40
	s_and_b32 exec_lo, exec_lo, vcc_lo
	s_cbranch_execz .LBB747_433
; %bb.432:
	v_mov_b32_e32 v50, 0
	s_lshl_b64 s[4:5], s[10:11], 3
	s_delay_alu instid0(SALU_CYCLE_1) | instskip(SKIP_1) | instid1(VALU_DEP_1)
	s_add_u32 s3, s16, s4
	s_addc_u32 s4, s17, s5
	v_lshlrev_b64 v[60:61], 3, v[49:50]
	s_delay_alu instid0(VALU_DEP_1) | instskip(NEXT) | instid1(VALU_DEP_2)
	v_add_co_u32 v60, vcc_lo, s3, v60
	v_add_co_ci_u32_e32 v61, vcc_lo, s4, v61, vcc_lo
	global_store_b64 v[60:61], v[25:26], off
.LBB747_433:
	s_or_b32 exec_lo, exec_lo, s1
	v_cmp_lt_u32_e32 vcc_lo, v47, v59
	s_or_b32 s3, s29, vcc_lo
	s_delay_alu instid0(SALU_CYCLE_1)
	s_and_saveexec_b32 s1, s3
	s_cbranch_execz .LBB747_436
; %bb.434:
	v_and_b32_e32 v40, 1, v37
	s_delay_alu instid0(VALU_DEP_1)
	v_cmp_eq_u32_e32 vcc_lo, 1, v40
	s_and_b32 exec_lo, exec_lo, vcc_lo
	s_cbranch_execz .LBB747_436
; %bb.435:
	v_mov_b32_e32 v48, 0
	s_lshl_b64 s[4:5], s[10:11], 3
	s_delay_alu instid0(SALU_CYCLE_1) | instskip(SKIP_1) | instid1(VALU_DEP_1)
	s_add_u32 s3, s16, s4
	s_addc_u32 s4, s17, s5
	v_lshlrev_b64 v[60:61], 3, v[47:48]
	s_delay_alu instid0(VALU_DEP_1) | instskip(NEXT) | instid1(VALU_DEP_2)
	v_add_co_u32 v60, vcc_lo, s3, v60
	v_add_co_ci_u32_e32 v61, vcc_lo, s4, v61, vcc_lo
	global_store_b64 v[60:61], v[27:28], off
.LBB747_436:
	s_or_b32 exec_lo, exec_lo, s1
	v_cmp_lt_u32_e32 vcc_lo, v45, v59
	s_or_b32 s3, s29, vcc_lo
	s_delay_alu instid0(SALU_CYCLE_1)
	s_and_saveexec_b32 s1, s3
	s_cbranch_execz .LBB747_439
; %bb.437:
	v_and_b32_e32 v40, 1, v36
	s_delay_alu instid0(VALU_DEP_1)
	v_cmp_eq_u32_e32 vcc_lo, 1, v40
	s_and_b32 exec_lo, exec_lo, vcc_lo
	s_cbranch_execz .LBB747_439
; %bb.438:
	v_mov_b32_e32 v46, 0
	s_lshl_b64 s[4:5], s[10:11], 3
	s_delay_alu instid0(SALU_CYCLE_1) | instskip(SKIP_1) | instid1(VALU_DEP_1)
	s_add_u32 s3, s16, s4
	s_addc_u32 s4, s17, s5
	v_lshlrev_b64 v[60:61], 3, v[45:46]
	s_delay_alu instid0(VALU_DEP_1) | instskip(NEXT) | instid1(VALU_DEP_2)
	v_add_co_u32 v60, vcc_lo, s3, v60
	v_add_co_ci_u32_e32 v61, vcc_lo, s4, v61, vcc_lo
	global_store_b64 v[60:61], v[21:22], off
.LBB747_439:
	s_or_b32 exec_lo, exec_lo, s1
	v_cmp_lt_u32_e32 vcc_lo, v43, v59
	s_or_b32 s3, s29, vcc_lo
	s_delay_alu instid0(SALU_CYCLE_1)
	s_and_saveexec_b32 s1, s3
	s_cbranch_execz .LBB747_442
; %bb.440:
	v_and_b32_e32 v40, 1, v38
	s_delay_alu instid0(VALU_DEP_1)
	v_cmp_eq_u32_e32 vcc_lo, 1, v40
	s_and_b32 exec_lo, exec_lo, vcc_lo
	s_cbranch_execz .LBB747_442
; %bb.441:
	v_mov_b32_e32 v44, 0
	s_lshl_b64 s[4:5], s[10:11], 3
	s_delay_alu instid0(SALU_CYCLE_1) | instskip(SKIP_1) | instid1(VALU_DEP_1)
	s_add_u32 s3, s16, s4
	s_addc_u32 s4, s17, s5
	v_lshlrev_b64 v[60:61], 3, v[43:44]
	s_delay_alu instid0(VALU_DEP_1) | instskip(NEXT) | instid1(VALU_DEP_2)
	v_add_co_u32 v60, vcc_lo, s3, v60
	v_add_co_ci_u32_e32 v61, vcc_lo, s4, v61, vcc_lo
	global_store_b64 v[60:61], v[23:24], off
.LBB747_442:
	s_or_b32 exec_lo, exec_lo, s1
	v_cmp_lt_u32_e32 vcc_lo, v41, v59
	s_or_b32 s3, s29, vcc_lo
	s_delay_alu instid0(SALU_CYCLE_1)
	s_and_saveexec_b32 s1, s3
	s_cbranch_execz .LBB747_445
; %bb.443:
	v_and_b32_e32 v40, 1, v34
	s_delay_alu instid0(VALU_DEP_1)
	v_cmp_eq_u32_e32 vcc_lo, 1, v40
	s_and_b32 exec_lo, exec_lo, vcc_lo
	s_cbranch_execz .LBB747_445
; %bb.444:
	v_mov_b32_e32 v42, 0
	s_lshl_b64 s[4:5], s[10:11], 3
	s_delay_alu instid0(SALU_CYCLE_1) | instskip(SKIP_1) | instid1(VALU_DEP_1)
	s_add_u32 s3, s16, s4
	s_addc_u32 s4, s17, s5
	v_lshlrev_b64 v[60:61], 3, v[41:42]
	s_delay_alu instid0(VALU_DEP_1) | instskip(NEXT) | instid1(VALU_DEP_2)
	v_add_co_u32 v60, vcc_lo, s3, v60
	v_add_co_ci_u32_e32 v61, vcc_lo, s4, v61, vcc_lo
	global_store_b64 v[60:61], v[17:18], off
.LBB747_445:
	s_or_b32 exec_lo, exec_lo, s1
	v_cmp_lt_u32_e32 vcc_lo, v39, v59
	s_or_b32 s3, s29, vcc_lo
	s_delay_alu instid0(SALU_CYCLE_1)
	s_and_saveexec_b32 s1, s3
	s_cbranch_execz .LBB747_448
; %bb.446:
	v_and_b32_e32 v40, 1, v56
	s_delay_alu instid0(VALU_DEP_1)
	v_cmp_eq_u32_e32 vcc_lo, 1, v40
	s_and_b32 exec_lo, exec_lo, vcc_lo
	s_cbranch_execz .LBB747_448
; %bb.447:
	v_mov_b32_e32 v40, 0
	s_lshl_b64 s[4:5], s[10:11], 3
	s_delay_alu instid0(SALU_CYCLE_1) | instskip(SKIP_1) | instid1(VALU_DEP_1)
	s_add_u32 s3, s16, s4
	s_addc_u32 s4, s17, s5
	v_lshlrev_b64 v[60:61], 3, v[39:40]
	s_delay_alu instid0(VALU_DEP_1) | instskip(NEXT) | instid1(VALU_DEP_2)
	v_add_co_u32 v60, vcc_lo, s3, v60
	v_add_co_ci_u32_e32 v61, vcc_lo, s4, v61, vcc_lo
	global_store_b64 v[60:61], v[19:20], off
.LBB747_448:
	s_or_b32 exec_lo, exec_lo, s1
	s_mov_b32 s3, 0
.LBB747_449:
	v_and_b32_e32 v35, 1, v35
	s_and_b32 vcc_lo, exec_lo, s3
	s_delay_alu instid0(VALU_DEP_1)
	v_cmp_eq_u32_e64 s1, 1, v35
	s_cbranch_vccz .LBB747_470
; %bb.450:
	s_delay_alu instid0(VALU_DEP_1)
	s_and_saveexec_b32 s3, s1
	s_cbranch_execz .LBB747_452
; %bb.451:
	v_subrev_nc_u32_e32 v40, s12, v53
	s_delay_alu instid0(VALU_DEP_1)
	v_lshlrev_b32_e32 v40, 3, v40
	ds_store_b64 v40, v[29:30]
.LBB747_452:
	s_or_b32 exec_lo, exec_lo, s3
	v_and_b32_e32 v29, 1, v58
	s_mov_b32 s1, exec_lo
	s_delay_alu instid0(VALU_DEP_1)
	v_cmpx_eq_u32_e32 1, v29
	s_cbranch_execz .LBB747_454
; %bb.453:
	v_subrev_nc_u32_e32 v29, s12, v51
	s_delay_alu instid0(VALU_DEP_1)
	v_lshlrev_b32_e32 v29, 3, v29
	ds_store_b64 v29, v[31:32]
.LBB747_454:
	s_or_b32 exec_lo, exec_lo, s1
	v_and_b32_e32 v29, 1, v57
	s_mov_b32 s1, exec_lo
	s_delay_alu instid0(VALU_DEP_1)
	v_cmpx_eq_u32_e32 1, v29
	;; [unrolled: 12-line block ×7, first 2 shown]
	s_cbranch_execz .LBB747_466
; %bb.465:
	v_subrev_nc_u32_e32 v17, s12, v39
	s_delay_alu instid0(VALU_DEP_1)
	v_lshlrev_b32_e32 v17, 3, v17
	ds_store_b64 v17, v[19:20]
.LBB747_466:
	s_or_b32 exec_lo, exec_lo, s1
	s_delay_alu instid0(SALU_CYCLE_1)
	s_mov_b32 s3, exec_lo
	s_waitcnt lgkmcnt(0)
	s_waitcnt_vscnt null, 0x0
	s_barrier
	buffer_gl0_inv
	v_cmpx_lt_u32_e64 v0, v33
	s_cbranch_execz .LBB747_469
; %bb.467:
	s_mov_b32 s13, 0
	s_lshl_b64 s[4:5], s[10:11], 3
	s_lshl_b64 s[6:7], s[12:13], 3
	v_dual_mov_b32 v19, v55 :: v_dual_mov_b32 v20, v0
	s_add_u32 s1, s4, s6
	s_addc_u32 s4, s5, s7
	s_add_u32 s1, s16, s1
	s_addc_u32 s4, s17, s4
	v_add_co_u32 v17, s1, s1, v55
	s_delay_alu instid0(VALU_DEP_1)
	v_add_co_ci_u32_e64 v18, null, s4, 0, s1
	.p2align	6
.LBB747_468:                            ; =>This Inner Loop Header: Depth=1
	ds_load_b64 v[21:22], v19
	v_add_nc_u32_e32 v20, 0x200, v20
	v_add_nc_u32_e32 v19, 0x1000, v19
	s_delay_alu instid0(VALU_DEP_2) | instskip(SKIP_4) | instid1(VALU_DEP_1)
	v_cmp_ge_u32_e32 vcc_lo, v20, v33
	s_or_b32 s13, vcc_lo, s13
	s_waitcnt lgkmcnt(0)
	global_store_b64 v[17:18], v[21:22], off
	v_add_co_u32 v17, s1, 0x1000, v17
	v_add_co_ci_u32_e64 v18, s1, 0, v18, s1
	s_and_not1_b32 exec_lo, exec_lo, s13
	s_cbranch_execnz .LBB747_468
.LBB747_469:
	s_or_b32 exec_lo, exec_lo, s3
.LBB747_470:
	s_delay_alu instid0(SALU_CYCLE_1)
	s_and_b32 vcc_lo, exec_lo, s0
	s_mov_b32 s0, -1
	s_waitcnt_vscnt null, 0x0
	s_barrier
	buffer_gl0_inv
	s_cbranch_vccz .LBB747_498
; %bb.471:
	v_cmp_lt_u32_e32 vcc_lo, v53, v59
	s_or_b32 s1, s29, vcc_lo
	s_delay_alu instid0(SALU_CYCLE_1)
	s_and_saveexec_b32 s0, s1
	s_cbranch_execz .LBB747_474
; %bb.472:
	v_cmp_eq_u32_e32 vcc_lo, 1, v35
	s_and_b32 exec_lo, exec_lo, vcc_lo
	s_cbranch_execz .LBB747_474
; %bb.473:
	v_mov_b32_e32 v54, 0
	s_lshl_b64 s[4:5], s[10:11], 3
	s_delay_alu instid0(SALU_CYCLE_1) | instskip(SKIP_1) | instid1(VALU_DEP_1)
	s_add_u32 s1, s18, s4
	s_addc_u32 s3, s19, s5
	v_lshlrev_b64 v[17:18], 3, v[53:54]
	s_delay_alu instid0(VALU_DEP_1) | instskip(NEXT) | instid1(VALU_DEP_2)
	v_add_co_u32 v17, vcc_lo, s1, v17
	v_add_co_ci_u32_e32 v18, vcc_lo, s3, v18, vcc_lo
	global_store_b64 v[17:18], v[13:14], off
.LBB747_474:
	s_or_b32 exec_lo, exec_lo, s0
	v_cmp_lt_u32_e32 vcc_lo, v51, v59
	s_or_b32 s1, s29, vcc_lo
	s_delay_alu instid0(SALU_CYCLE_1)
	s_and_saveexec_b32 s0, s1
	s_cbranch_execz .LBB747_477
; %bb.475:
	v_and_b32_e32 v17, 1, v58
	s_delay_alu instid0(VALU_DEP_1)
	v_cmp_eq_u32_e32 vcc_lo, 1, v17
	s_and_b32 exec_lo, exec_lo, vcc_lo
	s_cbranch_execz .LBB747_477
; %bb.476:
	v_mov_b32_e32 v52, 0
	s_lshl_b64 s[4:5], s[10:11], 3
	s_delay_alu instid0(SALU_CYCLE_1) | instskip(SKIP_1) | instid1(VALU_DEP_1)
	s_add_u32 s1, s18, s4
	s_addc_u32 s3, s19, s5
	v_lshlrev_b64 v[17:18], 3, v[51:52]
	s_delay_alu instid0(VALU_DEP_1) | instskip(NEXT) | instid1(VALU_DEP_2)
	v_add_co_u32 v17, vcc_lo, s1, v17
	v_add_co_ci_u32_e32 v18, vcc_lo, s3, v18, vcc_lo
	global_store_b64 v[17:18], v[15:16], off
.LBB747_477:
	s_or_b32 exec_lo, exec_lo, s0
	v_cmp_lt_u32_e32 vcc_lo, v49, v59
	s_or_b32 s1, s29, vcc_lo
	s_delay_alu instid0(SALU_CYCLE_1)
	s_and_saveexec_b32 s0, s1
	s_cbranch_execz .LBB747_480
; %bb.478:
	v_and_b32_e32 v17, 1, v57
	s_delay_alu instid0(VALU_DEP_1)
	v_cmp_eq_u32_e32 vcc_lo, 1, v17
	s_and_b32 exec_lo, exec_lo, vcc_lo
	s_cbranch_execz .LBB747_480
; %bb.479:
	v_mov_b32_e32 v50, 0
	s_lshl_b64 s[4:5], s[10:11], 3
	s_delay_alu instid0(SALU_CYCLE_1) | instskip(SKIP_1) | instid1(VALU_DEP_1)
	s_add_u32 s1, s18, s4
	s_addc_u32 s3, s19, s5
	v_lshlrev_b64 v[17:18], 3, v[49:50]
	s_delay_alu instid0(VALU_DEP_1) | instskip(NEXT) | instid1(VALU_DEP_2)
	v_add_co_u32 v17, vcc_lo, s1, v17
	v_add_co_ci_u32_e32 v18, vcc_lo, s3, v18, vcc_lo
	global_store_b64 v[17:18], v[9:10], off
.LBB747_480:
	;; [unrolled: 24-line block ×7, first 2 shown]
	s_or_b32 exec_lo, exec_lo, s0
.LBB747_496:
	s_and_b32 s0, s2, s28
	s_delay_alu instid0(SALU_CYCLE_1)
	s_and_saveexec_b32 s1, s0
	s_cbranch_execz .LBB747_519
.LBB747_497:
	v_add_co_u32 v0, s0, s10, v33
	s_delay_alu instid0(VALU_DEP_1) | instskip(SKIP_1) | instid1(VALU_DEP_3)
	v_add_co_ci_u32_e64 v1, null, s11, 0, s0
	v_mov_b32_e32 v2, 0
	v_add_co_u32 v0, vcc_lo, v0, s12
	s_delay_alu instid0(VALU_DEP_3)
	v_add_co_ci_u32_e32 v1, vcc_lo, 0, v1, vcc_lo
	global_store_b64 v2, v[0:1], s[8:9]
	s_nop 0
	s_sendmsg sendmsg(MSG_DEALLOC_VGPRS)
	s_endpgm
.LBB747_498:
	s_and_b32 vcc_lo, exec_lo, s0
	s_cbranch_vccz .LBB747_496
; %bb.499:
	s_mov_b32 s0, exec_lo
	v_cmpx_eq_u32_e32 1, v35
	s_cbranch_execz .LBB747_501
; %bb.500:
	v_subrev_nc_u32_e32 v17, s12, v53
	s_delay_alu instid0(VALU_DEP_1)
	v_lshlrev_b32_e32 v17, 3, v17
	ds_store_b64 v17, v[13:14]
.LBB747_501:
	s_or_b32 exec_lo, exec_lo, s0
	v_and_b32_e32 v13, 1, v58
	s_mov_b32 s0, exec_lo
	s_delay_alu instid0(VALU_DEP_1)
	v_cmpx_eq_u32_e32 1, v13
	s_cbranch_execz .LBB747_503
; %bb.502:
	v_subrev_nc_u32_e32 v13, s12, v51
	s_delay_alu instid0(VALU_DEP_1)
	v_lshlrev_b32_e32 v13, 3, v13
	ds_store_b64 v13, v[15:16]
.LBB747_503:
	s_or_b32 exec_lo, exec_lo, s0
	v_and_b32_e32 v13, 1, v57
	s_mov_b32 s0, exec_lo
	s_delay_alu instid0(VALU_DEP_1)
	;; [unrolled: 12-line block ×7, first 2 shown]
	v_cmpx_eq_u32_e32 1, v1
	s_cbranch_execz .LBB747_515
; %bb.514:
	v_subrev_nc_u32_e32 v1, s12, v39
	s_delay_alu instid0(VALU_DEP_1)
	v_lshlrev_b32_e32 v1, 3, v1
	ds_store_b64 v1, v[3:4]
.LBB747_515:
	s_or_b32 exec_lo, exec_lo, s0
	s_delay_alu instid0(SALU_CYCLE_1)
	s_mov_b32 s1, exec_lo
	s_waitcnt lgkmcnt(0)
	s_waitcnt_vscnt null, 0x0
	s_barrier
	buffer_gl0_inv
	v_cmpx_lt_u32_e64 v0, v33
	s_cbranch_execz .LBB747_518
; %bb.516:
	s_mov_b32 s13, 0
	s_lshl_b64 s[4:5], s[10:11], 3
	s_lshl_b64 s[6:7], s[12:13], 3
	s_delay_alu instid0(SALU_CYCLE_1) | instskip(SKIP_4) | instid1(VALU_DEP_1)
	s_add_u32 s0, s4, s6
	s_addc_u32 s3, s5, s7
	s_add_u32 s0, s18, s0
	s_addc_u32 s3, s19, s3
	v_add_co_u32 v1, s0, s0, v55
	v_add_co_ci_u32_e64 v2, null, s3, 0, s0
	.p2align	6
.LBB747_517:                            ; =>This Inner Loop Header: Depth=1
	ds_load_b64 v[3:4], v55
	v_add_nc_u32_e32 v0, 0x200, v0
	v_add_nc_u32_e32 v55, 0x1000, v55
	s_delay_alu instid0(VALU_DEP_2) | instskip(SKIP_4) | instid1(VALU_DEP_1)
	v_cmp_ge_u32_e32 vcc_lo, v0, v33
	s_or_b32 s13, vcc_lo, s13
	s_waitcnt lgkmcnt(0)
	global_store_b64 v[1:2], v[3:4], off
	v_add_co_u32 v1, s0, 0x1000, v1
	v_add_co_ci_u32_e64 v2, s0, 0, v2, s0
	s_and_not1_b32 exec_lo, exec_lo, s13
	s_cbranch_execnz .LBB747_517
.LBB747_518:
	s_or_b32 exec_lo, exec_lo, s1
	s_and_b32 s0, s2, s28
	s_delay_alu instid0(SALU_CYCLE_1)
	s_and_saveexec_b32 s1, s0
	s_cbranch_execnz .LBB747_497
.LBB747_519:
	s_nop 0
	s_sendmsg sendmsg(MSG_DEALLOC_VGPRS)
	s_endpgm
	.section	.rodata,"a",@progbits
	.p2align	6, 0x0
	.amdhsa_kernel _ZN7rocprim17ROCPRIM_400000_NS6detail17trampoline_kernelINS0_14default_configENS1_25partition_config_selectorILNS1_17partition_subalgoE9EllbEEZZNS1_14partition_implILS5_9ELb0ES3_jPlS8_PNS0_10empty_typeENS0_5tupleIJS8_S9_EEENSB_IJS8_SA_EEENS0_18inequality_wrapperIZN2at6native12_GLOBAL__N_124unique_dim_cuda_templateIsEESt5tupleIJNSF_6TensorESK_SK_EERKSK_lbbbEUlllE0_EEPmJS9_EEE10hipError_tPvRmT3_T4_T5_T6_T7_T9_mT8_P12ihipStream_tbDpT10_ENKUlT_T0_E_clISt17integral_constantIbLb0EES19_IbLb1EEEEDaS15_S16_EUlS15_E_NS1_11comp_targetILNS1_3genE9ELNS1_11target_archE1100ELNS1_3gpuE3ELNS1_3repE0EEENS1_30default_config_static_selectorELNS0_4arch9wavefront6targetE0EEEvT1_
		.amdhsa_group_segment_fixed_size 33804
		.amdhsa_private_segment_fixed_size 0
		.amdhsa_kernarg_size 136
		.amdhsa_user_sgpr_count 15
		.amdhsa_user_sgpr_dispatch_ptr 0
		.amdhsa_user_sgpr_queue_ptr 0
		.amdhsa_user_sgpr_kernarg_segment_ptr 1
		.amdhsa_user_sgpr_dispatch_id 0
		.amdhsa_user_sgpr_private_segment_size 0
		.amdhsa_wavefront_size32 1
		.amdhsa_uses_dynamic_stack 0
		.amdhsa_enable_private_segment 0
		.amdhsa_system_sgpr_workgroup_id_x 1
		.amdhsa_system_sgpr_workgroup_id_y 0
		.amdhsa_system_sgpr_workgroup_id_z 0
		.amdhsa_system_sgpr_workgroup_info 0
		.amdhsa_system_vgpr_workitem_id 0
		.amdhsa_next_free_vgpr 68
		.amdhsa_next_free_sgpr 40
		.amdhsa_reserve_vcc 1
		.amdhsa_float_round_mode_32 0
		.amdhsa_float_round_mode_16_64 0
		.amdhsa_float_denorm_mode_32 3
		.amdhsa_float_denorm_mode_16_64 3
		.amdhsa_dx10_clamp 1
		.amdhsa_ieee_mode 1
		.amdhsa_fp16_overflow 0
		.amdhsa_workgroup_processor_mode 1
		.amdhsa_memory_ordered 1
		.amdhsa_forward_progress 0
		.amdhsa_shared_vgpr_count 0
		.amdhsa_exception_fp_ieee_invalid_op 0
		.amdhsa_exception_fp_denorm_src 0
		.amdhsa_exception_fp_ieee_div_zero 0
		.amdhsa_exception_fp_ieee_overflow 0
		.amdhsa_exception_fp_ieee_underflow 0
		.amdhsa_exception_fp_ieee_inexact 0
		.amdhsa_exception_int_div_zero 0
	.end_amdhsa_kernel
	.section	.text._ZN7rocprim17ROCPRIM_400000_NS6detail17trampoline_kernelINS0_14default_configENS1_25partition_config_selectorILNS1_17partition_subalgoE9EllbEEZZNS1_14partition_implILS5_9ELb0ES3_jPlS8_PNS0_10empty_typeENS0_5tupleIJS8_S9_EEENSB_IJS8_SA_EEENS0_18inequality_wrapperIZN2at6native12_GLOBAL__N_124unique_dim_cuda_templateIsEESt5tupleIJNSF_6TensorESK_SK_EERKSK_lbbbEUlllE0_EEPmJS9_EEE10hipError_tPvRmT3_T4_T5_T6_T7_T9_mT8_P12ihipStream_tbDpT10_ENKUlT_T0_E_clISt17integral_constantIbLb0EES19_IbLb1EEEEDaS15_S16_EUlS15_E_NS1_11comp_targetILNS1_3genE9ELNS1_11target_archE1100ELNS1_3gpuE3ELNS1_3repE0EEENS1_30default_config_static_selectorELNS0_4arch9wavefront6targetE0EEEvT1_,"axG",@progbits,_ZN7rocprim17ROCPRIM_400000_NS6detail17trampoline_kernelINS0_14default_configENS1_25partition_config_selectorILNS1_17partition_subalgoE9EllbEEZZNS1_14partition_implILS5_9ELb0ES3_jPlS8_PNS0_10empty_typeENS0_5tupleIJS8_S9_EEENSB_IJS8_SA_EEENS0_18inequality_wrapperIZN2at6native12_GLOBAL__N_124unique_dim_cuda_templateIsEESt5tupleIJNSF_6TensorESK_SK_EERKSK_lbbbEUlllE0_EEPmJS9_EEE10hipError_tPvRmT3_T4_T5_T6_T7_T9_mT8_P12ihipStream_tbDpT10_ENKUlT_T0_E_clISt17integral_constantIbLb0EES19_IbLb1EEEEDaS15_S16_EUlS15_E_NS1_11comp_targetILNS1_3genE9ELNS1_11target_archE1100ELNS1_3gpuE3ELNS1_3repE0EEENS1_30default_config_static_selectorELNS0_4arch9wavefront6targetE0EEEvT1_,comdat
.Lfunc_end747:
	.size	_ZN7rocprim17ROCPRIM_400000_NS6detail17trampoline_kernelINS0_14default_configENS1_25partition_config_selectorILNS1_17partition_subalgoE9EllbEEZZNS1_14partition_implILS5_9ELb0ES3_jPlS8_PNS0_10empty_typeENS0_5tupleIJS8_S9_EEENSB_IJS8_SA_EEENS0_18inequality_wrapperIZN2at6native12_GLOBAL__N_124unique_dim_cuda_templateIsEESt5tupleIJNSF_6TensorESK_SK_EERKSK_lbbbEUlllE0_EEPmJS9_EEE10hipError_tPvRmT3_T4_T5_T6_T7_T9_mT8_P12ihipStream_tbDpT10_ENKUlT_T0_E_clISt17integral_constantIbLb0EES19_IbLb1EEEEDaS15_S16_EUlS15_E_NS1_11comp_targetILNS1_3genE9ELNS1_11target_archE1100ELNS1_3gpuE3ELNS1_3repE0EEENS1_30default_config_static_selectorELNS0_4arch9wavefront6targetE0EEEvT1_, .Lfunc_end747-_ZN7rocprim17ROCPRIM_400000_NS6detail17trampoline_kernelINS0_14default_configENS1_25partition_config_selectorILNS1_17partition_subalgoE9EllbEEZZNS1_14partition_implILS5_9ELb0ES3_jPlS8_PNS0_10empty_typeENS0_5tupleIJS8_S9_EEENSB_IJS8_SA_EEENS0_18inequality_wrapperIZN2at6native12_GLOBAL__N_124unique_dim_cuda_templateIsEESt5tupleIJNSF_6TensorESK_SK_EERKSK_lbbbEUlllE0_EEPmJS9_EEE10hipError_tPvRmT3_T4_T5_T6_T7_T9_mT8_P12ihipStream_tbDpT10_ENKUlT_T0_E_clISt17integral_constantIbLb0EES19_IbLb1EEEEDaS15_S16_EUlS15_E_NS1_11comp_targetILNS1_3genE9ELNS1_11target_archE1100ELNS1_3gpuE3ELNS1_3repE0EEENS1_30default_config_static_selectorELNS0_4arch9wavefront6targetE0EEEvT1_
                                        ; -- End function
	.section	.AMDGPU.csdata,"",@progbits
; Kernel info:
; codeLenInByte = 20632
; NumSgprs: 42
; NumVgprs: 68
; ScratchSize: 0
; MemoryBound: 0
; FloatMode: 240
; IeeeMode: 1
; LDSByteSize: 33804 bytes/workgroup (compile time only)
; SGPRBlocks: 5
; VGPRBlocks: 8
; NumSGPRsForWavesPerEU: 42
; NumVGPRsForWavesPerEU: 68
; Occupancy: 12
; WaveLimiterHint : 1
; COMPUTE_PGM_RSRC2:SCRATCH_EN: 0
; COMPUTE_PGM_RSRC2:USER_SGPR: 15
; COMPUTE_PGM_RSRC2:TRAP_HANDLER: 0
; COMPUTE_PGM_RSRC2:TGID_X_EN: 1
; COMPUTE_PGM_RSRC2:TGID_Y_EN: 0
; COMPUTE_PGM_RSRC2:TGID_Z_EN: 0
; COMPUTE_PGM_RSRC2:TIDIG_COMP_CNT: 0
	.section	.text._ZN7rocprim17ROCPRIM_400000_NS6detail17trampoline_kernelINS0_14default_configENS1_25partition_config_selectorILNS1_17partition_subalgoE9EllbEEZZNS1_14partition_implILS5_9ELb0ES3_jPlS8_PNS0_10empty_typeENS0_5tupleIJS8_S9_EEENSB_IJS8_SA_EEENS0_18inequality_wrapperIZN2at6native12_GLOBAL__N_124unique_dim_cuda_templateIsEESt5tupleIJNSF_6TensorESK_SK_EERKSK_lbbbEUlllE0_EEPmJS9_EEE10hipError_tPvRmT3_T4_T5_T6_T7_T9_mT8_P12ihipStream_tbDpT10_ENKUlT_T0_E_clISt17integral_constantIbLb0EES19_IbLb1EEEEDaS15_S16_EUlS15_E_NS1_11comp_targetILNS1_3genE8ELNS1_11target_archE1030ELNS1_3gpuE2ELNS1_3repE0EEENS1_30default_config_static_selectorELNS0_4arch9wavefront6targetE0EEEvT1_,"axG",@progbits,_ZN7rocprim17ROCPRIM_400000_NS6detail17trampoline_kernelINS0_14default_configENS1_25partition_config_selectorILNS1_17partition_subalgoE9EllbEEZZNS1_14partition_implILS5_9ELb0ES3_jPlS8_PNS0_10empty_typeENS0_5tupleIJS8_S9_EEENSB_IJS8_SA_EEENS0_18inequality_wrapperIZN2at6native12_GLOBAL__N_124unique_dim_cuda_templateIsEESt5tupleIJNSF_6TensorESK_SK_EERKSK_lbbbEUlllE0_EEPmJS9_EEE10hipError_tPvRmT3_T4_T5_T6_T7_T9_mT8_P12ihipStream_tbDpT10_ENKUlT_T0_E_clISt17integral_constantIbLb0EES19_IbLb1EEEEDaS15_S16_EUlS15_E_NS1_11comp_targetILNS1_3genE8ELNS1_11target_archE1030ELNS1_3gpuE2ELNS1_3repE0EEENS1_30default_config_static_selectorELNS0_4arch9wavefront6targetE0EEEvT1_,comdat
	.globl	_ZN7rocprim17ROCPRIM_400000_NS6detail17trampoline_kernelINS0_14default_configENS1_25partition_config_selectorILNS1_17partition_subalgoE9EllbEEZZNS1_14partition_implILS5_9ELb0ES3_jPlS8_PNS0_10empty_typeENS0_5tupleIJS8_S9_EEENSB_IJS8_SA_EEENS0_18inequality_wrapperIZN2at6native12_GLOBAL__N_124unique_dim_cuda_templateIsEESt5tupleIJNSF_6TensorESK_SK_EERKSK_lbbbEUlllE0_EEPmJS9_EEE10hipError_tPvRmT3_T4_T5_T6_T7_T9_mT8_P12ihipStream_tbDpT10_ENKUlT_T0_E_clISt17integral_constantIbLb0EES19_IbLb1EEEEDaS15_S16_EUlS15_E_NS1_11comp_targetILNS1_3genE8ELNS1_11target_archE1030ELNS1_3gpuE2ELNS1_3repE0EEENS1_30default_config_static_selectorELNS0_4arch9wavefront6targetE0EEEvT1_ ; -- Begin function _ZN7rocprim17ROCPRIM_400000_NS6detail17trampoline_kernelINS0_14default_configENS1_25partition_config_selectorILNS1_17partition_subalgoE9EllbEEZZNS1_14partition_implILS5_9ELb0ES3_jPlS8_PNS0_10empty_typeENS0_5tupleIJS8_S9_EEENSB_IJS8_SA_EEENS0_18inequality_wrapperIZN2at6native12_GLOBAL__N_124unique_dim_cuda_templateIsEESt5tupleIJNSF_6TensorESK_SK_EERKSK_lbbbEUlllE0_EEPmJS9_EEE10hipError_tPvRmT3_T4_T5_T6_T7_T9_mT8_P12ihipStream_tbDpT10_ENKUlT_T0_E_clISt17integral_constantIbLb0EES19_IbLb1EEEEDaS15_S16_EUlS15_E_NS1_11comp_targetILNS1_3genE8ELNS1_11target_archE1030ELNS1_3gpuE2ELNS1_3repE0EEENS1_30default_config_static_selectorELNS0_4arch9wavefront6targetE0EEEvT1_
	.p2align	8
	.type	_ZN7rocprim17ROCPRIM_400000_NS6detail17trampoline_kernelINS0_14default_configENS1_25partition_config_selectorILNS1_17partition_subalgoE9EllbEEZZNS1_14partition_implILS5_9ELb0ES3_jPlS8_PNS0_10empty_typeENS0_5tupleIJS8_S9_EEENSB_IJS8_SA_EEENS0_18inequality_wrapperIZN2at6native12_GLOBAL__N_124unique_dim_cuda_templateIsEESt5tupleIJNSF_6TensorESK_SK_EERKSK_lbbbEUlllE0_EEPmJS9_EEE10hipError_tPvRmT3_T4_T5_T6_T7_T9_mT8_P12ihipStream_tbDpT10_ENKUlT_T0_E_clISt17integral_constantIbLb0EES19_IbLb1EEEEDaS15_S16_EUlS15_E_NS1_11comp_targetILNS1_3genE8ELNS1_11target_archE1030ELNS1_3gpuE2ELNS1_3repE0EEENS1_30default_config_static_selectorELNS0_4arch9wavefront6targetE0EEEvT1_,@function
_ZN7rocprim17ROCPRIM_400000_NS6detail17trampoline_kernelINS0_14default_configENS1_25partition_config_selectorILNS1_17partition_subalgoE9EllbEEZZNS1_14partition_implILS5_9ELb0ES3_jPlS8_PNS0_10empty_typeENS0_5tupleIJS8_S9_EEENSB_IJS8_SA_EEENS0_18inequality_wrapperIZN2at6native12_GLOBAL__N_124unique_dim_cuda_templateIsEESt5tupleIJNSF_6TensorESK_SK_EERKSK_lbbbEUlllE0_EEPmJS9_EEE10hipError_tPvRmT3_T4_T5_T6_T7_T9_mT8_P12ihipStream_tbDpT10_ENKUlT_T0_E_clISt17integral_constantIbLb0EES19_IbLb1EEEEDaS15_S16_EUlS15_E_NS1_11comp_targetILNS1_3genE8ELNS1_11target_archE1030ELNS1_3gpuE2ELNS1_3repE0EEENS1_30default_config_static_selectorELNS0_4arch9wavefront6targetE0EEEvT1_: ; @_ZN7rocprim17ROCPRIM_400000_NS6detail17trampoline_kernelINS0_14default_configENS1_25partition_config_selectorILNS1_17partition_subalgoE9EllbEEZZNS1_14partition_implILS5_9ELb0ES3_jPlS8_PNS0_10empty_typeENS0_5tupleIJS8_S9_EEENSB_IJS8_SA_EEENS0_18inequality_wrapperIZN2at6native12_GLOBAL__N_124unique_dim_cuda_templateIsEESt5tupleIJNSF_6TensorESK_SK_EERKSK_lbbbEUlllE0_EEPmJS9_EEE10hipError_tPvRmT3_T4_T5_T6_T7_T9_mT8_P12ihipStream_tbDpT10_ENKUlT_T0_E_clISt17integral_constantIbLb0EES19_IbLb1EEEEDaS15_S16_EUlS15_E_NS1_11comp_targetILNS1_3genE8ELNS1_11target_archE1030ELNS1_3gpuE2ELNS1_3repE0EEENS1_30default_config_static_selectorELNS0_4arch9wavefront6targetE0EEEvT1_
; %bb.0:
	.section	.rodata,"a",@progbits
	.p2align	6, 0x0
	.amdhsa_kernel _ZN7rocprim17ROCPRIM_400000_NS6detail17trampoline_kernelINS0_14default_configENS1_25partition_config_selectorILNS1_17partition_subalgoE9EllbEEZZNS1_14partition_implILS5_9ELb0ES3_jPlS8_PNS0_10empty_typeENS0_5tupleIJS8_S9_EEENSB_IJS8_SA_EEENS0_18inequality_wrapperIZN2at6native12_GLOBAL__N_124unique_dim_cuda_templateIsEESt5tupleIJNSF_6TensorESK_SK_EERKSK_lbbbEUlllE0_EEPmJS9_EEE10hipError_tPvRmT3_T4_T5_T6_T7_T9_mT8_P12ihipStream_tbDpT10_ENKUlT_T0_E_clISt17integral_constantIbLb0EES19_IbLb1EEEEDaS15_S16_EUlS15_E_NS1_11comp_targetILNS1_3genE8ELNS1_11target_archE1030ELNS1_3gpuE2ELNS1_3repE0EEENS1_30default_config_static_selectorELNS0_4arch9wavefront6targetE0EEEvT1_
		.amdhsa_group_segment_fixed_size 0
		.amdhsa_private_segment_fixed_size 0
		.amdhsa_kernarg_size 136
		.amdhsa_user_sgpr_count 15
		.amdhsa_user_sgpr_dispatch_ptr 0
		.amdhsa_user_sgpr_queue_ptr 0
		.amdhsa_user_sgpr_kernarg_segment_ptr 1
		.amdhsa_user_sgpr_dispatch_id 0
		.amdhsa_user_sgpr_private_segment_size 0
		.amdhsa_wavefront_size32 1
		.amdhsa_uses_dynamic_stack 0
		.amdhsa_enable_private_segment 0
		.amdhsa_system_sgpr_workgroup_id_x 1
		.amdhsa_system_sgpr_workgroup_id_y 0
		.amdhsa_system_sgpr_workgroup_id_z 0
		.amdhsa_system_sgpr_workgroup_info 0
		.amdhsa_system_vgpr_workitem_id 0
		.amdhsa_next_free_vgpr 1
		.amdhsa_next_free_sgpr 1
		.amdhsa_reserve_vcc 0
		.amdhsa_float_round_mode_32 0
		.amdhsa_float_round_mode_16_64 0
		.amdhsa_float_denorm_mode_32 3
		.amdhsa_float_denorm_mode_16_64 3
		.amdhsa_dx10_clamp 1
		.amdhsa_ieee_mode 1
		.amdhsa_fp16_overflow 0
		.amdhsa_workgroup_processor_mode 1
		.amdhsa_memory_ordered 1
		.amdhsa_forward_progress 0
		.amdhsa_shared_vgpr_count 0
		.amdhsa_exception_fp_ieee_invalid_op 0
		.amdhsa_exception_fp_denorm_src 0
		.amdhsa_exception_fp_ieee_div_zero 0
		.amdhsa_exception_fp_ieee_overflow 0
		.amdhsa_exception_fp_ieee_underflow 0
		.amdhsa_exception_fp_ieee_inexact 0
		.amdhsa_exception_int_div_zero 0
	.end_amdhsa_kernel
	.section	.text._ZN7rocprim17ROCPRIM_400000_NS6detail17trampoline_kernelINS0_14default_configENS1_25partition_config_selectorILNS1_17partition_subalgoE9EllbEEZZNS1_14partition_implILS5_9ELb0ES3_jPlS8_PNS0_10empty_typeENS0_5tupleIJS8_S9_EEENSB_IJS8_SA_EEENS0_18inequality_wrapperIZN2at6native12_GLOBAL__N_124unique_dim_cuda_templateIsEESt5tupleIJNSF_6TensorESK_SK_EERKSK_lbbbEUlllE0_EEPmJS9_EEE10hipError_tPvRmT3_T4_T5_T6_T7_T9_mT8_P12ihipStream_tbDpT10_ENKUlT_T0_E_clISt17integral_constantIbLb0EES19_IbLb1EEEEDaS15_S16_EUlS15_E_NS1_11comp_targetILNS1_3genE8ELNS1_11target_archE1030ELNS1_3gpuE2ELNS1_3repE0EEENS1_30default_config_static_selectorELNS0_4arch9wavefront6targetE0EEEvT1_,"axG",@progbits,_ZN7rocprim17ROCPRIM_400000_NS6detail17trampoline_kernelINS0_14default_configENS1_25partition_config_selectorILNS1_17partition_subalgoE9EllbEEZZNS1_14partition_implILS5_9ELb0ES3_jPlS8_PNS0_10empty_typeENS0_5tupleIJS8_S9_EEENSB_IJS8_SA_EEENS0_18inequality_wrapperIZN2at6native12_GLOBAL__N_124unique_dim_cuda_templateIsEESt5tupleIJNSF_6TensorESK_SK_EERKSK_lbbbEUlllE0_EEPmJS9_EEE10hipError_tPvRmT3_T4_T5_T6_T7_T9_mT8_P12ihipStream_tbDpT10_ENKUlT_T0_E_clISt17integral_constantIbLb0EES19_IbLb1EEEEDaS15_S16_EUlS15_E_NS1_11comp_targetILNS1_3genE8ELNS1_11target_archE1030ELNS1_3gpuE2ELNS1_3repE0EEENS1_30default_config_static_selectorELNS0_4arch9wavefront6targetE0EEEvT1_,comdat
.Lfunc_end748:
	.size	_ZN7rocprim17ROCPRIM_400000_NS6detail17trampoline_kernelINS0_14default_configENS1_25partition_config_selectorILNS1_17partition_subalgoE9EllbEEZZNS1_14partition_implILS5_9ELb0ES3_jPlS8_PNS0_10empty_typeENS0_5tupleIJS8_S9_EEENSB_IJS8_SA_EEENS0_18inequality_wrapperIZN2at6native12_GLOBAL__N_124unique_dim_cuda_templateIsEESt5tupleIJNSF_6TensorESK_SK_EERKSK_lbbbEUlllE0_EEPmJS9_EEE10hipError_tPvRmT3_T4_T5_T6_T7_T9_mT8_P12ihipStream_tbDpT10_ENKUlT_T0_E_clISt17integral_constantIbLb0EES19_IbLb1EEEEDaS15_S16_EUlS15_E_NS1_11comp_targetILNS1_3genE8ELNS1_11target_archE1030ELNS1_3gpuE2ELNS1_3repE0EEENS1_30default_config_static_selectorELNS0_4arch9wavefront6targetE0EEEvT1_, .Lfunc_end748-_ZN7rocprim17ROCPRIM_400000_NS6detail17trampoline_kernelINS0_14default_configENS1_25partition_config_selectorILNS1_17partition_subalgoE9EllbEEZZNS1_14partition_implILS5_9ELb0ES3_jPlS8_PNS0_10empty_typeENS0_5tupleIJS8_S9_EEENSB_IJS8_SA_EEENS0_18inequality_wrapperIZN2at6native12_GLOBAL__N_124unique_dim_cuda_templateIsEESt5tupleIJNSF_6TensorESK_SK_EERKSK_lbbbEUlllE0_EEPmJS9_EEE10hipError_tPvRmT3_T4_T5_T6_T7_T9_mT8_P12ihipStream_tbDpT10_ENKUlT_T0_E_clISt17integral_constantIbLb0EES19_IbLb1EEEEDaS15_S16_EUlS15_E_NS1_11comp_targetILNS1_3genE8ELNS1_11target_archE1030ELNS1_3gpuE2ELNS1_3repE0EEENS1_30default_config_static_selectorELNS0_4arch9wavefront6targetE0EEEvT1_
                                        ; -- End function
	.section	.AMDGPU.csdata,"",@progbits
; Kernel info:
; codeLenInByte = 0
; NumSgprs: 0
; NumVgprs: 0
; ScratchSize: 0
; MemoryBound: 0
; FloatMode: 240
; IeeeMode: 1
; LDSByteSize: 0 bytes/workgroup (compile time only)
; SGPRBlocks: 0
; VGPRBlocks: 0
; NumSGPRsForWavesPerEU: 1
; NumVGPRsForWavesPerEU: 1
; Occupancy: 16
; WaveLimiterHint : 0
; COMPUTE_PGM_RSRC2:SCRATCH_EN: 0
; COMPUTE_PGM_RSRC2:USER_SGPR: 15
; COMPUTE_PGM_RSRC2:TRAP_HANDLER: 0
; COMPUTE_PGM_RSRC2:TGID_X_EN: 1
; COMPUTE_PGM_RSRC2:TGID_Y_EN: 0
; COMPUTE_PGM_RSRC2:TGID_Z_EN: 0
; COMPUTE_PGM_RSRC2:TIDIG_COMP_CNT: 0
	.section	.text._ZN7rocprim17ROCPRIM_400000_NS6detail17trampoline_kernelINS0_14default_configENS1_37merge_sort_block_sort_config_selectorIlNS0_10empty_typeEEEZNS1_21merge_sort_block_sortIS3_PlS8_PS5_S9_ZN2at6native12_GLOBAL__N_124unique_dim_cuda_templateIdEESt5tupleIJNSA_6TensorESF_SF_EERKSF_lbbbEUlllE_EE10hipError_tT0_T1_T2_T3_mRjT4_P12ihipStream_tbNS1_7vsmem_tEEUlT_E_NS1_11comp_targetILNS1_3genE0ELNS1_11target_archE4294967295ELNS1_3gpuE0ELNS1_3repE0EEENS1_30default_config_static_selectorELNS0_4arch9wavefront6targetE0EEEvSM_,"axG",@progbits,_ZN7rocprim17ROCPRIM_400000_NS6detail17trampoline_kernelINS0_14default_configENS1_37merge_sort_block_sort_config_selectorIlNS0_10empty_typeEEEZNS1_21merge_sort_block_sortIS3_PlS8_PS5_S9_ZN2at6native12_GLOBAL__N_124unique_dim_cuda_templateIdEESt5tupleIJNSA_6TensorESF_SF_EERKSF_lbbbEUlllE_EE10hipError_tT0_T1_T2_T3_mRjT4_P12ihipStream_tbNS1_7vsmem_tEEUlT_E_NS1_11comp_targetILNS1_3genE0ELNS1_11target_archE4294967295ELNS1_3gpuE0ELNS1_3repE0EEENS1_30default_config_static_selectorELNS0_4arch9wavefront6targetE0EEEvSM_,comdat
	.globl	_ZN7rocprim17ROCPRIM_400000_NS6detail17trampoline_kernelINS0_14default_configENS1_37merge_sort_block_sort_config_selectorIlNS0_10empty_typeEEEZNS1_21merge_sort_block_sortIS3_PlS8_PS5_S9_ZN2at6native12_GLOBAL__N_124unique_dim_cuda_templateIdEESt5tupleIJNSA_6TensorESF_SF_EERKSF_lbbbEUlllE_EE10hipError_tT0_T1_T2_T3_mRjT4_P12ihipStream_tbNS1_7vsmem_tEEUlT_E_NS1_11comp_targetILNS1_3genE0ELNS1_11target_archE4294967295ELNS1_3gpuE0ELNS1_3repE0EEENS1_30default_config_static_selectorELNS0_4arch9wavefront6targetE0EEEvSM_ ; -- Begin function _ZN7rocprim17ROCPRIM_400000_NS6detail17trampoline_kernelINS0_14default_configENS1_37merge_sort_block_sort_config_selectorIlNS0_10empty_typeEEEZNS1_21merge_sort_block_sortIS3_PlS8_PS5_S9_ZN2at6native12_GLOBAL__N_124unique_dim_cuda_templateIdEESt5tupleIJNSA_6TensorESF_SF_EERKSF_lbbbEUlllE_EE10hipError_tT0_T1_T2_T3_mRjT4_P12ihipStream_tbNS1_7vsmem_tEEUlT_E_NS1_11comp_targetILNS1_3genE0ELNS1_11target_archE4294967295ELNS1_3gpuE0ELNS1_3repE0EEENS1_30default_config_static_selectorELNS0_4arch9wavefront6targetE0EEEvSM_
	.p2align	8
	.type	_ZN7rocprim17ROCPRIM_400000_NS6detail17trampoline_kernelINS0_14default_configENS1_37merge_sort_block_sort_config_selectorIlNS0_10empty_typeEEEZNS1_21merge_sort_block_sortIS3_PlS8_PS5_S9_ZN2at6native12_GLOBAL__N_124unique_dim_cuda_templateIdEESt5tupleIJNSA_6TensorESF_SF_EERKSF_lbbbEUlllE_EE10hipError_tT0_T1_T2_T3_mRjT4_P12ihipStream_tbNS1_7vsmem_tEEUlT_E_NS1_11comp_targetILNS1_3genE0ELNS1_11target_archE4294967295ELNS1_3gpuE0ELNS1_3repE0EEENS1_30default_config_static_selectorELNS0_4arch9wavefront6targetE0EEEvSM_,@function
_ZN7rocprim17ROCPRIM_400000_NS6detail17trampoline_kernelINS0_14default_configENS1_37merge_sort_block_sort_config_selectorIlNS0_10empty_typeEEEZNS1_21merge_sort_block_sortIS3_PlS8_PS5_S9_ZN2at6native12_GLOBAL__N_124unique_dim_cuda_templateIdEESt5tupleIJNSA_6TensorESF_SF_EERKSF_lbbbEUlllE_EE10hipError_tT0_T1_T2_T3_mRjT4_P12ihipStream_tbNS1_7vsmem_tEEUlT_E_NS1_11comp_targetILNS1_3genE0ELNS1_11target_archE4294967295ELNS1_3gpuE0ELNS1_3repE0EEENS1_30default_config_static_selectorELNS0_4arch9wavefront6targetE0EEEvSM_: ; @_ZN7rocprim17ROCPRIM_400000_NS6detail17trampoline_kernelINS0_14default_configENS1_37merge_sort_block_sort_config_selectorIlNS0_10empty_typeEEEZNS1_21merge_sort_block_sortIS3_PlS8_PS5_S9_ZN2at6native12_GLOBAL__N_124unique_dim_cuda_templateIdEESt5tupleIJNSA_6TensorESF_SF_EERKSF_lbbbEUlllE_EE10hipError_tT0_T1_T2_T3_mRjT4_P12ihipStream_tbNS1_7vsmem_tEEUlT_E_NS1_11comp_targetILNS1_3genE0ELNS1_11target_archE4294967295ELNS1_3gpuE0ELNS1_3repE0EEENS1_30default_config_static_selectorELNS0_4arch9wavefront6targetE0EEEvSM_
; %bb.0:
	.section	.rodata,"a",@progbits
	.p2align	6, 0x0
	.amdhsa_kernel _ZN7rocprim17ROCPRIM_400000_NS6detail17trampoline_kernelINS0_14default_configENS1_37merge_sort_block_sort_config_selectorIlNS0_10empty_typeEEEZNS1_21merge_sort_block_sortIS3_PlS8_PS5_S9_ZN2at6native12_GLOBAL__N_124unique_dim_cuda_templateIdEESt5tupleIJNSA_6TensorESF_SF_EERKSF_lbbbEUlllE_EE10hipError_tT0_T1_T2_T3_mRjT4_P12ihipStream_tbNS1_7vsmem_tEEUlT_E_NS1_11comp_targetILNS1_3genE0ELNS1_11target_archE4294967295ELNS1_3gpuE0ELNS1_3repE0EEENS1_30default_config_static_selectorELNS0_4arch9wavefront6targetE0EEEvSM_
		.amdhsa_group_segment_fixed_size 0
		.amdhsa_private_segment_fixed_size 0
		.amdhsa_kernarg_size 72
		.amdhsa_user_sgpr_count 15
		.amdhsa_user_sgpr_dispatch_ptr 0
		.amdhsa_user_sgpr_queue_ptr 0
		.amdhsa_user_sgpr_kernarg_segment_ptr 1
		.amdhsa_user_sgpr_dispatch_id 0
		.amdhsa_user_sgpr_private_segment_size 0
		.amdhsa_wavefront_size32 1
		.amdhsa_uses_dynamic_stack 0
		.amdhsa_enable_private_segment 0
		.amdhsa_system_sgpr_workgroup_id_x 1
		.amdhsa_system_sgpr_workgroup_id_y 0
		.amdhsa_system_sgpr_workgroup_id_z 0
		.amdhsa_system_sgpr_workgroup_info 0
		.amdhsa_system_vgpr_workitem_id 0
		.amdhsa_next_free_vgpr 1
		.amdhsa_next_free_sgpr 1
		.amdhsa_reserve_vcc 0
		.amdhsa_float_round_mode_32 0
		.amdhsa_float_round_mode_16_64 0
		.amdhsa_float_denorm_mode_32 3
		.amdhsa_float_denorm_mode_16_64 3
		.amdhsa_dx10_clamp 1
		.amdhsa_ieee_mode 1
		.amdhsa_fp16_overflow 0
		.amdhsa_workgroup_processor_mode 1
		.amdhsa_memory_ordered 1
		.amdhsa_forward_progress 0
		.amdhsa_shared_vgpr_count 0
		.amdhsa_exception_fp_ieee_invalid_op 0
		.amdhsa_exception_fp_denorm_src 0
		.amdhsa_exception_fp_ieee_div_zero 0
		.amdhsa_exception_fp_ieee_overflow 0
		.amdhsa_exception_fp_ieee_underflow 0
		.amdhsa_exception_fp_ieee_inexact 0
		.amdhsa_exception_int_div_zero 0
	.end_amdhsa_kernel
	.section	.text._ZN7rocprim17ROCPRIM_400000_NS6detail17trampoline_kernelINS0_14default_configENS1_37merge_sort_block_sort_config_selectorIlNS0_10empty_typeEEEZNS1_21merge_sort_block_sortIS3_PlS8_PS5_S9_ZN2at6native12_GLOBAL__N_124unique_dim_cuda_templateIdEESt5tupleIJNSA_6TensorESF_SF_EERKSF_lbbbEUlllE_EE10hipError_tT0_T1_T2_T3_mRjT4_P12ihipStream_tbNS1_7vsmem_tEEUlT_E_NS1_11comp_targetILNS1_3genE0ELNS1_11target_archE4294967295ELNS1_3gpuE0ELNS1_3repE0EEENS1_30default_config_static_selectorELNS0_4arch9wavefront6targetE0EEEvSM_,"axG",@progbits,_ZN7rocprim17ROCPRIM_400000_NS6detail17trampoline_kernelINS0_14default_configENS1_37merge_sort_block_sort_config_selectorIlNS0_10empty_typeEEEZNS1_21merge_sort_block_sortIS3_PlS8_PS5_S9_ZN2at6native12_GLOBAL__N_124unique_dim_cuda_templateIdEESt5tupleIJNSA_6TensorESF_SF_EERKSF_lbbbEUlllE_EE10hipError_tT0_T1_T2_T3_mRjT4_P12ihipStream_tbNS1_7vsmem_tEEUlT_E_NS1_11comp_targetILNS1_3genE0ELNS1_11target_archE4294967295ELNS1_3gpuE0ELNS1_3repE0EEENS1_30default_config_static_selectorELNS0_4arch9wavefront6targetE0EEEvSM_,comdat
.Lfunc_end749:
	.size	_ZN7rocprim17ROCPRIM_400000_NS6detail17trampoline_kernelINS0_14default_configENS1_37merge_sort_block_sort_config_selectorIlNS0_10empty_typeEEEZNS1_21merge_sort_block_sortIS3_PlS8_PS5_S9_ZN2at6native12_GLOBAL__N_124unique_dim_cuda_templateIdEESt5tupleIJNSA_6TensorESF_SF_EERKSF_lbbbEUlllE_EE10hipError_tT0_T1_T2_T3_mRjT4_P12ihipStream_tbNS1_7vsmem_tEEUlT_E_NS1_11comp_targetILNS1_3genE0ELNS1_11target_archE4294967295ELNS1_3gpuE0ELNS1_3repE0EEENS1_30default_config_static_selectorELNS0_4arch9wavefront6targetE0EEEvSM_, .Lfunc_end749-_ZN7rocprim17ROCPRIM_400000_NS6detail17trampoline_kernelINS0_14default_configENS1_37merge_sort_block_sort_config_selectorIlNS0_10empty_typeEEEZNS1_21merge_sort_block_sortIS3_PlS8_PS5_S9_ZN2at6native12_GLOBAL__N_124unique_dim_cuda_templateIdEESt5tupleIJNSA_6TensorESF_SF_EERKSF_lbbbEUlllE_EE10hipError_tT0_T1_T2_T3_mRjT4_P12ihipStream_tbNS1_7vsmem_tEEUlT_E_NS1_11comp_targetILNS1_3genE0ELNS1_11target_archE4294967295ELNS1_3gpuE0ELNS1_3repE0EEENS1_30default_config_static_selectorELNS0_4arch9wavefront6targetE0EEEvSM_
                                        ; -- End function
	.section	.AMDGPU.csdata,"",@progbits
; Kernel info:
; codeLenInByte = 0
; NumSgprs: 0
; NumVgprs: 0
; ScratchSize: 0
; MemoryBound: 0
; FloatMode: 240
; IeeeMode: 1
; LDSByteSize: 0 bytes/workgroup (compile time only)
; SGPRBlocks: 0
; VGPRBlocks: 0
; NumSGPRsForWavesPerEU: 1
; NumVGPRsForWavesPerEU: 1
; Occupancy: 16
; WaveLimiterHint : 0
; COMPUTE_PGM_RSRC2:SCRATCH_EN: 0
; COMPUTE_PGM_RSRC2:USER_SGPR: 15
; COMPUTE_PGM_RSRC2:TRAP_HANDLER: 0
; COMPUTE_PGM_RSRC2:TGID_X_EN: 1
; COMPUTE_PGM_RSRC2:TGID_Y_EN: 0
; COMPUTE_PGM_RSRC2:TGID_Z_EN: 0
; COMPUTE_PGM_RSRC2:TIDIG_COMP_CNT: 0
	.section	.text._ZN7rocprim17ROCPRIM_400000_NS6detail17trampoline_kernelINS0_14default_configENS1_37merge_sort_block_sort_config_selectorIlNS0_10empty_typeEEEZNS1_21merge_sort_block_sortIS3_PlS8_PS5_S9_ZN2at6native12_GLOBAL__N_124unique_dim_cuda_templateIdEESt5tupleIJNSA_6TensorESF_SF_EERKSF_lbbbEUlllE_EE10hipError_tT0_T1_T2_T3_mRjT4_P12ihipStream_tbNS1_7vsmem_tEEUlT_E_NS1_11comp_targetILNS1_3genE5ELNS1_11target_archE942ELNS1_3gpuE9ELNS1_3repE0EEENS1_30default_config_static_selectorELNS0_4arch9wavefront6targetE0EEEvSM_,"axG",@progbits,_ZN7rocprim17ROCPRIM_400000_NS6detail17trampoline_kernelINS0_14default_configENS1_37merge_sort_block_sort_config_selectorIlNS0_10empty_typeEEEZNS1_21merge_sort_block_sortIS3_PlS8_PS5_S9_ZN2at6native12_GLOBAL__N_124unique_dim_cuda_templateIdEESt5tupleIJNSA_6TensorESF_SF_EERKSF_lbbbEUlllE_EE10hipError_tT0_T1_T2_T3_mRjT4_P12ihipStream_tbNS1_7vsmem_tEEUlT_E_NS1_11comp_targetILNS1_3genE5ELNS1_11target_archE942ELNS1_3gpuE9ELNS1_3repE0EEENS1_30default_config_static_selectorELNS0_4arch9wavefront6targetE0EEEvSM_,comdat
	.globl	_ZN7rocprim17ROCPRIM_400000_NS6detail17trampoline_kernelINS0_14default_configENS1_37merge_sort_block_sort_config_selectorIlNS0_10empty_typeEEEZNS1_21merge_sort_block_sortIS3_PlS8_PS5_S9_ZN2at6native12_GLOBAL__N_124unique_dim_cuda_templateIdEESt5tupleIJNSA_6TensorESF_SF_EERKSF_lbbbEUlllE_EE10hipError_tT0_T1_T2_T3_mRjT4_P12ihipStream_tbNS1_7vsmem_tEEUlT_E_NS1_11comp_targetILNS1_3genE5ELNS1_11target_archE942ELNS1_3gpuE9ELNS1_3repE0EEENS1_30default_config_static_selectorELNS0_4arch9wavefront6targetE0EEEvSM_ ; -- Begin function _ZN7rocprim17ROCPRIM_400000_NS6detail17trampoline_kernelINS0_14default_configENS1_37merge_sort_block_sort_config_selectorIlNS0_10empty_typeEEEZNS1_21merge_sort_block_sortIS3_PlS8_PS5_S9_ZN2at6native12_GLOBAL__N_124unique_dim_cuda_templateIdEESt5tupleIJNSA_6TensorESF_SF_EERKSF_lbbbEUlllE_EE10hipError_tT0_T1_T2_T3_mRjT4_P12ihipStream_tbNS1_7vsmem_tEEUlT_E_NS1_11comp_targetILNS1_3genE5ELNS1_11target_archE942ELNS1_3gpuE9ELNS1_3repE0EEENS1_30default_config_static_selectorELNS0_4arch9wavefront6targetE0EEEvSM_
	.p2align	8
	.type	_ZN7rocprim17ROCPRIM_400000_NS6detail17trampoline_kernelINS0_14default_configENS1_37merge_sort_block_sort_config_selectorIlNS0_10empty_typeEEEZNS1_21merge_sort_block_sortIS3_PlS8_PS5_S9_ZN2at6native12_GLOBAL__N_124unique_dim_cuda_templateIdEESt5tupleIJNSA_6TensorESF_SF_EERKSF_lbbbEUlllE_EE10hipError_tT0_T1_T2_T3_mRjT4_P12ihipStream_tbNS1_7vsmem_tEEUlT_E_NS1_11comp_targetILNS1_3genE5ELNS1_11target_archE942ELNS1_3gpuE9ELNS1_3repE0EEENS1_30default_config_static_selectorELNS0_4arch9wavefront6targetE0EEEvSM_,@function
_ZN7rocprim17ROCPRIM_400000_NS6detail17trampoline_kernelINS0_14default_configENS1_37merge_sort_block_sort_config_selectorIlNS0_10empty_typeEEEZNS1_21merge_sort_block_sortIS3_PlS8_PS5_S9_ZN2at6native12_GLOBAL__N_124unique_dim_cuda_templateIdEESt5tupleIJNSA_6TensorESF_SF_EERKSF_lbbbEUlllE_EE10hipError_tT0_T1_T2_T3_mRjT4_P12ihipStream_tbNS1_7vsmem_tEEUlT_E_NS1_11comp_targetILNS1_3genE5ELNS1_11target_archE942ELNS1_3gpuE9ELNS1_3repE0EEENS1_30default_config_static_selectorELNS0_4arch9wavefront6targetE0EEEvSM_: ; @_ZN7rocprim17ROCPRIM_400000_NS6detail17trampoline_kernelINS0_14default_configENS1_37merge_sort_block_sort_config_selectorIlNS0_10empty_typeEEEZNS1_21merge_sort_block_sortIS3_PlS8_PS5_S9_ZN2at6native12_GLOBAL__N_124unique_dim_cuda_templateIdEESt5tupleIJNSA_6TensorESF_SF_EERKSF_lbbbEUlllE_EE10hipError_tT0_T1_T2_T3_mRjT4_P12ihipStream_tbNS1_7vsmem_tEEUlT_E_NS1_11comp_targetILNS1_3genE5ELNS1_11target_archE942ELNS1_3gpuE9ELNS1_3repE0EEENS1_30default_config_static_selectorELNS0_4arch9wavefront6targetE0EEEvSM_
; %bb.0:
	.section	.rodata,"a",@progbits
	.p2align	6, 0x0
	.amdhsa_kernel _ZN7rocprim17ROCPRIM_400000_NS6detail17trampoline_kernelINS0_14default_configENS1_37merge_sort_block_sort_config_selectorIlNS0_10empty_typeEEEZNS1_21merge_sort_block_sortIS3_PlS8_PS5_S9_ZN2at6native12_GLOBAL__N_124unique_dim_cuda_templateIdEESt5tupleIJNSA_6TensorESF_SF_EERKSF_lbbbEUlllE_EE10hipError_tT0_T1_T2_T3_mRjT4_P12ihipStream_tbNS1_7vsmem_tEEUlT_E_NS1_11comp_targetILNS1_3genE5ELNS1_11target_archE942ELNS1_3gpuE9ELNS1_3repE0EEENS1_30default_config_static_selectorELNS0_4arch9wavefront6targetE0EEEvSM_
		.amdhsa_group_segment_fixed_size 0
		.amdhsa_private_segment_fixed_size 0
		.amdhsa_kernarg_size 72
		.amdhsa_user_sgpr_count 15
		.amdhsa_user_sgpr_dispatch_ptr 0
		.amdhsa_user_sgpr_queue_ptr 0
		.amdhsa_user_sgpr_kernarg_segment_ptr 1
		.amdhsa_user_sgpr_dispatch_id 0
		.amdhsa_user_sgpr_private_segment_size 0
		.amdhsa_wavefront_size32 1
		.amdhsa_uses_dynamic_stack 0
		.amdhsa_enable_private_segment 0
		.amdhsa_system_sgpr_workgroup_id_x 1
		.amdhsa_system_sgpr_workgroup_id_y 0
		.amdhsa_system_sgpr_workgroup_id_z 0
		.amdhsa_system_sgpr_workgroup_info 0
		.amdhsa_system_vgpr_workitem_id 0
		.amdhsa_next_free_vgpr 1
		.amdhsa_next_free_sgpr 1
		.amdhsa_reserve_vcc 0
		.amdhsa_float_round_mode_32 0
		.amdhsa_float_round_mode_16_64 0
		.amdhsa_float_denorm_mode_32 3
		.amdhsa_float_denorm_mode_16_64 3
		.amdhsa_dx10_clamp 1
		.amdhsa_ieee_mode 1
		.amdhsa_fp16_overflow 0
		.amdhsa_workgroup_processor_mode 1
		.amdhsa_memory_ordered 1
		.amdhsa_forward_progress 0
		.amdhsa_shared_vgpr_count 0
		.amdhsa_exception_fp_ieee_invalid_op 0
		.amdhsa_exception_fp_denorm_src 0
		.amdhsa_exception_fp_ieee_div_zero 0
		.amdhsa_exception_fp_ieee_overflow 0
		.amdhsa_exception_fp_ieee_underflow 0
		.amdhsa_exception_fp_ieee_inexact 0
		.amdhsa_exception_int_div_zero 0
	.end_amdhsa_kernel
	.section	.text._ZN7rocprim17ROCPRIM_400000_NS6detail17trampoline_kernelINS0_14default_configENS1_37merge_sort_block_sort_config_selectorIlNS0_10empty_typeEEEZNS1_21merge_sort_block_sortIS3_PlS8_PS5_S9_ZN2at6native12_GLOBAL__N_124unique_dim_cuda_templateIdEESt5tupleIJNSA_6TensorESF_SF_EERKSF_lbbbEUlllE_EE10hipError_tT0_T1_T2_T3_mRjT4_P12ihipStream_tbNS1_7vsmem_tEEUlT_E_NS1_11comp_targetILNS1_3genE5ELNS1_11target_archE942ELNS1_3gpuE9ELNS1_3repE0EEENS1_30default_config_static_selectorELNS0_4arch9wavefront6targetE0EEEvSM_,"axG",@progbits,_ZN7rocprim17ROCPRIM_400000_NS6detail17trampoline_kernelINS0_14default_configENS1_37merge_sort_block_sort_config_selectorIlNS0_10empty_typeEEEZNS1_21merge_sort_block_sortIS3_PlS8_PS5_S9_ZN2at6native12_GLOBAL__N_124unique_dim_cuda_templateIdEESt5tupleIJNSA_6TensorESF_SF_EERKSF_lbbbEUlllE_EE10hipError_tT0_T1_T2_T3_mRjT4_P12ihipStream_tbNS1_7vsmem_tEEUlT_E_NS1_11comp_targetILNS1_3genE5ELNS1_11target_archE942ELNS1_3gpuE9ELNS1_3repE0EEENS1_30default_config_static_selectorELNS0_4arch9wavefront6targetE0EEEvSM_,comdat
.Lfunc_end750:
	.size	_ZN7rocprim17ROCPRIM_400000_NS6detail17trampoline_kernelINS0_14default_configENS1_37merge_sort_block_sort_config_selectorIlNS0_10empty_typeEEEZNS1_21merge_sort_block_sortIS3_PlS8_PS5_S9_ZN2at6native12_GLOBAL__N_124unique_dim_cuda_templateIdEESt5tupleIJNSA_6TensorESF_SF_EERKSF_lbbbEUlllE_EE10hipError_tT0_T1_T2_T3_mRjT4_P12ihipStream_tbNS1_7vsmem_tEEUlT_E_NS1_11comp_targetILNS1_3genE5ELNS1_11target_archE942ELNS1_3gpuE9ELNS1_3repE0EEENS1_30default_config_static_selectorELNS0_4arch9wavefront6targetE0EEEvSM_, .Lfunc_end750-_ZN7rocprim17ROCPRIM_400000_NS6detail17trampoline_kernelINS0_14default_configENS1_37merge_sort_block_sort_config_selectorIlNS0_10empty_typeEEEZNS1_21merge_sort_block_sortIS3_PlS8_PS5_S9_ZN2at6native12_GLOBAL__N_124unique_dim_cuda_templateIdEESt5tupleIJNSA_6TensorESF_SF_EERKSF_lbbbEUlllE_EE10hipError_tT0_T1_T2_T3_mRjT4_P12ihipStream_tbNS1_7vsmem_tEEUlT_E_NS1_11comp_targetILNS1_3genE5ELNS1_11target_archE942ELNS1_3gpuE9ELNS1_3repE0EEENS1_30default_config_static_selectorELNS0_4arch9wavefront6targetE0EEEvSM_
                                        ; -- End function
	.section	.AMDGPU.csdata,"",@progbits
; Kernel info:
; codeLenInByte = 0
; NumSgprs: 0
; NumVgprs: 0
; ScratchSize: 0
; MemoryBound: 0
; FloatMode: 240
; IeeeMode: 1
; LDSByteSize: 0 bytes/workgroup (compile time only)
; SGPRBlocks: 0
; VGPRBlocks: 0
; NumSGPRsForWavesPerEU: 1
; NumVGPRsForWavesPerEU: 1
; Occupancy: 16
; WaveLimiterHint : 0
; COMPUTE_PGM_RSRC2:SCRATCH_EN: 0
; COMPUTE_PGM_RSRC2:USER_SGPR: 15
; COMPUTE_PGM_RSRC2:TRAP_HANDLER: 0
; COMPUTE_PGM_RSRC2:TGID_X_EN: 1
; COMPUTE_PGM_RSRC2:TGID_Y_EN: 0
; COMPUTE_PGM_RSRC2:TGID_Z_EN: 0
; COMPUTE_PGM_RSRC2:TIDIG_COMP_CNT: 0
	.section	.text._ZN7rocprim17ROCPRIM_400000_NS6detail17trampoline_kernelINS0_14default_configENS1_37merge_sort_block_sort_config_selectorIlNS0_10empty_typeEEEZNS1_21merge_sort_block_sortIS3_PlS8_PS5_S9_ZN2at6native12_GLOBAL__N_124unique_dim_cuda_templateIdEESt5tupleIJNSA_6TensorESF_SF_EERKSF_lbbbEUlllE_EE10hipError_tT0_T1_T2_T3_mRjT4_P12ihipStream_tbNS1_7vsmem_tEEUlT_E_NS1_11comp_targetILNS1_3genE4ELNS1_11target_archE910ELNS1_3gpuE8ELNS1_3repE0EEENS1_30default_config_static_selectorELNS0_4arch9wavefront6targetE0EEEvSM_,"axG",@progbits,_ZN7rocprim17ROCPRIM_400000_NS6detail17trampoline_kernelINS0_14default_configENS1_37merge_sort_block_sort_config_selectorIlNS0_10empty_typeEEEZNS1_21merge_sort_block_sortIS3_PlS8_PS5_S9_ZN2at6native12_GLOBAL__N_124unique_dim_cuda_templateIdEESt5tupleIJNSA_6TensorESF_SF_EERKSF_lbbbEUlllE_EE10hipError_tT0_T1_T2_T3_mRjT4_P12ihipStream_tbNS1_7vsmem_tEEUlT_E_NS1_11comp_targetILNS1_3genE4ELNS1_11target_archE910ELNS1_3gpuE8ELNS1_3repE0EEENS1_30default_config_static_selectorELNS0_4arch9wavefront6targetE0EEEvSM_,comdat
	.globl	_ZN7rocprim17ROCPRIM_400000_NS6detail17trampoline_kernelINS0_14default_configENS1_37merge_sort_block_sort_config_selectorIlNS0_10empty_typeEEEZNS1_21merge_sort_block_sortIS3_PlS8_PS5_S9_ZN2at6native12_GLOBAL__N_124unique_dim_cuda_templateIdEESt5tupleIJNSA_6TensorESF_SF_EERKSF_lbbbEUlllE_EE10hipError_tT0_T1_T2_T3_mRjT4_P12ihipStream_tbNS1_7vsmem_tEEUlT_E_NS1_11comp_targetILNS1_3genE4ELNS1_11target_archE910ELNS1_3gpuE8ELNS1_3repE0EEENS1_30default_config_static_selectorELNS0_4arch9wavefront6targetE0EEEvSM_ ; -- Begin function _ZN7rocprim17ROCPRIM_400000_NS6detail17trampoline_kernelINS0_14default_configENS1_37merge_sort_block_sort_config_selectorIlNS0_10empty_typeEEEZNS1_21merge_sort_block_sortIS3_PlS8_PS5_S9_ZN2at6native12_GLOBAL__N_124unique_dim_cuda_templateIdEESt5tupleIJNSA_6TensorESF_SF_EERKSF_lbbbEUlllE_EE10hipError_tT0_T1_T2_T3_mRjT4_P12ihipStream_tbNS1_7vsmem_tEEUlT_E_NS1_11comp_targetILNS1_3genE4ELNS1_11target_archE910ELNS1_3gpuE8ELNS1_3repE0EEENS1_30default_config_static_selectorELNS0_4arch9wavefront6targetE0EEEvSM_
	.p2align	8
	.type	_ZN7rocprim17ROCPRIM_400000_NS6detail17trampoline_kernelINS0_14default_configENS1_37merge_sort_block_sort_config_selectorIlNS0_10empty_typeEEEZNS1_21merge_sort_block_sortIS3_PlS8_PS5_S9_ZN2at6native12_GLOBAL__N_124unique_dim_cuda_templateIdEESt5tupleIJNSA_6TensorESF_SF_EERKSF_lbbbEUlllE_EE10hipError_tT0_T1_T2_T3_mRjT4_P12ihipStream_tbNS1_7vsmem_tEEUlT_E_NS1_11comp_targetILNS1_3genE4ELNS1_11target_archE910ELNS1_3gpuE8ELNS1_3repE0EEENS1_30default_config_static_selectorELNS0_4arch9wavefront6targetE0EEEvSM_,@function
_ZN7rocprim17ROCPRIM_400000_NS6detail17trampoline_kernelINS0_14default_configENS1_37merge_sort_block_sort_config_selectorIlNS0_10empty_typeEEEZNS1_21merge_sort_block_sortIS3_PlS8_PS5_S9_ZN2at6native12_GLOBAL__N_124unique_dim_cuda_templateIdEESt5tupleIJNSA_6TensorESF_SF_EERKSF_lbbbEUlllE_EE10hipError_tT0_T1_T2_T3_mRjT4_P12ihipStream_tbNS1_7vsmem_tEEUlT_E_NS1_11comp_targetILNS1_3genE4ELNS1_11target_archE910ELNS1_3gpuE8ELNS1_3repE0EEENS1_30default_config_static_selectorELNS0_4arch9wavefront6targetE0EEEvSM_: ; @_ZN7rocprim17ROCPRIM_400000_NS6detail17trampoline_kernelINS0_14default_configENS1_37merge_sort_block_sort_config_selectorIlNS0_10empty_typeEEEZNS1_21merge_sort_block_sortIS3_PlS8_PS5_S9_ZN2at6native12_GLOBAL__N_124unique_dim_cuda_templateIdEESt5tupleIJNSA_6TensorESF_SF_EERKSF_lbbbEUlllE_EE10hipError_tT0_T1_T2_T3_mRjT4_P12ihipStream_tbNS1_7vsmem_tEEUlT_E_NS1_11comp_targetILNS1_3genE4ELNS1_11target_archE910ELNS1_3gpuE8ELNS1_3repE0EEENS1_30default_config_static_selectorELNS0_4arch9wavefront6targetE0EEEvSM_
; %bb.0:
	.section	.rodata,"a",@progbits
	.p2align	6, 0x0
	.amdhsa_kernel _ZN7rocprim17ROCPRIM_400000_NS6detail17trampoline_kernelINS0_14default_configENS1_37merge_sort_block_sort_config_selectorIlNS0_10empty_typeEEEZNS1_21merge_sort_block_sortIS3_PlS8_PS5_S9_ZN2at6native12_GLOBAL__N_124unique_dim_cuda_templateIdEESt5tupleIJNSA_6TensorESF_SF_EERKSF_lbbbEUlllE_EE10hipError_tT0_T1_T2_T3_mRjT4_P12ihipStream_tbNS1_7vsmem_tEEUlT_E_NS1_11comp_targetILNS1_3genE4ELNS1_11target_archE910ELNS1_3gpuE8ELNS1_3repE0EEENS1_30default_config_static_selectorELNS0_4arch9wavefront6targetE0EEEvSM_
		.amdhsa_group_segment_fixed_size 0
		.amdhsa_private_segment_fixed_size 0
		.amdhsa_kernarg_size 72
		.amdhsa_user_sgpr_count 15
		.amdhsa_user_sgpr_dispatch_ptr 0
		.amdhsa_user_sgpr_queue_ptr 0
		.amdhsa_user_sgpr_kernarg_segment_ptr 1
		.amdhsa_user_sgpr_dispatch_id 0
		.amdhsa_user_sgpr_private_segment_size 0
		.amdhsa_wavefront_size32 1
		.amdhsa_uses_dynamic_stack 0
		.amdhsa_enable_private_segment 0
		.amdhsa_system_sgpr_workgroup_id_x 1
		.amdhsa_system_sgpr_workgroup_id_y 0
		.amdhsa_system_sgpr_workgroup_id_z 0
		.amdhsa_system_sgpr_workgroup_info 0
		.amdhsa_system_vgpr_workitem_id 0
		.amdhsa_next_free_vgpr 1
		.amdhsa_next_free_sgpr 1
		.amdhsa_reserve_vcc 0
		.amdhsa_float_round_mode_32 0
		.amdhsa_float_round_mode_16_64 0
		.amdhsa_float_denorm_mode_32 3
		.amdhsa_float_denorm_mode_16_64 3
		.amdhsa_dx10_clamp 1
		.amdhsa_ieee_mode 1
		.amdhsa_fp16_overflow 0
		.amdhsa_workgroup_processor_mode 1
		.amdhsa_memory_ordered 1
		.amdhsa_forward_progress 0
		.amdhsa_shared_vgpr_count 0
		.amdhsa_exception_fp_ieee_invalid_op 0
		.amdhsa_exception_fp_denorm_src 0
		.amdhsa_exception_fp_ieee_div_zero 0
		.amdhsa_exception_fp_ieee_overflow 0
		.amdhsa_exception_fp_ieee_underflow 0
		.amdhsa_exception_fp_ieee_inexact 0
		.amdhsa_exception_int_div_zero 0
	.end_amdhsa_kernel
	.section	.text._ZN7rocprim17ROCPRIM_400000_NS6detail17trampoline_kernelINS0_14default_configENS1_37merge_sort_block_sort_config_selectorIlNS0_10empty_typeEEEZNS1_21merge_sort_block_sortIS3_PlS8_PS5_S9_ZN2at6native12_GLOBAL__N_124unique_dim_cuda_templateIdEESt5tupleIJNSA_6TensorESF_SF_EERKSF_lbbbEUlllE_EE10hipError_tT0_T1_T2_T3_mRjT4_P12ihipStream_tbNS1_7vsmem_tEEUlT_E_NS1_11comp_targetILNS1_3genE4ELNS1_11target_archE910ELNS1_3gpuE8ELNS1_3repE0EEENS1_30default_config_static_selectorELNS0_4arch9wavefront6targetE0EEEvSM_,"axG",@progbits,_ZN7rocprim17ROCPRIM_400000_NS6detail17trampoline_kernelINS0_14default_configENS1_37merge_sort_block_sort_config_selectorIlNS0_10empty_typeEEEZNS1_21merge_sort_block_sortIS3_PlS8_PS5_S9_ZN2at6native12_GLOBAL__N_124unique_dim_cuda_templateIdEESt5tupleIJNSA_6TensorESF_SF_EERKSF_lbbbEUlllE_EE10hipError_tT0_T1_T2_T3_mRjT4_P12ihipStream_tbNS1_7vsmem_tEEUlT_E_NS1_11comp_targetILNS1_3genE4ELNS1_11target_archE910ELNS1_3gpuE8ELNS1_3repE0EEENS1_30default_config_static_selectorELNS0_4arch9wavefront6targetE0EEEvSM_,comdat
.Lfunc_end751:
	.size	_ZN7rocprim17ROCPRIM_400000_NS6detail17trampoline_kernelINS0_14default_configENS1_37merge_sort_block_sort_config_selectorIlNS0_10empty_typeEEEZNS1_21merge_sort_block_sortIS3_PlS8_PS5_S9_ZN2at6native12_GLOBAL__N_124unique_dim_cuda_templateIdEESt5tupleIJNSA_6TensorESF_SF_EERKSF_lbbbEUlllE_EE10hipError_tT0_T1_T2_T3_mRjT4_P12ihipStream_tbNS1_7vsmem_tEEUlT_E_NS1_11comp_targetILNS1_3genE4ELNS1_11target_archE910ELNS1_3gpuE8ELNS1_3repE0EEENS1_30default_config_static_selectorELNS0_4arch9wavefront6targetE0EEEvSM_, .Lfunc_end751-_ZN7rocprim17ROCPRIM_400000_NS6detail17trampoline_kernelINS0_14default_configENS1_37merge_sort_block_sort_config_selectorIlNS0_10empty_typeEEEZNS1_21merge_sort_block_sortIS3_PlS8_PS5_S9_ZN2at6native12_GLOBAL__N_124unique_dim_cuda_templateIdEESt5tupleIJNSA_6TensorESF_SF_EERKSF_lbbbEUlllE_EE10hipError_tT0_T1_T2_T3_mRjT4_P12ihipStream_tbNS1_7vsmem_tEEUlT_E_NS1_11comp_targetILNS1_3genE4ELNS1_11target_archE910ELNS1_3gpuE8ELNS1_3repE0EEENS1_30default_config_static_selectorELNS0_4arch9wavefront6targetE0EEEvSM_
                                        ; -- End function
	.section	.AMDGPU.csdata,"",@progbits
; Kernel info:
; codeLenInByte = 0
; NumSgprs: 0
; NumVgprs: 0
; ScratchSize: 0
; MemoryBound: 0
; FloatMode: 240
; IeeeMode: 1
; LDSByteSize: 0 bytes/workgroup (compile time only)
; SGPRBlocks: 0
; VGPRBlocks: 0
; NumSGPRsForWavesPerEU: 1
; NumVGPRsForWavesPerEU: 1
; Occupancy: 16
; WaveLimiterHint : 0
; COMPUTE_PGM_RSRC2:SCRATCH_EN: 0
; COMPUTE_PGM_RSRC2:USER_SGPR: 15
; COMPUTE_PGM_RSRC2:TRAP_HANDLER: 0
; COMPUTE_PGM_RSRC2:TGID_X_EN: 1
; COMPUTE_PGM_RSRC2:TGID_Y_EN: 0
; COMPUTE_PGM_RSRC2:TGID_Z_EN: 0
; COMPUTE_PGM_RSRC2:TIDIG_COMP_CNT: 0
	.section	.text._ZN7rocprim17ROCPRIM_400000_NS6detail17trampoline_kernelINS0_14default_configENS1_37merge_sort_block_sort_config_selectorIlNS0_10empty_typeEEEZNS1_21merge_sort_block_sortIS3_PlS8_PS5_S9_ZN2at6native12_GLOBAL__N_124unique_dim_cuda_templateIdEESt5tupleIJNSA_6TensorESF_SF_EERKSF_lbbbEUlllE_EE10hipError_tT0_T1_T2_T3_mRjT4_P12ihipStream_tbNS1_7vsmem_tEEUlT_E_NS1_11comp_targetILNS1_3genE3ELNS1_11target_archE908ELNS1_3gpuE7ELNS1_3repE0EEENS1_30default_config_static_selectorELNS0_4arch9wavefront6targetE0EEEvSM_,"axG",@progbits,_ZN7rocprim17ROCPRIM_400000_NS6detail17trampoline_kernelINS0_14default_configENS1_37merge_sort_block_sort_config_selectorIlNS0_10empty_typeEEEZNS1_21merge_sort_block_sortIS3_PlS8_PS5_S9_ZN2at6native12_GLOBAL__N_124unique_dim_cuda_templateIdEESt5tupleIJNSA_6TensorESF_SF_EERKSF_lbbbEUlllE_EE10hipError_tT0_T1_T2_T3_mRjT4_P12ihipStream_tbNS1_7vsmem_tEEUlT_E_NS1_11comp_targetILNS1_3genE3ELNS1_11target_archE908ELNS1_3gpuE7ELNS1_3repE0EEENS1_30default_config_static_selectorELNS0_4arch9wavefront6targetE0EEEvSM_,comdat
	.globl	_ZN7rocprim17ROCPRIM_400000_NS6detail17trampoline_kernelINS0_14default_configENS1_37merge_sort_block_sort_config_selectorIlNS0_10empty_typeEEEZNS1_21merge_sort_block_sortIS3_PlS8_PS5_S9_ZN2at6native12_GLOBAL__N_124unique_dim_cuda_templateIdEESt5tupleIJNSA_6TensorESF_SF_EERKSF_lbbbEUlllE_EE10hipError_tT0_T1_T2_T3_mRjT4_P12ihipStream_tbNS1_7vsmem_tEEUlT_E_NS1_11comp_targetILNS1_3genE3ELNS1_11target_archE908ELNS1_3gpuE7ELNS1_3repE0EEENS1_30default_config_static_selectorELNS0_4arch9wavefront6targetE0EEEvSM_ ; -- Begin function _ZN7rocprim17ROCPRIM_400000_NS6detail17trampoline_kernelINS0_14default_configENS1_37merge_sort_block_sort_config_selectorIlNS0_10empty_typeEEEZNS1_21merge_sort_block_sortIS3_PlS8_PS5_S9_ZN2at6native12_GLOBAL__N_124unique_dim_cuda_templateIdEESt5tupleIJNSA_6TensorESF_SF_EERKSF_lbbbEUlllE_EE10hipError_tT0_T1_T2_T3_mRjT4_P12ihipStream_tbNS1_7vsmem_tEEUlT_E_NS1_11comp_targetILNS1_3genE3ELNS1_11target_archE908ELNS1_3gpuE7ELNS1_3repE0EEENS1_30default_config_static_selectorELNS0_4arch9wavefront6targetE0EEEvSM_
	.p2align	8
	.type	_ZN7rocprim17ROCPRIM_400000_NS6detail17trampoline_kernelINS0_14default_configENS1_37merge_sort_block_sort_config_selectorIlNS0_10empty_typeEEEZNS1_21merge_sort_block_sortIS3_PlS8_PS5_S9_ZN2at6native12_GLOBAL__N_124unique_dim_cuda_templateIdEESt5tupleIJNSA_6TensorESF_SF_EERKSF_lbbbEUlllE_EE10hipError_tT0_T1_T2_T3_mRjT4_P12ihipStream_tbNS1_7vsmem_tEEUlT_E_NS1_11comp_targetILNS1_3genE3ELNS1_11target_archE908ELNS1_3gpuE7ELNS1_3repE0EEENS1_30default_config_static_selectorELNS0_4arch9wavefront6targetE0EEEvSM_,@function
_ZN7rocprim17ROCPRIM_400000_NS6detail17trampoline_kernelINS0_14default_configENS1_37merge_sort_block_sort_config_selectorIlNS0_10empty_typeEEEZNS1_21merge_sort_block_sortIS3_PlS8_PS5_S9_ZN2at6native12_GLOBAL__N_124unique_dim_cuda_templateIdEESt5tupleIJNSA_6TensorESF_SF_EERKSF_lbbbEUlllE_EE10hipError_tT0_T1_T2_T3_mRjT4_P12ihipStream_tbNS1_7vsmem_tEEUlT_E_NS1_11comp_targetILNS1_3genE3ELNS1_11target_archE908ELNS1_3gpuE7ELNS1_3repE0EEENS1_30default_config_static_selectorELNS0_4arch9wavefront6targetE0EEEvSM_: ; @_ZN7rocprim17ROCPRIM_400000_NS6detail17trampoline_kernelINS0_14default_configENS1_37merge_sort_block_sort_config_selectorIlNS0_10empty_typeEEEZNS1_21merge_sort_block_sortIS3_PlS8_PS5_S9_ZN2at6native12_GLOBAL__N_124unique_dim_cuda_templateIdEESt5tupleIJNSA_6TensorESF_SF_EERKSF_lbbbEUlllE_EE10hipError_tT0_T1_T2_T3_mRjT4_P12ihipStream_tbNS1_7vsmem_tEEUlT_E_NS1_11comp_targetILNS1_3genE3ELNS1_11target_archE908ELNS1_3gpuE7ELNS1_3repE0EEENS1_30default_config_static_selectorELNS0_4arch9wavefront6targetE0EEEvSM_
; %bb.0:
	.section	.rodata,"a",@progbits
	.p2align	6, 0x0
	.amdhsa_kernel _ZN7rocprim17ROCPRIM_400000_NS6detail17trampoline_kernelINS0_14default_configENS1_37merge_sort_block_sort_config_selectorIlNS0_10empty_typeEEEZNS1_21merge_sort_block_sortIS3_PlS8_PS5_S9_ZN2at6native12_GLOBAL__N_124unique_dim_cuda_templateIdEESt5tupleIJNSA_6TensorESF_SF_EERKSF_lbbbEUlllE_EE10hipError_tT0_T1_T2_T3_mRjT4_P12ihipStream_tbNS1_7vsmem_tEEUlT_E_NS1_11comp_targetILNS1_3genE3ELNS1_11target_archE908ELNS1_3gpuE7ELNS1_3repE0EEENS1_30default_config_static_selectorELNS0_4arch9wavefront6targetE0EEEvSM_
		.amdhsa_group_segment_fixed_size 0
		.amdhsa_private_segment_fixed_size 0
		.amdhsa_kernarg_size 72
		.amdhsa_user_sgpr_count 15
		.amdhsa_user_sgpr_dispatch_ptr 0
		.amdhsa_user_sgpr_queue_ptr 0
		.amdhsa_user_sgpr_kernarg_segment_ptr 1
		.amdhsa_user_sgpr_dispatch_id 0
		.amdhsa_user_sgpr_private_segment_size 0
		.amdhsa_wavefront_size32 1
		.amdhsa_uses_dynamic_stack 0
		.amdhsa_enable_private_segment 0
		.amdhsa_system_sgpr_workgroup_id_x 1
		.amdhsa_system_sgpr_workgroup_id_y 0
		.amdhsa_system_sgpr_workgroup_id_z 0
		.amdhsa_system_sgpr_workgroup_info 0
		.amdhsa_system_vgpr_workitem_id 0
		.amdhsa_next_free_vgpr 1
		.amdhsa_next_free_sgpr 1
		.amdhsa_reserve_vcc 0
		.amdhsa_float_round_mode_32 0
		.amdhsa_float_round_mode_16_64 0
		.amdhsa_float_denorm_mode_32 3
		.amdhsa_float_denorm_mode_16_64 3
		.amdhsa_dx10_clamp 1
		.amdhsa_ieee_mode 1
		.amdhsa_fp16_overflow 0
		.amdhsa_workgroup_processor_mode 1
		.amdhsa_memory_ordered 1
		.amdhsa_forward_progress 0
		.amdhsa_shared_vgpr_count 0
		.amdhsa_exception_fp_ieee_invalid_op 0
		.amdhsa_exception_fp_denorm_src 0
		.amdhsa_exception_fp_ieee_div_zero 0
		.amdhsa_exception_fp_ieee_overflow 0
		.amdhsa_exception_fp_ieee_underflow 0
		.amdhsa_exception_fp_ieee_inexact 0
		.amdhsa_exception_int_div_zero 0
	.end_amdhsa_kernel
	.section	.text._ZN7rocprim17ROCPRIM_400000_NS6detail17trampoline_kernelINS0_14default_configENS1_37merge_sort_block_sort_config_selectorIlNS0_10empty_typeEEEZNS1_21merge_sort_block_sortIS3_PlS8_PS5_S9_ZN2at6native12_GLOBAL__N_124unique_dim_cuda_templateIdEESt5tupleIJNSA_6TensorESF_SF_EERKSF_lbbbEUlllE_EE10hipError_tT0_T1_T2_T3_mRjT4_P12ihipStream_tbNS1_7vsmem_tEEUlT_E_NS1_11comp_targetILNS1_3genE3ELNS1_11target_archE908ELNS1_3gpuE7ELNS1_3repE0EEENS1_30default_config_static_selectorELNS0_4arch9wavefront6targetE0EEEvSM_,"axG",@progbits,_ZN7rocprim17ROCPRIM_400000_NS6detail17trampoline_kernelINS0_14default_configENS1_37merge_sort_block_sort_config_selectorIlNS0_10empty_typeEEEZNS1_21merge_sort_block_sortIS3_PlS8_PS5_S9_ZN2at6native12_GLOBAL__N_124unique_dim_cuda_templateIdEESt5tupleIJNSA_6TensorESF_SF_EERKSF_lbbbEUlllE_EE10hipError_tT0_T1_T2_T3_mRjT4_P12ihipStream_tbNS1_7vsmem_tEEUlT_E_NS1_11comp_targetILNS1_3genE3ELNS1_11target_archE908ELNS1_3gpuE7ELNS1_3repE0EEENS1_30default_config_static_selectorELNS0_4arch9wavefront6targetE0EEEvSM_,comdat
.Lfunc_end752:
	.size	_ZN7rocprim17ROCPRIM_400000_NS6detail17trampoline_kernelINS0_14default_configENS1_37merge_sort_block_sort_config_selectorIlNS0_10empty_typeEEEZNS1_21merge_sort_block_sortIS3_PlS8_PS5_S9_ZN2at6native12_GLOBAL__N_124unique_dim_cuda_templateIdEESt5tupleIJNSA_6TensorESF_SF_EERKSF_lbbbEUlllE_EE10hipError_tT0_T1_T2_T3_mRjT4_P12ihipStream_tbNS1_7vsmem_tEEUlT_E_NS1_11comp_targetILNS1_3genE3ELNS1_11target_archE908ELNS1_3gpuE7ELNS1_3repE0EEENS1_30default_config_static_selectorELNS0_4arch9wavefront6targetE0EEEvSM_, .Lfunc_end752-_ZN7rocprim17ROCPRIM_400000_NS6detail17trampoline_kernelINS0_14default_configENS1_37merge_sort_block_sort_config_selectorIlNS0_10empty_typeEEEZNS1_21merge_sort_block_sortIS3_PlS8_PS5_S9_ZN2at6native12_GLOBAL__N_124unique_dim_cuda_templateIdEESt5tupleIJNSA_6TensorESF_SF_EERKSF_lbbbEUlllE_EE10hipError_tT0_T1_T2_T3_mRjT4_P12ihipStream_tbNS1_7vsmem_tEEUlT_E_NS1_11comp_targetILNS1_3genE3ELNS1_11target_archE908ELNS1_3gpuE7ELNS1_3repE0EEENS1_30default_config_static_selectorELNS0_4arch9wavefront6targetE0EEEvSM_
                                        ; -- End function
	.section	.AMDGPU.csdata,"",@progbits
; Kernel info:
; codeLenInByte = 0
; NumSgprs: 0
; NumVgprs: 0
; ScratchSize: 0
; MemoryBound: 0
; FloatMode: 240
; IeeeMode: 1
; LDSByteSize: 0 bytes/workgroup (compile time only)
; SGPRBlocks: 0
; VGPRBlocks: 0
; NumSGPRsForWavesPerEU: 1
; NumVGPRsForWavesPerEU: 1
; Occupancy: 16
; WaveLimiterHint : 0
; COMPUTE_PGM_RSRC2:SCRATCH_EN: 0
; COMPUTE_PGM_RSRC2:USER_SGPR: 15
; COMPUTE_PGM_RSRC2:TRAP_HANDLER: 0
; COMPUTE_PGM_RSRC2:TGID_X_EN: 1
; COMPUTE_PGM_RSRC2:TGID_Y_EN: 0
; COMPUTE_PGM_RSRC2:TGID_Z_EN: 0
; COMPUTE_PGM_RSRC2:TIDIG_COMP_CNT: 0
	.section	.text._ZN7rocprim17ROCPRIM_400000_NS6detail17trampoline_kernelINS0_14default_configENS1_37merge_sort_block_sort_config_selectorIlNS0_10empty_typeEEEZNS1_21merge_sort_block_sortIS3_PlS8_PS5_S9_ZN2at6native12_GLOBAL__N_124unique_dim_cuda_templateIdEESt5tupleIJNSA_6TensorESF_SF_EERKSF_lbbbEUlllE_EE10hipError_tT0_T1_T2_T3_mRjT4_P12ihipStream_tbNS1_7vsmem_tEEUlT_E_NS1_11comp_targetILNS1_3genE2ELNS1_11target_archE906ELNS1_3gpuE6ELNS1_3repE0EEENS1_30default_config_static_selectorELNS0_4arch9wavefront6targetE0EEEvSM_,"axG",@progbits,_ZN7rocprim17ROCPRIM_400000_NS6detail17trampoline_kernelINS0_14default_configENS1_37merge_sort_block_sort_config_selectorIlNS0_10empty_typeEEEZNS1_21merge_sort_block_sortIS3_PlS8_PS5_S9_ZN2at6native12_GLOBAL__N_124unique_dim_cuda_templateIdEESt5tupleIJNSA_6TensorESF_SF_EERKSF_lbbbEUlllE_EE10hipError_tT0_T1_T2_T3_mRjT4_P12ihipStream_tbNS1_7vsmem_tEEUlT_E_NS1_11comp_targetILNS1_3genE2ELNS1_11target_archE906ELNS1_3gpuE6ELNS1_3repE0EEENS1_30default_config_static_selectorELNS0_4arch9wavefront6targetE0EEEvSM_,comdat
	.globl	_ZN7rocprim17ROCPRIM_400000_NS6detail17trampoline_kernelINS0_14default_configENS1_37merge_sort_block_sort_config_selectorIlNS0_10empty_typeEEEZNS1_21merge_sort_block_sortIS3_PlS8_PS5_S9_ZN2at6native12_GLOBAL__N_124unique_dim_cuda_templateIdEESt5tupleIJNSA_6TensorESF_SF_EERKSF_lbbbEUlllE_EE10hipError_tT0_T1_T2_T3_mRjT4_P12ihipStream_tbNS1_7vsmem_tEEUlT_E_NS1_11comp_targetILNS1_3genE2ELNS1_11target_archE906ELNS1_3gpuE6ELNS1_3repE0EEENS1_30default_config_static_selectorELNS0_4arch9wavefront6targetE0EEEvSM_ ; -- Begin function _ZN7rocprim17ROCPRIM_400000_NS6detail17trampoline_kernelINS0_14default_configENS1_37merge_sort_block_sort_config_selectorIlNS0_10empty_typeEEEZNS1_21merge_sort_block_sortIS3_PlS8_PS5_S9_ZN2at6native12_GLOBAL__N_124unique_dim_cuda_templateIdEESt5tupleIJNSA_6TensorESF_SF_EERKSF_lbbbEUlllE_EE10hipError_tT0_T1_T2_T3_mRjT4_P12ihipStream_tbNS1_7vsmem_tEEUlT_E_NS1_11comp_targetILNS1_3genE2ELNS1_11target_archE906ELNS1_3gpuE6ELNS1_3repE0EEENS1_30default_config_static_selectorELNS0_4arch9wavefront6targetE0EEEvSM_
	.p2align	8
	.type	_ZN7rocprim17ROCPRIM_400000_NS6detail17trampoline_kernelINS0_14default_configENS1_37merge_sort_block_sort_config_selectorIlNS0_10empty_typeEEEZNS1_21merge_sort_block_sortIS3_PlS8_PS5_S9_ZN2at6native12_GLOBAL__N_124unique_dim_cuda_templateIdEESt5tupleIJNSA_6TensorESF_SF_EERKSF_lbbbEUlllE_EE10hipError_tT0_T1_T2_T3_mRjT4_P12ihipStream_tbNS1_7vsmem_tEEUlT_E_NS1_11comp_targetILNS1_3genE2ELNS1_11target_archE906ELNS1_3gpuE6ELNS1_3repE0EEENS1_30default_config_static_selectorELNS0_4arch9wavefront6targetE0EEEvSM_,@function
_ZN7rocprim17ROCPRIM_400000_NS6detail17trampoline_kernelINS0_14default_configENS1_37merge_sort_block_sort_config_selectorIlNS0_10empty_typeEEEZNS1_21merge_sort_block_sortIS3_PlS8_PS5_S9_ZN2at6native12_GLOBAL__N_124unique_dim_cuda_templateIdEESt5tupleIJNSA_6TensorESF_SF_EERKSF_lbbbEUlllE_EE10hipError_tT0_T1_T2_T3_mRjT4_P12ihipStream_tbNS1_7vsmem_tEEUlT_E_NS1_11comp_targetILNS1_3genE2ELNS1_11target_archE906ELNS1_3gpuE6ELNS1_3repE0EEENS1_30default_config_static_selectorELNS0_4arch9wavefront6targetE0EEEvSM_: ; @_ZN7rocprim17ROCPRIM_400000_NS6detail17trampoline_kernelINS0_14default_configENS1_37merge_sort_block_sort_config_selectorIlNS0_10empty_typeEEEZNS1_21merge_sort_block_sortIS3_PlS8_PS5_S9_ZN2at6native12_GLOBAL__N_124unique_dim_cuda_templateIdEESt5tupleIJNSA_6TensorESF_SF_EERKSF_lbbbEUlllE_EE10hipError_tT0_T1_T2_T3_mRjT4_P12ihipStream_tbNS1_7vsmem_tEEUlT_E_NS1_11comp_targetILNS1_3genE2ELNS1_11target_archE906ELNS1_3gpuE6ELNS1_3repE0EEENS1_30default_config_static_selectorELNS0_4arch9wavefront6targetE0EEEvSM_
; %bb.0:
	.section	.rodata,"a",@progbits
	.p2align	6, 0x0
	.amdhsa_kernel _ZN7rocprim17ROCPRIM_400000_NS6detail17trampoline_kernelINS0_14default_configENS1_37merge_sort_block_sort_config_selectorIlNS0_10empty_typeEEEZNS1_21merge_sort_block_sortIS3_PlS8_PS5_S9_ZN2at6native12_GLOBAL__N_124unique_dim_cuda_templateIdEESt5tupleIJNSA_6TensorESF_SF_EERKSF_lbbbEUlllE_EE10hipError_tT0_T1_T2_T3_mRjT4_P12ihipStream_tbNS1_7vsmem_tEEUlT_E_NS1_11comp_targetILNS1_3genE2ELNS1_11target_archE906ELNS1_3gpuE6ELNS1_3repE0EEENS1_30default_config_static_selectorELNS0_4arch9wavefront6targetE0EEEvSM_
		.amdhsa_group_segment_fixed_size 0
		.amdhsa_private_segment_fixed_size 0
		.amdhsa_kernarg_size 72
		.amdhsa_user_sgpr_count 15
		.amdhsa_user_sgpr_dispatch_ptr 0
		.amdhsa_user_sgpr_queue_ptr 0
		.amdhsa_user_sgpr_kernarg_segment_ptr 1
		.amdhsa_user_sgpr_dispatch_id 0
		.amdhsa_user_sgpr_private_segment_size 0
		.amdhsa_wavefront_size32 1
		.amdhsa_uses_dynamic_stack 0
		.amdhsa_enable_private_segment 0
		.amdhsa_system_sgpr_workgroup_id_x 1
		.amdhsa_system_sgpr_workgroup_id_y 0
		.amdhsa_system_sgpr_workgroup_id_z 0
		.amdhsa_system_sgpr_workgroup_info 0
		.amdhsa_system_vgpr_workitem_id 0
		.amdhsa_next_free_vgpr 1
		.amdhsa_next_free_sgpr 1
		.amdhsa_reserve_vcc 0
		.amdhsa_float_round_mode_32 0
		.amdhsa_float_round_mode_16_64 0
		.amdhsa_float_denorm_mode_32 3
		.amdhsa_float_denorm_mode_16_64 3
		.amdhsa_dx10_clamp 1
		.amdhsa_ieee_mode 1
		.amdhsa_fp16_overflow 0
		.amdhsa_workgroup_processor_mode 1
		.amdhsa_memory_ordered 1
		.amdhsa_forward_progress 0
		.amdhsa_shared_vgpr_count 0
		.amdhsa_exception_fp_ieee_invalid_op 0
		.amdhsa_exception_fp_denorm_src 0
		.amdhsa_exception_fp_ieee_div_zero 0
		.amdhsa_exception_fp_ieee_overflow 0
		.amdhsa_exception_fp_ieee_underflow 0
		.amdhsa_exception_fp_ieee_inexact 0
		.amdhsa_exception_int_div_zero 0
	.end_amdhsa_kernel
	.section	.text._ZN7rocprim17ROCPRIM_400000_NS6detail17trampoline_kernelINS0_14default_configENS1_37merge_sort_block_sort_config_selectorIlNS0_10empty_typeEEEZNS1_21merge_sort_block_sortIS3_PlS8_PS5_S9_ZN2at6native12_GLOBAL__N_124unique_dim_cuda_templateIdEESt5tupleIJNSA_6TensorESF_SF_EERKSF_lbbbEUlllE_EE10hipError_tT0_T1_T2_T3_mRjT4_P12ihipStream_tbNS1_7vsmem_tEEUlT_E_NS1_11comp_targetILNS1_3genE2ELNS1_11target_archE906ELNS1_3gpuE6ELNS1_3repE0EEENS1_30default_config_static_selectorELNS0_4arch9wavefront6targetE0EEEvSM_,"axG",@progbits,_ZN7rocprim17ROCPRIM_400000_NS6detail17trampoline_kernelINS0_14default_configENS1_37merge_sort_block_sort_config_selectorIlNS0_10empty_typeEEEZNS1_21merge_sort_block_sortIS3_PlS8_PS5_S9_ZN2at6native12_GLOBAL__N_124unique_dim_cuda_templateIdEESt5tupleIJNSA_6TensorESF_SF_EERKSF_lbbbEUlllE_EE10hipError_tT0_T1_T2_T3_mRjT4_P12ihipStream_tbNS1_7vsmem_tEEUlT_E_NS1_11comp_targetILNS1_3genE2ELNS1_11target_archE906ELNS1_3gpuE6ELNS1_3repE0EEENS1_30default_config_static_selectorELNS0_4arch9wavefront6targetE0EEEvSM_,comdat
.Lfunc_end753:
	.size	_ZN7rocprim17ROCPRIM_400000_NS6detail17trampoline_kernelINS0_14default_configENS1_37merge_sort_block_sort_config_selectorIlNS0_10empty_typeEEEZNS1_21merge_sort_block_sortIS3_PlS8_PS5_S9_ZN2at6native12_GLOBAL__N_124unique_dim_cuda_templateIdEESt5tupleIJNSA_6TensorESF_SF_EERKSF_lbbbEUlllE_EE10hipError_tT0_T1_T2_T3_mRjT4_P12ihipStream_tbNS1_7vsmem_tEEUlT_E_NS1_11comp_targetILNS1_3genE2ELNS1_11target_archE906ELNS1_3gpuE6ELNS1_3repE0EEENS1_30default_config_static_selectorELNS0_4arch9wavefront6targetE0EEEvSM_, .Lfunc_end753-_ZN7rocprim17ROCPRIM_400000_NS6detail17trampoline_kernelINS0_14default_configENS1_37merge_sort_block_sort_config_selectorIlNS0_10empty_typeEEEZNS1_21merge_sort_block_sortIS3_PlS8_PS5_S9_ZN2at6native12_GLOBAL__N_124unique_dim_cuda_templateIdEESt5tupleIJNSA_6TensorESF_SF_EERKSF_lbbbEUlllE_EE10hipError_tT0_T1_T2_T3_mRjT4_P12ihipStream_tbNS1_7vsmem_tEEUlT_E_NS1_11comp_targetILNS1_3genE2ELNS1_11target_archE906ELNS1_3gpuE6ELNS1_3repE0EEENS1_30default_config_static_selectorELNS0_4arch9wavefront6targetE0EEEvSM_
                                        ; -- End function
	.section	.AMDGPU.csdata,"",@progbits
; Kernel info:
; codeLenInByte = 0
; NumSgprs: 0
; NumVgprs: 0
; ScratchSize: 0
; MemoryBound: 0
; FloatMode: 240
; IeeeMode: 1
; LDSByteSize: 0 bytes/workgroup (compile time only)
; SGPRBlocks: 0
; VGPRBlocks: 0
; NumSGPRsForWavesPerEU: 1
; NumVGPRsForWavesPerEU: 1
; Occupancy: 16
; WaveLimiterHint : 0
; COMPUTE_PGM_RSRC2:SCRATCH_EN: 0
; COMPUTE_PGM_RSRC2:USER_SGPR: 15
; COMPUTE_PGM_RSRC2:TRAP_HANDLER: 0
; COMPUTE_PGM_RSRC2:TGID_X_EN: 1
; COMPUTE_PGM_RSRC2:TGID_Y_EN: 0
; COMPUTE_PGM_RSRC2:TGID_Z_EN: 0
; COMPUTE_PGM_RSRC2:TIDIG_COMP_CNT: 0
	.section	.text._ZN7rocprim17ROCPRIM_400000_NS6detail17trampoline_kernelINS0_14default_configENS1_37merge_sort_block_sort_config_selectorIlNS0_10empty_typeEEEZNS1_21merge_sort_block_sortIS3_PlS8_PS5_S9_ZN2at6native12_GLOBAL__N_124unique_dim_cuda_templateIdEESt5tupleIJNSA_6TensorESF_SF_EERKSF_lbbbEUlllE_EE10hipError_tT0_T1_T2_T3_mRjT4_P12ihipStream_tbNS1_7vsmem_tEEUlT_E_NS1_11comp_targetILNS1_3genE10ELNS1_11target_archE1201ELNS1_3gpuE5ELNS1_3repE0EEENS1_30default_config_static_selectorELNS0_4arch9wavefront6targetE0EEEvSM_,"axG",@progbits,_ZN7rocprim17ROCPRIM_400000_NS6detail17trampoline_kernelINS0_14default_configENS1_37merge_sort_block_sort_config_selectorIlNS0_10empty_typeEEEZNS1_21merge_sort_block_sortIS3_PlS8_PS5_S9_ZN2at6native12_GLOBAL__N_124unique_dim_cuda_templateIdEESt5tupleIJNSA_6TensorESF_SF_EERKSF_lbbbEUlllE_EE10hipError_tT0_T1_T2_T3_mRjT4_P12ihipStream_tbNS1_7vsmem_tEEUlT_E_NS1_11comp_targetILNS1_3genE10ELNS1_11target_archE1201ELNS1_3gpuE5ELNS1_3repE0EEENS1_30default_config_static_selectorELNS0_4arch9wavefront6targetE0EEEvSM_,comdat
	.globl	_ZN7rocprim17ROCPRIM_400000_NS6detail17trampoline_kernelINS0_14default_configENS1_37merge_sort_block_sort_config_selectorIlNS0_10empty_typeEEEZNS1_21merge_sort_block_sortIS3_PlS8_PS5_S9_ZN2at6native12_GLOBAL__N_124unique_dim_cuda_templateIdEESt5tupleIJNSA_6TensorESF_SF_EERKSF_lbbbEUlllE_EE10hipError_tT0_T1_T2_T3_mRjT4_P12ihipStream_tbNS1_7vsmem_tEEUlT_E_NS1_11comp_targetILNS1_3genE10ELNS1_11target_archE1201ELNS1_3gpuE5ELNS1_3repE0EEENS1_30default_config_static_selectorELNS0_4arch9wavefront6targetE0EEEvSM_ ; -- Begin function _ZN7rocprim17ROCPRIM_400000_NS6detail17trampoline_kernelINS0_14default_configENS1_37merge_sort_block_sort_config_selectorIlNS0_10empty_typeEEEZNS1_21merge_sort_block_sortIS3_PlS8_PS5_S9_ZN2at6native12_GLOBAL__N_124unique_dim_cuda_templateIdEESt5tupleIJNSA_6TensorESF_SF_EERKSF_lbbbEUlllE_EE10hipError_tT0_T1_T2_T3_mRjT4_P12ihipStream_tbNS1_7vsmem_tEEUlT_E_NS1_11comp_targetILNS1_3genE10ELNS1_11target_archE1201ELNS1_3gpuE5ELNS1_3repE0EEENS1_30default_config_static_selectorELNS0_4arch9wavefront6targetE0EEEvSM_
	.p2align	8
	.type	_ZN7rocprim17ROCPRIM_400000_NS6detail17trampoline_kernelINS0_14default_configENS1_37merge_sort_block_sort_config_selectorIlNS0_10empty_typeEEEZNS1_21merge_sort_block_sortIS3_PlS8_PS5_S9_ZN2at6native12_GLOBAL__N_124unique_dim_cuda_templateIdEESt5tupleIJNSA_6TensorESF_SF_EERKSF_lbbbEUlllE_EE10hipError_tT0_T1_T2_T3_mRjT4_P12ihipStream_tbNS1_7vsmem_tEEUlT_E_NS1_11comp_targetILNS1_3genE10ELNS1_11target_archE1201ELNS1_3gpuE5ELNS1_3repE0EEENS1_30default_config_static_selectorELNS0_4arch9wavefront6targetE0EEEvSM_,@function
_ZN7rocprim17ROCPRIM_400000_NS6detail17trampoline_kernelINS0_14default_configENS1_37merge_sort_block_sort_config_selectorIlNS0_10empty_typeEEEZNS1_21merge_sort_block_sortIS3_PlS8_PS5_S9_ZN2at6native12_GLOBAL__N_124unique_dim_cuda_templateIdEESt5tupleIJNSA_6TensorESF_SF_EERKSF_lbbbEUlllE_EE10hipError_tT0_T1_T2_T3_mRjT4_P12ihipStream_tbNS1_7vsmem_tEEUlT_E_NS1_11comp_targetILNS1_3genE10ELNS1_11target_archE1201ELNS1_3gpuE5ELNS1_3repE0EEENS1_30default_config_static_selectorELNS0_4arch9wavefront6targetE0EEEvSM_: ; @_ZN7rocprim17ROCPRIM_400000_NS6detail17trampoline_kernelINS0_14default_configENS1_37merge_sort_block_sort_config_selectorIlNS0_10empty_typeEEEZNS1_21merge_sort_block_sortIS3_PlS8_PS5_S9_ZN2at6native12_GLOBAL__N_124unique_dim_cuda_templateIdEESt5tupleIJNSA_6TensorESF_SF_EERKSF_lbbbEUlllE_EE10hipError_tT0_T1_T2_T3_mRjT4_P12ihipStream_tbNS1_7vsmem_tEEUlT_E_NS1_11comp_targetILNS1_3genE10ELNS1_11target_archE1201ELNS1_3gpuE5ELNS1_3repE0EEENS1_30default_config_static_selectorELNS0_4arch9wavefront6targetE0EEEvSM_
; %bb.0:
	.section	.rodata,"a",@progbits
	.p2align	6, 0x0
	.amdhsa_kernel _ZN7rocprim17ROCPRIM_400000_NS6detail17trampoline_kernelINS0_14default_configENS1_37merge_sort_block_sort_config_selectorIlNS0_10empty_typeEEEZNS1_21merge_sort_block_sortIS3_PlS8_PS5_S9_ZN2at6native12_GLOBAL__N_124unique_dim_cuda_templateIdEESt5tupleIJNSA_6TensorESF_SF_EERKSF_lbbbEUlllE_EE10hipError_tT0_T1_T2_T3_mRjT4_P12ihipStream_tbNS1_7vsmem_tEEUlT_E_NS1_11comp_targetILNS1_3genE10ELNS1_11target_archE1201ELNS1_3gpuE5ELNS1_3repE0EEENS1_30default_config_static_selectorELNS0_4arch9wavefront6targetE0EEEvSM_
		.amdhsa_group_segment_fixed_size 0
		.amdhsa_private_segment_fixed_size 0
		.amdhsa_kernarg_size 72
		.amdhsa_user_sgpr_count 15
		.amdhsa_user_sgpr_dispatch_ptr 0
		.amdhsa_user_sgpr_queue_ptr 0
		.amdhsa_user_sgpr_kernarg_segment_ptr 1
		.amdhsa_user_sgpr_dispatch_id 0
		.amdhsa_user_sgpr_private_segment_size 0
		.amdhsa_wavefront_size32 1
		.amdhsa_uses_dynamic_stack 0
		.amdhsa_enable_private_segment 0
		.amdhsa_system_sgpr_workgroup_id_x 1
		.amdhsa_system_sgpr_workgroup_id_y 0
		.amdhsa_system_sgpr_workgroup_id_z 0
		.amdhsa_system_sgpr_workgroup_info 0
		.amdhsa_system_vgpr_workitem_id 0
		.amdhsa_next_free_vgpr 1
		.amdhsa_next_free_sgpr 1
		.amdhsa_reserve_vcc 0
		.amdhsa_float_round_mode_32 0
		.amdhsa_float_round_mode_16_64 0
		.amdhsa_float_denorm_mode_32 3
		.amdhsa_float_denorm_mode_16_64 3
		.amdhsa_dx10_clamp 1
		.amdhsa_ieee_mode 1
		.amdhsa_fp16_overflow 0
		.amdhsa_workgroup_processor_mode 1
		.amdhsa_memory_ordered 1
		.amdhsa_forward_progress 0
		.amdhsa_shared_vgpr_count 0
		.amdhsa_exception_fp_ieee_invalid_op 0
		.amdhsa_exception_fp_denorm_src 0
		.amdhsa_exception_fp_ieee_div_zero 0
		.amdhsa_exception_fp_ieee_overflow 0
		.amdhsa_exception_fp_ieee_underflow 0
		.amdhsa_exception_fp_ieee_inexact 0
		.amdhsa_exception_int_div_zero 0
	.end_amdhsa_kernel
	.section	.text._ZN7rocprim17ROCPRIM_400000_NS6detail17trampoline_kernelINS0_14default_configENS1_37merge_sort_block_sort_config_selectorIlNS0_10empty_typeEEEZNS1_21merge_sort_block_sortIS3_PlS8_PS5_S9_ZN2at6native12_GLOBAL__N_124unique_dim_cuda_templateIdEESt5tupleIJNSA_6TensorESF_SF_EERKSF_lbbbEUlllE_EE10hipError_tT0_T1_T2_T3_mRjT4_P12ihipStream_tbNS1_7vsmem_tEEUlT_E_NS1_11comp_targetILNS1_3genE10ELNS1_11target_archE1201ELNS1_3gpuE5ELNS1_3repE0EEENS1_30default_config_static_selectorELNS0_4arch9wavefront6targetE0EEEvSM_,"axG",@progbits,_ZN7rocprim17ROCPRIM_400000_NS6detail17trampoline_kernelINS0_14default_configENS1_37merge_sort_block_sort_config_selectorIlNS0_10empty_typeEEEZNS1_21merge_sort_block_sortIS3_PlS8_PS5_S9_ZN2at6native12_GLOBAL__N_124unique_dim_cuda_templateIdEESt5tupleIJNSA_6TensorESF_SF_EERKSF_lbbbEUlllE_EE10hipError_tT0_T1_T2_T3_mRjT4_P12ihipStream_tbNS1_7vsmem_tEEUlT_E_NS1_11comp_targetILNS1_3genE10ELNS1_11target_archE1201ELNS1_3gpuE5ELNS1_3repE0EEENS1_30default_config_static_selectorELNS0_4arch9wavefront6targetE0EEEvSM_,comdat
.Lfunc_end754:
	.size	_ZN7rocprim17ROCPRIM_400000_NS6detail17trampoline_kernelINS0_14default_configENS1_37merge_sort_block_sort_config_selectorIlNS0_10empty_typeEEEZNS1_21merge_sort_block_sortIS3_PlS8_PS5_S9_ZN2at6native12_GLOBAL__N_124unique_dim_cuda_templateIdEESt5tupleIJNSA_6TensorESF_SF_EERKSF_lbbbEUlllE_EE10hipError_tT0_T1_T2_T3_mRjT4_P12ihipStream_tbNS1_7vsmem_tEEUlT_E_NS1_11comp_targetILNS1_3genE10ELNS1_11target_archE1201ELNS1_3gpuE5ELNS1_3repE0EEENS1_30default_config_static_selectorELNS0_4arch9wavefront6targetE0EEEvSM_, .Lfunc_end754-_ZN7rocprim17ROCPRIM_400000_NS6detail17trampoline_kernelINS0_14default_configENS1_37merge_sort_block_sort_config_selectorIlNS0_10empty_typeEEEZNS1_21merge_sort_block_sortIS3_PlS8_PS5_S9_ZN2at6native12_GLOBAL__N_124unique_dim_cuda_templateIdEESt5tupleIJNSA_6TensorESF_SF_EERKSF_lbbbEUlllE_EE10hipError_tT0_T1_T2_T3_mRjT4_P12ihipStream_tbNS1_7vsmem_tEEUlT_E_NS1_11comp_targetILNS1_3genE10ELNS1_11target_archE1201ELNS1_3gpuE5ELNS1_3repE0EEENS1_30default_config_static_selectorELNS0_4arch9wavefront6targetE0EEEvSM_
                                        ; -- End function
	.section	.AMDGPU.csdata,"",@progbits
; Kernel info:
; codeLenInByte = 0
; NumSgprs: 0
; NumVgprs: 0
; ScratchSize: 0
; MemoryBound: 0
; FloatMode: 240
; IeeeMode: 1
; LDSByteSize: 0 bytes/workgroup (compile time only)
; SGPRBlocks: 0
; VGPRBlocks: 0
; NumSGPRsForWavesPerEU: 1
; NumVGPRsForWavesPerEU: 1
; Occupancy: 16
; WaveLimiterHint : 0
; COMPUTE_PGM_RSRC2:SCRATCH_EN: 0
; COMPUTE_PGM_RSRC2:USER_SGPR: 15
; COMPUTE_PGM_RSRC2:TRAP_HANDLER: 0
; COMPUTE_PGM_RSRC2:TGID_X_EN: 1
; COMPUTE_PGM_RSRC2:TGID_Y_EN: 0
; COMPUTE_PGM_RSRC2:TGID_Z_EN: 0
; COMPUTE_PGM_RSRC2:TIDIG_COMP_CNT: 0
	.section	.text._ZN7rocprim17ROCPRIM_400000_NS6detail17trampoline_kernelINS0_14default_configENS1_37merge_sort_block_sort_config_selectorIlNS0_10empty_typeEEEZNS1_21merge_sort_block_sortIS3_PlS8_PS5_S9_ZN2at6native12_GLOBAL__N_124unique_dim_cuda_templateIdEESt5tupleIJNSA_6TensorESF_SF_EERKSF_lbbbEUlllE_EE10hipError_tT0_T1_T2_T3_mRjT4_P12ihipStream_tbNS1_7vsmem_tEEUlT_E_NS1_11comp_targetILNS1_3genE10ELNS1_11target_archE1200ELNS1_3gpuE4ELNS1_3repE0EEENS1_30default_config_static_selectorELNS0_4arch9wavefront6targetE0EEEvSM_,"axG",@progbits,_ZN7rocprim17ROCPRIM_400000_NS6detail17trampoline_kernelINS0_14default_configENS1_37merge_sort_block_sort_config_selectorIlNS0_10empty_typeEEEZNS1_21merge_sort_block_sortIS3_PlS8_PS5_S9_ZN2at6native12_GLOBAL__N_124unique_dim_cuda_templateIdEESt5tupleIJNSA_6TensorESF_SF_EERKSF_lbbbEUlllE_EE10hipError_tT0_T1_T2_T3_mRjT4_P12ihipStream_tbNS1_7vsmem_tEEUlT_E_NS1_11comp_targetILNS1_3genE10ELNS1_11target_archE1200ELNS1_3gpuE4ELNS1_3repE0EEENS1_30default_config_static_selectorELNS0_4arch9wavefront6targetE0EEEvSM_,comdat
	.globl	_ZN7rocprim17ROCPRIM_400000_NS6detail17trampoline_kernelINS0_14default_configENS1_37merge_sort_block_sort_config_selectorIlNS0_10empty_typeEEEZNS1_21merge_sort_block_sortIS3_PlS8_PS5_S9_ZN2at6native12_GLOBAL__N_124unique_dim_cuda_templateIdEESt5tupleIJNSA_6TensorESF_SF_EERKSF_lbbbEUlllE_EE10hipError_tT0_T1_T2_T3_mRjT4_P12ihipStream_tbNS1_7vsmem_tEEUlT_E_NS1_11comp_targetILNS1_3genE10ELNS1_11target_archE1200ELNS1_3gpuE4ELNS1_3repE0EEENS1_30default_config_static_selectorELNS0_4arch9wavefront6targetE0EEEvSM_ ; -- Begin function _ZN7rocprim17ROCPRIM_400000_NS6detail17trampoline_kernelINS0_14default_configENS1_37merge_sort_block_sort_config_selectorIlNS0_10empty_typeEEEZNS1_21merge_sort_block_sortIS3_PlS8_PS5_S9_ZN2at6native12_GLOBAL__N_124unique_dim_cuda_templateIdEESt5tupleIJNSA_6TensorESF_SF_EERKSF_lbbbEUlllE_EE10hipError_tT0_T1_T2_T3_mRjT4_P12ihipStream_tbNS1_7vsmem_tEEUlT_E_NS1_11comp_targetILNS1_3genE10ELNS1_11target_archE1200ELNS1_3gpuE4ELNS1_3repE0EEENS1_30default_config_static_selectorELNS0_4arch9wavefront6targetE0EEEvSM_
	.p2align	8
	.type	_ZN7rocprim17ROCPRIM_400000_NS6detail17trampoline_kernelINS0_14default_configENS1_37merge_sort_block_sort_config_selectorIlNS0_10empty_typeEEEZNS1_21merge_sort_block_sortIS3_PlS8_PS5_S9_ZN2at6native12_GLOBAL__N_124unique_dim_cuda_templateIdEESt5tupleIJNSA_6TensorESF_SF_EERKSF_lbbbEUlllE_EE10hipError_tT0_T1_T2_T3_mRjT4_P12ihipStream_tbNS1_7vsmem_tEEUlT_E_NS1_11comp_targetILNS1_3genE10ELNS1_11target_archE1200ELNS1_3gpuE4ELNS1_3repE0EEENS1_30default_config_static_selectorELNS0_4arch9wavefront6targetE0EEEvSM_,@function
_ZN7rocprim17ROCPRIM_400000_NS6detail17trampoline_kernelINS0_14default_configENS1_37merge_sort_block_sort_config_selectorIlNS0_10empty_typeEEEZNS1_21merge_sort_block_sortIS3_PlS8_PS5_S9_ZN2at6native12_GLOBAL__N_124unique_dim_cuda_templateIdEESt5tupleIJNSA_6TensorESF_SF_EERKSF_lbbbEUlllE_EE10hipError_tT0_T1_T2_T3_mRjT4_P12ihipStream_tbNS1_7vsmem_tEEUlT_E_NS1_11comp_targetILNS1_3genE10ELNS1_11target_archE1200ELNS1_3gpuE4ELNS1_3repE0EEENS1_30default_config_static_selectorELNS0_4arch9wavefront6targetE0EEEvSM_: ; @_ZN7rocprim17ROCPRIM_400000_NS6detail17trampoline_kernelINS0_14default_configENS1_37merge_sort_block_sort_config_selectorIlNS0_10empty_typeEEEZNS1_21merge_sort_block_sortIS3_PlS8_PS5_S9_ZN2at6native12_GLOBAL__N_124unique_dim_cuda_templateIdEESt5tupleIJNSA_6TensorESF_SF_EERKSF_lbbbEUlllE_EE10hipError_tT0_T1_T2_T3_mRjT4_P12ihipStream_tbNS1_7vsmem_tEEUlT_E_NS1_11comp_targetILNS1_3genE10ELNS1_11target_archE1200ELNS1_3gpuE4ELNS1_3repE0EEENS1_30default_config_static_selectorELNS0_4arch9wavefront6targetE0EEEvSM_
; %bb.0:
	.section	.rodata,"a",@progbits
	.p2align	6, 0x0
	.amdhsa_kernel _ZN7rocprim17ROCPRIM_400000_NS6detail17trampoline_kernelINS0_14default_configENS1_37merge_sort_block_sort_config_selectorIlNS0_10empty_typeEEEZNS1_21merge_sort_block_sortIS3_PlS8_PS5_S9_ZN2at6native12_GLOBAL__N_124unique_dim_cuda_templateIdEESt5tupleIJNSA_6TensorESF_SF_EERKSF_lbbbEUlllE_EE10hipError_tT0_T1_T2_T3_mRjT4_P12ihipStream_tbNS1_7vsmem_tEEUlT_E_NS1_11comp_targetILNS1_3genE10ELNS1_11target_archE1200ELNS1_3gpuE4ELNS1_3repE0EEENS1_30default_config_static_selectorELNS0_4arch9wavefront6targetE0EEEvSM_
		.amdhsa_group_segment_fixed_size 0
		.amdhsa_private_segment_fixed_size 0
		.amdhsa_kernarg_size 72
		.amdhsa_user_sgpr_count 15
		.amdhsa_user_sgpr_dispatch_ptr 0
		.amdhsa_user_sgpr_queue_ptr 0
		.amdhsa_user_sgpr_kernarg_segment_ptr 1
		.amdhsa_user_sgpr_dispatch_id 0
		.amdhsa_user_sgpr_private_segment_size 0
		.amdhsa_wavefront_size32 1
		.amdhsa_uses_dynamic_stack 0
		.amdhsa_enable_private_segment 0
		.amdhsa_system_sgpr_workgroup_id_x 1
		.amdhsa_system_sgpr_workgroup_id_y 0
		.amdhsa_system_sgpr_workgroup_id_z 0
		.amdhsa_system_sgpr_workgroup_info 0
		.amdhsa_system_vgpr_workitem_id 0
		.amdhsa_next_free_vgpr 1
		.amdhsa_next_free_sgpr 1
		.amdhsa_reserve_vcc 0
		.amdhsa_float_round_mode_32 0
		.amdhsa_float_round_mode_16_64 0
		.amdhsa_float_denorm_mode_32 3
		.amdhsa_float_denorm_mode_16_64 3
		.amdhsa_dx10_clamp 1
		.amdhsa_ieee_mode 1
		.amdhsa_fp16_overflow 0
		.amdhsa_workgroup_processor_mode 1
		.amdhsa_memory_ordered 1
		.amdhsa_forward_progress 0
		.amdhsa_shared_vgpr_count 0
		.amdhsa_exception_fp_ieee_invalid_op 0
		.amdhsa_exception_fp_denorm_src 0
		.amdhsa_exception_fp_ieee_div_zero 0
		.amdhsa_exception_fp_ieee_overflow 0
		.amdhsa_exception_fp_ieee_underflow 0
		.amdhsa_exception_fp_ieee_inexact 0
		.amdhsa_exception_int_div_zero 0
	.end_amdhsa_kernel
	.section	.text._ZN7rocprim17ROCPRIM_400000_NS6detail17trampoline_kernelINS0_14default_configENS1_37merge_sort_block_sort_config_selectorIlNS0_10empty_typeEEEZNS1_21merge_sort_block_sortIS3_PlS8_PS5_S9_ZN2at6native12_GLOBAL__N_124unique_dim_cuda_templateIdEESt5tupleIJNSA_6TensorESF_SF_EERKSF_lbbbEUlllE_EE10hipError_tT0_T1_T2_T3_mRjT4_P12ihipStream_tbNS1_7vsmem_tEEUlT_E_NS1_11comp_targetILNS1_3genE10ELNS1_11target_archE1200ELNS1_3gpuE4ELNS1_3repE0EEENS1_30default_config_static_selectorELNS0_4arch9wavefront6targetE0EEEvSM_,"axG",@progbits,_ZN7rocprim17ROCPRIM_400000_NS6detail17trampoline_kernelINS0_14default_configENS1_37merge_sort_block_sort_config_selectorIlNS0_10empty_typeEEEZNS1_21merge_sort_block_sortIS3_PlS8_PS5_S9_ZN2at6native12_GLOBAL__N_124unique_dim_cuda_templateIdEESt5tupleIJNSA_6TensorESF_SF_EERKSF_lbbbEUlllE_EE10hipError_tT0_T1_T2_T3_mRjT4_P12ihipStream_tbNS1_7vsmem_tEEUlT_E_NS1_11comp_targetILNS1_3genE10ELNS1_11target_archE1200ELNS1_3gpuE4ELNS1_3repE0EEENS1_30default_config_static_selectorELNS0_4arch9wavefront6targetE0EEEvSM_,comdat
.Lfunc_end755:
	.size	_ZN7rocprim17ROCPRIM_400000_NS6detail17trampoline_kernelINS0_14default_configENS1_37merge_sort_block_sort_config_selectorIlNS0_10empty_typeEEEZNS1_21merge_sort_block_sortIS3_PlS8_PS5_S9_ZN2at6native12_GLOBAL__N_124unique_dim_cuda_templateIdEESt5tupleIJNSA_6TensorESF_SF_EERKSF_lbbbEUlllE_EE10hipError_tT0_T1_T2_T3_mRjT4_P12ihipStream_tbNS1_7vsmem_tEEUlT_E_NS1_11comp_targetILNS1_3genE10ELNS1_11target_archE1200ELNS1_3gpuE4ELNS1_3repE0EEENS1_30default_config_static_selectorELNS0_4arch9wavefront6targetE0EEEvSM_, .Lfunc_end755-_ZN7rocprim17ROCPRIM_400000_NS6detail17trampoline_kernelINS0_14default_configENS1_37merge_sort_block_sort_config_selectorIlNS0_10empty_typeEEEZNS1_21merge_sort_block_sortIS3_PlS8_PS5_S9_ZN2at6native12_GLOBAL__N_124unique_dim_cuda_templateIdEESt5tupleIJNSA_6TensorESF_SF_EERKSF_lbbbEUlllE_EE10hipError_tT0_T1_T2_T3_mRjT4_P12ihipStream_tbNS1_7vsmem_tEEUlT_E_NS1_11comp_targetILNS1_3genE10ELNS1_11target_archE1200ELNS1_3gpuE4ELNS1_3repE0EEENS1_30default_config_static_selectorELNS0_4arch9wavefront6targetE0EEEvSM_
                                        ; -- End function
	.section	.AMDGPU.csdata,"",@progbits
; Kernel info:
; codeLenInByte = 0
; NumSgprs: 0
; NumVgprs: 0
; ScratchSize: 0
; MemoryBound: 0
; FloatMode: 240
; IeeeMode: 1
; LDSByteSize: 0 bytes/workgroup (compile time only)
; SGPRBlocks: 0
; VGPRBlocks: 0
; NumSGPRsForWavesPerEU: 1
; NumVGPRsForWavesPerEU: 1
; Occupancy: 16
; WaveLimiterHint : 0
; COMPUTE_PGM_RSRC2:SCRATCH_EN: 0
; COMPUTE_PGM_RSRC2:USER_SGPR: 15
; COMPUTE_PGM_RSRC2:TRAP_HANDLER: 0
; COMPUTE_PGM_RSRC2:TGID_X_EN: 1
; COMPUTE_PGM_RSRC2:TGID_Y_EN: 0
; COMPUTE_PGM_RSRC2:TGID_Z_EN: 0
; COMPUTE_PGM_RSRC2:TIDIG_COMP_CNT: 0
	.section	.text._ZN7rocprim17ROCPRIM_400000_NS6detail17trampoline_kernelINS0_14default_configENS1_37merge_sort_block_sort_config_selectorIlNS0_10empty_typeEEEZNS1_21merge_sort_block_sortIS3_PlS8_PS5_S9_ZN2at6native12_GLOBAL__N_124unique_dim_cuda_templateIdEESt5tupleIJNSA_6TensorESF_SF_EERKSF_lbbbEUlllE_EE10hipError_tT0_T1_T2_T3_mRjT4_P12ihipStream_tbNS1_7vsmem_tEEUlT_E_NS1_11comp_targetILNS1_3genE9ELNS1_11target_archE1100ELNS1_3gpuE3ELNS1_3repE0EEENS1_30default_config_static_selectorELNS0_4arch9wavefront6targetE0EEEvSM_,"axG",@progbits,_ZN7rocprim17ROCPRIM_400000_NS6detail17trampoline_kernelINS0_14default_configENS1_37merge_sort_block_sort_config_selectorIlNS0_10empty_typeEEEZNS1_21merge_sort_block_sortIS3_PlS8_PS5_S9_ZN2at6native12_GLOBAL__N_124unique_dim_cuda_templateIdEESt5tupleIJNSA_6TensorESF_SF_EERKSF_lbbbEUlllE_EE10hipError_tT0_T1_T2_T3_mRjT4_P12ihipStream_tbNS1_7vsmem_tEEUlT_E_NS1_11comp_targetILNS1_3genE9ELNS1_11target_archE1100ELNS1_3gpuE3ELNS1_3repE0EEENS1_30default_config_static_selectorELNS0_4arch9wavefront6targetE0EEEvSM_,comdat
	.globl	_ZN7rocprim17ROCPRIM_400000_NS6detail17trampoline_kernelINS0_14default_configENS1_37merge_sort_block_sort_config_selectorIlNS0_10empty_typeEEEZNS1_21merge_sort_block_sortIS3_PlS8_PS5_S9_ZN2at6native12_GLOBAL__N_124unique_dim_cuda_templateIdEESt5tupleIJNSA_6TensorESF_SF_EERKSF_lbbbEUlllE_EE10hipError_tT0_T1_T2_T3_mRjT4_P12ihipStream_tbNS1_7vsmem_tEEUlT_E_NS1_11comp_targetILNS1_3genE9ELNS1_11target_archE1100ELNS1_3gpuE3ELNS1_3repE0EEENS1_30default_config_static_selectorELNS0_4arch9wavefront6targetE0EEEvSM_ ; -- Begin function _ZN7rocprim17ROCPRIM_400000_NS6detail17trampoline_kernelINS0_14default_configENS1_37merge_sort_block_sort_config_selectorIlNS0_10empty_typeEEEZNS1_21merge_sort_block_sortIS3_PlS8_PS5_S9_ZN2at6native12_GLOBAL__N_124unique_dim_cuda_templateIdEESt5tupleIJNSA_6TensorESF_SF_EERKSF_lbbbEUlllE_EE10hipError_tT0_T1_T2_T3_mRjT4_P12ihipStream_tbNS1_7vsmem_tEEUlT_E_NS1_11comp_targetILNS1_3genE9ELNS1_11target_archE1100ELNS1_3gpuE3ELNS1_3repE0EEENS1_30default_config_static_selectorELNS0_4arch9wavefront6targetE0EEEvSM_
	.p2align	8
	.type	_ZN7rocprim17ROCPRIM_400000_NS6detail17trampoline_kernelINS0_14default_configENS1_37merge_sort_block_sort_config_selectorIlNS0_10empty_typeEEEZNS1_21merge_sort_block_sortIS3_PlS8_PS5_S9_ZN2at6native12_GLOBAL__N_124unique_dim_cuda_templateIdEESt5tupleIJNSA_6TensorESF_SF_EERKSF_lbbbEUlllE_EE10hipError_tT0_T1_T2_T3_mRjT4_P12ihipStream_tbNS1_7vsmem_tEEUlT_E_NS1_11comp_targetILNS1_3genE9ELNS1_11target_archE1100ELNS1_3gpuE3ELNS1_3repE0EEENS1_30default_config_static_selectorELNS0_4arch9wavefront6targetE0EEEvSM_,@function
_ZN7rocprim17ROCPRIM_400000_NS6detail17trampoline_kernelINS0_14default_configENS1_37merge_sort_block_sort_config_selectorIlNS0_10empty_typeEEEZNS1_21merge_sort_block_sortIS3_PlS8_PS5_S9_ZN2at6native12_GLOBAL__N_124unique_dim_cuda_templateIdEESt5tupleIJNSA_6TensorESF_SF_EERKSF_lbbbEUlllE_EE10hipError_tT0_T1_T2_T3_mRjT4_P12ihipStream_tbNS1_7vsmem_tEEUlT_E_NS1_11comp_targetILNS1_3genE9ELNS1_11target_archE1100ELNS1_3gpuE3ELNS1_3repE0EEENS1_30default_config_static_selectorELNS0_4arch9wavefront6targetE0EEEvSM_: ; @_ZN7rocprim17ROCPRIM_400000_NS6detail17trampoline_kernelINS0_14default_configENS1_37merge_sort_block_sort_config_selectorIlNS0_10empty_typeEEEZNS1_21merge_sort_block_sortIS3_PlS8_PS5_S9_ZN2at6native12_GLOBAL__N_124unique_dim_cuda_templateIdEESt5tupleIJNSA_6TensorESF_SF_EERKSF_lbbbEUlllE_EE10hipError_tT0_T1_T2_T3_mRjT4_P12ihipStream_tbNS1_7vsmem_tEEUlT_E_NS1_11comp_targetILNS1_3genE9ELNS1_11target_archE1100ELNS1_3gpuE3ELNS1_3repE0EEENS1_30default_config_static_selectorELNS0_4arch9wavefront6targetE0EEEvSM_
; %bb.0:
	s_clause 0x1
	s_load_b64 s[16:17], s[0:1], 0x48
	s_load_b32 s3, s[0:1], 0x0
	s_add_u32 s4, s0, 0x48
	s_addc_u32 s5, s1, 0
	s_waitcnt lgkmcnt(0)
	s_mul_i32 s2, s17, s15
	s_delay_alu instid0(SALU_CYCLE_1) | instskip(NEXT) | instid1(SALU_CYCLE_1)
	s_add_i32 s2, s2, s14
	s_mul_i32 s2, s2, s16
	s_delay_alu instid0(SALU_CYCLE_1) | instskip(NEXT) | instid1(SALU_CYCLE_1)
	s_add_i32 s2, s2, s13
	s_cmp_ge_u32 s2, s3
	s_cbranch_scc1 .LBB756_726
; %bb.1:
	s_clause 0x2
	s_load_b64 s[18:19], s[0:1], 0x8
	s_load_b128 s[8:11], s[0:1], 0x38
	s_load_b128 s[20:23], s[0:1], 0x18
	v_and_b32_e32 v12, 0x3ff, v0
	s_mov_b32 s3, 0
	v_bfe_u32 v24, v0, 10, 10
	s_lshl_b64 s[0:1], s[2:3], 13
	v_bfe_u32 v25, v0, 20, 10
	v_lshlrev_b32_e32 v22, 3, v12
	v_lshrrev_b32_e32 v27, 2, v12
	v_add_nc_u32_e32 v30, 0x100, v12
	v_add_nc_u32_e32 v29, 0x200, v12
	;; [unrolled: 1-line block ×3, first 2 shown]
	v_lshlrev_b32_e32 v23, 2, v12
	v_lshrrev_b32_e32 v26, 3, v12
	s_waitcnt lgkmcnt(0)
	s_lshr_b64 s[24:25], s[18:19], 10
	v_cmp_gt_i64_e64 s17, s[8:9], 0
	s_add_u32 s14, s20, s0
	s_addc_u32 s15, s21, s1
	s_add_u32 s6, s22, s0
	s_addc_u32 s7, s23, s1
	s_cmp_lg_u64 s[24:25], s[2:3]
	s_cbranch_scc0 .LBB756_8
; %bb.2:
	v_add_co_u32 v0, s0, s14, v22
	s_delay_alu instid0(VALU_DEP_1) | instskip(SKIP_1) | instid1(VALU_DEP_3)
	v_add_co_ci_u32_e64 v1, null, s15, 0, s0
	v_lshrrev_b32_e32 v8, 2, v30
	v_add_co_u32 v0, vcc_lo, 0x1000, v0
	s_delay_alu instid0(VALU_DEP_3)
	v_add_co_ci_u32_e32 v1, vcc_lo, 0, v1, vcc_lo
	v_lshrrev_b32_e32 v9, 2, v29
	s_clause 0x3
	global_load_b64 v[2:3], v22, s[14:15]
	global_load_b64 v[4:5], v22, s[14:15] offset:2048
	global_load_b64 v[6:7], v[0:1], off
	global_load_b64 v[0:1], v[0:1], off offset:2048
	v_lshrrev_b32_e32 v10, 2, v28
	v_and_b32_e32 v11, 0xf8, v27
	v_dual_mov_b32 v13, 0 :: v_dual_and_b32 v8, 0x1f8, v8
	v_and_b32_e32 v9, 0x1f8, v9
	s_delay_alu instid0(VALU_DEP_4) | instskip(NEXT) | instid1(VALU_DEP_4)
	v_and_b32_e32 v10, 0x1f8, v10
	v_add_nc_u32_e32 v31, v11, v22
	v_add_lshl_u32 v35, v26, v23, 3
	v_add_nc_u32_e32 v34, v8, v22
	v_add_nc_u32_e32 v32, v9, v22
	v_add_nc_u32_e32 v33, v10, v22
	v_cndmask_b32_e64 v36, 0, 1, s17
	s_waitcnt vmcnt(3)
	ds_store_b64 v31, v[2:3]
	s_waitcnt vmcnt(2)
	ds_store_b64 v34, v[4:5] offset:2048
	s_waitcnt vmcnt(1)
	ds_store_b64 v32, v[6:7] offset:4096
	;; [unrolled: 2-line block ×3, first 2 shown]
	s_waitcnt lgkmcnt(0)
	s_barrier
	buffer_gl0_inv
	ds_load_2addr_b64 v[8:11], v35 offset1:1
	ds_load_2addr_b64 v[4:7], v35 offset0:2 offset1:3
	s_waitcnt lgkmcnt(0)
	s_barrier
	buffer_gl0_inv
	s_load_b32 s0, s[4:5], 0xc
	v_dual_mov_b32 v3, v11 :: v_dual_mov_b32 v2, v10
	s_waitcnt lgkmcnt(0)
	s_lshr_b32 s12, s0, 16
	s_cmp_lt_u32 s13, s16
	v_mad_u32_u24 v1, v25, s12, v24
	s_cselect_b32 s0, 12, 18
	s_mov_b32 s12, exec_lo
	s_add_u32 s0, s4, s0
	s_addc_u32 s1, s5, 0
	global_load_u16 v0, v13, s[0:1]
	s_waitcnt vmcnt(0)
	v_mul_lo_u32 v0, v1, v0
	v_mov_b32_e32 v1, v9
	s_delay_alu instid0(VALU_DEP_2) | instskip(SKIP_1) | instid1(VALU_DEP_2)
	v_add_lshl_u32 v37, v0, v12, 2
	v_mov_b32_e32 v0, v8
	v_cmpx_gt_u32_e32 0x400, v37
	s_cbranch_execz .LBB756_60
; %bb.3:
	s_and_not1_b32 vcc_lo, exec_lo, s17
	s_cbranch_vccnz .LBB756_14
; %bb.4:
	v_mul_lo_u32 v18, v11, s8
	v_mul_lo_u32 v19, v10, s9
	v_mad_u64_u32 v[14:15], null, v10, s8, 0
	v_mul_lo_u32 v20, v9, s8
	v_mul_lo_u32 v21, v8, s9
	v_mad_u64_u32 v[16:17], null, v8, s8, 0
	s_mov_b32 s22, 0
	s_mov_b64 s[20:21], s[8:9]
	s_delay_alu instid0(VALU_DEP_4) | instskip(NEXT) | instid1(VALU_DEP_2)
	v_add3_u32 v15, v15, v19, v18
                                        ; implicit-def: $sgpr19
                                        ; implicit-def: $sgpr23
                                        ; implicit-def: $sgpr25
                                        ; implicit-def: $sgpr24
                                        ; implicit-def: $sgpr26
                                        ; implicit-def: $sgpr27
	v_add3_u32 v17, v17, v21, v20
	s_delay_alu instid0(VALU_DEP_2) | instskip(NEXT) | instid1(VALU_DEP_2)
	v_lshlrev_b64 v[14:15], 3, v[14:15]
	v_lshlrev_b64 v[16:17], 3, v[16:17]
	s_delay_alu instid0(VALU_DEP_2) | instskip(NEXT) | instid1(VALU_DEP_3)
	v_add_co_u32 v14, vcc_lo, s10, v14
	v_add_co_ci_u32_e32 v15, vcc_lo, s11, v15, vcc_lo
	s_delay_alu instid0(VALU_DEP_3) | instskip(NEXT) | instid1(VALU_DEP_4)
	v_add_co_u32 v16, vcc_lo, s10, v16
	v_add_co_ci_u32_e32 v17, vcc_lo, s11, v17, vcc_lo
	s_set_inst_prefetch_distance 0x1
	s_branch .LBB756_6
	.p2align	6
.LBB756_5:                              ;   in Loop: Header=BB756_6 Depth=1
	s_or_b32 exec_lo, exec_lo, s28
	s_delay_alu instid0(SALU_CYCLE_1) | instskip(NEXT) | instid1(SALU_CYCLE_1)
	s_and_b32 s1, exec_lo, s25
	s_or_b32 s22, s1, s22
	s_and_not1_b32 s1, s27, exec_lo
	s_and_b32 s27, s26, exec_lo
	s_and_not1_b32 s23, s23, exec_lo
	s_or_b32 s27, s1, s27
	s_and_b32 s1, s24, exec_lo
	s_and_not1_b32 s19, s19, exec_lo
	s_and_b32 s0, s0, exec_lo
	s_or_b32 s23, s23, s1
	s_or_b32 s19, s19, s0
	s_and_not1_b32 exec_lo, exec_lo, s22
	s_cbranch_execz .LBB756_9
.LBB756_6:                              ; =>This Inner Loop Header: Depth=1
	global_load_b64 v[18:19], v[14:15], off
	global_load_b64 v[20:21], v[16:17], off
	s_and_not1_b32 s26, s26, exec_lo
	s_or_b32 s24, s24, exec_lo
	s_or_b32 s25, s25, exec_lo
	s_waitcnt vmcnt(0)
	v_cmp_ngt_f64_e32 vcc_lo, v[18:19], v[20:21]
	v_cmp_lt_f64_e64 s0, v[18:19], v[20:21]
	s_and_b32 s28, vcc_lo, s27
	s_delay_alu instid0(VALU_DEP_1) | instid1(SALU_CYCLE_1)
	s_or_b32 s0, s0, s28
	s_mov_b32 s28, exec_lo
	v_cmpx_nlg_f64_e32 v[18:19], v[20:21]
	s_cbranch_execz .LBB756_5
; %bb.7:                                ;   in Loop: Header=BB756_6 Depth=1
	s_add_u32 s20, s20, -1
	s_addc_u32 s21, s21, -1
	v_add_co_u32 v14, vcc_lo, v14, 8
	s_cmp_eq_u64 s[20:21], 0
	v_add_co_ci_u32_e32 v15, vcc_lo, 0, v15, vcc_lo
	v_add_co_u32 v16, vcc_lo, v16, 8
	s_cselect_b32 s1, -1, 0
	v_add_co_ci_u32_e32 v17, vcc_lo, 0, v17, vcc_lo
	s_and_not1_b32 s26, s26, exec_lo
	s_and_b32 s27, s0, exec_lo
	s_and_not1_b32 s25, s25, exec_lo
	s_and_b32 s1, s1, exec_lo
	s_or_b32 s26, s26, s27
	s_and_not1_b32 s24, s24, exec_lo
	s_or_b32 s25, s25, s1
                                        ; implicit-def: $sgpr27
	s_branch .LBB756_5
.LBB756_8:
	s_mov_b32 s17, s3
                                        ; implicit-def: $vgpr0_vgpr1
	s_cbranch_execnz .LBB756_430
	s_branch .LBB756_724
.LBB756_9:
	s_set_inst_prefetch_distance 0x2
	s_or_b32 exec_lo, exec_lo, s22
	s_and_saveexec_b32 s0, s23
	s_delay_alu instid0(SALU_CYCLE_1)
	s_xor_b32 s0, exec_lo, s0
	s_cbranch_execz .LBB756_13
; %bb.10:
	v_dual_mov_b32 v15, v11 :: v_dual_mov_b32 v14, v10
	s_and_saveexec_b32 s1, s19
; %bb.11:
	v_dual_mov_b32 v0, v10 :: v_dual_mov_b32 v1, v11
	v_dual_mov_b32 v2, v8 :: v_dual_mov_b32 v3, v9
	;; [unrolled: 1-line block ×4, first 2 shown]
; %bb.12:
	s_or_b32 exec_lo, exec_lo, s1
	s_delay_alu instid0(VALU_DEP_2)
	v_dual_mov_b32 v10, v14 :: v_dual_mov_b32 v11, v15
.LBB756_13:
	s_or_b32 exec_lo, exec_lo, s0
.LBB756_14:
	v_dual_mov_b32 v16, v6 :: v_dual_mov_b32 v17, v7
	v_dual_mov_b32 v14, v4 :: v_dual_mov_b32 v15, v5
	s_and_not1_b32 vcc_lo, exec_lo, s17
	s_cbranch_vccnz .LBB756_24
; %bb.15:
	v_mul_lo_u32 v38, v7, s8
	v_mul_lo_u32 v39, v6, s9
	v_mad_u64_u32 v[18:19], null, v6, s8, 0
	v_mul_lo_u32 v40, v5, s8
	v_mul_lo_u32 v41, v4, s9
	v_mad_u64_u32 v[20:21], null, v4, s8, 0
	s_mov_b32 s22, 0
	s_mov_b64 s[20:21], s[8:9]
	s_delay_alu instid0(VALU_DEP_4) | instskip(NEXT) | instid1(VALU_DEP_2)
	v_add3_u32 v19, v19, v39, v38
                                        ; implicit-def: $sgpr19
                                        ; implicit-def: $sgpr23
                                        ; implicit-def: $sgpr25
                                        ; implicit-def: $sgpr24
                                        ; implicit-def: $sgpr26
                                        ; implicit-def: $sgpr27
	v_add3_u32 v21, v21, v41, v40
	s_delay_alu instid0(VALU_DEP_2) | instskip(NEXT) | instid1(VALU_DEP_2)
	v_lshlrev_b64 v[18:19], 3, v[18:19]
	v_lshlrev_b64 v[20:21], 3, v[20:21]
	s_delay_alu instid0(VALU_DEP_2) | instskip(NEXT) | instid1(VALU_DEP_3)
	v_add_co_u32 v18, vcc_lo, s10, v18
	v_add_co_ci_u32_e32 v19, vcc_lo, s11, v19, vcc_lo
	s_delay_alu instid0(VALU_DEP_3) | instskip(NEXT) | instid1(VALU_DEP_4)
	v_add_co_u32 v20, vcc_lo, s10, v20
	v_add_co_ci_u32_e32 v21, vcc_lo, s11, v21, vcc_lo
	s_set_inst_prefetch_distance 0x1
	s_branch .LBB756_17
	.p2align	6
.LBB756_16:                             ;   in Loop: Header=BB756_17 Depth=1
	s_or_b32 exec_lo, exec_lo, s28
	s_delay_alu instid0(SALU_CYCLE_1) | instskip(NEXT) | instid1(SALU_CYCLE_1)
	s_and_b32 s1, exec_lo, s25
	s_or_b32 s22, s1, s22
	s_and_not1_b32 s1, s27, exec_lo
	s_and_b32 s27, s26, exec_lo
	s_and_not1_b32 s23, s23, exec_lo
	s_or_b32 s27, s1, s27
	s_and_b32 s1, s24, exec_lo
	s_and_not1_b32 s19, s19, exec_lo
	s_and_b32 s0, s0, exec_lo
	s_or_b32 s23, s23, s1
	s_or_b32 s19, s19, s0
	s_and_not1_b32 exec_lo, exec_lo, s22
	s_cbranch_execz .LBB756_19
.LBB756_17:                             ; =>This Inner Loop Header: Depth=1
	global_load_b64 v[38:39], v[18:19], off
	global_load_b64 v[40:41], v[20:21], off
	s_and_not1_b32 s26, s26, exec_lo
	s_or_b32 s24, s24, exec_lo
	s_or_b32 s25, s25, exec_lo
	s_waitcnt vmcnt(0)
	v_cmp_ngt_f64_e32 vcc_lo, v[38:39], v[40:41]
	v_cmp_lt_f64_e64 s0, v[38:39], v[40:41]
	s_and_b32 s28, vcc_lo, s27
	s_delay_alu instid0(VALU_DEP_1) | instid1(SALU_CYCLE_1)
	s_or_b32 s0, s0, s28
	s_mov_b32 s28, exec_lo
	v_cmpx_nlg_f64_e32 v[38:39], v[40:41]
	s_cbranch_execz .LBB756_16
; %bb.18:                               ;   in Loop: Header=BB756_17 Depth=1
	s_add_u32 s20, s20, -1
	s_addc_u32 s21, s21, -1
	v_add_co_u32 v18, vcc_lo, v18, 8
	s_cmp_eq_u64 s[20:21], 0
	v_add_co_ci_u32_e32 v19, vcc_lo, 0, v19, vcc_lo
	v_add_co_u32 v20, vcc_lo, v20, 8
	s_cselect_b32 s1, -1, 0
	v_add_co_ci_u32_e32 v21, vcc_lo, 0, v21, vcc_lo
	s_and_not1_b32 s26, s26, exec_lo
	s_and_b32 s27, s0, exec_lo
	s_and_not1_b32 s25, s25, exec_lo
	s_and_b32 s1, s1, exec_lo
	s_or_b32 s26, s26, s27
	s_and_not1_b32 s24, s24, exec_lo
	s_or_b32 s25, s25, s1
                                        ; implicit-def: $sgpr27
	s_branch .LBB756_16
.LBB756_19:
	s_set_inst_prefetch_distance 0x2
	s_or_b32 exec_lo, exec_lo, s22
	s_and_saveexec_b32 s0, s23
	s_delay_alu instid0(SALU_CYCLE_1)
	s_xor_b32 s0, exec_lo, s0
	s_cbranch_execz .LBB756_23
; %bb.20:
	s_and_saveexec_b32 s1, s19
; %bb.21:
	v_dual_mov_b32 v38, v0 :: v_dual_mov_b32 v39, v1
	v_dual_mov_b32 v40, v2 :: v_dual_mov_b32 v41, v3
	;; [unrolled: 1-line block ×11, first 2 shown]
; %bb.22:
	s_or_b32 exec_lo, exec_lo, s1
.LBB756_23:
	s_delay_alu instid0(SALU_CYCLE_1)
	s_or_b32 exec_lo, exec_lo, s0
.LBB756_24:
	s_delay_alu instid0(SALU_CYCLE_1)
	s_and_b32 vcc_lo, exec_lo, s17
	s_cbranch_vccz .LBB756_34
; %bb.25:
	v_mul_lo_u32 v38, v15, s8
	v_mul_lo_u32 v39, v14, s9
	v_mad_u64_u32 v[18:19], null, v14, s8, 0
	v_mul_lo_u32 v40, v11, s8
	v_mul_lo_u32 v41, v10, s9
	v_mad_u64_u32 v[20:21], null, v10, s8, 0
	s_mov_b32 s19, 0
	s_mov_b64 s[20:21], s[8:9]
	s_delay_alu instid0(VALU_DEP_4) | instskip(NEXT) | instid1(VALU_DEP_2)
	v_add3_u32 v19, v19, v39, v38
                                        ; implicit-def: $sgpr17
                                        ; implicit-def: $sgpr22
                                        ; implicit-def: $sgpr24
                                        ; implicit-def: $sgpr23
                                        ; implicit-def: $sgpr25
                                        ; implicit-def: $sgpr26
	v_add3_u32 v21, v21, v41, v40
	s_delay_alu instid0(VALU_DEP_2) | instskip(NEXT) | instid1(VALU_DEP_2)
	v_lshlrev_b64 v[18:19], 3, v[18:19]
	v_lshlrev_b64 v[20:21], 3, v[20:21]
	s_delay_alu instid0(VALU_DEP_2) | instskip(NEXT) | instid1(VALU_DEP_3)
	v_add_co_u32 v18, vcc_lo, s10, v18
	v_add_co_ci_u32_e32 v19, vcc_lo, s11, v19, vcc_lo
	s_delay_alu instid0(VALU_DEP_3) | instskip(NEXT) | instid1(VALU_DEP_4)
	v_add_co_u32 v20, vcc_lo, s10, v20
	v_add_co_ci_u32_e32 v21, vcc_lo, s11, v21, vcc_lo
	s_set_inst_prefetch_distance 0x1
	s_branch .LBB756_27
	.p2align	6
.LBB756_26:                             ;   in Loop: Header=BB756_27 Depth=1
	s_or_b32 exec_lo, exec_lo, s27
	s_delay_alu instid0(SALU_CYCLE_1) | instskip(NEXT) | instid1(SALU_CYCLE_1)
	s_and_b32 s1, exec_lo, s24
	s_or_b32 s19, s1, s19
	s_and_not1_b32 s1, s26, exec_lo
	s_and_b32 s26, s25, exec_lo
	s_and_not1_b32 s22, s22, exec_lo
	s_or_b32 s26, s1, s26
	s_and_b32 s1, s23, exec_lo
	s_and_not1_b32 s17, s17, exec_lo
	s_and_b32 s0, s0, exec_lo
	s_or_b32 s22, s22, s1
	s_or_b32 s17, s17, s0
	s_and_not1_b32 exec_lo, exec_lo, s19
	s_cbranch_execz .LBB756_29
.LBB756_27:                             ; =>This Inner Loop Header: Depth=1
	global_load_b64 v[38:39], v[18:19], off
	global_load_b64 v[40:41], v[20:21], off
	s_and_not1_b32 s25, s25, exec_lo
	s_or_b32 s23, s23, exec_lo
	s_or_b32 s24, s24, exec_lo
	s_waitcnt vmcnt(0)
	v_cmp_ngt_f64_e32 vcc_lo, v[38:39], v[40:41]
	v_cmp_lt_f64_e64 s0, v[38:39], v[40:41]
	s_and_b32 s27, vcc_lo, s26
	s_delay_alu instid0(VALU_DEP_1) | instid1(SALU_CYCLE_1)
	s_or_b32 s0, s0, s27
	s_mov_b32 s27, exec_lo
	v_cmpx_nlg_f64_e32 v[38:39], v[40:41]
	s_cbranch_execz .LBB756_26
; %bb.28:                               ;   in Loop: Header=BB756_27 Depth=1
	s_add_u32 s20, s20, -1
	s_addc_u32 s21, s21, -1
	v_add_co_u32 v18, vcc_lo, v18, 8
	s_cmp_eq_u64 s[20:21], 0
	v_add_co_ci_u32_e32 v19, vcc_lo, 0, v19, vcc_lo
	v_add_co_u32 v20, vcc_lo, v20, 8
	s_cselect_b32 s1, -1, 0
	v_add_co_ci_u32_e32 v21, vcc_lo, 0, v21, vcc_lo
	s_and_not1_b32 s25, s25, exec_lo
	s_and_b32 s26, s0, exec_lo
	s_and_not1_b32 s24, s24, exec_lo
	s_and_b32 s1, s1, exec_lo
	s_or_b32 s25, s25, s26
	s_and_not1_b32 s23, s23, exec_lo
	s_or_b32 s24, s24, s1
                                        ; implicit-def: $sgpr26
	s_branch .LBB756_26
.LBB756_29:
	s_set_inst_prefetch_distance 0x2
	s_or_b32 exec_lo, exec_lo, s19
	s_and_saveexec_b32 s0, s22
	s_delay_alu instid0(SALU_CYCLE_1)
	s_xor_b32 s0, exec_lo, s0
	s_cbranch_execz .LBB756_33
; %bb.30:
	v_dual_mov_b32 v19, v11 :: v_dual_mov_b32 v18, v10
	s_and_saveexec_b32 s1, s17
; %bb.31:
	v_dual_mov_b32 v2, v14 :: v_dual_mov_b32 v3, v15
	v_dual_mov_b32 v4, v10 :: v_dual_mov_b32 v5, v11
	;; [unrolled: 1-line block ×4, first 2 shown]
; %bb.32:
	s_or_b32 exec_lo, exec_lo, s1
	s_delay_alu instid0(VALU_DEP_2)
	v_dual_mov_b32 v10, v18 :: v_dual_mov_b32 v11, v19
.LBB756_33:
	s_or_b32 exec_lo, exec_lo, s0
.LBB756_34:
	v_cmp_ne_u32_e32 vcc_lo, 1, v36
	s_cbranch_vccnz .LBB756_44
; %bb.35:
	s_delay_alu instid0(VALU_DEP_2)
	v_mul_lo_u32 v38, v11, s8
	v_mul_lo_u32 v39, v10, s9
	v_mad_u64_u32 v[18:19], null, v10, s8, 0
	v_mul_lo_u32 v40, v9, s8
	v_mul_lo_u32 v41, v8, s9
	v_mad_u64_u32 v[20:21], null, v8, s8, 0
	s_mov_b32 s19, 0
	s_mov_b64 s[20:21], s[8:9]
	s_delay_alu instid0(VALU_DEP_4) | instskip(NEXT) | instid1(VALU_DEP_2)
	v_add3_u32 v19, v19, v39, v38
                                        ; implicit-def: $sgpr17
                                        ; implicit-def: $sgpr22
                                        ; implicit-def: $sgpr24
                                        ; implicit-def: $sgpr23
                                        ; implicit-def: $sgpr25
                                        ; implicit-def: $sgpr26
	v_add3_u32 v21, v21, v41, v40
	s_delay_alu instid0(VALU_DEP_2) | instskip(NEXT) | instid1(VALU_DEP_2)
	v_lshlrev_b64 v[18:19], 3, v[18:19]
	v_lshlrev_b64 v[20:21], 3, v[20:21]
	s_delay_alu instid0(VALU_DEP_2) | instskip(NEXT) | instid1(VALU_DEP_3)
	v_add_co_u32 v18, vcc_lo, s10, v18
	v_add_co_ci_u32_e32 v19, vcc_lo, s11, v19, vcc_lo
	s_delay_alu instid0(VALU_DEP_3) | instskip(NEXT) | instid1(VALU_DEP_4)
	v_add_co_u32 v20, vcc_lo, s10, v20
	v_add_co_ci_u32_e32 v21, vcc_lo, s11, v21, vcc_lo
	s_set_inst_prefetch_distance 0x1
	s_branch .LBB756_37
	.p2align	6
.LBB756_36:                             ;   in Loop: Header=BB756_37 Depth=1
	s_or_b32 exec_lo, exec_lo, s27
	s_delay_alu instid0(SALU_CYCLE_1) | instskip(NEXT) | instid1(SALU_CYCLE_1)
	s_and_b32 s1, exec_lo, s24
	s_or_b32 s19, s1, s19
	s_and_not1_b32 s1, s26, exec_lo
	s_and_b32 s26, s25, exec_lo
	s_and_not1_b32 s22, s22, exec_lo
	s_or_b32 s26, s1, s26
	s_and_b32 s1, s23, exec_lo
	s_and_not1_b32 s17, s17, exec_lo
	s_and_b32 s0, s0, exec_lo
	s_or_b32 s22, s22, s1
	s_or_b32 s17, s17, s0
	s_and_not1_b32 exec_lo, exec_lo, s19
	s_cbranch_execz .LBB756_39
.LBB756_37:                             ; =>This Inner Loop Header: Depth=1
	global_load_b64 v[38:39], v[18:19], off
	global_load_b64 v[40:41], v[20:21], off
	s_and_not1_b32 s25, s25, exec_lo
	s_or_b32 s23, s23, exec_lo
	s_or_b32 s24, s24, exec_lo
	s_waitcnt vmcnt(0)
	v_cmp_ngt_f64_e32 vcc_lo, v[38:39], v[40:41]
	v_cmp_lt_f64_e64 s0, v[38:39], v[40:41]
	s_and_b32 s27, vcc_lo, s26
	s_delay_alu instid0(VALU_DEP_1) | instid1(SALU_CYCLE_1)
	s_or_b32 s0, s0, s27
	s_mov_b32 s27, exec_lo
	v_cmpx_nlg_f64_e32 v[38:39], v[40:41]
	s_cbranch_execz .LBB756_36
; %bb.38:                               ;   in Loop: Header=BB756_37 Depth=1
	s_add_u32 s20, s20, -1
	s_addc_u32 s21, s21, -1
	v_add_co_u32 v18, vcc_lo, v18, 8
	s_cmp_eq_u64 s[20:21], 0
	v_add_co_ci_u32_e32 v19, vcc_lo, 0, v19, vcc_lo
	v_add_co_u32 v20, vcc_lo, v20, 8
	s_cselect_b32 s1, -1, 0
	v_add_co_ci_u32_e32 v21, vcc_lo, 0, v21, vcc_lo
	s_and_not1_b32 s25, s25, exec_lo
	s_and_b32 s26, s0, exec_lo
	s_and_not1_b32 s24, s24, exec_lo
	s_and_b32 s1, s1, exec_lo
	s_or_b32 s25, s25, s26
	s_and_not1_b32 s23, s23, exec_lo
	s_or_b32 s24, s24, s1
                                        ; implicit-def: $sgpr26
	s_branch .LBB756_36
.LBB756_39:
	s_set_inst_prefetch_distance 0x2
	s_or_b32 exec_lo, exec_lo, s19
	s_and_saveexec_b32 s0, s22
	s_delay_alu instid0(SALU_CYCLE_1)
	s_xor_b32 s0, exec_lo, s0
	s_cbranch_execz .LBB756_43
; %bb.40:
	v_dual_mov_b32 v19, v11 :: v_dual_mov_b32 v18, v10
	s_and_saveexec_b32 s1, s17
; %bb.41:
	v_dual_mov_b32 v0, v10 :: v_dual_mov_b32 v1, v11
	v_dual_mov_b32 v2, v8 :: v_dual_mov_b32 v3, v9
	;; [unrolled: 1-line block ×4, first 2 shown]
; %bb.42:
	s_or_b32 exec_lo, exec_lo, s1
	s_delay_alu instid0(VALU_DEP_2)
	v_dual_mov_b32 v10, v18 :: v_dual_mov_b32 v11, v19
.LBB756_43:
	s_or_b32 exec_lo, exec_lo, s0
.LBB756_44:
	v_cmp_ne_u32_e32 vcc_lo, 1, v36
	s_cbranch_vccnz .LBB756_52
; %bb.45:
	v_mul_lo_u32 v38, v17, s8
	v_mul_lo_u32 v39, v16, s9
	v_mad_u64_u32 v[18:19], null, v16, s8, 0
	v_mul_lo_u32 v40, v15, s8
	v_mul_lo_u32 v41, v14, s9
	v_mad_u64_u32 v[20:21], null, v14, s8, 0
	s_mov_b32 s19, 0
	s_mov_b64 s[20:21], s[8:9]
	s_delay_alu instid0(VALU_DEP_4) | instskip(NEXT) | instid1(VALU_DEP_2)
	v_add3_u32 v19, v19, v39, v38
                                        ; implicit-def: $sgpr17
                                        ; implicit-def: $sgpr22
                                        ; implicit-def: $sgpr24
                                        ; implicit-def: $sgpr23
                                        ; implicit-def: $sgpr25
                                        ; implicit-def: $sgpr26
	v_add3_u32 v21, v21, v41, v40
	s_delay_alu instid0(VALU_DEP_2) | instskip(NEXT) | instid1(VALU_DEP_2)
	v_lshlrev_b64 v[18:19], 3, v[18:19]
	v_lshlrev_b64 v[20:21], 3, v[20:21]
	s_delay_alu instid0(VALU_DEP_2) | instskip(NEXT) | instid1(VALU_DEP_3)
	v_add_co_u32 v18, vcc_lo, s10, v18
	v_add_co_ci_u32_e32 v19, vcc_lo, s11, v19, vcc_lo
	s_delay_alu instid0(VALU_DEP_3) | instskip(NEXT) | instid1(VALU_DEP_4)
	v_add_co_u32 v20, vcc_lo, s10, v20
	v_add_co_ci_u32_e32 v21, vcc_lo, s11, v21, vcc_lo
	s_set_inst_prefetch_distance 0x1
	s_branch .LBB756_47
	.p2align	6
.LBB756_46:                             ;   in Loop: Header=BB756_47 Depth=1
	s_or_b32 exec_lo, exec_lo, s27
	s_delay_alu instid0(SALU_CYCLE_1) | instskip(NEXT) | instid1(SALU_CYCLE_1)
	s_and_b32 s1, exec_lo, s24
	s_or_b32 s19, s1, s19
	s_and_not1_b32 s1, s26, exec_lo
	s_and_b32 s26, s25, exec_lo
	s_and_not1_b32 s22, s22, exec_lo
	s_or_b32 s26, s1, s26
	s_and_b32 s1, s23, exec_lo
	s_and_not1_b32 s17, s17, exec_lo
	s_and_b32 s0, s0, exec_lo
	s_or_b32 s22, s22, s1
	s_or_b32 s17, s17, s0
	s_and_not1_b32 exec_lo, exec_lo, s19
	s_cbranch_execz .LBB756_49
.LBB756_47:                             ; =>This Inner Loop Header: Depth=1
	global_load_b64 v[38:39], v[18:19], off
	global_load_b64 v[40:41], v[20:21], off
	s_and_not1_b32 s25, s25, exec_lo
	s_or_b32 s23, s23, exec_lo
	s_or_b32 s24, s24, exec_lo
	s_waitcnt vmcnt(0)
	v_cmp_ngt_f64_e32 vcc_lo, v[38:39], v[40:41]
	v_cmp_lt_f64_e64 s0, v[38:39], v[40:41]
	s_and_b32 s27, vcc_lo, s26
	s_delay_alu instid0(VALU_DEP_1) | instid1(SALU_CYCLE_1)
	s_or_b32 s0, s0, s27
	s_mov_b32 s27, exec_lo
	v_cmpx_nlg_f64_e32 v[38:39], v[40:41]
	s_cbranch_execz .LBB756_46
; %bb.48:                               ;   in Loop: Header=BB756_47 Depth=1
	s_add_u32 s20, s20, -1
	s_addc_u32 s21, s21, -1
	v_add_co_u32 v18, vcc_lo, v18, 8
	s_cmp_eq_u64 s[20:21], 0
	v_add_co_ci_u32_e32 v19, vcc_lo, 0, v19, vcc_lo
	v_add_co_u32 v20, vcc_lo, v20, 8
	s_cselect_b32 s1, -1, 0
	v_add_co_ci_u32_e32 v21, vcc_lo, 0, v21, vcc_lo
	s_and_not1_b32 s25, s25, exec_lo
	s_and_b32 s26, s0, exec_lo
	s_and_not1_b32 s24, s24, exec_lo
	s_and_b32 s1, s1, exec_lo
	s_or_b32 s25, s25, s26
	s_and_not1_b32 s23, s23, exec_lo
	s_or_b32 s24, s24, s1
                                        ; implicit-def: $sgpr26
	s_branch .LBB756_46
.LBB756_49:
	s_set_inst_prefetch_distance 0x2
	s_or_b32 exec_lo, exec_lo, s19
	s_and_saveexec_b32 s0, s22
	s_delay_alu instid0(SALU_CYCLE_1)
	s_xor_b32 s0, exec_lo, s0
; %bb.50:
	v_cndmask_b32_e64 v7, v7, v15, s17
	v_cndmask_b32_e64 v6, v6, v14, s17
	v_cndmask_b32_e64 v5, v5, v17, s17
	v_cndmask_b32_e64 v4, v4, v16, s17
	v_cndmask_b32_e64 v15, v15, v17, s17
	v_cndmask_b32_e64 v14, v14, v16, s17
; %bb.51:
	s_or_b32 exec_lo, exec_lo, s0
.LBB756_52:
	v_cmp_ne_u32_e32 vcc_lo, 1, v36
	s_cbranch_vccnz .LBB756_60
; %bb.53:
	v_mul_lo_u32 v20, v15, s8
	v_mul_lo_u32 v21, v14, s9
	v_mad_u64_u32 v[16:17], null, v14, s8, 0
	v_mul_lo_u32 v38, v11, s8
	v_mul_lo_u32 v39, v10, s9
	v_mad_u64_u32 v[18:19], null, v10, s8, 0
	s_mov_b32 s19, 0
	s_mov_b64 s[20:21], s[8:9]
	s_delay_alu instid0(VALU_DEP_4) | instskip(NEXT) | instid1(VALU_DEP_2)
	v_add3_u32 v17, v17, v21, v20
                                        ; implicit-def: $sgpr17
                                        ; implicit-def: $sgpr22
                                        ; implicit-def: $sgpr24
                                        ; implicit-def: $sgpr23
                                        ; implicit-def: $sgpr25
                                        ; implicit-def: $sgpr26
	v_add3_u32 v19, v19, v39, v38
	s_delay_alu instid0(VALU_DEP_2) | instskip(NEXT) | instid1(VALU_DEP_2)
	v_lshlrev_b64 v[16:17], 3, v[16:17]
	v_lshlrev_b64 v[18:19], 3, v[18:19]
	s_delay_alu instid0(VALU_DEP_2) | instskip(NEXT) | instid1(VALU_DEP_3)
	v_add_co_u32 v16, vcc_lo, s10, v16
	v_add_co_ci_u32_e32 v17, vcc_lo, s11, v17, vcc_lo
	s_delay_alu instid0(VALU_DEP_3) | instskip(NEXT) | instid1(VALU_DEP_4)
	v_add_co_u32 v18, vcc_lo, s10, v18
	v_add_co_ci_u32_e32 v19, vcc_lo, s11, v19, vcc_lo
	s_set_inst_prefetch_distance 0x1
	s_branch .LBB756_55
	.p2align	6
.LBB756_54:                             ;   in Loop: Header=BB756_55 Depth=1
	s_or_b32 exec_lo, exec_lo, s27
	s_delay_alu instid0(SALU_CYCLE_1) | instskip(NEXT) | instid1(SALU_CYCLE_1)
	s_and_b32 s1, exec_lo, s24
	s_or_b32 s19, s1, s19
	s_and_not1_b32 s1, s26, exec_lo
	s_and_b32 s26, s25, exec_lo
	s_and_not1_b32 s22, s22, exec_lo
	s_or_b32 s26, s1, s26
	s_and_b32 s1, s23, exec_lo
	s_and_not1_b32 s17, s17, exec_lo
	s_and_b32 s0, s0, exec_lo
	s_or_b32 s22, s22, s1
	s_or_b32 s17, s17, s0
	s_and_not1_b32 exec_lo, exec_lo, s19
	s_cbranch_execz .LBB756_57
.LBB756_55:                             ; =>This Inner Loop Header: Depth=1
	global_load_b64 v[20:21], v[16:17], off
	global_load_b64 v[38:39], v[18:19], off
	s_and_not1_b32 s25, s25, exec_lo
	s_or_b32 s23, s23, exec_lo
	s_or_b32 s24, s24, exec_lo
	s_waitcnt vmcnt(0)
	v_cmp_ngt_f64_e32 vcc_lo, v[20:21], v[38:39]
	v_cmp_lt_f64_e64 s0, v[20:21], v[38:39]
	s_and_b32 s27, vcc_lo, s26
	s_delay_alu instid0(VALU_DEP_1) | instid1(SALU_CYCLE_1)
	s_or_b32 s0, s0, s27
	s_mov_b32 s27, exec_lo
	v_cmpx_nlg_f64_e32 v[20:21], v[38:39]
	s_cbranch_execz .LBB756_54
; %bb.56:                               ;   in Loop: Header=BB756_55 Depth=1
	s_add_u32 s20, s20, -1
	s_addc_u32 s21, s21, -1
	v_add_co_u32 v16, vcc_lo, v16, 8
	s_cmp_eq_u64 s[20:21], 0
	v_add_co_ci_u32_e32 v17, vcc_lo, 0, v17, vcc_lo
	v_add_co_u32 v18, vcc_lo, v18, 8
	s_cselect_b32 s1, -1, 0
	v_add_co_ci_u32_e32 v19, vcc_lo, 0, v19, vcc_lo
	s_and_not1_b32 s25, s25, exec_lo
	s_and_b32 s26, s0, exec_lo
	s_and_not1_b32 s24, s24, exec_lo
	s_and_b32 s1, s1, exec_lo
	s_or_b32 s25, s25, s26
	s_and_not1_b32 s23, s23, exec_lo
	s_or_b32 s24, s24, s1
                                        ; implicit-def: $sgpr26
	s_branch .LBB756_54
.LBB756_57:
	s_set_inst_prefetch_distance 0x2
	s_or_b32 exec_lo, exec_lo, s19
	s_and_saveexec_b32 s0, s22
	s_delay_alu instid0(SALU_CYCLE_1)
	s_xor_b32 s0, exec_lo, s0
; %bb.58:
	v_cndmask_b32_e64 v5, v5, v11, s17
	v_cndmask_b32_e64 v4, v4, v10, s17
	;; [unrolled: 1-line block ×4, first 2 shown]
; %bb.59:
	s_or_b32 exec_lo, exec_lo, s0
.LBB756_60:
	s_delay_alu instid0(SALU_CYCLE_1) | instskip(SKIP_4) | instid1(VALU_DEP_2)
	s_or_b32 exec_lo, exec_lo, s12
	v_mbcnt_lo_u32_b32 v11, -1, 0
	v_and_b32_e32 v10, 0xffffff80, v37
	s_mov_b32 s12, 0
	s_mov_b32 s17, exec_lo
	v_lshlrev_b32_e32 v16, 2, v11
	s_delay_alu instid0(VALU_DEP_2) | instskip(NEXT) | instid1(VALU_DEP_2)
	v_sub_nc_u32_e64 v15, 0x400, v10 clamp
	v_or_b32_e32 v14, 4, v16
	v_and_b32_e32 v17, 4, v16
	v_and_b32_e32 v37, 0x78, v16
	s_delay_alu instid0(VALU_DEP_3) | instskip(NEXT) | instid1(VALU_DEP_1)
	v_min_u32_e32 v18, v15, v14
	v_add_nc_u32_e32 v14, 4, v18
	s_delay_alu instid0(VALU_DEP_3) | instskip(NEXT) | instid1(VALU_DEP_2)
	v_sub_nc_u32_e32 v21, v18, v37
	v_min_u32_e32 v19, v15, v14
	v_lshlrev_b32_e32 v14, 3, v10
	v_mov_b32_e32 v10, v2
	v_min_u32_e32 v38, v15, v17
	s_delay_alu instid0(VALU_DEP_4) | instskip(NEXT) | instid1(VALU_DEP_4)
	v_sub_nc_u32_e32 v20, v19, v18
	v_lshl_or_b32 v17, v11, 5, v14
	v_mov_b32_e32 v11, v3
	s_delay_alu instid0(VALU_DEP_4)
	v_min_u32_e32 v39, v38, v21
	v_lshl_or_b32 v21, v37, 3, v14
	v_sub_nc_u32_e64 v20, v38, v20 clamp
	ds_store_b128 v17, v[8:11]
	ds_store_b128 v17, v[4:7] offset:16
	; wave barrier
	v_cmpx_lt_u32_e64 v20, v39
	s_cbranch_execz .LBB756_71
; %bb.61:
	v_lshlrev_b32_e32 v8, 3, v18
	v_lshlrev_b32_e32 v9, 3, v38
	s_lshl_b64 s[20:21], s[8:9], 3
	s_delay_alu instid0(VALU_DEP_1)
	v_add3_u32 v40, v14, v8, v9
	s_branch .LBB756_64
.LBB756_62:                             ;   in Loop: Header=BB756_64 Depth=1
	s_set_inst_prefetch_distance 0x2
	s_or_b32 exec_lo, exec_lo, s19
.LBB756_63:                             ;   in Loop: Header=BB756_64 Depth=1
	s_delay_alu instid0(VALU_DEP_1) | instskip(SKIP_1) | instid1(VALU_DEP_2)
	v_add_nc_u32_e32 v8, 1, v41
	v_cndmask_b32_e64 v39, v39, v41, s24
	v_cndmask_b32_e64 v20, v8, v20, s24
	s_delay_alu instid0(VALU_DEP_1) | instskip(SKIP_1) | instid1(SALU_CYCLE_1)
	v_cmp_ge_u32_e32 vcc_lo, v20, v39
	s_or_b32 s12, vcc_lo, s12
	s_and_not1_b32 exec_lo, exec_lo, s12
	s_cbranch_execz .LBB756_70
.LBB756_64:                             ; =>This Loop Header: Depth=1
                                        ;     Child Loop BB756_67 Depth 2
	v_add_nc_u32_e32 v8, v39, v20
	v_cmp_ne_u32_e32 vcc_lo, 1, v36
	s_delay_alu instid0(VALU_DEP_2)
	v_lshrrev_b32_e32 v41, 1, v8
	s_cbranch_vccnz .LBB756_69
; %bb.65:                               ;   in Loop: Header=BB756_64 Depth=1
	s_delay_alu instid0(VALU_DEP_1) | instskip(SKIP_3) | instid1(VALU_DEP_2)
	v_not_b32_e32 v8, v41
	v_lshl_add_u32 v9, v41, 3, v21
	s_mov_b32 s19, 0
	s_mov_b64 s[22:23], s[8:9]
                                        ; implicit-def: $sgpr24
                                        ; implicit-def: $sgpr25
                                        ; implicit-def: $sgpr26
                                        ; implicit-def: $sgpr27
                                        ; implicit-def: $sgpr28
	v_lshl_add_u32 v8, v8, 3, v40
	ds_load_b64 v[10:11], v8
	ds_load_b64 v[42:43], v9
	s_waitcnt lgkmcnt(1)
	v_mul_lo_u32 v44, s20, v11
	v_mul_lo_u32 v45, s21, v10
	v_mad_u64_u32 v[8:9], null, s20, v10, s[10:11]
	s_waitcnt lgkmcnt(0)
	v_mul_lo_u32 v43, s20, v43
	v_mul_lo_u32 v46, s21, v42
	v_mad_u64_u32 v[10:11], null, s20, v42, s[10:11]
	s_delay_alu instid0(VALU_DEP_4) | instskip(NEXT) | instid1(VALU_DEP_2)
	v_add3_u32 v9, v45, v9, v44
	v_add3_u32 v11, v46, v11, v43
	s_set_inst_prefetch_distance 0x1
	s_branch .LBB756_67
	.p2align	6
.LBB756_66:                             ;   in Loop: Header=BB756_67 Depth=2
	s_or_b32 exec_lo, exec_lo, s0
	s_delay_alu instid0(SALU_CYCLE_1) | instskip(NEXT) | instid1(SALU_CYCLE_1)
	s_and_b32 s0, exec_lo, s25
	s_or_b32 s19, s0, s19
	s_and_not1_b32 s0, s28, exec_lo
	s_and_b32 s1, s26, exec_lo
	s_and_not1_b32 s24, s24, exec_lo
	s_and_b32 s29, s27, exec_lo
	s_or_b32 s28, s0, s1
	s_or_b32 s24, s24, s29
	s_and_not1_b32 exec_lo, exec_lo, s19
	s_cbranch_execz .LBB756_62
.LBB756_67:                             ;   Parent Loop BB756_64 Depth=1
                                        ; =>  This Inner Loop Header: Depth=2
	global_load_b64 v[42:43], v[8:9], off
	global_load_b64 v[44:45], v[10:11], off
	s_and_not1_b32 s26, s26, exec_lo
	s_or_b32 s25, s25, exec_lo
	s_waitcnt vmcnt(0)
	v_cmp_ngt_f64_e32 vcc_lo, v[42:43], v[44:45]
	v_cmp_lt_f64_e64 s0, v[42:43], v[44:45]
	s_and_b32 s29, vcc_lo, s28
	s_delay_alu instid0(VALU_DEP_1) | instid1(SALU_CYCLE_1)
	s_or_b32 s29, s0, s29
	s_and_not1_b32 s0, s27, exec_lo
	s_and_b32 s27, s29, exec_lo
	s_delay_alu instid0(SALU_CYCLE_1)
	s_or_b32 s27, s0, s27
	s_mov_b32 s0, exec_lo
	v_cmpx_nlg_f64_e32 v[42:43], v[44:45]
	s_cbranch_execz .LBB756_66
; %bb.68:                               ;   in Loop: Header=BB756_67 Depth=2
	s_add_u32 s22, s22, -1
	s_addc_u32 s23, s23, -1
	v_add_co_u32 v8, vcc_lo, v8, 8
	s_cmp_eq_u64 s[22:23], 0
	v_add_co_ci_u32_e32 v9, vcc_lo, 0, v9, vcc_lo
	s_cselect_b32 s1, -1, 0
	v_add_co_u32 v10, vcc_lo, v10, 8
	s_and_not1_b32 s26, s26, exec_lo
	s_and_b32 s28, s29, exec_lo
	s_and_not1_b32 s25, s25, exec_lo
	s_and_b32 s1, s1, exec_lo
	v_add_co_ci_u32_e32 v11, vcc_lo, 0, v11, vcc_lo
	s_and_not1_b32 s27, s27, exec_lo
	s_or_b32 s26, s26, s28
	s_or_b32 s25, s25, s1
                                        ; implicit-def: $sgpr28
	s_branch .LBB756_66
.LBB756_69:                             ;   in Loop: Header=BB756_64 Depth=1
	s_mov_b32 s24, 0
	s_branch .LBB756_63
.LBB756_70:
	s_or_b32 exec_lo, exec_lo, s12
.LBB756_71:
	s_delay_alu instid0(SALU_CYCLE_1) | instskip(SKIP_3) | instid1(VALU_DEP_3)
	s_or_b32 exec_lo, exec_lo, s17
	v_add_nc_u32_e32 v9, v18, v38
	v_add_nc_u32_e32 v8, v20, v37
	v_cmp_lt_i64_e64 s12, s[8:9], 1
	v_sub_nc_u32_e32 v9, v9, v20
	s_delay_alu instid0(VALU_DEP_3) | instskip(NEXT) | instid1(VALU_DEP_2)
	v_cmp_le_u32_e32 vcc_lo, v8, v18
	v_cmp_le_u32_e64 s0, v9, v19
	s_delay_alu instid0(VALU_DEP_1) | instskip(NEXT) | instid1(SALU_CYCLE_1)
	s_or_b32 s0, vcc_lo, s0
	s_and_saveexec_b32 s17, s0
	s_cbranch_execz .LBB756_107
; %bb.72:
	v_cmp_ge_u32_e32 vcc_lo, v8, v18
	s_mov_b32 s1, exec_lo
                                        ; implicit-def: $vgpr0_vgpr1
	v_cmpx_lt_u32_e64 v8, v18
	s_cbranch_execz .LBB756_74
; %bb.73:
	v_lshl_add_u32 v0, v20, 3, v21
	ds_load_b64 v[0:1], v0
.LBB756_74:
	s_or_b32 exec_lo, exec_lo, s1
	v_cmp_ge_u32_e64 s0, v9, v19
	s_mov_b32 s19, exec_lo
                                        ; implicit-def: $vgpr2_vgpr3
	v_cmpx_lt_u32_e64 v9, v19
	s_cbranch_execz .LBB756_76
; %bb.75:
	v_lshl_add_u32 v2, v9, 3, v14
	ds_load_b64 v[2:3], v2
.LBB756_76:
	s_or_b32 exec_lo, exec_lo, s19
	s_or_b32 s1, vcc_lo, s0
	s_xor_b32 s19, vcc_lo, -1
	s_or_b32 s1, s1, s12
	s_or_b32 s19, s0, s19
	s_xor_b32 s1, s1, -1
	s_delay_alu instid0(SALU_CYCLE_1)
	s_and_saveexec_b32 s22, s1
	s_cbranch_execz .LBB756_82
; %bb.77:
	s_waitcnt lgkmcnt(0)
	v_mul_lo_u32 v10, v3, s8
	v_mul_lo_u32 v11, v2, s9
	v_mad_u64_u32 v[4:5], null, v2, s8, 0
	v_mul_lo_u32 v20, v1, s8
	v_mul_lo_u32 v21, v0, s9
	v_mad_u64_u32 v[6:7], null, v0, s8, 0
	s_mov_b32 s23, 0
	s_mov_b64 s[20:21], s[8:9]
	s_delay_alu instid0(VALU_DEP_4) | instskip(NEXT) | instid1(VALU_DEP_2)
	v_add3_u32 v5, v5, v11, v10
                                        ; implicit-def: $sgpr24
                                        ; implicit-def: $sgpr25
                                        ; implicit-def: $sgpr26
                                        ; implicit-def: $sgpr27
                                        ; implicit-def: $sgpr28
	v_add3_u32 v7, v7, v21, v20
	s_delay_alu instid0(VALU_DEP_2) | instskip(NEXT) | instid1(VALU_DEP_2)
	v_lshlrev_b64 v[4:5], 3, v[4:5]
	v_lshlrev_b64 v[6:7], 3, v[6:7]
	s_delay_alu instid0(VALU_DEP_2) | instskip(NEXT) | instid1(VALU_DEP_3)
	v_add_co_u32 v4, vcc_lo, s10, v4
	v_add_co_ci_u32_e32 v5, vcc_lo, s11, v5, vcc_lo
	s_delay_alu instid0(VALU_DEP_3) | instskip(NEXT) | instid1(VALU_DEP_4)
	v_add_co_u32 v6, vcc_lo, s10, v6
	v_add_co_ci_u32_e32 v7, vcc_lo, s11, v7, vcc_lo
	s_set_inst_prefetch_distance 0x1
	s_branch .LBB756_79
	.p2align	6
.LBB756_78:                             ;   in Loop: Header=BB756_79 Depth=1
	s_or_b32 exec_lo, exec_lo, s0
	s_delay_alu instid0(SALU_CYCLE_1) | instskip(NEXT) | instid1(SALU_CYCLE_1)
	s_and_b32 s0, exec_lo, s25
	s_or_b32 s23, s0, s23
	s_and_not1_b32 s0, s28, exec_lo
	s_and_b32 s1, s27, exec_lo
	s_and_not1_b32 s24, s24, exec_lo
	s_and_b32 s29, s26, exec_lo
	s_or_b32 s28, s0, s1
	s_or_b32 s24, s24, s29
	s_and_not1_b32 exec_lo, exec_lo, s23
	s_cbranch_execz .LBB756_81
.LBB756_79:                             ; =>This Inner Loop Header: Depth=1
	global_load_b64 v[10:11], v[4:5], off
	global_load_b64 v[20:21], v[6:7], off
	s_and_not1_b32 s27, s27, exec_lo
	s_or_b32 s25, s25, exec_lo
	s_waitcnt vmcnt(0)
	v_cmp_ngt_f64_e32 vcc_lo, v[10:11], v[20:21]
	v_cmp_lt_f64_e64 s0, v[10:11], v[20:21]
	s_and_b32 s29, vcc_lo, s28
	s_delay_alu instid0(VALU_DEP_1) | instid1(SALU_CYCLE_1)
	s_or_b32 s29, s0, s29
	s_and_not1_b32 s0, s26, exec_lo
	s_and_b32 s26, s29, exec_lo
	s_delay_alu instid0(SALU_CYCLE_1)
	s_or_b32 s26, s0, s26
	s_mov_b32 s0, exec_lo
	v_cmpx_nlg_f64_e32 v[10:11], v[20:21]
	s_cbranch_execz .LBB756_78
; %bb.80:                               ;   in Loop: Header=BB756_79 Depth=1
	s_add_u32 s20, s20, -1
	s_addc_u32 s21, s21, -1
	v_add_co_u32 v4, vcc_lo, v4, 8
	s_cmp_eq_u64 s[20:21], 0
	v_add_co_ci_u32_e32 v5, vcc_lo, 0, v5, vcc_lo
	v_add_co_u32 v6, vcc_lo, v6, 8
	s_cselect_b32 s1, -1, 0
	v_add_co_ci_u32_e32 v7, vcc_lo, 0, v7, vcc_lo
	s_and_not1_b32 s27, s27, exec_lo
	s_and_b32 s28, s29, exec_lo
	s_and_not1_b32 s25, s25, exec_lo
	s_and_b32 s1, s1, exec_lo
	s_or_b32 s27, s27, s28
	s_and_not1_b32 s26, s26, exec_lo
	s_or_b32 s25, s25, s1
                                        ; implicit-def: $sgpr28
	s_branch .LBB756_78
.LBB756_81:
	s_set_inst_prefetch_distance 0x2
	s_or_b32 exec_lo, exec_lo, s23
	s_xor_b32 s0, s24, -1
	s_and_not1_b32 s1, s19, exec_lo
	s_and_b32 s0, s0, exec_lo
	s_delay_alu instid0(SALU_CYCLE_1)
	s_or_b32 s19, s1, s0
.LBB756_82:
	s_or_b32 exec_lo, exec_lo, s22
	v_cndmask_b32_e64 v4, v9, v8, s19
	v_cndmask_b32_e64 v5, v19, v18, s19
	s_mov_b32 s22, -1
	s_mov_b32 s23, -1
	s_mov_b32 s24, exec_lo
	v_add_nc_u32_e32 v6, 1, v4
	v_add_nc_u32_e32 v4, -1, v5
	s_delay_alu instid0(VALU_DEP_2) | instskip(NEXT) | instid1(VALU_DEP_2)
	v_cndmask_b32_e64 v9, v6, v9, s19
	v_min_u32_e32 v4, v6, v4
	v_cndmask_b32_e64 v8, v8, v6, s19
	s_delay_alu instid0(VALU_DEP_2)
	v_lshl_add_u32 v4, v4, 3, v14
	ds_load_b64 v[4:5], v4
	s_waitcnt lgkmcnt(0)
	v_cndmask_b32_e64 v10, v5, v3, s19
	v_cndmask_b32_e64 v11, v4, v2, s19
	v_cndmask_b32_e64 v20, v1, v5, s19
	v_cndmask_b32_e64 v21, v0, v4, s19
	v_cmpx_lt_u32_e64 v9, v19
	s_cbranch_execz .LBB756_90
; %bb.83:
	v_cmp_lt_u32_e64 s23, v8, v18
	s_xor_b32 s0, s12, -1
	s_delay_alu instid0(VALU_DEP_1) | instid1(SALU_CYCLE_1)
	s_and_b32 s0, s23, s0
	s_delay_alu instid0(SALU_CYCLE_1)
	s_and_saveexec_b32 s25, s0
	s_cbranch_execz .LBB756_89
; %bb.84:
	v_mul_lo_u32 v37, v10, s8
	v_mul_lo_u32 v38, v11, s9
	v_mad_u64_u32 v[4:5], null, v11, s8, 0
	v_mul_lo_u32 v39, v20, s8
	v_mul_lo_u32 v40, v21, s9
	v_mad_u64_u32 v[6:7], null, v21, s8, 0
	s_mov_b32 s26, 0
	s_mov_b64 s[20:21], s[8:9]
	s_delay_alu instid0(VALU_DEP_4) | instskip(NEXT) | instid1(VALU_DEP_2)
	v_add3_u32 v5, v5, v38, v37
                                        ; implicit-def: $sgpr27
                                        ; implicit-def: $sgpr28
                                        ; implicit-def: $sgpr29
                                        ; implicit-def: $sgpr30
                                        ; implicit-def: $sgpr31
	v_add3_u32 v7, v7, v40, v39
	s_delay_alu instid0(VALU_DEP_2) | instskip(NEXT) | instid1(VALU_DEP_2)
	v_lshlrev_b64 v[4:5], 3, v[4:5]
	v_lshlrev_b64 v[6:7], 3, v[6:7]
	s_delay_alu instid0(VALU_DEP_2) | instskip(NEXT) | instid1(VALU_DEP_3)
	v_add_co_u32 v4, vcc_lo, s10, v4
	v_add_co_ci_u32_e32 v5, vcc_lo, s11, v5, vcc_lo
	s_delay_alu instid0(VALU_DEP_3) | instskip(NEXT) | instid1(VALU_DEP_4)
	v_add_co_u32 v6, vcc_lo, s10, v6
	v_add_co_ci_u32_e32 v7, vcc_lo, s11, v7, vcc_lo
	s_set_inst_prefetch_distance 0x1
	s_branch .LBB756_86
	.p2align	6
.LBB756_85:                             ;   in Loop: Header=BB756_86 Depth=1
	s_or_b32 exec_lo, exec_lo, s0
	s_delay_alu instid0(SALU_CYCLE_1) | instskip(NEXT) | instid1(SALU_CYCLE_1)
	s_and_b32 s0, exec_lo, s28
	s_or_b32 s26, s0, s26
	s_and_not1_b32 s0, s31, exec_lo
	s_and_b32 s1, s30, exec_lo
	s_and_not1_b32 s27, s27, exec_lo
	s_and_b32 s33, s29, exec_lo
	s_or_b32 s31, s0, s1
	s_or_b32 s27, s27, s33
	s_and_not1_b32 exec_lo, exec_lo, s26
	s_cbranch_execz .LBB756_88
.LBB756_86:                             ; =>This Inner Loop Header: Depth=1
	global_load_b64 v[37:38], v[4:5], off
	global_load_b64 v[39:40], v[6:7], off
	s_and_not1_b32 s30, s30, exec_lo
	s_or_b32 s28, s28, exec_lo
	s_waitcnt vmcnt(0)
	v_cmp_ngt_f64_e32 vcc_lo, v[37:38], v[39:40]
	v_cmp_lt_f64_e64 s0, v[37:38], v[39:40]
	s_and_b32 s33, vcc_lo, s31
	s_delay_alu instid0(VALU_DEP_1) | instid1(SALU_CYCLE_1)
	s_or_b32 s33, s0, s33
	s_and_not1_b32 s0, s29, exec_lo
	s_and_b32 s29, s33, exec_lo
	s_delay_alu instid0(SALU_CYCLE_1)
	s_or_b32 s29, s0, s29
	s_mov_b32 s0, exec_lo
	v_cmpx_nlg_f64_e32 v[37:38], v[39:40]
	s_cbranch_execz .LBB756_85
; %bb.87:                               ;   in Loop: Header=BB756_86 Depth=1
	s_add_u32 s20, s20, -1
	s_addc_u32 s21, s21, -1
	v_add_co_u32 v4, vcc_lo, v4, 8
	s_cmp_eq_u64 s[20:21], 0
	v_add_co_ci_u32_e32 v5, vcc_lo, 0, v5, vcc_lo
	v_add_co_u32 v6, vcc_lo, v6, 8
	s_cselect_b32 s1, -1, 0
	v_add_co_ci_u32_e32 v7, vcc_lo, 0, v7, vcc_lo
	s_and_not1_b32 s30, s30, exec_lo
	s_and_b32 s31, s33, exec_lo
	s_and_not1_b32 s28, s28, exec_lo
	s_and_b32 s1, s1, exec_lo
	s_or_b32 s30, s30, s31
	s_and_not1_b32 s29, s29, exec_lo
	s_or_b32 s28, s28, s1
                                        ; implicit-def: $sgpr31
	s_branch .LBB756_85
.LBB756_88:
	s_set_inst_prefetch_distance 0x2
	s_or_b32 exec_lo, exec_lo, s26
	s_xor_b32 s0, s27, -1
	s_and_not1_b32 s1, s23, exec_lo
	s_and_b32 s0, s0, exec_lo
	s_delay_alu instid0(SALU_CYCLE_1)
	s_or_b32 s23, s1, s0
.LBB756_89:
	s_or_b32 exec_lo, exec_lo, s25
	s_delay_alu instid0(SALU_CYCLE_1)
	s_or_not1_b32 s23, s23, exec_lo
.LBB756_90:
	s_or_b32 exec_lo, exec_lo, s24
	v_cndmask_b32_e64 v4, v9, v8, s23
	v_cndmask_b32_e64 v5, v19, v18, s23
	s_mov_b32 s24, exec_lo
	s_delay_alu instid0(VALU_DEP_2) | instskip(NEXT) | instid1(VALU_DEP_2)
	v_add_nc_u32_e32 v6, 1, v4
	v_add_nc_u32_e32 v4, -1, v5
	s_delay_alu instid0(VALU_DEP_2) | instskip(NEXT) | instid1(VALU_DEP_2)
	v_cndmask_b32_e64 v9, v6, v9, s23
	v_min_u32_e32 v4, v6, v4
	v_cndmask_b32_e64 v8, v8, v6, s23
	s_delay_alu instid0(VALU_DEP_2)
	v_lshl_add_u32 v4, v4, 3, v14
	ds_load_b64 v[4:5], v4
	s_waitcnt lgkmcnt(0)
	v_cndmask_b32_e64 v37, v5, v10, s23
	v_cndmask_b32_e64 v38, v4, v11, s23
	;; [unrolled: 1-line block ×4, first 2 shown]
	v_cmpx_lt_u32_e64 v9, v19
	s_cbranch_execz .LBB756_98
; %bb.91:
	v_cmp_lt_u32_e64 s22, v8, v18
	s_xor_b32 s0, s12, -1
	s_delay_alu instid0(VALU_DEP_1) | instid1(SALU_CYCLE_1)
	s_and_b32 s0, s22, s0
	s_delay_alu instid0(SALU_CYCLE_1)
	s_and_saveexec_b32 s25, s0
	s_cbranch_execz .LBB756_97
; %bb.92:
	v_mul_lo_u32 v41, v37, s8
	v_mul_lo_u32 v42, v38, s9
	v_mad_u64_u32 v[4:5], null, v38, s8, 0
	v_mul_lo_u32 v43, v39, s8
	v_mul_lo_u32 v44, v40, s9
	v_mad_u64_u32 v[6:7], null, v40, s8, 0
	s_mov_b32 s26, 0
	s_mov_b64 s[20:21], s[8:9]
	s_delay_alu instid0(VALU_DEP_4) | instskip(NEXT) | instid1(VALU_DEP_2)
	v_add3_u32 v5, v5, v42, v41
                                        ; implicit-def: $sgpr27
                                        ; implicit-def: $sgpr28
                                        ; implicit-def: $sgpr29
                                        ; implicit-def: $sgpr30
                                        ; implicit-def: $sgpr31
	v_add3_u32 v7, v7, v44, v43
	s_delay_alu instid0(VALU_DEP_2) | instskip(NEXT) | instid1(VALU_DEP_2)
	v_lshlrev_b64 v[4:5], 3, v[4:5]
	v_lshlrev_b64 v[6:7], 3, v[6:7]
	s_delay_alu instid0(VALU_DEP_2) | instskip(NEXT) | instid1(VALU_DEP_3)
	v_add_co_u32 v4, vcc_lo, s10, v4
	v_add_co_ci_u32_e32 v5, vcc_lo, s11, v5, vcc_lo
	s_delay_alu instid0(VALU_DEP_3) | instskip(NEXT) | instid1(VALU_DEP_4)
	v_add_co_u32 v6, vcc_lo, s10, v6
	v_add_co_ci_u32_e32 v7, vcc_lo, s11, v7, vcc_lo
	s_set_inst_prefetch_distance 0x1
	s_branch .LBB756_94
	.p2align	6
.LBB756_93:                             ;   in Loop: Header=BB756_94 Depth=1
	s_or_b32 exec_lo, exec_lo, s0
	s_delay_alu instid0(SALU_CYCLE_1) | instskip(NEXT) | instid1(SALU_CYCLE_1)
	s_and_b32 s0, exec_lo, s28
	s_or_b32 s26, s0, s26
	s_and_not1_b32 s0, s31, exec_lo
	s_and_b32 s1, s30, exec_lo
	s_and_not1_b32 s27, s27, exec_lo
	s_and_b32 s33, s29, exec_lo
	s_or_b32 s31, s0, s1
	s_or_b32 s27, s27, s33
	s_and_not1_b32 exec_lo, exec_lo, s26
	s_cbranch_execz .LBB756_96
.LBB756_94:                             ; =>This Inner Loop Header: Depth=1
	global_load_b64 v[41:42], v[4:5], off
	global_load_b64 v[43:44], v[6:7], off
	s_and_not1_b32 s30, s30, exec_lo
	s_or_b32 s28, s28, exec_lo
	s_waitcnt vmcnt(0)
	v_cmp_ngt_f64_e32 vcc_lo, v[41:42], v[43:44]
	v_cmp_lt_f64_e64 s0, v[41:42], v[43:44]
	s_and_b32 s33, vcc_lo, s31
	s_delay_alu instid0(VALU_DEP_1) | instid1(SALU_CYCLE_1)
	s_or_b32 s33, s0, s33
	s_and_not1_b32 s0, s29, exec_lo
	s_and_b32 s29, s33, exec_lo
	s_delay_alu instid0(SALU_CYCLE_1)
	s_or_b32 s29, s0, s29
	s_mov_b32 s0, exec_lo
	v_cmpx_nlg_f64_e32 v[41:42], v[43:44]
	s_cbranch_execz .LBB756_93
; %bb.95:                               ;   in Loop: Header=BB756_94 Depth=1
	s_add_u32 s20, s20, -1
	s_addc_u32 s21, s21, -1
	v_add_co_u32 v4, vcc_lo, v4, 8
	s_cmp_eq_u64 s[20:21], 0
	v_add_co_ci_u32_e32 v5, vcc_lo, 0, v5, vcc_lo
	v_add_co_u32 v6, vcc_lo, v6, 8
	s_cselect_b32 s1, -1, 0
	v_add_co_ci_u32_e32 v7, vcc_lo, 0, v7, vcc_lo
	s_and_not1_b32 s30, s30, exec_lo
	s_and_b32 s31, s33, exec_lo
	s_and_not1_b32 s28, s28, exec_lo
	s_and_b32 s1, s1, exec_lo
	s_or_b32 s30, s30, s31
	s_and_not1_b32 s29, s29, exec_lo
	s_or_b32 s28, s28, s1
                                        ; implicit-def: $sgpr31
	s_branch .LBB756_93
.LBB756_96:
	s_set_inst_prefetch_distance 0x2
	s_or_b32 exec_lo, exec_lo, s26
	s_xor_b32 s0, s27, -1
	s_and_not1_b32 s1, s22, exec_lo
	s_and_b32 s0, s0, exec_lo
	s_delay_alu instid0(SALU_CYCLE_1)
	s_or_b32 s22, s1, s0
.LBB756_97:
	s_or_b32 exec_lo, exec_lo, s25
	s_delay_alu instid0(SALU_CYCLE_1)
	s_or_not1_b32 s22, s22, exec_lo
.LBB756_98:
	s_or_b32 exec_lo, exec_lo, s24
	v_cndmask_b32_e64 v4, v9, v8, s22
	v_cndmask_b32_e64 v5, v19, v18, s22
	s_mov_b32 s24, exec_lo
	s_delay_alu instid0(VALU_DEP_2) | instskip(NEXT) | instid1(VALU_DEP_2)
	v_add_nc_u32_e32 v41, 1, v4
	v_add_nc_u32_e32 v4, -1, v5
	s_delay_alu instid0(VALU_DEP_2) | instskip(NEXT) | instid1(VALU_DEP_2)
	v_cndmask_b32_e64 v9, v41, v9, s22
	v_min_u32_e32 v4, v41, v4
	s_delay_alu instid0(VALU_DEP_1)
	v_lshl_add_u32 v4, v4, 3, v14
	ds_load_b64 v[4:5], v4
	s_waitcnt lgkmcnt(0)
	v_cndmask_b32_e64 v7, v39, v5, s22
	v_cndmask_b32_e64 v6, v40, v4, s22
	v_cmpx_lt_u32_e64 v9, v19
	s_cbranch_execz .LBB756_106
; %bb.99:
	v_cndmask_b32_e64 v8, v8, v41, s22
	v_cndmask_b32_e64 v19, v5, v37, s22
	;; [unrolled: 1-line block ×3, first 2 shown]
	s_delay_alu instid0(VALU_DEP_3) | instskip(NEXT) | instid1(VALU_DEP_2)
	v_cmp_ge_u32_e32 vcc_lo, v8, v18
	v_dual_cndmask_b32 v5, v7, v19 :: v_dual_cndmask_b32 v4, v6, v41
	s_or_b32 s0, vcc_lo, s12
	s_delay_alu instid0(SALU_CYCLE_1) | instskip(NEXT) | instid1(SALU_CYCLE_1)
	s_xor_b32 s0, s0, -1
	s_and_saveexec_b32 s25, s0
	s_cbranch_execz .LBB756_105
; %bb.100:
	v_mul_lo_u32 v18, v19, s8
	v_mul_lo_u32 v42, v41, s9
	v_mad_u64_u32 v[4:5], null, v41, s8, 0
	v_mul_lo_u32 v43, v7, s8
	v_mul_lo_u32 v44, v6, s9
	v_mad_u64_u32 v[8:9], null, v6, s8, 0
	s_mov_b32 s26, 0
	s_mov_b64 s[20:21], s[8:9]
	s_delay_alu instid0(VALU_DEP_4) | instskip(NEXT) | instid1(VALU_DEP_2)
	v_add3_u32 v5, v5, v42, v18
                                        ; implicit-def: $sgpr27
                                        ; implicit-def: $sgpr28
                                        ; implicit-def: $sgpr29
                                        ; implicit-def: $sgpr30
                                        ; implicit-def: $sgpr31
	v_add3_u32 v9, v9, v44, v43
	s_delay_alu instid0(VALU_DEP_2) | instskip(NEXT) | instid1(VALU_DEP_2)
	v_lshlrev_b64 v[4:5], 3, v[4:5]
	v_lshlrev_b64 v[8:9], 3, v[8:9]
	s_delay_alu instid0(VALU_DEP_2) | instskip(NEXT) | instid1(VALU_DEP_3)
	v_add_co_u32 v4, vcc_lo, s10, v4
	v_add_co_ci_u32_e32 v5, vcc_lo, s11, v5, vcc_lo
	s_delay_alu instid0(VALU_DEP_3) | instskip(NEXT) | instid1(VALU_DEP_4)
	v_add_co_u32 v8, vcc_lo, s10, v8
	v_add_co_ci_u32_e32 v9, vcc_lo, s11, v9, vcc_lo
	s_set_inst_prefetch_distance 0x1
	s_branch .LBB756_102
	.p2align	6
.LBB756_101:                            ;   in Loop: Header=BB756_102 Depth=1
	s_or_b32 exec_lo, exec_lo, s0
	s_delay_alu instid0(SALU_CYCLE_1) | instskip(NEXT) | instid1(SALU_CYCLE_1)
	s_and_b32 s0, exec_lo, s28
	s_or_b32 s26, s0, s26
	s_and_not1_b32 s0, s31, exec_lo
	s_and_b32 s1, s30, exec_lo
	s_and_not1_b32 s27, s27, exec_lo
	s_and_b32 s33, s29, exec_lo
	s_or_b32 s31, s0, s1
	s_or_b32 s27, s27, s33
	s_and_not1_b32 exec_lo, exec_lo, s26
	s_cbranch_execz .LBB756_104
.LBB756_102:                            ; =>This Inner Loop Header: Depth=1
	global_load_b64 v[42:43], v[4:5], off
	global_load_b64 v[44:45], v[8:9], off
	s_and_not1_b32 s30, s30, exec_lo
	s_or_b32 s28, s28, exec_lo
	s_waitcnt vmcnt(0)
	v_cmp_ngt_f64_e32 vcc_lo, v[42:43], v[44:45]
	v_cmp_lt_f64_e64 s0, v[42:43], v[44:45]
	s_and_b32 s33, vcc_lo, s31
	s_delay_alu instid0(VALU_DEP_1) | instid1(SALU_CYCLE_1)
	s_or_b32 s33, s0, s33
	s_and_not1_b32 s0, s29, exec_lo
	s_and_b32 s29, s33, exec_lo
	s_delay_alu instid0(SALU_CYCLE_1)
	s_or_b32 s29, s0, s29
	s_mov_b32 s0, exec_lo
	v_cmpx_nlg_f64_e32 v[42:43], v[44:45]
	s_cbranch_execz .LBB756_101
; %bb.103:                              ;   in Loop: Header=BB756_102 Depth=1
	s_add_u32 s20, s20, -1
	s_addc_u32 s21, s21, -1
	v_add_co_u32 v4, vcc_lo, v4, 8
	s_cmp_eq_u64 s[20:21], 0
	v_add_co_ci_u32_e32 v5, vcc_lo, 0, v5, vcc_lo
	v_add_co_u32 v8, vcc_lo, v8, 8
	s_cselect_b32 s1, -1, 0
	v_add_co_ci_u32_e32 v9, vcc_lo, 0, v9, vcc_lo
	s_and_not1_b32 s30, s30, exec_lo
	s_and_b32 s31, s33, exec_lo
	s_and_not1_b32 s28, s28, exec_lo
	s_and_b32 s1, s1, exec_lo
	s_or_b32 s30, s30, s31
	s_and_not1_b32 s29, s29, exec_lo
	s_or_b32 s28, s28, s1
                                        ; implicit-def: $sgpr31
	s_branch .LBB756_101
.LBB756_104:
	s_set_inst_prefetch_distance 0x2
	s_or_b32 exec_lo, exec_lo, s26
	v_cndmask_b32_e64 v5, v7, v19, s27
	v_cndmask_b32_e64 v4, v6, v41, s27
.LBB756_105:
	s_or_b32 exec_lo, exec_lo, s25
	s_delay_alu instid0(VALU_DEP_1)
	v_dual_mov_b32 v7, v5 :: v_dual_mov_b32 v6, v4
.LBB756_106:
	s_or_b32 exec_lo, exec_lo, s24
	v_cndmask_b32_e64 v1, v3, v1, s19
	v_cndmask_b32_e64 v0, v2, v0, s19
	;; [unrolled: 1-line block ×6, first 2 shown]
.LBB756_107:
	s_or_b32 exec_lo, exec_lo, s17
	v_and_b32_e32 v37, 0x70, v16
	v_and_b32_e32 v9, 12, v16
	s_mov_b32 s17, exec_lo
	; wave barrier
	s_delay_alu instid0(VALU_DEP_2) | instskip(NEXT) | instid1(VALU_DEP_2)
	v_or_b32_e32 v8, 8, v37
	v_min_u32_e32 v38, v15, v9
	v_lshl_add_u32 v21, v37, 3, v14
	ds_store_b128 v17, v[0:3]
	ds_store_b128 v17, v[4:7] offset:16
	v_min_u32_e32 v18, v15, v8
	; wave barrier
	s_delay_alu instid0(VALU_DEP_1) | instskip(SKIP_1) | instid1(VALU_DEP_2)
	v_add_nc_u32_e32 v8, 8, v18
	v_sub_nc_u32_e32 v9, v18, v37
	v_min_u32_e32 v19, v15, v8
	s_delay_alu instid0(VALU_DEP_2) | instskip(NEXT) | instid1(VALU_DEP_2)
	v_min_u32_e32 v39, v38, v9
	v_sub_nc_u32_e32 v8, v19, v18
	s_delay_alu instid0(VALU_DEP_1) | instskip(NEXT) | instid1(VALU_DEP_1)
	v_sub_nc_u32_e64 v20, v38, v8 clamp
	v_cmpx_lt_u32_e64 v20, v39
	s_cbranch_execz .LBB756_117
; %bb.108:
	v_lshlrev_b32_e32 v8, 3, v18
	v_lshlrev_b32_e32 v9, 3, v38
	s_lshl_b64 s[20:21], s[8:9], 3
	s_mov_b32 s19, 0
	s_delay_alu instid0(VALU_DEP_1)
	v_add3_u32 v40, v14, v8, v9
	s_branch .LBB756_111
.LBB756_109:                            ;   in Loop: Header=BB756_111 Depth=1
	s_set_inst_prefetch_distance 0x2
	s_or_b32 exec_lo, exec_lo, s24
.LBB756_110:                            ;   in Loop: Header=BB756_111 Depth=1
	s_delay_alu instid0(VALU_DEP_1) | instskip(SKIP_1) | instid1(VALU_DEP_2)
	v_add_nc_u32_e32 v8, 1, v41
	v_cndmask_b32_e64 v39, v39, v41, s25
	v_cndmask_b32_e64 v20, v8, v20, s25
	s_delay_alu instid0(VALU_DEP_1) | instskip(SKIP_1) | instid1(SALU_CYCLE_1)
	v_cmp_ge_u32_e32 vcc_lo, v20, v39
	s_or_b32 s19, vcc_lo, s19
	s_and_not1_b32 exec_lo, exec_lo, s19
	s_cbranch_execz .LBB756_116
.LBB756_111:                            ; =>This Loop Header: Depth=1
                                        ;     Child Loop BB756_114 Depth 2
	v_add_nc_u32_e32 v8, v39, v20
	v_cmp_ne_u32_e32 vcc_lo, 1, v36
	s_mov_b32 s25, 0
	s_delay_alu instid0(VALU_DEP_2)
	v_lshrrev_b32_e32 v41, 1, v8
	s_cbranch_vccnz .LBB756_110
; %bb.112:                              ;   in Loop: Header=BB756_111 Depth=1
	s_delay_alu instid0(VALU_DEP_1) | instskip(SKIP_3) | instid1(VALU_DEP_2)
	v_not_b32_e32 v8, v41
	v_lshl_add_u32 v9, v41, 3, v21
	s_mov_b32 s24, 0
	s_mov_b64 s[22:23], s[8:9]
                                        ; implicit-def: $sgpr25
                                        ; implicit-def: $sgpr26
                                        ; implicit-def: $sgpr27
                                        ; implicit-def: $sgpr28
                                        ; implicit-def: $sgpr29
	v_lshl_add_u32 v8, v8, 3, v40
	ds_load_b64 v[10:11], v8
	ds_load_b64 v[42:43], v9
	s_waitcnt lgkmcnt(1)
	v_mul_lo_u32 v44, s20, v11
	v_mul_lo_u32 v45, s21, v10
	v_mad_u64_u32 v[8:9], null, s20, v10, s[10:11]
	s_waitcnt lgkmcnt(0)
	v_mul_lo_u32 v43, s20, v43
	v_mul_lo_u32 v46, s21, v42
	v_mad_u64_u32 v[10:11], null, s20, v42, s[10:11]
	s_delay_alu instid0(VALU_DEP_4) | instskip(NEXT) | instid1(VALU_DEP_2)
	v_add3_u32 v9, v45, v9, v44
	v_add3_u32 v11, v46, v11, v43
	s_set_inst_prefetch_distance 0x1
	s_branch .LBB756_114
	.p2align	6
.LBB756_113:                            ;   in Loop: Header=BB756_114 Depth=2
	s_or_b32 exec_lo, exec_lo, s30
	s_delay_alu instid0(SALU_CYCLE_1) | instskip(NEXT) | instid1(SALU_CYCLE_1)
	s_and_b32 s0, exec_lo, s26
	s_or_b32 s24, s0, s24
	s_and_not1_b32 s0, s29, exec_lo
	s_and_b32 s1, s27, exec_lo
	s_and_not1_b32 s25, s25, exec_lo
	s_and_b32 s30, s28, exec_lo
	s_or_b32 s29, s0, s1
	s_or_b32 s25, s25, s30
	s_and_not1_b32 exec_lo, exec_lo, s24
	s_cbranch_execz .LBB756_109
.LBB756_114:                            ;   Parent Loop BB756_111 Depth=1
                                        ; =>  This Inner Loop Header: Depth=2
	global_load_b64 v[42:43], v[8:9], off
	global_load_b64 v[44:45], v[10:11], off
	s_and_not1_b32 s28, s28, exec_lo
	s_and_not1_b32 s27, s27, exec_lo
	s_or_b32 s26, s26, exec_lo
	s_waitcnt vmcnt(0)
	v_cmp_ngt_f64_e32 vcc_lo, v[42:43], v[44:45]
	v_cmp_lt_f64_e64 s0, v[42:43], v[44:45]
	s_and_b32 s30, vcc_lo, s29
	s_delay_alu instid0(VALU_DEP_1) | instid1(SALU_CYCLE_1)
	s_or_b32 s0, s0, s30
	s_delay_alu instid0(SALU_CYCLE_1) | instskip(NEXT) | instid1(SALU_CYCLE_1)
	s_and_b32 s30, s0, exec_lo
	s_or_b32 s28, s28, s30
	s_mov_b32 s30, exec_lo
	v_cmpx_nlg_f64_e32 v[42:43], v[44:45]
	s_cbranch_execz .LBB756_113
; %bb.115:                              ;   in Loop: Header=BB756_114 Depth=2
	s_add_u32 s22, s22, -1
	s_addc_u32 s23, s23, -1
	v_add_co_u32 v8, vcc_lo, v8, 8
	v_add_co_ci_u32_e32 v9, vcc_lo, 0, v9, vcc_lo
	s_cmp_eq_u64 s[22:23], 0
	v_add_co_u32 v10, vcc_lo, v10, 8
	s_cselect_b32 s1, -1, 0
	v_add_co_ci_u32_e32 v11, vcc_lo, 0, v11, vcc_lo
	s_and_not1_b32 s27, s27, exec_lo
	s_and_b32 s0, s0, exec_lo
	s_and_not1_b32 s26, s26, exec_lo
	s_and_b32 s1, s1, exec_lo
	s_and_not1_b32 s28, s28, exec_lo
	s_or_b32 s27, s27, s0
	s_or_b32 s26, s26, s1
                                        ; implicit-def: $sgpr29
	s_branch .LBB756_113
.LBB756_116:
	s_or_b32 exec_lo, exec_lo, s19
.LBB756_117:
	s_delay_alu instid0(SALU_CYCLE_1) | instskip(SKIP_2) | instid1(VALU_DEP_2)
	s_or_b32 exec_lo, exec_lo, s17
	v_add_nc_u32_e32 v9, v18, v38
	v_add_nc_u32_e32 v8, v20, v37
	v_sub_nc_u32_e32 v9, v9, v20
	s_delay_alu instid0(VALU_DEP_2) | instskip(NEXT) | instid1(VALU_DEP_2)
	v_cmp_le_u32_e32 vcc_lo, v8, v18
	v_cmp_le_u32_e64 s0, v9, v19
	s_delay_alu instid0(VALU_DEP_1) | instskip(NEXT) | instid1(SALU_CYCLE_1)
	s_or_b32 s0, vcc_lo, s0
	s_and_saveexec_b32 s17, s0
	s_cbranch_execz .LBB756_153
; %bb.118:
	v_cmp_ge_u32_e32 vcc_lo, v8, v18
	s_mov_b32 s1, exec_lo
                                        ; implicit-def: $vgpr0_vgpr1
	v_cmpx_lt_u32_e64 v8, v18
	s_cbranch_execz .LBB756_120
; %bb.119:
	v_lshl_add_u32 v0, v20, 3, v21
	ds_load_b64 v[0:1], v0
.LBB756_120:
	s_or_b32 exec_lo, exec_lo, s1
	v_cmp_ge_u32_e64 s0, v9, v19
	s_mov_b32 s19, exec_lo
                                        ; implicit-def: $vgpr4_vgpr5
	v_cmpx_lt_u32_e64 v9, v19
	s_cbranch_execz .LBB756_122
; %bb.121:
	v_lshl_add_u32 v2, v9, 3, v14
	ds_load_b64 v[4:5], v2
.LBB756_122:
	s_or_b32 exec_lo, exec_lo, s19
	s_or_b32 s1, vcc_lo, s0
	s_xor_b32 s19, vcc_lo, -1
	s_or_b32 s1, s1, s12
	s_or_b32 s19, s0, s19
	s_xor_b32 s1, s1, -1
	s_delay_alu instid0(SALU_CYCLE_1)
	s_and_saveexec_b32 s22, s1
	s_cbranch_execz .LBB756_128
; %bb.123:
	s_waitcnt lgkmcnt(0)
	v_mul_lo_u32 v10, v5, s8
	v_mul_lo_u32 v11, v4, s9
	v_mad_u64_u32 v[2:3], null, v4, s8, 0
	v_mul_lo_u32 v20, v1, s8
	v_mul_lo_u32 v21, v0, s9
	v_mad_u64_u32 v[6:7], null, v0, s8, 0
	s_mov_b32 s23, 0
	s_mov_b64 s[20:21], s[8:9]
	s_delay_alu instid0(VALU_DEP_4) | instskip(NEXT) | instid1(VALU_DEP_2)
	v_add3_u32 v3, v3, v11, v10
                                        ; implicit-def: $sgpr24
                                        ; implicit-def: $sgpr25
                                        ; implicit-def: $sgpr26
                                        ; implicit-def: $sgpr27
                                        ; implicit-def: $sgpr28
	v_add3_u32 v7, v7, v21, v20
	s_delay_alu instid0(VALU_DEP_2) | instskip(NEXT) | instid1(VALU_DEP_2)
	v_lshlrev_b64 v[2:3], 3, v[2:3]
	v_lshlrev_b64 v[6:7], 3, v[6:7]
	s_delay_alu instid0(VALU_DEP_2) | instskip(NEXT) | instid1(VALU_DEP_3)
	v_add_co_u32 v2, vcc_lo, s10, v2
	v_add_co_ci_u32_e32 v3, vcc_lo, s11, v3, vcc_lo
	s_delay_alu instid0(VALU_DEP_3) | instskip(NEXT) | instid1(VALU_DEP_4)
	v_add_co_u32 v6, vcc_lo, s10, v6
	v_add_co_ci_u32_e32 v7, vcc_lo, s11, v7, vcc_lo
	s_set_inst_prefetch_distance 0x1
	s_branch .LBB756_125
	.p2align	6
.LBB756_124:                            ;   in Loop: Header=BB756_125 Depth=1
	s_or_b32 exec_lo, exec_lo, s0
	s_delay_alu instid0(SALU_CYCLE_1) | instskip(NEXT) | instid1(SALU_CYCLE_1)
	s_and_b32 s0, exec_lo, s25
	s_or_b32 s23, s0, s23
	s_and_not1_b32 s0, s28, exec_lo
	s_and_b32 s1, s27, exec_lo
	s_and_not1_b32 s24, s24, exec_lo
	s_and_b32 s29, s26, exec_lo
	s_or_b32 s28, s0, s1
	s_or_b32 s24, s24, s29
	s_and_not1_b32 exec_lo, exec_lo, s23
	s_cbranch_execz .LBB756_127
.LBB756_125:                            ; =>This Inner Loop Header: Depth=1
	global_load_b64 v[10:11], v[2:3], off
	global_load_b64 v[20:21], v[6:7], off
	s_and_not1_b32 s27, s27, exec_lo
	s_or_b32 s25, s25, exec_lo
	s_waitcnt vmcnt(0)
	v_cmp_ngt_f64_e32 vcc_lo, v[10:11], v[20:21]
	v_cmp_lt_f64_e64 s0, v[10:11], v[20:21]
	s_and_b32 s29, vcc_lo, s28
	s_delay_alu instid0(VALU_DEP_1) | instid1(SALU_CYCLE_1)
	s_or_b32 s29, s0, s29
	s_and_not1_b32 s0, s26, exec_lo
	s_and_b32 s26, s29, exec_lo
	s_delay_alu instid0(SALU_CYCLE_1)
	s_or_b32 s26, s0, s26
	s_mov_b32 s0, exec_lo
	v_cmpx_nlg_f64_e32 v[10:11], v[20:21]
	s_cbranch_execz .LBB756_124
; %bb.126:                              ;   in Loop: Header=BB756_125 Depth=1
	s_add_u32 s20, s20, -1
	s_addc_u32 s21, s21, -1
	v_add_co_u32 v2, vcc_lo, v2, 8
	s_cmp_eq_u64 s[20:21], 0
	v_add_co_ci_u32_e32 v3, vcc_lo, 0, v3, vcc_lo
	v_add_co_u32 v6, vcc_lo, v6, 8
	s_cselect_b32 s1, -1, 0
	v_add_co_ci_u32_e32 v7, vcc_lo, 0, v7, vcc_lo
	s_and_not1_b32 s27, s27, exec_lo
	s_and_b32 s28, s29, exec_lo
	s_and_not1_b32 s25, s25, exec_lo
	s_and_b32 s1, s1, exec_lo
	s_or_b32 s27, s27, s28
	s_and_not1_b32 s26, s26, exec_lo
	s_or_b32 s25, s25, s1
                                        ; implicit-def: $sgpr28
	s_branch .LBB756_124
.LBB756_127:
	s_set_inst_prefetch_distance 0x2
	s_or_b32 exec_lo, exec_lo, s23
	s_xor_b32 s0, s24, -1
	s_and_not1_b32 s1, s19, exec_lo
	s_and_b32 s0, s0, exec_lo
	s_delay_alu instid0(SALU_CYCLE_1)
	s_or_b32 s19, s1, s0
.LBB756_128:
	s_or_b32 exec_lo, exec_lo, s22
	v_cndmask_b32_e64 v2, v9, v8, s19
	v_cndmask_b32_e64 v3, v19, v18, s19
	s_mov_b32 s22, -1
	s_mov_b32 s23, -1
	s_mov_b32 s24, exec_lo
	v_add_nc_u32_e32 v6, 1, v2
	v_add_nc_u32_e32 v2, -1, v3
	s_delay_alu instid0(VALU_DEP_2) | instskip(NEXT) | instid1(VALU_DEP_2)
	v_cndmask_b32_e64 v9, v6, v9, s19
	v_min_u32_e32 v2, v6, v2
	v_cndmask_b32_e64 v8, v8, v6, s19
	s_delay_alu instid0(VALU_DEP_2)
	v_lshl_add_u32 v2, v2, 3, v14
	ds_load_b64 v[2:3], v2
	s_waitcnt lgkmcnt(0)
	v_cndmask_b32_e64 v10, v3, v5, s19
	v_cndmask_b32_e64 v11, v2, v4, s19
	;; [unrolled: 1-line block ×4, first 2 shown]
	v_cmpx_lt_u32_e64 v9, v19
	s_cbranch_execz .LBB756_136
; %bb.129:
	v_cmp_lt_u32_e64 s23, v8, v18
	s_xor_b32 s0, s12, -1
	s_delay_alu instid0(VALU_DEP_1) | instid1(SALU_CYCLE_1)
	s_and_b32 s0, s23, s0
	s_delay_alu instid0(SALU_CYCLE_1)
	s_and_saveexec_b32 s25, s0
	s_cbranch_execz .LBB756_135
; %bb.130:
	v_mul_lo_u32 v37, v10, s8
	v_mul_lo_u32 v38, v11, s9
	v_mad_u64_u32 v[2:3], null, v11, s8, 0
	v_mul_lo_u32 v39, v20, s8
	v_mul_lo_u32 v40, v21, s9
	v_mad_u64_u32 v[6:7], null, v21, s8, 0
	s_mov_b32 s26, 0
	s_mov_b64 s[20:21], s[8:9]
	s_delay_alu instid0(VALU_DEP_4) | instskip(NEXT) | instid1(VALU_DEP_2)
	v_add3_u32 v3, v3, v38, v37
                                        ; implicit-def: $sgpr27
                                        ; implicit-def: $sgpr28
                                        ; implicit-def: $sgpr29
                                        ; implicit-def: $sgpr30
                                        ; implicit-def: $sgpr31
	v_add3_u32 v7, v7, v40, v39
	s_delay_alu instid0(VALU_DEP_2) | instskip(NEXT) | instid1(VALU_DEP_2)
	v_lshlrev_b64 v[2:3], 3, v[2:3]
	v_lshlrev_b64 v[6:7], 3, v[6:7]
	s_delay_alu instid0(VALU_DEP_2) | instskip(NEXT) | instid1(VALU_DEP_3)
	v_add_co_u32 v2, vcc_lo, s10, v2
	v_add_co_ci_u32_e32 v3, vcc_lo, s11, v3, vcc_lo
	s_delay_alu instid0(VALU_DEP_3) | instskip(NEXT) | instid1(VALU_DEP_4)
	v_add_co_u32 v6, vcc_lo, s10, v6
	v_add_co_ci_u32_e32 v7, vcc_lo, s11, v7, vcc_lo
	s_set_inst_prefetch_distance 0x1
	s_branch .LBB756_132
	.p2align	6
.LBB756_131:                            ;   in Loop: Header=BB756_132 Depth=1
	s_or_b32 exec_lo, exec_lo, s0
	s_delay_alu instid0(SALU_CYCLE_1) | instskip(NEXT) | instid1(SALU_CYCLE_1)
	s_and_b32 s0, exec_lo, s28
	s_or_b32 s26, s0, s26
	s_and_not1_b32 s0, s31, exec_lo
	s_and_b32 s1, s30, exec_lo
	s_and_not1_b32 s27, s27, exec_lo
	s_and_b32 s33, s29, exec_lo
	s_or_b32 s31, s0, s1
	s_or_b32 s27, s27, s33
	s_and_not1_b32 exec_lo, exec_lo, s26
	s_cbranch_execz .LBB756_134
.LBB756_132:                            ; =>This Inner Loop Header: Depth=1
	global_load_b64 v[37:38], v[2:3], off
	global_load_b64 v[39:40], v[6:7], off
	s_and_not1_b32 s30, s30, exec_lo
	s_or_b32 s28, s28, exec_lo
	s_waitcnt vmcnt(0)
	v_cmp_ngt_f64_e32 vcc_lo, v[37:38], v[39:40]
	v_cmp_lt_f64_e64 s0, v[37:38], v[39:40]
	s_and_b32 s33, vcc_lo, s31
	s_delay_alu instid0(VALU_DEP_1) | instid1(SALU_CYCLE_1)
	s_or_b32 s33, s0, s33
	s_and_not1_b32 s0, s29, exec_lo
	s_and_b32 s29, s33, exec_lo
	s_delay_alu instid0(SALU_CYCLE_1)
	s_or_b32 s29, s0, s29
	s_mov_b32 s0, exec_lo
	v_cmpx_nlg_f64_e32 v[37:38], v[39:40]
	s_cbranch_execz .LBB756_131
; %bb.133:                              ;   in Loop: Header=BB756_132 Depth=1
	s_add_u32 s20, s20, -1
	s_addc_u32 s21, s21, -1
	v_add_co_u32 v2, vcc_lo, v2, 8
	s_cmp_eq_u64 s[20:21], 0
	v_add_co_ci_u32_e32 v3, vcc_lo, 0, v3, vcc_lo
	v_add_co_u32 v6, vcc_lo, v6, 8
	s_cselect_b32 s1, -1, 0
	v_add_co_ci_u32_e32 v7, vcc_lo, 0, v7, vcc_lo
	s_and_not1_b32 s30, s30, exec_lo
	s_and_b32 s31, s33, exec_lo
	s_and_not1_b32 s28, s28, exec_lo
	s_and_b32 s1, s1, exec_lo
	s_or_b32 s30, s30, s31
	s_and_not1_b32 s29, s29, exec_lo
	s_or_b32 s28, s28, s1
                                        ; implicit-def: $sgpr31
	s_branch .LBB756_131
.LBB756_134:
	s_set_inst_prefetch_distance 0x2
	s_or_b32 exec_lo, exec_lo, s26
	s_xor_b32 s0, s27, -1
	s_and_not1_b32 s1, s23, exec_lo
	s_and_b32 s0, s0, exec_lo
	s_delay_alu instid0(SALU_CYCLE_1)
	s_or_b32 s23, s1, s0
.LBB756_135:
	s_or_b32 exec_lo, exec_lo, s25
	s_delay_alu instid0(SALU_CYCLE_1)
	s_or_not1_b32 s23, s23, exec_lo
.LBB756_136:
	s_or_b32 exec_lo, exec_lo, s24
	v_cndmask_b32_e64 v2, v9, v8, s23
	v_cndmask_b32_e64 v3, v19, v18, s23
	s_mov_b32 s24, exec_lo
	s_delay_alu instid0(VALU_DEP_2) | instskip(NEXT) | instid1(VALU_DEP_2)
	v_add_nc_u32_e32 v6, 1, v2
	v_add_nc_u32_e32 v2, -1, v3
	s_delay_alu instid0(VALU_DEP_2) | instskip(NEXT) | instid1(VALU_DEP_2)
	v_cndmask_b32_e64 v40, v6, v9, s23
	v_min_u32_e32 v2, v6, v2
	v_cndmask_b32_e64 v37, v8, v6, s23
	s_delay_alu instid0(VALU_DEP_2)
	v_lshl_add_u32 v2, v2, 3, v14
	ds_load_b64 v[2:3], v2
	s_waitcnt lgkmcnt(0)
	v_cndmask_b32_e64 v38, v3, v10, s23
	v_cndmask_b32_e64 v39, v2, v11, s23
	;; [unrolled: 1-line block ×4, first 2 shown]
	v_cmpx_lt_u32_e64 v40, v19
	s_cbranch_execz .LBB756_144
; %bb.137:
	v_cmp_lt_u32_e64 s22, v37, v18
	s_xor_b32 s0, s12, -1
	s_delay_alu instid0(VALU_DEP_1) | instid1(SALU_CYCLE_1)
	s_and_b32 s0, s22, s0
	s_delay_alu instid0(SALU_CYCLE_1)
	s_and_saveexec_b32 s25, s0
	s_cbranch_execz .LBB756_143
; %bb.138:
	v_mul_lo_u32 v8, v38, s8
	v_mul_lo_u32 v9, v39, s9
	v_mad_u64_u32 v[2:3], null, v39, s8, 0
	v_mul_lo_u32 v43, v41, s8
	v_mul_lo_u32 v44, v42, s9
	v_mad_u64_u32 v[6:7], null, v42, s8, 0
	s_mov_b32 s26, 0
	s_mov_b64 s[20:21], s[8:9]
	s_delay_alu instid0(VALU_DEP_4) | instskip(NEXT) | instid1(VALU_DEP_2)
	v_add3_u32 v3, v3, v9, v8
                                        ; implicit-def: $sgpr27
                                        ; implicit-def: $sgpr28
                                        ; implicit-def: $sgpr29
                                        ; implicit-def: $sgpr30
                                        ; implicit-def: $sgpr31
	v_add3_u32 v7, v7, v44, v43
	s_delay_alu instid0(VALU_DEP_2) | instskip(NEXT) | instid1(VALU_DEP_2)
	v_lshlrev_b64 v[2:3], 3, v[2:3]
	v_lshlrev_b64 v[6:7], 3, v[6:7]
	s_delay_alu instid0(VALU_DEP_2) | instskip(NEXT) | instid1(VALU_DEP_3)
	v_add_co_u32 v2, vcc_lo, s10, v2
	v_add_co_ci_u32_e32 v3, vcc_lo, s11, v3, vcc_lo
	s_delay_alu instid0(VALU_DEP_3) | instskip(NEXT) | instid1(VALU_DEP_4)
	v_add_co_u32 v6, vcc_lo, s10, v6
	v_add_co_ci_u32_e32 v7, vcc_lo, s11, v7, vcc_lo
	s_set_inst_prefetch_distance 0x1
	s_branch .LBB756_140
	.p2align	6
.LBB756_139:                            ;   in Loop: Header=BB756_140 Depth=1
	s_or_b32 exec_lo, exec_lo, s0
	s_delay_alu instid0(SALU_CYCLE_1) | instskip(NEXT) | instid1(SALU_CYCLE_1)
	s_and_b32 s0, exec_lo, s28
	s_or_b32 s26, s0, s26
	s_and_not1_b32 s0, s31, exec_lo
	s_and_b32 s1, s30, exec_lo
	s_and_not1_b32 s27, s27, exec_lo
	s_and_b32 s33, s29, exec_lo
	s_or_b32 s31, s0, s1
	s_or_b32 s27, s27, s33
	s_and_not1_b32 exec_lo, exec_lo, s26
	s_cbranch_execz .LBB756_142
.LBB756_140:                            ; =>This Inner Loop Header: Depth=1
	global_load_b64 v[8:9], v[2:3], off
	global_load_b64 v[43:44], v[6:7], off
	s_and_not1_b32 s30, s30, exec_lo
	s_or_b32 s28, s28, exec_lo
	s_waitcnt vmcnt(0)
	v_cmp_ngt_f64_e32 vcc_lo, v[8:9], v[43:44]
	v_cmp_lt_f64_e64 s0, v[8:9], v[43:44]
	s_and_b32 s33, vcc_lo, s31
	s_delay_alu instid0(VALU_DEP_1) | instid1(SALU_CYCLE_1)
	s_or_b32 s33, s0, s33
	s_and_not1_b32 s0, s29, exec_lo
	s_and_b32 s29, s33, exec_lo
	s_delay_alu instid0(SALU_CYCLE_1)
	s_or_b32 s29, s0, s29
	s_mov_b32 s0, exec_lo
	v_cmpx_nlg_f64_e32 v[8:9], v[43:44]
	s_cbranch_execz .LBB756_139
; %bb.141:                              ;   in Loop: Header=BB756_140 Depth=1
	s_add_u32 s20, s20, -1
	s_addc_u32 s21, s21, -1
	v_add_co_u32 v2, vcc_lo, v2, 8
	s_cmp_eq_u64 s[20:21], 0
	v_add_co_ci_u32_e32 v3, vcc_lo, 0, v3, vcc_lo
	v_add_co_u32 v6, vcc_lo, v6, 8
	s_cselect_b32 s1, -1, 0
	v_add_co_ci_u32_e32 v7, vcc_lo, 0, v7, vcc_lo
	s_and_not1_b32 s30, s30, exec_lo
	s_and_b32 s31, s33, exec_lo
	s_and_not1_b32 s28, s28, exec_lo
	s_and_b32 s1, s1, exec_lo
	s_or_b32 s30, s30, s31
	s_and_not1_b32 s29, s29, exec_lo
	s_or_b32 s28, s28, s1
                                        ; implicit-def: $sgpr31
	s_branch .LBB756_139
.LBB756_142:
	s_set_inst_prefetch_distance 0x2
	s_or_b32 exec_lo, exec_lo, s26
	s_xor_b32 s0, s27, -1
	s_and_not1_b32 s1, s22, exec_lo
	s_and_b32 s0, s0, exec_lo
	s_delay_alu instid0(SALU_CYCLE_1)
	s_or_b32 s22, s1, s0
.LBB756_143:
	s_or_b32 exec_lo, exec_lo, s25
	s_delay_alu instid0(SALU_CYCLE_1)
	s_or_not1_b32 s22, s22, exec_lo
.LBB756_144:
	s_or_b32 exec_lo, exec_lo, s24
	v_cndmask_b32_e64 v2, v40, v37, s22
	v_cndmask_b32_e64 v3, v19, v18, s22
	;; [unrolled: 1-line block ×5, first 2 shown]
	v_add_nc_u32_e32 v43, 1, v2
	v_add_nc_u32_e32 v2, -1, v3
	v_cndmask_b32_e64 v3, v10, v20, s23
	v_cndmask_b32_e64 v4, v39, v42, s22
	s_mov_b32 s19, exec_lo
	v_cndmask_b32_e64 v10, v43, v40, s22
	v_min_u32_e32 v2, v43, v2
	s_delay_alu instid0(VALU_DEP_1)
	v_lshl_add_u32 v2, v2, 3, v14
	ds_load_b64 v[8:9], v2
	v_cndmask_b32_e64 v2, v11, v21, s23
	s_waitcnt lgkmcnt(0)
	v_cndmask_b32_e64 v7, v41, v9, s22
	v_cndmask_b32_e64 v6, v42, v8, s22
	v_cmpx_lt_u32_e64 v10, v19
	s_cbranch_execz .LBB756_152
; %bb.145:
	v_cndmask_b32_e64 v10, v37, v43, s22
	v_cndmask_b32_e64 v19, v9, v38, s22
	;; [unrolled: 1-line block ×3, first 2 shown]
	s_delay_alu instid0(VALU_DEP_3) | instskip(NEXT) | instid1(VALU_DEP_2)
	v_cmp_ge_u32_e32 vcc_lo, v10, v18
	v_dual_cndmask_b32 v9, v7, v19 :: v_dual_cndmask_b32 v8, v6, v20
	s_or_b32 s0, vcc_lo, s12
	s_delay_alu instid0(SALU_CYCLE_1) | instskip(NEXT) | instid1(SALU_CYCLE_1)
	s_xor_b32 s0, s0, -1
	s_and_saveexec_b32 s22, s0
	s_cbranch_execz .LBB756_151
; %bb.146:
	v_mul_lo_u32 v18, v19, s8
	v_mul_lo_u32 v21, v20, s9
	v_mad_u64_u32 v[8:9], null, v20, s8, 0
	v_mul_lo_u32 v37, v7, s8
	v_mul_lo_u32 v38, v6, s9
	v_mad_u64_u32 v[10:11], null, v6, s8, 0
	s_mov_b32 s23, 0
	s_mov_b64 s[20:21], s[8:9]
	s_delay_alu instid0(VALU_DEP_4) | instskip(NEXT) | instid1(VALU_DEP_2)
	v_add3_u32 v9, v9, v21, v18
                                        ; implicit-def: $sgpr24
                                        ; implicit-def: $sgpr25
                                        ; implicit-def: $sgpr26
                                        ; implicit-def: $sgpr27
                                        ; implicit-def: $sgpr28
	v_add3_u32 v11, v11, v38, v37
	s_delay_alu instid0(VALU_DEP_2) | instskip(NEXT) | instid1(VALU_DEP_2)
	v_lshlrev_b64 v[8:9], 3, v[8:9]
	v_lshlrev_b64 v[10:11], 3, v[10:11]
	s_delay_alu instid0(VALU_DEP_2) | instskip(NEXT) | instid1(VALU_DEP_3)
	v_add_co_u32 v8, vcc_lo, s10, v8
	v_add_co_ci_u32_e32 v9, vcc_lo, s11, v9, vcc_lo
	s_delay_alu instid0(VALU_DEP_3) | instskip(NEXT) | instid1(VALU_DEP_4)
	v_add_co_u32 v10, vcc_lo, s10, v10
	v_add_co_ci_u32_e32 v11, vcc_lo, s11, v11, vcc_lo
	s_set_inst_prefetch_distance 0x1
	s_branch .LBB756_148
	.p2align	6
.LBB756_147:                            ;   in Loop: Header=BB756_148 Depth=1
	s_or_b32 exec_lo, exec_lo, s0
	s_delay_alu instid0(SALU_CYCLE_1) | instskip(NEXT) | instid1(SALU_CYCLE_1)
	s_and_b32 s0, exec_lo, s25
	s_or_b32 s23, s0, s23
	s_and_not1_b32 s0, s28, exec_lo
	s_and_b32 s1, s27, exec_lo
	s_and_not1_b32 s24, s24, exec_lo
	s_and_b32 s29, s26, exec_lo
	s_or_b32 s28, s0, s1
	s_or_b32 s24, s24, s29
	s_and_not1_b32 exec_lo, exec_lo, s23
	s_cbranch_execz .LBB756_150
.LBB756_148:                            ; =>This Inner Loop Header: Depth=1
	global_load_b64 v[37:38], v[8:9], off
	global_load_b64 v[39:40], v[10:11], off
	s_and_not1_b32 s27, s27, exec_lo
	s_or_b32 s25, s25, exec_lo
	s_waitcnt vmcnt(0)
	v_cmp_ngt_f64_e32 vcc_lo, v[37:38], v[39:40]
	v_cmp_lt_f64_e64 s0, v[37:38], v[39:40]
	s_and_b32 s29, vcc_lo, s28
	s_delay_alu instid0(VALU_DEP_1) | instid1(SALU_CYCLE_1)
	s_or_b32 s29, s0, s29
	s_and_not1_b32 s0, s26, exec_lo
	s_and_b32 s26, s29, exec_lo
	s_delay_alu instid0(SALU_CYCLE_1)
	s_or_b32 s26, s0, s26
	s_mov_b32 s0, exec_lo
	v_cmpx_nlg_f64_e32 v[37:38], v[39:40]
	s_cbranch_execz .LBB756_147
; %bb.149:                              ;   in Loop: Header=BB756_148 Depth=1
	s_add_u32 s20, s20, -1
	s_addc_u32 s21, s21, -1
	v_add_co_u32 v8, vcc_lo, v8, 8
	s_cmp_eq_u64 s[20:21], 0
	v_add_co_ci_u32_e32 v9, vcc_lo, 0, v9, vcc_lo
	v_add_co_u32 v10, vcc_lo, v10, 8
	s_cselect_b32 s1, -1, 0
	v_add_co_ci_u32_e32 v11, vcc_lo, 0, v11, vcc_lo
	s_and_not1_b32 s27, s27, exec_lo
	s_and_b32 s28, s29, exec_lo
	s_and_not1_b32 s25, s25, exec_lo
	s_and_b32 s1, s1, exec_lo
	s_or_b32 s27, s27, s28
	s_and_not1_b32 s26, s26, exec_lo
	s_or_b32 s25, s25, s1
                                        ; implicit-def: $sgpr28
	s_branch .LBB756_147
.LBB756_150:
	s_set_inst_prefetch_distance 0x2
	s_or_b32 exec_lo, exec_lo, s23
	v_cndmask_b32_e64 v9, v7, v19, s24
	v_cndmask_b32_e64 v8, v6, v20, s24
.LBB756_151:
	s_or_b32 exec_lo, exec_lo, s22
	s_delay_alu instid0(VALU_DEP_1)
	v_dual_mov_b32 v6, v8 :: v_dual_mov_b32 v7, v9
.LBB756_152:
	s_or_b32 exec_lo, exec_lo, s19
.LBB756_153:
	s_delay_alu instid0(SALU_CYCLE_1) | instskip(SKIP_3) | instid1(VALU_DEP_2)
	s_or_b32 exec_lo, exec_lo, s17
	v_and_b32_e32 v37, 0x60, v16
	v_and_b32_e32 v9, 28, v16
	s_mov_b32 s17, exec_lo
	; wave barrier
	v_or_b32_e32 v8, 16, v37
	s_delay_alu instid0(VALU_DEP_2) | instskip(SKIP_4) | instid1(VALU_DEP_1)
	v_min_u32_e32 v38, v15, v9
	v_lshl_add_u32 v21, v37, 3, v14
	ds_store_b128 v17, v[0:3]
	ds_store_b128 v17, v[4:7] offset:16
	v_min_u32_e32 v18, v15, v8
	; wave barrier
	v_add_nc_u32_e32 v8, 16, v18
	v_sub_nc_u32_e32 v9, v18, v37
	s_delay_alu instid0(VALU_DEP_2) | instskip(NEXT) | instid1(VALU_DEP_2)
	v_min_u32_e32 v19, v15, v8
	v_min_u32_e32 v39, v38, v9
	s_delay_alu instid0(VALU_DEP_2) | instskip(NEXT) | instid1(VALU_DEP_1)
	v_sub_nc_u32_e32 v8, v19, v18
	v_sub_nc_u32_e64 v20, v38, v8 clamp
	s_delay_alu instid0(VALU_DEP_1)
	v_cmpx_lt_u32_e64 v20, v39
	s_cbranch_execz .LBB756_163
; %bb.154:
	v_lshlrev_b32_e32 v8, 3, v18
	v_lshlrev_b32_e32 v9, 3, v38
	s_lshl_b64 s[20:21], s[8:9], 3
	s_mov_b32 s19, 0
	s_delay_alu instid0(VALU_DEP_1)
	v_add3_u32 v40, v14, v8, v9
	s_branch .LBB756_157
.LBB756_155:                            ;   in Loop: Header=BB756_157 Depth=1
	s_set_inst_prefetch_distance 0x2
	s_or_b32 exec_lo, exec_lo, s24
.LBB756_156:                            ;   in Loop: Header=BB756_157 Depth=1
	s_delay_alu instid0(VALU_DEP_1) | instskip(SKIP_1) | instid1(VALU_DEP_2)
	v_add_nc_u32_e32 v8, 1, v41
	v_cndmask_b32_e64 v39, v39, v41, s25
	v_cndmask_b32_e64 v20, v8, v20, s25
	s_delay_alu instid0(VALU_DEP_1) | instskip(SKIP_1) | instid1(SALU_CYCLE_1)
	v_cmp_ge_u32_e32 vcc_lo, v20, v39
	s_or_b32 s19, vcc_lo, s19
	s_and_not1_b32 exec_lo, exec_lo, s19
	s_cbranch_execz .LBB756_162
.LBB756_157:                            ; =>This Loop Header: Depth=1
                                        ;     Child Loop BB756_160 Depth 2
	v_add_nc_u32_e32 v8, v39, v20
	v_cmp_ne_u32_e32 vcc_lo, 1, v36
	s_mov_b32 s25, 0
	s_delay_alu instid0(VALU_DEP_2)
	v_lshrrev_b32_e32 v41, 1, v8
	s_cbranch_vccnz .LBB756_156
; %bb.158:                              ;   in Loop: Header=BB756_157 Depth=1
	s_delay_alu instid0(VALU_DEP_1) | instskip(SKIP_3) | instid1(VALU_DEP_2)
	v_not_b32_e32 v8, v41
	v_lshl_add_u32 v9, v41, 3, v21
	s_mov_b32 s24, 0
	s_mov_b64 s[22:23], s[8:9]
                                        ; implicit-def: $sgpr25
                                        ; implicit-def: $sgpr26
                                        ; implicit-def: $sgpr27
                                        ; implicit-def: $sgpr28
                                        ; implicit-def: $sgpr29
	v_lshl_add_u32 v8, v8, 3, v40
	ds_load_b64 v[10:11], v8
	ds_load_b64 v[42:43], v9
	s_waitcnt lgkmcnt(1)
	v_mul_lo_u32 v44, s20, v11
	v_mul_lo_u32 v45, s21, v10
	v_mad_u64_u32 v[8:9], null, s20, v10, s[10:11]
	s_waitcnt lgkmcnt(0)
	v_mul_lo_u32 v43, s20, v43
	v_mul_lo_u32 v46, s21, v42
	v_mad_u64_u32 v[10:11], null, s20, v42, s[10:11]
	s_delay_alu instid0(VALU_DEP_4) | instskip(NEXT) | instid1(VALU_DEP_2)
	v_add3_u32 v9, v45, v9, v44
	v_add3_u32 v11, v46, v11, v43
	s_set_inst_prefetch_distance 0x1
	s_branch .LBB756_160
	.p2align	6
.LBB756_159:                            ;   in Loop: Header=BB756_160 Depth=2
	s_or_b32 exec_lo, exec_lo, s30
	s_delay_alu instid0(SALU_CYCLE_1) | instskip(NEXT) | instid1(SALU_CYCLE_1)
	s_and_b32 s0, exec_lo, s26
	s_or_b32 s24, s0, s24
	s_and_not1_b32 s0, s29, exec_lo
	s_and_b32 s1, s27, exec_lo
	s_and_not1_b32 s25, s25, exec_lo
	s_and_b32 s30, s28, exec_lo
	s_or_b32 s29, s0, s1
	s_or_b32 s25, s25, s30
	s_and_not1_b32 exec_lo, exec_lo, s24
	s_cbranch_execz .LBB756_155
.LBB756_160:                            ;   Parent Loop BB756_157 Depth=1
                                        ; =>  This Inner Loop Header: Depth=2
	global_load_b64 v[42:43], v[8:9], off
	global_load_b64 v[44:45], v[10:11], off
	s_and_not1_b32 s28, s28, exec_lo
	s_and_not1_b32 s27, s27, exec_lo
	s_or_b32 s26, s26, exec_lo
	s_waitcnt vmcnt(0)
	v_cmp_ngt_f64_e32 vcc_lo, v[42:43], v[44:45]
	v_cmp_lt_f64_e64 s0, v[42:43], v[44:45]
	s_and_b32 s30, vcc_lo, s29
	s_delay_alu instid0(VALU_DEP_1) | instid1(SALU_CYCLE_1)
	s_or_b32 s0, s0, s30
	s_delay_alu instid0(SALU_CYCLE_1) | instskip(NEXT) | instid1(SALU_CYCLE_1)
	s_and_b32 s30, s0, exec_lo
	s_or_b32 s28, s28, s30
	s_mov_b32 s30, exec_lo
	v_cmpx_nlg_f64_e32 v[42:43], v[44:45]
	s_cbranch_execz .LBB756_159
; %bb.161:                              ;   in Loop: Header=BB756_160 Depth=2
	s_add_u32 s22, s22, -1
	s_addc_u32 s23, s23, -1
	v_add_co_u32 v8, vcc_lo, v8, 8
	v_add_co_ci_u32_e32 v9, vcc_lo, 0, v9, vcc_lo
	s_cmp_eq_u64 s[22:23], 0
	v_add_co_u32 v10, vcc_lo, v10, 8
	s_cselect_b32 s1, -1, 0
	v_add_co_ci_u32_e32 v11, vcc_lo, 0, v11, vcc_lo
	s_and_not1_b32 s27, s27, exec_lo
	s_and_b32 s0, s0, exec_lo
	s_and_not1_b32 s26, s26, exec_lo
	s_and_b32 s1, s1, exec_lo
	s_and_not1_b32 s28, s28, exec_lo
	s_or_b32 s27, s27, s0
	s_or_b32 s26, s26, s1
                                        ; implicit-def: $sgpr29
	s_branch .LBB756_159
.LBB756_162:
	s_or_b32 exec_lo, exec_lo, s19
.LBB756_163:
	s_delay_alu instid0(SALU_CYCLE_1) | instskip(SKIP_2) | instid1(VALU_DEP_2)
	s_or_b32 exec_lo, exec_lo, s17
	v_add_nc_u32_e32 v9, v18, v38
	v_add_nc_u32_e32 v8, v20, v37
	v_sub_nc_u32_e32 v9, v9, v20
	s_delay_alu instid0(VALU_DEP_2) | instskip(NEXT) | instid1(VALU_DEP_2)
	v_cmp_le_u32_e32 vcc_lo, v8, v18
	v_cmp_le_u32_e64 s0, v9, v19
	s_delay_alu instid0(VALU_DEP_1) | instskip(NEXT) | instid1(SALU_CYCLE_1)
	s_or_b32 s0, vcc_lo, s0
	s_and_saveexec_b32 s17, s0
	s_cbranch_execz .LBB756_199
; %bb.164:
	v_cmp_ge_u32_e32 vcc_lo, v8, v18
	s_mov_b32 s1, exec_lo
                                        ; implicit-def: $vgpr0_vgpr1
	v_cmpx_lt_u32_e64 v8, v18
	s_cbranch_execz .LBB756_166
; %bb.165:
	v_lshl_add_u32 v0, v20, 3, v21
	ds_load_b64 v[0:1], v0
.LBB756_166:
	s_or_b32 exec_lo, exec_lo, s1
	v_cmp_ge_u32_e64 s0, v9, v19
	s_mov_b32 s19, exec_lo
                                        ; implicit-def: $vgpr4_vgpr5
	v_cmpx_lt_u32_e64 v9, v19
	s_cbranch_execz .LBB756_168
; %bb.167:
	v_lshl_add_u32 v2, v9, 3, v14
	ds_load_b64 v[4:5], v2
.LBB756_168:
	s_or_b32 exec_lo, exec_lo, s19
	s_or_b32 s1, vcc_lo, s0
	s_xor_b32 s19, vcc_lo, -1
	s_or_b32 s1, s1, s12
	s_or_b32 s19, s0, s19
	s_xor_b32 s1, s1, -1
	s_delay_alu instid0(SALU_CYCLE_1)
	s_and_saveexec_b32 s22, s1
	s_cbranch_execz .LBB756_174
; %bb.169:
	s_waitcnt lgkmcnt(0)
	v_mul_lo_u32 v10, v5, s8
	v_mul_lo_u32 v11, v4, s9
	v_mad_u64_u32 v[2:3], null, v4, s8, 0
	v_mul_lo_u32 v20, v1, s8
	v_mul_lo_u32 v21, v0, s9
	v_mad_u64_u32 v[6:7], null, v0, s8, 0
	s_mov_b32 s23, 0
	s_mov_b64 s[20:21], s[8:9]
	s_delay_alu instid0(VALU_DEP_4) | instskip(NEXT) | instid1(VALU_DEP_2)
	v_add3_u32 v3, v3, v11, v10
                                        ; implicit-def: $sgpr24
                                        ; implicit-def: $sgpr25
                                        ; implicit-def: $sgpr26
                                        ; implicit-def: $sgpr27
                                        ; implicit-def: $sgpr28
	v_add3_u32 v7, v7, v21, v20
	s_delay_alu instid0(VALU_DEP_2) | instskip(NEXT) | instid1(VALU_DEP_2)
	v_lshlrev_b64 v[2:3], 3, v[2:3]
	v_lshlrev_b64 v[6:7], 3, v[6:7]
	s_delay_alu instid0(VALU_DEP_2) | instskip(NEXT) | instid1(VALU_DEP_3)
	v_add_co_u32 v2, vcc_lo, s10, v2
	v_add_co_ci_u32_e32 v3, vcc_lo, s11, v3, vcc_lo
	s_delay_alu instid0(VALU_DEP_3) | instskip(NEXT) | instid1(VALU_DEP_4)
	v_add_co_u32 v6, vcc_lo, s10, v6
	v_add_co_ci_u32_e32 v7, vcc_lo, s11, v7, vcc_lo
	s_set_inst_prefetch_distance 0x1
	s_branch .LBB756_171
	.p2align	6
.LBB756_170:                            ;   in Loop: Header=BB756_171 Depth=1
	s_or_b32 exec_lo, exec_lo, s0
	s_delay_alu instid0(SALU_CYCLE_1) | instskip(NEXT) | instid1(SALU_CYCLE_1)
	s_and_b32 s0, exec_lo, s25
	s_or_b32 s23, s0, s23
	s_and_not1_b32 s0, s28, exec_lo
	s_and_b32 s1, s27, exec_lo
	s_and_not1_b32 s24, s24, exec_lo
	s_and_b32 s29, s26, exec_lo
	s_or_b32 s28, s0, s1
	s_or_b32 s24, s24, s29
	s_and_not1_b32 exec_lo, exec_lo, s23
	s_cbranch_execz .LBB756_173
.LBB756_171:                            ; =>This Inner Loop Header: Depth=1
	global_load_b64 v[10:11], v[2:3], off
	global_load_b64 v[20:21], v[6:7], off
	s_and_not1_b32 s27, s27, exec_lo
	s_or_b32 s25, s25, exec_lo
	s_waitcnt vmcnt(0)
	v_cmp_ngt_f64_e32 vcc_lo, v[10:11], v[20:21]
	v_cmp_lt_f64_e64 s0, v[10:11], v[20:21]
	s_and_b32 s29, vcc_lo, s28
	s_delay_alu instid0(VALU_DEP_1) | instid1(SALU_CYCLE_1)
	s_or_b32 s29, s0, s29
	s_and_not1_b32 s0, s26, exec_lo
	s_and_b32 s26, s29, exec_lo
	s_delay_alu instid0(SALU_CYCLE_1)
	s_or_b32 s26, s0, s26
	s_mov_b32 s0, exec_lo
	v_cmpx_nlg_f64_e32 v[10:11], v[20:21]
	s_cbranch_execz .LBB756_170
; %bb.172:                              ;   in Loop: Header=BB756_171 Depth=1
	s_add_u32 s20, s20, -1
	s_addc_u32 s21, s21, -1
	v_add_co_u32 v2, vcc_lo, v2, 8
	s_cmp_eq_u64 s[20:21], 0
	v_add_co_ci_u32_e32 v3, vcc_lo, 0, v3, vcc_lo
	v_add_co_u32 v6, vcc_lo, v6, 8
	s_cselect_b32 s1, -1, 0
	v_add_co_ci_u32_e32 v7, vcc_lo, 0, v7, vcc_lo
	s_and_not1_b32 s27, s27, exec_lo
	s_and_b32 s28, s29, exec_lo
	s_and_not1_b32 s25, s25, exec_lo
	s_and_b32 s1, s1, exec_lo
	s_or_b32 s27, s27, s28
	s_and_not1_b32 s26, s26, exec_lo
	s_or_b32 s25, s25, s1
                                        ; implicit-def: $sgpr28
	s_branch .LBB756_170
.LBB756_173:
	s_set_inst_prefetch_distance 0x2
	s_or_b32 exec_lo, exec_lo, s23
	s_xor_b32 s0, s24, -1
	s_and_not1_b32 s1, s19, exec_lo
	s_and_b32 s0, s0, exec_lo
	s_delay_alu instid0(SALU_CYCLE_1)
	s_or_b32 s19, s1, s0
.LBB756_174:
	s_or_b32 exec_lo, exec_lo, s22
	v_cndmask_b32_e64 v2, v9, v8, s19
	v_cndmask_b32_e64 v3, v19, v18, s19
	s_mov_b32 s22, -1
	s_mov_b32 s23, -1
	s_mov_b32 s24, exec_lo
	v_add_nc_u32_e32 v6, 1, v2
	v_add_nc_u32_e32 v2, -1, v3
	s_delay_alu instid0(VALU_DEP_2) | instskip(NEXT) | instid1(VALU_DEP_2)
	v_cndmask_b32_e64 v9, v6, v9, s19
	v_min_u32_e32 v2, v6, v2
	v_cndmask_b32_e64 v8, v8, v6, s19
	s_delay_alu instid0(VALU_DEP_2)
	v_lshl_add_u32 v2, v2, 3, v14
	ds_load_b64 v[2:3], v2
	s_waitcnt lgkmcnt(0)
	v_cndmask_b32_e64 v10, v3, v5, s19
	v_cndmask_b32_e64 v11, v2, v4, s19
	;; [unrolled: 1-line block ×4, first 2 shown]
	v_cmpx_lt_u32_e64 v9, v19
	s_cbranch_execz .LBB756_182
; %bb.175:
	v_cmp_lt_u32_e64 s23, v8, v18
	s_xor_b32 s0, s12, -1
	s_delay_alu instid0(VALU_DEP_1) | instid1(SALU_CYCLE_1)
	s_and_b32 s0, s23, s0
	s_delay_alu instid0(SALU_CYCLE_1)
	s_and_saveexec_b32 s25, s0
	s_cbranch_execz .LBB756_181
; %bb.176:
	v_mul_lo_u32 v37, v10, s8
	v_mul_lo_u32 v38, v11, s9
	v_mad_u64_u32 v[2:3], null, v11, s8, 0
	v_mul_lo_u32 v39, v20, s8
	v_mul_lo_u32 v40, v21, s9
	v_mad_u64_u32 v[6:7], null, v21, s8, 0
	s_mov_b32 s26, 0
	s_mov_b64 s[20:21], s[8:9]
	s_delay_alu instid0(VALU_DEP_4) | instskip(NEXT) | instid1(VALU_DEP_2)
	v_add3_u32 v3, v3, v38, v37
                                        ; implicit-def: $sgpr27
                                        ; implicit-def: $sgpr28
                                        ; implicit-def: $sgpr29
                                        ; implicit-def: $sgpr30
                                        ; implicit-def: $sgpr31
	v_add3_u32 v7, v7, v40, v39
	s_delay_alu instid0(VALU_DEP_2) | instskip(NEXT) | instid1(VALU_DEP_2)
	v_lshlrev_b64 v[2:3], 3, v[2:3]
	v_lshlrev_b64 v[6:7], 3, v[6:7]
	s_delay_alu instid0(VALU_DEP_2) | instskip(NEXT) | instid1(VALU_DEP_3)
	v_add_co_u32 v2, vcc_lo, s10, v2
	v_add_co_ci_u32_e32 v3, vcc_lo, s11, v3, vcc_lo
	s_delay_alu instid0(VALU_DEP_3) | instskip(NEXT) | instid1(VALU_DEP_4)
	v_add_co_u32 v6, vcc_lo, s10, v6
	v_add_co_ci_u32_e32 v7, vcc_lo, s11, v7, vcc_lo
	s_set_inst_prefetch_distance 0x1
	s_branch .LBB756_178
	.p2align	6
.LBB756_177:                            ;   in Loop: Header=BB756_178 Depth=1
	s_or_b32 exec_lo, exec_lo, s0
	s_delay_alu instid0(SALU_CYCLE_1) | instskip(NEXT) | instid1(SALU_CYCLE_1)
	s_and_b32 s0, exec_lo, s28
	s_or_b32 s26, s0, s26
	s_and_not1_b32 s0, s31, exec_lo
	s_and_b32 s1, s30, exec_lo
	s_and_not1_b32 s27, s27, exec_lo
	s_and_b32 s33, s29, exec_lo
	s_or_b32 s31, s0, s1
	s_or_b32 s27, s27, s33
	s_and_not1_b32 exec_lo, exec_lo, s26
	s_cbranch_execz .LBB756_180
.LBB756_178:                            ; =>This Inner Loop Header: Depth=1
	global_load_b64 v[37:38], v[2:3], off
	global_load_b64 v[39:40], v[6:7], off
	s_and_not1_b32 s30, s30, exec_lo
	s_or_b32 s28, s28, exec_lo
	s_waitcnt vmcnt(0)
	v_cmp_ngt_f64_e32 vcc_lo, v[37:38], v[39:40]
	v_cmp_lt_f64_e64 s0, v[37:38], v[39:40]
	s_and_b32 s33, vcc_lo, s31
	s_delay_alu instid0(VALU_DEP_1) | instid1(SALU_CYCLE_1)
	s_or_b32 s33, s0, s33
	s_and_not1_b32 s0, s29, exec_lo
	s_and_b32 s29, s33, exec_lo
	s_delay_alu instid0(SALU_CYCLE_1)
	s_or_b32 s29, s0, s29
	s_mov_b32 s0, exec_lo
	v_cmpx_nlg_f64_e32 v[37:38], v[39:40]
	s_cbranch_execz .LBB756_177
; %bb.179:                              ;   in Loop: Header=BB756_178 Depth=1
	s_add_u32 s20, s20, -1
	s_addc_u32 s21, s21, -1
	v_add_co_u32 v2, vcc_lo, v2, 8
	s_cmp_eq_u64 s[20:21], 0
	v_add_co_ci_u32_e32 v3, vcc_lo, 0, v3, vcc_lo
	v_add_co_u32 v6, vcc_lo, v6, 8
	s_cselect_b32 s1, -1, 0
	v_add_co_ci_u32_e32 v7, vcc_lo, 0, v7, vcc_lo
	s_and_not1_b32 s30, s30, exec_lo
	s_and_b32 s31, s33, exec_lo
	s_and_not1_b32 s28, s28, exec_lo
	s_and_b32 s1, s1, exec_lo
	s_or_b32 s30, s30, s31
	s_and_not1_b32 s29, s29, exec_lo
	s_or_b32 s28, s28, s1
                                        ; implicit-def: $sgpr31
	s_branch .LBB756_177
.LBB756_180:
	s_set_inst_prefetch_distance 0x2
	s_or_b32 exec_lo, exec_lo, s26
	s_xor_b32 s0, s27, -1
	s_and_not1_b32 s1, s23, exec_lo
	s_and_b32 s0, s0, exec_lo
	s_delay_alu instid0(SALU_CYCLE_1)
	s_or_b32 s23, s1, s0
.LBB756_181:
	s_or_b32 exec_lo, exec_lo, s25
	s_delay_alu instid0(SALU_CYCLE_1)
	s_or_not1_b32 s23, s23, exec_lo
.LBB756_182:
	s_or_b32 exec_lo, exec_lo, s24
	v_cndmask_b32_e64 v2, v9, v8, s23
	v_cndmask_b32_e64 v3, v19, v18, s23
	s_mov_b32 s24, exec_lo
	s_delay_alu instid0(VALU_DEP_2) | instskip(NEXT) | instid1(VALU_DEP_2)
	v_add_nc_u32_e32 v6, 1, v2
	v_add_nc_u32_e32 v2, -1, v3
	s_delay_alu instid0(VALU_DEP_2) | instskip(NEXT) | instid1(VALU_DEP_2)
	v_cndmask_b32_e64 v40, v6, v9, s23
	v_min_u32_e32 v2, v6, v2
	v_cndmask_b32_e64 v37, v8, v6, s23
	s_delay_alu instid0(VALU_DEP_2)
	v_lshl_add_u32 v2, v2, 3, v14
	ds_load_b64 v[2:3], v2
	s_waitcnt lgkmcnt(0)
	v_cndmask_b32_e64 v38, v3, v10, s23
	v_cndmask_b32_e64 v39, v2, v11, s23
	;; [unrolled: 1-line block ×4, first 2 shown]
	v_cmpx_lt_u32_e64 v40, v19
	s_cbranch_execz .LBB756_190
; %bb.183:
	v_cmp_lt_u32_e64 s22, v37, v18
	s_xor_b32 s0, s12, -1
	s_delay_alu instid0(VALU_DEP_1) | instid1(SALU_CYCLE_1)
	s_and_b32 s0, s22, s0
	s_delay_alu instid0(SALU_CYCLE_1)
	s_and_saveexec_b32 s25, s0
	s_cbranch_execz .LBB756_189
; %bb.184:
	v_mul_lo_u32 v8, v38, s8
	v_mul_lo_u32 v9, v39, s9
	v_mad_u64_u32 v[2:3], null, v39, s8, 0
	v_mul_lo_u32 v43, v41, s8
	v_mul_lo_u32 v44, v42, s9
	v_mad_u64_u32 v[6:7], null, v42, s8, 0
	s_mov_b32 s26, 0
	s_mov_b64 s[20:21], s[8:9]
	s_delay_alu instid0(VALU_DEP_4) | instskip(NEXT) | instid1(VALU_DEP_2)
	v_add3_u32 v3, v3, v9, v8
                                        ; implicit-def: $sgpr27
                                        ; implicit-def: $sgpr28
                                        ; implicit-def: $sgpr29
                                        ; implicit-def: $sgpr30
                                        ; implicit-def: $sgpr31
	v_add3_u32 v7, v7, v44, v43
	s_delay_alu instid0(VALU_DEP_2) | instskip(NEXT) | instid1(VALU_DEP_2)
	v_lshlrev_b64 v[2:3], 3, v[2:3]
	v_lshlrev_b64 v[6:7], 3, v[6:7]
	s_delay_alu instid0(VALU_DEP_2) | instskip(NEXT) | instid1(VALU_DEP_3)
	v_add_co_u32 v2, vcc_lo, s10, v2
	v_add_co_ci_u32_e32 v3, vcc_lo, s11, v3, vcc_lo
	s_delay_alu instid0(VALU_DEP_3) | instskip(NEXT) | instid1(VALU_DEP_4)
	v_add_co_u32 v6, vcc_lo, s10, v6
	v_add_co_ci_u32_e32 v7, vcc_lo, s11, v7, vcc_lo
	s_set_inst_prefetch_distance 0x1
	s_branch .LBB756_186
	.p2align	6
.LBB756_185:                            ;   in Loop: Header=BB756_186 Depth=1
	s_or_b32 exec_lo, exec_lo, s0
	s_delay_alu instid0(SALU_CYCLE_1) | instskip(NEXT) | instid1(SALU_CYCLE_1)
	s_and_b32 s0, exec_lo, s28
	s_or_b32 s26, s0, s26
	s_and_not1_b32 s0, s31, exec_lo
	s_and_b32 s1, s30, exec_lo
	s_and_not1_b32 s27, s27, exec_lo
	s_and_b32 s33, s29, exec_lo
	s_or_b32 s31, s0, s1
	s_or_b32 s27, s27, s33
	s_and_not1_b32 exec_lo, exec_lo, s26
	s_cbranch_execz .LBB756_188
.LBB756_186:                            ; =>This Inner Loop Header: Depth=1
	global_load_b64 v[8:9], v[2:3], off
	global_load_b64 v[43:44], v[6:7], off
	s_and_not1_b32 s30, s30, exec_lo
	s_or_b32 s28, s28, exec_lo
	s_waitcnt vmcnt(0)
	v_cmp_ngt_f64_e32 vcc_lo, v[8:9], v[43:44]
	v_cmp_lt_f64_e64 s0, v[8:9], v[43:44]
	s_and_b32 s33, vcc_lo, s31
	s_delay_alu instid0(VALU_DEP_1) | instid1(SALU_CYCLE_1)
	s_or_b32 s33, s0, s33
	s_and_not1_b32 s0, s29, exec_lo
	s_and_b32 s29, s33, exec_lo
	s_delay_alu instid0(SALU_CYCLE_1)
	s_or_b32 s29, s0, s29
	s_mov_b32 s0, exec_lo
	v_cmpx_nlg_f64_e32 v[8:9], v[43:44]
	s_cbranch_execz .LBB756_185
; %bb.187:                              ;   in Loop: Header=BB756_186 Depth=1
	s_add_u32 s20, s20, -1
	s_addc_u32 s21, s21, -1
	v_add_co_u32 v2, vcc_lo, v2, 8
	s_cmp_eq_u64 s[20:21], 0
	v_add_co_ci_u32_e32 v3, vcc_lo, 0, v3, vcc_lo
	v_add_co_u32 v6, vcc_lo, v6, 8
	s_cselect_b32 s1, -1, 0
	v_add_co_ci_u32_e32 v7, vcc_lo, 0, v7, vcc_lo
	s_and_not1_b32 s30, s30, exec_lo
	s_and_b32 s31, s33, exec_lo
	s_and_not1_b32 s28, s28, exec_lo
	s_and_b32 s1, s1, exec_lo
	s_or_b32 s30, s30, s31
	s_and_not1_b32 s29, s29, exec_lo
	s_or_b32 s28, s28, s1
                                        ; implicit-def: $sgpr31
	s_branch .LBB756_185
.LBB756_188:
	s_set_inst_prefetch_distance 0x2
	s_or_b32 exec_lo, exec_lo, s26
	s_xor_b32 s0, s27, -1
	s_and_not1_b32 s1, s22, exec_lo
	s_and_b32 s0, s0, exec_lo
	s_delay_alu instid0(SALU_CYCLE_1)
	s_or_b32 s22, s1, s0
.LBB756_189:
	s_or_b32 exec_lo, exec_lo, s25
	s_delay_alu instid0(SALU_CYCLE_1)
	s_or_not1_b32 s22, s22, exec_lo
.LBB756_190:
	s_or_b32 exec_lo, exec_lo, s24
	v_cndmask_b32_e64 v2, v40, v37, s22
	v_cndmask_b32_e64 v3, v19, v18, s22
	;; [unrolled: 1-line block ×5, first 2 shown]
	v_add_nc_u32_e32 v43, 1, v2
	v_add_nc_u32_e32 v2, -1, v3
	v_cndmask_b32_e64 v3, v10, v20, s23
	v_cndmask_b32_e64 v4, v39, v42, s22
	s_mov_b32 s19, exec_lo
	v_cndmask_b32_e64 v10, v43, v40, s22
	v_min_u32_e32 v2, v43, v2
	s_delay_alu instid0(VALU_DEP_1)
	v_lshl_add_u32 v2, v2, 3, v14
	ds_load_b64 v[8:9], v2
	v_cndmask_b32_e64 v2, v11, v21, s23
	s_waitcnt lgkmcnt(0)
	v_cndmask_b32_e64 v7, v41, v9, s22
	v_cndmask_b32_e64 v6, v42, v8, s22
	v_cmpx_lt_u32_e64 v10, v19
	s_cbranch_execz .LBB756_198
; %bb.191:
	v_cndmask_b32_e64 v10, v37, v43, s22
	v_cndmask_b32_e64 v19, v9, v38, s22
	;; [unrolled: 1-line block ×3, first 2 shown]
	s_delay_alu instid0(VALU_DEP_3) | instskip(NEXT) | instid1(VALU_DEP_2)
	v_cmp_ge_u32_e32 vcc_lo, v10, v18
	v_dual_cndmask_b32 v9, v7, v19 :: v_dual_cndmask_b32 v8, v6, v20
	s_or_b32 s0, vcc_lo, s12
	s_delay_alu instid0(SALU_CYCLE_1) | instskip(NEXT) | instid1(SALU_CYCLE_1)
	s_xor_b32 s0, s0, -1
	s_and_saveexec_b32 s22, s0
	s_cbranch_execz .LBB756_197
; %bb.192:
	v_mul_lo_u32 v18, v19, s8
	v_mul_lo_u32 v21, v20, s9
	v_mad_u64_u32 v[8:9], null, v20, s8, 0
	v_mul_lo_u32 v37, v7, s8
	v_mul_lo_u32 v38, v6, s9
	v_mad_u64_u32 v[10:11], null, v6, s8, 0
	s_mov_b32 s23, 0
	s_mov_b64 s[20:21], s[8:9]
	s_delay_alu instid0(VALU_DEP_4) | instskip(NEXT) | instid1(VALU_DEP_2)
	v_add3_u32 v9, v9, v21, v18
                                        ; implicit-def: $sgpr24
                                        ; implicit-def: $sgpr25
                                        ; implicit-def: $sgpr26
                                        ; implicit-def: $sgpr27
                                        ; implicit-def: $sgpr28
	v_add3_u32 v11, v11, v38, v37
	s_delay_alu instid0(VALU_DEP_2) | instskip(NEXT) | instid1(VALU_DEP_2)
	v_lshlrev_b64 v[8:9], 3, v[8:9]
	v_lshlrev_b64 v[10:11], 3, v[10:11]
	s_delay_alu instid0(VALU_DEP_2) | instskip(NEXT) | instid1(VALU_DEP_3)
	v_add_co_u32 v8, vcc_lo, s10, v8
	v_add_co_ci_u32_e32 v9, vcc_lo, s11, v9, vcc_lo
	s_delay_alu instid0(VALU_DEP_3) | instskip(NEXT) | instid1(VALU_DEP_4)
	v_add_co_u32 v10, vcc_lo, s10, v10
	v_add_co_ci_u32_e32 v11, vcc_lo, s11, v11, vcc_lo
	s_set_inst_prefetch_distance 0x1
	s_branch .LBB756_194
	.p2align	6
.LBB756_193:                            ;   in Loop: Header=BB756_194 Depth=1
	s_or_b32 exec_lo, exec_lo, s0
	s_delay_alu instid0(SALU_CYCLE_1) | instskip(NEXT) | instid1(SALU_CYCLE_1)
	s_and_b32 s0, exec_lo, s25
	s_or_b32 s23, s0, s23
	s_and_not1_b32 s0, s28, exec_lo
	s_and_b32 s1, s27, exec_lo
	s_and_not1_b32 s24, s24, exec_lo
	s_and_b32 s29, s26, exec_lo
	s_or_b32 s28, s0, s1
	s_or_b32 s24, s24, s29
	s_and_not1_b32 exec_lo, exec_lo, s23
	s_cbranch_execz .LBB756_196
.LBB756_194:                            ; =>This Inner Loop Header: Depth=1
	global_load_b64 v[37:38], v[8:9], off
	global_load_b64 v[39:40], v[10:11], off
	s_and_not1_b32 s27, s27, exec_lo
	s_or_b32 s25, s25, exec_lo
	s_waitcnt vmcnt(0)
	v_cmp_ngt_f64_e32 vcc_lo, v[37:38], v[39:40]
	v_cmp_lt_f64_e64 s0, v[37:38], v[39:40]
	s_and_b32 s29, vcc_lo, s28
	s_delay_alu instid0(VALU_DEP_1) | instid1(SALU_CYCLE_1)
	s_or_b32 s29, s0, s29
	s_and_not1_b32 s0, s26, exec_lo
	s_and_b32 s26, s29, exec_lo
	s_delay_alu instid0(SALU_CYCLE_1)
	s_or_b32 s26, s0, s26
	s_mov_b32 s0, exec_lo
	v_cmpx_nlg_f64_e32 v[37:38], v[39:40]
	s_cbranch_execz .LBB756_193
; %bb.195:                              ;   in Loop: Header=BB756_194 Depth=1
	s_add_u32 s20, s20, -1
	s_addc_u32 s21, s21, -1
	v_add_co_u32 v8, vcc_lo, v8, 8
	s_cmp_eq_u64 s[20:21], 0
	v_add_co_ci_u32_e32 v9, vcc_lo, 0, v9, vcc_lo
	v_add_co_u32 v10, vcc_lo, v10, 8
	s_cselect_b32 s1, -1, 0
	v_add_co_ci_u32_e32 v11, vcc_lo, 0, v11, vcc_lo
	s_and_not1_b32 s27, s27, exec_lo
	s_and_b32 s28, s29, exec_lo
	s_and_not1_b32 s25, s25, exec_lo
	s_and_b32 s1, s1, exec_lo
	s_or_b32 s27, s27, s28
	s_and_not1_b32 s26, s26, exec_lo
	s_or_b32 s25, s25, s1
                                        ; implicit-def: $sgpr28
	s_branch .LBB756_193
.LBB756_196:
	s_set_inst_prefetch_distance 0x2
	s_or_b32 exec_lo, exec_lo, s23
	v_cndmask_b32_e64 v9, v7, v19, s24
	v_cndmask_b32_e64 v8, v6, v20, s24
.LBB756_197:
	s_or_b32 exec_lo, exec_lo, s22
	s_delay_alu instid0(VALU_DEP_1)
	v_dual_mov_b32 v6, v8 :: v_dual_mov_b32 v7, v9
.LBB756_198:
	s_or_b32 exec_lo, exec_lo, s19
.LBB756_199:
	s_delay_alu instid0(SALU_CYCLE_1) | instskip(SKIP_3) | instid1(VALU_DEP_2)
	s_or_b32 exec_lo, exec_lo, s17
	v_and_b32_e32 v20, 64, v16
	v_and_b32_e32 v9, 60, v16
	s_mov_b32 s17, exec_lo
	; wave barrier
	v_or_b32_e32 v8, 32, v20
	s_delay_alu instid0(VALU_DEP_2) | instskip(SKIP_4) | instid1(VALU_DEP_1)
	v_min_u32_e32 v21, v15, v9
	v_lshl_add_u32 v19, v20, 3, v14
	ds_store_b128 v17, v[0:3]
	ds_store_b128 v17, v[4:7] offset:16
	v_min_u32_e32 v18, v15, v8
	; wave barrier
	v_add_nc_u32_e32 v8, 32, v18
	v_sub_nc_u32_e32 v9, v18, v20
	s_delay_alu instid0(VALU_DEP_2) | instskip(NEXT) | instid1(VALU_DEP_2)
	v_min_u32_e32 v16, v15, v8
	v_min_u32_e32 v37, v21, v9
	s_delay_alu instid0(VALU_DEP_2) | instskip(NEXT) | instid1(VALU_DEP_1)
	v_sub_nc_u32_e32 v8, v16, v18
	v_sub_nc_u32_e64 v15, v21, v8 clamp
	s_delay_alu instid0(VALU_DEP_1)
	v_cmpx_lt_u32_e64 v15, v37
	s_cbranch_execz .LBB756_209
; %bb.200:
	v_lshlrev_b32_e32 v8, 3, v18
	v_lshlrev_b32_e32 v9, 3, v21
	s_lshl_b64 s[20:21], s[8:9], 3
	s_mov_b32 s19, 0
	s_delay_alu instid0(VALU_DEP_1)
	v_add3_u32 v17, v14, v8, v9
	s_branch .LBB756_203
.LBB756_201:                            ;   in Loop: Header=BB756_203 Depth=1
	s_set_inst_prefetch_distance 0x2
	s_or_b32 exec_lo, exec_lo, s24
.LBB756_202:                            ;   in Loop: Header=BB756_203 Depth=1
	s_delay_alu instid0(VALU_DEP_1) | instskip(SKIP_1) | instid1(VALU_DEP_2)
	v_add_nc_u32_e32 v8, 1, v38
	v_cndmask_b32_e64 v37, v37, v38, s25
	v_cndmask_b32_e64 v15, v8, v15, s25
	s_delay_alu instid0(VALU_DEP_1) | instskip(SKIP_1) | instid1(SALU_CYCLE_1)
	v_cmp_ge_u32_e32 vcc_lo, v15, v37
	s_or_b32 s19, vcc_lo, s19
	s_and_not1_b32 exec_lo, exec_lo, s19
	s_cbranch_execz .LBB756_208
.LBB756_203:                            ; =>This Loop Header: Depth=1
                                        ;     Child Loop BB756_206 Depth 2
	v_add_nc_u32_e32 v8, v37, v15
	v_cmp_ne_u32_e32 vcc_lo, 1, v36
	s_mov_b32 s25, 0
	s_delay_alu instid0(VALU_DEP_2)
	v_lshrrev_b32_e32 v38, 1, v8
	s_cbranch_vccnz .LBB756_202
; %bb.204:                              ;   in Loop: Header=BB756_203 Depth=1
	s_delay_alu instid0(VALU_DEP_1) | instskip(SKIP_3) | instid1(VALU_DEP_2)
	v_not_b32_e32 v8, v38
	v_lshl_add_u32 v9, v38, 3, v19
	s_mov_b32 s24, 0
	s_mov_b64 s[22:23], s[8:9]
                                        ; implicit-def: $sgpr25
                                        ; implicit-def: $sgpr26
                                        ; implicit-def: $sgpr27
                                        ; implicit-def: $sgpr28
                                        ; implicit-def: $sgpr29
	v_lshl_add_u32 v8, v8, 3, v17
	ds_load_b64 v[10:11], v8
	ds_load_b64 v[39:40], v9
	s_waitcnt lgkmcnt(1)
	v_mul_lo_u32 v41, s20, v11
	v_mul_lo_u32 v42, s21, v10
	v_mad_u64_u32 v[8:9], null, s20, v10, s[10:11]
	s_waitcnt lgkmcnt(0)
	v_mul_lo_u32 v40, s20, v40
	v_mul_lo_u32 v43, s21, v39
	v_mad_u64_u32 v[10:11], null, s20, v39, s[10:11]
	s_delay_alu instid0(VALU_DEP_4) | instskip(NEXT) | instid1(VALU_DEP_2)
	v_add3_u32 v9, v42, v9, v41
	v_add3_u32 v11, v43, v11, v40
	s_set_inst_prefetch_distance 0x1
	s_branch .LBB756_206
	.p2align	6
.LBB756_205:                            ;   in Loop: Header=BB756_206 Depth=2
	s_or_b32 exec_lo, exec_lo, s30
	s_delay_alu instid0(SALU_CYCLE_1) | instskip(NEXT) | instid1(SALU_CYCLE_1)
	s_and_b32 s0, exec_lo, s26
	s_or_b32 s24, s0, s24
	s_and_not1_b32 s0, s29, exec_lo
	s_and_b32 s1, s27, exec_lo
	s_and_not1_b32 s25, s25, exec_lo
	s_and_b32 s30, s28, exec_lo
	s_or_b32 s29, s0, s1
	s_or_b32 s25, s25, s30
	s_and_not1_b32 exec_lo, exec_lo, s24
	s_cbranch_execz .LBB756_201
.LBB756_206:                            ;   Parent Loop BB756_203 Depth=1
                                        ; =>  This Inner Loop Header: Depth=2
	global_load_b64 v[39:40], v[8:9], off
	global_load_b64 v[41:42], v[10:11], off
	s_and_not1_b32 s28, s28, exec_lo
	s_and_not1_b32 s27, s27, exec_lo
	s_or_b32 s26, s26, exec_lo
	s_waitcnt vmcnt(0)
	v_cmp_ngt_f64_e32 vcc_lo, v[39:40], v[41:42]
	v_cmp_lt_f64_e64 s0, v[39:40], v[41:42]
	s_and_b32 s30, vcc_lo, s29
	s_delay_alu instid0(VALU_DEP_1) | instid1(SALU_CYCLE_1)
	s_or_b32 s0, s0, s30
	s_delay_alu instid0(SALU_CYCLE_1) | instskip(NEXT) | instid1(SALU_CYCLE_1)
	s_and_b32 s30, s0, exec_lo
	s_or_b32 s28, s28, s30
	s_mov_b32 s30, exec_lo
	v_cmpx_nlg_f64_e32 v[39:40], v[41:42]
	s_cbranch_execz .LBB756_205
; %bb.207:                              ;   in Loop: Header=BB756_206 Depth=2
	s_add_u32 s22, s22, -1
	s_addc_u32 s23, s23, -1
	v_add_co_u32 v8, vcc_lo, v8, 8
	v_add_co_ci_u32_e32 v9, vcc_lo, 0, v9, vcc_lo
	s_cmp_eq_u64 s[22:23], 0
	v_add_co_u32 v10, vcc_lo, v10, 8
	s_cselect_b32 s1, -1, 0
	v_add_co_ci_u32_e32 v11, vcc_lo, 0, v11, vcc_lo
	s_and_not1_b32 s27, s27, exec_lo
	s_and_b32 s0, s0, exec_lo
	s_and_not1_b32 s26, s26, exec_lo
	s_and_b32 s1, s1, exec_lo
	s_and_not1_b32 s28, s28, exec_lo
	s_or_b32 s27, s27, s0
	s_or_b32 s26, s26, s1
                                        ; implicit-def: $sgpr29
	s_branch .LBB756_205
.LBB756_208:
	s_or_b32 exec_lo, exec_lo, s19
.LBB756_209:
	s_delay_alu instid0(SALU_CYCLE_1) | instskip(SKIP_2) | instid1(VALU_DEP_2)
	s_or_b32 exec_lo, exec_lo, s17
	v_add_nc_u32_e32 v9, v18, v21
	v_add_nc_u32_e32 v8, v15, v20
	v_sub_nc_u32_e32 v9, v9, v15
	s_delay_alu instid0(VALU_DEP_2) | instskip(NEXT) | instid1(VALU_DEP_2)
	v_cmp_le_u32_e32 vcc_lo, v8, v18
	v_cmp_le_u32_e64 s0, v9, v16
	s_delay_alu instid0(VALU_DEP_1) | instskip(NEXT) | instid1(SALU_CYCLE_1)
	s_or_b32 s0, vcc_lo, s0
	s_and_saveexec_b32 s17, s0
	s_cbranch_execz .LBB756_245
; %bb.210:
	v_cmp_ge_u32_e32 vcc_lo, v8, v18
	s_mov_b32 s1, exec_lo
                                        ; implicit-def: $vgpr0_vgpr1
	v_cmpx_lt_u32_e64 v8, v18
	s_cbranch_execz .LBB756_212
; %bb.211:
	v_lshl_add_u32 v0, v15, 3, v19
	ds_load_b64 v[0:1], v0
.LBB756_212:
	s_or_b32 exec_lo, exec_lo, s1
	v_cmp_ge_u32_e64 s0, v9, v16
	s_mov_b32 s19, exec_lo
                                        ; implicit-def: $vgpr4_vgpr5
	v_cmpx_lt_u32_e64 v9, v16
	s_cbranch_execz .LBB756_214
; %bb.213:
	v_lshl_add_u32 v2, v9, 3, v14
	ds_load_b64 v[4:5], v2
.LBB756_214:
	s_or_b32 exec_lo, exec_lo, s19
	s_or_b32 s1, vcc_lo, s0
	s_xor_b32 s19, vcc_lo, -1
	s_or_b32 s1, s1, s12
	s_or_b32 s19, s0, s19
	s_xor_b32 s1, s1, -1
	s_delay_alu instid0(SALU_CYCLE_1)
	s_and_saveexec_b32 s22, s1
	s_cbranch_execz .LBB756_220
; %bb.215:
	s_waitcnt lgkmcnt(0)
	v_mul_lo_u32 v10, v5, s8
	v_mul_lo_u32 v11, v4, s9
	v_mad_u64_u32 v[2:3], null, v4, s8, 0
	v_mul_lo_u32 v15, v1, s8
	v_mul_lo_u32 v17, v0, s9
	v_mad_u64_u32 v[6:7], null, v0, s8, 0
	s_mov_b32 s23, 0
	s_mov_b64 s[20:21], s[8:9]
	s_delay_alu instid0(VALU_DEP_4) | instskip(NEXT) | instid1(VALU_DEP_2)
	v_add3_u32 v3, v3, v11, v10
                                        ; implicit-def: $sgpr24
                                        ; implicit-def: $sgpr25
                                        ; implicit-def: $sgpr26
                                        ; implicit-def: $sgpr27
                                        ; implicit-def: $sgpr28
	v_add3_u32 v7, v7, v17, v15
	s_delay_alu instid0(VALU_DEP_2) | instskip(NEXT) | instid1(VALU_DEP_2)
	v_lshlrev_b64 v[2:3], 3, v[2:3]
	v_lshlrev_b64 v[6:7], 3, v[6:7]
	s_delay_alu instid0(VALU_DEP_2) | instskip(NEXT) | instid1(VALU_DEP_3)
	v_add_co_u32 v2, vcc_lo, s10, v2
	v_add_co_ci_u32_e32 v3, vcc_lo, s11, v3, vcc_lo
	s_delay_alu instid0(VALU_DEP_3) | instskip(NEXT) | instid1(VALU_DEP_4)
	v_add_co_u32 v6, vcc_lo, s10, v6
	v_add_co_ci_u32_e32 v7, vcc_lo, s11, v7, vcc_lo
	s_set_inst_prefetch_distance 0x1
	s_branch .LBB756_217
	.p2align	6
.LBB756_216:                            ;   in Loop: Header=BB756_217 Depth=1
	s_or_b32 exec_lo, exec_lo, s0
	s_delay_alu instid0(SALU_CYCLE_1) | instskip(NEXT) | instid1(SALU_CYCLE_1)
	s_and_b32 s0, exec_lo, s25
	s_or_b32 s23, s0, s23
	s_and_not1_b32 s0, s28, exec_lo
	s_and_b32 s1, s27, exec_lo
	s_and_not1_b32 s24, s24, exec_lo
	s_and_b32 s29, s26, exec_lo
	s_or_b32 s28, s0, s1
	s_or_b32 s24, s24, s29
	s_and_not1_b32 exec_lo, exec_lo, s23
	s_cbranch_execz .LBB756_219
.LBB756_217:                            ; =>This Inner Loop Header: Depth=1
	global_load_b64 v[10:11], v[2:3], off
	global_load_b64 v[19:20], v[6:7], off
	s_and_not1_b32 s27, s27, exec_lo
	s_or_b32 s25, s25, exec_lo
	s_waitcnt vmcnt(0)
	v_cmp_ngt_f64_e32 vcc_lo, v[10:11], v[19:20]
	v_cmp_lt_f64_e64 s0, v[10:11], v[19:20]
	s_and_b32 s29, vcc_lo, s28
	s_delay_alu instid0(VALU_DEP_1) | instid1(SALU_CYCLE_1)
	s_or_b32 s29, s0, s29
	s_and_not1_b32 s0, s26, exec_lo
	s_and_b32 s26, s29, exec_lo
	s_delay_alu instid0(SALU_CYCLE_1)
	s_or_b32 s26, s0, s26
	s_mov_b32 s0, exec_lo
	v_cmpx_nlg_f64_e32 v[10:11], v[19:20]
	s_cbranch_execz .LBB756_216
; %bb.218:                              ;   in Loop: Header=BB756_217 Depth=1
	s_add_u32 s20, s20, -1
	s_addc_u32 s21, s21, -1
	v_add_co_u32 v2, vcc_lo, v2, 8
	s_cmp_eq_u64 s[20:21], 0
	v_add_co_ci_u32_e32 v3, vcc_lo, 0, v3, vcc_lo
	v_add_co_u32 v6, vcc_lo, v6, 8
	s_cselect_b32 s1, -1, 0
	v_add_co_ci_u32_e32 v7, vcc_lo, 0, v7, vcc_lo
	s_and_not1_b32 s27, s27, exec_lo
	s_and_b32 s28, s29, exec_lo
	s_and_not1_b32 s25, s25, exec_lo
	s_and_b32 s1, s1, exec_lo
	s_or_b32 s27, s27, s28
	s_and_not1_b32 s26, s26, exec_lo
	s_or_b32 s25, s25, s1
                                        ; implicit-def: $sgpr28
	s_branch .LBB756_216
.LBB756_219:
	s_set_inst_prefetch_distance 0x2
	s_or_b32 exec_lo, exec_lo, s23
	s_xor_b32 s0, s24, -1
	s_and_not1_b32 s1, s19, exec_lo
	s_and_b32 s0, s0, exec_lo
	s_delay_alu instid0(SALU_CYCLE_1)
	s_or_b32 s19, s1, s0
.LBB756_220:
	s_or_b32 exec_lo, exec_lo, s22
	v_cndmask_b32_e64 v2, v9, v8, s19
	v_cndmask_b32_e64 v3, v16, v18, s19
	s_mov_b32 s22, -1
	s_mov_b32 s23, -1
	s_mov_b32 s24, exec_lo
	v_add_nc_u32_e32 v6, 1, v2
	v_add_nc_u32_e32 v2, -1, v3
	s_delay_alu instid0(VALU_DEP_2) | instskip(NEXT) | instid1(VALU_DEP_2)
	v_cndmask_b32_e64 v9, v6, v9, s19
	v_min_u32_e32 v2, v6, v2
	v_cndmask_b32_e64 v8, v8, v6, s19
	s_delay_alu instid0(VALU_DEP_2)
	v_lshl_add_u32 v2, v2, 3, v14
	ds_load_b64 v[2:3], v2
	s_waitcnt lgkmcnt(0)
	v_cndmask_b32_e64 v10, v3, v5, s19
	v_cndmask_b32_e64 v11, v2, v4, s19
	;; [unrolled: 1-line block ×4, first 2 shown]
	v_cmpx_lt_u32_e64 v9, v16
	s_cbranch_execz .LBB756_228
; %bb.221:
	v_cmp_lt_u32_e64 s23, v8, v18
	s_xor_b32 s0, s12, -1
	s_delay_alu instid0(VALU_DEP_1) | instid1(SALU_CYCLE_1)
	s_and_b32 s0, s23, s0
	s_delay_alu instid0(SALU_CYCLE_1)
	s_and_saveexec_b32 s25, s0
	s_cbranch_execz .LBB756_227
; %bb.222:
	v_mul_lo_u32 v19, v10, s8
	v_mul_lo_u32 v20, v11, s9
	v_mad_u64_u32 v[2:3], null, v11, s8, 0
	v_mul_lo_u32 v21, v15, s8
	v_mul_lo_u32 v37, v17, s9
	v_mad_u64_u32 v[6:7], null, v17, s8, 0
	s_mov_b32 s26, 0
	s_mov_b64 s[20:21], s[8:9]
	s_delay_alu instid0(VALU_DEP_4) | instskip(NEXT) | instid1(VALU_DEP_2)
	v_add3_u32 v3, v3, v20, v19
                                        ; implicit-def: $sgpr27
                                        ; implicit-def: $sgpr28
                                        ; implicit-def: $sgpr29
                                        ; implicit-def: $sgpr30
                                        ; implicit-def: $sgpr31
	v_add3_u32 v7, v7, v37, v21
	s_delay_alu instid0(VALU_DEP_2) | instskip(NEXT) | instid1(VALU_DEP_2)
	v_lshlrev_b64 v[2:3], 3, v[2:3]
	v_lshlrev_b64 v[6:7], 3, v[6:7]
	s_delay_alu instid0(VALU_DEP_2) | instskip(NEXT) | instid1(VALU_DEP_3)
	v_add_co_u32 v2, vcc_lo, s10, v2
	v_add_co_ci_u32_e32 v3, vcc_lo, s11, v3, vcc_lo
	s_delay_alu instid0(VALU_DEP_3) | instskip(NEXT) | instid1(VALU_DEP_4)
	v_add_co_u32 v6, vcc_lo, s10, v6
	v_add_co_ci_u32_e32 v7, vcc_lo, s11, v7, vcc_lo
	s_set_inst_prefetch_distance 0x1
	s_branch .LBB756_224
	.p2align	6
.LBB756_223:                            ;   in Loop: Header=BB756_224 Depth=1
	s_or_b32 exec_lo, exec_lo, s0
	s_delay_alu instid0(SALU_CYCLE_1) | instskip(NEXT) | instid1(SALU_CYCLE_1)
	s_and_b32 s0, exec_lo, s28
	s_or_b32 s26, s0, s26
	s_and_not1_b32 s0, s31, exec_lo
	s_and_b32 s1, s30, exec_lo
	s_and_not1_b32 s27, s27, exec_lo
	s_and_b32 s33, s29, exec_lo
	s_or_b32 s31, s0, s1
	s_or_b32 s27, s27, s33
	s_and_not1_b32 exec_lo, exec_lo, s26
	s_cbranch_execz .LBB756_226
.LBB756_224:                            ; =>This Inner Loop Header: Depth=1
	global_load_b64 v[19:20], v[2:3], off
	global_load_b64 v[37:38], v[6:7], off
	s_and_not1_b32 s30, s30, exec_lo
	s_or_b32 s28, s28, exec_lo
	s_waitcnt vmcnt(0)
	v_cmp_ngt_f64_e32 vcc_lo, v[19:20], v[37:38]
	v_cmp_lt_f64_e64 s0, v[19:20], v[37:38]
	s_and_b32 s33, vcc_lo, s31
	s_delay_alu instid0(VALU_DEP_1) | instid1(SALU_CYCLE_1)
	s_or_b32 s33, s0, s33
	s_and_not1_b32 s0, s29, exec_lo
	s_and_b32 s29, s33, exec_lo
	s_delay_alu instid0(SALU_CYCLE_1)
	s_or_b32 s29, s0, s29
	s_mov_b32 s0, exec_lo
	v_cmpx_nlg_f64_e32 v[19:20], v[37:38]
	s_cbranch_execz .LBB756_223
; %bb.225:                              ;   in Loop: Header=BB756_224 Depth=1
	s_add_u32 s20, s20, -1
	s_addc_u32 s21, s21, -1
	v_add_co_u32 v2, vcc_lo, v2, 8
	s_cmp_eq_u64 s[20:21], 0
	v_add_co_ci_u32_e32 v3, vcc_lo, 0, v3, vcc_lo
	v_add_co_u32 v6, vcc_lo, v6, 8
	s_cselect_b32 s1, -1, 0
	v_add_co_ci_u32_e32 v7, vcc_lo, 0, v7, vcc_lo
	s_and_not1_b32 s30, s30, exec_lo
	s_and_b32 s31, s33, exec_lo
	s_and_not1_b32 s28, s28, exec_lo
	s_and_b32 s1, s1, exec_lo
	s_or_b32 s30, s30, s31
	s_and_not1_b32 s29, s29, exec_lo
	s_or_b32 s28, s28, s1
                                        ; implicit-def: $sgpr31
	s_branch .LBB756_223
.LBB756_226:
	s_set_inst_prefetch_distance 0x2
	s_or_b32 exec_lo, exec_lo, s26
	s_xor_b32 s0, s27, -1
	s_and_not1_b32 s1, s23, exec_lo
	s_and_b32 s0, s0, exec_lo
	s_delay_alu instid0(SALU_CYCLE_1)
	s_or_b32 s23, s1, s0
.LBB756_227:
	s_or_b32 exec_lo, exec_lo, s25
	s_delay_alu instid0(SALU_CYCLE_1)
	s_or_not1_b32 s23, s23, exec_lo
.LBB756_228:
	s_or_b32 exec_lo, exec_lo, s24
	v_cndmask_b32_e64 v2, v9, v8, s23
	v_cndmask_b32_e64 v3, v16, v18, s23
	s_mov_b32 s24, exec_lo
	s_delay_alu instid0(VALU_DEP_2) | instskip(NEXT) | instid1(VALU_DEP_2)
	v_add_nc_u32_e32 v6, 1, v2
	v_add_nc_u32_e32 v2, -1, v3
	s_delay_alu instid0(VALU_DEP_2) | instskip(NEXT) | instid1(VALU_DEP_2)
	v_cndmask_b32_e64 v37, v6, v9, s23
	v_min_u32_e32 v2, v6, v2
	v_cndmask_b32_e64 v19, v8, v6, s23
	s_delay_alu instid0(VALU_DEP_2)
	v_lshl_add_u32 v2, v2, 3, v14
	ds_load_b64 v[2:3], v2
	s_waitcnt lgkmcnt(0)
	v_cndmask_b32_e64 v20, v3, v10, s23
	v_cndmask_b32_e64 v21, v2, v11, s23
	;; [unrolled: 1-line block ×4, first 2 shown]
	v_cmpx_lt_u32_e64 v37, v16
	s_cbranch_execz .LBB756_236
; %bb.229:
	v_cmp_lt_u32_e64 s22, v19, v18
	s_xor_b32 s0, s12, -1
	s_delay_alu instid0(VALU_DEP_1) | instid1(SALU_CYCLE_1)
	s_and_b32 s0, s22, s0
	s_delay_alu instid0(SALU_CYCLE_1)
	s_and_saveexec_b32 s25, s0
	s_cbranch_execz .LBB756_235
; %bb.230:
	v_mul_lo_u32 v8, v20, s8
	v_mul_lo_u32 v9, v21, s9
	v_mad_u64_u32 v[2:3], null, v21, s8, 0
	v_mul_lo_u32 v40, v38, s8
	v_mul_lo_u32 v41, v39, s9
	v_mad_u64_u32 v[6:7], null, v39, s8, 0
	s_mov_b32 s26, 0
	s_mov_b64 s[20:21], s[8:9]
	s_delay_alu instid0(VALU_DEP_4) | instskip(NEXT) | instid1(VALU_DEP_2)
	v_add3_u32 v3, v3, v9, v8
                                        ; implicit-def: $sgpr27
                                        ; implicit-def: $sgpr28
                                        ; implicit-def: $sgpr29
                                        ; implicit-def: $sgpr30
                                        ; implicit-def: $sgpr31
	v_add3_u32 v7, v7, v41, v40
	s_delay_alu instid0(VALU_DEP_2) | instskip(NEXT) | instid1(VALU_DEP_2)
	v_lshlrev_b64 v[2:3], 3, v[2:3]
	v_lshlrev_b64 v[6:7], 3, v[6:7]
	s_delay_alu instid0(VALU_DEP_2) | instskip(NEXT) | instid1(VALU_DEP_3)
	v_add_co_u32 v2, vcc_lo, s10, v2
	v_add_co_ci_u32_e32 v3, vcc_lo, s11, v3, vcc_lo
	s_delay_alu instid0(VALU_DEP_3) | instskip(NEXT) | instid1(VALU_DEP_4)
	v_add_co_u32 v6, vcc_lo, s10, v6
	v_add_co_ci_u32_e32 v7, vcc_lo, s11, v7, vcc_lo
	s_set_inst_prefetch_distance 0x1
	s_branch .LBB756_232
	.p2align	6
.LBB756_231:                            ;   in Loop: Header=BB756_232 Depth=1
	s_or_b32 exec_lo, exec_lo, s0
	s_delay_alu instid0(SALU_CYCLE_1) | instskip(NEXT) | instid1(SALU_CYCLE_1)
	s_and_b32 s0, exec_lo, s28
	s_or_b32 s26, s0, s26
	s_and_not1_b32 s0, s31, exec_lo
	s_and_b32 s1, s30, exec_lo
	s_and_not1_b32 s27, s27, exec_lo
	s_and_b32 s33, s29, exec_lo
	s_or_b32 s31, s0, s1
	s_or_b32 s27, s27, s33
	s_and_not1_b32 exec_lo, exec_lo, s26
	s_cbranch_execz .LBB756_234
.LBB756_232:                            ; =>This Inner Loop Header: Depth=1
	global_load_b64 v[8:9], v[2:3], off
	global_load_b64 v[40:41], v[6:7], off
	s_and_not1_b32 s30, s30, exec_lo
	s_or_b32 s28, s28, exec_lo
	s_waitcnt vmcnt(0)
	v_cmp_ngt_f64_e32 vcc_lo, v[8:9], v[40:41]
	v_cmp_lt_f64_e64 s0, v[8:9], v[40:41]
	s_and_b32 s33, vcc_lo, s31
	s_delay_alu instid0(VALU_DEP_1) | instid1(SALU_CYCLE_1)
	s_or_b32 s33, s0, s33
	s_and_not1_b32 s0, s29, exec_lo
	s_and_b32 s29, s33, exec_lo
	s_delay_alu instid0(SALU_CYCLE_1)
	s_or_b32 s29, s0, s29
	s_mov_b32 s0, exec_lo
	v_cmpx_nlg_f64_e32 v[8:9], v[40:41]
	s_cbranch_execz .LBB756_231
; %bb.233:                              ;   in Loop: Header=BB756_232 Depth=1
	s_add_u32 s20, s20, -1
	s_addc_u32 s21, s21, -1
	v_add_co_u32 v2, vcc_lo, v2, 8
	s_cmp_eq_u64 s[20:21], 0
	v_add_co_ci_u32_e32 v3, vcc_lo, 0, v3, vcc_lo
	v_add_co_u32 v6, vcc_lo, v6, 8
	s_cselect_b32 s1, -1, 0
	v_add_co_ci_u32_e32 v7, vcc_lo, 0, v7, vcc_lo
	s_and_not1_b32 s30, s30, exec_lo
	s_and_b32 s31, s33, exec_lo
	s_and_not1_b32 s28, s28, exec_lo
	s_and_b32 s1, s1, exec_lo
	s_or_b32 s30, s30, s31
	s_and_not1_b32 s29, s29, exec_lo
	s_or_b32 s28, s28, s1
                                        ; implicit-def: $sgpr31
	s_branch .LBB756_231
.LBB756_234:
	s_set_inst_prefetch_distance 0x2
	s_or_b32 exec_lo, exec_lo, s26
	s_xor_b32 s0, s27, -1
	s_and_not1_b32 s1, s22, exec_lo
	s_and_b32 s0, s0, exec_lo
	s_delay_alu instid0(SALU_CYCLE_1)
	s_or_b32 s22, s1, s0
.LBB756_235:
	s_or_b32 exec_lo, exec_lo, s25
	s_delay_alu instid0(SALU_CYCLE_1)
	s_or_not1_b32 s22, s22, exec_lo
.LBB756_236:
	s_or_b32 exec_lo, exec_lo, s24
	v_cndmask_b32_e64 v2, v37, v19, s22
	v_cndmask_b32_e64 v3, v16, v18, s22
	;; [unrolled: 1-line block ×5, first 2 shown]
	v_add_nc_u32_e32 v40, 1, v2
	v_add_nc_u32_e32 v2, -1, v3
	v_cndmask_b32_e64 v3, v10, v15, s23
	v_cndmask_b32_e64 v4, v21, v39, s22
	s_mov_b32 s19, exec_lo
	v_cndmask_b32_e64 v10, v40, v37, s22
	v_min_u32_e32 v2, v40, v2
	s_delay_alu instid0(VALU_DEP_1)
	v_lshl_add_u32 v2, v2, 3, v14
	ds_load_b64 v[8:9], v2
	v_cndmask_b32_e64 v2, v11, v17, s23
	s_waitcnt lgkmcnt(0)
	v_cndmask_b32_e64 v7, v38, v9, s22
	v_cndmask_b32_e64 v6, v39, v8, s22
	v_cmpx_lt_u32_e64 v10, v16
	s_cbranch_execz .LBB756_244
; %bb.237:
	v_cndmask_b32_e64 v10, v19, v40, s22
	v_cndmask_b32_e64 v14, v9, v20, s22
	;; [unrolled: 1-line block ×3, first 2 shown]
	s_delay_alu instid0(VALU_DEP_3) | instskip(NEXT) | instid1(VALU_DEP_2)
	v_cmp_ge_u32_e32 vcc_lo, v10, v18
	v_dual_cndmask_b32 v9, v7, v14 :: v_dual_cndmask_b32 v8, v6, v15
	s_or_b32 s0, vcc_lo, s12
	s_delay_alu instid0(SALU_CYCLE_1) | instskip(NEXT) | instid1(SALU_CYCLE_1)
	s_xor_b32 s0, s0, -1
	s_and_saveexec_b32 s22, s0
	s_cbranch_execz .LBB756_243
; %bb.238:
	v_mul_lo_u32 v16, v14, s8
	v_mul_lo_u32 v17, v15, s9
	v_mad_u64_u32 v[8:9], null, v15, s8, 0
	v_mul_lo_u32 v18, v7, s8
	v_mul_lo_u32 v19, v6, s9
	v_mad_u64_u32 v[10:11], null, v6, s8, 0
	s_mov_b32 s23, 0
	s_mov_b64 s[20:21], s[8:9]
	s_delay_alu instid0(VALU_DEP_4) | instskip(NEXT) | instid1(VALU_DEP_2)
	v_add3_u32 v9, v9, v17, v16
                                        ; implicit-def: $sgpr24
                                        ; implicit-def: $sgpr25
                                        ; implicit-def: $sgpr26
                                        ; implicit-def: $sgpr27
                                        ; implicit-def: $sgpr28
	v_add3_u32 v11, v11, v19, v18
	s_delay_alu instid0(VALU_DEP_2) | instskip(NEXT) | instid1(VALU_DEP_2)
	v_lshlrev_b64 v[8:9], 3, v[8:9]
	v_lshlrev_b64 v[10:11], 3, v[10:11]
	s_delay_alu instid0(VALU_DEP_2) | instskip(NEXT) | instid1(VALU_DEP_3)
	v_add_co_u32 v8, vcc_lo, s10, v8
	v_add_co_ci_u32_e32 v9, vcc_lo, s11, v9, vcc_lo
	s_delay_alu instid0(VALU_DEP_3) | instskip(NEXT) | instid1(VALU_DEP_4)
	v_add_co_u32 v10, vcc_lo, s10, v10
	v_add_co_ci_u32_e32 v11, vcc_lo, s11, v11, vcc_lo
	s_set_inst_prefetch_distance 0x1
	s_branch .LBB756_240
	.p2align	6
.LBB756_239:                            ;   in Loop: Header=BB756_240 Depth=1
	s_or_b32 exec_lo, exec_lo, s0
	s_delay_alu instid0(SALU_CYCLE_1) | instskip(NEXT) | instid1(SALU_CYCLE_1)
	s_and_b32 s0, exec_lo, s25
	s_or_b32 s23, s0, s23
	s_and_not1_b32 s0, s28, exec_lo
	s_and_b32 s1, s27, exec_lo
	s_and_not1_b32 s24, s24, exec_lo
	s_and_b32 s29, s26, exec_lo
	s_or_b32 s28, s0, s1
	s_or_b32 s24, s24, s29
	s_and_not1_b32 exec_lo, exec_lo, s23
	s_cbranch_execz .LBB756_242
.LBB756_240:                            ; =>This Inner Loop Header: Depth=1
	global_load_b64 v[16:17], v[8:9], off
	global_load_b64 v[18:19], v[10:11], off
	s_and_not1_b32 s27, s27, exec_lo
	s_or_b32 s25, s25, exec_lo
	s_waitcnt vmcnt(0)
	v_cmp_ngt_f64_e32 vcc_lo, v[16:17], v[18:19]
	v_cmp_lt_f64_e64 s0, v[16:17], v[18:19]
	s_and_b32 s29, vcc_lo, s28
	s_delay_alu instid0(VALU_DEP_1) | instid1(SALU_CYCLE_1)
	s_or_b32 s29, s0, s29
	s_and_not1_b32 s0, s26, exec_lo
	s_and_b32 s26, s29, exec_lo
	s_delay_alu instid0(SALU_CYCLE_1)
	s_or_b32 s26, s0, s26
	s_mov_b32 s0, exec_lo
	v_cmpx_nlg_f64_e32 v[16:17], v[18:19]
	s_cbranch_execz .LBB756_239
; %bb.241:                              ;   in Loop: Header=BB756_240 Depth=1
	s_add_u32 s20, s20, -1
	s_addc_u32 s21, s21, -1
	v_add_co_u32 v8, vcc_lo, v8, 8
	s_cmp_eq_u64 s[20:21], 0
	v_add_co_ci_u32_e32 v9, vcc_lo, 0, v9, vcc_lo
	v_add_co_u32 v10, vcc_lo, v10, 8
	s_cselect_b32 s1, -1, 0
	v_add_co_ci_u32_e32 v11, vcc_lo, 0, v11, vcc_lo
	s_and_not1_b32 s27, s27, exec_lo
	s_and_b32 s28, s29, exec_lo
	s_and_not1_b32 s25, s25, exec_lo
	s_and_b32 s1, s1, exec_lo
	s_or_b32 s27, s27, s28
	s_and_not1_b32 s26, s26, exec_lo
	s_or_b32 s25, s25, s1
                                        ; implicit-def: $sgpr28
	s_branch .LBB756_239
.LBB756_242:
	s_set_inst_prefetch_distance 0x2
	s_or_b32 exec_lo, exec_lo, s23
	v_cndmask_b32_e64 v9, v7, v14, s24
	v_cndmask_b32_e64 v8, v6, v15, s24
.LBB756_243:
	s_or_b32 exec_lo, exec_lo, s22
	s_delay_alu instid0(VALU_DEP_1)
	v_dual_mov_b32 v6, v8 :: v_dual_mov_b32 v7, v9
.LBB756_244:
	s_or_b32 exec_lo, exec_lo, s19
.LBB756_245:
	s_delay_alu instid0(SALU_CYCLE_1) | instskip(SKIP_4) | instid1(VALU_DEP_3)
	s_or_b32 exec_lo, exec_lo, s17
	v_and_b32_e32 v19, 0xf80, v23
	v_and_b32_e32 v20, 0x7c, v23
	v_lshlrev_b32_e32 v14, 3, v23
	s_mov_b32 s17, exec_lo
	v_or_b32_e32 v8, 64, v19
	v_lshlrev_b32_e32 v18, 3, v19
	; wave barrier
	s_waitcnt lgkmcnt(0)
	s_barrier
	s_delay_alu instid0(VALU_DEP_2)
	v_min_u32_e32 v9, 0x3c0, v8
	v_min_u32_e32 v15, 0x400, v8
	buffer_gl0_inv
	ds_store_b128 v14, v[0:3]
	ds_store_b128 v14, v[4:7] offset:16
	s_waitcnt lgkmcnt(0)
	v_add_nc_u32_e32 v16, 64, v9
	v_sub_nc_u32_e32 v8, v15, v19
	s_barrier
	buffer_gl0_inv
	v_sub_nc_u32_e32 v9, v16, v15
	v_min_u32_e32 v21, v20, v8
	s_delay_alu instid0(VALU_DEP_2) | instskip(NEXT) | instid1(VALU_DEP_1)
	v_sub_nc_u32_e64 v17, v20, v9 clamp
	v_cmpx_lt_u32_e64 v17, v21
	s_cbranch_execz .LBB756_255
; %bb.246:
	v_lshlrev_b32_e32 v8, 3, v20
	s_lshl_b64 s[20:21], s[8:9], 3
	s_mov_b32 s19, 0
	s_delay_alu instid0(VALU_DEP_1)
	v_lshl_add_u32 v37, v15, 3, v8
	s_branch .LBB756_249
.LBB756_247:                            ;   in Loop: Header=BB756_249 Depth=1
	s_set_inst_prefetch_distance 0x2
	s_or_b32 exec_lo, exec_lo, s24
.LBB756_248:                            ;   in Loop: Header=BB756_249 Depth=1
	s_delay_alu instid0(VALU_DEP_1) | instskip(SKIP_1) | instid1(VALU_DEP_2)
	v_add_nc_u32_e32 v8, 1, v38
	v_cndmask_b32_e64 v21, v21, v38, s25
	v_cndmask_b32_e64 v17, v8, v17, s25
	s_delay_alu instid0(VALU_DEP_1) | instskip(SKIP_1) | instid1(SALU_CYCLE_1)
	v_cmp_ge_u32_e32 vcc_lo, v17, v21
	s_or_b32 s19, vcc_lo, s19
	s_and_not1_b32 exec_lo, exec_lo, s19
	s_cbranch_execz .LBB756_254
.LBB756_249:                            ; =>This Loop Header: Depth=1
                                        ;     Child Loop BB756_252 Depth 2
	v_add_nc_u32_e32 v8, v21, v17
	v_cmp_ne_u32_e32 vcc_lo, 1, v36
	s_mov_b32 s25, 0
	s_delay_alu instid0(VALU_DEP_2)
	v_lshrrev_b32_e32 v38, 1, v8
	s_cbranch_vccnz .LBB756_248
; %bb.250:                              ;   in Loop: Header=BB756_249 Depth=1
	s_delay_alu instid0(VALU_DEP_1) | instskip(SKIP_3) | instid1(VALU_DEP_2)
	v_not_b32_e32 v8, v38
	v_lshl_add_u32 v9, v38, 3, v18
	s_mov_b32 s24, 0
	s_mov_b64 s[22:23], s[8:9]
                                        ; implicit-def: $sgpr25
                                        ; implicit-def: $sgpr26
                                        ; implicit-def: $sgpr27
                                        ; implicit-def: $sgpr28
                                        ; implicit-def: $sgpr29
	v_lshl_add_u32 v8, v8, 3, v37
	ds_load_b64 v[10:11], v8
	ds_load_b64 v[39:40], v9
	s_waitcnt lgkmcnt(1)
	v_mul_lo_u32 v41, s20, v11
	v_mul_lo_u32 v42, s21, v10
	v_mad_u64_u32 v[8:9], null, s20, v10, s[10:11]
	s_waitcnt lgkmcnt(0)
	v_mul_lo_u32 v40, s20, v40
	v_mul_lo_u32 v43, s21, v39
	v_mad_u64_u32 v[10:11], null, s20, v39, s[10:11]
	s_delay_alu instid0(VALU_DEP_4) | instskip(NEXT) | instid1(VALU_DEP_2)
	v_add3_u32 v9, v42, v9, v41
	v_add3_u32 v11, v43, v11, v40
	s_set_inst_prefetch_distance 0x1
	s_branch .LBB756_252
	.p2align	6
.LBB756_251:                            ;   in Loop: Header=BB756_252 Depth=2
	s_or_b32 exec_lo, exec_lo, s0
	s_delay_alu instid0(SALU_CYCLE_1) | instskip(NEXT) | instid1(SALU_CYCLE_1)
	s_and_b32 s0, exec_lo, s26
	s_or_b32 s24, s0, s24
	s_and_not1_b32 s0, s29, exec_lo
	s_and_b32 s1, s27, exec_lo
	s_and_not1_b32 s25, s25, exec_lo
	s_and_b32 s30, s28, exec_lo
	s_or_b32 s29, s0, s1
	s_or_b32 s25, s25, s30
	s_and_not1_b32 exec_lo, exec_lo, s24
	s_cbranch_execz .LBB756_247
.LBB756_252:                            ;   Parent Loop BB756_249 Depth=1
                                        ; =>  This Inner Loop Header: Depth=2
	global_load_b64 v[39:40], v[8:9], off
	global_load_b64 v[41:42], v[10:11], off
	s_and_not1_b32 s27, s27, exec_lo
	s_or_b32 s26, s26, exec_lo
	s_waitcnt vmcnt(0)
	v_cmp_ngt_f64_e32 vcc_lo, v[39:40], v[41:42]
	v_cmp_lt_f64_e64 s0, v[39:40], v[41:42]
	s_and_b32 s30, vcc_lo, s29
	s_delay_alu instid0(VALU_DEP_1) | instid1(SALU_CYCLE_1)
	s_or_b32 s30, s0, s30
	s_and_not1_b32 s0, s28, exec_lo
	s_and_b32 s28, s30, exec_lo
	s_delay_alu instid0(SALU_CYCLE_1)
	s_or_b32 s28, s0, s28
	s_mov_b32 s0, exec_lo
	v_cmpx_nlg_f64_e32 v[39:40], v[41:42]
	s_cbranch_execz .LBB756_251
; %bb.253:                              ;   in Loop: Header=BB756_252 Depth=2
	s_add_u32 s22, s22, -1
	s_addc_u32 s23, s23, -1
	v_add_co_u32 v8, vcc_lo, v8, 8
	v_add_co_ci_u32_e32 v9, vcc_lo, 0, v9, vcc_lo
	s_cmp_eq_u64 s[22:23], 0
	v_add_co_u32 v10, vcc_lo, v10, 8
	s_cselect_b32 s1, -1, 0
	v_add_co_ci_u32_e32 v11, vcc_lo, 0, v11, vcc_lo
	s_and_not1_b32 s27, s27, exec_lo
	s_and_b32 s29, s30, exec_lo
	s_and_not1_b32 s26, s26, exec_lo
	s_and_b32 s1, s1, exec_lo
	s_and_not1_b32 s28, s28, exec_lo
	s_or_b32 s27, s27, s29
	s_or_b32 s26, s26, s1
                                        ; implicit-def: $sgpr29
	s_branch .LBB756_251
.LBB756_254:
	s_or_b32 exec_lo, exec_lo, s19
.LBB756_255:
	s_delay_alu instid0(SALU_CYCLE_1) | instskip(SKIP_2) | instid1(VALU_DEP_2)
	s_or_b32 exec_lo, exec_lo, s17
	v_sub_nc_u32_e32 v9, v20, v17
	v_add_nc_u32_e32 v8, v17, v19
	v_add_nc_u32_e32 v9, v9, v15
	s_delay_alu instid0(VALU_DEP_2) | instskip(NEXT) | instid1(VALU_DEP_2)
	v_cmp_le_u32_e32 vcc_lo, v8, v15
	v_cmp_le_u32_e64 s0, v9, v16
	s_delay_alu instid0(VALU_DEP_1) | instskip(NEXT) | instid1(SALU_CYCLE_1)
	s_or_b32 s0, vcc_lo, s0
	s_and_saveexec_b32 s17, s0
	s_cbranch_execz .LBB756_291
; %bb.256:
	v_cmp_ge_u32_e32 vcc_lo, v8, v15
	s_mov_b32 s1, exec_lo
                                        ; implicit-def: $vgpr0_vgpr1
	v_cmpx_lt_u32_e64 v8, v15
	s_cbranch_execz .LBB756_258
; %bb.257:
	v_lshl_add_u32 v0, v17, 3, v18
	ds_load_b64 v[0:1], v0
.LBB756_258:
	s_or_b32 exec_lo, exec_lo, s1
	v_cmp_ge_u32_e64 s0, v9, v16
	s_mov_b32 s19, exec_lo
                                        ; implicit-def: $vgpr4_vgpr5
	v_cmpx_lt_u32_e64 v9, v16
	s_cbranch_execz .LBB756_260
; %bb.259:
	v_lshlrev_b32_e32 v2, 3, v9
	ds_load_b64 v[4:5], v2
.LBB756_260:
	s_or_b32 exec_lo, exec_lo, s19
	s_or_b32 s1, vcc_lo, s0
	s_xor_b32 s19, vcc_lo, -1
	s_or_b32 s1, s1, s12
	s_or_b32 s19, s0, s19
	s_xor_b32 s1, s1, -1
	s_delay_alu instid0(SALU_CYCLE_1)
	s_and_saveexec_b32 s22, s1
	s_cbranch_execz .LBB756_266
; %bb.261:
	s_waitcnt lgkmcnt(0)
	v_mul_lo_u32 v10, v5, s8
	v_mul_lo_u32 v11, v4, s9
	v_mad_u64_u32 v[2:3], null, v4, s8, 0
	v_mul_lo_u32 v17, v1, s8
	v_mul_lo_u32 v18, v0, s9
	v_mad_u64_u32 v[6:7], null, v0, s8, 0
	s_mov_b32 s23, 0
	s_mov_b64 s[20:21], s[8:9]
	s_delay_alu instid0(VALU_DEP_4) | instskip(NEXT) | instid1(VALU_DEP_2)
	v_add3_u32 v3, v3, v11, v10
                                        ; implicit-def: $sgpr24
                                        ; implicit-def: $sgpr25
                                        ; implicit-def: $sgpr26
                                        ; implicit-def: $sgpr27
                                        ; implicit-def: $sgpr28
	v_add3_u32 v7, v7, v18, v17
	s_delay_alu instid0(VALU_DEP_2) | instskip(NEXT) | instid1(VALU_DEP_2)
	v_lshlrev_b64 v[2:3], 3, v[2:3]
	v_lshlrev_b64 v[6:7], 3, v[6:7]
	s_delay_alu instid0(VALU_DEP_2) | instskip(NEXT) | instid1(VALU_DEP_3)
	v_add_co_u32 v2, vcc_lo, s10, v2
	v_add_co_ci_u32_e32 v3, vcc_lo, s11, v3, vcc_lo
	s_delay_alu instid0(VALU_DEP_3) | instskip(NEXT) | instid1(VALU_DEP_4)
	v_add_co_u32 v6, vcc_lo, s10, v6
	v_add_co_ci_u32_e32 v7, vcc_lo, s11, v7, vcc_lo
	s_set_inst_prefetch_distance 0x1
	s_branch .LBB756_263
	.p2align	6
.LBB756_262:                            ;   in Loop: Header=BB756_263 Depth=1
	s_or_b32 exec_lo, exec_lo, s0
	s_delay_alu instid0(SALU_CYCLE_1) | instskip(NEXT) | instid1(SALU_CYCLE_1)
	s_and_b32 s0, exec_lo, s25
	s_or_b32 s23, s0, s23
	s_and_not1_b32 s0, s28, exec_lo
	s_and_b32 s1, s27, exec_lo
	s_and_not1_b32 s24, s24, exec_lo
	s_and_b32 s29, s26, exec_lo
	s_or_b32 s28, s0, s1
	s_or_b32 s24, s24, s29
	s_and_not1_b32 exec_lo, exec_lo, s23
	s_cbranch_execz .LBB756_265
.LBB756_263:                            ; =>This Inner Loop Header: Depth=1
	global_load_b64 v[10:11], v[2:3], off
	global_load_b64 v[17:18], v[6:7], off
	s_and_not1_b32 s27, s27, exec_lo
	s_or_b32 s25, s25, exec_lo
	s_waitcnt vmcnt(0)
	v_cmp_ngt_f64_e32 vcc_lo, v[10:11], v[17:18]
	v_cmp_lt_f64_e64 s0, v[10:11], v[17:18]
	s_and_b32 s29, vcc_lo, s28
	s_delay_alu instid0(VALU_DEP_1) | instid1(SALU_CYCLE_1)
	s_or_b32 s29, s0, s29
	s_and_not1_b32 s0, s26, exec_lo
	s_and_b32 s26, s29, exec_lo
	s_delay_alu instid0(SALU_CYCLE_1)
	s_or_b32 s26, s0, s26
	s_mov_b32 s0, exec_lo
	v_cmpx_nlg_f64_e32 v[10:11], v[17:18]
	s_cbranch_execz .LBB756_262
; %bb.264:                              ;   in Loop: Header=BB756_263 Depth=1
	s_add_u32 s20, s20, -1
	s_addc_u32 s21, s21, -1
	v_add_co_u32 v2, vcc_lo, v2, 8
	s_cmp_eq_u64 s[20:21], 0
	v_add_co_ci_u32_e32 v3, vcc_lo, 0, v3, vcc_lo
	v_add_co_u32 v6, vcc_lo, v6, 8
	s_cselect_b32 s1, -1, 0
	v_add_co_ci_u32_e32 v7, vcc_lo, 0, v7, vcc_lo
	s_and_not1_b32 s27, s27, exec_lo
	s_and_b32 s28, s29, exec_lo
	s_and_not1_b32 s25, s25, exec_lo
	s_and_b32 s1, s1, exec_lo
	s_or_b32 s27, s27, s28
	s_and_not1_b32 s26, s26, exec_lo
	s_or_b32 s25, s25, s1
                                        ; implicit-def: $sgpr28
	s_branch .LBB756_262
.LBB756_265:
	s_set_inst_prefetch_distance 0x2
	s_or_b32 exec_lo, exec_lo, s23
	s_xor_b32 s0, s24, -1
	s_and_not1_b32 s1, s19, exec_lo
	s_and_b32 s0, s0, exec_lo
	s_delay_alu instid0(SALU_CYCLE_1)
	s_or_b32 s19, s1, s0
.LBB756_266:
	s_or_b32 exec_lo, exec_lo, s22
	v_cndmask_b32_e64 v2, v9, v8, s19
	v_cndmask_b32_e64 v3, v16, v15, s19
	s_mov_b32 s22, -1
	s_mov_b32 s23, -1
	s_mov_b32 s24, exec_lo
	v_add_nc_u32_e32 v6, 1, v2
	v_add_nc_u32_e32 v2, -1, v3
	s_delay_alu instid0(VALU_DEP_2) | instskip(NEXT) | instid1(VALU_DEP_2)
	v_cndmask_b32_e64 v9, v6, v9, s19
	v_min_u32_e32 v2, v6, v2
	v_cndmask_b32_e64 v8, v8, v6, s19
	s_delay_alu instid0(VALU_DEP_2)
	v_lshlrev_b32_e32 v2, 3, v2
	ds_load_b64 v[2:3], v2
	s_waitcnt lgkmcnt(0)
	v_cndmask_b32_e64 v10, v3, v5, s19
	v_cndmask_b32_e64 v11, v2, v4, s19
	v_cndmask_b32_e64 v17, v1, v3, s19
	v_cndmask_b32_e64 v18, v0, v2, s19
	v_cmpx_lt_u32_e64 v9, v16
	s_cbranch_execz .LBB756_274
; %bb.267:
	v_cmp_lt_u32_e64 s23, v8, v15
	s_xor_b32 s0, s12, -1
	s_delay_alu instid0(VALU_DEP_1) | instid1(SALU_CYCLE_1)
	s_and_b32 s0, s23, s0
	s_delay_alu instid0(SALU_CYCLE_1)
	s_and_saveexec_b32 s25, s0
	s_cbranch_execz .LBB756_273
; %bb.268:
	v_mul_lo_u32 v19, v10, s8
	v_mul_lo_u32 v20, v11, s9
	v_mad_u64_u32 v[2:3], null, v11, s8, 0
	v_mul_lo_u32 v21, v17, s8
	v_mul_lo_u32 v37, v18, s9
	v_mad_u64_u32 v[6:7], null, v18, s8, 0
	s_mov_b32 s26, 0
	s_mov_b64 s[20:21], s[8:9]
	s_delay_alu instid0(VALU_DEP_4) | instskip(NEXT) | instid1(VALU_DEP_2)
	v_add3_u32 v3, v3, v20, v19
                                        ; implicit-def: $sgpr27
                                        ; implicit-def: $sgpr28
                                        ; implicit-def: $sgpr29
                                        ; implicit-def: $sgpr30
                                        ; implicit-def: $sgpr31
	v_add3_u32 v7, v7, v37, v21
	s_delay_alu instid0(VALU_DEP_2) | instskip(NEXT) | instid1(VALU_DEP_2)
	v_lshlrev_b64 v[2:3], 3, v[2:3]
	v_lshlrev_b64 v[6:7], 3, v[6:7]
	s_delay_alu instid0(VALU_DEP_2) | instskip(NEXT) | instid1(VALU_DEP_3)
	v_add_co_u32 v2, vcc_lo, s10, v2
	v_add_co_ci_u32_e32 v3, vcc_lo, s11, v3, vcc_lo
	s_delay_alu instid0(VALU_DEP_3) | instskip(NEXT) | instid1(VALU_DEP_4)
	v_add_co_u32 v6, vcc_lo, s10, v6
	v_add_co_ci_u32_e32 v7, vcc_lo, s11, v7, vcc_lo
	s_set_inst_prefetch_distance 0x1
	s_branch .LBB756_270
	.p2align	6
.LBB756_269:                            ;   in Loop: Header=BB756_270 Depth=1
	s_or_b32 exec_lo, exec_lo, s0
	s_delay_alu instid0(SALU_CYCLE_1) | instskip(NEXT) | instid1(SALU_CYCLE_1)
	s_and_b32 s0, exec_lo, s28
	s_or_b32 s26, s0, s26
	s_and_not1_b32 s0, s31, exec_lo
	s_and_b32 s1, s30, exec_lo
	s_and_not1_b32 s27, s27, exec_lo
	s_and_b32 s33, s29, exec_lo
	s_or_b32 s31, s0, s1
	s_or_b32 s27, s27, s33
	s_and_not1_b32 exec_lo, exec_lo, s26
	s_cbranch_execz .LBB756_272
.LBB756_270:                            ; =>This Inner Loop Header: Depth=1
	global_load_b64 v[19:20], v[2:3], off
	global_load_b64 v[37:38], v[6:7], off
	s_and_not1_b32 s30, s30, exec_lo
	s_or_b32 s28, s28, exec_lo
	s_waitcnt vmcnt(0)
	v_cmp_ngt_f64_e32 vcc_lo, v[19:20], v[37:38]
	v_cmp_lt_f64_e64 s0, v[19:20], v[37:38]
	s_and_b32 s33, vcc_lo, s31
	s_delay_alu instid0(VALU_DEP_1) | instid1(SALU_CYCLE_1)
	s_or_b32 s33, s0, s33
	s_and_not1_b32 s0, s29, exec_lo
	s_and_b32 s29, s33, exec_lo
	s_delay_alu instid0(SALU_CYCLE_1)
	s_or_b32 s29, s0, s29
	s_mov_b32 s0, exec_lo
	v_cmpx_nlg_f64_e32 v[19:20], v[37:38]
	s_cbranch_execz .LBB756_269
; %bb.271:                              ;   in Loop: Header=BB756_270 Depth=1
	s_add_u32 s20, s20, -1
	s_addc_u32 s21, s21, -1
	v_add_co_u32 v2, vcc_lo, v2, 8
	s_cmp_eq_u64 s[20:21], 0
	v_add_co_ci_u32_e32 v3, vcc_lo, 0, v3, vcc_lo
	v_add_co_u32 v6, vcc_lo, v6, 8
	s_cselect_b32 s1, -1, 0
	v_add_co_ci_u32_e32 v7, vcc_lo, 0, v7, vcc_lo
	s_and_not1_b32 s30, s30, exec_lo
	s_and_b32 s31, s33, exec_lo
	s_and_not1_b32 s28, s28, exec_lo
	s_and_b32 s1, s1, exec_lo
	s_or_b32 s30, s30, s31
	s_and_not1_b32 s29, s29, exec_lo
	s_or_b32 s28, s28, s1
                                        ; implicit-def: $sgpr31
	s_branch .LBB756_269
.LBB756_272:
	s_set_inst_prefetch_distance 0x2
	s_or_b32 exec_lo, exec_lo, s26
	s_xor_b32 s0, s27, -1
	s_and_not1_b32 s1, s23, exec_lo
	s_and_b32 s0, s0, exec_lo
	s_delay_alu instid0(SALU_CYCLE_1)
	s_or_b32 s23, s1, s0
.LBB756_273:
	s_or_b32 exec_lo, exec_lo, s25
	s_delay_alu instid0(SALU_CYCLE_1)
	s_or_not1_b32 s23, s23, exec_lo
.LBB756_274:
	s_or_b32 exec_lo, exec_lo, s24
	v_cndmask_b32_e64 v2, v9, v8, s23
	v_cndmask_b32_e64 v3, v16, v15, s23
	s_mov_b32 s24, exec_lo
	s_delay_alu instid0(VALU_DEP_2) | instskip(NEXT) | instid1(VALU_DEP_2)
	v_add_nc_u32_e32 v6, 1, v2
	v_add_nc_u32_e32 v2, -1, v3
	s_delay_alu instid0(VALU_DEP_2) | instskip(NEXT) | instid1(VALU_DEP_2)
	v_cndmask_b32_e64 v37, v6, v9, s23
	v_min_u32_e32 v2, v6, v2
	v_cndmask_b32_e64 v19, v8, v6, s23
	s_delay_alu instid0(VALU_DEP_2)
	v_lshlrev_b32_e32 v2, 3, v2
	ds_load_b64 v[2:3], v2
	s_waitcnt lgkmcnt(0)
	v_cndmask_b32_e64 v20, v3, v10, s23
	v_cndmask_b32_e64 v21, v2, v11, s23
	;; [unrolled: 1-line block ×4, first 2 shown]
	v_cmpx_lt_u32_e64 v37, v16
	s_cbranch_execz .LBB756_282
; %bb.275:
	v_cmp_lt_u32_e64 s22, v19, v15
	s_xor_b32 s0, s12, -1
	s_delay_alu instid0(VALU_DEP_1) | instid1(SALU_CYCLE_1)
	s_and_b32 s0, s22, s0
	s_delay_alu instid0(SALU_CYCLE_1)
	s_and_saveexec_b32 s25, s0
	s_cbranch_execz .LBB756_281
; %bb.276:
	v_mul_lo_u32 v8, v20, s8
	v_mul_lo_u32 v9, v21, s9
	v_mad_u64_u32 v[2:3], null, v21, s8, 0
	v_mul_lo_u32 v40, v38, s8
	v_mul_lo_u32 v41, v39, s9
	v_mad_u64_u32 v[6:7], null, v39, s8, 0
	s_mov_b32 s26, 0
	s_mov_b64 s[20:21], s[8:9]
	s_delay_alu instid0(VALU_DEP_4) | instskip(NEXT) | instid1(VALU_DEP_2)
	v_add3_u32 v3, v3, v9, v8
                                        ; implicit-def: $sgpr27
                                        ; implicit-def: $sgpr28
                                        ; implicit-def: $sgpr29
                                        ; implicit-def: $sgpr30
                                        ; implicit-def: $sgpr31
	v_add3_u32 v7, v7, v41, v40
	s_delay_alu instid0(VALU_DEP_2) | instskip(NEXT) | instid1(VALU_DEP_2)
	v_lshlrev_b64 v[2:3], 3, v[2:3]
	v_lshlrev_b64 v[6:7], 3, v[6:7]
	s_delay_alu instid0(VALU_DEP_2) | instskip(NEXT) | instid1(VALU_DEP_3)
	v_add_co_u32 v2, vcc_lo, s10, v2
	v_add_co_ci_u32_e32 v3, vcc_lo, s11, v3, vcc_lo
	s_delay_alu instid0(VALU_DEP_3) | instskip(NEXT) | instid1(VALU_DEP_4)
	v_add_co_u32 v6, vcc_lo, s10, v6
	v_add_co_ci_u32_e32 v7, vcc_lo, s11, v7, vcc_lo
	s_set_inst_prefetch_distance 0x1
	s_branch .LBB756_278
	.p2align	6
.LBB756_277:                            ;   in Loop: Header=BB756_278 Depth=1
	s_or_b32 exec_lo, exec_lo, s0
	s_delay_alu instid0(SALU_CYCLE_1) | instskip(NEXT) | instid1(SALU_CYCLE_1)
	s_and_b32 s0, exec_lo, s28
	s_or_b32 s26, s0, s26
	s_and_not1_b32 s0, s31, exec_lo
	s_and_b32 s1, s30, exec_lo
	s_and_not1_b32 s27, s27, exec_lo
	s_and_b32 s33, s29, exec_lo
	s_or_b32 s31, s0, s1
	s_or_b32 s27, s27, s33
	s_and_not1_b32 exec_lo, exec_lo, s26
	s_cbranch_execz .LBB756_280
.LBB756_278:                            ; =>This Inner Loop Header: Depth=1
	global_load_b64 v[8:9], v[2:3], off
	global_load_b64 v[40:41], v[6:7], off
	s_and_not1_b32 s30, s30, exec_lo
	s_or_b32 s28, s28, exec_lo
	s_waitcnt vmcnt(0)
	v_cmp_ngt_f64_e32 vcc_lo, v[8:9], v[40:41]
	v_cmp_lt_f64_e64 s0, v[8:9], v[40:41]
	s_and_b32 s33, vcc_lo, s31
	s_delay_alu instid0(VALU_DEP_1) | instid1(SALU_CYCLE_1)
	s_or_b32 s33, s0, s33
	s_and_not1_b32 s0, s29, exec_lo
	s_and_b32 s29, s33, exec_lo
	s_delay_alu instid0(SALU_CYCLE_1)
	s_or_b32 s29, s0, s29
	s_mov_b32 s0, exec_lo
	v_cmpx_nlg_f64_e32 v[8:9], v[40:41]
	s_cbranch_execz .LBB756_277
; %bb.279:                              ;   in Loop: Header=BB756_278 Depth=1
	s_add_u32 s20, s20, -1
	s_addc_u32 s21, s21, -1
	v_add_co_u32 v2, vcc_lo, v2, 8
	s_cmp_eq_u64 s[20:21], 0
	v_add_co_ci_u32_e32 v3, vcc_lo, 0, v3, vcc_lo
	v_add_co_u32 v6, vcc_lo, v6, 8
	s_cselect_b32 s1, -1, 0
	v_add_co_ci_u32_e32 v7, vcc_lo, 0, v7, vcc_lo
	s_and_not1_b32 s30, s30, exec_lo
	s_and_b32 s31, s33, exec_lo
	s_and_not1_b32 s28, s28, exec_lo
	s_and_b32 s1, s1, exec_lo
	s_or_b32 s30, s30, s31
	s_and_not1_b32 s29, s29, exec_lo
	s_or_b32 s28, s28, s1
                                        ; implicit-def: $sgpr31
	s_branch .LBB756_277
.LBB756_280:
	s_set_inst_prefetch_distance 0x2
	s_or_b32 exec_lo, exec_lo, s26
	s_xor_b32 s0, s27, -1
	s_and_not1_b32 s1, s22, exec_lo
	s_and_b32 s0, s0, exec_lo
	s_delay_alu instid0(SALU_CYCLE_1)
	s_or_b32 s22, s1, s0
.LBB756_281:
	s_or_b32 exec_lo, exec_lo, s25
	s_delay_alu instid0(SALU_CYCLE_1)
	s_or_not1_b32 s22, s22, exec_lo
.LBB756_282:
	s_or_b32 exec_lo, exec_lo, s24
	v_cndmask_b32_e64 v2, v37, v19, s22
	v_cndmask_b32_e64 v3, v16, v15, s22
	;; [unrolled: 1-line block ×5, first 2 shown]
	v_add_nc_u32_e32 v40, 1, v2
	v_add_nc_u32_e32 v2, -1, v3
	v_cndmask_b32_e64 v3, v10, v17, s23
	v_cndmask_b32_e64 v4, v21, v39, s22
	s_mov_b32 s19, exec_lo
	v_cndmask_b32_e64 v10, v40, v37, s22
	v_min_u32_e32 v2, v40, v2
	s_delay_alu instid0(VALU_DEP_1)
	v_lshlrev_b32_e32 v2, 3, v2
	ds_load_b64 v[8:9], v2
	v_cndmask_b32_e64 v2, v11, v18, s23
	s_waitcnt lgkmcnt(0)
	v_cndmask_b32_e64 v7, v38, v9, s22
	v_cndmask_b32_e64 v6, v39, v8, s22
	v_cmpx_lt_u32_e64 v10, v16
	s_cbranch_execz .LBB756_290
; %bb.283:
	v_cndmask_b32_e64 v10, v19, v40, s22
	v_cndmask_b32_e64 v16, v9, v20, s22
	;; [unrolled: 1-line block ×3, first 2 shown]
	s_delay_alu instid0(VALU_DEP_3) | instskip(NEXT) | instid1(VALU_DEP_2)
	v_cmp_ge_u32_e32 vcc_lo, v10, v15
	v_dual_cndmask_b32 v9, v7, v16 :: v_dual_cndmask_b32 v8, v6, v17
	s_or_b32 s0, vcc_lo, s12
	s_delay_alu instid0(SALU_CYCLE_1) | instskip(NEXT) | instid1(SALU_CYCLE_1)
	s_xor_b32 s0, s0, -1
	s_and_saveexec_b32 s22, s0
	s_cbranch_execz .LBB756_289
; %bb.284:
	v_mul_lo_u32 v15, v16, s8
	v_mul_lo_u32 v18, v17, s9
	v_mad_u64_u32 v[8:9], null, v17, s8, 0
	v_mul_lo_u32 v19, v7, s8
	v_mul_lo_u32 v20, v6, s9
	v_mad_u64_u32 v[10:11], null, v6, s8, 0
	s_mov_b32 s23, 0
	s_mov_b64 s[20:21], s[8:9]
	s_delay_alu instid0(VALU_DEP_4) | instskip(NEXT) | instid1(VALU_DEP_2)
	v_add3_u32 v9, v9, v18, v15
                                        ; implicit-def: $sgpr24
                                        ; implicit-def: $sgpr25
                                        ; implicit-def: $sgpr26
                                        ; implicit-def: $sgpr27
                                        ; implicit-def: $sgpr28
	v_add3_u32 v11, v11, v20, v19
	s_delay_alu instid0(VALU_DEP_2) | instskip(NEXT) | instid1(VALU_DEP_2)
	v_lshlrev_b64 v[8:9], 3, v[8:9]
	v_lshlrev_b64 v[10:11], 3, v[10:11]
	s_delay_alu instid0(VALU_DEP_2) | instskip(NEXT) | instid1(VALU_DEP_3)
	v_add_co_u32 v8, vcc_lo, s10, v8
	v_add_co_ci_u32_e32 v9, vcc_lo, s11, v9, vcc_lo
	s_delay_alu instid0(VALU_DEP_3) | instskip(NEXT) | instid1(VALU_DEP_4)
	v_add_co_u32 v10, vcc_lo, s10, v10
	v_add_co_ci_u32_e32 v11, vcc_lo, s11, v11, vcc_lo
	s_set_inst_prefetch_distance 0x1
	s_branch .LBB756_286
	.p2align	6
.LBB756_285:                            ;   in Loop: Header=BB756_286 Depth=1
	s_or_b32 exec_lo, exec_lo, s0
	s_delay_alu instid0(SALU_CYCLE_1) | instskip(NEXT) | instid1(SALU_CYCLE_1)
	s_and_b32 s0, exec_lo, s25
	s_or_b32 s23, s0, s23
	s_and_not1_b32 s0, s28, exec_lo
	s_and_b32 s1, s27, exec_lo
	s_and_not1_b32 s24, s24, exec_lo
	s_and_b32 s29, s26, exec_lo
	s_or_b32 s28, s0, s1
	s_or_b32 s24, s24, s29
	s_and_not1_b32 exec_lo, exec_lo, s23
	s_cbranch_execz .LBB756_288
.LBB756_286:                            ; =>This Inner Loop Header: Depth=1
	global_load_b64 v[18:19], v[8:9], off
	global_load_b64 v[20:21], v[10:11], off
	s_and_not1_b32 s27, s27, exec_lo
	s_or_b32 s25, s25, exec_lo
	s_waitcnt vmcnt(0)
	v_cmp_ngt_f64_e32 vcc_lo, v[18:19], v[20:21]
	v_cmp_lt_f64_e64 s0, v[18:19], v[20:21]
	s_and_b32 s29, vcc_lo, s28
	s_delay_alu instid0(VALU_DEP_1) | instid1(SALU_CYCLE_1)
	s_or_b32 s29, s0, s29
	s_and_not1_b32 s0, s26, exec_lo
	s_and_b32 s26, s29, exec_lo
	s_delay_alu instid0(SALU_CYCLE_1)
	s_or_b32 s26, s0, s26
	s_mov_b32 s0, exec_lo
	v_cmpx_nlg_f64_e32 v[18:19], v[20:21]
	s_cbranch_execz .LBB756_285
; %bb.287:                              ;   in Loop: Header=BB756_286 Depth=1
	s_add_u32 s20, s20, -1
	s_addc_u32 s21, s21, -1
	v_add_co_u32 v8, vcc_lo, v8, 8
	s_cmp_eq_u64 s[20:21], 0
	v_add_co_ci_u32_e32 v9, vcc_lo, 0, v9, vcc_lo
	v_add_co_u32 v10, vcc_lo, v10, 8
	s_cselect_b32 s1, -1, 0
	v_add_co_ci_u32_e32 v11, vcc_lo, 0, v11, vcc_lo
	s_and_not1_b32 s27, s27, exec_lo
	s_and_b32 s28, s29, exec_lo
	s_and_not1_b32 s25, s25, exec_lo
	s_and_b32 s1, s1, exec_lo
	s_or_b32 s27, s27, s28
	s_and_not1_b32 s26, s26, exec_lo
	s_or_b32 s25, s25, s1
                                        ; implicit-def: $sgpr28
	s_branch .LBB756_285
.LBB756_288:
	s_set_inst_prefetch_distance 0x2
	s_or_b32 exec_lo, exec_lo, s23
	v_cndmask_b32_e64 v9, v7, v16, s24
	v_cndmask_b32_e64 v8, v6, v17, s24
.LBB756_289:
	s_or_b32 exec_lo, exec_lo, s22
	s_delay_alu instid0(VALU_DEP_1)
	v_dual_mov_b32 v6, v8 :: v_dual_mov_b32 v7, v9
.LBB756_290:
	s_or_b32 exec_lo, exec_lo, s19
.LBB756_291:
	s_delay_alu instid0(SALU_CYCLE_1) | instskip(SKIP_4) | instid1(VALU_DEP_2)
	s_or_b32 exec_lo, exec_lo, s17
	v_and_b32_e32 v19, 0xf00, v23
	v_and_b32_e32 v20, 0xfc, v23
	s_mov_b32 s17, exec_lo
	s_barrier
	v_or_b32_e32 v8, 0x80, v19
	v_lshlrev_b32_e32 v18, 3, v19
	buffer_gl0_inv
	ds_store_b128 v14, v[0:3]
	ds_store_b128 v14, v[4:7] offset:16
	s_waitcnt lgkmcnt(0)
	v_min_u32_e32 v9, 0x380, v8
	v_min_u32_e32 v15, 0x400, v8
	s_barrier
	buffer_gl0_inv
	v_add_nc_u32_e32 v16, 0x80, v9
	v_sub_nc_u32_e32 v8, v15, v19
	s_delay_alu instid0(VALU_DEP_2) | instskip(NEXT) | instid1(VALU_DEP_2)
	v_sub_nc_u32_e32 v9, v16, v15
	v_min_u32_e32 v21, v20, v8
	s_delay_alu instid0(VALU_DEP_2) | instskip(NEXT) | instid1(VALU_DEP_1)
	v_sub_nc_u32_e64 v17, v20, v9 clamp
	v_cmpx_lt_u32_e64 v17, v21
	s_cbranch_execz .LBB756_301
; %bb.292:
	v_lshlrev_b32_e32 v8, 3, v20
	s_lshl_b64 s[20:21], s[8:9], 3
	s_mov_b32 s19, 0
	s_delay_alu instid0(VALU_DEP_1)
	v_lshl_add_u32 v37, v15, 3, v8
	s_branch .LBB756_295
.LBB756_293:                            ;   in Loop: Header=BB756_295 Depth=1
	s_set_inst_prefetch_distance 0x2
	s_or_b32 exec_lo, exec_lo, s24
.LBB756_294:                            ;   in Loop: Header=BB756_295 Depth=1
	s_delay_alu instid0(VALU_DEP_1) | instskip(SKIP_1) | instid1(VALU_DEP_2)
	v_add_nc_u32_e32 v8, 1, v38
	v_cndmask_b32_e64 v21, v21, v38, s25
	v_cndmask_b32_e64 v17, v8, v17, s25
	s_delay_alu instid0(VALU_DEP_1) | instskip(SKIP_1) | instid1(SALU_CYCLE_1)
	v_cmp_ge_u32_e32 vcc_lo, v17, v21
	s_or_b32 s19, vcc_lo, s19
	s_and_not1_b32 exec_lo, exec_lo, s19
	s_cbranch_execz .LBB756_300
.LBB756_295:                            ; =>This Loop Header: Depth=1
                                        ;     Child Loop BB756_298 Depth 2
	v_add_nc_u32_e32 v8, v21, v17
	v_cmp_ne_u32_e32 vcc_lo, 1, v36
	s_mov_b32 s25, 0
	s_delay_alu instid0(VALU_DEP_2)
	v_lshrrev_b32_e32 v38, 1, v8
	s_cbranch_vccnz .LBB756_294
; %bb.296:                              ;   in Loop: Header=BB756_295 Depth=1
	s_delay_alu instid0(VALU_DEP_1) | instskip(SKIP_3) | instid1(VALU_DEP_2)
	v_not_b32_e32 v8, v38
	v_lshl_add_u32 v9, v38, 3, v18
	s_mov_b32 s24, 0
	s_mov_b64 s[22:23], s[8:9]
                                        ; implicit-def: $sgpr25
                                        ; implicit-def: $sgpr26
                                        ; implicit-def: $sgpr27
                                        ; implicit-def: $sgpr28
                                        ; implicit-def: $sgpr29
	v_lshl_add_u32 v8, v8, 3, v37
	ds_load_b64 v[10:11], v8
	ds_load_b64 v[39:40], v9
	s_waitcnt lgkmcnt(1)
	v_mul_lo_u32 v41, s20, v11
	v_mul_lo_u32 v42, s21, v10
	v_mad_u64_u32 v[8:9], null, s20, v10, s[10:11]
	s_waitcnt lgkmcnt(0)
	v_mul_lo_u32 v40, s20, v40
	v_mul_lo_u32 v43, s21, v39
	v_mad_u64_u32 v[10:11], null, s20, v39, s[10:11]
	s_delay_alu instid0(VALU_DEP_4) | instskip(NEXT) | instid1(VALU_DEP_2)
	v_add3_u32 v9, v42, v9, v41
	v_add3_u32 v11, v43, v11, v40
	s_set_inst_prefetch_distance 0x1
	s_branch .LBB756_298
	.p2align	6
.LBB756_297:                            ;   in Loop: Header=BB756_298 Depth=2
	s_or_b32 exec_lo, exec_lo, s30
	s_delay_alu instid0(SALU_CYCLE_1) | instskip(NEXT) | instid1(SALU_CYCLE_1)
	s_and_b32 s0, exec_lo, s26
	s_or_b32 s24, s0, s24
	s_and_not1_b32 s0, s29, exec_lo
	s_and_b32 s1, s27, exec_lo
	s_and_not1_b32 s25, s25, exec_lo
	s_and_b32 s30, s28, exec_lo
	s_or_b32 s29, s0, s1
	s_or_b32 s25, s25, s30
	s_and_not1_b32 exec_lo, exec_lo, s24
	s_cbranch_execz .LBB756_293
.LBB756_298:                            ;   Parent Loop BB756_295 Depth=1
                                        ; =>  This Inner Loop Header: Depth=2
	global_load_b64 v[39:40], v[8:9], off
	global_load_b64 v[41:42], v[10:11], off
	s_and_not1_b32 s28, s28, exec_lo
	s_and_not1_b32 s27, s27, exec_lo
	s_or_b32 s26, s26, exec_lo
	s_waitcnt vmcnt(0)
	v_cmp_ngt_f64_e32 vcc_lo, v[39:40], v[41:42]
	v_cmp_lt_f64_e64 s0, v[39:40], v[41:42]
	s_and_b32 s30, vcc_lo, s29
	s_delay_alu instid0(VALU_DEP_1) | instid1(SALU_CYCLE_1)
	s_or_b32 s0, s0, s30
	s_delay_alu instid0(SALU_CYCLE_1) | instskip(NEXT) | instid1(SALU_CYCLE_1)
	s_and_b32 s30, s0, exec_lo
	s_or_b32 s28, s28, s30
	s_mov_b32 s30, exec_lo
	v_cmpx_nlg_f64_e32 v[39:40], v[41:42]
	s_cbranch_execz .LBB756_297
; %bb.299:                              ;   in Loop: Header=BB756_298 Depth=2
	s_add_u32 s22, s22, -1
	s_addc_u32 s23, s23, -1
	v_add_co_u32 v8, vcc_lo, v8, 8
	v_add_co_ci_u32_e32 v9, vcc_lo, 0, v9, vcc_lo
	s_cmp_eq_u64 s[22:23], 0
	v_add_co_u32 v10, vcc_lo, v10, 8
	s_cselect_b32 s1, -1, 0
	v_add_co_ci_u32_e32 v11, vcc_lo, 0, v11, vcc_lo
	s_and_not1_b32 s27, s27, exec_lo
	s_and_b32 s0, s0, exec_lo
	s_and_not1_b32 s26, s26, exec_lo
	s_and_b32 s1, s1, exec_lo
	s_and_not1_b32 s28, s28, exec_lo
	s_or_b32 s27, s27, s0
	s_or_b32 s26, s26, s1
                                        ; implicit-def: $sgpr29
	s_branch .LBB756_297
.LBB756_300:
	s_or_b32 exec_lo, exec_lo, s19
.LBB756_301:
	s_delay_alu instid0(SALU_CYCLE_1) | instskip(SKIP_2) | instid1(VALU_DEP_2)
	s_or_b32 exec_lo, exec_lo, s17
	v_sub_nc_u32_e32 v9, v20, v17
	v_add_nc_u32_e32 v8, v17, v19
	v_add_nc_u32_e32 v9, v9, v15
	s_delay_alu instid0(VALU_DEP_2) | instskip(NEXT) | instid1(VALU_DEP_2)
	v_cmp_le_u32_e32 vcc_lo, v8, v15
	v_cmp_le_u32_e64 s0, v9, v16
	s_delay_alu instid0(VALU_DEP_1) | instskip(NEXT) | instid1(SALU_CYCLE_1)
	s_or_b32 s0, vcc_lo, s0
	s_and_saveexec_b32 s17, s0
	s_cbranch_execz .LBB756_337
; %bb.302:
	v_cmp_ge_u32_e32 vcc_lo, v8, v15
	s_mov_b32 s1, exec_lo
                                        ; implicit-def: $vgpr0_vgpr1
	v_cmpx_lt_u32_e64 v8, v15
	s_cbranch_execz .LBB756_304
; %bb.303:
	v_lshl_add_u32 v0, v17, 3, v18
	ds_load_b64 v[0:1], v0
.LBB756_304:
	s_or_b32 exec_lo, exec_lo, s1
	v_cmp_ge_u32_e64 s0, v9, v16
	s_mov_b32 s19, exec_lo
                                        ; implicit-def: $vgpr4_vgpr5
	v_cmpx_lt_u32_e64 v9, v16
	s_cbranch_execz .LBB756_306
; %bb.305:
	v_lshlrev_b32_e32 v2, 3, v9
	ds_load_b64 v[4:5], v2
.LBB756_306:
	s_or_b32 exec_lo, exec_lo, s19
	s_or_b32 s1, vcc_lo, s0
	s_xor_b32 s19, vcc_lo, -1
	s_or_b32 s1, s1, s12
	s_or_b32 s19, s0, s19
	s_xor_b32 s1, s1, -1
	s_delay_alu instid0(SALU_CYCLE_1)
	s_and_saveexec_b32 s22, s1
	s_cbranch_execz .LBB756_312
; %bb.307:
	s_waitcnt lgkmcnt(0)
	v_mul_lo_u32 v10, v5, s8
	v_mul_lo_u32 v11, v4, s9
	v_mad_u64_u32 v[2:3], null, v4, s8, 0
	v_mul_lo_u32 v17, v1, s8
	v_mul_lo_u32 v18, v0, s9
	v_mad_u64_u32 v[6:7], null, v0, s8, 0
	s_mov_b32 s23, 0
	s_mov_b64 s[20:21], s[8:9]
	s_delay_alu instid0(VALU_DEP_4) | instskip(NEXT) | instid1(VALU_DEP_2)
	v_add3_u32 v3, v3, v11, v10
                                        ; implicit-def: $sgpr24
                                        ; implicit-def: $sgpr25
                                        ; implicit-def: $sgpr26
                                        ; implicit-def: $sgpr27
                                        ; implicit-def: $sgpr28
	v_add3_u32 v7, v7, v18, v17
	s_delay_alu instid0(VALU_DEP_2) | instskip(NEXT) | instid1(VALU_DEP_2)
	v_lshlrev_b64 v[2:3], 3, v[2:3]
	v_lshlrev_b64 v[6:7], 3, v[6:7]
	s_delay_alu instid0(VALU_DEP_2) | instskip(NEXT) | instid1(VALU_DEP_3)
	v_add_co_u32 v2, vcc_lo, s10, v2
	v_add_co_ci_u32_e32 v3, vcc_lo, s11, v3, vcc_lo
	s_delay_alu instid0(VALU_DEP_3) | instskip(NEXT) | instid1(VALU_DEP_4)
	v_add_co_u32 v6, vcc_lo, s10, v6
	v_add_co_ci_u32_e32 v7, vcc_lo, s11, v7, vcc_lo
	s_set_inst_prefetch_distance 0x1
	s_branch .LBB756_309
	.p2align	6
.LBB756_308:                            ;   in Loop: Header=BB756_309 Depth=1
	s_or_b32 exec_lo, exec_lo, s0
	s_delay_alu instid0(SALU_CYCLE_1) | instskip(NEXT) | instid1(SALU_CYCLE_1)
	s_and_b32 s0, exec_lo, s25
	s_or_b32 s23, s0, s23
	s_and_not1_b32 s0, s28, exec_lo
	s_and_b32 s1, s27, exec_lo
	s_and_not1_b32 s24, s24, exec_lo
	s_and_b32 s29, s26, exec_lo
	s_or_b32 s28, s0, s1
	s_or_b32 s24, s24, s29
	s_and_not1_b32 exec_lo, exec_lo, s23
	s_cbranch_execz .LBB756_311
.LBB756_309:                            ; =>This Inner Loop Header: Depth=1
	global_load_b64 v[10:11], v[2:3], off
	global_load_b64 v[17:18], v[6:7], off
	s_and_not1_b32 s27, s27, exec_lo
	s_or_b32 s25, s25, exec_lo
	s_waitcnt vmcnt(0)
	v_cmp_ngt_f64_e32 vcc_lo, v[10:11], v[17:18]
	v_cmp_lt_f64_e64 s0, v[10:11], v[17:18]
	s_and_b32 s29, vcc_lo, s28
	s_delay_alu instid0(VALU_DEP_1) | instid1(SALU_CYCLE_1)
	s_or_b32 s29, s0, s29
	s_and_not1_b32 s0, s26, exec_lo
	s_and_b32 s26, s29, exec_lo
	s_delay_alu instid0(SALU_CYCLE_1)
	s_or_b32 s26, s0, s26
	s_mov_b32 s0, exec_lo
	v_cmpx_nlg_f64_e32 v[10:11], v[17:18]
	s_cbranch_execz .LBB756_308
; %bb.310:                              ;   in Loop: Header=BB756_309 Depth=1
	s_add_u32 s20, s20, -1
	s_addc_u32 s21, s21, -1
	v_add_co_u32 v2, vcc_lo, v2, 8
	s_cmp_eq_u64 s[20:21], 0
	v_add_co_ci_u32_e32 v3, vcc_lo, 0, v3, vcc_lo
	v_add_co_u32 v6, vcc_lo, v6, 8
	s_cselect_b32 s1, -1, 0
	v_add_co_ci_u32_e32 v7, vcc_lo, 0, v7, vcc_lo
	s_and_not1_b32 s27, s27, exec_lo
	s_and_b32 s28, s29, exec_lo
	s_and_not1_b32 s25, s25, exec_lo
	s_and_b32 s1, s1, exec_lo
	s_or_b32 s27, s27, s28
	s_and_not1_b32 s26, s26, exec_lo
	s_or_b32 s25, s25, s1
                                        ; implicit-def: $sgpr28
	s_branch .LBB756_308
.LBB756_311:
	s_set_inst_prefetch_distance 0x2
	s_or_b32 exec_lo, exec_lo, s23
	s_xor_b32 s0, s24, -1
	s_and_not1_b32 s1, s19, exec_lo
	s_and_b32 s0, s0, exec_lo
	s_delay_alu instid0(SALU_CYCLE_1)
	s_or_b32 s19, s1, s0
.LBB756_312:
	s_or_b32 exec_lo, exec_lo, s22
	v_cndmask_b32_e64 v2, v9, v8, s19
	v_cndmask_b32_e64 v3, v16, v15, s19
	s_mov_b32 s22, -1
	s_mov_b32 s23, -1
	s_mov_b32 s24, exec_lo
	v_add_nc_u32_e32 v6, 1, v2
	v_add_nc_u32_e32 v2, -1, v3
	s_delay_alu instid0(VALU_DEP_2) | instskip(NEXT) | instid1(VALU_DEP_2)
	v_cndmask_b32_e64 v9, v6, v9, s19
	v_min_u32_e32 v2, v6, v2
	v_cndmask_b32_e64 v8, v8, v6, s19
	s_delay_alu instid0(VALU_DEP_2)
	v_lshlrev_b32_e32 v2, 3, v2
	ds_load_b64 v[2:3], v2
	s_waitcnt lgkmcnt(0)
	v_cndmask_b32_e64 v10, v3, v5, s19
	v_cndmask_b32_e64 v11, v2, v4, s19
	v_cndmask_b32_e64 v17, v1, v3, s19
	v_cndmask_b32_e64 v18, v0, v2, s19
	v_cmpx_lt_u32_e64 v9, v16
	s_cbranch_execz .LBB756_320
; %bb.313:
	v_cmp_lt_u32_e64 s23, v8, v15
	s_xor_b32 s0, s12, -1
	s_delay_alu instid0(VALU_DEP_1) | instid1(SALU_CYCLE_1)
	s_and_b32 s0, s23, s0
	s_delay_alu instid0(SALU_CYCLE_1)
	s_and_saveexec_b32 s25, s0
	s_cbranch_execz .LBB756_319
; %bb.314:
	v_mul_lo_u32 v19, v10, s8
	v_mul_lo_u32 v20, v11, s9
	v_mad_u64_u32 v[2:3], null, v11, s8, 0
	v_mul_lo_u32 v21, v17, s8
	v_mul_lo_u32 v37, v18, s9
	v_mad_u64_u32 v[6:7], null, v18, s8, 0
	s_mov_b32 s26, 0
	s_mov_b64 s[20:21], s[8:9]
	s_delay_alu instid0(VALU_DEP_4) | instskip(NEXT) | instid1(VALU_DEP_2)
	v_add3_u32 v3, v3, v20, v19
                                        ; implicit-def: $sgpr27
                                        ; implicit-def: $sgpr28
                                        ; implicit-def: $sgpr29
                                        ; implicit-def: $sgpr30
                                        ; implicit-def: $sgpr31
	v_add3_u32 v7, v7, v37, v21
	s_delay_alu instid0(VALU_DEP_2) | instskip(NEXT) | instid1(VALU_DEP_2)
	v_lshlrev_b64 v[2:3], 3, v[2:3]
	v_lshlrev_b64 v[6:7], 3, v[6:7]
	s_delay_alu instid0(VALU_DEP_2) | instskip(NEXT) | instid1(VALU_DEP_3)
	v_add_co_u32 v2, vcc_lo, s10, v2
	v_add_co_ci_u32_e32 v3, vcc_lo, s11, v3, vcc_lo
	s_delay_alu instid0(VALU_DEP_3) | instskip(NEXT) | instid1(VALU_DEP_4)
	v_add_co_u32 v6, vcc_lo, s10, v6
	v_add_co_ci_u32_e32 v7, vcc_lo, s11, v7, vcc_lo
	s_set_inst_prefetch_distance 0x1
	s_branch .LBB756_316
	.p2align	6
.LBB756_315:                            ;   in Loop: Header=BB756_316 Depth=1
	s_or_b32 exec_lo, exec_lo, s0
	s_delay_alu instid0(SALU_CYCLE_1) | instskip(NEXT) | instid1(SALU_CYCLE_1)
	s_and_b32 s0, exec_lo, s28
	s_or_b32 s26, s0, s26
	s_and_not1_b32 s0, s31, exec_lo
	s_and_b32 s1, s30, exec_lo
	s_and_not1_b32 s27, s27, exec_lo
	s_and_b32 s33, s29, exec_lo
	s_or_b32 s31, s0, s1
	s_or_b32 s27, s27, s33
	s_and_not1_b32 exec_lo, exec_lo, s26
	s_cbranch_execz .LBB756_318
.LBB756_316:                            ; =>This Inner Loop Header: Depth=1
	global_load_b64 v[19:20], v[2:3], off
	global_load_b64 v[37:38], v[6:7], off
	s_and_not1_b32 s30, s30, exec_lo
	s_or_b32 s28, s28, exec_lo
	s_waitcnt vmcnt(0)
	v_cmp_ngt_f64_e32 vcc_lo, v[19:20], v[37:38]
	v_cmp_lt_f64_e64 s0, v[19:20], v[37:38]
	s_and_b32 s33, vcc_lo, s31
	s_delay_alu instid0(VALU_DEP_1) | instid1(SALU_CYCLE_1)
	s_or_b32 s33, s0, s33
	s_and_not1_b32 s0, s29, exec_lo
	s_and_b32 s29, s33, exec_lo
	s_delay_alu instid0(SALU_CYCLE_1)
	s_or_b32 s29, s0, s29
	s_mov_b32 s0, exec_lo
	v_cmpx_nlg_f64_e32 v[19:20], v[37:38]
	s_cbranch_execz .LBB756_315
; %bb.317:                              ;   in Loop: Header=BB756_316 Depth=1
	s_add_u32 s20, s20, -1
	s_addc_u32 s21, s21, -1
	v_add_co_u32 v2, vcc_lo, v2, 8
	s_cmp_eq_u64 s[20:21], 0
	v_add_co_ci_u32_e32 v3, vcc_lo, 0, v3, vcc_lo
	v_add_co_u32 v6, vcc_lo, v6, 8
	s_cselect_b32 s1, -1, 0
	v_add_co_ci_u32_e32 v7, vcc_lo, 0, v7, vcc_lo
	s_and_not1_b32 s30, s30, exec_lo
	s_and_b32 s31, s33, exec_lo
	s_and_not1_b32 s28, s28, exec_lo
	s_and_b32 s1, s1, exec_lo
	s_or_b32 s30, s30, s31
	s_and_not1_b32 s29, s29, exec_lo
	s_or_b32 s28, s28, s1
                                        ; implicit-def: $sgpr31
	s_branch .LBB756_315
.LBB756_318:
	s_set_inst_prefetch_distance 0x2
	s_or_b32 exec_lo, exec_lo, s26
	s_xor_b32 s0, s27, -1
	s_and_not1_b32 s1, s23, exec_lo
	s_and_b32 s0, s0, exec_lo
	s_delay_alu instid0(SALU_CYCLE_1)
	s_or_b32 s23, s1, s0
.LBB756_319:
	s_or_b32 exec_lo, exec_lo, s25
	s_delay_alu instid0(SALU_CYCLE_1)
	s_or_not1_b32 s23, s23, exec_lo
.LBB756_320:
	s_or_b32 exec_lo, exec_lo, s24
	v_cndmask_b32_e64 v2, v9, v8, s23
	v_cndmask_b32_e64 v3, v16, v15, s23
	s_mov_b32 s24, exec_lo
	s_delay_alu instid0(VALU_DEP_2) | instskip(NEXT) | instid1(VALU_DEP_2)
	v_add_nc_u32_e32 v6, 1, v2
	v_add_nc_u32_e32 v2, -1, v3
	s_delay_alu instid0(VALU_DEP_2) | instskip(NEXT) | instid1(VALU_DEP_2)
	v_cndmask_b32_e64 v37, v6, v9, s23
	v_min_u32_e32 v2, v6, v2
	v_cndmask_b32_e64 v19, v8, v6, s23
	s_delay_alu instid0(VALU_DEP_2)
	v_lshlrev_b32_e32 v2, 3, v2
	ds_load_b64 v[2:3], v2
	s_waitcnt lgkmcnt(0)
	v_cndmask_b32_e64 v20, v3, v10, s23
	v_cndmask_b32_e64 v21, v2, v11, s23
	;; [unrolled: 1-line block ×4, first 2 shown]
	v_cmpx_lt_u32_e64 v37, v16
	s_cbranch_execz .LBB756_328
; %bb.321:
	v_cmp_lt_u32_e64 s22, v19, v15
	s_xor_b32 s0, s12, -1
	s_delay_alu instid0(VALU_DEP_1) | instid1(SALU_CYCLE_1)
	s_and_b32 s0, s22, s0
	s_delay_alu instid0(SALU_CYCLE_1)
	s_and_saveexec_b32 s25, s0
	s_cbranch_execz .LBB756_327
; %bb.322:
	v_mul_lo_u32 v8, v20, s8
	v_mul_lo_u32 v9, v21, s9
	v_mad_u64_u32 v[2:3], null, v21, s8, 0
	v_mul_lo_u32 v40, v38, s8
	v_mul_lo_u32 v41, v39, s9
	v_mad_u64_u32 v[6:7], null, v39, s8, 0
	s_mov_b32 s26, 0
	s_mov_b64 s[20:21], s[8:9]
	s_delay_alu instid0(VALU_DEP_4) | instskip(NEXT) | instid1(VALU_DEP_2)
	v_add3_u32 v3, v3, v9, v8
                                        ; implicit-def: $sgpr27
                                        ; implicit-def: $sgpr28
                                        ; implicit-def: $sgpr29
                                        ; implicit-def: $sgpr30
                                        ; implicit-def: $sgpr31
	v_add3_u32 v7, v7, v41, v40
	s_delay_alu instid0(VALU_DEP_2) | instskip(NEXT) | instid1(VALU_DEP_2)
	v_lshlrev_b64 v[2:3], 3, v[2:3]
	v_lshlrev_b64 v[6:7], 3, v[6:7]
	s_delay_alu instid0(VALU_DEP_2) | instskip(NEXT) | instid1(VALU_DEP_3)
	v_add_co_u32 v2, vcc_lo, s10, v2
	v_add_co_ci_u32_e32 v3, vcc_lo, s11, v3, vcc_lo
	s_delay_alu instid0(VALU_DEP_3) | instskip(NEXT) | instid1(VALU_DEP_4)
	v_add_co_u32 v6, vcc_lo, s10, v6
	v_add_co_ci_u32_e32 v7, vcc_lo, s11, v7, vcc_lo
	s_set_inst_prefetch_distance 0x1
	s_branch .LBB756_324
	.p2align	6
.LBB756_323:                            ;   in Loop: Header=BB756_324 Depth=1
	s_or_b32 exec_lo, exec_lo, s0
	s_delay_alu instid0(SALU_CYCLE_1) | instskip(NEXT) | instid1(SALU_CYCLE_1)
	s_and_b32 s0, exec_lo, s28
	s_or_b32 s26, s0, s26
	s_and_not1_b32 s0, s31, exec_lo
	s_and_b32 s1, s30, exec_lo
	s_and_not1_b32 s27, s27, exec_lo
	s_and_b32 s33, s29, exec_lo
	s_or_b32 s31, s0, s1
	s_or_b32 s27, s27, s33
	s_and_not1_b32 exec_lo, exec_lo, s26
	s_cbranch_execz .LBB756_326
.LBB756_324:                            ; =>This Inner Loop Header: Depth=1
	global_load_b64 v[8:9], v[2:3], off
	global_load_b64 v[40:41], v[6:7], off
	s_and_not1_b32 s30, s30, exec_lo
	s_or_b32 s28, s28, exec_lo
	s_waitcnt vmcnt(0)
	v_cmp_ngt_f64_e32 vcc_lo, v[8:9], v[40:41]
	v_cmp_lt_f64_e64 s0, v[8:9], v[40:41]
	s_and_b32 s33, vcc_lo, s31
	s_delay_alu instid0(VALU_DEP_1) | instid1(SALU_CYCLE_1)
	s_or_b32 s33, s0, s33
	s_and_not1_b32 s0, s29, exec_lo
	s_and_b32 s29, s33, exec_lo
	s_delay_alu instid0(SALU_CYCLE_1)
	s_or_b32 s29, s0, s29
	s_mov_b32 s0, exec_lo
	v_cmpx_nlg_f64_e32 v[8:9], v[40:41]
	s_cbranch_execz .LBB756_323
; %bb.325:                              ;   in Loop: Header=BB756_324 Depth=1
	s_add_u32 s20, s20, -1
	s_addc_u32 s21, s21, -1
	v_add_co_u32 v2, vcc_lo, v2, 8
	s_cmp_eq_u64 s[20:21], 0
	v_add_co_ci_u32_e32 v3, vcc_lo, 0, v3, vcc_lo
	v_add_co_u32 v6, vcc_lo, v6, 8
	s_cselect_b32 s1, -1, 0
	v_add_co_ci_u32_e32 v7, vcc_lo, 0, v7, vcc_lo
	s_and_not1_b32 s30, s30, exec_lo
	s_and_b32 s31, s33, exec_lo
	s_and_not1_b32 s28, s28, exec_lo
	s_and_b32 s1, s1, exec_lo
	s_or_b32 s30, s30, s31
	s_and_not1_b32 s29, s29, exec_lo
	s_or_b32 s28, s28, s1
                                        ; implicit-def: $sgpr31
	s_branch .LBB756_323
.LBB756_326:
	s_set_inst_prefetch_distance 0x2
	s_or_b32 exec_lo, exec_lo, s26
	s_xor_b32 s0, s27, -1
	s_and_not1_b32 s1, s22, exec_lo
	s_and_b32 s0, s0, exec_lo
	s_delay_alu instid0(SALU_CYCLE_1)
	s_or_b32 s22, s1, s0
.LBB756_327:
	s_or_b32 exec_lo, exec_lo, s25
	s_delay_alu instid0(SALU_CYCLE_1)
	s_or_not1_b32 s22, s22, exec_lo
.LBB756_328:
	s_or_b32 exec_lo, exec_lo, s24
	v_cndmask_b32_e64 v2, v37, v19, s22
	v_cndmask_b32_e64 v3, v16, v15, s22
	;; [unrolled: 1-line block ×5, first 2 shown]
	v_add_nc_u32_e32 v40, 1, v2
	v_add_nc_u32_e32 v2, -1, v3
	v_cndmask_b32_e64 v3, v10, v17, s23
	v_cndmask_b32_e64 v4, v21, v39, s22
	s_mov_b32 s19, exec_lo
	v_cndmask_b32_e64 v10, v40, v37, s22
	v_min_u32_e32 v2, v40, v2
	s_delay_alu instid0(VALU_DEP_1)
	v_lshlrev_b32_e32 v2, 3, v2
	ds_load_b64 v[8:9], v2
	v_cndmask_b32_e64 v2, v11, v18, s23
	s_waitcnt lgkmcnt(0)
	v_cndmask_b32_e64 v7, v38, v9, s22
	v_cndmask_b32_e64 v6, v39, v8, s22
	v_cmpx_lt_u32_e64 v10, v16
	s_cbranch_execz .LBB756_336
; %bb.329:
	v_cndmask_b32_e64 v10, v19, v40, s22
	v_cndmask_b32_e64 v16, v9, v20, s22
	;; [unrolled: 1-line block ×3, first 2 shown]
	s_delay_alu instid0(VALU_DEP_3) | instskip(NEXT) | instid1(VALU_DEP_2)
	v_cmp_ge_u32_e32 vcc_lo, v10, v15
	v_dual_cndmask_b32 v9, v7, v16 :: v_dual_cndmask_b32 v8, v6, v17
	s_or_b32 s0, vcc_lo, s12
	s_delay_alu instid0(SALU_CYCLE_1) | instskip(NEXT) | instid1(SALU_CYCLE_1)
	s_xor_b32 s0, s0, -1
	s_and_saveexec_b32 s22, s0
	s_cbranch_execz .LBB756_335
; %bb.330:
	v_mul_lo_u32 v15, v16, s8
	v_mul_lo_u32 v18, v17, s9
	v_mad_u64_u32 v[8:9], null, v17, s8, 0
	v_mul_lo_u32 v19, v7, s8
	v_mul_lo_u32 v20, v6, s9
	v_mad_u64_u32 v[10:11], null, v6, s8, 0
	s_mov_b32 s23, 0
	s_mov_b64 s[20:21], s[8:9]
	s_delay_alu instid0(VALU_DEP_4) | instskip(NEXT) | instid1(VALU_DEP_2)
	v_add3_u32 v9, v9, v18, v15
                                        ; implicit-def: $sgpr24
                                        ; implicit-def: $sgpr25
                                        ; implicit-def: $sgpr26
                                        ; implicit-def: $sgpr27
                                        ; implicit-def: $sgpr28
	v_add3_u32 v11, v11, v20, v19
	s_delay_alu instid0(VALU_DEP_2) | instskip(NEXT) | instid1(VALU_DEP_2)
	v_lshlrev_b64 v[8:9], 3, v[8:9]
	v_lshlrev_b64 v[10:11], 3, v[10:11]
	s_delay_alu instid0(VALU_DEP_2) | instskip(NEXT) | instid1(VALU_DEP_3)
	v_add_co_u32 v8, vcc_lo, s10, v8
	v_add_co_ci_u32_e32 v9, vcc_lo, s11, v9, vcc_lo
	s_delay_alu instid0(VALU_DEP_3) | instskip(NEXT) | instid1(VALU_DEP_4)
	v_add_co_u32 v10, vcc_lo, s10, v10
	v_add_co_ci_u32_e32 v11, vcc_lo, s11, v11, vcc_lo
	s_set_inst_prefetch_distance 0x1
	s_branch .LBB756_332
	.p2align	6
.LBB756_331:                            ;   in Loop: Header=BB756_332 Depth=1
	s_or_b32 exec_lo, exec_lo, s0
	s_delay_alu instid0(SALU_CYCLE_1) | instskip(NEXT) | instid1(SALU_CYCLE_1)
	s_and_b32 s0, exec_lo, s25
	s_or_b32 s23, s0, s23
	s_and_not1_b32 s0, s28, exec_lo
	s_and_b32 s1, s27, exec_lo
	s_and_not1_b32 s24, s24, exec_lo
	s_and_b32 s29, s26, exec_lo
	s_or_b32 s28, s0, s1
	s_or_b32 s24, s24, s29
	s_and_not1_b32 exec_lo, exec_lo, s23
	s_cbranch_execz .LBB756_334
.LBB756_332:                            ; =>This Inner Loop Header: Depth=1
	global_load_b64 v[18:19], v[8:9], off
	global_load_b64 v[20:21], v[10:11], off
	s_and_not1_b32 s27, s27, exec_lo
	s_or_b32 s25, s25, exec_lo
	s_waitcnt vmcnt(0)
	v_cmp_ngt_f64_e32 vcc_lo, v[18:19], v[20:21]
	v_cmp_lt_f64_e64 s0, v[18:19], v[20:21]
	s_and_b32 s29, vcc_lo, s28
	s_delay_alu instid0(VALU_DEP_1) | instid1(SALU_CYCLE_1)
	s_or_b32 s29, s0, s29
	s_and_not1_b32 s0, s26, exec_lo
	s_and_b32 s26, s29, exec_lo
	s_delay_alu instid0(SALU_CYCLE_1)
	s_or_b32 s26, s0, s26
	s_mov_b32 s0, exec_lo
	v_cmpx_nlg_f64_e32 v[18:19], v[20:21]
	s_cbranch_execz .LBB756_331
; %bb.333:                              ;   in Loop: Header=BB756_332 Depth=1
	s_add_u32 s20, s20, -1
	s_addc_u32 s21, s21, -1
	v_add_co_u32 v8, vcc_lo, v8, 8
	s_cmp_eq_u64 s[20:21], 0
	v_add_co_ci_u32_e32 v9, vcc_lo, 0, v9, vcc_lo
	v_add_co_u32 v10, vcc_lo, v10, 8
	s_cselect_b32 s1, -1, 0
	v_add_co_ci_u32_e32 v11, vcc_lo, 0, v11, vcc_lo
	s_and_not1_b32 s27, s27, exec_lo
	s_and_b32 s28, s29, exec_lo
	s_and_not1_b32 s25, s25, exec_lo
	s_and_b32 s1, s1, exec_lo
	s_or_b32 s27, s27, s28
	s_and_not1_b32 s26, s26, exec_lo
	s_or_b32 s25, s25, s1
                                        ; implicit-def: $sgpr28
	s_branch .LBB756_331
.LBB756_334:
	s_set_inst_prefetch_distance 0x2
	s_or_b32 exec_lo, exec_lo, s23
	v_cndmask_b32_e64 v9, v7, v16, s24
	v_cndmask_b32_e64 v8, v6, v17, s24
.LBB756_335:
	s_or_b32 exec_lo, exec_lo, s22
	s_delay_alu instid0(VALU_DEP_1)
	v_dual_mov_b32 v6, v8 :: v_dual_mov_b32 v7, v9
.LBB756_336:
	s_or_b32 exec_lo, exec_lo, s19
.LBB756_337:
	s_delay_alu instid0(SALU_CYCLE_1) | instskip(SKIP_4) | instid1(VALU_DEP_2)
	s_or_b32 exec_lo, exec_lo, s17
	v_and_b32_e32 v19, 0xe00, v23
	v_and_b32_e32 v20, 0x1fc, v23
	s_mov_b32 s17, exec_lo
	s_barrier
	v_or_b32_e32 v8, 0x100, v19
	v_lshlrev_b32_e32 v18, 3, v19
	buffer_gl0_inv
	ds_store_b128 v14, v[0:3]
	ds_store_b128 v14, v[4:7] offset:16
	s_waitcnt lgkmcnt(0)
	v_min_u32_e32 v9, 0x300, v8
	v_min_u32_e32 v15, 0x400, v8
	s_barrier
	buffer_gl0_inv
	v_add_nc_u32_e32 v16, 0x100, v9
	v_sub_nc_u32_e32 v8, v15, v19
	s_delay_alu instid0(VALU_DEP_2) | instskip(NEXT) | instid1(VALU_DEP_2)
	v_sub_nc_u32_e32 v9, v16, v15
	v_min_u32_e32 v21, v20, v8
	s_delay_alu instid0(VALU_DEP_2) | instskip(NEXT) | instid1(VALU_DEP_1)
	v_sub_nc_u32_e64 v17, v20, v9 clamp
	v_cmpx_lt_u32_e64 v17, v21
	s_cbranch_execz .LBB756_347
; %bb.338:
	v_lshlrev_b32_e32 v8, 3, v20
	s_lshl_b64 s[20:21], s[8:9], 3
	s_mov_b32 s19, 0
	s_delay_alu instid0(VALU_DEP_1)
	v_lshl_add_u32 v37, v15, 3, v8
	s_branch .LBB756_341
.LBB756_339:                            ;   in Loop: Header=BB756_341 Depth=1
	s_set_inst_prefetch_distance 0x2
	s_or_b32 exec_lo, exec_lo, s24
.LBB756_340:                            ;   in Loop: Header=BB756_341 Depth=1
	s_delay_alu instid0(VALU_DEP_1) | instskip(SKIP_1) | instid1(VALU_DEP_2)
	v_add_nc_u32_e32 v8, 1, v38
	v_cndmask_b32_e64 v21, v21, v38, s25
	v_cndmask_b32_e64 v17, v8, v17, s25
	s_delay_alu instid0(VALU_DEP_1) | instskip(SKIP_1) | instid1(SALU_CYCLE_1)
	v_cmp_ge_u32_e32 vcc_lo, v17, v21
	s_or_b32 s19, vcc_lo, s19
	s_and_not1_b32 exec_lo, exec_lo, s19
	s_cbranch_execz .LBB756_346
.LBB756_341:                            ; =>This Loop Header: Depth=1
                                        ;     Child Loop BB756_344 Depth 2
	v_add_nc_u32_e32 v8, v21, v17
	v_cmp_ne_u32_e32 vcc_lo, 1, v36
	s_mov_b32 s25, 0
	s_delay_alu instid0(VALU_DEP_2)
	v_lshrrev_b32_e32 v38, 1, v8
	s_cbranch_vccnz .LBB756_340
; %bb.342:                              ;   in Loop: Header=BB756_341 Depth=1
	s_delay_alu instid0(VALU_DEP_1) | instskip(SKIP_3) | instid1(VALU_DEP_2)
	v_not_b32_e32 v8, v38
	v_lshl_add_u32 v9, v38, 3, v18
	s_mov_b32 s24, 0
	s_mov_b64 s[22:23], s[8:9]
                                        ; implicit-def: $sgpr25
                                        ; implicit-def: $sgpr26
                                        ; implicit-def: $sgpr27
                                        ; implicit-def: $sgpr28
                                        ; implicit-def: $sgpr29
	v_lshl_add_u32 v8, v8, 3, v37
	ds_load_b64 v[10:11], v8
	ds_load_b64 v[39:40], v9
	s_waitcnt lgkmcnt(1)
	v_mul_lo_u32 v41, s20, v11
	v_mul_lo_u32 v42, s21, v10
	v_mad_u64_u32 v[8:9], null, s20, v10, s[10:11]
	s_waitcnt lgkmcnt(0)
	v_mul_lo_u32 v40, s20, v40
	v_mul_lo_u32 v43, s21, v39
	v_mad_u64_u32 v[10:11], null, s20, v39, s[10:11]
	s_delay_alu instid0(VALU_DEP_4) | instskip(NEXT) | instid1(VALU_DEP_2)
	v_add3_u32 v9, v42, v9, v41
	v_add3_u32 v11, v43, v11, v40
	s_set_inst_prefetch_distance 0x1
	s_branch .LBB756_344
	.p2align	6
.LBB756_343:                            ;   in Loop: Header=BB756_344 Depth=2
	s_or_b32 exec_lo, exec_lo, s30
	s_delay_alu instid0(SALU_CYCLE_1) | instskip(NEXT) | instid1(SALU_CYCLE_1)
	s_and_b32 s0, exec_lo, s26
	s_or_b32 s24, s0, s24
	s_and_not1_b32 s0, s29, exec_lo
	s_and_b32 s1, s27, exec_lo
	s_and_not1_b32 s25, s25, exec_lo
	s_and_b32 s30, s28, exec_lo
	s_or_b32 s29, s0, s1
	s_or_b32 s25, s25, s30
	s_and_not1_b32 exec_lo, exec_lo, s24
	s_cbranch_execz .LBB756_339
.LBB756_344:                            ;   Parent Loop BB756_341 Depth=1
                                        ; =>  This Inner Loop Header: Depth=2
	global_load_b64 v[39:40], v[8:9], off
	global_load_b64 v[41:42], v[10:11], off
	s_and_not1_b32 s28, s28, exec_lo
	s_and_not1_b32 s27, s27, exec_lo
	s_or_b32 s26, s26, exec_lo
	s_waitcnt vmcnt(0)
	v_cmp_ngt_f64_e32 vcc_lo, v[39:40], v[41:42]
	v_cmp_lt_f64_e64 s0, v[39:40], v[41:42]
	s_and_b32 s30, vcc_lo, s29
	s_delay_alu instid0(VALU_DEP_1) | instid1(SALU_CYCLE_1)
	s_or_b32 s0, s0, s30
	s_delay_alu instid0(SALU_CYCLE_1) | instskip(NEXT) | instid1(SALU_CYCLE_1)
	s_and_b32 s30, s0, exec_lo
	s_or_b32 s28, s28, s30
	s_mov_b32 s30, exec_lo
	v_cmpx_nlg_f64_e32 v[39:40], v[41:42]
	s_cbranch_execz .LBB756_343
; %bb.345:                              ;   in Loop: Header=BB756_344 Depth=2
	s_add_u32 s22, s22, -1
	s_addc_u32 s23, s23, -1
	v_add_co_u32 v8, vcc_lo, v8, 8
	v_add_co_ci_u32_e32 v9, vcc_lo, 0, v9, vcc_lo
	s_cmp_eq_u64 s[22:23], 0
	v_add_co_u32 v10, vcc_lo, v10, 8
	s_cselect_b32 s1, -1, 0
	v_add_co_ci_u32_e32 v11, vcc_lo, 0, v11, vcc_lo
	s_and_not1_b32 s27, s27, exec_lo
	s_and_b32 s0, s0, exec_lo
	s_and_not1_b32 s26, s26, exec_lo
	s_and_b32 s1, s1, exec_lo
	s_and_not1_b32 s28, s28, exec_lo
	s_or_b32 s27, s27, s0
	s_or_b32 s26, s26, s1
                                        ; implicit-def: $sgpr29
	s_branch .LBB756_343
.LBB756_346:
	s_or_b32 exec_lo, exec_lo, s19
.LBB756_347:
	s_delay_alu instid0(SALU_CYCLE_1) | instskip(SKIP_2) | instid1(VALU_DEP_2)
	s_or_b32 exec_lo, exec_lo, s17
	v_sub_nc_u32_e32 v9, v20, v17
	v_add_nc_u32_e32 v8, v17, v19
	v_add_nc_u32_e32 v9, v9, v15
	s_delay_alu instid0(VALU_DEP_2) | instskip(NEXT) | instid1(VALU_DEP_2)
	v_cmp_le_u32_e32 vcc_lo, v8, v15
	v_cmp_le_u32_e64 s0, v9, v16
	s_delay_alu instid0(VALU_DEP_1) | instskip(NEXT) | instid1(SALU_CYCLE_1)
	s_or_b32 s0, vcc_lo, s0
	s_and_saveexec_b32 s17, s0
	s_cbranch_execz .LBB756_383
; %bb.348:
	v_cmp_ge_u32_e32 vcc_lo, v8, v15
	s_mov_b32 s1, exec_lo
                                        ; implicit-def: $vgpr0_vgpr1
	v_cmpx_lt_u32_e64 v8, v15
	s_cbranch_execz .LBB756_350
; %bb.349:
	v_lshl_add_u32 v0, v17, 3, v18
	ds_load_b64 v[0:1], v0
.LBB756_350:
	s_or_b32 exec_lo, exec_lo, s1
	v_cmp_ge_u32_e64 s0, v9, v16
	s_mov_b32 s19, exec_lo
                                        ; implicit-def: $vgpr4_vgpr5
	v_cmpx_lt_u32_e64 v9, v16
	s_cbranch_execz .LBB756_352
; %bb.351:
	v_lshlrev_b32_e32 v2, 3, v9
	ds_load_b64 v[4:5], v2
.LBB756_352:
	s_or_b32 exec_lo, exec_lo, s19
	s_or_b32 s1, vcc_lo, s0
	s_xor_b32 s19, vcc_lo, -1
	s_or_b32 s1, s1, s12
	s_or_b32 s19, s0, s19
	s_xor_b32 s1, s1, -1
	s_delay_alu instid0(SALU_CYCLE_1)
	s_and_saveexec_b32 s22, s1
	s_cbranch_execz .LBB756_358
; %bb.353:
	s_waitcnt lgkmcnt(0)
	v_mul_lo_u32 v10, v5, s8
	v_mul_lo_u32 v11, v4, s9
	v_mad_u64_u32 v[2:3], null, v4, s8, 0
	v_mul_lo_u32 v17, v1, s8
	v_mul_lo_u32 v18, v0, s9
	v_mad_u64_u32 v[6:7], null, v0, s8, 0
	s_mov_b32 s23, 0
	s_mov_b64 s[20:21], s[8:9]
	s_delay_alu instid0(VALU_DEP_4) | instskip(NEXT) | instid1(VALU_DEP_2)
	v_add3_u32 v3, v3, v11, v10
                                        ; implicit-def: $sgpr24
                                        ; implicit-def: $sgpr25
                                        ; implicit-def: $sgpr26
                                        ; implicit-def: $sgpr27
                                        ; implicit-def: $sgpr28
	v_add3_u32 v7, v7, v18, v17
	s_delay_alu instid0(VALU_DEP_2) | instskip(NEXT) | instid1(VALU_DEP_2)
	v_lshlrev_b64 v[2:3], 3, v[2:3]
	v_lshlrev_b64 v[6:7], 3, v[6:7]
	s_delay_alu instid0(VALU_DEP_2) | instskip(NEXT) | instid1(VALU_DEP_3)
	v_add_co_u32 v2, vcc_lo, s10, v2
	v_add_co_ci_u32_e32 v3, vcc_lo, s11, v3, vcc_lo
	s_delay_alu instid0(VALU_DEP_3) | instskip(NEXT) | instid1(VALU_DEP_4)
	v_add_co_u32 v6, vcc_lo, s10, v6
	v_add_co_ci_u32_e32 v7, vcc_lo, s11, v7, vcc_lo
	s_set_inst_prefetch_distance 0x1
	s_branch .LBB756_355
	.p2align	6
.LBB756_354:                            ;   in Loop: Header=BB756_355 Depth=1
	s_or_b32 exec_lo, exec_lo, s0
	s_delay_alu instid0(SALU_CYCLE_1) | instskip(NEXT) | instid1(SALU_CYCLE_1)
	s_and_b32 s0, exec_lo, s25
	s_or_b32 s23, s0, s23
	s_and_not1_b32 s0, s28, exec_lo
	s_and_b32 s1, s27, exec_lo
	s_and_not1_b32 s24, s24, exec_lo
	s_and_b32 s29, s26, exec_lo
	s_or_b32 s28, s0, s1
	s_or_b32 s24, s24, s29
	s_and_not1_b32 exec_lo, exec_lo, s23
	s_cbranch_execz .LBB756_357
.LBB756_355:                            ; =>This Inner Loop Header: Depth=1
	global_load_b64 v[10:11], v[2:3], off
	global_load_b64 v[17:18], v[6:7], off
	s_and_not1_b32 s27, s27, exec_lo
	s_or_b32 s25, s25, exec_lo
	s_waitcnt vmcnt(0)
	v_cmp_ngt_f64_e32 vcc_lo, v[10:11], v[17:18]
	v_cmp_lt_f64_e64 s0, v[10:11], v[17:18]
	s_and_b32 s29, vcc_lo, s28
	s_delay_alu instid0(VALU_DEP_1) | instid1(SALU_CYCLE_1)
	s_or_b32 s29, s0, s29
	s_and_not1_b32 s0, s26, exec_lo
	s_and_b32 s26, s29, exec_lo
	s_delay_alu instid0(SALU_CYCLE_1)
	s_or_b32 s26, s0, s26
	s_mov_b32 s0, exec_lo
	v_cmpx_nlg_f64_e32 v[10:11], v[17:18]
	s_cbranch_execz .LBB756_354
; %bb.356:                              ;   in Loop: Header=BB756_355 Depth=1
	s_add_u32 s20, s20, -1
	s_addc_u32 s21, s21, -1
	v_add_co_u32 v2, vcc_lo, v2, 8
	s_cmp_eq_u64 s[20:21], 0
	v_add_co_ci_u32_e32 v3, vcc_lo, 0, v3, vcc_lo
	v_add_co_u32 v6, vcc_lo, v6, 8
	s_cselect_b32 s1, -1, 0
	v_add_co_ci_u32_e32 v7, vcc_lo, 0, v7, vcc_lo
	s_and_not1_b32 s27, s27, exec_lo
	s_and_b32 s28, s29, exec_lo
	s_and_not1_b32 s25, s25, exec_lo
	s_and_b32 s1, s1, exec_lo
	s_or_b32 s27, s27, s28
	s_and_not1_b32 s26, s26, exec_lo
	s_or_b32 s25, s25, s1
                                        ; implicit-def: $sgpr28
	s_branch .LBB756_354
.LBB756_357:
	s_set_inst_prefetch_distance 0x2
	s_or_b32 exec_lo, exec_lo, s23
	s_xor_b32 s0, s24, -1
	s_and_not1_b32 s1, s19, exec_lo
	s_and_b32 s0, s0, exec_lo
	s_delay_alu instid0(SALU_CYCLE_1)
	s_or_b32 s19, s1, s0
.LBB756_358:
	s_or_b32 exec_lo, exec_lo, s22
	v_cndmask_b32_e64 v2, v9, v8, s19
	v_cndmask_b32_e64 v3, v16, v15, s19
	s_mov_b32 s22, -1
	s_mov_b32 s23, -1
	s_mov_b32 s24, exec_lo
	v_add_nc_u32_e32 v6, 1, v2
	v_add_nc_u32_e32 v2, -1, v3
	s_delay_alu instid0(VALU_DEP_2) | instskip(NEXT) | instid1(VALU_DEP_2)
	v_cndmask_b32_e64 v9, v6, v9, s19
	v_min_u32_e32 v2, v6, v2
	v_cndmask_b32_e64 v8, v8, v6, s19
	s_delay_alu instid0(VALU_DEP_2)
	v_lshlrev_b32_e32 v2, 3, v2
	ds_load_b64 v[2:3], v2
	s_waitcnt lgkmcnt(0)
	v_cndmask_b32_e64 v10, v3, v5, s19
	v_cndmask_b32_e64 v11, v2, v4, s19
	;; [unrolled: 1-line block ×4, first 2 shown]
	v_cmpx_lt_u32_e64 v9, v16
	s_cbranch_execz .LBB756_366
; %bb.359:
	v_cmp_lt_u32_e64 s23, v8, v15
	s_xor_b32 s0, s12, -1
	s_delay_alu instid0(VALU_DEP_1) | instid1(SALU_CYCLE_1)
	s_and_b32 s0, s23, s0
	s_delay_alu instid0(SALU_CYCLE_1)
	s_and_saveexec_b32 s25, s0
	s_cbranch_execz .LBB756_365
; %bb.360:
	v_mul_lo_u32 v19, v10, s8
	v_mul_lo_u32 v20, v11, s9
	v_mad_u64_u32 v[2:3], null, v11, s8, 0
	v_mul_lo_u32 v21, v17, s8
	v_mul_lo_u32 v37, v18, s9
	v_mad_u64_u32 v[6:7], null, v18, s8, 0
	s_mov_b32 s26, 0
	s_mov_b64 s[20:21], s[8:9]
	s_delay_alu instid0(VALU_DEP_4) | instskip(NEXT) | instid1(VALU_DEP_2)
	v_add3_u32 v3, v3, v20, v19
                                        ; implicit-def: $sgpr27
                                        ; implicit-def: $sgpr28
                                        ; implicit-def: $sgpr29
                                        ; implicit-def: $sgpr30
                                        ; implicit-def: $sgpr31
	v_add3_u32 v7, v7, v37, v21
	s_delay_alu instid0(VALU_DEP_2) | instskip(NEXT) | instid1(VALU_DEP_2)
	v_lshlrev_b64 v[2:3], 3, v[2:3]
	v_lshlrev_b64 v[6:7], 3, v[6:7]
	s_delay_alu instid0(VALU_DEP_2) | instskip(NEXT) | instid1(VALU_DEP_3)
	v_add_co_u32 v2, vcc_lo, s10, v2
	v_add_co_ci_u32_e32 v3, vcc_lo, s11, v3, vcc_lo
	s_delay_alu instid0(VALU_DEP_3) | instskip(NEXT) | instid1(VALU_DEP_4)
	v_add_co_u32 v6, vcc_lo, s10, v6
	v_add_co_ci_u32_e32 v7, vcc_lo, s11, v7, vcc_lo
	s_set_inst_prefetch_distance 0x1
	s_branch .LBB756_362
	.p2align	6
.LBB756_361:                            ;   in Loop: Header=BB756_362 Depth=1
	s_or_b32 exec_lo, exec_lo, s0
	s_delay_alu instid0(SALU_CYCLE_1) | instskip(NEXT) | instid1(SALU_CYCLE_1)
	s_and_b32 s0, exec_lo, s28
	s_or_b32 s26, s0, s26
	s_and_not1_b32 s0, s31, exec_lo
	s_and_b32 s1, s30, exec_lo
	s_and_not1_b32 s27, s27, exec_lo
	s_and_b32 s33, s29, exec_lo
	s_or_b32 s31, s0, s1
	s_or_b32 s27, s27, s33
	s_and_not1_b32 exec_lo, exec_lo, s26
	s_cbranch_execz .LBB756_364
.LBB756_362:                            ; =>This Inner Loop Header: Depth=1
	global_load_b64 v[19:20], v[2:3], off
	global_load_b64 v[37:38], v[6:7], off
	s_and_not1_b32 s30, s30, exec_lo
	s_or_b32 s28, s28, exec_lo
	s_waitcnt vmcnt(0)
	v_cmp_ngt_f64_e32 vcc_lo, v[19:20], v[37:38]
	v_cmp_lt_f64_e64 s0, v[19:20], v[37:38]
	s_and_b32 s33, vcc_lo, s31
	s_delay_alu instid0(VALU_DEP_1) | instid1(SALU_CYCLE_1)
	s_or_b32 s33, s0, s33
	s_and_not1_b32 s0, s29, exec_lo
	s_and_b32 s29, s33, exec_lo
	s_delay_alu instid0(SALU_CYCLE_1)
	s_or_b32 s29, s0, s29
	s_mov_b32 s0, exec_lo
	v_cmpx_nlg_f64_e32 v[19:20], v[37:38]
	s_cbranch_execz .LBB756_361
; %bb.363:                              ;   in Loop: Header=BB756_362 Depth=1
	s_add_u32 s20, s20, -1
	s_addc_u32 s21, s21, -1
	v_add_co_u32 v2, vcc_lo, v2, 8
	s_cmp_eq_u64 s[20:21], 0
	v_add_co_ci_u32_e32 v3, vcc_lo, 0, v3, vcc_lo
	v_add_co_u32 v6, vcc_lo, v6, 8
	s_cselect_b32 s1, -1, 0
	v_add_co_ci_u32_e32 v7, vcc_lo, 0, v7, vcc_lo
	s_and_not1_b32 s30, s30, exec_lo
	s_and_b32 s31, s33, exec_lo
	s_and_not1_b32 s28, s28, exec_lo
	s_and_b32 s1, s1, exec_lo
	s_or_b32 s30, s30, s31
	s_and_not1_b32 s29, s29, exec_lo
	s_or_b32 s28, s28, s1
                                        ; implicit-def: $sgpr31
	s_branch .LBB756_361
.LBB756_364:
	s_set_inst_prefetch_distance 0x2
	s_or_b32 exec_lo, exec_lo, s26
	s_xor_b32 s0, s27, -1
	s_and_not1_b32 s1, s23, exec_lo
	s_and_b32 s0, s0, exec_lo
	s_delay_alu instid0(SALU_CYCLE_1)
	s_or_b32 s23, s1, s0
.LBB756_365:
	s_or_b32 exec_lo, exec_lo, s25
	s_delay_alu instid0(SALU_CYCLE_1)
	s_or_not1_b32 s23, s23, exec_lo
.LBB756_366:
	s_or_b32 exec_lo, exec_lo, s24
	v_cndmask_b32_e64 v2, v9, v8, s23
	v_cndmask_b32_e64 v3, v16, v15, s23
	s_mov_b32 s24, exec_lo
	s_delay_alu instid0(VALU_DEP_2) | instskip(NEXT) | instid1(VALU_DEP_2)
	v_add_nc_u32_e32 v6, 1, v2
	v_add_nc_u32_e32 v2, -1, v3
	s_delay_alu instid0(VALU_DEP_2) | instskip(NEXT) | instid1(VALU_DEP_2)
	v_cndmask_b32_e64 v37, v6, v9, s23
	v_min_u32_e32 v2, v6, v2
	v_cndmask_b32_e64 v19, v8, v6, s23
	s_delay_alu instid0(VALU_DEP_2)
	v_lshlrev_b32_e32 v2, 3, v2
	ds_load_b64 v[2:3], v2
	s_waitcnt lgkmcnt(0)
	v_cndmask_b32_e64 v20, v3, v10, s23
	v_cndmask_b32_e64 v21, v2, v11, s23
	;; [unrolled: 1-line block ×4, first 2 shown]
	v_cmpx_lt_u32_e64 v37, v16
	s_cbranch_execz .LBB756_374
; %bb.367:
	v_cmp_lt_u32_e64 s22, v19, v15
	s_xor_b32 s0, s12, -1
	s_delay_alu instid0(VALU_DEP_1) | instid1(SALU_CYCLE_1)
	s_and_b32 s0, s22, s0
	s_delay_alu instid0(SALU_CYCLE_1)
	s_and_saveexec_b32 s25, s0
	s_cbranch_execz .LBB756_373
; %bb.368:
	v_mul_lo_u32 v8, v20, s8
	v_mul_lo_u32 v9, v21, s9
	v_mad_u64_u32 v[2:3], null, v21, s8, 0
	v_mul_lo_u32 v40, v38, s8
	v_mul_lo_u32 v41, v39, s9
	v_mad_u64_u32 v[6:7], null, v39, s8, 0
	s_mov_b32 s26, 0
	s_mov_b64 s[20:21], s[8:9]
	s_delay_alu instid0(VALU_DEP_4) | instskip(NEXT) | instid1(VALU_DEP_2)
	v_add3_u32 v3, v3, v9, v8
                                        ; implicit-def: $sgpr27
                                        ; implicit-def: $sgpr28
                                        ; implicit-def: $sgpr29
                                        ; implicit-def: $sgpr30
                                        ; implicit-def: $sgpr31
	v_add3_u32 v7, v7, v41, v40
	s_delay_alu instid0(VALU_DEP_2) | instskip(NEXT) | instid1(VALU_DEP_2)
	v_lshlrev_b64 v[2:3], 3, v[2:3]
	v_lshlrev_b64 v[6:7], 3, v[6:7]
	s_delay_alu instid0(VALU_DEP_2) | instskip(NEXT) | instid1(VALU_DEP_3)
	v_add_co_u32 v2, vcc_lo, s10, v2
	v_add_co_ci_u32_e32 v3, vcc_lo, s11, v3, vcc_lo
	s_delay_alu instid0(VALU_DEP_3) | instskip(NEXT) | instid1(VALU_DEP_4)
	v_add_co_u32 v6, vcc_lo, s10, v6
	v_add_co_ci_u32_e32 v7, vcc_lo, s11, v7, vcc_lo
	s_set_inst_prefetch_distance 0x1
	s_branch .LBB756_370
	.p2align	6
.LBB756_369:                            ;   in Loop: Header=BB756_370 Depth=1
	s_or_b32 exec_lo, exec_lo, s0
	s_delay_alu instid0(SALU_CYCLE_1) | instskip(NEXT) | instid1(SALU_CYCLE_1)
	s_and_b32 s0, exec_lo, s28
	s_or_b32 s26, s0, s26
	s_and_not1_b32 s0, s31, exec_lo
	s_and_b32 s1, s30, exec_lo
	s_and_not1_b32 s27, s27, exec_lo
	s_and_b32 s33, s29, exec_lo
	s_or_b32 s31, s0, s1
	s_or_b32 s27, s27, s33
	s_and_not1_b32 exec_lo, exec_lo, s26
	s_cbranch_execz .LBB756_372
.LBB756_370:                            ; =>This Inner Loop Header: Depth=1
	global_load_b64 v[8:9], v[2:3], off
	global_load_b64 v[40:41], v[6:7], off
	s_and_not1_b32 s30, s30, exec_lo
	s_or_b32 s28, s28, exec_lo
	s_waitcnt vmcnt(0)
	v_cmp_ngt_f64_e32 vcc_lo, v[8:9], v[40:41]
	v_cmp_lt_f64_e64 s0, v[8:9], v[40:41]
	s_and_b32 s33, vcc_lo, s31
	s_delay_alu instid0(VALU_DEP_1) | instid1(SALU_CYCLE_1)
	s_or_b32 s33, s0, s33
	s_and_not1_b32 s0, s29, exec_lo
	s_and_b32 s29, s33, exec_lo
	s_delay_alu instid0(SALU_CYCLE_1)
	s_or_b32 s29, s0, s29
	s_mov_b32 s0, exec_lo
	v_cmpx_nlg_f64_e32 v[8:9], v[40:41]
	s_cbranch_execz .LBB756_369
; %bb.371:                              ;   in Loop: Header=BB756_370 Depth=1
	s_add_u32 s20, s20, -1
	s_addc_u32 s21, s21, -1
	v_add_co_u32 v2, vcc_lo, v2, 8
	s_cmp_eq_u64 s[20:21], 0
	v_add_co_ci_u32_e32 v3, vcc_lo, 0, v3, vcc_lo
	v_add_co_u32 v6, vcc_lo, v6, 8
	s_cselect_b32 s1, -1, 0
	v_add_co_ci_u32_e32 v7, vcc_lo, 0, v7, vcc_lo
	s_and_not1_b32 s30, s30, exec_lo
	s_and_b32 s31, s33, exec_lo
	s_and_not1_b32 s28, s28, exec_lo
	s_and_b32 s1, s1, exec_lo
	s_or_b32 s30, s30, s31
	s_and_not1_b32 s29, s29, exec_lo
	s_or_b32 s28, s28, s1
                                        ; implicit-def: $sgpr31
	s_branch .LBB756_369
.LBB756_372:
	s_set_inst_prefetch_distance 0x2
	s_or_b32 exec_lo, exec_lo, s26
	s_xor_b32 s0, s27, -1
	s_and_not1_b32 s1, s22, exec_lo
	s_and_b32 s0, s0, exec_lo
	s_delay_alu instid0(SALU_CYCLE_1)
	s_or_b32 s22, s1, s0
.LBB756_373:
	s_or_b32 exec_lo, exec_lo, s25
	s_delay_alu instid0(SALU_CYCLE_1)
	s_or_not1_b32 s22, s22, exec_lo
.LBB756_374:
	s_or_b32 exec_lo, exec_lo, s24
	v_cndmask_b32_e64 v2, v37, v19, s22
	v_cndmask_b32_e64 v3, v16, v15, s22
	;; [unrolled: 1-line block ×5, first 2 shown]
	v_add_nc_u32_e32 v40, 1, v2
	v_add_nc_u32_e32 v2, -1, v3
	v_cndmask_b32_e64 v3, v10, v17, s23
	v_cndmask_b32_e64 v4, v21, v39, s22
	s_mov_b32 s19, exec_lo
	v_cndmask_b32_e64 v10, v40, v37, s22
	v_min_u32_e32 v2, v40, v2
	s_delay_alu instid0(VALU_DEP_1)
	v_lshlrev_b32_e32 v2, 3, v2
	ds_load_b64 v[8:9], v2
	v_cndmask_b32_e64 v2, v11, v18, s23
	s_waitcnt lgkmcnt(0)
	v_cndmask_b32_e64 v7, v38, v9, s22
	v_cndmask_b32_e64 v6, v39, v8, s22
	v_cmpx_lt_u32_e64 v10, v16
	s_cbranch_execz .LBB756_382
; %bb.375:
	v_cndmask_b32_e64 v10, v19, v40, s22
	v_cndmask_b32_e64 v16, v9, v20, s22
	;; [unrolled: 1-line block ×3, first 2 shown]
	s_delay_alu instid0(VALU_DEP_3) | instskip(NEXT) | instid1(VALU_DEP_2)
	v_cmp_ge_u32_e32 vcc_lo, v10, v15
	v_dual_cndmask_b32 v9, v7, v16 :: v_dual_cndmask_b32 v8, v6, v17
	s_or_b32 s0, vcc_lo, s12
	s_delay_alu instid0(SALU_CYCLE_1) | instskip(NEXT) | instid1(SALU_CYCLE_1)
	s_xor_b32 s0, s0, -1
	s_and_saveexec_b32 s22, s0
	s_cbranch_execz .LBB756_381
; %bb.376:
	v_mul_lo_u32 v15, v16, s8
	v_mul_lo_u32 v18, v17, s9
	v_mad_u64_u32 v[8:9], null, v17, s8, 0
	v_mul_lo_u32 v19, v7, s8
	v_mul_lo_u32 v20, v6, s9
	v_mad_u64_u32 v[10:11], null, v6, s8, 0
	s_mov_b32 s23, 0
	s_mov_b64 s[20:21], s[8:9]
	s_delay_alu instid0(VALU_DEP_4) | instskip(NEXT) | instid1(VALU_DEP_2)
	v_add3_u32 v9, v9, v18, v15
                                        ; implicit-def: $sgpr24
                                        ; implicit-def: $sgpr25
                                        ; implicit-def: $sgpr26
                                        ; implicit-def: $sgpr27
                                        ; implicit-def: $sgpr28
	v_add3_u32 v11, v11, v20, v19
	s_delay_alu instid0(VALU_DEP_2) | instskip(NEXT) | instid1(VALU_DEP_2)
	v_lshlrev_b64 v[8:9], 3, v[8:9]
	v_lshlrev_b64 v[10:11], 3, v[10:11]
	s_delay_alu instid0(VALU_DEP_2) | instskip(NEXT) | instid1(VALU_DEP_3)
	v_add_co_u32 v8, vcc_lo, s10, v8
	v_add_co_ci_u32_e32 v9, vcc_lo, s11, v9, vcc_lo
	s_delay_alu instid0(VALU_DEP_3) | instskip(NEXT) | instid1(VALU_DEP_4)
	v_add_co_u32 v10, vcc_lo, s10, v10
	v_add_co_ci_u32_e32 v11, vcc_lo, s11, v11, vcc_lo
	s_set_inst_prefetch_distance 0x1
	s_branch .LBB756_378
	.p2align	6
.LBB756_377:                            ;   in Loop: Header=BB756_378 Depth=1
	s_or_b32 exec_lo, exec_lo, s0
	s_delay_alu instid0(SALU_CYCLE_1) | instskip(NEXT) | instid1(SALU_CYCLE_1)
	s_and_b32 s0, exec_lo, s25
	s_or_b32 s23, s0, s23
	s_and_not1_b32 s0, s28, exec_lo
	s_and_b32 s1, s27, exec_lo
	s_and_not1_b32 s24, s24, exec_lo
	s_and_b32 s29, s26, exec_lo
	s_or_b32 s28, s0, s1
	s_or_b32 s24, s24, s29
	s_and_not1_b32 exec_lo, exec_lo, s23
	s_cbranch_execz .LBB756_380
.LBB756_378:                            ; =>This Inner Loop Header: Depth=1
	global_load_b64 v[18:19], v[8:9], off
	global_load_b64 v[20:21], v[10:11], off
	s_and_not1_b32 s27, s27, exec_lo
	s_or_b32 s25, s25, exec_lo
	s_waitcnt vmcnt(0)
	v_cmp_ngt_f64_e32 vcc_lo, v[18:19], v[20:21]
	v_cmp_lt_f64_e64 s0, v[18:19], v[20:21]
	s_and_b32 s29, vcc_lo, s28
	s_delay_alu instid0(VALU_DEP_1) | instid1(SALU_CYCLE_1)
	s_or_b32 s29, s0, s29
	s_and_not1_b32 s0, s26, exec_lo
	s_and_b32 s26, s29, exec_lo
	s_delay_alu instid0(SALU_CYCLE_1)
	s_or_b32 s26, s0, s26
	s_mov_b32 s0, exec_lo
	v_cmpx_nlg_f64_e32 v[18:19], v[20:21]
	s_cbranch_execz .LBB756_377
; %bb.379:                              ;   in Loop: Header=BB756_378 Depth=1
	s_add_u32 s20, s20, -1
	s_addc_u32 s21, s21, -1
	v_add_co_u32 v8, vcc_lo, v8, 8
	s_cmp_eq_u64 s[20:21], 0
	v_add_co_ci_u32_e32 v9, vcc_lo, 0, v9, vcc_lo
	v_add_co_u32 v10, vcc_lo, v10, 8
	s_cselect_b32 s1, -1, 0
	v_add_co_ci_u32_e32 v11, vcc_lo, 0, v11, vcc_lo
	s_and_not1_b32 s27, s27, exec_lo
	s_and_b32 s28, s29, exec_lo
	s_and_not1_b32 s25, s25, exec_lo
	s_and_b32 s1, s1, exec_lo
	s_or_b32 s27, s27, s28
	s_and_not1_b32 s26, s26, exec_lo
	s_or_b32 s25, s25, s1
                                        ; implicit-def: $sgpr28
	s_branch .LBB756_377
.LBB756_380:
	s_set_inst_prefetch_distance 0x2
	s_or_b32 exec_lo, exec_lo, s23
	v_cndmask_b32_e64 v9, v7, v16, s24
	v_cndmask_b32_e64 v8, v6, v17, s24
.LBB756_381:
	s_or_b32 exec_lo, exec_lo, s22
	s_delay_alu instid0(VALU_DEP_1)
	v_dual_mov_b32 v6, v8 :: v_dual_mov_b32 v7, v9
.LBB756_382:
	s_or_b32 exec_lo, exec_lo, s19
.LBB756_383:
	s_delay_alu instid0(SALU_CYCLE_1) | instskip(SKIP_4) | instid1(VALU_DEP_2)
	s_or_b32 exec_lo, exec_lo, s17
	v_and_b32_e32 v18, 0xc00, v23
	v_and_b32_e32 v19, 0x3fc, v23
	s_mov_b32 s17, exec_lo
	s_barrier
	v_or_b32_e32 v8, 0x200, v18
	v_lshlrev_b32_e32 v17, 3, v18
	buffer_gl0_inv
	ds_store_b128 v14, v[0:3]
	ds_store_b128 v14, v[4:7] offset:16
	s_waitcnt lgkmcnt(0)
	v_min_u32_e32 v15, 0x400, v8
	s_barrier
	buffer_gl0_inv
	v_sub_nc_u32_e32 v8, 0x400, v15
	v_sub_nc_u32_e32 v9, v15, v18
	s_delay_alu instid0(VALU_DEP_2) | instskip(NEXT) | instid1(VALU_DEP_2)
	v_sub_nc_u32_e64 v16, v19, v8 clamp
	v_min_u32_e32 v20, v19, v9
	s_delay_alu instid0(VALU_DEP_1)
	v_cmpx_lt_u32_e64 v16, v20
	s_cbranch_execz .LBB756_393
; %bb.384:
	v_lshlrev_b32_e32 v8, 3, v19
	s_lshl_b64 s[20:21], s[8:9], 3
	s_mov_b32 s19, 0
	s_delay_alu instid0(VALU_DEP_1)
	v_lshl_add_u32 v14, v15, 3, v8
	s_branch .LBB756_387
.LBB756_385:                            ;   in Loop: Header=BB756_387 Depth=1
	s_set_inst_prefetch_distance 0x2
	s_or_b32 exec_lo, exec_lo, s24
.LBB756_386:                            ;   in Loop: Header=BB756_387 Depth=1
	s_delay_alu instid0(VALU_DEP_1) | instskip(SKIP_1) | instid1(VALU_DEP_2)
	v_add_nc_u32_e32 v8, 1, v21
	v_cndmask_b32_e64 v20, v20, v21, s25
	v_cndmask_b32_e64 v16, v8, v16, s25
	s_delay_alu instid0(VALU_DEP_1) | instskip(SKIP_1) | instid1(SALU_CYCLE_1)
	v_cmp_ge_u32_e32 vcc_lo, v16, v20
	s_or_b32 s19, vcc_lo, s19
	s_and_not1_b32 exec_lo, exec_lo, s19
	s_cbranch_execz .LBB756_392
.LBB756_387:                            ; =>This Loop Header: Depth=1
                                        ;     Child Loop BB756_390 Depth 2
	v_add_nc_u32_e32 v8, v20, v16
	v_cmp_ne_u32_e32 vcc_lo, 1, v36
	s_mov_b32 s25, 0
	s_delay_alu instid0(VALU_DEP_2)
	v_lshrrev_b32_e32 v21, 1, v8
	s_cbranch_vccnz .LBB756_386
; %bb.388:                              ;   in Loop: Header=BB756_387 Depth=1
	s_delay_alu instid0(VALU_DEP_1) | instskip(SKIP_3) | instid1(VALU_DEP_2)
	v_not_b32_e32 v8, v21
	v_lshl_add_u32 v9, v21, 3, v17
	s_mov_b32 s24, 0
	s_mov_b64 s[22:23], s[8:9]
                                        ; implicit-def: $sgpr25
                                        ; implicit-def: $sgpr26
                                        ; implicit-def: $sgpr27
                                        ; implicit-def: $sgpr28
                                        ; implicit-def: $sgpr29
	v_lshl_add_u32 v8, v8, 3, v14
	ds_load_b64 v[10:11], v8
	ds_load_b64 v[37:38], v9
	s_waitcnt lgkmcnt(1)
	v_mul_lo_u32 v39, s20, v11
	v_mul_lo_u32 v40, s21, v10
	v_mad_u64_u32 v[8:9], null, s20, v10, s[10:11]
	s_waitcnt lgkmcnt(0)
	v_mul_lo_u32 v38, s20, v38
	v_mul_lo_u32 v41, s21, v37
	v_mad_u64_u32 v[10:11], null, s20, v37, s[10:11]
	s_delay_alu instid0(VALU_DEP_4) | instskip(NEXT) | instid1(VALU_DEP_2)
	v_add3_u32 v9, v40, v9, v39
	v_add3_u32 v11, v41, v11, v38
	s_set_inst_prefetch_distance 0x1
	s_branch .LBB756_390
	.p2align	6
.LBB756_389:                            ;   in Loop: Header=BB756_390 Depth=2
	s_or_b32 exec_lo, exec_lo, s30
	s_delay_alu instid0(SALU_CYCLE_1) | instskip(NEXT) | instid1(SALU_CYCLE_1)
	s_and_b32 s0, exec_lo, s26
	s_or_b32 s24, s0, s24
	s_and_not1_b32 s0, s29, exec_lo
	s_and_b32 s1, s27, exec_lo
	s_and_not1_b32 s25, s25, exec_lo
	s_and_b32 s30, s28, exec_lo
	s_or_b32 s29, s0, s1
	s_or_b32 s25, s25, s30
	s_and_not1_b32 exec_lo, exec_lo, s24
	s_cbranch_execz .LBB756_385
.LBB756_390:                            ;   Parent Loop BB756_387 Depth=1
                                        ; =>  This Inner Loop Header: Depth=2
	global_load_b64 v[37:38], v[8:9], off
	global_load_b64 v[39:40], v[10:11], off
	s_and_not1_b32 s28, s28, exec_lo
	s_and_not1_b32 s27, s27, exec_lo
	s_or_b32 s26, s26, exec_lo
	s_waitcnt vmcnt(0)
	v_cmp_ngt_f64_e32 vcc_lo, v[37:38], v[39:40]
	v_cmp_lt_f64_e64 s0, v[37:38], v[39:40]
	s_and_b32 s30, vcc_lo, s29
	s_delay_alu instid0(VALU_DEP_1) | instid1(SALU_CYCLE_1)
	s_or_b32 s0, s0, s30
	s_delay_alu instid0(SALU_CYCLE_1) | instskip(NEXT) | instid1(SALU_CYCLE_1)
	s_and_b32 s30, s0, exec_lo
	s_or_b32 s28, s28, s30
	s_mov_b32 s30, exec_lo
	v_cmpx_nlg_f64_e32 v[37:38], v[39:40]
	s_cbranch_execz .LBB756_389
; %bb.391:                              ;   in Loop: Header=BB756_390 Depth=2
	s_add_u32 s22, s22, -1
	s_addc_u32 s23, s23, -1
	v_add_co_u32 v8, vcc_lo, v8, 8
	v_add_co_ci_u32_e32 v9, vcc_lo, 0, v9, vcc_lo
	s_cmp_eq_u64 s[22:23], 0
	v_add_co_u32 v10, vcc_lo, v10, 8
	s_cselect_b32 s1, -1, 0
	v_add_co_ci_u32_e32 v11, vcc_lo, 0, v11, vcc_lo
	s_and_not1_b32 s27, s27, exec_lo
	s_and_b32 s0, s0, exec_lo
	s_and_not1_b32 s26, s26, exec_lo
	s_and_b32 s1, s1, exec_lo
	s_and_not1_b32 s28, s28, exec_lo
	s_or_b32 s27, s27, s0
	s_or_b32 s26, s26, s1
                                        ; implicit-def: $sgpr29
	s_branch .LBB756_389
.LBB756_392:
	s_or_b32 exec_lo, exec_lo, s19
.LBB756_393:
	s_delay_alu instid0(SALU_CYCLE_1) | instskip(SKIP_2) | instid1(VALU_DEP_2)
	s_or_b32 exec_lo, exec_lo, s17
	v_sub_nc_u32_e32 v8, v19, v16
	v_add_nc_u32_e32 v9, v16, v18
	v_add_nc_u32_e32 v10, v8, v15
	s_delay_alu instid0(VALU_DEP_2) | instskip(NEXT) | instid1(VALU_DEP_2)
	v_cmp_le_u32_e32 vcc_lo, v9, v15
	v_cmp_gt_u32_e64 s0, 0x401, v10
	s_delay_alu instid0(VALU_DEP_1) | instskip(NEXT) | instid1(SALU_CYCLE_1)
	s_or_b32 s0, vcc_lo, s0
	s_and_saveexec_b32 s17, s0
	s_cbranch_execz .LBB756_429
; %bb.394:
	v_cmp_ge_u32_e32 vcc_lo, v9, v15
	s_mov_b32 s1, exec_lo
                                        ; implicit-def: $vgpr0_vgpr1
	v_cmpx_lt_u32_e64 v9, v15
	s_cbranch_execz .LBB756_396
; %bb.395:
	v_lshl_add_u32 v0, v16, 3, v17
	ds_load_b64 v[0:1], v0
.LBB756_396:
	s_or_b32 exec_lo, exec_lo, s1
	v_cmp_lt_u32_e64 s0, 0x3ff, v10
	s_mov_b32 s19, exec_lo
                                        ; implicit-def: $vgpr4_vgpr5
	v_cmpx_gt_u32_e32 0x400, v10
	s_cbranch_execz .LBB756_398
; %bb.397:
	v_lshlrev_b32_e32 v2, 3, v10
	ds_load_b64 v[4:5], v2
.LBB756_398:
	s_or_b32 exec_lo, exec_lo, s19
	s_or_b32 s1, vcc_lo, s0
	s_xor_b32 s19, vcc_lo, -1
	s_or_b32 s1, s1, s12
	s_or_b32 s19, s0, s19
	s_xor_b32 s1, s1, -1
	s_delay_alu instid0(SALU_CYCLE_1)
	s_and_saveexec_b32 s22, s1
	s_cbranch_execz .LBB756_404
; %bb.399:
	s_waitcnt lgkmcnt(0)
	v_mul_lo_u32 v8, v5, s8
	v_mul_lo_u32 v11, v4, s9
	v_mad_u64_u32 v[2:3], null, v4, s8, 0
	v_mul_lo_u32 v14, v1, s8
	v_mul_lo_u32 v16, v0, s9
	v_mad_u64_u32 v[6:7], null, v0, s8, 0
	s_mov_b32 s23, 0
	s_mov_b64 s[20:21], s[8:9]
	s_delay_alu instid0(VALU_DEP_4) | instskip(NEXT) | instid1(VALU_DEP_2)
	v_add3_u32 v3, v3, v11, v8
                                        ; implicit-def: $sgpr24
                                        ; implicit-def: $sgpr25
                                        ; implicit-def: $sgpr26
                                        ; implicit-def: $sgpr27
                                        ; implicit-def: $sgpr28
	v_add3_u32 v7, v7, v16, v14
	s_delay_alu instid0(VALU_DEP_2) | instskip(NEXT) | instid1(VALU_DEP_2)
	v_lshlrev_b64 v[2:3], 3, v[2:3]
	v_lshlrev_b64 v[6:7], 3, v[6:7]
	s_delay_alu instid0(VALU_DEP_2) | instskip(NEXT) | instid1(VALU_DEP_3)
	v_add_co_u32 v2, vcc_lo, s10, v2
	v_add_co_ci_u32_e32 v3, vcc_lo, s11, v3, vcc_lo
	s_delay_alu instid0(VALU_DEP_3) | instskip(NEXT) | instid1(VALU_DEP_4)
	v_add_co_u32 v6, vcc_lo, s10, v6
	v_add_co_ci_u32_e32 v7, vcc_lo, s11, v7, vcc_lo
	s_set_inst_prefetch_distance 0x1
	s_branch .LBB756_401
	.p2align	6
.LBB756_400:                            ;   in Loop: Header=BB756_401 Depth=1
	s_or_b32 exec_lo, exec_lo, s0
	s_delay_alu instid0(SALU_CYCLE_1) | instskip(NEXT) | instid1(SALU_CYCLE_1)
	s_and_b32 s0, exec_lo, s25
	s_or_b32 s23, s0, s23
	s_and_not1_b32 s0, s28, exec_lo
	s_and_b32 s1, s27, exec_lo
	s_and_not1_b32 s24, s24, exec_lo
	s_and_b32 s29, s26, exec_lo
	s_or_b32 s28, s0, s1
	s_or_b32 s24, s24, s29
	s_and_not1_b32 exec_lo, exec_lo, s23
	s_cbranch_execz .LBB756_403
.LBB756_401:                            ; =>This Inner Loop Header: Depth=1
	global_load_b64 v[16:17], v[2:3], off
	global_load_b64 v[18:19], v[6:7], off
	s_and_not1_b32 s27, s27, exec_lo
	s_or_b32 s25, s25, exec_lo
	s_waitcnt vmcnt(0)
	v_cmp_ngt_f64_e32 vcc_lo, v[16:17], v[18:19]
	v_cmp_lt_f64_e64 s0, v[16:17], v[18:19]
	s_and_b32 s29, vcc_lo, s28
	s_delay_alu instid0(VALU_DEP_1) | instid1(SALU_CYCLE_1)
	s_or_b32 s29, s0, s29
	s_and_not1_b32 s0, s26, exec_lo
	s_and_b32 s26, s29, exec_lo
	s_delay_alu instid0(SALU_CYCLE_1)
	s_or_b32 s26, s0, s26
	s_mov_b32 s0, exec_lo
	v_cmpx_nlg_f64_e32 v[16:17], v[18:19]
	s_cbranch_execz .LBB756_400
; %bb.402:                              ;   in Loop: Header=BB756_401 Depth=1
	s_add_u32 s20, s20, -1
	s_addc_u32 s21, s21, -1
	v_add_co_u32 v2, vcc_lo, v2, 8
	s_cmp_eq_u64 s[20:21], 0
	v_add_co_ci_u32_e32 v3, vcc_lo, 0, v3, vcc_lo
	v_add_co_u32 v6, vcc_lo, v6, 8
	s_cselect_b32 s1, -1, 0
	v_add_co_ci_u32_e32 v7, vcc_lo, 0, v7, vcc_lo
	s_and_not1_b32 s27, s27, exec_lo
	s_and_b32 s28, s29, exec_lo
	s_and_not1_b32 s25, s25, exec_lo
	s_and_b32 s1, s1, exec_lo
	s_or_b32 s27, s27, s28
	s_and_not1_b32 s26, s26, exec_lo
	s_or_b32 s25, s25, s1
                                        ; implicit-def: $sgpr28
	s_branch .LBB756_400
.LBB756_403:
	s_set_inst_prefetch_distance 0x2
	s_or_b32 exec_lo, exec_lo, s23
	s_xor_b32 s0, s24, -1
	s_and_not1_b32 s1, s19, exec_lo
	s_and_b32 s0, s0, exec_lo
	s_delay_alu instid0(SALU_CYCLE_1)
	s_or_b32 s19, s1, s0
.LBB756_404:
	s_or_b32 exec_lo, exec_lo, s22
	v_cndmask_b32_e64 v2, v10, v9, s19
	v_add_nc_u32_e32 v8, -1, v15
	s_mov_b32 s22, -1
	s_mov_b32 s23, -1
	s_mov_b32 s24, exec_lo
	v_add_nc_u32_e32 v6, 1, v2
	v_cndmask_b32_e64 v2, 0x3ff, v8, s19
	s_delay_alu instid0(VALU_DEP_2) | instskip(NEXT) | instid1(VALU_DEP_2)
	v_cndmask_b32_e64 v17, v6, v10, s19
	v_min_u32_e32 v2, v6, v2
	v_cndmask_b32_e64 v9, v9, v6, s19
	s_delay_alu instid0(VALU_DEP_2)
	v_lshlrev_b32_e32 v2, 3, v2
	ds_load_b64 v[2:3], v2
	s_waitcnt lgkmcnt(0)
	v_cndmask_b32_e64 v10, v3, v5, s19
	v_cndmask_b32_e64 v11, v2, v4, s19
	;; [unrolled: 1-line block ×4, first 2 shown]
	v_cmpx_gt_u32_e32 0x400, v17
	s_cbranch_execz .LBB756_412
; %bb.405:
	v_cmp_lt_u32_e64 s23, v9, v15
	s_xor_b32 s0, s12, -1
	s_delay_alu instid0(VALU_DEP_1) | instid1(SALU_CYCLE_1)
	s_and_b32 s0, s23, s0
	s_delay_alu instid0(SALU_CYCLE_1)
	s_and_saveexec_b32 s25, s0
	s_cbranch_execz .LBB756_411
; %bb.406:
	v_mul_lo_u32 v18, v10, s8
	v_mul_lo_u32 v19, v11, s9
	v_mad_u64_u32 v[2:3], null, v11, s8, 0
	v_mul_lo_u32 v20, v14, s8
	v_mul_lo_u32 v21, v16, s9
	v_mad_u64_u32 v[6:7], null, v16, s8, 0
	s_mov_b32 s26, 0
	s_mov_b64 s[20:21], s[8:9]
	s_delay_alu instid0(VALU_DEP_4) | instskip(NEXT) | instid1(VALU_DEP_2)
	v_add3_u32 v3, v3, v19, v18
                                        ; implicit-def: $sgpr27
                                        ; implicit-def: $sgpr28
                                        ; implicit-def: $sgpr29
                                        ; implicit-def: $sgpr30
                                        ; implicit-def: $sgpr31
	v_add3_u32 v7, v7, v21, v20
	s_delay_alu instid0(VALU_DEP_2) | instskip(NEXT) | instid1(VALU_DEP_2)
	v_lshlrev_b64 v[2:3], 3, v[2:3]
	v_lshlrev_b64 v[6:7], 3, v[6:7]
	s_delay_alu instid0(VALU_DEP_2) | instskip(NEXT) | instid1(VALU_DEP_3)
	v_add_co_u32 v2, vcc_lo, s10, v2
	v_add_co_ci_u32_e32 v3, vcc_lo, s11, v3, vcc_lo
	s_delay_alu instid0(VALU_DEP_3) | instskip(NEXT) | instid1(VALU_DEP_4)
	v_add_co_u32 v6, vcc_lo, s10, v6
	v_add_co_ci_u32_e32 v7, vcc_lo, s11, v7, vcc_lo
	s_set_inst_prefetch_distance 0x1
	s_branch .LBB756_408
	.p2align	6
.LBB756_407:                            ;   in Loop: Header=BB756_408 Depth=1
	s_or_b32 exec_lo, exec_lo, s0
	s_delay_alu instid0(SALU_CYCLE_1) | instskip(NEXT) | instid1(SALU_CYCLE_1)
	s_and_b32 s0, exec_lo, s28
	s_or_b32 s26, s0, s26
	s_and_not1_b32 s0, s31, exec_lo
	s_and_b32 s1, s30, exec_lo
	s_and_not1_b32 s27, s27, exec_lo
	s_and_b32 s33, s29, exec_lo
	s_or_b32 s31, s0, s1
	s_or_b32 s27, s27, s33
	s_and_not1_b32 exec_lo, exec_lo, s26
	s_cbranch_execz .LBB756_410
.LBB756_408:                            ; =>This Inner Loop Header: Depth=1
	global_load_b64 v[18:19], v[2:3], off
	global_load_b64 v[20:21], v[6:7], off
	s_and_not1_b32 s30, s30, exec_lo
	s_or_b32 s28, s28, exec_lo
	s_waitcnt vmcnt(0)
	v_cmp_ngt_f64_e32 vcc_lo, v[18:19], v[20:21]
	v_cmp_lt_f64_e64 s0, v[18:19], v[20:21]
	s_and_b32 s33, vcc_lo, s31
	s_delay_alu instid0(VALU_DEP_1) | instid1(SALU_CYCLE_1)
	s_or_b32 s33, s0, s33
	s_and_not1_b32 s0, s29, exec_lo
	s_and_b32 s29, s33, exec_lo
	s_delay_alu instid0(SALU_CYCLE_1)
	s_or_b32 s29, s0, s29
	s_mov_b32 s0, exec_lo
	v_cmpx_nlg_f64_e32 v[18:19], v[20:21]
	s_cbranch_execz .LBB756_407
; %bb.409:                              ;   in Loop: Header=BB756_408 Depth=1
	s_add_u32 s20, s20, -1
	s_addc_u32 s21, s21, -1
	v_add_co_u32 v2, vcc_lo, v2, 8
	s_cmp_eq_u64 s[20:21], 0
	v_add_co_ci_u32_e32 v3, vcc_lo, 0, v3, vcc_lo
	v_add_co_u32 v6, vcc_lo, v6, 8
	s_cselect_b32 s1, -1, 0
	v_add_co_ci_u32_e32 v7, vcc_lo, 0, v7, vcc_lo
	s_and_not1_b32 s30, s30, exec_lo
	s_and_b32 s31, s33, exec_lo
	s_and_not1_b32 s28, s28, exec_lo
	s_and_b32 s1, s1, exec_lo
	s_or_b32 s30, s30, s31
	s_and_not1_b32 s29, s29, exec_lo
	s_or_b32 s28, s28, s1
                                        ; implicit-def: $sgpr31
	s_branch .LBB756_407
.LBB756_410:
	s_set_inst_prefetch_distance 0x2
	s_or_b32 exec_lo, exec_lo, s26
	s_xor_b32 s0, s27, -1
	s_and_not1_b32 s1, s23, exec_lo
	s_and_b32 s0, s0, exec_lo
	s_delay_alu instid0(SALU_CYCLE_1)
	s_or_b32 s23, s1, s0
.LBB756_411:
	s_or_b32 exec_lo, exec_lo, s25
	s_delay_alu instid0(SALU_CYCLE_1)
	s_or_not1_b32 s23, s23, exec_lo
.LBB756_412:
	s_or_b32 exec_lo, exec_lo, s24
	v_cndmask_b32_e64 v2, v17, v9, s23
	v_cndmask_b32_e64 v3, 0x3ff, v8, s23
	s_mov_b32 s24, exec_lo
	s_delay_alu instid0(VALU_DEP_2) | instskip(NEXT) | instid1(VALU_DEP_1)
	v_add_nc_u32_e32 v6, 1, v2
	v_min_u32_e32 v2, v6, v3
	v_cndmask_b32_e64 v20, v6, v17, s23
	v_cndmask_b32_e64 v17, v9, v6, s23
	s_delay_alu instid0(VALU_DEP_3)
	v_lshlrev_b32_e32 v2, 3, v2
	ds_load_b64 v[2:3], v2
	s_waitcnt lgkmcnt(0)
	v_cndmask_b32_e64 v18, v3, v10, s23
	v_cndmask_b32_e64 v19, v2, v11, s23
	;; [unrolled: 1-line block ×4, first 2 shown]
	v_cmpx_gt_u32_e32 0x400, v20
	s_cbranch_execz .LBB756_420
; %bb.413:
	v_cmp_lt_u32_e64 s22, v17, v15
	s_xor_b32 s0, s12, -1
	s_delay_alu instid0(VALU_DEP_1) | instid1(SALU_CYCLE_1)
	s_and_b32 s0, s22, s0
	s_delay_alu instid0(SALU_CYCLE_1)
	s_and_saveexec_b32 s25, s0
	s_cbranch_execz .LBB756_419
; %bb.414:
	v_mul_lo_u32 v9, v18, s8
	v_mul_lo_u32 v37, v19, s9
	v_mad_u64_u32 v[2:3], null, v19, s8, 0
	v_mul_lo_u32 v38, v21, s8
	v_mul_lo_u32 v39, v36, s9
	v_mad_u64_u32 v[6:7], null, v36, s8, 0
	s_mov_b32 s26, 0
	s_mov_b64 s[20:21], s[8:9]
	s_delay_alu instid0(VALU_DEP_4) | instskip(NEXT) | instid1(VALU_DEP_2)
	v_add3_u32 v3, v3, v37, v9
                                        ; implicit-def: $sgpr27
                                        ; implicit-def: $sgpr28
                                        ; implicit-def: $sgpr29
                                        ; implicit-def: $sgpr30
                                        ; implicit-def: $sgpr31
	v_add3_u32 v7, v7, v39, v38
	s_delay_alu instid0(VALU_DEP_2) | instskip(NEXT) | instid1(VALU_DEP_2)
	v_lshlrev_b64 v[2:3], 3, v[2:3]
	v_lshlrev_b64 v[6:7], 3, v[6:7]
	s_delay_alu instid0(VALU_DEP_2) | instskip(NEXT) | instid1(VALU_DEP_3)
	v_add_co_u32 v2, vcc_lo, s10, v2
	v_add_co_ci_u32_e32 v3, vcc_lo, s11, v3, vcc_lo
	s_delay_alu instid0(VALU_DEP_3) | instskip(NEXT) | instid1(VALU_DEP_4)
	v_add_co_u32 v6, vcc_lo, s10, v6
	v_add_co_ci_u32_e32 v7, vcc_lo, s11, v7, vcc_lo
	s_set_inst_prefetch_distance 0x1
	s_branch .LBB756_416
	.p2align	6
.LBB756_415:                            ;   in Loop: Header=BB756_416 Depth=1
	s_or_b32 exec_lo, exec_lo, s0
	s_delay_alu instid0(SALU_CYCLE_1) | instskip(NEXT) | instid1(SALU_CYCLE_1)
	s_and_b32 s0, exec_lo, s28
	s_or_b32 s26, s0, s26
	s_and_not1_b32 s0, s31, exec_lo
	s_and_b32 s1, s30, exec_lo
	s_and_not1_b32 s27, s27, exec_lo
	s_and_b32 s33, s29, exec_lo
	s_or_b32 s31, s0, s1
	s_or_b32 s27, s27, s33
	s_and_not1_b32 exec_lo, exec_lo, s26
	s_cbranch_execz .LBB756_418
.LBB756_416:                            ; =>This Inner Loop Header: Depth=1
	global_load_b64 v[37:38], v[2:3], off
	global_load_b64 v[39:40], v[6:7], off
	s_and_not1_b32 s30, s30, exec_lo
	s_or_b32 s28, s28, exec_lo
	s_waitcnt vmcnt(0)
	v_cmp_ngt_f64_e32 vcc_lo, v[37:38], v[39:40]
	v_cmp_lt_f64_e64 s0, v[37:38], v[39:40]
	s_and_b32 s33, vcc_lo, s31
	s_delay_alu instid0(VALU_DEP_1) | instid1(SALU_CYCLE_1)
	s_or_b32 s33, s0, s33
	s_and_not1_b32 s0, s29, exec_lo
	s_and_b32 s29, s33, exec_lo
	s_delay_alu instid0(SALU_CYCLE_1)
	s_or_b32 s29, s0, s29
	s_mov_b32 s0, exec_lo
	v_cmpx_nlg_f64_e32 v[37:38], v[39:40]
	s_cbranch_execz .LBB756_415
; %bb.417:                              ;   in Loop: Header=BB756_416 Depth=1
	s_add_u32 s20, s20, -1
	s_addc_u32 s21, s21, -1
	v_add_co_u32 v2, vcc_lo, v2, 8
	s_cmp_eq_u64 s[20:21], 0
	v_add_co_ci_u32_e32 v3, vcc_lo, 0, v3, vcc_lo
	v_add_co_u32 v6, vcc_lo, v6, 8
	s_cselect_b32 s1, -1, 0
	v_add_co_ci_u32_e32 v7, vcc_lo, 0, v7, vcc_lo
	s_and_not1_b32 s30, s30, exec_lo
	s_and_b32 s31, s33, exec_lo
	s_and_not1_b32 s28, s28, exec_lo
	s_and_b32 s1, s1, exec_lo
	s_or_b32 s30, s30, s31
	s_and_not1_b32 s29, s29, exec_lo
	s_or_b32 s28, s28, s1
                                        ; implicit-def: $sgpr31
	s_branch .LBB756_415
.LBB756_418:
	s_set_inst_prefetch_distance 0x2
	s_or_b32 exec_lo, exec_lo, s26
	s_xor_b32 s0, s27, -1
	s_and_not1_b32 s1, s22, exec_lo
	s_and_b32 s0, s0, exec_lo
	s_delay_alu instid0(SALU_CYCLE_1)
	s_or_b32 s22, s1, s0
.LBB756_419:
	s_or_b32 exec_lo, exec_lo, s25
	s_delay_alu instid0(SALU_CYCLE_1)
	s_or_not1_b32 s22, s22, exec_lo
.LBB756_420:
	s_or_b32 exec_lo, exec_lo, s24
	v_cndmask_b32_e64 v2, v20, v17, s22
	v_cndmask_b32_e64 v3, 0x3ff, v8, s22
	;; [unrolled: 1-line block ×5, first 2 shown]
	v_add_nc_u32_e32 v37, 1, v2
	v_cndmask_b32_e64 v4, v19, v36, s22
	s_mov_b32 s19, exec_lo
	s_delay_alu instid0(VALU_DEP_2) | instskip(SKIP_2) | instid1(VALU_DEP_3)
	v_min_u32_e32 v2, v37, v3
	v_cndmask_b32_e64 v3, v10, v14, s23
	v_cndmask_b32_e64 v10, v37, v20, s22
	v_lshlrev_b32_e32 v2, 3, v2
	ds_load_b64 v[8:9], v2
	v_cndmask_b32_e64 v2, v11, v16, s23
	s_waitcnt lgkmcnt(0)
	v_cndmask_b32_e64 v7, v21, v9, s22
	v_cndmask_b32_e64 v6, v36, v8, s22
	v_cmpx_gt_u32_e32 0x400, v10
	s_cbranch_execz .LBB756_428
; %bb.421:
	v_cndmask_b32_e64 v10, v17, v37, s22
	v_cndmask_b32_e64 v14, v9, v18, s22
	;; [unrolled: 1-line block ×3, first 2 shown]
	s_delay_alu instid0(VALU_DEP_3) | instskip(NEXT) | instid1(VALU_DEP_2)
	v_cmp_ge_u32_e32 vcc_lo, v10, v15
	v_dual_cndmask_b32 v9, v7, v14 :: v_dual_cndmask_b32 v8, v6, v16
	s_or_b32 s0, vcc_lo, s12
	s_delay_alu instid0(SALU_CYCLE_1) | instskip(NEXT) | instid1(SALU_CYCLE_1)
	s_xor_b32 s0, s0, -1
	s_and_saveexec_b32 s12, s0
	s_cbranch_execz .LBB756_427
; %bb.422:
	v_mul_lo_u32 v15, v14, s8
	v_mul_lo_u32 v17, v16, s9
	v_mad_u64_u32 v[8:9], null, v16, s8, 0
	v_mul_lo_u32 v18, v7, s8
	v_mul_lo_u32 v19, v6, s9
	v_mad_u64_u32 v[10:11], null, v6, s8, 0
	s_mov_b32 s22, 0
	s_mov_b64 s[20:21], s[8:9]
	s_delay_alu instid0(VALU_DEP_4) | instskip(NEXT) | instid1(VALU_DEP_2)
	v_add3_u32 v9, v9, v17, v15
                                        ; implicit-def: $sgpr23
                                        ; implicit-def: $sgpr24
                                        ; implicit-def: $sgpr25
                                        ; implicit-def: $sgpr26
                                        ; implicit-def: $sgpr27
	v_add3_u32 v11, v11, v19, v18
	s_delay_alu instid0(VALU_DEP_2) | instskip(NEXT) | instid1(VALU_DEP_2)
	v_lshlrev_b64 v[8:9], 3, v[8:9]
	v_lshlrev_b64 v[10:11], 3, v[10:11]
	s_delay_alu instid0(VALU_DEP_2) | instskip(NEXT) | instid1(VALU_DEP_3)
	v_add_co_u32 v8, vcc_lo, s10, v8
	v_add_co_ci_u32_e32 v9, vcc_lo, s11, v9, vcc_lo
	s_delay_alu instid0(VALU_DEP_3) | instskip(NEXT) | instid1(VALU_DEP_4)
	v_add_co_u32 v10, vcc_lo, s10, v10
	v_add_co_ci_u32_e32 v11, vcc_lo, s11, v11, vcc_lo
	s_set_inst_prefetch_distance 0x1
	s_branch .LBB756_424
	.p2align	6
.LBB756_423:                            ;   in Loop: Header=BB756_424 Depth=1
	s_or_b32 exec_lo, exec_lo, s0
	s_delay_alu instid0(SALU_CYCLE_1) | instskip(NEXT) | instid1(SALU_CYCLE_1)
	s_and_b32 s0, exec_lo, s24
	s_or_b32 s22, s0, s22
	s_and_not1_b32 s0, s27, exec_lo
	s_and_b32 s1, s26, exec_lo
	s_and_not1_b32 s23, s23, exec_lo
	s_and_b32 s28, s25, exec_lo
	s_or_b32 s27, s0, s1
	s_or_b32 s23, s23, s28
	s_and_not1_b32 exec_lo, exec_lo, s22
	s_cbranch_execz .LBB756_426
.LBB756_424:                            ; =>This Inner Loop Header: Depth=1
	global_load_b64 v[17:18], v[8:9], off
	global_load_b64 v[19:20], v[10:11], off
	s_and_not1_b32 s26, s26, exec_lo
	s_or_b32 s24, s24, exec_lo
	s_waitcnt vmcnt(0)
	v_cmp_ngt_f64_e32 vcc_lo, v[17:18], v[19:20]
	v_cmp_lt_f64_e64 s0, v[17:18], v[19:20]
	s_and_b32 s28, vcc_lo, s27
	s_delay_alu instid0(VALU_DEP_1) | instid1(SALU_CYCLE_1)
	s_or_b32 s28, s0, s28
	s_and_not1_b32 s0, s25, exec_lo
	s_and_b32 s25, s28, exec_lo
	s_delay_alu instid0(SALU_CYCLE_1)
	s_or_b32 s25, s0, s25
	s_mov_b32 s0, exec_lo
	v_cmpx_nlg_f64_e32 v[17:18], v[19:20]
	s_cbranch_execz .LBB756_423
; %bb.425:                              ;   in Loop: Header=BB756_424 Depth=1
	s_add_u32 s20, s20, -1
	s_addc_u32 s21, s21, -1
	v_add_co_u32 v8, vcc_lo, v8, 8
	s_cmp_eq_u64 s[20:21], 0
	v_add_co_ci_u32_e32 v9, vcc_lo, 0, v9, vcc_lo
	v_add_co_u32 v10, vcc_lo, v10, 8
	s_cselect_b32 s1, -1, 0
	v_add_co_ci_u32_e32 v11, vcc_lo, 0, v11, vcc_lo
	s_and_not1_b32 s26, s26, exec_lo
	s_and_b32 s27, s28, exec_lo
	s_and_not1_b32 s24, s24, exec_lo
	s_and_b32 s1, s1, exec_lo
	s_or_b32 s26, s26, s27
	s_and_not1_b32 s25, s25, exec_lo
	s_or_b32 s24, s24, s1
                                        ; implicit-def: $sgpr27
	s_branch .LBB756_423
.LBB756_426:
	s_set_inst_prefetch_distance 0x2
	s_or_b32 exec_lo, exec_lo, s22
	v_cndmask_b32_e64 v9, v7, v14, s23
	v_cndmask_b32_e64 v8, v6, v16, s23
.LBB756_427:
	s_or_b32 exec_lo, exec_lo, s12
	s_delay_alu instid0(VALU_DEP_1)
	v_dual_mov_b32 v6, v8 :: v_dual_mov_b32 v7, v9
.LBB756_428:
	s_or_b32 exec_lo, exec_lo, s19
.LBB756_429:
	s_delay_alu instid0(SALU_CYCLE_1)
	s_or_b32 exec_lo, exec_lo, s17
	s_barrier
	buffer_gl0_inv
	s_barrier
	buffer_gl0_inv
	ds_store_2addr_b64 v35, v[0:1], v[2:3] offset1:1
	ds_store_2addr_b64 v35, v[4:5], v[6:7] offset0:2 offset1:3
	s_waitcnt lgkmcnt(0)
	s_barrier
	buffer_gl0_inv
	ds_load_b64 v[2:3], v34 offset:2048
	ds_load_b64 v[4:5], v31
	ds_load_b64 v[6:7], v32 offset:4096
	ds_load_b64 v[0:1], v33 offset:6144
	v_add_co_u32 v8, s0, s6, v22
	s_delay_alu instid0(VALU_DEP_1) | instskip(NEXT) | instid1(VALU_DEP_2)
	v_add_co_ci_u32_e64 v9, null, s7, 0, s0
	v_add_co_u32 v8, vcc_lo, 0x1000, v8
	s_delay_alu instid0(VALU_DEP_2)
	v_add_co_ci_u32_e32 v9, vcc_lo, 0, v9, vcc_lo
	s_mov_b32 s17, -1
	s_waitcnt lgkmcnt(3)
	global_store_b64 v22, v[2:3], s[6:7] offset:2048
	s_waitcnt lgkmcnt(2)
	global_store_b64 v22, v[4:5], s[6:7]
	s_waitcnt lgkmcnt(1)
	global_store_b64 v[8:9], v[6:7], off
	s_branch .LBB756_724
.LBB756_430:
	s_lshl_b64 s[0:1], s[2:3], 10
                                        ; implicit-def: $vgpr0_vgpr1_vgpr2_vgpr3_vgpr4_vgpr5_vgpr6_vgpr7
	s_delay_alu instid0(SALU_CYCLE_1) | instskip(NEXT) | instid1(SALU_CYCLE_1)
	s_sub_i32 s18, s18, s0
	v_cmp_gt_u32_e64 s0, s18, v12
	s_delay_alu instid0(VALU_DEP_1)
	s_and_saveexec_b32 s1, s0
	s_cbranch_execnz .LBB756_440
; %bb.431:
	s_or_b32 exec_lo, exec_lo, s1
	v_cmp_gt_u32_e64 s1, s18, v30
	s_delay_alu instid0(VALU_DEP_1)
	s_and_saveexec_b32 s2, s1
	s_cbranch_execnz .LBB756_441
.LBB756_432:
	s_or_b32 exec_lo, exec_lo, s2
	v_cmp_gt_u32_e64 s2, s18, v29
	s_delay_alu instid0(VALU_DEP_1)
	s_and_saveexec_b32 s3, s2
	s_cbranch_execnz .LBB756_442
.LBB756_433:
	s_or_b32 exec_lo, exec_lo, s3
	v_cmp_gt_u32_e64 s17, s18, v28
	s_delay_alu instid0(VALU_DEP_1)
	s_and_saveexec_b32 s3, s17
	s_cbranch_execz .LBB756_435
.LBB756_434:
	v_lshlrev_b32_e32 v6, 3, v28
	global_load_b64 v[6:7], v6, s[14:15]
.LBB756_435:
	s_or_b32 exec_lo, exec_lo, s3
	v_lshrrev_b32_e32 v8, 2, v30
	v_lshrrev_b32_e32 v9, 2, v29
	;; [unrolled: 1-line block ×3, first 2 shown]
	v_and_b32_e32 v11, 0xf8, v27
	v_add_lshl_u32 v17, v26, v23, 3
	v_and_b32_e32 v8, 0x1f8, v8
	v_and_b32_e32 v9, 0x1f8, v9
	;; [unrolled: 1-line block ×3, first 2 shown]
	v_cmp_gt_i64_e64 s19, s[8:9], 0
	s_delay_alu instid0(VALU_DEP_4)
	v_dual_mov_b32 v8, 0 :: v_dual_add_nc_u32 v13, v8, v22
	v_add_nc_u32_e32 v14, v11, v22
	v_add_nc_u32_e32 v15, v9, v22
	;; [unrolled: 1-line block ×3, first 2 shown]
	s_waitcnt vmcnt(0) lgkmcnt(0)
	ds_store_b64 v14, v[0:1]
	ds_store_b64 v13, v[2:3] offset:2048
	ds_store_b64 v15, v[4:5] offset:4096
	;; [unrolled: 1-line block ×3, first 2 shown]
	s_waitcnt lgkmcnt(0)
	s_waitcnt_vscnt null, 0x0
	s_barrier
	buffer_gl0_inv
	ds_load_2addr_b64 v[0:3], v17 offset1:1
	ds_load_2addr_b64 v[4:7], v17 offset0:2 offset1:3
	s_waitcnt lgkmcnt(0)
	s_barrier
	buffer_gl0_inv
	s_load_b32 s3, s[4:5], 0xc
	s_waitcnt lgkmcnt(0)
	s_lshr_b32 s3, s3, 16
	s_cmp_lt_u32 s13, s16
	v_mad_u32_u24 v9, v25, s3, v24
	s_cselect_b32 s12, 12, 18
	s_mov_b32 s16, 0
	s_add_u32 s4, s4, s12
	s_addc_u32 s5, s5, 0
	global_load_u16 v8, v8, s[4:5]
	v_cmp_lt_i64_e64 s5, s[8:9], 1
	s_waitcnt vmcnt(0)
	v_mul_lo_u32 v8, v9, v8
	s_delay_alu instid0(VALU_DEP_1) | instskip(NEXT) | instid1(VALU_DEP_1)
	v_add_lshl_u32 v18, v8, v12, 2
	v_sub_nc_u32_e64 v19, s18, v18 clamp
	s_delay_alu instid0(VALU_DEP_1) | instskip(SKIP_1) | instid1(SALU_CYCLE_1)
	v_cmp_lt_u32_e32 vcc_lo, 1, v19
	s_and_b32 s14, vcc_lo, s19
	s_and_saveexec_b32 s15, s14
	s_cbranch_execz .LBB756_446
; %bb.436:
	v_mul_lo_u32 v20, v3, s8
	v_mul_lo_u32 v21, v2, s9
	v_mad_u64_u32 v[8:9], null, v2, s8, 0
	v_mul_lo_u32 v24, v1, s8
	v_mul_lo_u32 v25, v0, s9
	v_mad_u64_u32 v[10:11], null, v0, s8, 0
	s_mov_b64 s[12:13], s[8:9]
                                        ; implicit-def: $sgpr20
                                        ; implicit-def: $sgpr21
                                        ; implicit-def: $sgpr23
                                        ; implicit-def: $sgpr22
                                        ; implicit-def: $sgpr24
                                        ; implicit-def: $sgpr25
	s_delay_alu instid0(VALU_DEP_4) | instskip(NEXT) | instid1(VALU_DEP_2)
	v_add3_u32 v9, v9, v21, v20
	v_add3_u32 v11, v11, v25, v24
	s_delay_alu instid0(VALU_DEP_2) | instskip(NEXT) | instid1(VALU_DEP_2)
	v_lshlrev_b64 v[8:9], 3, v[8:9]
	v_lshlrev_b64 v[10:11], 3, v[10:11]
	s_delay_alu instid0(VALU_DEP_2) | instskip(NEXT) | instid1(VALU_DEP_3)
	v_add_co_u32 v8, vcc_lo, s10, v8
	v_add_co_ci_u32_e32 v9, vcc_lo, s11, v9, vcc_lo
	s_delay_alu instid0(VALU_DEP_3) | instskip(NEXT) | instid1(VALU_DEP_4)
	v_add_co_u32 v10, vcc_lo, s10, v10
	v_add_co_ci_u32_e32 v11, vcc_lo, s11, v11, vcc_lo
	s_set_inst_prefetch_distance 0x1
	s_branch .LBB756_438
	.p2align	6
.LBB756_437:                            ;   in Loop: Header=BB756_438 Depth=1
	s_or_b32 exec_lo, exec_lo, s26
	s_delay_alu instid0(SALU_CYCLE_1) | instskip(NEXT) | instid1(SALU_CYCLE_1)
	s_and_b32 s4, exec_lo, s23
	s_or_b32 s16, s4, s16
	s_and_not1_b32 s4, s25, exec_lo
	s_and_b32 s25, s24, exec_lo
	s_and_not1_b32 s21, s21, exec_lo
	s_or_b32 s25, s4, s25
	s_and_b32 s4, s22, exec_lo
	s_and_not1_b32 s20, s20, exec_lo
	s_and_b32 s3, s3, exec_lo
	s_or_b32 s21, s21, s4
	s_or_b32 s20, s20, s3
	s_and_not1_b32 exec_lo, exec_lo, s16
	s_cbranch_execz .LBB756_443
.LBB756_438:                            ; =>This Inner Loop Header: Depth=1
	global_load_b64 v[20:21], v[8:9], off
	global_load_b64 v[24:25], v[10:11], off
	s_and_not1_b32 s24, s24, exec_lo
	s_or_b32 s22, s22, exec_lo
	s_or_b32 s23, s23, exec_lo
	s_waitcnt vmcnt(0)
	v_cmp_ngt_f64_e32 vcc_lo, v[20:21], v[24:25]
	v_cmp_lt_f64_e64 s3, v[20:21], v[24:25]
	s_and_b32 s26, vcc_lo, s25
	s_delay_alu instid0(VALU_DEP_1) | instid1(SALU_CYCLE_1)
	s_or_b32 s3, s3, s26
	s_mov_b32 s26, exec_lo
	v_cmpx_nlg_f64_e32 v[20:21], v[24:25]
	s_cbranch_execz .LBB756_437
; %bb.439:                              ;   in Loop: Header=BB756_438 Depth=1
	s_add_u32 s12, s12, -1
	s_addc_u32 s13, s13, -1
	v_add_co_u32 v8, vcc_lo, v8, 8
	s_cmp_eq_u64 s[12:13], 0
	v_add_co_ci_u32_e32 v9, vcc_lo, 0, v9, vcc_lo
	v_add_co_u32 v10, vcc_lo, v10, 8
	s_cselect_b32 s4, -1, 0
	v_add_co_ci_u32_e32 v11, vcc_lo, 0, v11, vcc_lo
	s_and_not1_b32 s24, s24, exec_lo
	s_and_b32 s25, s3, exec_lo
	s_and_not1_b32 s23, s23, exec_lo
	s_and_b32 s4, s4, exec_lo
	s_or_b32 s24, s24, s25
	s_and_not1_b32 s22, s22, exec_lo
	s_or_b32 s23, s23, s4
                                        ; implicit-def: $sgpr25
	s_branch .LBB756_437
.LBB756_440:
	s_waitcnt lgkmcnt(0)
	global_load_b64 v[0:1], v22, s[14:15]
	s_or_b32 exec_lo, exec_lo, s1
	v_cmp_gt_u32_e64 s1, s18, v30
	s_delay_alu instid0(VALU_DEP_1)
	s_and_saveexec_b32 s2, s1
	s_cbranch_execz .LBB756_432
.LBB756_441:
	global_load_b64 v[2:3], v22, s[14:15] offset:2048
	s_or_b32 exec_lo, exec_lo, s2
	v_cmp_gt_u32_e64 s2, s18, v29
	s_delay_alu instid0(VALU_DEP_1)
	s_and_saveexec_b32 s3, s2
	s_cbranch_execz .LBB756_433
.LBB756_442:
	v_lshlrev_b32_e32 v4, 3, v29
	global_load_b64 v[4:5], v4, s[14:15]
	s_or_b32 exec_lo, exec_lo, s3
	v_cmp_gt_u32_e64 s17, s18, v28
	s_delay_alu instid0(VALU_DEP_1)
	s_and_saveexec_b32 s3, s17
	s_cbranch_execnz .LBB756_434
	s_branch .LBB756_435
.LBB756_443:
	s_set_inst_prefetch_distance 0x2
	s_or_b32 exec_lo, exec_lo, s16
	s_and_saveexec_b32 s3, s21
	s_delay_alu instid0(SALU_CYCLE_1)
	s_xor_b32 s3, exec_lo, s3
; %bb.444:
	v_cndmask_b32_e64 v24, v0, v2, s20
	v_cndmask_b32_e64 v27, v3, v1, s20
	;; [unrolled: 1-line block ×4, first 2 shown]
	v_dual_mov_b32 v28, v4 :: v_dual_mov_b32 v29, v5
	v_dual_mov_b32 v30, v6 :: v_dual_mov_b32 v31, v7
	s_delay_alu instid0(VALU_DEP_3) | instskip(SKIP_1) | instid1(VALU_DEP_4)
	v_dual_mov_b32 v0, v24 :: v_dual_mov_b32 v1, v25
	v_dual_mov_b32 v2, v26 :: v_dual_mov_b32 v3, v27
	;; [unrolled: 1-line block ×3, first 2 shown]
	s_delay_alu instid0(VALU_DEP_4)
	v_dual_mov_b32 v6, v30 :: v_dual_mov_b32 v7, v31
; %bb.445:
	s_or_b32 exec_lo, exec_lo, s3
.LBB756_446:
	s_delay_alu instid0(SALU_CYCLE_1) | instskip(SKIP_2) | instid1(SALU_CYCLE_1)
	s_or_b32 exec_lo, exec_lo, s15
	v_cmp_lt_u32_e32 vcc_lo, 3, v19
	s_xor_b32 s16, s5, -1
	s_and_b32 s15, vcc_lo, s16
	s_delay_alu instid0(SALU_CYCLE_1)
	s_and_saveexec_b32 s20, s15
	s_cbranch_execz .LBB756_454
; %bb.447:
	v_mul_lo_u32 v20, v7, s8
	v_mul_lo_u32 v21, v6, s9
	v_mad_u64_u32 v[8:9], null, v6, s8, 0
	v_mul_lo_u32 v24, v5, s8
	v_mul_lo_u32 v25, v4, s9
	v_mad_u64_u32 v[10:11], null, v4, s8, 0
	s_mov_b32 s22, 0
	s_mov_b64 s[12:13], s[8:9]
	s_delay_alu instid0(VALU_DEP_4) | instskip(NEXT) | instid1(VALU_DEP_2)
	v_add3_u32 v9, v9, v21, v20
                                        ; implicit-def: $sgpr21
                                        ; implicit-def: $sgpr23
                                        ; implicit-def: $sgpr25
                                        ; implicit-def: $sgpr24
                                        ; implicit-def: $sgpr26
                                        ; implicit-def: $sgpr27
	v_add3_u32 v11, v11, v25, v24
	s_delay_alu instid0(VALU_DEP_2) | instskip(NEXT) | instid1(VALU_DEP_2)
	v_lshlrev_b64 v[8:9], 3, v[8:9]
	v_lshlrev_b64 v[10:11], 3, v[10:11]
	s_delay_alu instid0(VALU_DEP_2) | instskip(NEXT) | instid1(VALU_DEP_3)
	v_add_co_u32 v8, vcc_lo, s10, v8
	v_add_co_ci_u32_e32 v9, vcc_lo, s11, v9, vcc_lo
	s_delay_alu instid0(VALU_DEP_3) | instskip(NEXT) | instid1(VALU_DEP_4)
	v_add_co_u32 v10, vcc_lo, s10, v10
	v_add_co_ci_u32_e32 v11, vcc_lo, s11, v11, vcc_lo
	s_set_inst_prefetch_distance 0x1
	s_branch .LBB756_449
	.p2align	6
.LBB756_448:                            ;   in Loop: Header=BB756_449 Depth=1
	s_or_b32 exec_lo, exec_lo, s28
	s_delay_alu instid0(SALU_CYCLE_1) | instskip(NEXT) | instid1(SALU_CYCLE_1)
	s_and_b32 s4, exec_lo, s25
	s_or_b32 s22, s4, s22
	s_and_not1_b32 s4, s27, exec_lo
	s_and_b32 s27, s26, exec_lo
	s_and_not1_b32 s23, s23, exec_lo
	s_or_b32 s27, s4, s27
	s_and_b32 s4, s24, exec_lo
	s_and_not1_b32 s21, s21, exec_lo
	s_and_b32 s3, s3, exec_lo
	s_or_b32 s23, s23, s4
	s_or_b32 s21, s21, s3
	s_and_not1_b32 exec_lo, exec_lo, s22
	s_cbranch_execz .LBB756_451
.LBB756_449:                            ; =>This Inner Loop Header: Depth=1
	global_load_b64 v[20:21], v[8:9], off
	global_load_b64 v[24:25], v[10:11], off
	s_and_not1_b32 s26, s26, exec_lo
	s_or_b32 s24, s24, exec_lo
	s_or_b32 s25, s25, exec_lo
	s_waitcnt vmcnt(0)
	v_cmp_ngt_f64_e32 vcc_lo, v[20:21], v[24:25]
	v_cmp_lt_f64_e64 s3, v[20:21], v[24:25]
	s_and_b32 s28, vcc_lo, s27
	s_delay_alu instid0(VALU_DEP_1) | instid1(SALU_CYCLE_1)
	s_or_b32 s3, s3, s28
	s_mov_b32 s28, exec_lo
	v_cmpx_nlg_f64_e32 v[20:21], v[24:25]
	s_cbranch_execz .LBB756_448
; %bb.450:                              ;   in Loop: Header=BB756_449 Depth=1
	s_add_u32 s12, s12, -1
	s_addc_u32 s13, s13, -1
	v_add_co_u32 v8, vcc_lo, v8, 8
	s_cmp_eq_u64 s[12:13], 0
	v_add_co_ci_u32_e32 v9, vcc_lo, 0, v9, vcc_lo
	v_add_co_u32 v10, vcc_lo, v10, 8
	s_cselect_b32 s4, -1, 0
	v_add_co_ci_u32_e32 v11, vcc_lo, 0, v11, vcc_lo
	s_and_not1_b32 s26, s26, exec_lo
	s_and_b32 s27, s3, exec_lo
	s_and_not1_b32 s25, s25, exec_lo
	s_and_b32 s4, s4, exec_lo
	s_or_b32 s26, s26, s27
	s_and_not1_b32 s24, s24, exec_lo
	s_or_b32 s25, s25, s4
                                        ; implicit-def: $sgpr27
	s_branch .LBB756_448
.LBB756_451:
	s_set_inst_prefetch_distance 0x2
	s_or_b32 exec_lo, exec_lo, s22
	s_and_saveexec_b32 s3, s23
	s_delay_alu instid0(SALU_CYCLE_1)
	s_xor_b32 s3, exec_lo, s3
; %bb.452:
	v_cndmask_b32_e64 v8, v6, v4, s21
	v_cndmask_b32_e64 v9, v7, v5, s21
	;; [unrolled: 1-line block ×4, first 2 shown]
	s_delay_alu instid0(VALU_DEP_3)
	v_dual_mov_b32 v6, v8 :: v_dual_mov_b32 v7, v9
; %bb.453:
	s_or_b32 exec_lo, exec_lo, s3
.LBB756_454:
	s_delay_alu instid0(SALU_CYCLE_1) | instskip(SKIP_2) | instid1(SALU_CYCLE_1)
	s_or_b32 exec_lo, exec_lo, s20
	v_cmp_lt_u32_e32 vcc_lo, 2, v19
	s_and_b32 s20, vcc_lo, s16
	s_and_saveexec_b32 s3, s20
	s_delay_alu instid0(SALU_CYCLE_1)
	s_xor_b32 s21, exec_lo, s3
	s_cbranch_execnz .LBB756_458
; %bb.455:
	s_or_b32 exec_lo, exec_lo, s21
	s_and_saveexec_b32 s21, s14
	s_cbranch_execnz .LBB756_465
.LBB756_456:
	s_or_b32 exec_lo, exec_lo, s21
	s_and_saveexec_b32 s14, s15
	s_cbranch_execnz .LBB756_472
.LBB756_457:
	s_or_b32 exec_lo, exec_lo, s14
	s_and_saveexec_b32 s14, s20
	s_cbranch_execnz .LBB756_479
	s_branch .LBB756_486
.LBB756_458:
	v_mul_lo_u32 v19, v5, s8
	v_mul_lo_u32 v20, v4, s9
	v_mad_u64_u32 v[8:9], null, v4, s8, 0
	v_mul_lo_u32 v21, v3, s8
	v_mul_lo_u32 v24, v2, s9
	v_mad_u64_u32 v[10:11], null, v2, s8, 0
	s_mov_b32 s23, 0
	s_mov_b64 s[12:13], s[8:9]
	s_delay_alu instid0(VALU_DEP_4) | instskip(NEXT) | instid1(VALU_DEP_2)
	v_add3_u32 v9, v9, v20, v19
                                        ; implicit-def: $sgpr22
                                        ; implicit-def: $sgpr24
                                        ; implicit-def: $sgpr26
                                        ; implicit-def: $sgpr25
                                        ; implicit-def: $sgpr27
                                        ; implicit-def: $sgpr28
	v_add3_u32 v11, v11, v24, v21
	s_delay_alu instid0(VALU_DEP_2) | instskip(NEXT) | instid1(VALU_DEP_2)
	v_lshlrev_b64 v[8:9], 3, v[8:9]
	v_lshlrev_b64 v[10:11], 3, v[10:11]
	s_delay_alu instid0(VALU_DEP_2) | instskip(NEXT) | instid1(VALU_DEP_3)
	v_add_co_u32 v8, vcc_lo, s10, v8
	v_add_co_ci_u32_e32 v9, vcc_lo, s11, v9, vcc_lo
	s_delay_alu instid0(VALU_DEP_3) | instskip(NEXT) | instid1(VALU_DEP_4)
	v_add_co_u32 v10, vcc_lo, s10, v10
	v_add_co_ci_u32_e32 v11, vcc_lo, s11, v11, vcc_lo
	s_set_inst_prefetch_distance 0x1
	s_branch .LBB756_460
	.p2align	6
.LBB756_459:                            ;   in Loop: Header=BB756_460 Depth=1
	s_or_b32 exec_lo, exec_lo, s29
	s_delay_alu instid0(SALU_CYCLE_1) | instskip(NEXT) | instid1(SALU_CYCLE_1)
	s_and_b32 s4, exec_lo, s26
	s_or_b32 s23, s4, s23
	s_and_not1_b32 s4, s28, exec_lo
	s_and_b32 s28, s27, exec_lo
	s_and_not1_b32 s24, s24, exec_lo
	s_or_b32 s28, s4, s28
	s_and_b32 s4, s25, exec_lo
	s_and_not1_b32 s22, s22, exec_lo
	s_and_b32 s3, s3, exec_lo
	s_or_b32 s24, s24, s4
	s_or_b32 s22, s22, s3
	s_and_not1_b32 exec_lo, exec_lo, s23
	s_cbranch_execz .LBB756_462
.LBB756_460:                            ; =>This Inner Loop Header: Depth=1
	global_load_b64 v[19:20], v[8:9], off
	global_load_b64 v[24:25], v[10:11], off
	s_and_not1_b32 s27, s27, exec_lo
	s_or_b32 s25, s25, exec_lo
	s_or_b32 s26, s26, exec_lo
	s_waitcnt vmcnt(0)
	v_cmp_ngt_f64_e32 vcc_lo, v[19:20], v[24:25]
	v_cmp_lt_f64_e64 s3, v[19:20], v[24:25]
	s_and_b32 s29, vcc_lo, s28
	s_delay_alu instid0(VALU_DEP_1) | instid1(SALU_CYCLE_1)
	s_or_b32 s3, s3, s29
	s_mov_b32 s29, exec_lo
	v_cmpx_nlg_f64_e32 v[19:20], v[24:25]
	s_cbranch_execz .LBB756_459
; %bb.461:                              ;   in Loop: Header=BB756_460 Depth=1
	s_add_u32 s12, s12, -1
	s_addc_u32 s13, s13, -1
	v_add_co_u32 v8, vcc_lo, v8, 8
	s_cmp_eq_u64 s[12:13], 0
	v_add_co_ci_u32_e32 v9, vcc_lo, 0, v9, vcc_lo
	v_add_co_u32 v10, vcc_lo, v10, 8
	s_cselect_b32 s4, -1, 0
	v_add_co_ci_u32_e32 v11, vcc_lo, 0, v11, vcc_lo
	s_and_not1_b32 s27, s27, exec_lo
	s_and_b32 s28, s3, exec_lo
	s_and_not1_b32 s26, s26, exec_lo
	s_and_b32 s4, s4, exec_lo
	s_or_b32 s27, s27, s28
	s_and_not1_b32 s25, s25, exec_lo
	s_or_b32 s26, s26, s4
                                        ; implicit-def: $sgpr28
	s_branch .LBB756_459
.LBB756_462:
	s_set_inst_prefetch_distance 0x2
	s_or_b32 exec_lo, exec_lo, s23
	s_and_saveexec_b32 s3, s24
	s_delay_alu instid0(SALU_CYCLE_1)
	s_xor_b32 s3, exec_lo, s3
; %bb.463:
	v_cndmask_b32_e64 v8, v4, v2, s22
	v_cndmask_b32_e64 v9, v5, v3, s22
	;; [unrolled: 1-line block ×4, first 2 shown]
	s_delay_alu instid0(VALU_DEP_3)
	v_dual_mov_b32 v4, v8 :: v_dual_mov_b32 v5, v9
; %bb.464:
	s_or_b32 exec_lo, exec_lo, s3
	s_delay_alu instid0(SALU_CYCLE_1)
	s_or_b32 exec_lo, exec_lo, s21
	s_and_saveexec_b32 s21, s14
	s_cbranch_execz .LBB756_456
.LBB756_465:
	v_mul_lo_u32 v19, v3, s8
	v_mul_lo_u32 v20, v2, s9
	v_mad_u64_u32 v[8:9], null, v2, s8, 0
	v_mul_lo_u32 v21, v1, s8
	v_mul_lo_u32 v24, v0, s9
	v_mad_u64_u32 v[10:11], null, v0, s8, 0
	s_mov_b32 s14, 0
	s_mov_b64 s[12:13], s[8:9]
	s_delay_alu instid0(VALU_DEP_4) | instskip(NEXT) | instid1(VALU_DEP_2)
	v_add3_u32 v9, v9, v20, v19
                                        ; implicit-def: $sgpr22
                                        ; implicit-def: $sgpr23
                                        ; implicit-def: $sgpr25
                                        ; implicit-def: $sgpr24
                                        ; implicit-def: $sgpr26
                                        ; implicit-def: $sgpr27
	v_add3_u32 v11, v11, v24, v21
	s_delay_alu instid0(VALU_DEP_2) | instskip(NEXT) | instid1(VALU_DEP_2)
	v_lshlrev_b64 v[8:9], 3, v[8:9]
	v_lshlrev_b64 v[10:11], 3, v[10:11]
	s_delay_alu instid0(VALU_DEP_2) | instskip(NEXT) | instid1(VALU_DEP_3)
	v_add_co_u32 v8, vcc_lo, s10, v8
	v_add_co_ci_u32_e32 v9, vcc_lo, s11, v9, vcc_lo
	s_delay_alu instid0(VALU_DEP_3) | instskip(NEXT) | instid1(VALU_DEP_4)
	v_add_co_u32 v10, vcc_lo, s10, v10
	v_add_co_ci_u32_e32 v11, vcc_lo, s11, v11, vcc_lo
	s_set_inst_prefetch_distance 0x1
	s_branch .LBB756_467
	.p2align	6
.LBB756_466:                            ;   in Loop: Header=BB756_467 Depth=1
	s_or_b32 exec_lo, exec_lo, s28
	s_delay_alu instid0(SALU_CYCLE_1) | instskip(NEXT) | instid1(SALU_CYCLE_1)
	s_and_b32 s4, exec_lo, s25
	s_or_b32 s14, s4, s14
	s_and_not1_b32 s4, s27, exec_lo
	s_and_b32 s27, s26, exec_lo
	s_and_not1_b32 s23, s23, exec_lo
	s_or_b32 s27, s4, s27
	s_and_b32 s4, s24, exec_lo
	s_and_not1_b32 s22, s22, exec_lo
	s_and_b32 s3, s3, exec_lo
	s_or_b32 s23, s23, s4
	s_or_b32 s22, s22, s3
	s_and_not1_b32 exec_lo, exec_lo, s14
	s_cbranch_execz .LBB756_469
.LBB756_467:                            ; =>This Inner Loop Header: Depth=1
	global_load_b64 v[19:20], v[8:9], off
	global_load_b64 v[24:25], v[10:11], off
	s_and_not1_b32 s26, s26, exec_lo
	s_or_b32 s24, s24, exec_lo
	s_or_b32 s25, s25, exec_lo
	s_waitcnt vmcnt(0)
	v_cmp_ngt_f64_e32 vcc_lo, v[19:20], v[24:25]
	v_cmp_lt_f64_e64 s3, v[19:20], v[24:25]
	s_and_b32 s28, vcc_lo, s27
	s_delay_alu instid0(VALU_DEP_1) | instid1(SALU_CYCLE_1)
	s_or_b32 s3, s3, s28
	s_mov_b32 s28, exec_lo
	v_cmpx_nlg_f64_e32 v[19:20], v[24:25]
	s_cbranch_execz .LBB756_466
; %bb.468:                              ;   in Loop: Header=BB756_467 Depth=1
	s_add_u32 s12, s12, -1
	s_addc_u32 s13, s13, -1
	v_add_co_u32 v8, vcc_lo, v8, 8
	s_cmp_eq_u64 s[12:13], 0
	v_add_co_ci_u32_e32 v9, vcc_lo, 0, v9, vcc_lo
	v_add_co_u32 v10, vcc_lo, v10, 8
	s_cselect_b32 s4, -1, 0
	v_add_co_ci_u32_e32 v11, vcc_lo, 0, v11, vcc_lo
	s_and_not1_b32 s26, s26, exec_lo
	s_and_b32 s27, s3, exec_lo
	s_and_not1_b32 s25, s25, exec_lo
	s_and_b32 s4, s4, exec_lo
	s_or_b32 s26, s26, s27
	s_and_not1_b32 s24, s24, exec_lo
	s_or_b32 s25, s25, s4
                                        ; implicit-def: $sgpr27
	s_branch .LBB756_466
.LBB756_469:
	s_set_inst_prefetch_distance 0x2
	s_or_b32 exec_lo, exec_lo, s14
	s_and_saveexec_b32 s3, s23
	s_delay_alu instid0(SALU_CYCLE_1)
	s_xor_b32 s3, exec_lo, s3
; %bb.470:
	v_cndmask_b32_e64 v24, v0, v2, s22
	v_cndmask_b32_e64 v27, v3, v1, s22
	;; [unrolled: 1-line block ×4, first 2 shown]
	v_dual_mov_b32 v28, v4 :: v_dual_mov_b32 v29, v5
	v_dual_mov_b32 v30, v6 :: v_dual_mov_b32 v31, v7
	s_delay_alu instid0(VALU_DEP_3) | instskip(SKIP_1) | instid1(VALU_DEP_4)
	v_dual_mov_b32 v0, v24 :: v_dual_mov_b32 v1, v25
	v_dual_mov_b32 v2, v26 :: v_dual_mov_b32 v3, v27
	;; [unrolled: 1-line block ×3, first 2 shown]
	s_delay_alu instid0(VALU_DEP_4)
	v_dual_mov_b32 v6, v30 :: v_dual_mov_b32 v7, v31
; %bb.471:
	s_or_b32 exec_lo, exec_lo, s3
	s_delay_alu instid0(SALU_CYCLE_1)
	s_or_b32 exec_lo, exec_lo, s21
	s_and_saveexec_b32 s14, s15
	s_cbranch_execz .LBB756_457
.LBB756_472:
	v_mul_lo_u32 v19, v7, s8
	v_mul_lo_u32 v20, v6, s9
	v_mad_u64_u32 v[8:9], null, v6, s8, 0
	v_mul_lo_u32 v21, v5, s8
	v_mul_lo_u32 v24, v4, s9
	v_mad_u64_u32 v[10:11], null, v4, s8, 0
	s_mov_b32 s21, 0
	s_mov_b64 s[12:13], s[8:9]
	s_delay_alu instid0(VALU_DEP_4) | instskip(NEXT) | instid1(VALU_DEP_2)
	v_add3_u32 v9, v9, v20, v19
                                        ; implicit-def: $sgpr15
                                        ; implicit-def: $sgpr22
                                        ; implicit-def: $sgpr24
                                        ; implicit-def: $sgpr23
                                        ; implicit-def: $sgpr25
                                        ; implicit-def: $sgpr26
	v_add3_u32 v11, v11, v24, v21
	s_delay_alu instid0(VALU_DEP_2) | instskip(NEXT) | instid1(VALU_DEP_2)
	v_lshlrev_b64 v[8:9], 3, v[8:9]
	v_lshlrev_b64 v[10:11], 3, v[10:11]
	s_delay_alu instid0(VALU_DEP_2) | instskip(NEXT) | instid1(VALU_DEP_3)
	v_add_co_u32 v8, vcc_lo, s10, v8
	v_add_co_ci_u32_e32 v9, vcc_lo, s11, v9, vcc_lo
	s_delay_alu instid0(VALU_DEP_3) | instskip(NEXT) | instid1(VALU_DEP_4)
	v_add_co_u32 v10, vcc_lo, s10, v10
	v_add_co_ci_u32_e32 v11, vcc_lo, s11, v11, vcc_lo
	s_set_inst_prefetch_distance 0x1
	s_branch .LBB756_474
	.p2align	6
.LBB756_473:                            ;   in Loop: Header=BB756_474 Depth=1
	s_or_b32 exec_lo, exec_lo, s27
	s_delay_alu instid0(SALU_CYCLE_1) | instskip(NEXT) | instid1(SALU_CYCLE_1)
	s_and_b32 s4, exec_lo, s24
	s_or_b32 s21, s4, s21
	s_and_not1_b32 s4, s26, exec_lo
	s_and_b32 s26, s25, exec_lo
	s_and_not1_b32 s22, s22, exec_lo
	s_or_b32 s26, s4, s26
	s_and_b32 s4, s23, exec_lo
	s_and_not1_b32 s15, s15, exec_lo
	s_and_b32 s3, s3, exec_lo
	s_or_b32 s22, s22, s4
	s_or_b32 s15, s15, s3
	s_and_not1_b32 exec_lo, exec_lo, s21
	s_cbranch_execz .LBB756_476
.LBB756_474:                            ; =>This Inner Loop Header: Depth=1
	global_load_b64 v[19:20], v[8:9], off
	global_load_b64 v[24:25], v[10:11], off
	s_and_not1_b32 s25, s25, exec_lo
	s_or_b32 s23, s23, exec_lo
	s_or_b32 s24, s24, exec_lo
	s_waitcnt vmcnt(0)
	v_cmp_ngt_f64_e32 vcc_lo, v[19:20], v[24:25]
	v_cmp_lt_f64_e64 s3, v[19:20], v[24:25]
	s_and_b32 s27, vcc_lo, s26
	s_delay_alu instid0(VALU_DEP_1) | instid1(SALU_CYCLE_1)
	s_or_b32 s3, s3, s27
	s_mov_b32 s27, exec_lo
	v_cmpx_nlg_f64_e32 v[19:20], v[24:25]
	s_cbranch_execz .LBB756_473
; %bb.475:                              ;   in Loop: Header=BB756_474 Depth=1
	s_add_u32 s12, s12, -1
	s_addc_u32 s13, s13, -1
	v_add_co_u32 v8, vcc_lo, v8, 8
	s_cmp_eq_u64 s[12:13], 0
	v_add_co_ci_u32_e32 v9, vcc_lo, 0, v9, vcc_lo
	v_add_co_u32 v10, vcc_lo, v10, 8
	s_cselect_b32 s4, -1, 0
	v_add_co_ci_u32_e32 v11, vcc_lo, 0, v11, vcc_lo
	s_and_not1_b32 s25, s25, exec_lo
	s_and_b32 s26, s3, exec_lo
	s_and_not1_b32 s24, s24, exec_lo
	s_and_b32 s4, s4, exec_lo
	s_or_b32 s25, s25, s26
	s_and_not1_b32 s23, s23, exec_lo
	s_or_b32 s24, s24, s4
                                        ; implicit-def: $sgpr26
	s_branch .LBB756_473
.LBB756_476:
	s_set_inst_prefetch_distance 0x2
	s_or_b32 exec_lo, exec_lo, s21
	s_and_saveexec_b32 s3, s22
	s_delay_alu instid0(SALU_CYCLE_1)
	s_xor_b32 s3, exec_lo, s3
; %bb.477:
	v_cndmask_b32_e64 v8, v6, v4, s15
	v_cndmask_b32_e64 v9, v7, v5, s15
	;; [unrolled: 1-line block ×4, first 2 shown]
	s_delay_alu instid0(VALU_DEP_3)
	v_dual_mov_b32 v6, v8 :: v_dual_mov_b32 v7, v9
; %bb.478:
	s_or_b32 exec_lo, exec_lo, s3
	s_delay_alu instid0(SALU_CYCLE_1)
	s_or_b32 exec_lo, exec_lo, s14
	s_and_saveexec_b32 s14, s20
	s_cbranch_execz .LBB756_486
.LBB756_479:
	v_mul_lo_u32 v19, v5, s8
	v_mul_lo_u32 v20, v4, s9
	v_mad_u64_u32 v[8:9], null, v4, s8, 0
	v_mul_lo_u32 v21, v3, s8
	v_mul_lo_u32 v24, v2, s9
	v_mad_u64_u32 v[10:11], null, v2, s8, 0
	s_mov_b32 s20, 0
	s_mov_b64 s[12:13], s[8:9]
	s_delay_alu instid0(VALU_DEP_4) | instskip(NEXT) | instid1(VALU_DEP_2)
	v_add3_u32 v9, v9, v20, v19
                                        ; implicit-def: $sgpr15
                                        ; implicit-def: $sgpr21
                                        ; implicit-def: $sgpr23
                                        ; implicit-def: $sgpr22
                                        ; implicit-def: $sgpr24
                                        ; implicit-def: $sgpr25
	v_add3_u32 v11, v11, v24, v21
	s_delay_alu instid0(VALU_DEP_2) | instskip(NEXT) | instid1(VALU_DEP_2)
	v_lshlrev_b64 v[8:9], 3, v[8:9]
	v_lshlrev_b64 v[10:11], 3, v[10:11]
	s_delay_alu instid0(VALU_DEP_2) | instskip(NEXT) | instid1(VALU_DEP_3)
	v_add_co_u32 v8, vcc_lo, s10, v8
	v_add_co_ci_u32_e32 v9, vcc_lo, s11, v9, vcc_lo
	s_delay_alu instid0(VALU_DEP_3) | instskip(NEXT) | instid1(VALU_DEP_4)
	v_add_co_u32 v10, vcc_lo, s10, v10
	v_add_co_ci_u32_e32 v11, vcc_lo, s11, v11, vcc_lo
	s_set_inst_prefetch_distance 0x1
	s_branch .LBB756_481
	.p2align	6
.LBB756_480:                            ;   in Loop: Header=BB756_481 Depth=1
	s_or_b32 exec_lo, exec_lo, s26
	s_delay_alu instid0(SALU_CYCLE_1) | instskip(NEXT) | instid1(SALU_CYCLE_1)
	s_and_b32 s4, exec_lo, s23
	s_or_b32 s20, s4, s20
	s_and_not1_b32 s4, s25, exec_lo
	s_and_b32 s25, s24, exec_lo
	s_and_not1_b32 s21, s21, exec_lo
	s_or_b32 s25, s4, s25
	s_and_b32 s4, s22, exec_lo
	s_and_not1_b32 s15, s15, exec_lo
	s_and_b32 s3, s3, exec_lo
	s_or_b32 s21, s21, s4
	s_or_b32 s15, s15, s3
	s_and_not1_b32 exec_lo, exec_lo, s20
	s_cbranch_execz .LBB756_483
.LBB756_481:                            ; =>This Inner Loop Header: Depth=1
	global_load_b64 v[19:20], v[8:9], off
	global_load_b64 v[24:25], v[10:11], off
	s_and_not1_b32 s24, s24, exec_lo
	s_or_b32 s22, s22, exec_lo
	s_or_b32 s23, s23, exec_lo
	s_waitcnt vmcnt(0)
	v_cmp_ngt_f64_e32 vcc_lo, v[19:20], v[24:25]
	v_cmp_lt_f64_e64 s3, v[19:20], v[24:25]
	s_and_b32 s26, vcc_lo, s25
	s_delay_alu instid0(VALU_DEP_1) | instid1(SALU_CYCLE_1)
	s_or_b32 s3, s3, s26
	s_mov_b32 s26, exec_lo
	v_cmpx_nlg_f64_e32 v[19:20], v[24:25]
	s_cbranch_execz .LBB756_480
; %bb.482:                              ;   in Loop: Header=BB756_481 Depth=1
	s_add_u32 s12, s12, -1
	s_addc_u32 s13, s13, -1
	v_add_co_u32 v8, vcc_lo, v8, 8
	s_cmp_eq_u64 s[12:13], 0
	v_add_co_ci_u32_e32 v9, vcc_lo, 0, v9, vcc_lo
	v_add_co_u32 v10, vcc_lo, v10, 8
	s_cselect_b32 s4, -1, 0
	v_add_co_ci_u32_e32 v11, vcc_lo, 0, v11, vcc_lo
	s_and_not1_b32 s24, s24, exec_lo
	s_and_b32 s25, s3, exec_lo
	s_and_not1_b32 s23, s23, exec_lo
	s_and_b32 s4, s4, exec_lo
	s_or_b32 s24, s24, s25
	s_and_not1_b32 s22, s22, exec_lo
	s_or_b32 s23, s23, s4
                                        ; implicit-def: $sgpr25
	s_branch .LBB756_480
.LBB756_483:
	s_set_inst_prefetch_distance 0x2
	s_or_b32 exec_lo, exec_lo, s20
	s_and_saveexec_b32 s3, s21
	s_delay_alu instid0(SALU_CYCLE_1)
	s_xor_b32 s3, exec_lo, s3
; %bb.484:
	v_cndmask_b32_e64 v8, v4, v2, s15
	v_cndmask_b32_e64 v9, v5, v3, s15
	;; [unrolled: 1-line block ×4, first 2 shown]
	s_delay_alu instid0(VALU_DEP_3)
	v_dual_mov_b32 v4, v8 :: v_dual_mov_b32 v5, v9
; %bb.485:
	s_or_b32 exec_lo, exec_lo, s3
.LBB756_486:
	s_delay_alu instid0(SALU_CYCLE_1)
	s_or_b32 exec_lo, exec_lo, s14
	v_mbcnt_lo_u32_b32 v8, -1, 0
	v_and_b32_e32 v9, 0xffffff80, v18
	v_cndmask_b32_e64 v18, 0, 1, s19
	s_mov_b32 s20, 0
	s_mov_b32 s21, exec_lo
	v_lshlrev_b32_e32 v21, 2, v8
	v_sub_nc_u32_e64 v20, s18, v9 clamp
	v_lshlrev_b32_e32 v19, 3, v9
	s_delay_alu instid0(VALU_DEP_3) | instskip(SKIP_2) | instid1(VALU_DEP_4)
	v_or_b32_e32 v10, 4, v21
	v_and_b32_e32 v11, 4, v21
	v_and_b32_e32 v29, 0x78, v21
	v_lshl_or_b32 v24, v8, 5, v19
	ds_store_b128 v24, v[0:3]
	ds_store_b128 v24, v[4:7] offset:16
	v_min_u32_e32 v25, v20, v10
	v_min_u32_e32 v30, v20, v11
	v_lshl_or_b32 v28, v29, 3, v19
	; wave barrier
	s_delay_alu instid0(VALU_DEP_3) | instskip(NEXT) | instid1(VALU_DEP_1)
	v_add_nc_u32_e32 v10, 4, v25
	v_min_u32_e32 v26, v20, v10
	v_sub_nc_u32_e32 v10, v25, v29
	s_delay_alu instid0(VALU_DEP_2) | instskip(NEXT) | instid1(VALU_DEP_2)
	v_sub_nc_u32_e32 v11, v26, v25
	v_min_u32_e32 v31, v30, v10
	s_delay_alu instid0(VALU_DEP_2) | instskip(NEXT) | instid1(VALU_DEP_1)
	v_sub_nc_u32_e64 v27, v30, v11 clamp
	v_cmpx_lt_u32_e64 v27, v31
	s_cbranch_execz .LBB756_496
; %bb.487:
	v_lshlrev_b32_e32 v8, 3, v25
	v_lshlrev_b32_e32 v9, 3, v30
	s_lshl_b64 s[12:13], s[8:9], 3
	s_delay_alu instid0(VALU_DEP_1)
	v_add3_u32 v32, v19, v8, v9
	s_branch .LBB756_490
.LBB756_488:                            ;   in Loop: Header=BB756_490 Depth=1
	s_set_inst_prefetch_distance 0x2
	s_or_b32 exec_lo, exec_lo, s23
.LBB756_489:                            ;   in Loop: Header=BB756_490 Depth=1
	s_delay_alu instid0(VALU_DEP_1) | instskip(SKIP_1) | instid1(VALU_DEP_2)
	v_add_nc_u32_e32 v8, 1, v33
	v_cndmask_b32_e64 v31, v31, v33, s22
	v_cndmask_b32_e64 v27, v8, v27, s22
	s_delay_alu instid0(VALU_DEP_1) | instskip(SKIP_1) | instid1(SALU_CYCLE_1)
	v_cmp_ge_u32_e32 vcc_lo, v27, v31
	s_or_b32 s20, vcc_lo, s20
	s_and_not1_b32 exec_lo, exec_lo, s20
	s_cbranch_execz .LBB756_495
.LBB756_490:                            ; =>This Loop Header: Depth=1
                                        ;     Child Loop BB756_493 Depth 2
	v_add_nc_u32_e32 v8, v31, v27
	s_and_not1_b32 vcc_lo, exec_lo, s19
	s_mov_b32 s22, 0
	s_delay_alu instid0(VALU_DEP_1)
	v_lshrrev_b32_e32 v33, 1, v8
	s_cbranch_vccnz .LBB756_489
; %bb.491:                              ;   in Loop: Header=BB756_490 Depth=1
	s_delay_alu instid0(VALU_DEP_1) | instskip(SKIP_3) | instid1(VALU_DEP_2)
	v_not_b32_e32 v8, v33
	v_lshl_add_u32 v9, v33, 3, v28
	s_mov_b32 s23, 0
	s_mov_b64 s[14:15], s[8:9]
                                        ; implicit-def: $sgpr22
                                        ; implicit-def: $sgpr24
                                        ; implicit-def: $sgpr25
                                        ; implicit-def: $sgpr26
                                        ; implicit-def: $sgpr27
	v_lshl_add_u32 v8, v8, 3, v32
	ds_load_b64 v[10:11], v8
	ds_load_b64 v[34:35], v9
	s_waitcnt lgkmcnt(1)
	v_mul_lo_u32 v36, s12, v11
	v_mul_lo_u32 v37, s13, v10
	v_mad_u64_u32 v[8:9], null, s12, v10, s[10:11]
	s_waitcnt lgkmcnt(0)
	v_mul_lo_u32 v35, s12, v35
	v_mul_lo_u32 v38, s13, v34
	v_mad_u64_u32 v[10:11], null, s12, v34, s[10:11]
	s_delay_alu instid0(VALU_DEP_4) | instskip(NEXT) | instid1(VALU_DEP_2)
	v_add3_u32 v9, v37, v9, v36
	v_add3_u32 v11, v38, v11, v35
	s_set_inst_prefetch_distance 0x1
	s_branch .LBB756_493
	.p2align	6
.LBB756_492:                            ;   in Loop: Header=BB756_493 Depth=2
	s_or_b32 exec_lo, exec_lo, s3
	s_delay_alu instid0(SALU_CYCLE_1) | instskip(NEXT) | instid1(SALU_CYCLE_1)
	s_and_b32 s3, exec_lo, s24
	s_or_b32 s23, s3, s23
	s_and_not1_b32 s3, s27, exec_lo
	s_and_b32 s4, s25, exec_lo
	s_and_not1_b32 s22, s22, exec_lo
	s_and_b32 s28, s26, exec_lo
	s_or_b32 s27, s3, s4
	s_or_b32 s22, s22, s28
	s_and_not1_b32 exec_lo, exec_lo, s23
	s_cbranch_execz .LBB756_488
.LBB756_493:                            ;   Parent Loop BB756_490 Depth=1
                                        ; =>  This Inner Loop Header: Depth=2
	global_load_b64 v[34:35], v[8:9], off
	global_load_b64 v[36:37], v[10:11], off
	s_and_not1_b32 s25, s25, exec_lo
	s_or_b32 s24, s24, exec_lo
	s_waitcnt vmcnt(0)
	v_cmp_ngt_f64_e32 vcc_lo, v[34:35], v[36:37]
	v_cmp_lt_f64_e64 s3, v[34:35], v[36:37]
	s_and_b32 s28, vcc_lo, s27
	s_delay_alu instid0(VALU_DEP_1) | instid1(SALU_CYCLE_1)
	s_or_b32 s28, s3, s28
	s_and_not1_b32 s3, s26, exec_lo
	s_and_b32 s26, s28, exec_lo
	s_delay_alu instid0(SALU_CYCLE_1)
	s_or_b32 s26, s3, s26
	s_mov_b32 s3, exec_lo
	v_cmpx_nlg_f64_e32 v[34:35], v[36:37]
	s_cbranch_execz .LBB756_492
; %bb.494:                              ;   in Loop: Header=BB756_493 Depth=2
	s_add_u32 s14, s14, -1
	s_addc_u32 s15, s15, -1
	v_add_co_u32 v8, vcc_lo, v8, 8
	v_add_co_ci_u32_e32 v9, vcc_lo, 0, v9, vcc_lo
	s_cmp_eq_u64 s[14:15], 0
	v_add_co_u32 v10, vcc_lo, v10, 8
	s_cselect_b32 s4, -1, 0
	v_add_co_ci_u32_e32 v11, vcc_lo, 0, v11, vcc_lo
	s_and_not1_b32 s25, s25, exec_lo
	s_and_b32 s27, s28, exec_lo
	s_and_not1_b32 s24, s24, exec_lo
	s_and_b32 s4, s4, exec_lo
	s_and_not1_b32 s26, s26, exec_lo
	s_or_b32 s25, s25, s27
	s_or_b32 s24, s24, s4
                                        ; implicit-def: $sgpr27
	s_branch .LBB756_492
.LBB756_495:
	s_or_b32 exec_lo, exec_lo, s20
.LBB756_496:
	s_delay_alu instid0(SALU_CYCLE_1) | instskip(SKIP_2) | instid1(VALU_DEP_2)
	s_or_b32 exec_lo, exec_lo, s21
	v_add_nc_u32_e32 v9, v25, v30
	v_add_nc_u32_e32 v8, v27, v29
	v_sub_nc_u32_e32 v9, v9, v27
	s_delay_alu instid0(VALU_DEP_2) | instskip(NEXT) | instid1(VALU_DEP_2)
	v_cmp_le_u32_e32 vcc_lo, v8, v25
	v_cmp_le_u32_e64 s3, v9, v26
	s_delay_alu instid0(VALU_DEP_1) | instskip(NEXT) | instid1(SALU_CYCLE_1)
	s_or_b32 s3, vcc_lo, s3
	s_and_saveexec_b32 s14, s3
	s_cbranch_execz .LBB756_532
; %bb.497:
	v_cmp_ge_u32_e32 vcc_lo, v8, v25
	s_mov_b32 s4, exec_lo
                                        ; implicit-def: $vgpr0_vgpr1
	v_cmpx_lt_u32_e64 v8, v25
	s_cbranch_execz .LBB756_499
; %bb.498:
	v_lshl_add_u32 v0, v27, 3, v28
	ds_load_b64 v[0:1], v0
.LBB756_499:
	s_or_b32 exec_lo, exec_lo, s4
	v_cmp_ge_u32_e64 s3, v9, v26
	s_mov_b32 s12, exec_lo
                                        ; implicit-def: $vgpr2_vgpr3
	v_cmpx_lt_u32_e64 v9, v26
	s_cbranch_execz .LBB756_501
; %bb.500:
	v_lshl_add_u32 v2, v9, 3, v19
	ds_load_b64 v[2:3], v2
.LBB756_501:
	s_or_b32 exec_lo, exec_lo, s12
	s_or_b32 s4, vcc_lo, s3
	s_xor_b32 s12, vcc_lo, -1
	s_or_b32 s4, s4, s5
	s_or_b32 s15, s3, s12
	s_xor_b32 s4, s4, -1
	s_delay_alu instid0(SALU_CYCLE_1)
	s_and_saveexec_b32 s19, s4
	s_cbranch_execz .LBB756_507
; %bb.502:
	s_waitcnt lgkmcnt(0)
	v_mul_lo_u32 v10, v3, s8
	v_mul_lo_u32 v11, v2, s9
	v_mad_u64_u32 v[4:5], null, v2, s8, 0
	v_mul_lo_u32 v27, v1, s8
	v_mul_lo_u32 v28, v0, s9
	v_mad_u64_u32 v[6:7], null, v0, s8, 0
	s_mov_b32 s20, 0
	s_mov_b64 s[12:13], s[8:9]
	s_delay_alu instid0(VALU_DEP_4) | instskip(NEXT) | instid1(VALU_DEP_2)
	v_add3_u32 v5, v5, v11, v10
                                        ; implicit-def: $sgpr21
                                        ; implicit-def: $sgpr22
                                        ; implicit-def: $sgpr23
                                        ; implicit-def: $sgpr24
                                        ; implicit-def: $sgpr25
	v_add3_u32 v7, v7, v28, v27
	s_delay_alu instid0(VALU_DEP_2) | instskip(NEXT) | instid1(VALU_DEP_2)
	v_lshlrev_b64 v[4:5], 3, v[4:5]
	v_lshlrev_b64 v[6:7], 3, v[6:7]
	s_delay_alu instid0(VALU_DEP_2) | instskip(NEXT) | instid1(VALU_DEP_3)
	v_add_co_u32 v4, vcc_lo, s10, v4
	v_add_co_ci_u32_e32 v5, vcc_lo, s11, v5, vcc_lo
	s_delay_alu instid0(VALU_DEP_3) | instskip(NEXT) | instid1(VALU_DEP_4)
	v_add_co_u32 v6, vcc_lo, s10, v6
	v_add_co_ci_u32_e32 v7, vcc_lo, s11, v7, vcc_lo
	s_set_inst_prefetch_distance 0x1
	s_branch .LBB756_504
	.p2align	6
.LBB756_503:                            ;   in Loop: Header=BB756_504 Depth=1
	s_or_b32 exec_lo, exec_lo, s3
	s_delay_alu instid0(SALU_CYCLE_1) | instskip(NEXT) | instid1(SALU_CYCLE_1)
	s_and_b32 s3, exec_lo, s22
	s_or_b32 s20, s3, s20
	s_and_not1_b32 s3, s25, exec_lo
	s_and_b32 s4, s24, exec_lo
	s_and_not1_b32 s21, s21, exec_lo
	s_and_b32 s26, s23, exec_lo
	s_or_b32 s25, s3, s4
	s_or_b32 s21, s21, s26
	s_and_not1_b32 exec_lo, exec_lo, s20
	s_cbranch_execz .LBB756_506
.LBB756_504:                            ; =>This Inner Loop Header: Depth=1
	global_load_b64 v[10:11], v[4:5], off
	global_load_b64 v[27:28], v[6:7], off
	s_and_not1_b32 s24, s24, exec_lo
	s_or_b32 s22, s22, exec_lo
	s_waitcnt vmcnt(0)
	v_cmp_ngt_f64_e32 vcc_lo, v[10:11], v[27:28]
	v_cmp_lt_f64_e64 s3, v[10:11], v[27:28]
	s_and_b32 s26, vcc_lo, s25
	s_delay_alu instid0(VALU_DEP_1) | instid1(SALU_CYCLE_1)
	s_or_b32 s26, s3, s26
	s_and_not1_b32 s3, s23, exec_lo
	s_and_b32 s23, s26, exec_lo
	s_delay_alu instid0(SALU_CYCLE_1)
	s_or_b32 s23, s3, s23
	s_mov_b32 s3, exec_lo
	v_cmpx_nlg_f64_e32 v[10:11], v[27:28]
	s_cbranch_execz .LBB756_503
; %bb.505:                              ;   in Loop: Header=BB756_504 Depth=1
	s_add_u32 s12, s12, -1
	s_addc_u32 s13, s13, -1
	v_add_co_u32 v4, vcc_lo, v4, 8
	s_cmp_eq_u64 s[12:13], 0
	v_add_co_ci_u32_e32 v5, vcc_lo, 0, v5, vcc_lo
	v_add_co_u32 v6, vcc_lo, v6, 8
	s_cselect_b32 s4, -1, 0
	v_add_co_ci_u32_e32 v7, vcc_lo, 0, v7, vcc_lo
	s_and_not1_b32 s24, s24, exec_lo
	s_and_b32 s25, s26, exec_lo
	s_and_not1_b32 s22, s22, exec_lo
	s_and_b32 s4, s4, exec_lo
	s_or_b32 s24, s24, s25
	s_and_not1_b32 s23, s23, exec_lo
	s_or_b32 s22, s22, s4
                                        ; implicit-def: $sgpr25
	s_branch .LBB756_503
.LBB756_506:
	s_set_inst_prefetch_distance 0x2
	s_or_b32 exec_lo, exec_lo, s20
	s_xor_b32 s3, s21, -1
	s_and_not1_b32 s4, s15, exec_lo
	s_and_b32 s3, s3, exec_lo
	s_delay_alu instid0(SALU_CYCLE_1)
	s_or_b32 s15, s4, s3
.LBB756_507:
	s_or_b32 exec_lo, exec_lo, s19
	v_cndmask_b32_e64 v4, v9, v8, s15
	v_cndmask_b32_e64 v5, v26, v25, s15
	s_mov_b32 s19, -1
	s_mov_b32 s20, -1
	s_mov_b32 s21, exec_lo
	v_add_nc_u32_e32 v6, 1, v4
	v_add_nc_u32_e32 v4, -1, v5
	s_delay_alu instid0(VALU_DEP_2) | instskip(NEXT) | instid1(VALU_DEP_2)
	v_cndmask_b32_e64 v9, v6, v9, s15
	v_min_u32_e32 v4, v6, v4
	v_cndmask_b32_e64 v8, v8, v6, s15
	s_delay_alu instid0(VALU_DEP_2)
	v_lshl_add_u32 v4, v4, 3, v19
	ds_load_b64 v[4:5], v4
	s_waitcnt lgkmcnt(0)
	v_cndmask_b32_e64 v10, v5, v3, s15
	v_cndmask_b32_e64 v11, v4, v2, s15
	;; [unrolled: 1-line block ×4, first 2 shown]
	v_cmpx_lt_u32_e64 v9, v26
	s_cbranch_execz .LBB756_515
; %bb.508:
	v_cmp_lt_u32_e64 s20, v8, v25
	s_delay_alu instid0(VALU_DEP_1) | instskip(NEXT) | instid1(SALU_CYCLE_1)
	s_and_b32 s3, s20, s16
	s_and_saveexec_b32 s22, s3
	s_cbranch_execz .LBB756_514
; %bb.509:
	v_mul_lo_u32 v29, v10, s8
	v_mul_lo_u32 v30, v11, s9
	v_mad_u64_u32 v[4:5], null, v11, s8, 0
	v_mul_lo_u32 v31, v27, s8
	v_mul_lo_u32 v32, v28, s9
	v_mad_u64_u32 v[6:7], null, v28, s8, 0
	s_mov_b32 s23, 0
	s_mov_b64 s[12:13], s[8:9]
	s_delay_alu instid0(VALU_DEP_4) | instskip(NEXT) | instid1(VALU_DEP_2)
	v_add3_u32 v5, v5, v30, v29
                                        ; implicit-def: $sgpr24
                                        ; implicit-def: $sgpr25
                                        ; implicit-def: $sgpr26
                                        ; implicit-def: $sgpr27
                                        ; implicit-def: $sgpr28
	v_add3_u32 v7, v7, v32, v31
	s_delay_alu instid0(VALU_DEP_2) | instskip(NEXT) | instid1(VALU_DEP_2)
	v_lshlrev_b64 v[4:5], 3, v[4:5]
	v_lshlrev_b64 v[6:7], 3, v[6:7]
	s_delay_alu instid0(VALU_DEP_2) | instskip(NEXT) | instid1(VALU_DEP_3)
	v_add_co_u32 v4, vcc_lo, s10, v4
	v_add_co_ci_u32_e32 v5, vcc_lo, s11, v5, vcc_lo
	s_delay_alu instid0(VALU_DEP_3) | instskip(NEXT) | instid1(VALU_DEP_4)
	v_add_co_u32 v6, vcc_lo, s10, v6
	v_add_co_ci_u32_e32 v7, vcc_lo, s11, v7, vcc_lo
	s_set_inst_prefetch_distance 0x1
	s_branch .LBB756_511
	.p2align	6
.LBB756_510:                            ;   in Loop: Header=BB756_511 Depth=1
	s_or_b32 exec_lo, exec_lo, s3
	s_delay_alu instid0(SALU_CYCLE_1) | instskip(NEXT) | instid1(SALU_CYCLE_1)
	s_and_b32 s3, exec_lo, s25
	s_or_b32 s23, s3, s23
	s_and_not1_b32 s3, s28, exec_lo
	s_and_b32 s4, s27, exec_lo
	s_and_not1_b32 s24, s24, exec_lo
	s_and_b32 s29, s26, exec_lo
	s_or_b32 s28, s3, s4
	s_or_b32 s24, s24, s29
	s_and_not1_b32 exec_lo, exec_lo, s23
	s_cbranch_execz .LBB756_513
.LBB756_511:                            ; =>This Inner Loop Header: Depth=1
	global_load_b64 v[29:30], v[4:5], off
	global_load_b64 v[31:32], v[6:7], off
	s_and_not1_b32 s27, s27, exec_lo
	s_or_b32 s25, s25, exec_lo
	s_waitcnt vmcnt(0)
	v_cmp_ngt_f64_e32 vcc_lo, v[29:30], v[31:32]
	v_cmp_lt_f64_e64 s3, v[29:30], v[31:32]
	s_and_b32 s29, vcc_lo, s28
	s_delay_alu instid0(VALU_DEP_1) | instid1(SALU_CYCLE_1)
	s_or_b32 s29, s3, s29
	s_and_not1_b32 s3, s26, exec_lo
	s_and_b32 s26, s29, exec_lo
	s_delay_alu instid0(SALU_CYCLE_1)
	s_or_b32 s26, s3, s26
	s_mov_b32 s3, exec_lo
	v_cmpx_nlg_f64_e32 v[29:30], v[31:32]
	s_cbranch_execz .LBB756_510
; %bb.512:                              ;   in Loop: Header=BB756_511 Depth=1
	s_add_u32 s12, s12, -1
	s_addc_u32 s13, s13, -1
	v_add_co_u32 v4, vcc_lo, v4, 8
	s_cmp_eq_u64 s[12:13], 0
	v_add_co_ci_u32_e32 v5, vcc_lo, 0, v5, vcc_lo
	v_add_co_u32 v6, vcc_lo, v6, 8
	s_cselect_b32 s4, -1, 0
	v_add_co_ci_u32_e32 v7, vcc_lo, 0, v7, vcc_lo
	s_and_not1_b32 s27, s27, exec_lo
	s_and_b32 s28, s29, exec_lo
	s_and_not1_b32 s25, s25, exec_lo
	s_and_b32 s4, s4, exec_lo
	s_or_b32 s27, s27, s28
	s_and_not1_b32 s26, s26, exec_lo
	s_or_b32 s25, s25, s4
                                        ; implicit-def: $sgpr28
	s_branch .LBB756_510
.LBB756_513:
	s_set_inst_prefetch_distance 0x2
	s_or_b32 exec_lo, exec_lo, s23
	s_xor_b32 s3, s24, -1
	s_and_not1_b32 s4, s20, exec_lo
	s_and_b32 s3, s3, exec_lo
	s_delay_alu instid0(SALU_CYCLE_1)
	s_or_b32 s20, s4, s3
.LBB756_514:
	s_or_b32 exec_lo, exec_lo, s22
	s_delay_alu instid0(SALU_CYCLE_1)
	s_or_not1_b32 s20, s20, exec_lo
.LBB756_515:
	s_or_b32 exec_lo, exec_lo, s21
	v_cndmask_b32_e64 v4, v9, v8, s20
	v_cndmask_b32_e64 v5, v26, v25, s20
	s_mov_b32 s21, exec_lo
	s_delay_alu instid0(VALU_DEP_2) | instskip(NEXT) | instid1(VALU_DEP_2)
	v_add_nc_u32_e32 v6, 1, v4
	v_add_nc_u32_e32 v4, -1, v5
	s_delay_alu instid0(VALU_DEP_2) | instskip(NEXT) | instid1(VALU_DEP_2)
	v_cndmask_b32_e64 v9, v6, v9, s20
	v_min_u32_e32 v4, v6, v4
	v_cndmask_b32_e64 v8, v8, v6, s20
	s_delay_alu instid0(VALU_DEP_2)
	v_lshl_add_u32 v4, v4, 3, v19
	ds_load_b64 v[4:5], v4
	s_waitcnt lgkmcnt(0)
	v_cndmask_b32_e64 v29, v5, v10, s20
	v_cndmask_b32_e64 v30, v4, v11, s20
	;; [unrolled: 1-line block ×4, first 2 shown]
	v_cmpx_lt_u32_e64 v9, v26
	s_cbranch_execz .LBB756_523
; %bb.516:
	v_cmp_lt_u32_e64 s19, v8, v25
	s_delay_alu instid0(VALU_DEP_1) | instskip(NEXT) | instid1(SALU_CYCLE_1)
	s_and_b32 s3, s19, s16
	s_and_saveexec_b32 s22, s3
	s_cbranch_execz .LBB756_522
; %bb.517:
	v_mul_lo_u32 v33, v29, s8
	v_mul_lo_u32 v34, v30, s9
	v_mad_u64_u32 v[4:5], null, v30, s8, 0
	v_mul_lo_u32 v35, v31, s8
	v_mul_lo_u32 v36, v32, s9
	v_mad_u64_u32 v[6:7], null, v32, s8, 0
	s_mov_b32 s23, 0
	s_mov_b64 s[12:13], s[8:9]
	s_delay_alu instid0(VALU_DEP_4) | instskip(NEXT) | instid1(VALU_DEP_2)
	v_add3_u32 v5, v5, v34, v33
                                        ; implicit-def: $sgpr24
                                        ; implicit-def: $sgpr25
                                        ; implicit-def: $sgpr26
                                        ; implicit-def: $sgpr27
                                        ; implicit-def: $sgpr28
	v_add3_u32 v7, v7, v36, v35
	s_delay_alu instid0(VALU_DEP_2) | instskip(NEXT) | instid1(VALU_DEP_2)
	v_lshlrev_b64 v[4:5], 3, v[4:5]
	v_lshlrev_b64 v[6:7], 3, v[6:7]
	s_delay_alu instid0(VALU_DEP_2) | instskip(NEXT) | instid1(VALU_DEP_3)
	v_add_co_u32 v4, vcc_lo, s10, v4
	v_add_co_ci_u32_e32 v5, vcc_lo, s11, v5, vcc_lo
	s_delay_alu instid0(VALU_DEP_3) | instskip(NEXT) | instid1(VALU_DEP_4)
	v_add_co_u32 v6, vcc_lo, s10, v6
	v_add_co_ci_u32_e32 v7, vcc_lo, s11, v7, vcc_lo
	s_set_inst_prefetch_distance 0x1
	s_branch .LBB756_519
	.p2align	6
.LBB756_518:                            ;   in Loop: Header=BB756_519 Depth=1
	s_or_b32 exec_lo, exec_lo, s3
	s_delay_alu instid0(SALU_CYCLE_1) | instskip(NEXT) | instid1(SALU_CYCLE_1)
	s_and_b32 s3, exec_lo, s25
	s_or_b32 s23, s3, s23
	s_and_not1_b32 s3, s28, exec_lo
	s_and_b32 s4, s27, exec_lo
	s_and_not1_b32 s24, s24, exec_lo
	s_and_b32 s29, s26, exec_lo
	s_or_b32 s28, s3, s4
	s_or_b32 s24, s24, s29
	s_and_not1_b32 exec_lo, exec_lo, s23
	s_cbranch_execz .LBB756_521
.LBB756_519:                            ; =>This Inner Loop Header: Depth=1
	global_load_b64 v[33:34], v[4:5], off
	global_load_b64 v[35:36], v[6:7], off
	s_and_not1_b32 s27, s27, exec_lo
	s_or_b32 s25, s25, exec_lo
	s_waitcnt vmcnt(0)
	v_cmp_ngt_f64_e32 vcc_lo, v[33:34], v[35:36]
	v_cmp_lt_f64_e64 s3, v[33:34], v[35:36]
	s_and_b32 s29, vcc_lo, s28
	s_delay_alu instid0(VALU_DEP_1) | instid1(SALU_CYCLE_1)
	s_or_b32 s29, s3, s29
	s_and_not1_b32 s3, s26, exec_lo
	s_and_b32 s26, s29, exec_lo
	s_delay_alu instid0(SALU_CYCLE_1)
	s_or_b32 s26, s3, s26
	s_mov_b32 s3, exec_lo
	v_cmpx_nlg_f64_e32 v[33:34], v[35:36]
	s_cbranch_execz .LBB756_518
; %bb.520:                              ;   in Loop: Header=BB756_519 Depth=1
	s_add_u32 s12, s12, -1
	s_addc_u32 s13, s13, -1
	v_add_co_u32 v4, vcc_lo, v4, 8
	s_cmp_eq_u64 s[12:13], 0
	v_add_co_ci_u32_e32 v5, vcc_lo, 0, v5, vcc_lo
	v_add_co_u32 v6, vcc_lo, v6, 8
	s_cselect_b32 s4, -1, 0
	v_add_co_ci_u32_e32 v7, vcc_lo, 0, v7, vcc_lo
	s_and_not1_b32 s27, s27, exec_lo
	s_and_b32 s28, s29, exec_lo
	s_and_not1_b32 s25, s25, exec_lo
	s_and_b32 s4, s4, exec_lo
	s_or_b32 s27, s27, s28
	s_and_not1_b32 s26, s26, exec_lo
	s_or_b32 s25, s25, s4
                                        ; implicit-def: $sgpr28
	s_branch .LBB756_518
.LBB756_521:
	s_set_inst_prefetch_distance 0x2
	s_or_b32 exec_lo, exec_lo, s23
	s_xor_b32 s3, s24, -1
	s_and_not1_b32 s4, s19, exec_lo
	s_and_b32 s3, s3, exec_lo
	s_delay_alu instid0(SALU_CYCLE_1)
	s_or_b32 s19, s4, s3
.LBB756_522:
	s_or_b32 exec_lo, exec_lo, s22
	s_delay_alu instid0(SALU_CYCLE_1)
	s_or_not1_b32 s19, s19, exec_lo
.LBB756_523:
	s_or_b32 exec_lo, exec_lo, s21
	v_cndmask_b32_e64 v4, v9, v8, s19
	v_cndmask_b32_e64 v5, v26, v25, s19
	s_mov_b32 s21, exec_lo
	s_delay_alu instid0(VALU_DEP_2) | instskip(NEXT) | instid1(VALU_DEP_2)
	v_add_nc_u32_e32 v33, 1, v4
	v_add_nc_u32_e32 v4, -1, v5
	s_delay_alu instid0(VALU_DEP_2) | instskip(NEXT) | instid1(VALU_DEP_2)
	v_cndmask_b32_e64 v9, v33, v9, s19
	v_min_u32_e32 v4, v33, v4
	s_delay_alu instid0(VALU_DEP_1)
	v_lshl_add_u32 v4, v4, 3, v19
	ds_load_b64 v[4:5], v4
	s_waitcnt lgkmcnt(0)
	v_cndmask_b32_e64 v7, v31, v5, s19
	v_cndmask_b32_e64 v6, v32, v4, s19
	v_cmpx_lt_u32_e64 v9, v26
	s_cbranch_execz .LBB756_531
; %bb.524:
	v_cndmask_b32_e64 v8, v8, v33, s19
	v_cndmask_b32_e64 v26, v5, v29, s19
	v_cndmask_b32_e64 v33, v4, v30, s19
	s_delay_alu instid0(VALU_DEP_3) | instskip(NEXT) | instid1(VALU_DEP_2)
	v_cmp_ge_u32_e32 vcc_lo, v8, v25
	v_dual_cndmask_b32 v5, v7, v26 :: v_dual_cndmask_b32 v4, v6, v33
	s_or_b32 s3, vcc_lo, s5
	s_delay_alu instid0(SALU_CYCLE_1) | instskip(NEXT) | instid1(SALU_CYCLE_1)
	s_xor_b32 s3, s3, -1
	s_and_saveexec_b32 s22, s3
	s_cbranch_execz .LBB756_530
; %bb.525:
	v_mul_lo_u32 v25, v26, s8
	v_mul_lo_u32 v34, v33, s9
	v_mad_u64_u32 v[4:5], null, v33, s8, 0
	v_mul_lo_u32 v35, v7, s8
	v_mul_lo_u32 v36, v6, s9
	v_mad_u64_u32 v[8:9], null, v6, s8, 0
	s_mov_b32 s23, 0
	s_mov_b64 s[12:13], s[8:9]
	s_delay_alu instid0(VALU_DEP_4) | instskip(NEXT) | instid1(VALU_DEP_2)
	v_add3_u32 v5, v5, v34, v25
                                        ; implicit-def: $sgpr24
                                        ; implicit-def: $sgpr25
                                        ; implicit-def: $sgpr26
                                        ; implicit-def: $sgpr27
                                        ; implicit-def: $sgpr28
	v_add3_u32 v9, v9, v36, v35
	s_delay_alu instid0(VALU_DEP_2) | instskip(NEXT) | instid1(VALU_DEP_2)
	v_lshlrev_b64 v[4:5], 3, v[4:5]
	v_lshlrev_b64 v[8:9], 3, v[8:9]
	s_delay_alu instid0(VALU_DEP_2) | instskip(NEXT) | instid1(VALU_DEP_3)
	v_add_co_u32 v4, vcc_lo, s10, v4
	v_add_co_ci_u32_e32 v5, vcc_lo, s11, v5, vcc_lo
	s_delay_alu instid0(VALU_DEP_3) | instskip(NEXT) | instid1(VALU_DEP_4)
	v_add_co_u32 v8, vcc_lo, s10, v8
	v_add_co_ci_u32_e32 v9, vcc_lo, s11, v9, vcc_lo
	s_set_inst_prefetch_distance 0x1
	s_branch .LBB756_527
	.p2align	6
.LBB756_526:                            ;   in Loop: Header=BB756_527 Depth=1
	s_or_b32 exec_lo, exec_lo, s3
	s_delay_alu instid0(SALU_CYCLE_1) | instskip(NEXT) | instid1(SALU_CYCLE_1)
	s_and_b32 s3, exec_lo, s25
	s_or_b32 s23, s3, s23
	s_and_not1_b32 s3, s28, exec_lo
	s_and_b32 s4, s27, exec_lo
	s_and_not1_b32 s24, s24, exec_lo
	s_and_b32 s29, s26, exec_lo
	s_or_b32 s28, s3, s4
	s_or_b32 s24, s24, s29
	s_and_not1_b32 exec_lo, exec_lo, s23
	s_cbranch_execz .LBB756_529
.LBB756_527:                            ; =>This Inner Loop Header: Depth=1
	global_load_b64 v[34:35], v[4:5], off
	global_load_b64 v[36:37], v[8:9], off
	s_and_not1_b32 s27, s27, exec_lo
	s_or_b32 s25, s25, exec_lo
	s_waitcnt vmcnt(0)
	v_cmp_ngt_f64_e32 vcc_lo, v[34:35], v[36:37]
	v_cmp_lt_f64_e64 s3, v[34:35], v[36:37]
	s_and_b32 s29, vcc_lo, s28
	s_delay_alu instid0(VALU_DEP_1) | instid1(SALU_CYCLE_1)
	s_or_b32 s29, s3, s29
	s_and_not1_b32 s3, s26, exec_lo
	s_and_b32 s26, s29, exec_lo
	s_delay_alu instid0(SALU_CYCLE_1)
	s_or_b32 s26, s3, s26
	s_mov_b32 s3, exec_lo
	v_cmpx_nlg_f64_e32 v[34:35], v[36:37]
	s_cbranch_execz .LBB756_526
; %bb.528:                              ;   in Loop: Header=BB756_527 Depth=1
	s_add_u32 s12, s12, -1
	s_addc_u32 s13, s13, -1
	v_add_co_u32 v4, vcc_lo, v4, 8
	s_cmp_eq_u64 s[12:13], 0
	v_add_co_ci_u32_e32 v5, vcc_lo, 0, v5, vcc_lo
	v_add_co_u32 v8, vcc_lo, v8, 8
	s_cselect_b32 s4, -1, 0
	v_add_co_ci_u32_e32 v9, vcc_lo, 0, v9, vcc_lo
	s_and_not1_b32 s27, s27, exec_lo
	s_and_b32 s28, s29, exec_lo
	s_and_not1_b32 s25, s25, exec_lo
	s_and_b32 s4, s4, exec_lo
	s_or_b32 s27, s27, s28
	s_and_not1_b32 s26, s26, exec_lo
	s_or_b32 s25, s25, s4
                                        ; implicit-def: $sgpr28
	s_branch .LBB756_526
.LBB756_529:
	s_set_inst_prefetch_distance 0x2
	s_or_b32 exec_lo, exec_lo, s23
	v_cndmask_b32_e64 v5, v7, v26, s24
	v_cndmask_b32_e64 v4, v6, v33, s24
.LBB756_530:
	s_or_b32 exec_lo, exec_lo, s22
	s_delay_alu instid0(VALU_DEP_1)
	v_dual_mov_b32 v7, v5 :: v_dual_mov_b32 v6, v4
.LBB756_531:
	s_or_b32 exec_lo, exec_lo, s21
	v_cndmask_b32_e64 v1, v3, v1, s15
	v_cndmask_b32_e64 v0, v2, v0, s15
	;; [unrolled: 1-line block ×6, first 2 shown]
.LBB756_532:
	s_or_b32 exec_lo, exec_lo, s14
	v_and_b32_e32 v29, 0x70, v21
	v_and_b32_e32 v9, 12, v21
	s_mov_b32 s19, exec_lo
	; wave barrier
	s_delay_alu instid0(VALU_DEP_2) | instskip(NEXT) | instid1(VALU_DEP_2)
	v_or_b32_e32 v8, 8, v29
	v_min_u32_e32 v30, v20, v9
	v_lshl_add_u32 v28, v29, 3, v19
	ds_store_b128 v24, v[0:3]
	ds_store_b128 v24, v[4:7] offset:16
	v_min_u32_e32 v25, v20, v8
	; wave barrier
	s_delay_alu instid0(VALU_DEP_1) | instskip(SKIP_1) | instid1(VALU_DEP_2)
	v_add_nc_u32_e32 v8, 8, v25
	v_sub_nc_u32_e32 v9, v25, v29
	v_min_u32_e32 v26, v20, v8
	s_delay_alu instid0(VALU_DEP_2) | instskip(NEXT) | instid1(VALU_DEP_2)
	v_min_u32_e32 v31, v30, v9
	v_sub_nc_u32_e32 v8, v26, v25
	s_delay_alu instid0(VALU_DEP_1) | instskip(NEXT) | instid1(VALU_DEP_1)
	v_sub_nc_u32_e64 v27, v30, v8 clamp
	v_cmpx_lt_u32_e64 v27, v31
	s_cbranch_execz .LBB756_542
; %bb.533:
	v_lshlrev_b32_e32 v8, 3, v25
	v_lshlrev_b32_e32 v9, 3, v30
	s_lshl_b64 s[12:13], s[8:9], 3
	s_mov_b32 s20, 0
	s_delay_alu instid0(VALU_DEP_1)
	v_add3_u32 v32, v19, v8, v9
	s_branch .LBB756_536
.LBB756_534:                            ;   in Loop: Header=BB756_536 Depth=1
	s_set_inst_prefetch_distance 0x2
	s_or_b32 exec_lo, exec_lo, s21
.LBB756_535:                            ;   in Loop: Header=BB756_536 Depth=1
	s_delay_alu instid0(VALU_DEP_1) | instskip(SKIP_1) | instid1(VALU_DEP_2)
	v_add_nc_u32_e32 v8, 1, v33
	v_cndmask_b32_e64 v31, v31, v33, s22
	v_cndmask_b32_e64 v27, v8, v27, s22
	s_delay_alu instid0(VALU_DEP_1) | instskip(SKIP_1) | instid1(SALU_CYCLE_1)
	v_cmp_ge_u32_e32 vcc_lo, v27, v31
	s_or_b32 s20, vcc_lo, s20
	s_and_not1_b32 exec_lo, exec_lo, s20
	s_cbranch_execz .LBB756_541
.LBB756_536:                            ; =>This Loop Header: Depth=1
                                        ;     Child Loop BB756_539 Depth 2
	v_add_nc_u32_e32 v8, v31, v27
	v_cmp_ne_u32_e32 vcc_lo, 1, v18
	s_mov_b32 s22, 0
	s_delay_alu instid0(VALU_DEP_2)
	v_lshrrev_b32_e32 v33, 1, v8
	s_cbranch_vccnz .LBB756_535
; %bb.537:                              ;   in Loop: Header=BB756_536 Depth=1
	s_delay_alu instid0(VALU_DEP_1) | instskip(SKIP_3) | instid1(VALU_DEP_2)
	v_not_b32_e32 v8, v33
	v_lshl_add_u32 v9, v33, 3, v28
	s_mov_b32 s21, 0
	s_mov_b64 s[14:15], s[8:9]
                                        ; implicit-def: $sgpr22
                                        ; implicit-def: $sgpr23
                                        ; implicit-def: $sgpr24
                                        ; implicit-def: $sgpr25
                                        ; implicit-def: $sgpr26
	v_lshl_add_u32 v8, v8, 3, v32
	ds_load_b64 v[10:11], v8
	ds_load_b64 v[34:35], v9
	s_waitcnt lgkmcnt(1)
	v_mul_lo_u32 v36, s12, v11
	v_mul_lo_u32 v37, s13, v10
	v_mad_u64_u32 v[8:9], null, s12, v10, s[10:11]
	s_waitcnt lgkmcnt(0)
	v_mul_lo_u32 v35, s12, v35
	v_mul_lo_u32 v38, s13, v34
	v_mad_u64_u32 v[10:11], null, s12, v34, s[10:11]
	s_delay_alu instid0(VALU_DEP_4) | instskip(NEXT) | instid1(VALU_DEP_2)
	v_add3_u32 v9, v37, v9, v36
	v_add3_u32 v11, v38, v11, v35
	s_set_inst_prefetch_distance 0x1
	s_branch .LBB756_539
	.p2align	6
.LBB756_538:                            ;   in Loop: Header=BB756_539 Depth=2
	s_or_b32 exec_lo, exec_lo, s27
	s_delay_alu instid0(SALU_CYCLE_1) | instskip(NEXT) | instid1(SALU_CYCLE_1)
	s_and_b32 s3, exec_lo, s23
	s_or_b32 s21, s3, s21
	s_and_not1_b32 s3, s26, exec_lo
	s_and_b32 s4, s24, exec_lo
	s_and_not1_b32 s22, s22, exec_lo
	s_and_b32 s27, s25, exec_lo
	s_or_b32 s26, s3, s4
	s_or_b32 s22, s22, s27
	s_and_not1_b32 exec_lo, exec_lo, s21
	s_cbranch_execz .LBB756_534
.LBB756_539:                            ;   Parent Loop BB756_536 Depth=1
                                        ; =>  This Inner Loop Header: Depth=2
	global_load_b64 v[34:35], v[8:9], off
	global_load_b64 v[36:37], v[10:11], off
	s_and_not1_b32 s25, s25, exec_lo
	s_and_not1_b32 s24, s24, exec_lo
	s_or_b32 s23, s23, exec_lo
	s_waitcnt vmcnt(0)
	v_cmp_ngt_f64_e32 vcc_lo, v[34:35], v[36:37]
	v_cmp_lt_f64_e64 s3, v[34:35], v[36:37]
	s_and_b32 s27, vcc_lo, s26
	s_delay_alu instid0(VALU_DEP_1) | instid1(SALU_CYCLE_1)
	s_or_b32 s3, s3, s27
	s_delay_alu instid0(SALU_CYCLE_1) | instskip(NEXT) | instid1(SALU_CYCLE_1)
	s_and_b32 s27, s3, exec_lo
	s_or_b32 s25, s25, s27
	s_mov_b32 s27, exec_lo
	v_cmpx_nlg_f64_e32 v[34:35], v[36:37]
	s_cbranch_execz .LBB756_538
; %bb.540:                              ;   in Loop: Header=BB756_539 Depth=2
	s_add_u32 s14, s14, -1
	s_addc_u32 s15, s15, -1
	v_add_co_u32 v8, vcc_lo, v8, 8
	v_add_co_ci_u32_e32 v9, vcc_lo, 0, v9, vcc_lo
	s_cmp_eq_u64 s[14:15], 0
	v_add_co_u32 v10, vcc_lo, v10, 8
	s_cselect_b32 s4, -1, 0
	v_add_co_ci_u32_e32 v11, vcc_lo, 0, v11, vcc_lo
	s_and_not1_b32 s24, s24, exec_lo
	s_and_b32 s3, s3, exec_lo
	s_and_not1_b32 s23, s23, exec_lo
	s_and_b32 s4, s4, exec_lo
	s_and_not1_b32 s25, s25, exec_lo
	s_or_b32 s24, s24, s3
	s_or_b32 s23, s23, s4
                                        ; implicit-def: $sgpr26
	s_branch .LBB756_538
.LBB756_541:
	s_or_b32 exec_lo, exec_lo, s20
.LBB756_542:
	s_delay_alu instid0(SALU_CYCLE_1) | instskip(SKIP_2) | instid1(VALU_DEP_2)
	s_or_b32 exec_lo, exec_lo, s19
	v_add_nc_u32_e32 v9, v25, v30
	v_add_nc_u32_e32 v8, v27, v29
	v_sub_nc_u32_e32 v9, v9, v27
	s_delay_alu instid0(VALU_DEP_2) | instskip(NEXT) | instid1(VALU_DEP_2)
	v_cmp_le_u32_e32 vcc_lo, v8, v25
	v_cmp_le_u32_e64 s3, v9, v26
	s_delay_alu instid0(VALU_DEP_1) | instskip(NEXT) | instid1(SALU_CYCLE_1)
	s_or_b32 s3, vcc_lo, s3
	s_and_saveexec_b32 s14, s3
	s_cbranch_execz .LBB756_578
; %bb.543:
	v_cmp_ge_u32_e32 vcc_lo, v8, v25
	s_mov_b32 s4, exec_lo
                                        ; implicit-def: $vgpr0_vgpr1
	v_cmpx_lt_u32_e64 v8, v25
	s_cbranch_execz .LBB756_545
; %bb.544:
	v_lshl_add_u32 v0, v27, 3, v28
	ds_load_b64 v[0:1], v0
.LBB756_545:
	s_or_b32 exec_lo, exec_lo, s4
	v_cmp_ge_u32_e64 s3, v9, v26
	s_mov_b32 s12, exec_lo
                                        ; implicit-def: $vgpr2_vgpr3
	v_cmpx_lt_u32_e64 v9, v26
	s_cbranch_execz .LBB756_547
; %bb.546:
	v_lshl_add_u32 v2, v9, 3, v19
	ds_load_b64 v[2:3], v2
.LBB756_547:
	s_or_b32 exec_lo, exec_lo, s12
	s_or_b32 s4, vcc_lo, s3
	s_xor_b32 s12, vcc_lo, -1
	s_or_b32 s4, s4, s5
	s_or_b32 s15, s3, s12
	s_xor_b32 s4, s4, -1
	s_delay_alu instid0(SALU_CYCLE_1)
	s_and_saveexec_b32 s19, s4
	s_cbranch_execz .LBB756_553
; %bb.548:
	s_waitcnt lgkmcnt(0)
	v_mul_lo_u32 v10, v3, s8
	v_mul_lo_u32 v11, v2, s9
	v_mad_u64_u32 v[4:5], null, v2, s8, 0
	v_mul_lo_u32 v27, v1, s8
	v_mul_lo_u32 v28, v0, s9
	v_mad_u64_u32 v[6:7], null, v0, s8, 0
	s_mov_b32 s20, 0
	s_mov_b64 s[12:13], s[8:9]
	s_delay_alu instid0(VALU_DEP_4) | instskip(NEXT) | instid1(VALU_DEP_2)
	v_add3_u32 v5, v5, v11, v10
                                        ; implicit-def: $sgpr21
                                        ; implicit-def: $sgpr22
                                        ; implicit-def: $sgpr23
                                        ; implicit-def: $sgpr24
                                        ; implicit-def: $sgpr25
	v_add3_u32 v7, v7, v28, v27
	s_delay_alu instid0(VALU_DEP_2) | instskip(NEXT) | instid1(VALU_DEP_2)
	v_lshlrev_b64 v[4:5], 3, v[4:5]
	v_lshlrev_b64 v[6:7], 3, v[6:7]
	s_delay_alu instid0(VALU_DEP_2) | instskip(NEXT) | instid1(VALU_DEP_3)
	v_add_co_u32 v4, vcc_lo, s10, v4
	v_add_co_ci_u32_e32 v5, vcc_lo, s11, v5, vcc_lo
	s_delay_alu instid0(VALU_DEP_3) | instskip(NEXT) | instid1(VALU_DEP_4)
	v_add_co_u32 v6, vcc_lo, s10, v6
	v_add_co_ci_u32_e32 v7, vcc_lo, s11, v7, vcc_lo
	s_set_inst_prefetch_distance 0x1
	s_branch .LBB756_550
	.p2align	6
.LBB756_549:                            ;   in Loop: Header=BB756_550 Depth=1
	s_or_b32 exec_lo, exec_lo, s3
	s_delay_alu instid0(SALU_CYCLE_1) | instskip(NEXT) | instid1(SALU_CYCLE_1)
	s_and_b32 s3, exec_lo, s22
	s_or_b32 s20, s3, s20
	s_and_not1_b32 s3, s25, exec_lo
	s_and_b32 s4, s24, exec_lo
	s_and_not1_b32 s21, s21, exec_lo
	s_and_b32 s26, s23, exec_lo
	s_or_b32 s25, s3, s4
	s_or_b32 s21, s21, s26
	s_and_not1_b32 exec_lo, exec_lo, s20
	s_cbranch_execz .LBB756_552
.LBB756_550:                            ; =>This Inner Loop Header: Depth=1
	global_load_b64 v[10:11], v[4:5], off
	global_load_b64 v[27:28], v[6:7], off
	s_and_not1_b32 s24, s24, exec_lo
	s_or_b32 s22, s22, exec_lo
	s_waitcnt vmcnt(0)
	v_cmp_ngt_f64_e32 vcc_lo, v[10:11], v[27:28]
	v_cmp_lt_f64_e64 s3, v[10:11], v[27:28]
	s_and_b32 s26, vcc_lo, s25
	s_delay_alu instid0(VALU_DEP_1) | instid1(SALU_CYCLE_1)
	s_or_b32 s26, s3, s26
	s_and_not1_b32 s3, s23, exec_lo
	s_and_b32 s23, s26, exec_lo
	s_delay_alu instid0(SALU_CYCLE_1)
	s_or_b32 s23, s3, s23
	s_mov_b32 s3, exec_lo
	v_cmpx_nlg_f64_e32 v[10:11], v[27:28]
	s_cbranch_execz .LBB756_549
; %bb.551:                              ;   in Loop: Header=BB756_550 Depth=1
	s_add_u32 s12, s12, -1
	s_addc_u32 s13, s13, -1
	v_add_co_u32 v4, vcc_lo, v4, 8
	s_cmp_eq_u64 s[12:13], 0
	v_add_co_ci_u32_e32 v5, vcc_lo, 0, v5, vcc_lo
	v_add_co_u32 v6, vcc_lo, v6, 8
	s_cselect_b32 s4, -1, 0
	v_add_co_ci_u32_e32 v7, vcc_lo, 0, v7, vcc_lo
	s_and_not1_b32 s24, s24, exec_lo
	s_and_b32 s25, s26, exec_lo
	s_and_not1_b32 s22, s22, exec_lo
	s_and_b32 s4, s4, exec_lo
	s_or_b32 s24, s24, s25
	s_and_not1_b32 s23, s23, exec_lo
	s_or_b32 s22, s22, s4
                                        ; implicit-def: $sgpr25
	s_branch .LBB756_549
.LBB756_552:
	s_set_inst_prefetch_distance 0x2
	s_or_b32 exec_lo, exec_lo, s20
	s_xor_b32 s3, s21, -1
	s_and_not1_b32 s4, s15, exec_lo
	s_and_b32 s3, s3, exec_lo
	s_delay_alu instid0(SALU_CYCLE_1)
	s_or_b32 s15, s4, s3
.LBB756_553:
	s_or_b32 exec_lo, exec_lo, s19
	v_cndmask_b32_e64 v4, v9, v8, s15
	v_cndmask_b32_e64 v5, v26, v25, s15
	s_mov_b32 s19, -1
	s_mov_b32 s20, -1
	s_mov_b32 s21, exec_lo
	v_add_nc_u32_e32 v6, 1, v4
	v_add_nc_u32_e32 v4, -1, v5
	s_delay_alu instid0(VALU_DEP_2) | instskip(NEXT) | instid1(VALU_DEP_2)
	v_cndmask_b32_e64 v9, v6, v9, s15
	v_min_u32_e32 v4, v6, v4
	v_cndmask_b32_e64 v8, v8, v6, s15
	s_delay_alu instid0(VALU_DEP_2)
	v_lshl_add_u32 v4, v4, 3, v19
	ds_load_b64 v[4:5], v4
	s_waitcnt lgkmcnt(0)
	v_cndmask_b32_e64 v10, v5, v3, s15
	v_cndmask_b32_e64 v11, v4, v2, s15
	;; [unrolled: 1-line block ×4, first 2 shown]
	v_cmpx_lt_u32_e64 v9, v26
	s_cbranch_execz .LBB756_561
; %bb.554:
	v_cmp_lt_u32_e64 s20, v8, v25
	s_delay_alu instid0(VALU_DEP_1) | instskip(NEXT) | instid1(SALU_CYCLE_1)
	s_and_b32 s3, s20, s16
	s_and_saveexec_b32 s22, s3
	s_cbranch_execz .LBB756_560
; %bb.555:
	v_mul_lo_u32 v29, v10, s8
	v_mul_lo_u32 v30, v11, s9
	v_mad_u64_u32 v[4:5], null, v11, s8, 0
	v_mul_lo_u32 v31, v27, s8
	v_mul_lo_u32 v32, v28, s9
	v_mad_u64_u32 v[6:7], null, v28, s8, 0
	s_mov_b32 s23, 0
	s_mov_b64 s[12:13], s[8:9]
	s_delay_alu instid0(VALU_DEP_4) | instskip(NEXT) | instid1(VALU_DEP_2)
	v_add3_u32 v5, v5, v30, v29
                                        ; implicit-def: $sgpr24
                                        ; implicit-def: $sgpr25
                                        ; implicit-def: $sgpr26
                                        ; implicit-def: $sgpr27
                                        ; implicit-def: $sgpr28
	v_add3_u32 v7, v7, v32, v31
	s_delay_alu instid0(VALU_DEP_2) | instskip(NEXT) | instid1(VALU_DEP_2)
	v_lshlrev_b64 v[4:5], 3, v[4:5]
	v_lshlrev_b64 v[6:7], 3, v[6:7]
	s_delay_alu instid0(VALU_DEP_2) | instskip(NEXT) | instid1(VALU_DEP_3)
	v_add_co_u32 v4, vcc_lo, s10, v4
	v_add_co_ci_u32_e32 v5, vcc_lo, s11, v5, vcc_lo
	s_delay_alu instid0(VALU_DEP_3) | instskip(NEXT) | instid1(VALU_DEP_4)
	v_add_co_u32 v6, vcc_lo, s10, v6
	v_add_co_ci_u32_e32 v7, vcc_lo, s11, v7, vcc_lo
	s_set_inst_prefetch_distance 0x1
	s_branch .LBB756_557
	.p2align	6
.LBB756_556:                            ;   in Loop: Header=BB756_557 Depth=1
	s_or_b32 exec_lo, exec_lo, s3
	s_delay_alu instid0(SALU_CYCLE_1) | instskip(NEXT) | instid1(SALU_CYCLE_1)
	s_and_b32 s3, exec_lo, s25
	s_or_b32 s23, s3, s23
	s_and_not1_b32 s3, s28, exec_lo
	s_and_b32 s4, s27, exec_lo
	s_and_not1_b32 s24, s24, exec_lo
	s_and_b32 s29, s26, exec_lo
	s_or_b32 s28, s3, s4
	s_or_b32 s24, s24, s29
	s_and_not1_b32 exec_lo, exec_lo, s23
	s_cbranch_execz .LBB756_559
.LBB756_557:                            ; =>This Inner Loop Header: Depth=1
	global_load_b64 v[29:30], v[4:5], off
	global_load_b64 v[31:32], v[6:7], off
	s_and_not1_b32 s27, s27, exec_lo
	s_or_b32 s25, s25, exec_lo
	s_waitcnt vmcnt(0)
	v_cmp_ngt_f64_e32 vcc_lo, v[29:30], v[31:32]
	v_cmp_lt_f64_e64 s3, v[29:30], v[31:32]
	s_and_b32 s29, vcc_lo, s28
	s_delay_alu instid0(VALU_DEP_1) | instid1(SALU_CYCLE_1)
	s_or_b32 s29, s3, s29
	s_and_not1_b32 s3, s26, exec_lo
	s_and_b32 s26, s29, exec_lo
	s_delay_alu instid0(SALU_CYCLE_1)
	s_or_b32 s26, s3, s26
	s_mov_b32 s3, exec_lo
	v_cmpx_nlg_f64_e32 v[29:30], v[31:32]
	s_cbranch_execz .LBB756_556
; %bb.558:                              ;   in Loop: Header=BB756_557 Depth=1
	s_add_u32 s12, s12, -1
	s_addc_u32 s13, s13, -1
	v_add_co_u32 v4, vcc_lo, v4, 8
	s_cmp_eq_u64 s[12:13], 0
	v_add_co_ci_u32_e32 v5, vcc_lo, 0, v5, vcc_lo
	v_add_co_u32 v6, vcc_lo, v6, 8
	s_cselect_b32 s4, -1, 0
	v_add_co_ci_u32_e32 v7, vcc_lo, 0, v7, vcc_lo
	s_and_not1_b32 s27, s27, exec_lo
	s_and_b32 s28, s29, exec_lo
	s_and_not1_b32 s25, s25, exec_lo
	s_and_b32 s4, s4, exec_lo
	s_or_b32 s27, s27, s28
	s_and_not1_b32 s26, s26, exec_lo
	s_or_b32 s25, s25, s4
                                        ; implicit-def: $sgpr28
	s_branch .LBB756_556
.LBB756_559:
	s_set_inst_prefetch_distance 0x2
	s_or_b32 exec_lo, exec_lo, s23
	s_xor_b32 s3, s24, -1
	s_and_not1_b32 s4, s20, exec_lo
	s_and_b32 s3, s3, exec_lo
	s_delay_alu instid0(SALU_CYCLE_1)
	s_or_b32 s20, s4, s3
.LBB756_560:
	s_or_b32 exec_lo, exec_lo, s22
	s_delay_alu instid0(SALU_CYCLE_1)
	s_or_not1_b32 s20, s20, exec_lo
.LBB756_561:
	s_or_b32 exec_lo, exec_lo, s21
	v_cndmask_b32_e64 v4, v9, v8, s20
	v_cndmask_b32_e64 v5, v26, v25, s20
	s_mov_b32 s21, exec_lo
	s_delay_alu instid0(VALU_DEP_2) | instskip(NEXT) | instid1(VALU_DEP_2)
	v_add_nc_u32_e32 v6, 1, v4
	v_add_nc_u32_e32 v4, -1, v5
	s_delay_alu instid0(VALU_DEP_2) | instskip(NEXT) | instid1(VALU_DEP_2)
	v_cndmask_b32_e64 v9, v6, v9, s20
	v_min_u32_e32 v4, v6, v4
	v_cndmask_b32_e64 v8, v8, v6, s20
	s_delay_alu instid0(VALU_DEP_2)
	v_lshl_add_u32 v4, v4, 3, v19
	ds_load_b64 v[4:5], v4
	s_waitcnt lgkmcnt(0)
	v_cndmask_b32_e64 v29, v5, v10, s20
	v_cndmask_b32_e64 v30, v4, v11, s20
	;; [unrolled: 1-line block ×4, first 2 shown]
	v_cmpx_lt_u32_e64 v9, v26
	s_cbranch_execz .LBB756_569
; %bb.562:
	v_cmp_lt_u32_e64 s19, v8, v25
	s_delay_alu instid0(VALU_DEP_1) | instskip(NEXT) | instid1(SALU_CYCLE_1)
	s_and_b32 s3, s19, s16
	s_and_saveexec_b32 s22, s3
	s_cbranch_execz .LBB756_568
; %bb.563:
	v_mul_lo_u32 v33, v29, s8
	v_mul_lo_u32 v34, v30, s9
	v_mad_u64_u32 v[4:5], null, v30, s8, 0
	v_mul_lo_u32 v35, v31, s8
	v_mul_lo_u32 v36, v32, s9
	v_mad_u64_u32 v[6:7], null, v32, s8, 0
	s_mov_b32 s23, 0
	s_mov_b64 s[12:13], s[8:9]
	s_delay_alu instid0(VALU_DEP_4) | instskip(NEXT) | instid1(VALU_DEP_2)
	v_add3_u32 v5, v5, v34, v33
                                        ; implicit-def: $sgpr24
                                        ; implicit-def: $sgpr25
                                        ; implicit-def: $sgpr26
                                        ; implicit-def: $sgpr27
                                        ; implicit-def: $sgpr28
	v_add3_u32 v7, v7, v36, v35
	s_delay_alu instid0(VALU_DEP_2) | instskip(NEXT) | instid1(VALU_DEP_2)
	v_lshlrev_b64 v[4:5], 3, v[4:5]
	v_lshlrev_b64 v[6:7], 3, v[6:7]
	s_delay_alu instid0(VALU_DEP_2) | instskip(NEXT) | instid1(VALU_DEP_3)
	v_add_co_u32 v4, vcc_lo, s10, v4
	v_add_co_ci_u32_e32 v5, vcc_lo, s11, v5, vcc_lo
	s_delay_alu instid0(VALU_DEP_3) | instskip(NEXT) | instid1(VALU_DEP_4)
	v_add_co_u32 v6, vcc_lo, s10, v6
	v_add_co_ci_u32_e32 v7, vcc_lo, s11, v7, vcc_lo
	s_set_inst_prefetch_distance 0x1
	s_branch .LBB756_565
	.p2align	6
.LBB756_564:                            ;   in Loop: Header=BB756_565 Depth=1
	s_or_b32 exec_lo, exec_lo, s3
	s_delay_alu instid0(SALU_CYCLE_1) | instskip(NEXT) | instid1(SALU_CYCLE_1)
	s_and_b32 s3, exec_lo, s25
	s_or_b32 s23, s3, s23
	s_and_not1_b32 s3, s28, exec_lo
	s_and_b32 s4, s27, exec_lo
	s_and_not1_b32 s24, s24, exec_lo
	s_and_b32 s29, s26, exec_lo
	s_or_b32 s28, s3, s4
	s_or_b32 s24, s24, s29
	s_and_not1_b32 exec_lo, exec_lo, s23
	s_cbranch_execz .LBB756_567
.LBB756_565:                            ; =>This Inner Loop Header: Depth=1
	global_load_b64 v[33:34], v[4:5], off
	global_load_b64 v[35:36], v[6:7], off
	s_and_not1_b32 s27, s27, exec_lo
	s_or_b32 s25, s25, exec_lo
	s_waitcnt vmcnt(0)
	v_cmp_ngt_f64_e32 vcc_lo, v[33:34], v[35:36]
	v_cmp_lt_f64_e64 s3, v[33:34], v[35:36]
	s_and_b32 s29, vcc_lo, s28
	s_delay_alu instid0(VALU_DEP_1) | instid1(SALU_CYCLE_1)
	s_or_b32 s29, s3, s29
	s_and_not1_b32 s3, s26, exec_lo
	s_and_b32 s26, s29, exec_lo
	s_delay_alu instid0(SALU_CYCLE_1)
	s_or_b32 s26, s3, s26
	s_mov_b32 s3, exec_lo
	v_cmpx_nlg_f64_e32 v[33:34], v[35:36]
	s_cbranch_execz .LBB756_564
; %bb.566:                              ;   in Loop: Header=BB756_565 Depth=1
	s_add_u32 s12, s12, -1
	s_addc_u32 s13, s13, -1
	v_add_co_u32 v4, vcc_lo, v4, 8
	s_cmp_eq_u64 s[12:13], 0
	v_add_co_ci_u32_e32 v5, vcc_lo, 0, v5, vcc_lo
	v_add_co_u32 v6, vcc_lo, v6, 8
	s_cselect_b32 s4, -1, 0
	v_add_co_ci_u32_e32 v7, vcc_lo, 0, v7, vcc_lo
	s_and_not1_b32 s27, s27, exec_lo
	s_and_b32 s28, s29, exec_lo
	s_and_not1_b32 s25, s25, exec_lo
	s_and_b32 s4, s4, exec_lo
	s_or_b32 s27, s27, s28
	s_and_not1_b32 s26, s26, exec_lo
	s_or_b32 s25, s25, s4
                                        ; implicit-def: $sgpr28
	s_branch .LBB756_564
.LBB756_567:
	s_set_inst_prefetch_distance 0x2
	s_or_b32 exec_lo, exec_lo, s23
	s_xor_b32 s3, s24, -1
	s_and_not1_b32 s4, s19, exec_lo
	s_and_b32 s3, s3, exec_lo
	s_delay_alu instid0(SALU_CYCLE_1)
	s_or_b32 s19, s4, s3
.LBB756_568:
	s_or_b32 exec_lo, exec_lo, s22
	s_delay_alu instid0(SALU_CYCLE_1)
	s_or_not1_b32 s19, s19, exec_lo
.LBB756_569:
	s_or_b32 exec_lo, exec_lo, s21
	v_cndmask_b32_e64 v4, v9, v8, s19
	v_cndmask_b32_e64 v5, v26, v25, s19
	s_mov_b32 s21, exec_lo
	s_delay_alu instid0(VALU_DEP_2) | instskip(NEXT) | instid1(VALU_DEP_2)
	v_add_nc_u32_e32 v33, 1, v4
	v_add_nc_u32_e32 v4, -1, v5
	s_delay_alu instid0(VALU_DEP_2) | instskip(NEXT) | instid1(VALU_DEP_2)
	v_cndmask_b32_e64 v9, v33, v9, s19
	v_min_u32_e32 v4, v33, v4
	s_delay_alu instid0(VALU_DEP_1)
	v_lshl_add_u32 v4, v4, 3, v19
	ds_load_b64 v[4:5], v4
	s_waitcnt lgkmcnt(0)
	v_cndmask_b32_e64 v7, v31, v5, s19
	v_cndmask_b32_e64 v6, v32, v4, s19
	v_cmpx_lt_u32_e64 v9, v26
	s_cbranch_execz .LBB756_577
; %bb.570:
	v_cndmask_b32_e64 v8, v8, v33, s19
	v_cndmask_b32_e64 v26, v5, v29, s19
	;; [unrolled: 1-line block ×3, first 2 shown]
	s_delay_alu instid0(VALU_DEP_3) | instskip(NEXT) | instid1(VALU_DEP_2)
	v_cmp_ge_u32_e32 vcc_lo, v8, v25
	v_dual_cndmask_b32 v5, v7, v26 :: v_dual_cndmask_b32 v4, v6, v33
	s_or_b32 s3, vcc_lo, s5
	s_delay_alu instid0(SALU_CYCLE_1) | instskip(NEXT) | instid1(SALU_CYCLE_1)
	s_xor_b32 s3, s3, -1
	s_and_saveexec_b32 s22, s3
	s_cbranch_execz .LBB756_576
; %bb.571:
	v_mul_lo_u32 v25, v26, s8
	v_mul_lo_u32 v34, v33, s9
	v_mad_u64_u32 v[4:5], null, v33, s8, 0
	v_mul_lo_u32 v35, v7, s8
	v_mul_lo_u32 v36, v6, s9
	v_mad_u64_u32 v[8:9], null, v6, s8, 0
	s_mov_b32 s23, 0
	s_mov_b64 s[12:13], s[8:9]
	s_delay_alu instid0(VALU_DEP_4) | instskip(NEXT) | instid1(VALU_DEP_2)
	v_add3_u32 v5, v5, v34, v25
                                        ; implicit-def: $sgpr24
                                        ; implicit-def: $sgpr25
                                        ; implicit-def: $sgpr26
                                        ; implicit-def: $sgpr27
                                        ; implicit-def: $sgpr28
	v_add3_u32 v9, v9, v36, v35
	s_delay_alu instid0(VALU_DEP_2) | instskip(NEXT) | instid1(VALU_DEP_2)
	v_lshlrev_b64 v[4:5], 3, v[4:5]
	v_lshlrev_b64 v[8:9], 3, v[8:9]
	s_delay_alu instid0(VALU_DEP_2) | instskip(NEXT) | instid1(VALU_DEP_3)
	v_add_co_u32 v4, vcc_lo, s10, v4
	v_add_co_ci_u32_e32 v5, vcc_lo, s11, v5, vcc_lo
	s_delay_alu instid0(VALU_DEP_3) | instskip(NEXT) | instid1(VALU_DEP_4)
	v_add_co_u32 v8, vcc_lo, s10, v8
	v_add_co_ci_u32_e32 v9, vcc_lo, s11, v9, vcc_lo
	s_set_inst_prefetch_distance 0x1
	s_branch .LBB756_573
	.p2align	6
.LBB756_572:                            ;   in Loop: Header=BB756_573 Depth=1
	s_or_b32 exec_lo, exec_lo, s3
	s_delay_alu instid0(SALU_CYCLE_1) | instskip(NEXT) | instid1(SALU_CYCLE_1)
	s_and_b32 s3, exec_lo, s25
	s_or_b32 s23, s3, s23
	s_and_not1_b32 s3, s28, exec_lo
	s_and_b32 s4, s27, exec_lo
	s_and_not1_b32 s24, s24, exec_lo
	s_and_b32 s29, s26, exec_lo
	s_or_b32 s28, s3, s4
	s_or_b32 s24, s24, s29
	s_and_not1_b32 exec_lo, exec_lo, s23
	s_cbranch_execz .LBB756_575
.LBB756_573:                            ; =>This Inner Loop Header: Depth=1
	global_load_b64 v[34:35], v[4:5], off
	global_load_b64 v[36:37], v[8:9], off
	s_and_not1_b32 s27, s27, exec_lo
	s_or_b32 s25, s25, exec_lo
	s_waitcnt vmcnt(0)
	v_cmp_ngt_f64_e32 vcc_lo, v[34:35], v[36:37]
	v_cmp_lt_f64_e64 s3, v[34:35], v[36:37]
	s_and_b32 s29, vcc_lo, s28
	s_delay_alu instid0(VALU_DEP_1) | instid1(SALU_CYCLE_1)
	s_or_b32 s29, s3, s29
	s_and_not1_b32 s3, s26, exec_lo
	s_and_b32 s26, s29, exec_lo
	s_delay_alu instid0(SALU_CYCLE_1)
	s_or_b32 s26, s3, s26
	s_mov_b32 s3, exec_lo
	v_cmpx_nlg_f64_e32 v[34:35], v[36:37]
	s_cbranch_execz .LBB756_572
; %bb.574:                              ;   in Loop: Header=BB756_573 Depth=1
	s_add_u32 s12, s12, -1
	s_addc_u32 s13, s13, -1
	v_add_co_u32 v4, vcc_lo, v4, 8
	s_cmp_eq_u64 s[12:13], 0
	v_add_co_ci_u32_e32 v5, vcc_lo, 0, v5, vcc_lo
	v_add_co_u32 v8, vcc_lo, v8, 8
	s_cselect_b32 s4, -1, 0
	v_add_co_ci_u32_e32 v9, vcc_lo, 0, v9, vcc_lo
	s_and_not1_b32 s27, s27, exec_lo
	s_and_b32 s28, s29, exec_lo
	s_and_not1_b32 s25, s25, exec_lo
	s_and_b32 s4, s4, exec_lo
	s_or_b32 s27, s27, s28
	s_and_not1_b32 s26, s26, exec_lo
	s_or_b32 s25, s25, s4
                                        ; implicit-def: $sgpr28
	s_branch .LBB756_572
.LBB756_575:
	s_set_inst_prefetch_distance 0x2
	s_or_b32 exec_lo, exec_lo, s23
	v_cndmask_b32_e64 v5, v7, v26, s24
	v_cndmask_b32_e64 v4, v6, v33, s24
.LBB756_576:
	s_or_b32 exec_lo, exec_lo, s22
	s_delay_alu instid0(VALU_DEP_1)
	v_dual_mov_b32 v7, v5 :: v_dual_mov_b32 v6, v4
.LBB756_577:
	s_or_b32 exec_lo, exec_lo, s21
	v_cndmask_b32_e64 v1, v3, v1, s15
	v_cndmask_b32_e64 v0, v2, v0, s15
	;; [unrolled: 1-line block ×6, first 2 shown]
.LBB756_578:
	s_or_b32 exec_lo, exec_lo, s14
	v_and_b32_e32 v29, 0x60, v21
	v_and_b32_e32 v9, 28, v21
	s_mov_b32 s19, exec_lo
	; wave barrier
	s_delay_alu instid0(VALU_DEP_2) | instskip(NEXT) | instid1(VALU_DEP_2)
	v_or_b32_e32 v8, 16, v29
	v_min_u32_e32 v30, v20, v9
	v_lshl_add_u32 v28, v29, 3, v19
	ds_store_b128 v24, v[0:3]
	ds_store_b128 v24, v[4:7] offset:16
	v_min_u32_e32 v25, v20, v8
	; wave barrier
	s_delay_alu instid0(VALU_DEP_1) | instskip(SKIP_1) | instid1(VALU_DEP_2)
	v_add_nc_u32_e32 v8, 16, v25
	v_sub_nc_u32_e32 v9, v25, v29
	v_min_u32_e32 v26, v20, v8
	s_delay_alu instid0(VALU_DEP_2) | instskip(NEXT) | instid1(VALU_DEP_2)
	v_min_u32_e32 v31, v30, v9
	v_sub_nc_u32_e32 v8, v26, v25
	s_delay_alu instid0(VALU_DEP_1) | instskip(NEXT) | instid1(VALU_DEP_1)
	v_sub_nc_u32_e64 v27, v30, v8 clamp
	v_cmpx_lt_u32_e64 v27, v31
	s_cbranch_execz .LBB756_588
; %bb.579:
	v_lshlrev_b32_e32 v8, 3, v25
	v_lshlrev_b32_e32 v9, 3, v30
	s_lshl_b64 s[12:13], s[8:9], 3
	s_mov_b32 s20, 0
	s_delay_alu instid0(VALU_DEP_1)
	v_add3_u32 v32, v19, v8, v9
	s_branch .LBB756_582
.LBB756_580:                            ;   in Loop: Header=BB756_582 Depth=1
	s_set_inst_prefetch_distance 0x2
	s_or_b32 exec_lo, exec_lo, s21
.LBB756_581:                            ;   in Loop: Header=BB756_582 Depth=1
	s_delay_alu instid0(VALU_DEP_1) | instskip(SKIP_1) | instid1(VALU_DEP_2)
	v_add_nc_u32_e32 v8, 1, v33
	v_cndmask_b32_e64 v31, v31, v33, s22
	v_cndmask_b32_e64 v27, v8, v27, s22
	s_delay_alu instid0(VALU_DEP_1) | instskip(SKIP_1) | instid1(SALU_CYCLE_1)
	v_cmp_ge_u32_e32 vcc_lo, v27, v31
	s_or_b32 s20, vcc_lo, s20
	s_and_not1_b32 exec_lo, exec_lo, s20
	s_cbranch_execz .LBB756_587
.LBB756_582:                            ; =>This Loop Header: Depth=1
                                        ;     Child Loop BB756_585 Depth 2
	v_add_nc_u32_e32 v8, v31, v27
	v_cmp_ne_u32_e32 vcc_lo, 1, v18
	s_mov_b32 s22, 0
	s_delay_alu instid0(VALU_DEP_2)
	v_lshrrev_b32_e32 v33, 1, v8
	s_cbranch_vccnz .LBB756_581
; %bb.583:                              ;   in Loop: Header=BB756_582 Depth=1
	s_delay_alu instid0(VALU_DEP_1) | instskip(SKIP_3) | instid1(VALU_DEP_2)
	v_not_b32_e32 v8, v33
	v_lshl_add_u32 v9, v33, 3, v28
	s_mov_b32 s21, 0
	s_mov_b64 s[14:15], s[8:9]
                                        ; implicit-def: $sgpr22
                                        ; implicit-def: $sgpr23
                                        ; implicit-def: $sgpr24
                                        ; implicit-def: $sgpr25
                                        ; implicit-def: $sgpr26
	v_lshl_add_u32 v8, v8, 3, v32
	ds_load_b64 v[10:11], v8
	ds_load_b64 v[34:35], v9
	s_waitcnt lgkmcnt(1)
	v_mul_lo_u32 v36, s12, v11
	v_mul_lo_u32 v37, s13, v10
	v_mad_u64_u32 v[8:9], null, s12, v10, s[10:11]
	s_waitcnt lgkmcnt(0)
	v_mul_lo_u32 v35, s12, v35
	v_mul_lo_u32 v38, s13, v34
	v_mad_u64_u32 v[10:11], null, s12, v34, s[10:11]
	s_delay_alu instid0(VALU_DEP_4) | instskip(NEXT) | instid1(VALU_DEP_2)
	v_add3_u32 v9, v37, v9, v36
	v_add3_u32 v11, v38, v11, v35
	s_set_inst_prefetch_distance 0x1
	s_branch .LBB756_585
	.p2align	6
.LBB756_584:                            ;   in Loop: Header=BB756_585 Depth=2
	s_or_b32 exec_lo, exec_lo, s27
	s_delay_alu instid0(SALU_CYCLE_1) | instskip(NEXT) | instid1(SALU_CYCLE_1)
	s_and_b32 s3, exec_lo, s23
	s_or_b32 s21, s3, s21
	s_and_not1_b32 s3, s26, exec_lo
	s_and_b32 s4, s24, exec_lo
	s_and_not1_b32 s22, s22, exec_lo
	s_and_b32 s27, s25, exec_lo
	s_or_b32 s26, s3, s4
	s_or_b32 s22, s22, s27
	s_and_not1_b32 exec_lo, exec_lo, s21
	s_cbranch_execz .LBB756_580
.LBB756_585:                            ;   Parent Loop BB756_582 Depth=1
                                        ; =>  This Inner Loop Header: Depth=2
	global_load_b64 v[34:35], v[8:9], off
	global_load_b64 v[36:37], v[10:11], off
	s_and_not1_b32 s25, s25, exec_lo
	s_and_not1_b32 s24, s24, exec_lo
	s_or_b32 s23, s23, exec_lo
	s_waitcnt vmcnt(0)
	v_cmp_ngt_f64_e32 vcc_lo, v[34:35], v[36:37]
	v_cmp_lt_f64_e64 s3, v[34:35], v[36:37]
	s_and_b32 s27, vcc_lo, s26
	s_delay_alu instid0(VALU_DEP_1) | instid1(SALU_CYCLE_1)
	s_or_b32 s3, s3, s27
	s_delay_alu instid0(SALU_CYCLE_1) | instskip(NEXT) | instid1(SALU_CYCLE_1)
	s_and_b32 s27, s3, exec_lo
	s_or_b32 s25, s25, s27
	s_mov_b32 s27, exec_lo
	v_cmpx_nlg_f64_e32 v[34:35], v[36:37]
	s_cbranch_execz .LBB756_584
; %bb.586:                              ;   in Loop: Header=BB756_585 Depth=2
	s_add_u32 s14, s14, -1
	s_addc_u32 s15, s15, -1
	v_add_co_u32 v8, vcc_lo, v8, 8
	v_add_co_ci_u32_e32 v9, vcc_lo, 0, v9, vcc_lo
	s_cmp_eq_u64 s[14:15], 0
	v_add_co_u32 v10, vcc_lo, v10, 8
	s_cselect_b32 s4, -1, 0
	v_add_co_ci_u32_e32 v11, vcc_lo, 0, v11, vcc_lo
	s_and_not1_b32 s24, s24, exec_lo
	s_and_b32 s3, s3, exec_lo
	s_and_not1_b32 s23, s23, exec_lo
	s_and_b32 s4, s4, exec_lo
	s_and_not1_b32 s25, s25, exec_lo
	s_or_b32 s24, s24, s3
	s_or_b32 s23, s23, s4
                                        ; implicit-def: $sgpr26
	s_branch .LBB756_584
.LBB756_587:
	s_or_b32 exec_lo, exec_lo, s20
.LBB756_588:
	s_delay_alu instid0(SALU_CYCLE_1) | instskip(SKIP_2) | instid1(VALU_DEP_2)
	s_or_b32 exec_lo, exec_lo, s19
	v_add_nc_u32_e32 v9, v25, v30
	v_add_nc_u32_e32 v8, v27, v29
	v_sub_nc_u32_e32 v9, v9, v27
	s_delay_alu instid0(VALU_DEP_2) | instskip(NEXT) | instid1(VALU_DEP_2)
	v_cmp_le_u32_e32 vcc_lo, v8, v25
	v_cmp_le_u32_e64 s3, v9, v26
	s_delay_alu instid0(VALU_DEP_1) | instskip(NEXT) | instid1(SALU_CYCLE_1)
	s_or_b32 s3, vcc_lo, s3
	s_and_saveexec_b32 s14, s3
	s_cbranch_execz .LBB756_624
; %bb.589:
	v_cmp_ge_u32_e32 vcc_lo, v8, v25
	s_mov_b32 s4, exec_lo
                                        ; implicit-def: $vgpr0_vgpr1
	v_cmpx_lt_u32_e64 v8, v25
	s_cbranch_execz .LBB756_591
; %bb.590:
	v_lshl_add_u32 v0, v27, 3, v28
	ds_load_b64 v[0:1], v0
.LBB756_591:
	s_or_b32 exec_lo, exec_lo, s4
	v_cmp_ge_u32_e64 s3, v9, v26
	s_mov_b32 s12, exec_lo
                                        ; implicit-def: $vgpr2_vgpr3
	v_cmpx_lt_u32_e64 v9, v26
	s_cbranch_execz .LBB756_593
; %bb.592:
	v_lshl_add_u32 v2, v9, 3, v19
	ds_load_b64 v[2:3], v2
.LBB756_593:
	s_or_b32 exec_lo, exec_lo, s12
	s_or_b32 s4, vcc_lo, s3
	s_xor_b32 s12, vcc_lo, -1
	s_or_b32 s4, s4, s5
	s_or_b32 s15, s3, s12
	s_xor_b32 s4, s4, -1
	s_delay_alu instid0(SALU_CYCLE_1)
	s_and_saveexec_b32 s19, s4
	s_cbranch_execz .LBB756_599
; %bb.594:
	s_waitcnt lgkmcnt(0)
	v_mul_lo_u32 v10, v3, s8
	v_mul_lo_u32 v11, v2, s9
	v_mad_u64_u32 v[4:5], null, v2, s8, 0
	v_mul_lo_u32 v27, v1, s8
	v_mul_lo_u32 v28, v0, s9
	v_mad_u64_u32 v[6:7], null, v0, s8, 0
	s_mov_b32 s20, 0
	s_mov_b64 s[12:13], s[8:9]
	s_delay_alu instid0(VALU_DEP_4) | instskip(NEXT) | instid1(VALU_DEP_2)
	v_add3_u32 v5, v5, v11, v10
                                        ; implicit-def: $sgpr21
                                        ; implicit-def: $sgpr22
                                        ; implicit-def: $sgpr23
                                        ; implicit-def: $sgpr24
                                        ; implicit-def: $sgpr25
	v_add3_u32 v7, v7, v28, v27
	s_delay_alu instid0(VALU_DEP_2) | instskip(NEXT) | instid1(VALU_DEP_2)
	v_lshlrev_b64 v[4:5], 3, v[4:5]
	v_lshlrev_b64 v[6:7], 3, v[6:7]
	s_delay_alu instid0(VALU_DEP_2) | instskip(NEXT) | instid1(VALU_DEP_3)
	v_add_co_u32 v4, vcc_lo, s10, v4
	v_add_co_ci_u32_e32 v5, vcc_lo, s11, v5, vcc_lo
	s_delay_alu instid0(VALU_DEP_3) | instskip(NEXT) | instid1(VALU_DEP_4)
	v_add_co_u32 v6, vcc_lo, s10, v6
	v_add_co_ci_u32_e32 v7, vcc_lo, s11, v7, vcc_lo
	s_set_inst_prefetch_distance 0x1
	s_branch .LBB756_596
	.p2align	6
.LBB756_595:                            ;   in Loop: Header=BB756_596 Depth=1
	s_or_b32 exec_lo, exec_lo, s3
	s_delay_alu instid0(SALU_CYCLE_1) | instskip(NEXT) | instid1(SALU_CYCLE_1)
	s_and_b32 s3, exec_lo, s22
	s_or_b32 s20, s3, s20
	s_and_not1_b32 s3, s25, exec_lo
	s_and_b32 s4, s24, exec_lo
	s_and_not1_b32 s21, s21, exec_lo
	s_and_b32 s26, s23, exec_lo
	s_or_b32 s25, s3, s4
	s_or_b32 s21, s21, s26
	s_and_not1_b32 exec_lo, exec_lo, s20
	s_cbranch_execz .LBB756_598
.LBB756_596:                            ; =>This Inner Loop Header: Depth=1
	global_load_b64 v[10:11], v[4:5], off
	global_load_b64 v[27:28], v[6:7], off
	s_and_not1_b32 s24, s24, exec_lo
	s_or_b32 s22, s22, exec_lo
	s_waitcnt vmcnt(0)
	v_cmp_ngt_f64_e32 vcc_lo, v[10:11], v[27:28]
	v_cmp_lt_f64_e64 s3, v[10:11], v[27:28]
	s_and_b32 s26, vcc_lo, s25
	s_delay_alu instid0(VALU_DEP_1) | instid1(SALU_CYCLE_1)
	s_or_b32 s26, s3, s26
	s_and_not1_b32 s3, s23, exec_lo
	s_and_b32 s23, s26, exec_lo
	s_delay_alu instid0(SALU_CYCLE_1)
	s_or_b32 s23, s3, s23
	s_mov_b32 s3, exec_lo
	v_cmpx_nlg_f64_e32 v[10:11], v[27:28]
	s_cbranch_execz .LBB756_595
; %bb.597:                              ;   in Loop: Header=BB756_596 Depth=1
	s_add_u32 s12, s12, -1
	s_addc_u32 s13, s13, -1
	v_add_co_u32 v4, vcc_lo, v4, 8
	s_cmp_eq_u64 s[12:13], 0
	v_add_co_ci_u32_e32 v5, vcc_lo, 0, v5, vcc_lo
	v_add_co_u32 v6, vcc_lo, v6, 8
	s_cselect_b32 s4, -1, 0
	v_add_co_ci_u32_e32 v7, vcc_lo, 0, v7, vcc_lo
	s_and_not1_b32 s24, s24, exec_lo
	s_and_b32 s25, s26, exec_lo
	s_and_not1_b32 s22, s22, exec_lo
	s_and_b32 s4, s4, exec_lo
	s_or_b32 s24, s24, s25
	s_and_not1_b32 s23, s23, exec_lo
	s_or_b32 s22, s22, s4
                                        ; implicit-def: $sgpr25
	s_branch .LBB756_595
.LBB756_598:
	s_set_inst_prefetch_distance 0x2
	s_or_b32 exec_lo, exec_lo, s20
	s_xor_b32 s3, s21, -1
	s_and_not1_b32 s4, s15, exec_lo
	s_and_b32 s3, s3, exec_lo
	s_delay_alu instid0(SALU_CYCLE_1)
	s_or_b32 s15, s4, s3
.LBB756_599:
	s_or_b32 exec_lo, exec_lo, s19
	v_cndmask_b32_e64 v4, v9, v8, s15
	v_cndmask_b32_e64 v5, v26, v25, s15
	s_mov_b32 s19, -1
	s_mov_b32 s20, -1
	s_mov_b32 s21, exec_lo
	v_add_nc_u32_e32 v6, 1, v4
	v_add_nc_u32_e32 v4, -1, v5
	s_delay_alu instid0(VALU_DEP_2) | instskip(NEXT) | instid1(VALU_DEP_2)
	v_cndmask_b32_e64 v9, v6, v9, s15
	v_min_u32_e32 v4, v6, v4
	v_cndmask_b32_e64 v8, v8, v6, s15
	s_delay_alu instid0(VALU_DEP_2)
	v_lshl_add_u32 v4, v4, 3, v19
	ds_load_b64 v[4:5], v4
	s_waitcnt lgkmcnt(0)
	v_cndmask_b32_e64 v10, v5, v3, s15
	v_cndmask_b32_e64 v11, v4, v2, s15
	;; [unrolled: 1-line block ×4, first 2 shown]
	v_cmpx_lt_u32_e64 v9, v26
	s_cbranch_execz .LBB756_607
; %bb.600:
	v_cmp_lt_u32_e64 s20, v8, v25
	s_delay_alu instid0(VALU_DEP_1) | instskip(NEXT) | instid1(SALU_CYCLE_1)
	s_and_b32 s3, s20, s16
	s_and_saveexec_b32 s22, s3
	s_cbranch_execz .LBB756_606
; %bb.601:
	v_mul_lo_u32 v29, v10, s8
	v_mul_lo_u32 v30, v11, s9
	v_mad_u64_u32 v[4:5], null, v11, s8, 0
	v_mul_lo_u32 v31, v27, s8
	v_mul_lo_u32 v32, v28, s9
	v_mad_u64_u32 v[6:7], null, v28, s8, 0
	s_mov_b32 s23, 0
	s_mov_b64 s[12:13], s[8:9]
	s_delay_alu instid0(VALU_DEP_4) | instskip(NEXT) | instid1(VALU_DEP_2)
	v_add3_u32 v5, v5, v30, v29
                                        ; implicit-def: $sgpr24
                                        ; implicit-def: $sgpr25
                                        ; implicit-def: $sgpr26
                                        ; implicit-def: $sgpr27
                                        ; implicit-def: $sgpr28
	v_add3_u32 v7, v7, v32, v31
	s_delay_alu instid0(VALU_DEP_2) | instskip(NEXT) | instid1(VALU_DEP_2)
	v_lshlrev_b64 v[4:5], 3, v[4:5]
	v_lshlrev_b64 v[6:7], 3, v[6:7]
	s_delay_alu instid0(VALU_DEP_2) | instskip(NEXT) | instid1(VALU_DEP_3)
	v_add_co_u32 v4, vcc_lo, s10, v4
	v_add_co_ci_u32_e32 v5, vcc_lo, s11, v5, vcc_lo
	s_delay_alu instid0(VALU_DEP_3) | instskip(NEXT) | instid1(VALU_DEP_4)
	v_add_co_u32 v6, vcc_lo, s10, v6
	v_add_co_ci_u32_e32 v7, vcc_lo, s11, v7, vcc_lo
	s_set_inst_prefetch_distance 0x1
	s_branch .LBB756_603
	.p2align	6
.LBB756_602:                            ;   in Loop: Header=BB756_603 Depth=1
	s_or_b32 exec_lo, exec_lo, s3
	s_delay_alu instid0(SALU_CYCLE_1) | instskip(NEXT) | instid1(SALU_CYCLE_1)
	s_and_b32 s3, exec_lo, s25
	s_or_b32 s23, s3, s23
	s_and_not1_b32 s3, s28, exec_lo
	s_and_b32 s4, s27, exec_lo
	s_and_not1_b32 s24, s24, exec_lo
	s_and_b32 s29, s26, exec_lo
	s_or_b32 s28, s3, s4
	s_or_b32 s24, s24, s29
	s_and_not1_b32 exec_lo, exec_lo, s23
	s_cbranch_execz .LBB756_605
.LBB756_603:                            ; =>This Inner Loop Header: Depth=1
	global_load_b64 v[29:30], v[4:5], off
	global_load_b64 v[31:32], v[6:7], off
	s_and_not1_b32 s27, s27, exec_lo
	s_or_b32 s25, s25, exec_lo
	s_waitcnt vmcnt(0)
	v_cmp_ngt_f64_e32 vcc_lo, v[29:30], v[31:32]
	v_cmp_lt_f64_e64 s3, v[29:30], v[31:32]
	s_and_b32 s29, vcc_lo, s28
	s_delay_alu instid0(VALU_DEP_1) | instid1(SALU_CYCLE_1)
	s_or_b32 s29, s3, s29
	s_and_not1_b32 s3, s26, exec_lo
	s_and_b32 s26, s29, exec_lo
	s_delay_alu instid0(SALU_CYCLE_1)
	s_or_b32 s26, s3, s26
	s_mov_b32 s3, exec_lo
	v_cmpx_nlg_f64_e32 v[29:30], v[31:32]
	s_cbranch_execz .LBB756_602
; %bb.604:                              ;   in Loop: Header=BB756_603 Depth=1
	s_add_u32 s12, s12, -1
	s_addc_u32 s13, s13, -1
	v_add_co_u32 v4, vcc_lo, v4, 8
	s_cmp_eq_u64 s[12:13], 0
	v_add_co_ci_u32_e32 v5, vcc_lo, 0, v5, vcc_lo
	v_add_co_u32 v6, vcc_lo, v6, 8
	s_cselect_b32 s4, -1, 0
	v_add_co_ci_u32_e32 v7, vcc_lo, 0, v7, vcc_lo
	s_and_not1_b32 s27, s27, exec_lo
	s_and_b32 s28, s29, exec_lo
	s_and_not1_b32 s25, s25, exec_lo
	s_and_b32 s4, s4, exec_lo
	s_or_b32 s27, s27, s28
	s_and_not1_b32 s26, s26, exec_lo
	s_or_b32 s25, s25, s4
                                        ; implicit-def: $sgpr28
	s_branch .LBB756_602
.LBB756_605:
	s_set_inst_prefetch_distance 0x2
	s_or_b32 exec_lo, exec_lo, s23
	s_xor_b32 s3, s24, -1
	s_and_not1_b32 s4, s20, exec_lo
	s_and_b32 s3, s3, exec_lo
	s_delay_alu instid0(SALU_CYCLE_1)
	s_or_b32 s20, s4, s3
.LBB756_606:
	s_or_b32 exec_lo, exec_lo, s22
	s_delay_alu instid0(SALU_CYCLE_1)
	s_or_not1_b32 s20, s20, exec_lo
.LBB756_607:
	s_or_b32 exec_lo, exec_lo, s21
	v_cndmask_b32_e64 v4, v9, v8, s20
	v_cndmask_b32_e64 v5, v26, v25, s20
	s_mov_b32 s21, exec_lo
	s_delay_alu instid0(VALU_DEP_2) | instskip(NEXT) | instid1(VALU_DEP_2)
	v_add_nc_u32_e32 v6, 1, v4
	v_add_nc_u32_e32 v4, -1, v5
	s_delay_alu instid0(VALU_DEP_2) | instskip(NEXT) | instid1(VALU_DEP_2)
	v_cndmask_b32_e64 v9, v6, v9, s20
	v_min_u32_e32 v4, v6, v4
	v_cndmask_b32_e64 v8, v8, v6, s20
	s_delay_alu instid0(VALU_DEP_2)
	v_lshl_add_u32 v4, v4, 3, v19
	ds_load_b64 v[4:5], v4
	s_waitcnt lgkmcnt(0)
	v_cndmask_b32_e64 v29, v5, v10, s20
	v_cndmask_b32_e64 v30, v4, v11, s20
	v_cndmask_b32_e64 v31, v27, v5, s20
	v_cndmask_b32_e64 v32, v28, v4, s20
	v_cmpx_lt_u32_e64 v9, v26
	s_cbranch_execz .LBB756_615
; %bb.608:
	v_cmp_lt_u32_e64 s19, v8, v25
	s_delay_alu instid0(VALU_DEP_1) | instskip(NEXT) | instid1(SALU_CYCLE_1)
	s_and_b32 s3, s19, s16
	s_and_saveexec_b32 s22, s3
	s_cbranch_execz .LBB756_614
; %bb.609:
	v_mul_lo_u32 v33, v29, s8
	v_mul_lo_u32 v34, v30, s9
	v_mad_u64_u32 v[4:5], null, v30, s8, 0
	v_mul_lo_u32 v35, v31, s8
	v_mul_lo_u32 v36, v32, s9
	v_mad_u64_u32 v[6:7], null, v32, s8, 0
	s_mov_b32 s23, 0
	s_mov_b64 s[12:13], s[8:9]
	s_delay_alu instid0(VALU_DEP_4) | instskip(NEXT) | instid1(VALU_DEP_2)
	v_add3_u32 v5, v5, v34, v33
                                        ; implicit-def: $sgpr24
                                        ; implicit-def: $sgpr25
                                        ; implicit-def: $sgpr26
                                        ; implicit-def: $sgpr27
                                        ; implicit-def: $sgpr28
	v_add3_u32 v7, v7, v36, v35
	s_delay_alu instid0(VALU_DEP_2) | instskip(NEXT) | instid1(VALU_DEP_2)
	v_lshlrev_b64 v[4:5], 3, v[4:5]
	v_lshlrev_b64 v[6:7], 3, v[6:7]
	s_delay_alu instid0(VALU_DEP_2) | instskip(NEXT) | instid1(VALU_DEP_3)
	v_add_co_u32 v4, vcc_lo, s10, v4
	v_add_co_ci_u32_e32 v5, vcc_lo, s11, v5, vcc_lo
	s_delay_alu instid0(VALU_DEP_3) | instskip(NEXT) | instid1(VALU_DEP_4)
	v_add_co_u32 v6, vcc_lo, s10, v6
	v_add_co_ci_u32_e32 v7, vcc_lo, s11, v7, vcc_lo
	s_set_inst_prefetch_distance 0x1
	s_branch .LBB756_611
	.p2align	6
.LBB756_610:                            ;   in Loop: Header=BB756_611 Depth=1
	s_or_b32 exec_lo, exec_lo, s3
	s_delay_alu instid0(SALU_CYCLE_1) | instskip(NEXT) | instid1(SALU_CYCLE_1)
	s_and_b32 s3, exec_lo, s25
	s_or_b32 s23, s3, s23
	s_and_not1_b32 s3, s28, exec_lo
	s_and_b32 s4, s27, exec_lo
	s_and_not1_b32 s24, s24, exec_lo
	s_and_b32 s29, s26, exec_lo
	s_or_b32 s28, s3, s4
	s_or_b32 s24, s24, s29
	s_and_not1_b32 exec_lo, exec_lo, s23
	s_cbranch_execz .LBB756_613
.LBB756_611:                            ; =>This Inner Loop Header: Depth=1
	global_load_b64 v[33:34], v[4:5], off
	global_load_b64 v[35:36], v[6:7], off
	s_and_not1_b32 s27, s27, exec_lo
	s_or_b32 s25, s25, exec_lo
	s_waitcnt vmcnt(0)
	v_cmp_ngt_f64_e32 vcc_lo, v[33:34], v[35:36]
	v_cmp_lt_f64_e64 s3, v[33:34], v[35:36]
	s_and_b32 s29, vcc_lo, s28
	s_delay_alu instid0(VALU_DEP_1) | instid1(SALU_CYCLE_1)
	s_or_b32 s29, s3, s29
	s_and_not1_b32 s3, s26, exec_lo
	s_and_b32 s26, s29, exec_lo
	s_delay_alu instid0(SALU_CYCLE_1)
	s_or_b32 s26, s3, s26
	s_mov_b32 s3, exec_lo
	v_cmpx_nlg_f64_e32 v[33:34], v[35:36]
	s_cbranch_execz .LBB756_610
; %bb.612:                              ;   in Loop: Header=BB756_611 Depth=1
	s_add_u32 s12, s12, -1
	s_addc_u32 s13, s13, -1
	v_add_co_u32 v4, vcc_lo, v4, 8
	s_cmp_eq_u64 s[12:13], 0
	v_add_co_ci_u32_e32 v5, vcc_lo, 0, v5, vcc_lo
	v_add_co_u32 v6, vcc_lo, v6, 8
	s_cselect_b32 s4, -1, 0
	v_add_co_ci_u32_e32 v7, vcc_lo, 0, v7, vcc_lo
	s_and_not1_b32 s27, s27, exec_lo
	s_and_b32 s28, s29, exec_lo
	s_and_not1_b32 s25, s25, exec_lo
	s_and_b32 s4, s4, exec_lo
	s_or_b32 s27, s27, s28
	s_and_not1_b32 s26, s26, exec_lo
	s_or_b32 s25, s25, s4
                                        ; implicit-def: $sgpr28
	s_branch .LBB756_610
.LBB756_613:
	s_set_inst_prefetch_distance 0x2
	s_or_b32 exec_lo, exec_lo, s23
	s_xor_b32 s3, s24, -1
	s_and_not1_b32 s4, s19, exec_lo
	s_and_b32 s3, s3, exec_lo
	s_delay_alu instid0(SALU_CYCLE_1)
	s_or_b32 s19, s4, s3
.LBB756_614:
	s_or_b32 exec_lo, exec_lo, s22
	s_delay_alu instid0(SALU_CYCLE_1)
	s_or_not1_b32 s19, s19, exec_lo
.LBB756_615:
	s_or_b32 exec_lo, exec_lo, s21
	v_cndmask_b32_e64 v4, v9, v8, s19
	v_cndmask_b32_e64 v5, v26, v25, s19
	s_mov_b32 s21, exec_lo
	s_delay_alu instid0(VALU_DEP_2) | instskip(NEXT) | instid1(VALU_DEP_2)
	v_add_nc_u32_e32 v33, 1, v4
	v_add_nc_u32_e32 v4, -1, v5
	s_delay_alu instid0(VALU_DEP_2) | instskip(NEXT) | instid1(VALU_DEP_2)
	v_cndmask_b32_e64 v9, v33, v9, s19
	v_min_u32_e32 v4, v33, v4
	s_delay_alu instid0(VALU_DEP_1)
	v_lshl_add_u32 v4, v4, 3, v19
	ds_load_b64 v[4:5], v4
	s_waitcnt lgkmcnt(0)
	v_cndmask_b32_e64 v7, v31, v5, s19
	v_cndmask_b32_e64 v6, v32, v4, s19
	v_cmpx_lt_u32_e64 v9, v26
	s_cbranch_execz .LBB756_623
; %bb.616:
	v_cndmask_b32_e64 v8, v8, v33, s19
	v_cndmask_b32_e64 v26, v5, v29, s19
	;; [unrolled: 1-line block ×3, first 2 shown]
	s_delay_alu instid0(VALU_DEP_3) | instskip(NEXT) | instid1(VALU_DEP_2)
	v_cmp_ge_u32_e32 vcc_lo, v8, v25
	v_dual_cndmask_b32 v5, v7, v26 :: v_dual_cndmask_b32 v4, v6, v33
	s_or_b32 s3, vcc_lo, s5
	s_delay_alu instid0(SALU_CYCLE_1) | instskip(NEXT) | instid1(SALU_CYCLE_1)
	s_xor_b32 s3, s3, -1
	s_and_saveexec_b32 s22, s3
	s_cbranch_execz .LBB756_622
; %bb.617:
	v_mul_lo_u32 v25, v26, s8
	v_mul_lo_u32 v34, v33, s9
	v_mad_u64_u32 v[4:5], null, v33, s8, 0
	v_mul_lo_u32 v35, v7, s8
	v_mul_lo_u32 v36, v6, s9
	v_mad_u64_u32 v[8:9], null, v6, s8, 0
	s_mov_b32 s23, 0
	s_mov_b64 s[12:13], s[8:9]
	s_delay_alu instid0(VALU_DEP_4) | instskip(NEXT) | instid1(VALU_DEP_2)
	v_add3_u32 v5, v5, v34, v25
                                        ; implicit-def: $sgpr24
                                        ; implicit-def: $sgpr25
                                        ; implicit-def: $sgpr26
                                        ; implicit-def: $sgpr27
                                        ; implicit-def: $sgpr28
	v_add3_u32 v9, v9, v36, v35
	s_delay_alu instid0(VALU_DEP_2) | instskip(NEXT) | instid1(VALU_DEP_2)
	v_lshlrev_b64 v[4:5], 3, v[4:5]
	v_lshlrev_b64 v[8:9], 3, v[8:9]
	s_delay_alu instid0(VALU_DEP_2) | instskip(NEXT) | instid1(VALU_DEP_3)
	v_add_co_u32 v4, vcc_lo, s10, v4
	v_add_co_ci_u32_e32 v5, vcc_lo, s11, v5, vcc_lo
	s_delay_alu instid0(VALU_DEP_3) | instskip(NEXT) | instid1(VALU_DEP_4)
	v_add_co_u32 v8, vcc_lo, s10, v8
	v_add_co_ci_u32_e32 v9, vcc_lo, s11, v9, vcc_lo
	s_set_inst_prefetch_distance 0x1
	s_branch .LBB756_619
	.p2align	6
.LBB756_618:                            ;   in Loop: Header=BB756_619 Depth=1
	s_or_b32 exec_lo, exec_lo, s3
	s_delay_alu instid0(SALU_CYCLE_1) | instskip(NEXT) | instid1(SALU_CYCLE_1)
	s_and_b32 s3, exec_lo, s25
	s_or_b32 s23, s3, s23
	s_and_not1_b32 s3, s28, exec_lo
	s_and_b32 s4, s27, exec_lo
	s_and_not1_b32 s24, s24, exec_lo
	s_and_b32 s29, s26, exec_lo
	s_or_b32 s28, s3, s4
	s_or_b32 s24, s24, s29
	s_and_not1_b32 exec_lo, exec_lo, s23
	s_cbranch_execz .LBB756_621
.LBB756_619:                            ; =>This Inner Loop Header: Depth=1
	global_load_b64 v[34:35], v[4:5], off
	global_load_b64 v[36:37], v[8:9], off
	s_and_not1_b32 s27, s27, exec_lo
	s_or_b32 s25, s25, exec_lo
	s_waitcnt vmcnt(0)
	v_cmp_ngt_f64_e32 vcc_lo, v[34:35], v[36:37]
	v_cmp_lt_f64_e64 s3, v[34:35], v[36:37]
	s_and_b32 s29, vcc_lo, s28
	s_delay_alu instid0(VALU_DEP_1) | instid1(SALU_CYCLE_1)
	s_or_b32 s29, s3, s29
	s_and_not1_b32 s3, s26, exec_lo
	s_and_b32 s26, s29, exec_lo
	s_delay_alu instid0(SALU_CYCLE_1)
	s_or_b32 s26, s3, s26
	s_mov_b32 s3, exec_lo
	v_cmpx_nlg_f64_e32 v[34:35], v[36:37]
	s_cbranch_execz .LBB756_618
; %bb.620:                              ;   in Loop: Header=BB756_619 Depth=1
	s_add_u32 s12, s12, -1
	s_addc_u32 s13, s13, -1
	v_add_co_u32 v4, vcc_lo, v4, 8
	s_cmp_eq_u64 s[12:13], 0
	v_add_co_ci_u32_e32 v5, vcc_lo, 0, v5, vcc_lo
	v_add_co_u32 v8, vcc_lo, v8, 8
	s_cselect_b32 s4, -1, 0
	v_add_co_ci_u32_e32 v9, vcc_lo, 0, v9, vcc_lo
	s_and_not1_b32 s27, s27, exec_lo
	s_and_b32 s28, s29, exec_lo
	s_and_not1_b32 s25, s25, exec_lo
	s_and_b32 s4, s4, exec_lo
	s_or_b32 s27, s27, s28
	s_and_not1_b32 s26, s26, exec_lo
	s_or_b32 s25, s25, s4
                                        ; implicit-def: $sgpr28
	s_branch .LBB756_618
.LBB756_621:
	s_set_inst_prefetch_distance 0x2
	s_or_b32 exec_lo, exec_lo, s23
	v_cndmask_b32_e64 v5, v7, v26, s24
	v_cndmask_b32_e64 v4, v6, v33, s24
.LBB756_622:
	s_or_b32 exec_lo, exec_lo, s22
	s_delay_alu instid0(VALU_DEP_1)
	v_dual_mov_b32 v7, v5 :: v_dual_mov_b32 v6, v4
.LBB756_623:
	s_or_b32 exec_lo, exec_lo, s21
	v_cndmask_b32_e64 v1, v3, v1, s15
	v_cndmask_b32_e64 v0, v2, v0, s15
	;; [unrolled: 1-line block ×6, first 2 shown]
.LBB756_624:
	s_or_b32 exec_lo, exec_lo, s14
	v_and_b32_e32 v27, 64, v21
	v_and_b32_e32 v9, 60, v21
	s_mov_b32 s19, exec_lo
	; wave barrier
	s_delay_alu instid0(VALU_DEP_2) | instskip(NEXT) | instid1(VALU_DEP_2)
	v_or_b32_e32 v8, 32, v27
	v_min_u32_e32 v28, v20, v9
	v_lshl_add_u32 v26, v27, 3, v19
	ds_store_b128 v24, v[0:3]
	ds_store_b128 v24, v[4:7] offset:16
	v_min_u32_e32 v25, v20, v8
	; wave barrier
	s_delay_alu instid0(VALU_DEP_1) | instskip(SKIP_1) | instid1(VALU_DEP_2)
	v_add_nc_u32_e32 v8, 32, v25
	v_sub_nc_u32_e32 v9, v25, v27
	v_min_u32_e32 v21, v20, v8
	s_delay_alu instid0(VALU_DEP_2) | instskip(NEXT) | instid1(VALU_DEP_2)
	v_min_u32_e32 v29, v28, v9
	v_sub_nc_u32_e32 v8, v21, v25
	s_delay_alu instid0(VALU_DEP_1) | instskip(NEXT) | instid1(VALU_DEP_1)
	v_sub_nc_u32_e64 v20, v28, v8 clamp
	v_cmpx_lt_u32_e64 v20, v29
	s_cbranch_execz .LBB756_634
; %bb.625:
	v_lshlrev_b32_e32 v8, 3, v25
	v_lshlrev_b32_e32 v9, 3, v28
	s_lshl_b64 s[12:13], s[8:9], 3
	s_mov_b32 s20, 0
	s_delay_alu instid0(VALU_DEP_1)
	v_add3_u32 v24, v19, v8, v9
	s_branch .LBB756_628
.LBB756_626:                            ;   in Loop: Header=BB756_628 Depth=1
	s_set_inst_prefetch_distance 0x2
	s_or_b32 exec_lo, exec_lo, s21
.LBB756_627:                            ;   in Loop: Header=BB756_628 Depth=1
	s_delay_alu instid0(VALU_DEP_1) | instskip(SKIP_1) | instid1(VALU_DEP_2)
	v_add_nc_u32_e32 v8, 1, v30
	v_cndmask_b32_e64 v29, v29, v30, s22
	v_cndmask_b32_e64 v20, v8, v20, s22
	s_delay_alu instid0(VALU_DEP_1) | instskip(SKIP_1) | instid1(SALU_CYCLE_1)
	v_cmp_ge_u32_e32 vcc_lo, v20, v29
	s_or_b32 s20, vcc_lo, s20
	s_and_not1_b32 exec_lo, exec_lo, s20
	s_cbranch_execz .LBB756_633
.LBB756_628:                            ; =>This Loop Header: Depth=1
                                        ;     Child Loop BB756_631 Depth 2
	v_add_nc_u32_e32 v8, v29, v20
	v_cmp_ne_u32_e32 vcc_lo, 1, v18
	s_mov_b32 s22, 0
	s_delay_alu instid0(VALU_DEP_2)
	v_lshrrev_b32_e32 v30, 1, v8
	s_cbranch_vccnz .LBB756_627
; %bb.629:                              ;   in Loop: Header=BB756_628 Depth=1
	s_delay_alu instid0(VALU_DEP_1) | instskip(SKIP_3) | instid1(VALU_DEP_2)
	v_not_b32_e32 v8, v30
	v_lshl_add_u32 v9, v30, 3, v26
	s_mov_b32 s21, 0
	s_mov_b64 s[14:15], s[8:9]
                                        ; implicit-def: $sgpr22
                                        ; implicit-def: $sgpr23
                                        ; implicit-def: $sgpr24
                                        ; implicit-def: $sgpr25
                                        ; implicit-def: $sgpr26
	v_lshl_add_u32 v8, v8, 3, v24
	ds_load_b64 v[10:11], v8
	ds_load_b64 v[31:32], v9
	s_waitcnt lgkmcnt(1)
	v_mul_lo_u32 v33, s12, v11
	v_mul_lo_u32 v34, s13, v10
	v_mad_u64_u32 v[8:9], null, s12, v10, s[10:11]
	s_waitcnt lgkmcnt(0)
	v_mul_lo_u32 v32, s12, v32
	v_mul_lo_u32 v35, s13, v31
	v_mad_u64_u32 v[10:11], null, s12, v31, s[10:11]
	s_delay_alu instid0(VALU_DEP_4) | instskip(NEXT) | instid1(VALU_DEP_2)
	v_add3_u32 v9, v34, v9, v33
	v_add3_u32 v11, v35, v11, v32
	s_set_inst_prefetch_distance 0x1
	s_branch .LBB756_631
	.p2align	6
.LBB756_630:                            ;   in Loop: Header=BB756_631 Depth=2
	s_or_b32 exec_lo, exec_lo, s27
	s_delay_alu instid0(SALU_CYCLE_1) | instskip(NEXT) | instid1(SALU_CYCLE_1)
	s_and_b32 s3, exec_lo, s23
	s_or_b32 s21, s3, s21
	s_and_not1_b32 s3, s26, exec_lo
	s_and_b32 s4, s24, exec_lo
	s_and_not1_b32 s22, s22, exec_lo
	s_and_b32 s27, s25, exec_lo
	s_or_b32 s26, s3, s4
	s_or_b32 s22, s22, s27
	s_and_not1_b32 exec_lo, exec_lo, s21
	s_cbranch_execz .LBB756_626
.LBB756_631:                            ;   Parent Loop BB756_628 Depth=1
                                        ; =>  This Inner Loop Header: Depth=2
	global_load_b64 v[31:32], v[8:9], off
	global_load_b64 v[33:34], v[10:11], off
	s_and_not1_b32 s25, s25, exec_lo
	s_and_not1_b32 s24, s24, exec_lo
	s_or_b32 s23, s23, exec_lo
	s_waitcnt vmcnt(0)
	v_cmp_ngt_f64_e32 vcc_lo, v[31:32], v[33:34]
	v_cmp_lt_f64_e64 s3, v[31:32], v[33:34]
	s_and_b32 s27, vcc_lo, s26
	s_delay_alu instid0(VALU_DEP_1) | instid1(SALU_CYCLE_1)
	s_or_b32 s3, s3, s27
	s_delay_alu instid0(SALU_CYCLE_1) | instskip(NEXT) | instid1(SALU_CYCLE_1)
	s_and_b32 s27, s3, exec_lo
	s_or_b32 s25, s25, s27
	s_mov_b32 s27, exec_lo
	v_cmpx_nlg_f64_e32 v[31:32], v[33:34]
	s_cbranch_execz .LBB756_630
; %bb.632:                              ;   in Loop: Header=BB756_631 Depth=2
	s_add_u32 s14, s14, -1
	s_addc_u32 s15, s15, -1
	v_add_co_u32 v8, vcc_lo, v8, 8
	v_add_co_ci_u32_e32 v9, vcc_lo, 0, v9, vcc_lo
	s_cmp_eq_u64 s[14:15], 0
	v_add_co_u32 v10, vcc_lo, v10, 8
	s_cselect_b32 s4, -1, 0
	v_add_co_ci_u32_e32 v11, vcc_lo, 0, v11, vcc_lo
	s_and_not1_b32 s24, s24, exec_lo
	s_and_b32 s3, s3, exec_lo
	s_and_not1_b32 s23, s23, exec_lo
	s_and_b32 s4, s4, exec_lo
	s_and_not1_b32 s25, s25, exec_lo
	s_or_b32 s24, s24, s3
	s_or_b32 s23, s23, s4
                                        ; implicit-def: $sgpr26
	s_branch .LBB756_630
.LBB756_633:
	s_or_b32 exec_lo, exec_lo, s20
.LBB756_634:
	s_delay_alu instid0(SALU_CYCLE_1) | instskip(SKIP_2) | instid1(VALU_DEP_2)
	s_or_b32 exec_lo, exec_lo, s19
	v_add_nc_u32_e32 v9, v25, v28
	v_add_nc_u32_e32 v8, v20, v27
	v_sub_nc_u32_e32 v9, v9, v20
	s_delay_alu instid0(VALU_DEP_2) | instskip(NEXT) | instid1(VALU_DEP_2)
	v_cmp_le_u32_e32 vcc_lo, v8, v25
	v_cmp_le_u32_e64 s3, v9, v21
	s_delay_alu instid0(VALU_DEP_1) | instskip(NEXT) | instid1(SALU_CYCLE_1)
	s_or_b32 s3, vcc_lo, s3
	s_and_saveexec_b32 s14, s3
	s_cbranch_execz .LBB756_670
; %bb.635:
	v_cmp_ge_u32_e32 vcc_lo, v8, v25
	s_mov_b32 s4, exec_lo
                                        ; implicit-def: $vgpr0_vgpr1
	v_cmpx_lt_u32_e64 v8, v25
	s_cbranch_execz .LBB756_637
; %bb.636:
	v_lshl_add_u32 v0, v20, 3, v26
	ds_load_b64 v[0:1], v0
.LBB756_637:
	s_or_b32 exec_lo, exec_lo, s4
	v_cmp_ge_u32_e64 s3, v9, v21
	s_mov_b32 s12, exec_lo
                                        ; implicit-def: $vgpr2_vgpr3
	v_cmpx_lt_u32_e64 v9, v21
	s_cbranch_execz .LBB756_639
; %bb.638:
	v_lshl_add_u32 v2, v9, 3, v19
	ds_load_b64 v[2:3], v2
.LBB756_639:
	s_or_b32 exec_lo, exec_lo, s12
	s_or_b32 s4, vcc_lo, s3
	s_xor_b32 s12, vcc_lo, -1
	s_or_b32 s4, s4, s5
	s_or_b32 s15, s3, s12
	s_xor_b32 s4, s4, -1
	s_delay_alu instid0(SALU_CYCLE_1)
	s_and_saveexec_b32 s19, s4
	s_cbranch_execz .LBB756_645
; %bb.640:
	s_waitcnt lgkmcnt(0)
	v_mul_lo_u32 v10, v3, s8
	v_mul_lo_u32 v11, v2, s9
	v_mad_u64_u32 v[4:5], null, v2, s8, 0
	v_mul_lo_u32 v20, v1, s8
	v_mul_lo_u32 v24, v0, s9
	v_mad_u64_u32 v[6:7], null, v0, s8, 0
	s_mov_b32 s20, 0
	s_mov_b64 s[12:13], s[8:9]
	s_delay_alu instid0(VALU_DEP_4) | instskip(NEXT) | instid1(VALU_DEP_2)
	v_add3_u32 v5, v5, v11, v10
                                        ; implicit-def: $sgpr21
                                        ; implicit-def: $sgpr22
                                        ; implicit-def: $sgpr23
                                        ; implicit-def: $sgpr24
                                        ; implicit-def: $sgpr25
	v_add3_u32 v7, v7, v24, v20
	s_delay_alu instid0(VALU_DEP_2) | instskip(NEXT) | instid1(VALU_DEP_2)
	v_lshlrev_b64 v[4:5], 3, v[4:5]
	v_lshlrev_b64 v[6:7], 3, v[6:7]
	s_delay_alu instid0(VALU_DEP_2) | instskip(NEXT) | instid1(VALU_DEP_3)
	v_add_co_u32 v4, vcc_lo, s10, v4
	v_add_co_ci_u32_e32 v5, vcc_lo, s11, v5, vcc_lo
	s_delay_alu instid0(VALU_DEP_3) | instskip(NEXT) | instid1(VALU_DEP_4)
	v_add_co_u32 v6, vcc_lo, s10, v6
	v_add_co_ci_u32_e32 v7, vcc_lo, s11, v7, vcc_lo
	s_set_inst_prefetch_distance 0x1
	s_branch .LBB756_642
	.p2align	6
.LBB756_641:                            ;   in Loop: Header=BB756_642 Depth=1
	s_or_b32 exec_lo, exec_lo, s3
	s_delay_alu instid0(SALU_CYCLE_1) | instskip(NEXT) | instid1(SALU_CYCLE_1)
	s_and_b32 s3, exec_lo, s22
	s_or_b32 s20, s3, s20
	s_and_not1_b32 s3, s25, exec_lo
	s_and_b32 s4, s24, exec_lo
	s_and_not1_b32 s21, s21, exec_lo
	s_and_b32 s26, s23, exec_lo
	s_or_b32 s25, s3, s4
	s_or_b32 s21, s21, s26
	s_and_not1_b32 exec_lo, exec_lo, s20
	s_cbranch_execz .LBB756_644
.LBB756_642:                            ; =>This Inner Loop Header: Depth=1
	global_load_b64 v[10:11], v[4:5], off
	global_load_b64 v[26:27], v[6:7], off
	s_and_not1_b32 s24, s24, exec_lo
	s_or_b32 s22, s22, exec_lo
	s_waitcnt vmcnt(0)
	v_cmp_ngt_f64_e32 vcc_lo, v[10:11], v[26:27]
	v_cmp_lt_f64_e64 s3, v[10:11], v[26:27]
	s_and_b32 s26, vcc_lo, s25
	s_delay_alu instid0(VALU_DEP_1) | instid1(SALU_CYCLE_1)
	s_or_b32 s26, s3, s26
	s_and_not1_b32 s3, s23, exec_lo
	s_and_b32 s23, s26, exec_lo
	s_delay_alu instid0(SALU_CYCLE_1)
	s_or_b32 s23, s3, s23
	s_mov_b32 s3, exec_lo
	v_cmpx_nlg_f64_e32 v[10:11], v[26:27]
	s_cbranch_execz .LBB756_641
; %bb.643:                              ;   in Loop: Header=BB756_642 Depth=1
	s_add_u32 s12, s12, -1
	s_addc_u32 s13, s13, -1
	v_add_co_u32 v4, vcc_lo, v4, 8
	s_cmp_eq_u64 s[12:13], 0
	v_add_co_ci_u32_e32 v5, vcc_lo, 0, v5, vcc_lo
	v_add_co_u32 v6, vcc_lo, v6, 8
	s_cselect_b32 s4, -1, 0
	v_add_co_ci_u32_e32 v7, vcc_lo, 0, v7, vcc_lo
	s_and_not1_b32 s24, s24, exec_lo
	s_and_b32 s25, s26, exec_lo
	s_and_not1_b32 s22, s22, exec_lo
	s_and_b32 s4, s4, exec_lo
	s_or_b32 s24, s24, s25
	s_and_not1_b32 s23, s23, exec_lo
	s_or_b32 s22, s22, s4
                                        ; implicit-def: $sgpr25
	s_branch .LBB756_641
.LBB756_644:
	s_set_inst_prefetch_distance 0x2
	s_or_b32 exec_lo, exec_lo, s20
	s_xor_b32 s3, s21, -1
	s_and_not1_b32 s4, s15, exec_lo
	s_and_b32 s3, s3, exec_lo
	s_delay_alu instid0(SALU_CYCLE_1)
	s_or_b32 s15, s4, s3
.LBB756_645:
	s_or_b32 exec_lo, exec_lo, s19
	v_cndmask_b32_e64 v4, v9, v8, s15
	v_cndmask_b32_e64 v5, v21, v25, s15
	s_mov_b32 s19, -1
	s_mov_b32 s20, -1
	s_mov_b32 s21, exec_lo
	v_add_nc_u32_e32 v6, 1, v4
	v_add_nc_u32_e32 v4, -1, v5
	s_delay_alu instid0(VALU_DEP_2) | instskip(NEXT) | instid1(VALU_DEP_2)
	v_cndmask_b32_e64 v9, v6, v9, s15
	v_min_u32_e32 v4, v6, v4
	v_cndmask_b32_e64 v8, v8, v6, s15
	s_delay_alu instid0(VALU_DEP_2)
	v_lshl_add_u32 v4, v4, 3, v19
	ds_load_b64 v[4:5], v4
	s_waitcnt lgkmcnt(0)
	v_cndmask_b32_e64 v10, v5, v3, s15
	v_cndmask_b32_e64 v11, v4, v2, s15
	;; [unrolled: 1-line block ×4, first 2 shown]
	v_cmpx_lt_u32_e64 v9, v21
	s_cbranch_execz .LBB756_653
; %bb.646:
	v_cmp_lt_u32_e64 s20, v8, v25
	s_delay_alu instid0(VALU_DEP_1) | instskip(NEXT) | instid1(SALU_CYCLE_1)
	s_and_b32 s3, s20, s16
	s_and_saveexec_b32 s22, s3
	s_cbranch_execz .LBB756_652
; %bb.647:
	v_mul_lo_u32 v26, v10, s8
	v_mul_lo_u32 v27, v11, s9
	v_mad_u64_u32 v[4:5], null, v11, s8, 0
	v_mul_lo_u32 v28, v20, s8
	v_mul_lo_u32 v29, v24, s9
	v_mad_u64_u32 v[6:7], null, v24, s8, 0
	s_mov_b32 s23, 0
	s_mov_b64 s[12:13], s[8:9]
	s_delay_alu instid0(VALU_DEP_4) | instskip(NEXT) | instid1(VALU_DEP_2)
	v_add3_u32 v5, v5, v27, v26
                                        ; implicit-def: $sgpr24
                                        ; implicit-def: $sgpr25
                                        ; implicit-def: $sgpr26
                                        ; implicit-def: $sgpr27
                                        ; implicit-def: $sgpr28
	v_add3_u32 v7, v7, v29, v28
	s_delay_alu instid0(VALU_DEP_2) | instskip(NEXT) | instid1(VALU_DEP_2)
	v_lshlrev_b64 v[4:5], 3, v[4:5]
	v_lshlrev_b64 v[6:7], 3, v[6:7]
	s_delay_alu instid0(VALU_DEP_2) | instskip(NEXT) | instid1(VALU_DEP_3)
	v_add_co_u32 v4, vcc_lo, s10, v4
	v_add_co_ci_u32_e32 v5, vcc_lo, s11, v5, vcc_lo
	s_delay_alu instid0(VALU_DEP_3) | instskip(NEXT) | instid1(VALU_DEP_4)
	v_add_co_u32 v6, vcc_lo, s10, v6
	v_add_co_ci_u32_e32 v7, vcc_lo, s11, v7, vcc_lo
	s_set_inst_prefetch_distance 0x1
	s_branch .LBB756_649
	.p2align	6
.LBB756_648:                            ;   in Loop: Header=BB756_649 Depth=1
	s_or_b32 exec_lo, exec_lo, s3
	s_delay_alu instid0(SALU_CYCLE_1) | instskip(NEXT) | instid1(SALU_CYCLE_1)
	s_and_b32 s3, exec_lo, s25
	s_or_b32 s23, s3, s23
	s_and_not1_b32 s3, s28, exec_lo
	s_and_b32 s4, s27, exec_lo
	s_and_not1_b32 s24, s24, exec_lo
	s_and_b32 s29, s26, exec_lo
	s_or_b32 s28, s3, s4
	s_or_b32 s24, s24, s29
	s_and_not1_b32 exec_lo, exec_lo, s23
	s_cbranch_execz .LBB756_651
.LBB756_649:                            ; =>This Inner Loop Header: Depth=1
	global_load_b64 v[26:27], v[4:5], off
	global_load_b64 v[28:29], v[6:7], off
	s_and_not1_b32 s27, s27, exec_lo
	s_or_b32 s25, s25, exec_lo
	s_waitcnt vmcnt(0)
	v_cmp_ngt_f64_e32 vcc_lo, v[26:27], v[28:29]
	v_cmp_lt_f64_e64 s3, v[26:27], v[28:29]
	s_and_b32 s29, vcc_lo, s28
	s_delay_alu instid0(VALU_DEP_1) | instid1(SALU_CYCLE_1)
	s_or_b32 s29, s3, s29
	s_and_not1_b32 s3, s26, exec_lo
	s_and_b32 s26, s29, exec_lo
	s_delay_alu instid0(SALU_CYCLE_1)
	s_or_b32 s26, s3, s26
	s_mov_b32 s3, exec_lo
	v_cmpx_nlg_f64_e32 v[26:27], v[28:29]
	s_cbranch_execz .LBB756_648
; %bb.650:                              ;   in Loop: Header=BB756_649 Depth=1
	s_add_u32 s12, s12, -1
	s_addc_u32 s13, s13, -1
	v_add_co_u32 v4, vcc_lo, v4, 8
	s_cmp_eq_u64 s[12:13], 0
	v_add_co_ci_u32_e32 v5, vcc_lo, 0, v5, vcc_lo
	v_add_co_u32 v6, vcc_lo, v6, 8
	s_cselect_b32 s4, -1, 0
	v_add_co_ci_u32_e32 v7, vcc_lo, 0, v7, vcc_lo
	s_and_not1_b32 s27, s27, exec_lo
	s_and_b32 s28, s29, exec_lo
	s_and_not1_b32 s25, s25, exec_lo
	s_and_b32 s4, s4, exec_lo
	s_or_b32 s27, s27, s28
	s_and_not1_b32 s26, s26, exec_lo
	s_or_b32 s25, s25, s4
                                        ; implicit-def: $sgpr28
	s_branch .LBB756_648
.LBB756_651:
	s_set_inst_prefetch_distance 0x2
	s_or_b32 exec_lo, exec_lo, s23
	s_xor_b32 s3, s24, -1
	s_and_not1_b32 s4, s20, exec_lo
	s_and_b32 s3, s3, exec_lo
	s_delay_alu instid0(SALU_CYCLE_1)
	s_or_b32 s20, s4, s3
.LBB756_652:
	s_or_b32 exec_lo, exec_lo, s22
	s_delay_alu instid0(SALU_CYCLE_1)
	s_or_not1_b32 s20, s20, exec_lo
.LBB756_653:
	s_or_b32 exec_lo, exec_lo, s21
	v_cndmask_b32_e64 v4, v9, v8, s20
	v_cndmask_b32_e64 v5, v21, v25, s20
	s_mov_b32 s21, exec_lo
	s_delay_alu instid0(VALU_DEP_2) | instskip(NEXT) | instid1(VALU_DEP_2)
	v_add_nc_u32_e32 v6, 1, v4
	v_add_nc_u32_e32 v4, -1, v5
	s_delay_alu instid0(VALU_DEP_2) | instskip(NEXT) | instid1(VALU_DEP_2)
	v_cndmask_b32_e64 v9, v6, v9, s20
	v_min_u32_e32 v4, v6, v4
	v_cndmask_b32_e64 v8, v8, v6, s20
	s_delay_alu instid0(VALU_DEP_2)
	v_lshl_add_u32 v4, v4, 3, v19
	ds_load_b64 v[4:5], v4
	s_waitcnt lgkmcnt(0)
	v_cndmask_b32_e64 v26, v5, v10, s20
	v_cndmask_b32_e64 v27, v4, v11, s20
	;; [unrolled: 1-line block ×4, first 2 shown]
	v_cmpx_lt_u32_e64 v9, v21
	s_cbranch_execz .LBB756_661
; %bb.654:
	v_cmp_lt_u32_e64 s19, v8, v25
	s_delay_alu instid0(VALU_DEP_1) | instskip(NEXT) | instid1(SALU_CYCLE_1)
	s_and_b32 s3, s19, s16
	s_and_saveexec_b32 s22, s3
	s_cbranch_execz .LBB756_660
; %bb.655:
	v_mul_lo_u32 v30, v26, s8
	v_mul_lo_u32 v31, v27, s9
	v_mad_u64_u32 v[4:5], null, v27, s8, 0
	v_mul_lo_u32 v32, v28, s8
	v_mul_lo_u32 v33, v29, s9
	v_mad_u64_u32 v[6:7], null, v29, s8, 0
	s_mov_b32 s23, 0
	s_mov_b64 s[12:13], s[8:9]
	s_delay_alu instid0(VALU_DEP_4) | instskip(NEXT) | instid1(VALU_DEP_2)
	v_add3_u32 v5, v5, v31, v30
                                        ; implicit-def: $sgpr24
                                        ; implicit-def: $sgpr25
                                        ; implicit-def: $sgpr26
                                        ; implicit-def: $sgpr27
                                        ; implicit-def: $sgpr28
	v_add3_u32 v7, v7, v33, v32
	s_delay_alu instid0(VALU_DEP_2) | instskip(NEXT) | instid1(VALU_DEP_2)
	v_lshlrev_b64 v[4:5], 3, v[4:5]
	v_lshlrev_b64 v[6:7], 3, v[6:7]
	s_delay_alu instid0(VALU_DEP_2) | instskip(NEXT) | instid1(VALU_DEP_3)
	v_add_co_u32 v4, vcc_lo, s10, v4
	v_add_co_ci_u32_e32 v5, vcc_lo, s11, v5, vcc_lo
	s_delay_alu instid0(VALU_DEP_3) | instskip(NEXT) | instid1(VALU_DEP_4)
	v_add_co_u32 v6, vcc_lo, s10, v6
	v_add_co_ci_u32_e32 v7, vcc_lo, s11, v7, vcc_lo
	s_set_inst_prefetch_distance 0x1
	s_branch .LBB756_657
	.p2align	6
.LBB756_656:                            ;   in Loop: Header=BB756_657 Depth=1
	s_or_b32 exec_lo, exec_lo, s3
	s_delay_alu instid0(SALU_CYCLE_1) | instskip(NEXT) | instid1(SALU_CYCLE_1)
	s_and_b32 s3, exec_lo, s25
	s_or_b32 s23, s3, s23
	s_and_not1_b32 s3, s28, exec_lo
	s_and_b32 s4, s27, exec_lo
	s_and_not1_b32 s24, s24, exec_lo
	s_and_b32 s29, s26, exec_lo
	s_or_b32 s28, s3, s4
	s_or_b32 s24, s24, s29
	s_and_not1_b32 exec_lo, exec_lo, s23
	s_cbranch_execz .LBB756_659
.LBB756_657:                            ; =>This Inner Loop Header: Depth=1
	global_load_b64 v[30:31], v[4:5], off
	global_load_b64 v[32:33], v[6:7], off
	s_and_not1_b32 s27, s27, exec_lo
	s_or_b32 s25, s25, exec_lo
	s_waitcnt vmcnt(0)
	v_cmp_ngt_f64_e32 vcc_lo, v[30:31], v[32:33]
	v_cmp_lt_f64_e64 s3, v[30:31], v[32:33]
	s_and_b32 s29, vcc_lo, s28
	s_delay_alu instid0(VALU_DEP_1) | instid1(SALU_CYCLE_1)
	s_or_b32 s29, s3, s29
	s_and_not1_b32 s3, s26, exec_lo
	s_and_b32 s26, s29, exec_lo
	s_delay_alu instid0(SALU_CYCLE_1)
	s_or_b32 s26, s3, s26
	s_mov_b32 s3, exec_lo
	v_cmpx_nlg_f64_e32 v[30:31], v[32:33]
	s_cbranch_execz .LBB756_656
; %bb.658:                              ;   in Loop: Header=BB756_657 Depth=1
	s_add_u32 s12, s12, -1
	s_addc_u32 s13, s13, -1
	v_add_co_u32 v4, vcc_lo, v4, 8
	s_cmp_eq_u64 s[12:13], 0
	v_add_co_ci_u32_e32 v5, vcc_lo, 0, v5, vcc_lo
	v_add_co_u32 v6, vcc_lo, v6, 8
	s_cselect_b32 s4, -1, 0
	v_add_co_ci_u32_e32 v7, vcc_lo, 0, v7, vcc_lo
	s_and_not1_b32 s27, s27, exec_lo
	s_and_b32 s28, s29, exec_lo
	s_and_not1_b32 s25, s25, exec_lo
	s_and_b32 s4, s4, exec_lo
	s_or_b32 s27, s27, s28
	s_and_not1_b32 s26, s26, exec_lo
	s_or_b32 s25, s25, s4
                                        ; implicit-def: $sgpr28
	s_branch .LBB756_656
.LBB756_659:
	s_set_inst_prefetch_distance 0x2
	s_or_b32 exec_lo, exec_lo, s23
	s_xor_b32 s3, s24, -1
	s_and_not1_b32 s4, s19, exec_lo
	s_and_b32 s3, s3, exec_lo
	s_delay_alu instid0(SALU_CYCLE_1)
	s_or_b32 s19, s4, s3
.LBB756_660:
	s_or_b32 exec_lo, exec_lo, s22
	s_delay_alu instid0(SALU_CYCLE_1)
	s_or_not1_b32 s19, s19, exec_lo
.LBB756_661:
	s_or_b32 exec_lo, exec_lo, s21
	v_cndmask_b32_e64 v4, v9, v8, s19
	v_cndmask_b32_e64 v5, v21, v25, s19
	s_mov_b32 s21, exec_lo
	s_delay_alu instid0(VALU_DEP_2) | instskip(NEXT) | instid1(VALU_DEP_2)
	v_add_nc_u32_e32 v30, 1, v4
	v_add_nc_u32_e32 v4, -1, v5
	s_delay_alu instid0(VALU_DEP_2) | instskip(NEXT) | instid1(VALU_DEP_2)
	v_cndmask_b32_e64 v9, v30, v9, s19
	v_min_u32_e32 v4, v30, v4
	s_delay_alu instid0(VALU_DEP_1)
	v_lshl_add_u32 v4, v4, 3, v19
	ds_load_b64 v[4:5], v4
	s_waitcnt lgkmcnt(0)
	v_cndmask_b32_e64 v7, v28, v5, s19
	v_cndmask_b32_e64 v6, v29, v4, s19
	v_cmpx_lt_u32_e64 v9, v21
	s_cbranch_execz .LBB756_669
; %bb.662:
	v_cndmask_b32_e64 v8, v8, v30, s19
	v_cndmask_b32_e64 v19, v5, v26, s19
	;; [unrolled: 1-line block ×3, first 2 shown]
	s_delay_alu instid0(VALU_DEP_3) | instskip(NEXT) | instid1(VALU_DEP_2)
	v_cmp_ge_u32_e32 vcc_lo, v8, v25
	v_dual_cndmask_b32 v5, v7, v19 :: v_dual_cndmask_b32 v4, v6, v21
	s_or_b32 s3, vcc_lo, s5
	s_delay_alu instid0(SALU_CYCLE_1) | instskip(NEXT) | instid1(SALU_CYCLE_1)
	s_xor_b32 s3, s3, -1
	s_and_saveexec_b32 s22, s3
	s_cbranch_execz .LBB756_668
; %bb.663:
	v_mul_lo_u32 v25, v19, s8
	v_mul_lo_u32 v30, v21, s9
	v_mad_u64_u32 v[4:5], null, v21, s8, 0
	v_mul_lo_u32 v31, v7, s8
	v_mul_lo_u32 v32, v6, s9
	v_mad_u64_u32 v[8:9], null, v6, s8, 0
	s_mov_b32 s23, 0
	s_mov_b64 s[12:13], s[8:9]
	s_delay_alu instid0(VALU_DEP_4) | instskip(NEXT) | instid1(VALU_DEP_2)
	v_add3_u32 v5, v5, v30, v25
                                        ; implicit-def: $sgpr24
                                        ; implicit-def: $sgpr25
                                        ; implicit-def: $sgpr26
                                        ; implicit-def: $sgpr27
                                        ; implicit-def: $sgpr28
	v_add3_u32 v9, v9, v32, v31
	s_delay_alu instid0(VALU_DEP_2) | instskip(NEXT) | instid1(VALU_DEP_2)
	v_lshlrev_b64 v[4:5], 3, v[4:5]
	v_lshlrev_b64 v[8:9], 3, v[8:9]
	s_delay_alu instid0(VALU_DEP_2) | instskip(NEXT) | instid1(VALU_DEP_3)
	v_add_co_u32 v4, vcc_lo, s10, v4
	v_add_co_ci_u32_e32 v5, vcc_lo, s11, v5, vcc_lo
	s_delay_alu instid0(VALU_DEP_3) | instskip(NEXT) | instid1(VALU_DEP_4)
	v_add_co_u32 v8, vcc_lo, s10, v8
	v_add_co_ci_u32_e32 v9, vcc_lo, s11, v9, vcc_lo
	s_set_inst_prefetch_distance 0x1
	s_branch .LBB756_665
	.p2align	6
.LBB756_664:                            ;   in Loop: Header=BB756_665 Depth=1
	s_or_b32 exec_lo, exec_lo, s3
	s_delay_alu instid0(SALU_CYCLE_1) | instskip(NEXT) | instid1(SALU_CYCLE_1)
	s_and_b32 s3, exec_lo, s25
	s_or_b32 s23, s3, s23
	s_and_not1_b32 s3, s28, exec_lo
	s_and_b32 s4, s27, exec_lo
	s_and_not1_b32 s24, s24, exec_lo
	s_and_b32 s29, s26, exec_lo
	s_or_b32 s28, s3, s4
	s_or_b32 s24, s24, s29
	s_and_not1_b32 exec_lo, exec_lo, s23
	s_cbranch_execz .LBB756_667
.LBB756_665:                            ; =>This Inner Loop Header: Depth=1
	global_load_b64 v[30:31], v[4:5], off
	global_load_b64 v[32:33], v[8:9], off
	s_and_not1_b32 s27, s27, exec_lo
	s_or_b32 s25, s25, exec_lo
	s_waitcnt vmcnt(0)
	v_cmp_ngt_f64_e32 vcc_lo, v[30:31], v[32:33]
	v_cmp_lt_f64_e64 s3, v[30:31], v[32:33]
	s_and_b32 s29, vcc_lo, s28
	s_delay_alu instid0(VALU_DEP_1) | instid1(SALU_CYCLE_1)
	s_or_b32 s29, s3, s29
	s_and_not1_b32 s3, s26, exec_lo
	s_and_b32 s26, s29, exec_lo
	s_delay_alu instid0(SALU_CYCLE_1)
	s_or_b32 s26, s3, s26
	s_mov_b32 s3, exec_lo
	v_cmpx_nlg_f64_e32 v[30:31], v[32:33]
	s_cbranch_execz .LBB756_664
; %bb.666:                              ;   in Loop: Header=BB756_665 Depth=1
	s_add_u32 s12, s12, -1
	s_addc_u32 s13, s13, -1
	v_add_co_u32 v4, vcc_lo, v4, 8
	s_cmp_eq_u64 s[12:13], 0
	v_add_co_ci_u32_e32 v5, vcc_lo, 0, v5, vcc_lo
	v_add_co_u32 v8, vcc_lo, v8, 8
	s_cselect_b32 s4, -1, 0
	v_add_co_ci_u32_e32 v9, vcc_lo, 0, v9, vcc_lo
	s_and_not1_b32 s27, s27, exec_lo
	s_and_b32 s28, s29, exec_lo
	s_and_not1_b32 s25, s25, exec_lo
	s_and_b32 s4, s4, exec_lo
	s_or_b32 s27, s27, s28
	s_and_not1_b32 s26, s26, exec_lo
	s_or_b32 s25, s25, s4
                                        ; implicit-def: $sgpr28
	s_branch .LBB756_664
.LBB756_667:
	s_set_inst_prefetch_distance 0x2
	s_or_b32 exec_lo, exec_lo, s23
	v_cndmask_b32_e64 v5, v7, v19, s24
	v_cndmask_b32_e64 v4, v6, v21, s24
.LBB756_668:
	s_or_b32 exec_lo, exec_lo, s22
	s_delay_alu instid0(VALU_DEP_1)
	v_dual_mov_b32 v7, v5 :: v_dual_mov_b32 v6, v4
.LBB756_669:
	s_or_b32 exec_lo, exec_lo, s21
	v_cndmask_b32_e64 v1, v3, v1, s15
	v_cndmask_b32_e64 v0, v2, v0, s15
	;; [unrolled: 1-line block ×6, first 2 shown]
.LBB756_670:
	s_or_b32 exec_lo, exec_lo, s14
	s_cmpk_lt_u32 s18, 0x41
	; wave barrier
	s_waitcnt lgkmcnt(0)
	s_barrier
	buffer_gl0_inv
	s_cbranch_scc1 .LBB756_719
; %bb.671:
	v_lshlrev_b32_e32 v19, 3, v23
	s_lshl_b64 s[12:13], s[8:9], 3
	s_mov_b32 s19, 64
	s_branch .LBB756_676
.LBB756_672:                            ;   in Loop: Header=BB756_676 Depth=1
	s_set_inst_prefetch_distance 0x2
	s_or_b32 exec_lo, exec_lo, s26
	v_cndmask_b32_e64 v5, v7, v21, s27
	v_cndmask_b32_e64 v4, v6, v30, s27
.LBB756_673:                            ;   in Loop: Header=BB756_676 Depth=1
	s_or_b32 exec_lo, exec_lo, s25
	s_delay_alu instid0(VALU_DEP_1)
	v_dual_mov_b32 v7, v5 :: v_dual_mov_b32 v6, v4
.LBB756_674:                            ;   in Loop: Header=BB756_676 Depth=1
	s_or_b32 exec_lo, exec_lo, s24
	v_cndmask_b32_e64 v1, v3, v1, s21
	v_cndmask_b32_e64 v0, v2, v0, s21
	;; [unrolled: 1-line block ×6, first 2 shown]
.LBB756_675:                            ;   in Loop: Header=BB756_676 Depth=1
	s_or_b32 exec_lo, exec_lo, s20
	s_cmp_lt_u32 s19, s18
	s_barrier
	buffer_gl0_inv
	s_cbranch_scc0 .LBB756_719
.LBB756_676:                            ; =>This Loop Header: Depth=1
                                        ;     Child Loop BB756_680 Depth 2
                                        ;       Child Loop BB756_683 Depth 3
                                        ;     Child Loop BB756_694 Depth 2
                                        ;     Child Loop BB756_701 Depth 2
	;; [unrolled: 1-line block ×4, first 2 shown]
	s_mov_b32 s3, s19
	s_lshl_b32 s19, s19, 1
	s_mov_b32 s20, exec_lo
	s_sub_i32 s4, 0, s19
	ds_store_b128 v19, v[0:3]
	ds_store_b128 v19, v[4:7] offset:16
	v_and_b32_e32 v26, s4, v23
	s_waitcnt lgkmcnt(0)
	s_barrier
	buffer_gl0_inv
	v_add_nc_u32_e32 v8, s3, v26
	v_lshlrev_b32_e32 v25, 3, v26
	s_delay_alu instid0(VALU_DEP_2) | instskip(NEXT) | instid1(VALU_DEP_1)
	v_min_u32_e32 v20, s18, v8
	v_add_nc_u32_e32 v8, s3, v20
	s_add_i32 s3, s19, -1
	s_delay_alu instid0(SALU_CYCLE_1) | instskip(NEXT) | instid1(VALU_DEP_2)
	v_and_b32_e32 v9, s3, v23
	v_min_u32_e32 v21, s18, v8
	v_sub_nc_u32_e32 v8, v20, v26
	s_delay_alu instid0(VALU_DEP_3) | instskip(NEXT) | instid1(VALU_DEP_3)
	v_min_u32_e32 v27, s18, v9
	v_sub_nc_u32_e32 v9, v21, v20
	s_delay_alu instid0(VALU_DEP_2) | instskip(NEXT) | instid1(VALU_DEP_2)
	v_min_u32_e32 v28, v27, v8
	v_sub_nc_u32_e64 v24, v27, v9 clamp
	s_delay_alu instid0(VALU_DEP_1)
	v_cmpx_lt_u32_e64 v24, v28
	s_cbranch_execz .LBB756_686
; %bb.677:                              ;   in Loop: Header=BB756_676 Depth=1
	v_lshlrev_b32_e32 v8, 3, v27
	s_mov_b32 s21, 0
	s_delay_alu instid0(VALU_DEP_1)
	v_lshl_add_u32 v29, v20, 3, v8
	s_branch .LBB756_680
.LBB756_678:                            ;   in Loop: Header=BB756_680 Depth=2
	s_set_inst_prefetch_distance 0x2
	s_or_b32 exec_lo, exec_lo, s22
.LBB756_679:                            ;   in Loop: Header=BB756_680 Depth=2
	s_delay_alu instid0(VALU_DEP_1) | instskip(SKIP_1) | instid1(VALU_DEP_2)
	v_add_nc_u32_e32 v8, 1, v30
	v_cndmask_b32_e64 v28, v28, v30, s23
	v_cndmask_b32_e64 v24, v8, v24, s23
	s_delay_alu instid0(VALU_DEP_1) | instskip(SKIP_1) | instid1(SALU_CYCLE_1)
	v_cmp_ge_u32_e32 vcc_lo, v24, v28
	s_or_b32 s21, vcc_lo, s21
	s_and_not1_b32 exec_lo, exec_lo, s21
	s_cbranch_execz .LBB756_685
.LBB756_680:                            ;   Parent Loop BB756_676 Depth=1
                                        ; =>  This Loop Header: Depth=2
                                        ;       Child Loop BB756_683 Depth 3
	v_add_nc_u32_e32 v8, v28, v24
	v_cmp_ne_u32_e32 vcc_lo, 1, v18
	s_mov_b32 s23, 0
	s_delay_alu instid0(VALU_DEP_2)
	v_lshrrev_b32_e32 v30, 1, v8
	s_cbranch_vccnz .LBB756_679
; %bb.681:                              ;   in Loop: Header=BB756_680 Depth=2
	s_delay_alu instid0(VALU_DEP_1) | instskip(SKIP_3) | instid1(VALU_DEP_2)
	v_not_b32_e32 v8, v30
	v_lshl_add_u32 v9, v30, 3, v25
	s_mov_b32 s22, 0
	s_mov_b64 s[14:15], s[8:9]
                                        ; implicit-def: $sgpr23
                                        ; implicit-def: $sgpr24
                                        ; implicit-def: $sgpr25
                                        ; implicit-def: $sgpr26
                                        ; implicit-def: $sgpr27
	v_lshl_add_u32 v8, v8, 3, v29
	ds_load_b64 v[10:11], v8
	ds_load_b64 v[31:32], v9
	s_waitcnt lgkmcnt(1)
	v_mul_lo_u32 v33, s12, v11
	v_mul_lo_u32 v34, s13, v10
	v_mad_u64_u32 v[8:9], null, s12, v10, s[10:11]
	s_waitcnt lgkmcnt(0)
	v_mul_lo_u32 v32, s12, v32
	v_mul_lo_u32 v35, s13, v31
	v_mad_u64_u32 v[10:11], null, s12, v31, s[10:11]
	s_delay_alu instid0(VALU_DEP_4) | instskip(NEXT) | instid1(VALU_DEP_2)
	v_add3_u32 v9, v34, v9, v33
	v_add3_u32 v11, v35, v11, v32
	s_set_inst_prefetch_distance 0x1
	s_branch .LBB756_683
	.p2align	6
.LBB756_682:                            ;   in Loop: Header=BB756_683 Depth=3
	s_or_b32 exec_lo, exec_lo, s3
	s_delay_alu instid0(SALU_CYCLE_1) | instskip(NEXT) | instid1(SALU_CYCLE_1)
	s_and_b32 s3, exec_lo, s24
	s_or_b32 s22, s3, s22
	s_and_not1_b32 s3, s27, exec_lo
	s_and_b32 s4, s25, exec_lo
	s_and_not1_b32 s23, s23, exec_lo
	s_and_b32 s28, s26, exec_lo
	s_or_b32 s27, s3, s4
	s_or_b32 s23, s23, s28
	s_and_not1_b32 exec_lo, exec_lo, s22
	s_cbranch_execz .LBB756_678
.LBB756_683:                            ;   Parent Loop BB756_676 Depth=1
                                        ;     Parent Loop BB756_680 Depth=2
                                        ; =>    This Inner Loop Header: Depth=3
	global_load_b64 v[31:32], v[8:9], off
	global_load_b64 v[33:34], v[10:11], off
	s_and_not1_b32 s25, s25, exec_lo
	s_or_b32 s24, s24, exec_lo
	s_waitcnt vmcnt(0)
	v_cmp_ngt_f64_e32 vcc_lo, v[31:32], v[33:34]
	v_cmp_lt_f64_e64 s3, v[31:32], v[33:34]
	s_and_b32 s28, vcc_lo, s27
	s_delay_alu instid0(VALU_DEP_1) | instid1(SALU_CYCLE_1)
	s_or_b32 s28, s3, s28
	s_and_not1_b32 s3, s26, exec_lo
	s_and_b32 s26, s28, exec_lo
	s_delay_alu instid0(SALU_CYCLE_1)
	s_or_b32 s26, s3, s26
	s_mov_b32 s3, exec_lo
	v_cmpx_nlg_f64_e32 v[31:32], v[33:34]
	s_cbranch_execz .LBB756_682
; %bb.684:                              ;   in Loop: Header=BB756_683 Depth=3
	s_add_u32 s14, s14, -1
	s_addc_u32 s15, s15, -1
	v_add_co_u32 v8, vcc_lo, v8, 8
	v_add_co_ci_u32_e32 v9, vcc_lo, 0, v9, vcc_lo
	s_cmp_eq_u64 s[14:15], 0
	v_add_co_u32 v10, vcc_lo, v10, 8
	s_cselect_b32 s4, -1, 0
	v_add_co_ci_u32_e32 v11, vcc_lo, 0, v11, vcc_lo
	s_and_not1_b32 s25, s25, exec_lo
	s_and_b32 s27, s28, exec_lo
	s_and_not1_b32 s24, s24, exec_lo
	s_and_b32 s4, s4, exec_lo
	s_and_not1_b32 s26, s26, exec_lo
	s_or_b32 s25, s25, s27
	s_or_b32 s24, s24, s4
                                        ; implicit-def: $sgpr27
	s_branch .LBB756_682
.LBB756_685:                            ;   in Loop: Header=BB756_676 Depth=1
	s_or_b32 exec_lo, exec_lo, s21
.LBB756_686:                            ;   in Loop: Header=BB756_676 Depth=1
	s_delay_alu instid0(SALU_CYCLE_1) | instskip(SKIP_2) | instid1(VALU_DEP_2)
	s_or_b32 exec_lo, exec_lo, s20
	v_sub_nc_u32_e32 v9, v27, v24
	v_add_nc_u32_e32 v8, v24, v26
	v_add_nc_u32_e32 v9, v9, v20
	s_delay_alu instid0(VALU_DEP_2) | instskip(NEXT) | instid1(VALU_DEP_2)
	v_cmp_le_u32_e32 vcc_lo, v8, v20
	v_cmp_le_u32_e64 s3, v9, v21
	s_delay_alu instid0(VALU_DEP_1) | instskip(NEXT) | instid1(SALU_CYCLE_1)
	s_or_b32 s3, vcc_lo, s3
	s_and_saveexec_b32 s20, s3
	s_cbranch_execz .LBB756_675
; %bb.687:                              ;   in Loop: Header=BB756_676 Depth=1
	v_cmp_ge_u32_e32 vcc_lo, v8, v20
	s_mov_b32 s4, exec_lo
                                        ; implicit-def: $vgpr0_vgpr1
	v_cmpx_lt_u32_e64 v8, v20
	s_cbranch_execz .LBB756_689
; %bb.688:                              ;   in Loop: Header=BB756_676 Depth=1
	v_lshl_add_u32 v0, v24, 3, v25
	ds_load_b64 v[0:1], v0
.LBB756_689:                            ;   in Loop: Header=BB756_676 Depth=1
	s_or_b32 exec_lo, exec_lo, s4
	v_cmp_ge_u32_e64 s3, v9, v21
	s_mov_b32 s14, exec_lo
                                        ; implicit-def: $vgpr2_vgpr3
	v_cmpx_lt_u32_e64 v9, v21
	s_cbranch_execz .LBB756_691
; %bb.690:                              ;   in Loop: Header=BB756_676 Depth=1
	v_lshlrev_b32_e32 v2, 3, v9
	ds_load_b64 v[2:3], v2
.LBB756_691:                            ;   in Loop: Header=BB756_676 Depth=1
	s_or_b32 exec_lo, exec_lo, s14
	s_or_b32 s4, vcc_lo, s3
	s_xor_b32 s14, vcc_lo, -1
	s_or_b32 s4, s4, s5
	s_or_b32 s21, s3, s14
	s_xor_b32 s4, s4, -1
	s_delay_alu instid0(SALU_CYCLE_1)
	s_and_saveexec_b32 s22, s4
	s_cbranch_execz .LBB756_697
; %bb.692:                              ;   in Loop: Header=BB756_676 Depth=1
	s_waitcnt lgkmcnt(0)
	v_mad_u64_u32 v[4:5], null, s12, v2, s[10:11]
	v_mul_lo_u32 v10, s12, v3
	v_mul_lo_u32 v11, s13, v2
	v_mad_u64_u32 v[6:7], null, s12, v0, s[10:11]
	v_mul_lo_u32 v24, s12, v1
	v_mul_lo_u32 v25, s13, v0
	s_mov_b32 s23, 0
	s_mov_b64 s[14:15], s[8:9]
                                        ; implicit-def: $sgpr24
                                        ; implicit-def: $sgpr25
                                        ; implicit-def: $sgpr26
                                        ; implicit-def: $sgpr27
                                        ; implicit-def: $sgpr28
	s_delay_alu instid0(VALU_DEP_4) | instskip(NEXT) | instid1(VALU_DEP_2)
	v_add3_u32 v5, v11, v5, v10
	v_add3_u32 v7, v25, v7, v24
	s_set_inst_prefetch_distance 0x1
	s_branch .LBB756_694
	.p2align	6
.LBB756_693:                            ;   in Loop: Header=BB756_694 Depth=2
	s_or_b32 exec_lo, exec_lo, s3
	s_delay_alu instid0(SALU_CYCLE_1) | instskip(NEXT) | instid1(SALU_CYCLE_1)
	s_and_b32 s3, exec_lo, s25
	s_or_b32 s23, s3, s23
	s_and_not1_b32 s3, s28, exec_lo
	s_and_b32 s4, s27, exec_lo
	s_and_not1_b32 s24, s24, exec_lo
	s_and_b32 s29, s26, exec_lo
	s_or_b32 s28, s3, s4
	s_or_b32 s24, s24, s29
	s_and_not1_b32 exec_lo, exec_lo, s23
	s_cbranch_execz .LBB756_696
.LBB756_694:                            ;   Parent Loop BB756_676 Depth=1
                                        ; =>  This Inner Loop Header: Depth=2
	global_load_b64 v[10:11], v[4:5], off
	global_load_b64 v[24:25], v[6:7], off
	s_and_not1_b32 s27, s27, exec_lo
	s_or_b32 s25, s25, exec_lo
	s_waitcnt vmcnt(0)
	v_cmp_ngt_f64_e32 vcc_lo, v[10:11], v[24:25]
	v_cmp_lt_f64_e64 s3, v[10:11], v[24:25]
	s_and_b32 s29, vcc_lo, s28
	s_delay_alu instid0(VALU_DEP_1) | instid1(SALU_CYCLE_1)
	s_or_b32 s29, s3, s29
	s_and_not1_b32 s3, s26, exec_lo
	s_and_b32 s26, s29, exec_lo
	s_delay_alu instid0(SALU_CYCLE_1)
	s_or_b32 s26, s3, s26
	s_mov_b32 s3, exec_lo
	v_cmpx_nlg_f64_e32 v[10:11], v[24:25]
	s_cbranch_execz .LBB756_693
; %bb.695:                              ;   in Loop: Header=BB756_694 Depth=2
	s_add_u32 s14, s14, -1
	s_addc_u32 s15, s15, -1
	v_add_co_u32 v4, vcc_lo, v4, 8
	s_cmp_eq_u64 s[14:15], 0
	v_add_co_ci_u32_e32 v5, vcc_lo, 0, v5, vcc_lo
	v_add_co_u32 v6, vcc_lo, v6, 8
	s_cselect_b32 s4, -1, 0
	v_add_co_ci_u32_e32 v7, vcc_lo, 0, v7, vcc_lo
	s_and_not1_b32 s27, s27, exec_lo
	s_and_b32 s28, s29, exec_lo
	s_and_not1_b32 s25, s25, exec_lo
	s_and_b32 s4, s4, exec_lo
	s_or_b32 s27, s27, s28
	s_and_not1_b32 s26, s26, exec_lo
	s_or_b32 s25, s25, s4
                                        ; implicit-def: $sgpr28
	s_branch .LBB756_693
.LBB756_696:                            ;   in Loop: Header=BB756_676 Depth=1
	s_set_inst_prefetch_distance 0x2
	s_or_b32 exec_lo, exec_lo, s23
	s_xor_b32 s3, s24, -1
	s_and_not1_b32 s4, s21, exec_lo
	s_and_b32 s3, s3, exec_lo
	s_delay_alu instid0(SALU_CYCLE_1)
	s_or_b32 s21, s4, s3
.LBB756_697:                            ;   in Loop: Header=BB756_676 Depth=1
	s_or_b32 exec_lo, exec_lo, s22
	v_cndmask_b32_e64 v4, v9, v8, s21
	v_cndmask_b32_e64 v5, v21, v20, s21
	s_mov_b32 s22, -1
	s_mov_b32 s23, -1
	s_mov_b32 s24, exec_lo
	v_add_nc_u32_e32 v6, 1, v4
	v_add_nc_u32_e32 v4, -1, v5
	s_delay_alu instid0(VALU_DEP_2) | instskip(NEXT) | instid1(VALU_DEP_2)
	v_cndmask_b32_e64 v9, v6, v9, s21
	v_min_u32_e32 v4, v6, v4
	v_cndmask_b32_e64 v8, v8, v6, s21
	s_delay_alu instid0(VALU_DEP_2)
	v_lshlrev_b32_e32 v4, 3, v4
	ds_load_b64 v[4:5], v4
	s_waitcnt lgkmcnt(0)
	v_cndmask_b32_e64 v10, v5, v3, s21
	v_cndmask_b32_e64 v11, v4, v2, s21
	;; [unrolled: 1-line block ×4, first 2 shown]
	v_cmpx_lt_u32_e64 v9, v21
	s_cbranch_execz .LBB756_705
; %bb.698:                              ;   in Loop: Header=BB756_676 Depth=1
	v_cmp_lt_u32_e64 s23, v8, v20
	s_delay_alu instid0(VALU_DEP_1) | instskip(NEXT) | instid1(SALU_CYCLE_1)
	s_and_b32 s3, s23, s16
	s_and_saveexec_b32 s25, s3
	s_cbranch_execz .LBB756_704
; %bb.699:                              ;   in Loop: Header=BB756_676 Depth=1
	v_mad_u64_u32 v[4:5], null, s12, v11, s[10:11]
	v_mul_lo_u32 v26, s12, v10
	v_mul_lo_u32 v27, s13, v11
	v_mad_u64_u32 v[6:7], null, s12, v25, s[10:11]
	v_mul_lo_u32 v28, s12, v24
	v_mul_lo_u32 v29, s13, v25
	s_mov_b32 s26, 0
	s_mov_b64 s[14:15], s[8:9]
                                        ; implicit-def: $sgpr27
                                        ; implicit-def: $sgpr28
                                        ; implicit-def: $sgpr29
                                        ; implicit-def: $sgpr30
                                        ; implicit-def: $sgpr31
	s_delay_alu instid0(VALU_DEP_4) | instskip(NEXT) | instid1(VALU_DEP_2)
	v_add3_u32 v5, v27, v5, v26
	v_add3_u32 v7, v29, v7, v28
	s_set_inst_prefetch_distance 0x1
	s_branch .LBB756_701
	.p2align	6
.LBB756_700:                            ;   in Loop: Header=BB756_701 Depth=2
	s_or_b32 exec_lo, exec_lo, s3
	s_delay_alu instid0(SALU_CYCLE_1) | instskip(NEXT) | instid1(SALU_CYCLE_1)
	s_and_b32 s3, exec_lo, s28
	s_or_b32 s26, s3, s26
	s_and_not1_b32 s3, s31, exec_lo
	s_and_b32 s4, s30, exec_lo
	s_and_not1_b32 s27, s27, exec_lo
	s_and_b32 s33, s29, exec_lo
	s_or_b32 s31, s3, s4
	s_or_b32 s27, s27, s33
	s_and_not1_b32 exec_lo, exec_lo, s26
	s_cbranch_execz .LBB756_703
.LBB756_701:                            ;   Parent Loop BB756_676 Depth=1
                                        ; =>  This Inner Loop Header: Depth=2
	global_load_b64 v[26:27], v[4:5], off
	global_load_b64 v[28:29], v[6:7], off
	s_and_not1_b32 s30, s30, exec_lo
	s_or_b32 s28, s28, exec_lo
	s_waitcnt vmcnt(0)
	v_cmp_ngt_f64_e32 vcc_lo, v[26:27], v[28:29]
	v_cmp_lt_f64_e64 s3, v[26:27], v[28:29]
	s_and_b32 s33, vcc_lo, s31
	s_delay_alu instid0(VALU_DEP_1) | instid1(SALU_CYCLE_1)
	s_or_b32 s33, s3, s33
	s_and_not1_b32 s3, s29, exec_lo
	s_and_b32 s29, s33, exec_lo
	s_delay_alu instid0(SALU_CYCLE_1)
	s_or_b32 s29, s3, s29
	s_mov_b32 s3, exec_lo
	v_cmpx_nlg_f64_e32 v[26:27], v[28:29]
	s_cbranch_execz .LBB756_700
; %bb.702:                              ;   in Loop: Header=BB756_701 Depth=2
	s_add_u32 s14, s14, -1
	s_addc_u32 s15, s15, -1
	v_add_co_u32 v4, vcc_lo, v4, 8
	s_cmp_eq_u64 s[14:15], 0
	v_add_co_ci_u32_e32 v5, vcc_lo, 0, v5, vcc_lo
	v_add_co_u32 v6, vcc_lo, v6, 8
	s_cselect_b32 s4, -1, 0
	v_add_co_ci_u32_e32 v7, vcc_lo, 0, v7, vcc_lo
	s_and_not1_b32 s30, s30, exec_lo
	s_and_b32 s31, s33, exec_lo
	s_and_not1_b32 s28, s28, exec_lo
	s_and_b32 s4, s4, exec_lo
	s_or_b32 s30, s30, s31
	s_and_not1_b32 s29, s29, exec_lo
	s_or_b32 s28, s28, s4
                                        ; implicit-def: $sgpr31
	s_branch .LBB756_700
.LBB756_703:                            ;   in Loop: Header=BB756_676 Depth=1
	s_set_inst_prefetch_distance 0x2
	s_or_b32 exec_lo, exec_lo, s26
	s_xor_b32 s3, s27, -1
	s_and_not1_b32 s4, s23, exec_lo
	s_and_b32 s3, s3, exec_lo
	s_delay_alu instid0(SALU_CYCLE_1)
	s_or_b32 s23, s4, s3
.LBB756_704:                            ;   in Loop: Header=BB756_676 Depth=1
	s_or_b32 exec_lo, exec_lo, s25
	s_delay_alu instid0(SALU_CYCLE_1)
	s_or_not1_b32 s23, s23, exec_lo
.LBB756_705:                            ;   in Loop: Header=BB756_676 Depth=1
	s_or_b32 exec_lo, exec_lo, s24
	v_cndmask_b32_e64 v4, v9, v8, s23
	v_cndmask_b32_e64 v5, v21, v20, s23
	s_mov_b32 s24, exec_lo
	s_delay_alu instid0(VALU_DEP_2) | instskip(NEXT) | instid1(VALU_DEP_2)
	v_add_nc_u32_e32 v6, 1, v4
	v_add_nc_u32_e32 v4, -1, v5
	s_delay_alu instid0(VALU_DEP_2) | instskip(NEXT) | instid1(VALU_DEP_2)
	v_cndmask_b32_e64 v9, v6, v9, s23
	v_min_u32_e32 v4, v6, v4
	v_cndmask_b32_e64 v8, v8, v6, s23
	s_delay_alu instid0(VALU_DEP_2)
	v_lshlrev_b32_e32 v4, 3, v4
	ds_load_b64 v[4:5], v4
	s_waitcnt lgkmcnt(0)
	v_cndmask_b32_e64 v26, v5, v10, s23
	v_cndmask_b32_e64 v27, v4, v11, s23
	;; [unrolled: 1-line block ×4, first 2 shown]
	v_cmpx_lt_u32_e64 v9, v21
	s_cbranch_execz .LBB756_713
; %bb.706:                              ;   in Loop: Header=BB756_676 Depth=1
	v_cmp_lt_u32_e64 s22, v8, v20
	s_delay_alu instid0(VALU_DEP_1) | instskip(NEXT) | instid1(SALU_CYCLE_1)
	s_and_b32 s3, s22, s16
	s_and_saveexec_b32 s25, s3
	s_cbranch_execz .LBB756_712
; %bb.707:                              ;   in Loop: Header=BB756_676 Depth=1
	v_mad_u64_u32 v[4:5], null, s12, v27, s[10:11]
	v_mul_lo_u32 v30, s12, v26
	v_mul_lo_u32 v31, s13, v27
	v_mad_u64_u32 v[6:7], null, s12, v29, s[10:11]
	v_mul_lo_u32 v32, s12, v28
	v_mul_lo_u32 v33, s13, v29
	s_mov_b32 s26, 0
	s_mov_b64 s[14:15], s[8:9]
                                        ; implicit-def: $sgpr27
                                        ; implicit-def: $sgpr28
                                        ; implicit-def: $sgpr29
                                        ; implicit-def: $sgpr30
                                        ; implicit-def: $sgpr31
	s_delay_alu instid0(VALU_DEP_4) | instskip(NEXT) | instid1(VALU_DEP_2)
	v_add3_u32 v5, v31, v5, v30
	v_add3_u32 v7, v33, v7, v32
	s_set_inst_prefetch_distance 0x1
	s_branch .LBB756_709
	.p2align	6
.LBB756_708:                            ;   in Loop: Header=BB756_709 Depth=2
	s_or_b32 exec_lo, exec_lo, s3
	s_delay_alu instid0(SALU_CYCLE_1) | instskip(NEXT) | instid1(SALU_CYCLE_1)
	s_and_b32 s3, exec_lo, s28
	s_or_b32 s26, s3, s26
	s_and_not1_b32 s3, s31, exec_lo
	s_and_b32 s4, s30, exec_lo
	s_and_not1_b32 s27, s27, exec_lo
	s_and_b32 s33, s29, exec_lo
	s_or_b32 s31, s3, s4
	s_or_b32 s27, s27, s33
	s_and_not1_b32 exec_lo, exec_lo, s26
	s_cbranch_execz .LBB756_711
.LBB756_709:                            ;   Parent Loop BB756_676 Depth=1
                                        ; =>  This Inner Loop Header: Depth=2
	global_load_b64 v[30:31], v[4:5], off
	global_load_b64 v[32:33], v[6:7], off
	s_and_not1_b32 s30, s30, exec_lo
	s_or_b32 s28, s28, exec_lo
	s_waitcnt vmcnt(0)
	v_cmp_ngt_f64_e32 vcc_lo, v[30:31], v[32:33]
	v_cmp_lt_f64_e64 s3, v[30:31], v[32:33]
	s_and_b32 s33, vcc_lo, s31
	s_delay_alu instid0(VALU_DEP_1) | instid1(SALU_CYCLE_1)
	s_or_b32 s33, s3, s33
	s_and_not1_b32 s3, s29, exec_lo
	s_and_b32 s29, s33, exec_lo
	s_delay_alu instid0(SALU_CYCLE_1)
	s_or_b32 s29, s3, s29
	s_mov_b32 s3, exec_lo
	v_cmpx_nlg_f64_e32 v[30:31], v[32:33]
	s_cbranch_execz .LBB756_708
; %bb.710:                              ;   in Loop: Header=BB756_709 Depth=2
	s_add_u32 s14, s14, -1
	s_addc_u32 s15, s15, -1
	v_add_co_u32 v4, vcc_lo, v4, 8
	s_cmp_eq_u64 s[14:15], 0
	v_add_co_ci_u32_e32 v5, vcc_lo, 0, v5, vcc_lo
	v_add_co_u32 v6, vcc_lo, v6, 8
	s_cselect_b32 s4, -1, 0
	v_add_co_ci_u32_e32 v7, vcc_lo, 0, v7, vcc_lo
	s_and_not1_b32 s30, s30, exec_lo
	s_and_b32 s31, s33, exec_lo
	s_and_not1_b32 s28, s28, exec_lo
	s_and_b32 s4, s4, exec_lo
	s_or_b32 s30, s30, s31
	s_and_not1_b32 s29, s29, exec_lo
	s_or_b32 s28, s28, s4
                                        ; implicit-def: $sgpr31
	s_branch .LBB756_708
.LBB756_711:                            ;   in Loop: Header=BB756_676 Depth=1
	s_set_inst_prefetch_distance 0x2
	s_or_b32 exec_lo, exec_lo, s26
	s_xor_b32 s3, s27, -1
	s_and_not1_b32 s4, s22, exec_lo
	s_and_b32 s3, s3, exec_lo
	s_delay_alu instid0(SALU_CYCLE_1)
	s_or_b32 s22, s4, s3
.LBB756_712:                            ;   in Loop: Header=BB756_676 Depth=1
	s_or_b32 exec_lo, exec_lo, s25
	s_delay_alu instid0(SALU_CYCLE_1)
	s_or_not1_b32 s22, s22, exec_lo
.LBB756_713:                            ;   in Loop: Header=BB756_676 Depth=1
	s_or_b32 exec_lo, exec_lo, s24
	v_cndmask_b32_e64 v4, v9, v8, s22
	v_cndmask_b32_e64 v5, v21, v20, s22
	s_mov_b32 s24, exec_lo
	s_delay_alu instid0(VALU_DEP_2) | instskip(NEXT) | instid1(VALU_DEP_2)
	v_add_nc_u32_e32 v30, 1, v4
	v_add_nc_u32_e32 v4, -1, v5
	s_delay_alu instid0(VALU_DEP_2) | instskip(NEXT) | instid1(VALU_DEP_2)
	v_cndmask_b32_e64 v9, v30, v9, s22
	v_min_u32_e32 v4, v30, v4
	s_delay_alu instid0(VALU_DEP_1)
	v_lshlrev_b32_e32 v4, 3, v4
	ds_load_b64 v[4:5], v4
	s_waitcnt lgkmcnt(0)
	v_cndmask_b32_e64 v7, v28, v5, s22
	v_cndmask_b32_e64 v6, v29, v4, s22
	v_cmpx_lt_u32_e64 v9, v21
	s_cbranch_execz .LBB756_674
; %bb.714:                              ;   in Loop: Header=BB756_676 Depth=1
	v_cndmask_b32_e64 v8, v8, v30, s22
	v_cndmask_b32_e64 v21, v5, v26, s22
	;; [unrolled: 1-line block ×3, first 2 shown]
	s_delay_alu instid0(VALU_DEP_3) | instskip(NEXT) | instid1(VALU_DEP_2)
	v_cmp_ge_u32_e32 vcc_lo, v8, v20
	v_dual_cndmask_b32 v5, v7, v21 :: v_dual_cndmask_b32 v4, v6, v30
	s_or_b32 s3, vcc_lo, s5
	s_delay_alu instid0(SALU_CYCLE_1) | instskip(NEXT) | instid1(SALU_CYCLE_1)
	s_xor_b32 s3, s3, -1
	s_and_saveexec_b32 s25, s3
	s_cbranch_execz .LBB756_673
; %bb.715:                              ;   in Loop: Header=BB756_676 Depth=1
	v_mad_u64_u32 v[4:5], null, s12, v30, s[10:11]
	v_mul_lo_u32 v20, s12, v21
	v_mul_lo_u32 v31, s13, v30
	v_mad_u64_u32 v[8:9], null, s12, v6, s[10:11]
	v_mul_lo_u32 v32, s12, v7
	v_mul_lo_u32 v33, s13, v6
	s_mov_b32 s26, 0
	s_mov_b64 s[14:15], s[8:9]
                                        ; implicit-def: $sgpr27
                                        ; implicit-def: $sgpr28
                                        ; implicit-def: $sgpr29
                                        ; implicit-def: $sgpr30
                                        ; implicit-def: $sgpr31
	s_delay_alu instid0(VALU_DEP_4) | instskip(NEXT) | instid1(VALU_DEP_2)
	v_add3_u32 v5, v31, v5, v20
	v_add3_u32 v9, v33, v9, v32
	s_set_inst_prefetch_distance 0x1
	s_branch .LBB756_717
	.p2align	6
.LBB756_716:                            ;   in Loop: Header=BB756_717 Depth=2
	s_or_b32 exec_lo, exec_lo, s3
	s_delay_alu instid0(SALU_CYCLE_1) | instskip(NEXT) | instid1(SALU_CYCLE_1)
	s_and_b32 s3, exec_lo, s28
	s_or_b32 s26, s3, s26
	s_and_not1_b32 s3, s31, exec_lo
	s_and_b32 s4, s30, exec_lo
	s_and_not1_b32 s27, s27, exec_lo
	s_and_b32 s33, s29, exec_lo
	s_or_b32 s31, s3, s4
	s_or_b32 s27, s27, s33
	s_and_not1_b32 exec_lo, exec_lo, s26
	s_cbranch_execz .LBB756_672
.LBB756_717:                            ;   Parent Loop BB756_676 Depth=1
                                        ; =>  This Inner Loop Header: Depth=2
	global_load_b64 v[31:32], v[4:5], off
	global_load_b64 v[33:34], v[8:9], off
	s_and_not1_b32 s30, s30, exec_lo
	s_or_b32 s28, s28, exec_lo
	s_waitcnt vmcnt(0)
	v_cmp_ngt_f64_e32 vcc_lo, v[31:32], v[33:34]
	v_cmp_lt_f64_e64 s3, v[31:32], v[33:34]
	s_and_b32 s33, vcc_lo, s31
	s_delay_alu instid0(VALU_DEP_1) | instid1(SALU_CYCLE_1)
	s_or_b32 s33, s3, s33
	s_and_not1_b32 s3, s29, exec_lo
	s_and_b32 s29, s33, exec_lo
	s_delay_alu instid0(SALU_CYCLE_1)
	s_or_b32 s29, s3, s29
	s_mov_b32 s3, exec_lo
	v_cmpx_nlg_f64_e32 v[31:32], v[33:34]
	s_cbranch_execz .LBB756_716
; %bb.718:                              ;   in Loop: Header=BB756_717 Depth=2
	s_add_u32 s14, s14, -1
	s_addc_u32 s15, s15, -1
	v_add_co_u32 v4, vcc_lo, v4, 8
	s_cmp_eq_u64 s[14:15], 0
	v_add_co_ci_u32_e32 v5, vcc_lo, 0, v5, vcc_lo
	v_add_co_u32 v8, vcc_lo, v8, 8
	s_cselect_b32 s4, -1, 0
	v_add_co_ci_u32_e32 v9, vcc_lo, 0, v9, vcc_lo
	s_and_not1_b32 s30, s30, exec_lo
	s_and_b32 s31, s33, exec_lo
	s_and_not1_b32 s28, s28, exec_lo
	s_and_b32 s4, s4, exec_lo
	s_or_b32 s30, s30, s31
	s_and_not1_b32 s29, s29, exec_lo
	s_or_b32 s28, s28, s4
                                        ; implicit-def: $sgpr31
	s_branch .LBB756_716
.LBB756_719:
	s_barrier
	buffer_gl0_inv
	ds_store_2addr_b64 v17, v[0:1], v[2:3] offset1:1
	ds_store_2addr_b64 v17, v[4:5], v[6:7] offset0:2 offset1:3
	s_waitcnt lgkmcnt(0)
	s_barrier
	buffer_gl0_inv
	ds_load_b64 v[6:7], v13 offset:2048
	ds_load_b64 v[2:3], v15 offset:4096
	;; [unrolled: 1-line block ×3, first 2 shown]
	v_add_co_u32 v4, s3, s6, v22
	v_mov_b32_e32 v13, 0
	v_add_co_ci_u32_e64 v5, null, s7, 0, s3
	s_and_saveexec_b32 s3, s0
	s_cbranch_execnz .LBB756_727
; %bb.720:
	s_or_b32 exec_lo, exec_lo, s3
	s_and_saveexec_b32 s0, s1
	s_cbranch_execnz .LBB756_728
.LBB756_721:
	s_or_b32 exec_lo, exec_lo, s0
	s_and_saveexec_b32 s0, s2
	s_cbranch_execz .LBB756_723
.LBB756_722:
	v_add_co_u32 v4, vcc_lo, 0x1000, v4
	v_add_co_ci_u32_e32 v5, vcc_lo, 0, v5, vcc_lo
	s_waitcnt lgkmcnt(1)
	global_store_b64 v[4:5], v[2:3], off
.LBB756_723:
	s_or_b32 exec_lo, exec_lo, s0
.LBB756_724:
	s_and_saveexec_b32 s0, s17
	s_cbranch_execz .LBB756_726
; %bb.725:
	s_waitcnt lgkmcnt(1)
	v_lshlrev_b64 v[2:3], 3, v[12:13]
	s_delay_alu instid0(VALU_DEP_1) | instskip(NEXT) | instid1(VALU_DEP_2)
	v_add_co_u32 v2, vcc_lo, s6, v2
	v_add_co_ci_u32_e32 v3, vcc_lo, s7, v3, vcc_lo
	s_delay_alu instid0(VALU_DEP_2) | instskip(NEXT) | instid1(VALU_DEP_2)
	v_add_co_u32 v2, vcc_lo, 0x1000, v2
	v_add_co_ci_u32_e32 v3, vcc_lo, 0, v3, vcc_lo
	s_waitcnt lgkmcnt(0)
	global_store_b64 v[2:3], v[0:1], off offset:2048
.LBB756_726:
	s_nop 0
	s_sendmsg sendmsg(MSG_DEALLOC_VGPRS)
	s_endpgm
.LBB756_727:
	ds_load_b64 v[8:9], v14
	s_waitcnt lgkmcnt(0)
	global_store_b64 v[4:5], v[8:9], off
	s_or_b32 exec_lo, exec_lo, s3
	s_and_saveexec_b32 s0, s1
	s_cbranch_execz .LBB756_721
.LBB756_728:
	s_waitcnt lgkmcnt(2)
	global_store_b64 v[4:5], v[6:7], off offset:2048
	s_or_b32 exec_lo, exec_lo, s0
	s_and_saveexec_b32 s0, s2
	s_cbranch_execnz .LBB756_722
	s_branch .LBB756_723
	.section	.rodata,"a",@progbits
	.p2align	6, 0x0
	.amdhsa_kernel _ZN7rocprim17ROCPRIM_400000_NS6detail17trampoline_kernelINS0_14default_configENS1_37merge_sort_block_sort_config_selectorIlNS0_10empty_typeEEEZNS1_21merge_sort_block_sortIS3_PlS8_PS5_S9_ZN2at6native12_GLOBAL__N_124unique_dim_cuda_templateIdEESt5tupleIJNSA_6TensorESF_SF_EERKSF_lbbbEUlllE_EE10hipError_tT0_T1_T2_T3_mRjT4_P12ihipStream_tbNS1_7vsmem_tEEUlT_E_NS1_11comp_targetILNS1_3genE9ELNS1_11target_archE1100ELNS1_3gpuE3ELNS1_3repE0EEENS1_30default_config_static_selectorELNS0_4arch9wavefront6targetE0EEEvSM_
		.amdhsa_group_segment_fixed_size 8448
		.amdhsa_private_segment_fixed_size 0
		.amdhsa_kernarg_size 328
		.amdhsa_user_sgpr_count 13
		.amdhsa_user_sgpr_dispatch_ptr 0
		.amdhsa_user_sgpr_queue_ptr 0
		.amdhsa_user_sgpr_kernarg_segment_ptr 1
		.amdhsa_user_sgpr_dispatch_id 0
		.amdhsa_user_sgpr_private_segment_size 0
		.amdhsa_wavefront_size32 1
		.amdhsa_uses_dynamic_stack 0
		.amdhsa_enable_private_segment 0
		.amdhsa_system_sgpr_workgroup_id_x 1
		.amdhsa_system_sgpr_workgroup_id_y 1
		.amdhsa_system_sgpr_workgroup_id_z 1
		.amdhsa_system_sgpr_workgroup_info 0
		.amdhsa_system_vgpr_workitem_id 2
		.amdhsa_next_free_vgpr 47
		.amdhsa_next_free_sgpr 34
		.amdhsa_reserve_vcc 1
		.amdhsa_float_round_mode_32 0
		.amdhsa_float_round_mode_16_64 0
		.amdhsa_float_denorm_mode_32 3
		.amdhsa_float_denorm_mode_16_64 3
		.amdhsa_dx10_clamp 1
		.amdhsa_ieee_mode 1
		.amdhsa_fp16_overflow 0
		.amdhsa_workgroup_processor_mode 1
		.amdhsa_memory_ordered 1
		.amdhsa_forward_progress 0
		.amdhsa_shared_vgpr_count 0
		.amdhsa_exception_fp_ieee_invalid_op 0
		.amdhsa_exception_fp_denorm_src 0
		.amdhsa_exception_fp_ieee_div_zero 0
		.amdhsa_exception_fp_ieee_overflow 0
		.amdhsa_exception_fp_ieee_underflow 0
		.amdhsa_exception_fp_ieee_inexact 0
		.amdhsa_exception_int_div_zero 0
	.end_amdhsa_kernel
	.section	.text._ZN7rocprim17ROCPRIM_400000_NS6detail17trampoline_kernelINS0_14default_configENS1_37merge_sort_block_sort_config_selectorIlNS0_10empty_typeEEEZNS1_21merge_sort_block_sortIS3_PlS8_PS5_S9_ZN2at6native12_GLOBAL__N_124unique_dim_cuda_templateIdEESt5tupleIJNSA_6TensorESF_SF_EERKSF_lbbbEUlllE_EE10hipError_tT0_T1_T2_T3_mRjT4_P12ihipStream_tbNS1_7vsmem_tEEUlT_E_NS1_11comp_targetILNS1_3genE9ELNS1_11target_archE1100ELNS1_3gpuE3ELNS1_3repE0EEENS1_30default_config_static_selectorELNS0_4arch9wavefront6targetE0EEEvSM_,"axG",@progbits,_ZN7rocprim17ROCPRIM_400000_NS6detail17trampoline_kernelINS0_14default_configENS1_37merge_sort_block_sort_config_selectorIlNS0_10empty_typeEEEZNS1_21merge_sort_block_sortIS3_PlS8_PS5_S9_ZN2at6native12_GLOBAL__N_124unique_dim_cuda_templateIdEESt5tupleIJNSA_6TensorESF_SF_EERKSF_lbbbEUlllE_EE10hipError_tT0_T1_T2_T3_mRjT4_P12ihipStream_tbNS1_7vsmem_tEEUlT_E_NS1_11comp_targetILNS1_3genE9ELNS1_11target_archE1100ELNS1_3gpuE3ELNS1_3repE0EEENS1_30default_config_static_selectorELNS0_4arch9wavefront6targetE0EEEvSM_,comdat
.Lfunc_end756:
	.size	_ZN7rocprim17ROCPRIM_400000_NS6detail17trampoline_kernelINS0_14default_configENS1_37merge_sort_block_sort_config_selectorIlNS0_10empty_typeEEEZNS1_21merge_sort_block_sortIS3_PlS8_PS5_S9_ZN2at6native12_GLOBAL__N_124unique_dim_cuda_templateIdEESt5tupleIJNSA_6TensorESF_SF_EERKSF_lbbbEUlllE_EE10hipError_tT0_T1_T2_T3_mRjT4_P12ihipStream_tbNS1_7vsmem_tEEUlT_E_NS1_11comp_targetILNS1_3genE9ELNS1_11target_archE1100ELNS1_3gpuE3ELNS1_3repE0EEENS1_30default_config_static_selectorELNS0_4arch9wavefront6targetE0EEEvSM_, .Lfunc_end756-_ZN7rocprim17ROCPRIM_400000_NS6detail17trampoline_kernelINS0_14default_configENS1_37merge_sort_block_sort_config_selectorIlNS0_10empty_typeEEEZNS1_21merge_sort_block_sortIS3_PlS8_PS5_S9_ZN2at6native12_GLOBAL__N_124unique_dim_cuda_templateIdEESt5tupleIJNSA_6TensorESF_SF_EERKSF_lbbbEUlllE_EE10hipError_tT0_T1_T2_T3_mRjT4_P12ihipStream_tbNS1_7vsmem_tEEUlT_E_NS1_11comp_targetILNS1_3genE9ELNS1_11target_archE1100ELNS1_3gpuE3ELNS1_3repE0EEENS1_30default_config_static_selectorELNS0_4arch9wavefront6targetE0EEEvSM_
                                        ; -- End function
	.section	.AMDGPU.csdata,"",@progbits
; Kernel info:
; codeLenInByte = 42620
; NumSgprs: 36
; NumVgprs: 47
; ScratchSize: 0
; MemoryBound: 0
; FloatMode: 240
; IeeeMode: 1
; LDSByteSize: 8448 bytes/workgroup (compile time only)
; SGPRBlocks: 4
; VGPRBlocks: 5
; NumSGPRsForWavesPerEU: 36
; NumVGPRsForWavesPerEU: 47
; Occupancy: 16
; WaveLimiterHint : 1
; COMPUTE_PGM_RSRC2:SCRATCH_EN: 0
; COMPUTE_PGM_RSRC2:USER_SGPR: 13
; COMPUTE_PGM_RSRC2:TRAP_HANDLER: 0
; COMPUTE_PGM_RSRC2:TGID_X_EN: 1
; COMPUTE_PGM_RSRC2:TGID_Y_EN: 1
; COMPUTE_PGM_RSRC2:TGID_Z_EN: 1
; COMPUTE_PGM_RSRC2:TIDIG_COMP_CNT: 2
	.section	.text._ZN7rocprim17ROCPRIM_400000_NS6detail17trampoline_kernelINS0_14default_configENS1_37merge_sort_block_sort_config_selectorIlNS0_10empty_typeEEEZNS1_21merge_sort_block_sortIS3_PlS8_PS5_S9_ZN2at6native12_GLOBAL__N_124unique_dim_cuda_templateIdEESt5tupleIJNSA_6TensorESF_SF_EERKSF_lbbbEUlllE_EE10hipError_tT0_T1_T2_T3_mRjT4_P12ihipStream_tbNS1_7vsmem_tEEUlT_E_NS1_11comp_targetILNS1_3genE8ELNS1_11target_archE1030ELNS1_3gpuE2ELNS1_3repE0EEENS1_30default_config_static_selectorELNS0_4arch9wavefront6targetE0EEEvSM_,"axG",@progbits,_ZN7rocprim17ROCPRIM_400000_NS6detail17trampoline_kernelINS0_14default_configENS1_37merge_sort_block_sort_config_selectorIlNS0_10empty_typeEEEZNS1_21merge_sort_block_sortIS3_PlS8_PS5_S9_ZN2at6native12_GLOBAL__N_124unique_dim_cuda_templateIdEESt5tupleIJNSA_6TensorESF_SF_EERKSF_lbbbEUlllE_EE10hipError_tT0_T1_T2_T3_mRjT4_P12ihipStream_tbNS1_7vsmem_tEEUlT_E_NS1_11comp_targetILNS1_3genE8ELNS1_11target_archE1030ELNS1_3gpuE2ELNS1_3repE0EEENS1_30default_config_static_selectorELNS0_4arch9wavefront6targetE0EEEvSM_,comdat
	.globl	_ZN7rocprim17ROCPRIM_400000_NS6detail17trampoline_kernelINS0_14default_configENS1_37merge_sort_block_sort_config_selectorIlNS0_10empty_typeEEEZNS1_21merge_sort_block_sortIS3_PlS8_PS5_S9_ZN2at6native12_GLOBAL__N_124unique_dim_cuda_templateIdEESt5tupleIJNSA_6TensorESF_SF_EERKSF_lbbbEUlllE_EE10hipError_tT0_T1_T2_T3_mRjT4_P12ihipStream_tbNS1_7vsmem_tEEUlT_E_NS1_11comp_targetILNS1_3genE8ELNS1_11target_archE1030ELNS1_3gpuE2ELNS1_3repE0EEENS1_30default_config_static_selectorELNS0_4arch9wavefront6targetE0EEEvSM_ ; -- Begin function _ZN7rocprim17ROCPRIM_400000_NS6detail17trampoline_kernelINS0_14default_configENS1_37merge_sort_block_sort_config_selectorIlNS0_10empty_typeEEEZNS1_21merge_sort_block_sortIS3_PlS8_PS5_S9_ZN2at6native12_GLOBAL__N_124unique_dim_cuda_templateIdEESt5tupleIJNSA_6TensorESF_SF_EERKSF_lbbbEUlllE_EE10hipError_tT0_T1_T2_T3_mRjT4_P12ihipStream_tbNS1_7vsmem_tEEUlT_E_NS1_11comp_targetILNS1_3genE8ELNS1_11target_archE1030ELNS1_3gpuE2ELNS1_3repE0EEENS1_30default_config_static_selectorELNS0_4arch9wavefront6targetE0EEEvSM_
	.p2align	8
	.type	_ZN7rocprim17ROCPRIM_400000_NS6detail17trampoline_kernelINS0_14default_configENS1_37merge_sort_block_sort_config_selectorIlNS0_10empty_typeEEEZNS1_21merge_sort_block_sortIS3_PlS8_PS5_S9_ZN2at6native12_GLOBAL__N_124unique_dim_cuda_templateIdEESt5tupleIJNSA_6TensorESF_SF_EERKSF_lbbbEUlllE_EE10hipError_tT0_T1_T2_T3_mRjT4_P12ihipStream_tbNS1_7vsmem_tEEUlT_E_NS1_11comp_targetILNS1_3genE8ELNS1_11target_archE1030ELNS1_3gpuE2ELNS1_3repE0EEENS1_30default_config_static_selectorELNS0_4arch9wavefront6targetE0EEEvSM_,@function
_ZN7rocprim17ROCPRIM_400000_NS6detail17trampoline_kernelINS0_14default_configENS1_37merge_sort_block_sort_config_selectorIlNS0_10empty_typeEEEZNS1_21merge_sort_block_sortIS3_PlS8_PS5_S9_ZN2at6native12_GLOBAL__N_124unique_dim_cuda_templateIdEESt5tupleIJNSA_6TensorESF_SF_EERKSF_lbbbEUlllE_EE10hipError_tT0_T1_T2_T3_mRjT4_P12ihipStream_tbNS1_7vsmem_tEEUlT_E_NS1_11comp_targetILNS1_3genE8ELNS1_11target_archE1030ELNS1_3gpuE2ELNS1_3repE0EEENS1_30default_config_static_selectorELNS0_4arch9wavefront6targetE0EEEvSM_: ; @_ZN7rocprim17ROCPRIM_400000_NS6detail17trampoline_kernelINS0_14default_configENS1_37merge_sort_block_sort_config_selectorIlNS0_10empty_typeEEEZNS1_21merge_sort_block_sortIS3_PlS8_PS5_S9_ZN2at6native12_GLOBAL__N_124unique_dim_cuda_templateIdEESt5tupleIJNSA_6TensorESF_SF_EERKSF_lbbbEUlllE_EE10hipError_tT0_T1_T2_T3_mRjT4_P12ihipStream_tbNS1_7vsmem_tEEUlT_E_NS1_11comp_targetILNS1_3genE8ELNS1_11target_archE1030ELNS1_3gpuE2ELNS1_3repE0EEENS1_30default_config_static_selectorELNS0_4arch9wavefront6targetE0EEEvSM_
; %bb.0:
	.section	.rodata,"a",@progbits
	.p2align	6, 0x0
	.amdhsa_kernel _ZN7rocprim17ROCPRIM_400000_NS6detail17trampoline_kernelINS0_14default_configENS1_37merge_sort_block_sort_config_selectorIlNS0_10empty_typeEEEZNS1_21merge_sort_block_sortIS3_PlS8_PS5_S9_ZN2at6native12_GLOBAL__N_124unique_dim_cuda_templateIdEESt5tupleIJNSA_6TensorESF_SF_EERKSF_lbbbEUlllE_EE10hipError_tT0_T1_T2_T3_mRjT4_P12ihipStream_tbNS1_7vsmem_tEEUlT_E_NS1_11comp_targetILNS1_3genE8ELNS1_11target_archE1030ELNS1_3gpuE2ELNS1_3repE0EEENS1_30default_config_static_selectorELNS0_4arch9wavefront6targetE0EEEvSM_
		.amdhsa_group_segment_fixed_size 0
		.amdhsa_private_segment_fixed_size 0
		.amdhsa_kernarg_size 72
		.amdhsa_user_sgpr_count 15
		.amdhsa_user_sgpr_dispatch_ptr 0
		.amdhsa_user_sgpr_queue_ptr 0
		.amdhsa_user_sgpr_kernarg_segment_ptr 1
		.amdhsa_user_sgpr_dispatch_id 0
		.amdhsa_user_sgpr_private_segment_size 0
		.amdhsa_wavefront_size32 1
		.amdhsa_uses_dynamic_stack 0
		.amdhsa_enable_private_segment 0
		.amdhsa_system_sgpr_workgroup_id_x 1
		.amdhsa_system_sgpr_workgroup_id_y 0
		.amdhsa_system_sgpr_workgroup_id_z 0
		.amdhsa_system_sgpr_workgroup_info 0
		.amdhsa_system_vgpr_workitem_id 0
		.amdhsa_next_free_vgpr 1
		.amdhsa_next_free_sgpr 1
		.amdhsa_reserve_vcc 0
		.amdhsa_float_round_mode_32 0
		.amdhsa_float_round_mode_16_64 0
		.amdhsa_float_denorm_mode_32 3
		.amdhsa_float_denorm_mode_16_64 3
		.amdhsa_dx10_clamp 1
		.amdhsa_ieee_mode 1
		.amdhsa_fp16_overflow 0
		.amdhsa_workgroup_processor_mode 1
		.amdhsa_memory_ordered 1
		.amdhsa_forward_progress 0
		.amdhsa_shared_vgpr_count 0
		.amdhsa_exception_fp_ieee_invalid_op 0
		.amdhsa_exception_fp_denorm_src 0
		.amdhsa_exception_fp_ieee_div_zero 0
		.amdhsa_exception_fp_ieee_overflow 0
		.amdhsa_exception_fp_ieee_underflow 0
		.amdhsa_exception_fp_ieee_inexact 0
		.amdhsa_exception_int_div_zero 0
	.end_amdhsa_kernel
	.section	.text._ZN7rocprim17ROCPRIM_400000_NS6detail17trampoline_kernelINS0_14default_configENS1_37merge_sort_block_sort_config_selectorIlNS0_10empty_typeEEEZNS1_21merge_sort_block_sortIS3_PlS8_PS5_S9_ZN2at6native12_GLOBAL__N_124unique_dim_cuda_templateIdEESt5tupleIJNSA_6TensorESF_SF_EERKSF_lbbbEUlllE_EE10hipError_tT0_T1_T2_T3_mRjT4_P12ihipStream_tbNS1_7vsmem_tEEUlT_E_NS1_11comp_targetILNS1_3genE8ELNS1_11target_archE1030ELNS1_3gpuE2ELNS1_3repE0EEENS1_30default_config_static_selectorELNS0_4arch9wavefront6targetE0EEEvSM_,"axG",@progbits,_ZN7rocprim17ROCPRIM_400000_NS6detail17trampoline_kernelINS0_14default_configENS1_37merge_sort_block_sort_config_selectorIlNS0_10empty_typeEEEZNS1_21merge_sort_block_sortIS3_PlS8_PS5_S9_ZN2at6native12_GLOBAL__N_124unique_dim_cuda_templateIdEESt5tupleIJNSA_6TensorESF_SF_EERKSF_lbbbEUlllE_EE10hipError_tT0_T1_T2_T3_mRjT4_P12ihipStream_tbNS1_7vsmem_tEEUlT_E_NS1_11comp_targetILNS1_3genE8ELNS1_11target_archE1030ELNS1_3gpuE2ELNS1_3repE0EEENS1_30default_config_static_selectorELNS0_4arch9wavefront6targetE0EEEvSM_,comdat
.Lfunc_end757:
	.size	_ZN7rocprim17ROCPRIM_400000_NS6detail17trampoline_kernelINS0_14default_configENS1_37merge_sort_block_sort_config_selectorIlNS0_10empty_typeEEEZNS1_21merge_sort_block_sortIS3_PlS8_PS5_S9_ZN2at6native12_GLOBAL__N_124unique_dim_cuda_templateIdEESt5tupleIJNSA_6TensorESF_SF_EERKSF_lbbbEUlllE_EE10hipError_tT0_T1_T2_T3_mRjT4_P12ihipStream_tbNS1_7vsmem_tEEUlT_E_NS1_11comp_targetILNS1_3genE8ELNS1_11target_archE1030ELNS1_3gpuE2ELNS1_3repE0EEENS1_30default_config_static_selectorELNS0_4arch9wavefront6targetE0EEEvSM_, .Lfunc_end757-_ZN7rocprim17ROCPRIM_400000_NS6detail17trampoline_kernelINS0_14default_configENS1_37merge_sort_block_sort_config_selectorIlNS0_10empty_typeEEEZNS1_21merge_sort_block_sortIS3_PlS8_PS5_S9_ZN2at6native12_GLOBAL__N_124unique_dim_cuda_templateIdEESt5tupleIJNSA_6TensorESF_SF_EERKSF_lbbbEUlllE_EE10hipError_tT0_T1_T2_T3_mRjT4_P12ihipStream_tbNS1_7vsmem_tEEUlT_E_NS1_11comp_targetILNS1_3genE8ELNS1_11target_archE1030ELNS1_3gpuE2ELNS1_3repE0EEENS1_30default_config_static_selectorELNS0_4arch9wavefront6targetE0EEEvSM_
                                        ; -- End function
	.section	.AMDGPU.csdata,"",@progbits
; Kernel info:
; codeLenInByte = 0
; NumSgprs: 0
; NumVgprs: 0
; ScratchSize: 0
; MemoryBound: 0
; FloatMode: 240
; IeeeMode: 1
; LDSByteSize: 0 bytes/workgroup (compile time only)
; SGPRBlocks: 0
; VGPRBlocks: 0
; NumSGPRsForWavesPerEU: 1
; NumVGPRsForWavesPerEU: 1
; Occupancy: 16
; WaveLimiterHint : 0
; COMPUTE_PGM_RSRC2:SCRATCH_EN: 0
; COMPUTE_PGM_RSRC2:USER_SGPR: 15
; COMPUTE_PGM_RSRC2:TRAP_HANDLER: 0
; COMPUTE_PGM_RSRC2:TGID_X_EN: 1
; COMPUTE_PGM_RSRC2:TGID_Y_EN: 0
; COMPUTE_PGM_RSRC2:TGID_Z_EN: 0
; COMPUTE_PGM_RSRC2:TIDIG_COMP_CNT: 0
	.section	.text._ZN7rocprim17ROCPRIM_400000_NS6detail17trampoline_kernelINS0_14default_configENS1_38merge_sort_block_merge_config_selectorIlNS0_10empty_typeEEEZZNS1_27merge_sort_block_merge_implIS3_PlPS5_mZN2at6native12_GLOBAL__N_124unique_dim_cuda_templateIdEESt5tupleIJNSA_6TensorESF_SF_EERKSF_lbbbEUlllE_EE10hipError_tT0_T1_T2_jT3_P12ihipStream_tbPNSt15iterator_traitsISL_E10value_typeEPNSR_ISM_E10value_typeEPSN_NS1_7vsmem_tEENKUlT_SL_SM_SN_E_clIS8_S8_S9_S9_EESK_S10_SL_SM_SN_EUlS10_E_NS1_11comp_targetILNS1_3genE0ELNS1_11target_archE4294967295ELNS1_3gpuE0ELNS1_3repE0EEENS1_48merge_mergepath_partition_config_static_selectorELNS0_4arch9wavefront6targetE0EEEvSM_,"axG",@progbits,_ZN7rocprim17ROCPRIM_400000_NS6detail17trampoline_kernelINS0_14default_configENS1_38merge_sort_block_merge_config_selectorIlNS0_10empty_typeEEEZZNS1_27merge_sort_block_merge_implIS3_PlPS5_mZN2at6native12_GLOBAL__N_124unique_dim_cuda_templateIdEESt5tupleIJNSA_6TensorESF_SF_EERKSF_lbbbEUlllE_EE10hipError_tT0_T1_T2_jT3_P12ihipStream_tbPNSt15iterator_traitsISL_E10value_typeEPNSR_ISM_E10value_typeEPSN_NS1_7vsmem_tEENKUlT_SL_SM_SN_E_clIS8_S8_S9_S9_EESK_S10_SL_SM_SN_EUlS10_E_NS1_11comp_targetILNS1_3genE0ELNS1_11target_archE4294967295ELNS1_3gpuE0ELNS1_3repE0EEENS1_48merge_mergepath_partition_config_static_selectorELNS0_4arch9wavefront6targetE0EEEvSM_,comdat
	.globl	_ZN7rocprim17ROCPRIM_400000_NS6detail17trampoline_kernelINS0_14default_configENS1_38merge_sort_block_merge_config_selectorIlNS0_10empty_typeEEEZZNS1_27merge_sort_block_merge_implIS3_PlPS5_mZN2at6native12_GLOBAL__N_124unique_dim_cuda_templateIdEESt5tupleIJNSA_6TensorESF_SF_EERKSF_lbbbEUlllE_EE10hipError_tT0_T1_T2_jT3_P12ihipStream_tbPNSt15iterator_traitsISL_E10value_typeEPNSR_ISM_E10value_typeEPSN_NS1_7vsmem_tEENKUlT_SL_SM_SN_E_clIS8_S8_S9_S9_EESK_S10_SL_SM_SN_EUlS10_E_NS1_11comp_targetILNS1_3genE0ELNS1_11target_archE4294967295ELNS1_3gpuE0ELNS1_3repE0EEENS1_48merge_mergepath_partition_config_static_selectorELNS0_4arch9wavefront6targetE0EEEvSM_ ; -- Begin function _ZN7rocprim17ROCPRIM_400000_NS6detail17trampoline_kernelINS0_14default_configENS1_38merge_sort_block_merge_config_selectorIlNS0_10empty_typeEEEZZNS1_27merge_sort_block_merge_implIS3_PlPS5_mZN2at6native12_GLOBAL__N_124unique_dim_cuda_templateIdEESt5tupleIJNSA_6TensorESF_SF_EERKSF_lbbbEUlllE_EE10hipError_tT0_T1_T2_jT3_P12ihipStream_tbPNSt15iterator_traitsISL_E10value_typeEPNSR_ISM_E10value_typeEPSN_NS1_7vsmem_tEENKUlT_SL_SM_SN_E_clIS8_S8_S9_S9_EESK_S10_SL_SM_SN_EUlS10_E_NS1_11comp_targetILNS1_3genE0ELNS1_11target_archE4294967295ELNS1_3gpuE0ELNS1_3repE0EEENS1_48merge_mergepath_partition_config_static_selectorELNS0_4arch9wavefront6targetE0EEEvSM_
	.p2align	8
	.type	_ZN7rocprim17ROCPRIM_400000_NS6detail17trampoline_kernelINS0_14default_configENS1_38merge_sort_block_merge_config_selectorIlNS0_10empty_typeEEEZZNS1_27merge_sort_block_merge_implIS3_PlPS5_mZN2at6native12_GLOBAL__N_124unique_dim_cuda_templateIdEESt5tupleIJNSA_6TensorESF_SF_EERKSF_lbbbEUlllE_EE10hipError_tT0_T1_T2_jT3_P12ihipStream_tbPNSt15iterator_traitsISL_E10value_typeEPNSR_ISM_E10value_typeEPSN_NS1_7vsmem_tEENKUlT_SL_SM_SN_E_clIS8_S8_S9_S9_EESK_S10_SL_SM_SN_EUlS10_E_NS1_11comp_targetILNS1_3genE0ELNS1_11target_archE4294967295ELNS1_3gpuE0ELNS1_3repE0EEENS1_48merge_mergepath_partition_config_static_selectorELNS0_4arch9wavefront6targetE0EEEvSM_,@function
_ZN7rocprim17ROCPRIM_400000_NS6detail17trampoline_kernelINS0_14default_configENS1_38merge_sort_block_merge_config_selectorIlNS0_10empty_typeEEEZZNS1_27merge_sort_block_merge_implIS3_PlPS5_mZN2at6native12_GLOBAL__N_124unique_dim_cuda_templateIdEESt5tupleIJNSA_6TensorESF_SF_EERKSF_lbbbEUlllE_EE10hipError_tT0_T1_T2_jT3_P12ihipStream_tbPNSt15iterator_traitsISL_E10value_typeEPNSR_ISM_E10value_typeEPSN_NS1_7vsmem_tEENKUlT_SL_SM_SN_E_clIS8_S8_S9_S9_EESK_S10_SL_SM_SN_EUlS10_E_NS1_11comp_targetILNS1_3genE0ELNS1_11target_archE4294967295ELNS1_3gpuE0ELNS1_3repE0EEENS1_48merge_mergepath_partition_config_static_selectorELNS0_4arch9wavefront6targetE0EEEvSM_: ; @_ZN7rocprim17ROCPRIM_400000_NS6detail17trampoline_kernelINS0_14default_configENS1_38merge_sort_block_merge_config_selectorIlNS0_10empty_typeEEEZZNS1_27merge_sort_block_merge_implIS3_PlPS5_mZN2at6native12_GLOBAL__N_124unique_dim_cuda_templateIdEESt5tupleIJNSA_6TensorESF_SF_EERKSF_lbbbEUlllE_EE10hipError_tT0_T1_T2_jT3_P12ihipStream_tbPNSt15iterator_traitsISL_E10value_typeEPNSR_ISM_E10value_typeEPSN_NS1_7vsmem_tEENKUlT_SL_SM_SN_E_clIS8_S8_S9_S9_EESK_S10_SL_SM_SN_EUlS10_E_NS1_11comp_targetILNS1_3genE0ELNS1_11target_archE4294967295ELNS1_3gpuE0ELNS1_3repE0EEENS1_48merge_mergepath_partition_config_static_selectorELNS0_4arch9wavefront6targetE0EEEvSM_
; %bb.0:
	.section	.rodata,"a",@progbits
	.p2align	6, 0x0
	.amdhsa_kernel _ZN7rocprim17ROCPRIM_400000_NS6detail17trampoline_kernelINS0_14default_configENS1_38merge_sort_block_merge_config_selectorIlNS0_10empty_typeEEEZZNS1_27merge_sort_block_merge_implIS3_PlPS5_mZN2at6native12_GLOBAL__N_124unique_dim_cuda_templateIdEESt5tupleIJNSA_6TensorESF_SF_EERKSF_lbbbEUlllE_EE10hipError_tT0_T1_T2_jT3_P12ihipStream_tbPNSt15iterator_traitsISL_E10value_typeEPNSR_ISM_E10value_typeEPSN_NS1_7vsmem_tEENKUlT_SL_SM_SN_E_clIS8_S8_S9_S9_EESK_S10_SL_SM_SN_EUlS10_E_NS1_11comp_targetILNS1_3genE0ELNS1_11target_archE4294967295ELNS1_3gpuE0ELNS1_3repE0EEENS1_48merge_mergepath_partition_config_static_selectorELNS0_4arch9wavefront6targetE0EEEvSM_
		.amdhsa_group_segment_fixed_size 0
		.amdhsa_private_segment_fixed_size 0
		.amdhsa_kernarg_size 56
		.amdhsa_user_sgpr_count 15
		.amdhsa_user_sgpr_dispatch_ptr 0
		.amdhsa_user_sgpr_queue_ptr 0
		.amdhsa_user_sgpr_kernarg_segment_ptr 1
		.amdhsa_user_sgpr_dispatch_id 0
		.amdhsa_user_sgpr_private_segment_size 0
		.amdhsa_wavefront_size32 1
		.amdhsa_uses_dynamic_stack 0
		.amdhsa_enable_private_segment 0
		.amdhsa_system_sgpr_workgroup_id_x 1
		.amdhsa_system_sgpr_workgroup_id_y 0
		.amdhsa_system_sgpr_workgroup_id_z 0
		.amdhsa_system_sgpr_workgroup_info 0
		.amdhsa_system_vgpr_workitem_id 0
		.amdhsa_next_free_vgpr 1
		.amdhsa_next_free_sgpr 1
		.amdhsa_reserve_vcc 0
		.amdhsa_float_round_mode_32 0
		.amdhsa_float_round_mode_16_64 0
		.amdhsa_float_denorm_mode_32 3
		.amdhsa_float_denorm_mode_16_64 3
		.amdhsa_dx10_clamp 1
		.amdhsa_ieee_mode 1
		.amdhsa_fp16_overflow 0
		.amdhsa_workgroup_processor_mode 1
		.amdhsa_memory_ordered 1
		.amdhsa_forward_progress 0
		.amdhsa_shared_vgpr_count 0
		.amdhsa_exception_fp_ieee_invalid_op 0
		.amdhsa_exception_fp_denorm_src 0
		.amdhsa_exception_fp_ieee_div_zero 0
		.amdhsa_exception_fp_ieee_overflow 0
		.amdhsa_exception_fp_ieee_underflow 0
		.amdhsa_exception_fp_ieee_inexact 0
		.amdhsa_exception_int_div_zero 0
	.end_amdhsa_kernel
	.section	.text._ZN7rocprim17ROCPRIM_400000_NS6detail17trampoline_kernelINS0_14default_configENS1_38merge_sort_block_merge_config_selectorIlNS0_10empty_typeEEEZZNS1_27merge_sort_block_merge_implIS3_PlPS5_mZN2at6native12_GLOBAL__N_124unique_dim_cuda_templateIdEESt5tupleIJNSA_6TensorESF_SF_EERKSF_lbbbEUlllE_EE10hipError_tT0_T1_T2_jT3_P12ihipStream_tbPNSt15iterator_traitsISL_E10value_typeEPNSR_ISM_E10value_typeEPSN_NS1_7vsmem_tEENKUlT_SL_SM_SN_E_clIS8_S8_S9_S9_EESK_S10_SL_SM_SN_EUlS10_E_NS1_11comp_targetILNS1_3genE0ELNS1_11target_archE4294967295ELNS1_3gpuE0ELNS1_3repE0EEENS1_48merge_mergepath_partition_config_static_selectorELNS0_4arch9wavefront6targetE0EEEvSM_,"axG",@progbits,_ZN7rocprim17ROCPRIM_400000_NS6detail17trampoline_kernelINS0_14default_configENS1_38merge_sort_block_merge_config_selectorIlNS0_10empty_typeEEEZZNS1_27merge_sort_block_merge_implIS3_PlPS5_mZN2at6native12_GLOBAL__N_124unique_dim_cuda_templateIdEESt5tupleIJNSA_6TensorESF_SF_EERKSF_lbbbEUlllE_EE10hipError_tT0_T1_T2_jT3_P12ihipStream_tbPNSt15iterator_traitsISL_E10value_typeEPNSR_ISM_E10value_typeEPSN_NS1_7vsmem_tEENKUlT_SL_SM_SN_E_clIS8_S8_S9_S9_EESK_S10_SL_SM_SN_EUlS10_E_NS1_11comp_targetILNS1_3genE0ELNS1_11target_archE4294967295ELNS1_3gpuE0ELNS1_3repE0EEENS1_48merge_mergepath_partition_config_static_selectorELNS0_4arch9wavefront6targetE0EEEvSM_,comdat
.Lfunc_end758:
	.size	_ZN7rocprim17ROCPRIM_400000_NS6detail17trampoline_kernelINS0_14default_configENS1_38merge_sort_block_merge_config_selectorIlNS0_10empty_typeEEEZZNS1_27merge_sort_block_merge_implIS3_PlPS5_mZN2at6native12_GLOBAL__N_124unique_dim_cuda_templateIdEESt5tupleIJNSA_6TensorESF_SF_EERKSF_lbbbEUlllE_EE10hipError_tT0_T1_T2_jT3_P12ihipStream_tbPNSt15iterator_traitsISL_E10value_typeEPNSR_ISM_E10value_typeEPSN_NS1_7vsmem_tEENKUlT_SL_SM_SN_E_clIS8_S8_S9_S9_EESK_S10_SL_SM_SN_EUlS10_E_NS1_11comp_targetILNS1_3genE0ELNS1_11target_archE4294967295ELNS1_3gpuE0ELNS1_3repE0EEENS1_48merge_mergepath_partition_config_static_selectorELNS0_4arch9wavefront6targetE0EEEvSM_, .Lfunc_end758-_ZN7rocprim17ROCPRIM_400000_NS6detail17trampoline_kernelINS0_14default_configENS1_38merge_sort_block_merge_config_selectorIlNS0_10empty_typeEEEZZNS1_27merge_sort_block_merge_implIS3_PlPS5_mZN2at6native12_GLOBAL__N_124unique_dim_cuda_templateIdEESt5tupleIJNSA_6TensorESF_SF_EERKSF_lbbbEUlllE_EE10hipError_tT0_T1_T2_jT3_P12ihipStream_tbPNSt15iterator_traitsISL_E10value_typeEPNSR_ISM_E10value_typeEPSN_NS1_7vsmem_tEENKUlT_SL_SM_SN_E_clIS8_S8_S9_S9_EESK_S10_SL_SM_SN_EUlS10_E_NS1_11comp_targetILNS1_3genE0ELNS1_11target_archE4294967295ELNS1_3gpuE0ELNS1_3repE0EEENS1_48merge_mergepath_partition_config_static_selectorELNS0_4arch9wavefront6targetE0EEEvSM_
                                        ; -- End function
	.section	.AMDGPU.csdata,"",@progbits
; Kernel info:
; codeLenInByte = 0
; NumSgprs: 0
; NumVgprs: 0
; ScratchSize: 0
; MemoryBound: 0
; FloatMode: 240
; IeeeMode: 1
; LDSByteSize: 0 bytes/workgroup (compile time only)
; SGPRBlocks: 0
; VGPRBlocks: 0
; NumSGPRsForWavesPerEU: 1
; NumVGPRsForWavesPerEU: 1
; Occupancy: 16
; WaveLimiterHint : 0
; COMPUTE_PGM_RSRC2:SCRATCH_EN: 0
; COMPUTE_PGM_RSRC2:USER_SGPR: 15
; COMPUTE_PGM_RSRC2:TRAP_HANDLER: 0
; COMPUTE_PGM_RSRC2:TGID_X_EN: 1
; COMPUTE_PGM_RSRC2:TGID_Y_EN: 0
; COMPUTE_PGM_RSRC2:TGID_Z_EN: 0
; COMPUTE_PGM_RSRC2:TIDIG_COMP_CNT: 0
	.section	.text._ZN7rocprim17ROCPRIM_400000_NS6detail17trampoline_kernelINS0_14default_configENS1_38merge_sort_block_merge_config_selectorIlNS0_10empty_typeEEEZZNS1_27merge_sort_block_merge_implIS3_PlPS5_mZN2at6native12_GLOBAL__N_124unique_dim_cuda_templateIdEESt5tupleIJNSA_6TensorESF_SF_EERKSF_lbbbEUlllE_EE10hipError_tT0_T1_T2_jT3_P12ihipStream_tbPNSt15iterator_traitsISL_E10value_typeEPNSR_ISM_E10value_typeEPSN_NS1_7vsmem_tEENKUlT_SL_SM_SN_E_clIS8_S8_S9_S9_EESK_S10_SL_SM_SN_EUlS10_E_NS1_11comp_targetILNS1_3genE10ELNS1_11target_archE1201ELNS1_3gpuE5ELNS1_3repE0EEENS1_48merge_mergepath_partition_config_static_selectorELNS0_4arch9wavefront6targetE0EEEvSM_,"axG",@progbits,_ZN7rocprim17ROCPRIM_400000_NS6detail17trampoline_kernelINS0_14default_configENS1_38merge_sort_block_merge_config_selectorIlNS0_10empty_typeEEEZZNS1_27merge_sort_block_merge_implIS3_PlPS5_mZN2at6native12_GLOBAL__N_124unique_dim_cuda_templateIdEESt5tupleIJNSA_6TensorESF_SF_EERKSF_lbbbEUlllE_EE10hipError_tT0_T1_T2_jT3_P12ihipStream_tbPNSt15iterator_traitsISL_E10value_typeEPNSR_ISM_E10value_typeEPSN_NS1_7vsmem_tEENKUlT_SL_SM_SN_E_clIS8_S8_S9_S9_EESK_S10_SL_SM_SN_EUlS10_E_NS1_11comp_targetILNS1_3genE10ELNS1_11target_archE1201ELNS1_3gpuE5ELNS1_3repE0EEENS1_48merge_mergepath_partition_config_static_selectorELNS0_4arch9wavefront6targetE0EEEvSM_,comdat
	.globl	_ZN7rocprim17ROCPRIM_400000_NS6detail17trampoline_kernelINS0_14default_configENS1_38merge_sort_block_merge_config_selectorIlNS0_10empty_typeEEEZZNS1_27merge_sort_block_merge_implIS3_PlPS5_mZN2at6native12_GLOBAL__N_124unique_dim_cuda_templateIdEESt5tupleIJNSA_6TensorESF_SF_EERKSF_lbbbEUlllE_EE10hipError_tT0_T1_T2_jT3_P12ihipStream_tbPNSt15iterator_traitsISL_E10value_typeEPNSR_ISM_E10value_typeEPSN_NS1_7vsmem_tEENKUlT_SL_SM_SN_E_clIS8_S8_S9_S9_EESK_S10_SL_SM_SN_EUlS10_E_NS1_11comp_targetILNS1_3genE10ELNS1_11target_archE1201ELNS1_3gpuE5ELNS1_3repE0EEENS1_48merge_mergepath_partition_config_static_selectorELNS0_4arch9wavefront6targetE0EEEvSM_ ; -- Begin function _ZN7rocprim17ROCPRIM_400000_NS6detail17trampoline_kernelINS0_14default_configENS1_38merge_sort_block_merge_config_selectorIlNS0_10empty_typeEEEZZNS1_27merge_sort_block_merge_implIS3_PlPS5_mZN2at6native12_GLOBAL__N_124unique_dim_cuda_templateIdEESt5tupleIJNSA_6TensorESF_SF_EERKSF_lbbbEUlllE_EE10hipError_tT0_T1_T2_jT3_P12ihipStream_tbPNSt15iterator_traitsISL_E10value_typeEPNSR_ISM_E10value_typeEPSN_NS1_7vsmem_tEENKUlT_SL_SM_SN_E_clIS8_S8_S9_S9_EESK_S10_SL_SM_SN_EUlS10_E_NS1_11comp_targetILNS1_3genE10ELNS1_11target_archE1201ELNS1_3gpuE5ELNS1_3repE0EEENS1_48merge_mergepath_partition_config_static_selectorELNS0_4arch9wavefront6targetE0EEEvSM_
	.p2align	8
	.type	_ZN7rocprim17ROCPRIM_400000_NS6detail17trampoline_kernelINS0_14default_configENS1_38merge_sort_block_merge_config_selectorIlNS0_10empty_typeEEEZZNS1_27merge_sort_block_merge_implIS3_PlPS5_mZN2at6native12_GLOBAL__N_124unique_dim_cuda_templateIdEESt5tupleIJNSA_6TensorESF_SF_EERKSF_lbbbEUlllE_EE10hipError_tT0_T1_T2_jT3_P12ihipStream_tbPNSt15iterator_traitsISL_E10value_typeEPNSR_ISM_E10value_typeEPSN_NS1_7vsmem_tEENKUlT_SL_SM_SN_E_clIS8_S8_S9_S9_EESK_S10_SL_SM_SN_EUlS10_E_NS1_11comp_targetILNS1_3genE10ELNS1_11target_archE1201ELNS1_3gpuE5ELNS1_3repE0EEENS1_48merge_mergepath_partition_config_static_selectorELNS0_4arch9wavefront6targetE0EEEvSM_,@function
_ZN7rocprim17ROCPRIM_400000_NS6detail17trampoline_kernelINS0_14default_configENS1_38merge_sort_block_merge_config_selectorIlNS0_10empty_typeEEEZZNS1_27merge_sort_block_merge_implIS3_PlPS5_mZN2at6native12_GLOBAL__N_124unique_dim_cuda_templateIdEESt5tupleIJNSA_6TensorESF_SF_EERKSF_lbbbEUlllE_EE10hipError_tT0_T1_T2_jT3_P12ihipStream_tbPNSt15iterator_traitsISL_E10value_typeEPNSR_ISM_E10value_typeEPSN_NS1_7vsmem_tEENKUlT_SL_SM_SN_E_clIS8_S8_S9_S9_EESK_S10_SL_SM_SN_EUlS10_E_NS1_11comp_targetILNS1_3genE10ELNS1_11target_archE1201ELNS1_3gpuE5ELNS1_3repE0EEENS1_48merge_mergepath_partition_config_static_selectorELNS0_4arch9wavefront6targetE0EEEvSM_: ; @_ZN7rocprim17ROCPRIM_400000_NS6detail17trampoline_kernelINS0_14default_configENS1_38merge_sort_block_merge_config_selectorIlNS0_10empty_typeEEEZZNS1_27merge_sort_block_merge_implIS3_PlPS5_mZN2at6native12_GLOBAL__N_124unique_dim_cuda_templateIdEESt5tupleIJNSA_6TensorESF_SF_EERKSF_lbbbEUlllE_EE10hipError_tT0_T1_T2_jT3_P12ihipStream_tbPNSt15iterator_traitsISL_E10value_typeEPNSR_ISM_E10value_typeEPSN_NS1_7vsmem_tEENKUlT_SL_SM_SN_E_clIS8_S8_S9_S9_EESK_S10_SL_SM_SN_EUlS10_E_NS1_11comp_targetILNS1_3genE10ELNS1_11target_archE1201ELNS1_3gpuE5ELNS1_3repE0EEENS1_48merge_mergepath_partition_config_static_selectorELNS0_4arch9wavefront6targetE0EEEvSM_
; %bb.0:
	.section	.rodata,"a",@progbits
	.p2align	6, 0x0
	.amdhsa_kernel _ZN7rocprim17ROCPRIM_400000_NS6detail17trampoline_kernelINS0_14default_configENS1_38merge_sort_block_merge_config_selectorIlNS0_10empty_typeEEEZZNS1_27merge_sort_block_merge_implIS3_PlPS5_mZN2at6native12_GLOBAL__N_124unique_dim_cuda_templateIdEESt5tupleIJNSA_6TensorESF_SF_EERKSF_lbbbEUlllE_EE10hipError_tT0_T1_T2_jT3_P12ihipStream_tbPNSt15iterator_traitsISL_E10value_typeEPNSR_ISM_E10value_typeEPSN_NS1_7vsmem_tEENKUlT_SL_SM_SN_E_clIS8_S8_S9_S9_EESK_S10_SL_SM_SN_EUlS10_E_NS1_11comp_targetILNS1_3genE10ELNS1_11target_archE1201ELNS1_3gpuE5ELNS1_3repE0EEENS1_48merge_mergepath_partition_config_static_selectorELNS0_4arch9wavefront6targetE0EEEvSM_
		.amdhsa_group_segment_fixed_size 0
		.amdhsa_private_segment_fixed_size 0
		.amdhsa_kernarg_size 56
		.amdhsa_user_sgpr_count 15
		.amdhsa_user_sgpr_dispatch_ptr 0
		.amdhsa_user_sgpr_queue_ptr 0
		.amdhsa_user_sgpr_kernarg_segment_ptr 1
		.amdhsa_user_sgpr_dispatch_id 0
		.amdhsa_user_sgpr_private_segment_size 0
		.amdhsa_wavefront_size32 1
		.amdhsa_uses_dynamic_stack 0
		.amdhsa_enable_private_segment 0
		.amdhsa_system_sgpr_workgroup_id_x 1
		.amdhsa_system_sgpr_workgroup_id_y 0
		.amdhsa_system_sgpr_workgroup_id_z 0
		.amdhsa_system_sgpr_workgroup_info 0
		.amdhsa_system_vgpr_workitem_id 0
		.amdhsa_next_free_vgpr 1
		.amdhsa_next_free_sgpr 1
		.amdhsa_reserve_vcc 0
		.amdhsa_float_round_mode_32 0
		.amdhsa_float_round_mode_16_64 0
		.amdhsa_float_denorm_mode_32 3
		.amdhsa_float_denorm_mode_16_64 3
		.amdhsa_dx10_clamp 1
		.amdhsa_ieee_mode 1
		.amdhsa_fp16_overflow 0
		.amdhsa_workgroup_processor_mode 1
		.amdhsa_memory_ordered 1
		.amdhsa_forward_progress 0
		.amdhsa_shared_vgpr_count 0
		.amdhsa_exception_fp_ieee_invalid_op 0
		.amdhsa_exception_fp_denorm_src 0
		.amdhsa_exception_fp_ieee_div_zero 0
		.amdhsa_exception_fp_ieee_overflow 0
		.amdhsa_exception_fp_ieee_underflow 0
		.amdhsa_exception_fp_ieee_inexact 0
		.amdhsa_exception_int_div_zero 0
	.end_amdhsa_kernel
	.section	.text._ZN7rocprim17ROCPRIM_400000_NS6detail17trampoline_kernelINS0_14default_configENS1_38merge_sort_block_merge_config_selectorIlNS0_10empty_typeEEEZZNS1_27merge_sort_block_merge_implIS3_PlPS5_mZN2at6native12_GLOBAL__N_124unique_dim_cuda_templateIdEESt5tupleIJNSA_6TensorESF_SF_EERKSF_lbbbEUlllE_EE10hipError_tT0_T1_T2_jT3_P12ihipStream_tbPNSt15iterator_traitsISL_E10value_typeEPNSR_ISM_E10value_typeEPSN_NS1_7vsmem_tEENKUlT_SL_SM_SN_E_clIS8_S8_S9_S9_EESK_S10_SL_SM_SN_EUlS10_E_NS1_11comp_targetILNS1_3genE10ELNS1_11target_archE1201ELNS1_3gpuE5ELNS1_3repE0EEENS1_48merge_mergepath_partition_config_static_selectorELNS0_4arch9wavefront6targetE0EEEvSM_,"axG",@progbits,_ZN7rocprim17ROCPRIM_400000_NS6detail17trampoline_kernelINS0_14default_configENS1_38merge_sort_block_merge_config_selectorIlNS0_10empty_typeEEEZZNS1_27merge_sort_block_merge_implIS3_PlPS5_mZN2at6native12_GLOBAL__N_124unique_dim_cuda_templateIdEESt5tupleIJNSA_6TensorESF_SF_EERKSF_lbbbEUlllE_EE10hipError_tT0_T1_T2_jT3_P12ihipStream_tbPNSt15iterator_traitsISL_E10value_typeEPNSR_ISM_E10value_typeEPSN_NS1_7vsmem_tEENKUlT_SL_SM_SN_E_clIS8_S8_S9_S9_EESK_S10_SL_SM_SN_EUlS10_E_NS1_11comp_targetILNS1_3genE10ELNS1_11target_archE1201ELNS1_3gpuE5ELNS1_3repE0EEENS1_48merge_mergepath_partition_config_static_selectorELNS0_4arch9wavefront6targetE0EEEvSM_,comdat
.Lfunc_end759:
	.size	_ZN7rocprim17ROCPRIM_400000_NS6detail17trampoline_kernelINS0_14default_configENS1_38merge_sort_block_merge_config_selectorIlNS0_10empty_typeEEEZZNS1_27merge_sort_block_merge_implIS3_PlPS5_mZN2at6native12_GLOBAL__N_124unique_dim_cuda_templateIdEESt5tupleIJNSA_6TensorESF_SF_EERKSF_lbbbEUlllE_EE10hipError_tT0_T1_T2_jT3_P12ihipStream_tbPNSt15iterator_traitsISL_E10value_typeEPNSR_ISM_E10value_typeEPSN_NS1_7vsmem_tEENKUlT_SL_SM_SN_E_clIS8_S8_S9_S9_EESK_S10_SL_SM_SN_EUlS10_E_NS1_11comp_targetILNS1_3genE10ELNS1_11target_archE1201ELNS1_3gpuE5ELNS1_3repE0EEENS1_48merge_mergepath_partition_config_static_selectorELNS0_4arch9wavefront6targetE0EEEvSM_, .Lfunc_end759-_ZN7rocprim17ROCPRIM_400000_NS6detail17trampoline_kernelINS0_14default_configENS1_38merge_sort_block_merge_config_selectorIlNS0_10empty_typeEEEZZNS1_27merge_sort_block_merge_implIS3_PlPS5_mZN2at6native12_GLOBAL__N_124unique_dim_cuda_templateIdEESt5tupleIJNSA_6TensorESF_SF_EERKSF_lbbbEUlllE_EE10hipError_tT0_T1_T2_jT3_P12ihipStream_tbPNSt15iterator_traitsISL_E10value_typeEPNSR_ISM_E10value_typeEPSN_NS1_7vsmem_tEENKUlT_SL_SM_SN_E_clIS8_S8_S9_S9_EESK_S10_SL_SM_SN_EUlS10_E_NS1_11comp_targetILNS1_3genE10ELNS1_11target_archE1201ELNS1_3gpuE5ELNS1_3repE0EEENS1_48merge_mergepath_partition_config_static_selectorELNS0_4arch9wavefront6targetE0EEEvSM_
                                        ; -- End function
	.section	.AMDGPU.csdata,"",@progbits
; Kernel info:
; codeLenInByte = 0
; NumSgprs: 0
; NumVgprs: 0
; ScratchSize: 0
; MemoryBound: 0
; FloatMode: 240
; IeeeMode: 1
; LDSByteSize: 0 bytes/workgroup (compile time only)
; SGPRBlocks: 0
; VGPRBlocks: 0
; NumSGPRsForWavesPerEU: 1
; NumVGPRsForWavesPerEU: 1
; Occupancy: 16
; WaveLimiterHint : 0
; COMPUTE_PGM_RSRC2:SCRATCH_EN: 0
; COMPUTE_PGM_RSRC2:USER_SGPR: 15
; COMPUTE_PGM_RSRC2:TRAP_HANDLER: 0
; COMPUTE_PGM_RSRC2:TGID_X_EN: 1
; COMPUTE_PGM_RSRC2:TGID_Y_EN: 0
; COMPUTE_PGM_RSRC2:TGID_Z_EN: 0
; COMPUTE_PGM_RSRC2:TIDIG_COMP_CNT: 0
	.section	.text._ZN7rocprim17ROCPRIM_400000_NS6detail17trampoline_kernelINS0_14default_configENS1_38merge_sort_block_merge_config_selectorIlNS0_10empty_typeEEEZZNS1_27merge_sort_block_merge_implIS3_PlPS5_mZN2at6native12_GLOBAL__N_124unique_dim_cuda_templateIdEESt5tupleIJNSA_6TensorESF_SF_EERKSF_lbbbEUlllE_EE10hipError_tT0_T1_T2_jT3_P12ihipStream_tbPNSt15iterator_traitsISL_E10value_typeEPNSR_ISM_E10value_typeEPSN_NS1_7vsmem_tEENKUlT_SL_SM_SN_E_clIS8_S8_S9_S9_EESK_S10_SL_SM_SN_EUlS10_E_NS1_11comp_targetILNS1_3genE5ELNS1_11target_archE942ELNS1_3gpuE9ELNS1_3repE0EEENS1_48merge_mergepath_partition_config_static_selectorELNS0_4arch9wavefront6targetE0EEEvSM_,"axG",@progbits,_ZN7rocprim17ROCPRIM_400000_NS6detail17trampoline_kernelINS0_14default_configENS1_38merge_sort_block_merge_config_selectorIlNS0_10empty_typeEEEZZNS1_27merge_sort_block_merge_implIS3_PlPS5_mZN2at6native12_GLOBAL__N_124unique_dim_cuda_templateIdEESt5tupleIJNSA_6TensorESF_SF_EERKSF_lbbbEUlllE_EE10hipError_tT0_T1_T2_jT3_P12ihipStream_tbPNSt15iterator_traitsISL_E10value_typeEPNSR_ISM_E10value_typeEPSN_NS1_7vsmem_tEENKUlT_SL_SM_SN_E_clIS8_S8_S9_S9_EESK_S10_SL_SM_SN_EUlS10_E_NS1_11comp_targetILNS1_3genE5ELNS1_11target_archE942ELNS1_3gpuE9ELNS1_3repE0EEENS1_48merge_mergepath_partition_config_static_selectorELNS0_4arch9wavefront6targetE0EEEvSM_,comdat
	.globl	_ZN7rocprim17ROCPRIM_400000_NS6detail17trampoline_kernelINS0_14default_configENS1_38merge_sort_block_merge_config_selectorIlNS0_10empty_typeEEEZZNS1_27merge_sort_block_merge_implIS3_PlPS5_mZN2at6native12_GLOBAL__N_124unique_dim_cuda_templateIdEESt5tupleIJNSA_6TensorESF_SF_EERKSF_lbbbEUlllE_EE10hipError_tT0_T1_T2_jT3_P12ihipStream_tbPNSt15iterator_traitsISL_E10value_typeEPNSR_ISM_E10value_typeEPSN_NS1_7vsmem_tEENKUlT_SL_SM_SN_E_clIS8_S8_S9_S9_EESK_S10_SL_SM_SN_EUlS10_E_NS1_11comp_targetILNS1_3genE5ELNS1_11target_archE942ELNS1_3gpuE9ELNS1_3repE0EEENS1_48merge_mergepath_partition_config_static_selectorELNS0_4arch9wavefront6targetE0EEEvSM_ ; -- Begin function _ZN7rocprim17ROCPRIM_400000_NS6detail17trampoline_kernelINS0_14default_configENS1_38merge_sort_block_merge_config_selectorIlNS0_10empty_typeEEEZZNS1_27merge_sort_block_merge_implIS3_PlPS5_mZN2at6native12_GLOBAL__N_124unique_dim_cuda_templateIdEESt5tupleIJNSA_6TensorESF_SF_EERKSF_lbbbEUlllE_EE10hipError_tT0_T1_T2_jT3_P12ihipStream_tbPNSt15iterator_traitsISL_E10value_typeEPNSR_ISM_E10value_typeEPSN_NS1_7vsmem_tEENKUlT_SL_SM_SN_E_clIS8_S8_S9_S9_EESK_S10_SL_SM_SN_EUlS10_E_NS1_11comp_targetILNS1_3genE5ELNS1_11target_archE942ELNS1_3gpuE9ELNS1_3repE0EEENS1_48merge_mergepath_partition_config_static_selectorELNS0_4arch9wavefront6targetE0EEEvSM_
	.p2align	8
	.type	_ZN7rocprim17ROCPRIM_400000_NS6detail17trampoline_kernelINS0_14default_configENS1_38merge_sort_block_merge_config_selectorIlNS0_10empty_typeEEEZZNS1_27merge_sort_block_merge_implIS3_PlPS5_mZN2at6native12_GLOBAL__N_124unique_dim_cuda_templateIdEESt5tupleIJNSA_6TensorESF_SF_EERKSF_lbbbEUlllE_EE10hipError_tT0_T1_T2_jT3_P12ihipStream_tbPNSt15iterator_traitsISL_E10value_typeEPNSR_ISM_E10value_typeEPSN_NS1_7vsmem_tEENKUlT_SL_SM_SN_E_clIS8_S8_S9_S9_EESK_S10_SL_SM_SN_EUlS10_E_NS1_11comp_targetILNS1_3genE5ELNS1_11target_archE942ELNS1_3gpuE9ELNS1_3repE0EEENS1_48merge_mergepath_partition_config_static_selectorELNS0_4arch9wavefront6targetE0EEEvSM_,@function
_ZN7rocprim17ROCPRIM_400000_NS6detail17trampoline_kernelINS0_14default_configENS1_38merge_sort_block_merge_config_selectorIlNS0_10empty_typeEEEZZNS1_27merge_sort_block_merge_implIS3_PlPS5_mZN2at6native12_GLOBAL__N_124unique_dim_cuda_templateIdEESt5tupleIJNSA_6TensorESF_SF_EERKSF_lbbbEUlllE_EE10hipError_tT0_T1_T2_jT3_P12ihipStream_tbPNSt15iterator_traitsISL_E10value_typeEPNSR_ISM_E10value_typeEPSN_NS1_7vsmem_tEENKUlT_SL_SM_SN_E_clIS8_S8_S9_S9_EESK_S10_SL_SM_SN_EUlS10_E_NS1_11comp_targetILNS1_3genE5ELNS1_11target_archE942ELNS1_3gpuE9ELNS1_3repE0EEENS1_48merge_mergepath_partition_config_static_selectorELNS0_4arch9wavefront6targetE0EEEvSM_: ; @_ZN7rocprim17ROCPRIM_400000_NS6detail17trampoline_kernelINS0_14default_configENS1_38merge_sort_block_merge_config_selectorIlNS0_10empty_typeEEEZZNS1_27merge_sort_block_merge_implIS3_PlPS5_mZN2at6native12_GLOBAL__N_124unique_dim_cuda_templateIdEESt5tupleIJNSA_6TensorESF_SF_EERKSF_lbbbEUlllE_EE10hipError_tT0_T1_T2_jT3_P12ihipStream_tbPNSt15iterator_traitsISL_E10value_typeEPNSR_ISM_E10value_typeEPSN_NS1_7vsmem_tEENKUlT_SL_SM_SN_E_clIS8_S8_S9_S9_EESK_S10_SL_SM_SN_EUlS10_E_NS1_11comp_targetILNS1_3genE5ELNS1_11target_archE942ELNS1_3gpuE9ELNS1_3repE0EEENS1_48merge_mergepath_partition_config_static_selectorELNS0_4arch9wavefront6targetE0EEEvSM_
; %bb.0:
	.section	.rodata,"a",@progbits
	.p2align	6, 0x0
	.amdhsa_kernel _ZN7rocprim17ROCPRIM_400000_NS6detail17trampoline_kernelINS0_14default_configENS1_38merge_sort_block_merge_config_selectorIlNS0_10empty_typeEEEZZNS1_27merge_sort_block_merge_implIS3_PlPS5_mZN2at6native12_GLOBAL__N_124unique_dim_cuda_templateIdEESt5tupleIJNSA_6TensorESF_SF_EERKSF_lbbbEUlllE_EE10hipError_tT0_T1_T2_jT3_P12ihipStream_tbPNSt15iterator_traitsISL_E10value_typeEPNSR_ISM_E10value_typeEPSN_NS1_7vsmem_tEENKUlT_SL_SM_SN_E_clIS8_S8_S9_S9_EESK_S10_SL_SM_SN_EUlS10_E_NS1_11comp_targetILNS1_3genE5ELNS1_11target_archE942ELNS1_3gpuE9ELNS1_3repE0EEENS1_48merge_mergepath_partition_config_static_selectorELNS0_4arch9wavefront6targetE0EEEvSM_
		.amdhsa_group_segment_fixed_size 0
		.amdhsa_private_segment_fixed_size 0
		.amdhsa_kernarg_size 56
		.amdhsa_user_sgpr_count 15
		.amdhsa_user_sgpr_dispatch_ptr 0
		.amdhsa_user_sgpr_queue_ptr 0
		.amdhsa_user_sgpr_kernarg_segment_ptr 1
		.amdhsa_user_sgpr_dispatch_id 0
		.amdhsa_user_sgpr_private_segment_size 0
		.amdhsa_wavefront_size32 1
		.amdhsa_uses_dynamic_stack 0
		.amdhsa_enable_private_segment 0
		.amdhsa_system_sgpr_workgroup_id_x 1
		.amdhsa_system_sgpr_workgroup_id_y 0
		.amdhsa_system_sgpr_workgroup_id_z 0
		.amdhsa_system_sgpr_workgroup_info 0
		.amdhsa_system_vgpr_workitem_id 0
		.amdhsa_next_free_vgpr 1
		.amdhsa_next_free_sgpr 1
		.amdhsa_reserve_vcc 0
		.amdhsa_float_round_mode_32 0
		.amdhsa_float_round_mode_16_64 0
		.amdhsa_float_denorm_mode_32 3
		.amdhsa_float_denorm_mode_16_64 3
		.amdhsa_dx10_clamp 1
		.amdhsa_ieee_mode 1
		.amdhsa_fp16_overflow 0
		.amdhsa_workgroup_processor_mode 1
		.amdhsa_memory_ordered 1
		.amdhsa_forward_progress 0
		.amdhsa_shared_vgpr_count 0
		.amdhsa_exception_fp_ieee_invalid_op 0
		.amdhsa_exception_fp_denorm_src 0
		.amdhsa_exception_fp_ieee_div_zero 0
		.amdhsa_exception_fp_ieee_overflow 0
		.amdhsa_exception_fp_ieee_underflow 0
		.amdhsa_exception_fp_ieee_inexact 0
		.amdhsa_exception_int_div_zero 0
	.end_amdhsa_kernel
	.section	.text._ZN7rocprim17ROCPRIM_400000_NS6detail17trampoline_kernelINS0_14default_configENS1_38merge_sort_block_merge_config_selectorIlNS0_10empty_typeEEEZZNS1_27merge_sort_block_merge_implIS3_PlPS5_mZN2at6native12_GLOBAL__N_124unique_dim_cuda_templateIdEESt5tupleIJNSA_6TensorESF_SF_EERKSF_lbbbEUlllE_EE10hipError_tT0_T1_T2_jT3_P12ihipStream_tbPNSt15iterator_traitsISL_E10value_typeEPNSR_ISM_E10value_typeEPSN_NS1_7vsmem_tEENKUlT_SL_SM_SN_E_clIS8_S8_S9_S9_EESK_S10_SL_SM_SN_EUlS10_E_NS1_11comp_targetILNS1_3genE5ELNS1_11target_archE942ELNS1_3gpuE9ELNS1_3repE0EEENS1_48merge_mergepath_partition_config_static_selectorELNS0_4arch9wavefront6targetE0EEEvSM_,"axG",@progbits,_ZN7rocprim17ROCPRIM_400000_NS6detail17trampoline_kernelINS0_14default_configENS1_38merge_sort_block_merge_config_selectorIlNS0_10empty_typeEEEZZNS1_27merge_sort_block_merge_implIS3_PlPS5_mZN2at6native12_GLOBAL__N_124unique_dim_cuda_templateIdEESt5tupleIJNSA_6TensorESF_SF_EERKSF_lbbbEUlllE_EE10hipError_tT0_T1_T2_jT3_P12ihipStream_tbPNSt15iterator_traitsISL_E10value_typeEPNSR_ISM_E10value_typeEPSN_NS1_7vsmem_tEENKUlT_SL_SM_SN_E_clIS8_S8_S9_S9_EESK_S10_SL_SM_SN_EUlS10_E_NS1_11comp_targetILNS1_3genE5ELNS1_11target_archE942ELNS1_3gpuE9ELNS1_3repE0EEENS1_48merge_mergepath_partition_config_static_selectorELNS0_4arch9wavefront6targetE0EEEvSM_,comdat
.Lfunc_end760:
	.size	_ZN7rocprim17ROCPRIM_400000_NS6detail17trampoline_kernelINS0_14default_configENS1_38merge_sort_block_merge_config_selectorIlNS0_10empty_typeEEEZZNS1_27merge_sort_block_merge_implIS3_PlPS5_mZN2at6native12_GLOBAL__N_124unique_dim_cuda_templateIdEESt5tupleIJNSA_6TensorESF_SF_EERKSF_lbbbEUlllE_EE10hipError_tT0_T1_T2_jT3_P12ihipStream_tbPNSt15iterator_traitsISL_E10value_typeEPNSR_ISM_E10value_typeEPSN_NS1_7vsmem_tEENKUlT_SL_SM_SN_E_clIS8_S8_S9_S9_EESK_S10_SL_SM_SN_EUlS10_E_NS1_11comp_targetILNS1_3genE5ELNS1_11target_archE942ELNS1_3gpuE9ELNS1_3repE0EEENS1_48merge_mergepath_partition_config_static_selectorELNS0_4arch9wavefront6targetE0EEEvSM_, .Lfunc_end760-_ZN7rocprim17ROCPRIM_400000_NS6detail17trampoline_kernelINS0_14default_configENS1_38merge_sort_block_merge_config_selectorIlNS0_10empty_typeEEEZZNS1_27merge_sort_block_merge_implIS3_PlPS5_mZN2at6native12_GLOBAL__N_124unique_dim_cuda_templateIdEESt5tupleIJNSA_6TensorESF_SF_EERKSF_lbbbEUlllE_EE10hipError_tT0_T1_T2_jT3_P12ihipStream_tbPNSt15iterator_traitsISL_E10value_typeEPNSR_ISM_E10value_typeEPSN_NS1_7vsmem_tEENKUlT_SL_SM_SN_E_clIS8_S8_S9_S9_EESK_S10_SL_SM_SN_EUlS10_E_NS1_11comp_targetILNS1_3genE5ELNS1_11target_archE942ELNS1_3gpuE9ELNS1_3repE0EEENS1_48merge_mergepath_partition_config_static_selectorELNS0_4arch9wavefront6targetE0EEEvSM_
                                        ; -- End function
	.section	.AMDGPU.csdata,"",@progbits
; Kernel info:
; codeLenInByte = 0
; NumSgprs: 0
; NumVgprs: 0
; ScratchSize: 0
; MemoryBound: 0
; FloatMode: 240
; IeeeMode: 1
; LDSByteSize: 0 bytes/workgroup (compile time only)
; SGPRBlocks: 0
; VGPRBlocks: 0
; NumSGPRsForWavesPerEU: 1
; NumVGPRsForWavesPerEU: 1
; Occupancy: 16
; WaveLimiterHint : 0
; COMPUTE_PGM_RSRC2:SCRATCH_EN: 0
; COMPUTE_PGM_RSRC2:USER_SGPR: 15
; COMPUTE_PGM_RSRC2:TRAP_HANDLER: 0
; COMPUTE_PGM_RSRC2:TGID_X_EN: 1
; COMPUTE_PGM_RSRC2:TGID_Y_EN: 0
; COMPUTE_PGM_RSRC2:TGID_Z_EN: 0
; COMPUTE_PGM_RSRC2:TIDIG_COMP_CNT: 0
	.section	.text._ZN7rocprim17ROCPRIM_400000_NS6detail17trampoline_kernelINS0_14default_configENS1_38merge_sort_block_merge_config_selectorIlNS0_10empty_typeEEEZZNS1_27merge_sort_block_merge_implIS3_PlPS5_mZN2at6native12_GLOBAL__N_124unique_dim_cuda_templateIdEESt5tupleIJNSA_6TensorESF_SF_EERKSF_lbbbEUlllE_EE10hipError_tT0_T1_T2_jT3_P12ihipStream_tbPNSt15iterator_traitsISL_E10value_typeEPNSR_ISM_E10value_typeEPSN_NS1_7vsmem_tEENKUlT_SL_SM_SN_E_clIS8_S8_S9_S9_EESK_S10_SL_SM_SN_EUlS10_E_NS1_11comp_targetILNS1_3genE4ELNS1_11target_archE910ELNS1_3gpuE8ELNS1_3repE0EEENS1_48merge_mergepath_partition_config_static_selectorELNS0_4arch9wavefront6targetE0EEEvSM_,"axG",@progbits,_ZN7rocprim17ROCPRIM_400000_NS6detail17trampoline_kernelINS0_14default_configENS1_38merge_sort_block_merge_config_selectorIlNS0_10empty_typeEEEZZNS1_27merge_sort_block_merge_implIS3_PlPS5_mZN2at6native12_GLOBAL__N_124unique_dim_cuda_templateIdEESt5tupleIJNSA_6TensorESF_SF_EERKSF_lbbbEUlllE_EE10hipError_tT0_T1_T2_jT3_P12ihipStream_tbPNSt15iterator_traitsISL_E10value_typeEPNSR_ISM_E10value_typeEPSN_NS1_7vsmem_tEENKUlT_SL_SM_SN_E_clIS8_S8_S9_S9_EESK_S10_SL_SM_SN_EUlS10_E_NS1_11comp_targetILNS1_3genE4ELNS1_11target_archE910ELNS1_3gpuE8ELNS1_3repE0EEENS1_48merge_mergepath_partition_config_static_selectorELNS0_4arch9wavefront6targetE0EEEvSM_,comdat
	.globl	_ZN7rocprim17ROCPRIM_400000_NS6detail17trampoline_kernelINS0_14default_configENS1_38merge_sort_block_merge_config_selectorIlNS0_10empty_typeEEEZZNS1_27merge_sort_block_merge_implIS3_PlPS5_mZN2at6native12_GLOBAL__N_124unique_dim_cuda_templateIdEESt5tupleIJNSA_6TensorESF_SF_EERKSF_lbbbEUlllE_EE10hipError_tT0_T1_T2_jT3_P12ihipStream_tbPNSt15iterator_traitsISL_E10value_typeEPNSR_ISM_E10value_typeEPSN_NS1_7vsmem_tEENKUlT_SL_SM_SN_E_clIS8_S8_S9_S9_EESK_S10_SL_SM_SN_EUlS10_E_NS1_11comp_targetILNS1_3genE4ELNS1_11target_archE910ELNS1_3gpuE8ELNS1_3repE0EEENS1_48merge_mergepath_partition_config_static_selectorELNS0_4arch9wavefront6targetE0EEEvSM_ ; -- Begin function _ZN7rocprim17ROCPRIM_400000_NS6detail17trampoline_kernelINS0_14default_configENS1_38merge_sort_block_merge_config_selectorIlNS0_10empty_typeEEEZZNS1_27merge_sort_block_merge_implIS3_PlPS5_mZN2at6native12_GLOBAL__N_124unique_dim_cuda_templateIdEESt5tupleIJNSA_6TensorESF_SF_EERKSF_lbbbEUlllE_EE10hipError_tT0_T1_T2_jT3_P12ihipStream_tbPNSt15iterator_traitsISL_E10value_typeEPNSR_ISM_E10value_typeEPSN_NS1_7vsmem_tEENKUlT_SL_SM_SN_E_clIS8_S8_S9_S9_EESK_S10_SL_SM_SN_EUlS10_E_NS1_11comp_targetILNS1_3genE4ELNS1_11target_archE910ELNS1_3gpuE8ELNS1_3repE0EEENS1_48merge_mergepath_partition_config_static_selectorELNS0_4arch9wavefront6targetE0EEEvSM_
	.p2align	8
	.type	_ZN7rocprim17ROCPRIM_400000_NS6detail17trampoline_kernelINS0_14default_configENS1_38merge_sort_block_merge_config_selectorIlNS0_10empty_typeEEEZZNS1_27merge_sort_block_merge_implIS3_PlPS5_mZN2at6native12_GLOBAL__N_124unique_dim_cuda_templateIdEESt5tupleIJNSA_6TensorESF_SF_EERKSF_lbbbEUlllE_EE10hipError_tT0_T1_T2_jT3_P12ihipStream_tbPNSt15iterator_traitsISL_E10value_typeEPNSR_ISM_E10value_typeEPSN_NS1_7vsmem_tEENKUlT_SL_SM_SN_E_clIS8_S8_S9_S9_EESK_S10_SL_SM_SN_EUlS10_E_NS1_11comp_targetILNS1_3genE4ELNS1_11target_archE910ELNS1_3gpuE8ELNS1_3repE0EEENS1_48merge_mergepath_partition_config_static_selectorELNS0_4arch9wavefront6targetE0EEEvSM_,@function
_ZN7rocprim17ROCPRIM_400000_NS6detail17trampoline_kernelINS0_14default_configENS1_38merge_sort_block_merge_config_selectorIlNS0_10empty_typeEEEZZNS1_27merge_sort_block_merge_implIS3_PlPS5_mZN2at6native12_GLOBAL__N_124unique_dim_cuda_templateIdEESt5tupleIJNSA_6TensorESF_SF_EERKSF_lbbbEUlllE_EE10hipError_tT0_T1_T2_jT3_P12ihipStream_tbPNSt15iterator_traitsISL_E10value_typeEPNSR_ISM_E10value_typeEPSN_NS1_7vsmem_tEENKUlT_SL_SM_SN_E_clIS8_S8_S9_S9_EESK_S10_SL_SM_SN_EUlS10_E_NS1_11comp_targetILNS1_3genE4ELNS1_11target_archE910ELNS1_3gpuE8ELNS1_3repE0EEENS1_48merge_mergepath_partition_config_static_selectorELNS0_4arch9wavefront6targetE0EEEvSM_: ; @_ZN7rocprim17ROCPRIM_400000_NS6detail17trampoline_kernelINS0_14default_configENS1_38merge_sort_block_merge_config_selectorIlNS0_10empty_typeEEEZZNS1_27merge_sort_block_merge_implIS3_PlPS5_mZN2at6native12_GLOBAL__N_124unique_dim_cuda_templateIdEESt5tupleIJNSA_6TensorESF_SF_EERKSF_lbbbEUlllE_EE10hipError_tT0_T1_T2_jT3_P12ihipStream_tbPNSt15iterator_traitsISL_E10value_typeEPNSR_ISM_E10value_typeEPSN_NS1_7vsmem_tEENKUlT_SL_SM_SN_E_clIS8_S8_S9_S9_EESK_S10_SL_SM_SN_EUlS10_E_NS1_11comp_targetILNS1_3genE4ELNS1_11target_archE910ELNS1_3gpuE8ELNS1_3repE0EEENS1_48merge_mergepath_partition_config_static_selectorELNS0_4arch9wavefront6targetE0EEEvSM_
; %bb.0:
	.section	.rodata,"a",@progbits
	.p2align	6, 0x0
	.amdhsa_kernel _ZN7rocprim17ROCPRIM_400000_NS6detail17trampoline_kernelINS0_14default_configENS1_38merge_sort_block_merge_config_selectorIlNS0_10empty_typeEEEZZNS1_27merge_sort_block_merge_implIS3_PlPS5_mZN2at6native12_GLOBAL__N_124unique_dim_cuda_templateIdEESt5tupleIJNSA_6TensorESF_SF_EERKSF_lbbbEUlllE_EE10hipError_tT0_T1_T2_jT3_P12ihipStream_tbPNSt15iterator_traitsISL_E10value_typeEPNSR_ISM_E10value_typeEPSN_NS1_7vsmem_tEENKUlT_SL_SM_SN_E_clIS8_S8_S9_S9_EESK_S10_SL_SM_SN_EUlS10_E_NS1_11comp_targetILNS1_3genE4ELNS1_11target_archE910ELNS1_3gpuE8ELNS1_3repE0EEENS1_48merge_mergepath_partition_config_static_selectorELNS0_4arch9wavefront6targetE0EEEvSM_
		.amdhsa_group_segment_fixed_size 0
		.amdhsa_private_segment_fixed_size 0
		.amdhsa_kernarg_size 56
		.amdhsa_user_sgpr_count 15
		.amdhsa_user_sgpr_dispatch_ptr 0
		.amdhsa_user_sgpr_queue_ptr 0
		.amdhsa_user_sgpr_kernarg_segment_ptr 1
		.amdhsa_user_sgpr_dispatch_id 0
		.amdhsa_user_sgpr_private_segment_size 0
		.amdhsa_wavefront_size32 1
		.amdhsa_uses_dynamic_stack 0
		.amdhsa_enable_private_segment 0
		.amdhsa_system_sgpr_workgroup_id_x 1
		.amdhsa_system_sgpr_workgroup_id_y 0
		.amdhsa_system_sgpr_workgroup_id_z 0
		.amdhsa_system_sgpr_workgroup_info 0
		.amdhsa_system_vgpr_workitem_id 0
		.amdhsa_next_free_vgpr 1
		.amdhsa_next_free_sgpr 1
		.amdhsa_reserve_vcc 0
		.amdhsa_float_round_mode_32 0
		.amdhsa_float_round_mode_16_64 0
		.amdhsa_float_denorm_mode_32 3
		.amdhsa_float_denorm_mode_16_64 3
		.amdhsa_dx10_clamp 1
		.amdhsa_ieee_mode 1
		.amdhsa_fp16_overflow 0
		.amdhsa_workgroup_processor_mode 1
		.amdhsa_memory_ordered 1
		.amdhsa_forward_progress 0
		.amdhsa_shared_vgpr_count 0
		.amdhsa_exception_fp_ieee_invalid_op 0
		.amdhsa_exception_fp_denorm_src 0
		.amdhsa_exception_fp_ieee_div_zero 0
		.amdhsa_exception_fp_ieee_overflow 0
		.amdhsa_exception_fp_ieee_underflow 0
		.amdhsa_exception_fp_ieee_inexact 0
		.amdhsa_exception_int_div_zero 0
	.end_amdhsa_kernel
	.section	.text._ZN7rocprim17ROCPRIM_400000_NS6detail17trampoline_kernelINS0_14default_configENS1_38merge_sort_block_merge_config_selectorIlNS0_10empty_typeEEEZZNS1_27merge_sort_block_merge_implIS3_PlPS5_mZN2at6native12_GLOBAL__N_124unique_dim_cuda_templateIdEESt5tupleIJNSA_6TensorESF_SF_EERKSF_lbbbEUlllE_EE10hipError_tT0_T1_T2_jT3_P12ihipStream_tbPNSt15iterator_traitsISL_E10value_typeEPNSR_ISM_E10value_typeEPSN_NS1_7vsmem_tEENKUlT_SL_SM_SN_E_clIS8_S8_S9_S9_EESK_S10_SL_SM_SN_EUlS10_E_NS1_11comp_targetILNS1_3genE4ELNS1_11target_archE910ELNS1_3gpuE8ELNS1_3repE0EEENS1_48merge_mergepath_partition_config_static_selectorELNS0_4arch9wavefront6targetE0EEEvSM_,"axG",@progbits,_ZN7rocprim17ROCPRIM_400000_NS6detail17trampoline_kernelINS0_14default_configENS1_38merge_sort_block_merge_config_selectorIlNS0_10empty_typeEEEZZNS1_27merge_sort_block_merge_implIS3_PlPS5_mZN2at6native12_GLOBAL__N_124unique_dim_cuda_templateIdEESt5tupleIJNSA_6TensorESF_SF_EERKSF_lbbbEUlllE_EE10hipError_tT0_T1_T2_jT3_P12ihipStream_tbPNSt15iterator_traitsISL_E10value_typeEPNSR_ISM_E10value_typeEPSN_NS1_7vsmem_tEENKUlT_SL_SM_SN_E_clIS8_S8_S9_S9_EESK_S10_SL_SM_SN_EUlS10_E_NS1_11comp_targetILNS1_3genE4ELNS1_11target_archE910ELNS1_3gpuE8ELNS1_3repE0EEENS1_48merge_mergepath_partition_config_static_selectorELNS0_4arch9wavefront6targetE0EEEvSM_,comdat
.Lfunc_end761:
	.size	_ZN7rocprim17ROCPRIM_400000_NS6detail17trampoline_kernelINS0_14default_configENS1_38merge_sort_block_merge_config_selectorIlNS0_10empty_typeEEEZZNS1_27merge_sort_block_merge_implIS3_PlPS5_mZN2at6native12_GLOBAL__N_124unique_dim_cuda_templateIdEESt5tupleIJNSA_6TensorESF_SF_EERKSF_lbbbEUlllE_EE10hipError_tT0_T1_T2_jT3_P12ihipStream_tbPNSt15iterator_traitsISL_E10value_typeEPNSR_ISM_E10value_typeEPSN_NS1_7vsmem_tEENKUlT_SL_SM_SN_E_clIS8_S8_S9_S9_EESK_S10_SL_SM_SN_EUlS10_E_NS1_11comp_targetILNS1_3genE4ELNS1_11target_archE910ELNS1_3gpuE8ELNS1_3repE0EEENS1_48merge_mergepath_partition_config_static_selectorELNS0_4arch9wavefront6targetE0EEEvSM_, .Lfunc_end761-_ZN7rocprim17ROCPRIM_400000_NS6detail17trampoline_kernelINS0_14default_configENS1_38merge_sort_block_merge_config_selectorIlNS0_10empty_typeEEEZZNS1_27merge_sort_block_merge_implIS3_PlPS5_mZN2at6native12_GLOBAL__N_124unique_dim_cuda_templateIdEESt5tupleIJNSA_6TensorESF_SF_EERKSF_lbbbEUlllE_EE10hipError_tT0_T1_T2_jT3_P12ihipStream_tbPNSt15iterator_traitsISL_E10value_typeEPNSR_ISM_E10value_typeEPSN_NS1_7vsmem_tEENKUlT_SL_SM_SN_E_clIS8_S8_S9_S9_EESK_S10_SL_SM_SN_EUlS10_E_NS1_11comp_targetILNS1_3genE4ELNS1_11target_archE910ELNS1_3gpuE8ELNS1_3repE0EEENS1_48merge_mergepath_partition_config_static_selectorELNS0_4arch9wavefront6targetE0EEEvSM_
                                        ; -- End function
	.section	.AMDGPU.csdata,"",@progbits
; Kernel info:
; codeLenInByte = 0
; NumSgprs: 0
; NumVgprs: 0
; ScratchSize: 0
; MemoryBound: 0
; FloatMode: 240
; IeeeMode: 1
; LDSByteSize: 0 bytes/workgroup (compile time only)
; SGPRBlocks: 0
; VGPRBlocks: 0
; NumSGPRsForWavesPerEU: 1
; NumVGPRsForWavesPerEU: 1
; Occupancy: 16
; WaveLimiterHint : 0
; COMPUTE_PGM_RSRC2:SCRATCH_EN: 0
; COMPUTE_PGM_RSRC2:USER_SGPR: 15
; COMPUTE_PGM_RSRC2:TRAP_HANDLER: 0
; COMPUTE_PGM_RSRC2:TGID_X_EN: 1
; COMPUTE_PGM_RSRC2:TGID_Y_EN: 0
; COMPUTE_PGM_RSRC2:TGID_Z_EN: 0
; COMPUTE_PGM_RSRC2:TIDIG_COMP_CNT: 0
	.section	.text._ZN7rocprim17ROCPRIM_400000_NS6detail17trampoline_kernelINS0_14default_configENS1_38merge_sort_block_merge_config_selectorIlNS0_10empty_typeEEEZZNS1_27merge_sort_block_merge_implIS3_PlPS5_mZN2at6native12_GLOBAL__N_124unique_dim_cuda_templateIdEESt5tupleIJNSA_6TensorESF_SF_EERKSF_lbbbEUlllE_EE10hipError_tT0_T1_T2_jT3_P12ihipStream_tbPNSt15iterator_traitsISL_E10value_typeEPNSR_ISM_E10value_typeEPSN_NS1_7vsmem_tEENKUlT_SL_SM_SN_E_clIS8_S8_S9_S9_EESK_S10_SL_SM_SN_EUlS10_E_NS1_11comp_targetILNS1_3genE3ELNS1_11target_archE908ELNS1_3gpuE7ELNS1_3repE0EEENS1_48merge_mergepath_partition_config_static_selectorELNS0_4arch9wavefront6targetE0EEEvSM_,"axG",@progbits,_ZN7rocprim17ROCPRIM_400000_NS6detail17trampoline_kernelINS0_14default_configENS1_38merge_sort_block_merge_config_selectorIlNS0_10empty_typeEEEZZNS1_27merge_sort_block_merge_implIS3_PlPS5_mZN2at6native12_GLOBAL__N_124unique_dim_cuda_templateIdEESt5tupleIJNSA_6TensorESF_SF_EERKSF_lbbbEUlllE_EE10hipError_tT0_T1_T2_jT3_P12ihipStream_tbPNSt15iterator_traitsISL_E10value_typeEPNSR_ISM_E10value_typeEPSN_NS1_7vsmem_tEENKUlT_SL_SM_SN_E_clIS8_S8_S9_S9_EESK_S10_SL_SM_SN_EUlS10_E_NS1_11comp_targetILNS1_3genE3ELNS1_11target_archE908ELNS1_3gpuE7ELNS1_3repE0EEENS1_48merge_mergepath_partition_config_static_selectorELNS0_4arch9wavefront6targetE0EEEvSM_,comdat
	.globl	_ZN7rocprim17ROCPRIM_400000_NS6detail17trampoline_kernelINS0_14default_configENS1_38merge_sort_block_merge_config_selectorIlNS0_10empty_typeEEEZZNS1_27merge_sort_block_merge_implIS3_PlPS5_mZN2at6native12_GLOBAL__N_124unique_dim_cuda_templateIdEESt5tupleIJNSA_6TensorESF_SF_EERKSF_lbbbEUlllE_EE10hipError_tT0_T1_T2_jT3_P12ihipStream_tbPNSt15iterator_traitsISL_E10value_typeEPNSR_ISM_E10value_typeEPSN_NS1_7vsmem_tEENKUlT_SL_SM_SN_E_clIS8_S8_S9_S9_EESK_S10_SL_SM_SN_EUlS10_E_NS1_11comp_targetILNS1_3genE3ELNS1_11target_archE908ELNS1_3gpuE7ELNS1_3repE0EEENS1_48merge_mergepath_partition_config_static_selectorELNS0_4arch9wavefront6targetE0EEEvSM_ ; -- Begin function _ZN7rocprim17ROCPRIM_400000_NS6detail17trampoline_kernelINS0_14default_configENS1_38merge_sort_block_merge_config_selectorIlNS0_10empty_typeEEEZZNS1_27merge_sort_block_merge_implIS3_PlPS5_mZN2at6native12_GLOBAL__N_124unique_dim_cuda_templateIdEESt5tupleIJNSA_6TensorESF_SF_EERKSF_lbbbEUlllE_EE10hipError_tT0_T1_T2_jT3_P12ihipStream_tbPNSt15iterator_traitsISL_E10value_typeEPNSR_ISM_E10value_typeEPSN_NS1_7vsmem_tEENKUlT_SL_SM_SN_E_clIS8_S8_S9_S9_EESK_S10_SL_SM_SN_EUlS10_E_NS1_11comp_targetILNS1_3genE3ELNS1_11target_archE908ELNS1_3gpuE7ELNS1_3repE0EEENS1_48merge_mergepath_partition_config_static_selectorELNS0_4arch9wavefront6targetE0EEEvSM_
	.p2align	8
	.type	_ZN7rocprim17ROCPRIM_400000_NS6detail17trampoline_kernelINS0_14default_configENS1_38merge_sort_block_merge_config_selectorIlNS0_10empty_typeEEEZZNS1_27merge_sort_block_merge_implIS3_PlPS5_mZN2at6native12_GLOBAL__N_124unique_dim_cuda_templateIdEESt5tupleIJNSA_6TensorESF_SF_EERKSF_lbbbEUlllE_EE10hipError_tT0_T1_T2_jT3_P12ihipStream_tbPNSt15iterator_traitsISL_E10value_typeEPNSR_ISM_E10value_typeEPSN_NS1_7vsmem_tEENKUlT_SL_SM_SN_E_clIS8_S8_S9_S9_EESK_S10_SL_SM_SN_EUlS10_E_NS1_11comp_targetILNS1_3genE3ELNS1_11target_archE908ELNS1_3gpuE7ELNS1_3repE0EEENS1_48merge_mergepath_partition_config_static_selectorELNS0_4arch9wavefront6targetE0EEEvSM_,@function
_ZN7rocprim17ROCPRIM_400000_NS6detail17trampoline_kernelINS0_14default_configENS1_38merge_sort_block_merge_config_selectorIlNS0_10empty_typeEEEZZNS1_27merge_sort_block_merge_implIS3_PlPS5_mZN2at6native12_GLOBAL__N_124unique_dim_cuda_templateIdEESt5tupleIJNSA_6TensorESF_SF_EERKSF_lbbbEUlllE_EE10hipError_tT0_T1_T2_jT3_P12ihipStream_tbPNSt15iterator_traitsISL_E10value_typeEPNSR_ISM_E10value_typeEPSN_NS1_7vsmem_tEENKUlT_SL_SM_SN_E_clIS8_S8_S9_S9_EESK_S10_SL_SM_SN_EUlS10_E_NS1_11comp_targetILNS1_3genE3ELNS1_11target_archE908ELNS1_3gpuE7ELNS1_3repE0EEENS1_48merge_mergepath_partition_config_static_selectorELNS0_4arch9wavefront6targetE0EEEvSM_: ; @_ZN7rocprim17ROCPRIM_400000_NS6detail17trampoline_kernelINS0_14default_configENS1_38merge_sort_block_merge_config_selectorIlNS0_10empty_typeEEEZZNS1_27merge_sort_block_merge_implIS3_PlPS5_mZN2at6native12_GLOBAL__N_124unique_dim_cuda_templateIdEESt5tupleIJNSA_6TensorESF_SF_EERKSF_lbbbEUlllE_EE10hipError_tT0_T1_T2_jT3_P12ihipStream_tbPNSt15iterator_traitsISL_E10value_typeEPNSR_ISM_E10value_typeEPSN_NS1_7vsmem_tEENKUlT_SL_SM_SN_E_clIS8_S8_S9_S9_EESK_S10_SL_SM_SN_EUlS10_E_NS1_11comp_targetILNS1_3genE3ELNS1_11target_archE908ELNS1_3gpuE7ELNS1_3repE0EEENS1_48merge_mergepath_partition_config_static_selectorELNS0_4arch9wavefront6targetE0EEEvSM_
; %bb.0:
	.section	.rodata,"a",@progbits
	.p2align	6, 0x0
	.amdhsa_kernel _ZN7rocprim17ROCPRIM_400000_NS6detail17trampoline_kernelINS0_14default_configENS1_38merge_sort_block_merge_config_selectorIlNS0_10empty_typeEEEZZNS1_27merge_sort_block_merge_implIS3_PlPS5_mZN2at6native12_GLOBAL__N_124unique_dim_cuda_templateIdEESt5tupleIJNSA_6TensorESF_SF_EERKSF_lbbbEUlllE_EE10hipError_tT0_T1_T2_jT3_P12ihipStream_tbPNSt15iterator_traitsISL_E10value_typeEPNSR_ISM_E10value_typeEPSN_NS1_7vsmem_tEENKUlT_SL_SM_SN_E_clIS8_S8_S9_S9_EESK_S10_SL_SM_SN_EUlS10_E_NS1_11comp_targetILNS1_3genE3ELNS1_11target_archE908ELNS1_3gpuE7ELNS1_3repE0EEENS1_48merge_mergepath_partition_config_static_selectorELNS0_4arch9wavefront6targetE0EEEvSM_
		.amdhsa_group_segment_fixed_size 0
		.amdhsa_private_segment_fixed_size 0
		.amdhsa_kernarg_size 56
		.amdhsa_user_sgpr_count 15
		.amdhsa_user_sgpr_dispatch_ptr 0
		.amdhsa_user_sgpr_queue_ptr 0
		.amdhsa_user_sgpr_kernarg_segment_ptr 1
		.amdhsa_user_sgpr_dispatch_id 0
		.amdhsa_user_sgpr_private_segment_size 0
		.amdhsa_wavefront_size32 1
		.amdhsa_uses_dynamic_stack 0
		.amdhsa_enable_private_segment 0
		.amdhsa_system_sgpr_workgroup_id_x 1
		.amdhsa_system_sgpr_workgroup_id_y 0
		.amdhsa_system_sgpr_workgroup_id_z 0
		.amdhsa_system_sgpr_workgroup_info 0
		.amdhsa_system_vgpr_workitem_id 0
		.amdhsa_next_free_vgpr 1
		.amdhsa_next_free_sgpr 1
		.amdhsa_reserve_vcc 0
		.amdhsa_float_round_mode_32 0
		.amdhsa_float_round_mode_16_64 0
		.amdhsa_float_denorm_mode_32 3
		.amdhsa_float_denorm_mode_16_64 3
		.amdhsa_dx10_clamp 1
		.amdhsa_ieee_mode 1
		.amdhsa_fp16_overflow 0
		.amdhsa_workgroup_processor_mode 1
		.amdhsa_memory_ordered 1
		.amdhsa_forward_progress 0
		.amdhsa_shared_vgpr_count 0
		.amdhsa_exception_fp_ieee_invalid_op 0
		.amdhsa_exception_fp_denorm_src 0
		.amdhsa_exception_fp_ieee_div_zero 0
		.amdhsa_exception_fp_ieee_overflow 0
		.amdhsa_exception_fp_ieee_underflow 0
		.amdhsa_exception_fp_ieee_inexact 0
		.amdhsa_exception_int_div_zero 0
	.end_amdhsa_kernel
	.section	.text._ZN7rocprim17ROCPRIM_400000_NS6detail17trampoline_kernelINS0_14default_configENS1_38merge_sort_block_merge_config_selectorIlNS0_10empty_typeEEEZZNS1_27merge_sort_block_merge_implIS3_PlPS5_mZN2at6native12_GLOBAL__N_124unique_dim_cuda_templateIdEESt5tupleIJNSA_6TensorESF_SF_EERKSF_lbbbEUlllE_EE10hipError_tT0_T1_T2_jT3_P12ihipStream_tbPNSt15iterator_traitsISL_E10value_typeEPNSR_ISM_E10value_typeEPSN_NS1_7vsmem_tEENKUlT_SL_SM_SN_E_clIS8_S8_S9_S9_EESK_S10_SL_SM_SN_EUlS10_E_NS1_11comp_targetILNS1_3genE3ELNS1_11target_archE908ELNS1_3gpuE7ELNS1_3repE0EEENS1_48merge_mergepath_partition_config_static_selectorELNS0_4arch9wavefront6targetE0EEEvSM_,"axG",@progbits,_ZN7rocprim17ROCPRIM_400000_NS6detail17trampoline_kernelINS0_14default_configENS1_38merge_sort_block_merge_config_selectorIlNS0_10empty_typeEEEZZNS1_27merge_sort_block_merge_implIS3_PlPS5_mZN2at6native12_GLOBAL__N_124unique_dim_cuda_templateIdEESt5tupleIJNSA_6TensorESF_SF_EERKSF_lbbbEUlllE_EE10hipError_tT0_T1_T2_jT3_P12ihipStream_tbPNSt15iterator_traitsISL_E10value_typeEPNSR_ISM_E10value_typeEPSN_NS1_7vsmem_tEENKUlT_SL_SM_SN_E_clIS8_S8_S9_S9_EESK_S10_SL_SM_SN_EUlS10_E_NS1_11comp_targetILNS1_3genE3ELNS1_11target_archE908ELNS1_3gpuE7ELNS1_3repE0EEENS1_48merge_mergepath_partition_config_static_selectorELNS0_4arch9wavefront6targetE0EEEvSM_,comdat
.Lfunc_end762:
	.size	_ZN7rocprim17ROCPRIM_400000_NS6detail17trampoline_kernelINS0_14default_configENS1_38merge_sort_block_merge_config_selectorIlNS0_10empty_typeEEEZZNS1_27merge_sort_block_merge_implIS3_PlPS5_mZN2at6native12_GLOBAL__N_124unique_dim_cuda_templateIdEESt5tupleIJNSA_6TensorESF_SF_EERKSF_lbbbEUlllE_EE10hipError_tT0_T1_T2_jT3_P12ihipStream_tbPNSt15iterator_traitsISL_E10value_typeEPNSR_ISM_E10value_typeEPSN_NS1_7vsmem_tEENKUlT_SL_SM_SN_E_clIS8_S8_S9_S9_EESK_S10_SL_SM_SN_EUlS10_E_NS1_11comp_targetILNS1_3genE3ELNS1_11target_archE908ELNS1_3gpuE7ELNS1_3repE0EEENS1_48merge_mergepath_partition_config_static_selectorELNS0_4arch9wavefront6targetE0EEEvSM_, .Lfunc_end762-_ZN7rocprim17ROCPRIM_400000_NS6detail17trampoline_kernelINS0_14default_configENS1_38merge_sort_block_merge_config_selectorIlNS0_10empty_typeEEEZZNS1_27merge_sort_block_merge_implIS3_PlPS5_mZN2at6native12_GLOBAL__N_124unique_dim_cuda_templateIdEESt5tupleIJNSA_6TensorESF_SF_EERKSF_lbbbEUlllE_EE10hipError_tT0_T1_T2_jT3_P12ihipStream_tbPNSt15iterator_traitsISL_E10value_typeEPNSR_ISM_E10value_typeEPSN_NS1_7vsmem_tEENKUlT_SL_SM_SN_E_clIS8_S8_S9_S9_EESK_S10_SL_SM_SN_EUlS10_E_NS1_11comp_targetILNS1_3genE3ELNS1_11target_archE908ELNS1_3gpuE7ELNS1_3repE0EEENS1_48merge_mergepath_partition_config_static_selectorELNS0_4arch9wavefront6targetE0EEEvSM_
                                        ; -- End function
	.section	.AMDGPU.csdata,"",@progbits
; Kernel info:
; codeLenInByte = 0
; NumSgprs: 0
; NumVgprs: 0
; ScratchSize: 0
; MemoryBound: 0
; FloatMode: 240
; IeeeMode: 1
; LDSByteSize: 0 bytes/workgroup (compile time only)
; SGPRBlocks: 0
; VGPRBlocks: 0
; NumSGPRsForWavesPerEU: 1
; NumVGPRsForWavesPerEU: 1
; Occupancy: 16
; WaveLimiterHint : 0
; COMPUTE_PGM_RSRC2:SCRATCH_EN: 0
; COMPUTE_PGM_RSRC2:USER_SGPR: 15
; COMPUTE_PGM_RSRC2:TRAP_HANDLER: 0
; COMPUTE_PGM_RSRC2:TGID_X_EN: 1
; COMPUTE_PGM_RSRC2:TGID_Y_EN: 0
; COMPUTE_PGM_RSRC2:TGID_Z_EN: 0
; COMPUTE_PGM_RSRC2:TIDIG_COMP_CNT: 0
	.section	.text._ZN7rocprim17ROCPRIM_400000_NS6detail17trampoline_kernelINS0_14default_configENS1_38merge_sort_block_merge_config_selectorIlNS0_10empty_typeEEEZZNS1_27merge_sort_block_merge_implIS3_PlPS5_mZN2at6native12_GLOBAL__N_124unique_dim_cuda_templateIdEESt5tupleIJNSA_6TensorESF_SF_EERKSF_lbbbEUlllE_EE10hipError_tT0_T1_T2_jT3_P12ihipStream_tbPNSt15iterator_traitsISL_E10value_typeEPNSR_ISM_E10value_typeEPSN_NS1_7vsmem_tEENKUlT_SL_SM_SN_E_clIS8_S8_S9_S9_EESK_S10_SL_SM_SN_EUlS10_E_NS1_11comp_targetILNS1_3genE2ELNS1_11target_archE906ELNS1_3gpuE6ELNS1_3repE0EEENS1_48merge_mergepath_partition_config_static_selectorELNS0_4arch9wavefront6targetE0EEEvSM_,"axG",@progbits,_ZN7rocprim17ROCPRIM_400000_NS6detail17trampoline_kernelINS0_14default_configENS1_38merge_sort_block_merge_config_selectorIlNS0_10empty_typeEEEZZNS1_27merge_sort_block_merge_implIS3_PlPS5_mZN2at6native12_GLOBAL__N_124unique_dim_cuda_templateIdEESt5tupleIJNSA_6TensorESF_SF_EERKSF_lbbbEUlllE_EE10hipError_tT0_T1_T2_jT3_P12ihipStream_tbPNSt15iterator_traitsISL_E10value_typeEPNSR_ISM_E10value_typeEPSN_NS1_7vsmem_tEENKUlT_SL_SM_SN_E_clIS8_S8_S9_S9_EESK_S10_SL_SM_SN_EUlS10_E_NS1_11comp_targetILNS1_3genE2ELNS1_11target_archE906ELNS1_3gpuE6ELNS1_3repE0EEENS1_48merge_mergepath_partition_config_static_selectorELNS0_4arch9wavefront6targetE0EEEvSM_,comdat
	.globl	_ZN7rocprim17ROCPRIM_400000_NS6detail17trampoline_kernelINS0_14default_configENS1_38merge_sort_block_merge_config_selectorIlNS0_10empty_typeEEEZZNS1_27merge_sort_block_merge_implIS3_PlPS5_mZN2at6native12_GLOBAL__N_124unique_dim_cuda_templateIdEESt5tupleIJNSA_6TensorESF_SF_EERKSF_lbbbEUlllE_EE10hipError_tT0_T1_T2_jT3_P12ihipStream_tbPNSt15iterator_traitsISL_E10value_typeEPNSR_ISM_E10value_typeEPSN_NS1_7vsmem_tEENKUlT_SL_SM_SN_E_clIS8_S8_S9_S9_EESK_S10_SL_SM_SN_EUlS10_E_NS1_11comp_targetILNS1_3genE2ELNS1_11target_archE906ELNS1_3gpuE6ELNS1_3repE0EEENS1_48merge_mergepath_partition_config_static_selectorELNS0_4arch9wavefront6targetE0EEEvSM_ ; -- Begin function _ZN7rocprim17ROCPRIM_400000_NS6detail17trampoline_kernelINS0_14default_configENS1_38merge_sort_block_merge_config_selectorIlNS0_10empty_typeEEEZZNS1_27merge_sort_block_merge_implIS3_PlPS5_mZN2at6native12_GLOBAL__N_124unique_dim_cuda_templateIdEESt5tupleIJNSA_6TensorESF_SF_EERKSF_lbbbEUlllE_EE10hipError_tT0_T1_T2_jT3_P12ihipStream_tbPNSt15iterator_traitsISL_E10value_typeEPNSR_ISM_E10value_typeEPSN_NS1_7vsmem_tEENKUlT_SL_SM_SN_E_clIS8_S8_S9_S9_EESK_S10_SL_SM_SN_EUlS10_E_NS1_11comp_targetILNS1_3genE2ELNS1_11target_archE906ELNS1_3gpuE6ELNS1_3repE0EEENS1_48merge_mergepath_partition_config_static_selectorELNS0_4arch9wavefront6targetE0EEEvSM_
	.p2align	8
	.type	_ZN7rocprim17ROCPRIM_400000_NS6detail17trampoline_kernelINS0_14default_configENS1_38merge_sort_block_merge_config_selectorIlNS0_10empty_typeEEEZZNS1_27merge_sort_block_merge_implIS3_PlPS5_mZN2at6native12_GLOBAL__N_124unique_dim_cuda_templateIdEESt5tupleIJNSA_6TensorESF_SF_EERKSF_lbbbEUlllE_EE10hipError_tT0_T1_T2_jT3_P12ihipStream_tbPNSt15iterator_traitsISL_E10value_typeEPNSR_ISM_E10value_typeEPSN_NS1_7vsmem_tEENKUlT_SL_SM_SN_E_clIS8_S8_S9_S9_EESK_S10_SL_SM_SN_EUlS10_E_NS1_11comp_targetILNS1_3genE2ELNS1_11target_archE906ELNS1_3gpuE6ELNS1_3repE0EEENS1_48merge_mergepath_partition_config_static_selectorELNS0_4arch9wavefront6targetE0EEEvSM_,@function
_ZN7rocprim17ROCPRIM_400000_NS6detail17trampoline_kernelINS0_14default_configENS1_38merge_sort_block_merge_config_selectorIlNS0_10empty_typeEEEZZNS1_27merge_sort_block_merge_implIS3_PlPS5_mZN2at6native12_GLOBAL__N_124unique_dim_cuda_templateIdEESt5tupleIJNSA_6TensorESF_SF_EERKSF_lbbbEUlllE_EE10hipError_tT0_T1_T2_jT3_P12ihipStream_tbPNSt15iterator_traitsISL_E10value_typeEPNSR_ISM_E10value_typeEPSN_NS1_7vsmem_tEENKUlT_SL_SM_SN_E_clIS8_S8_S9_S9_EESK_S10_SL_SM_SN_EUlS10_E_NS1_11comp_targetILNS1_3genE2ELNS1_11target_archE906ELNS1_3gpuE6ELNS1_3repE0EEENS1_48merge_mergepath_partition_config_static_selectorELNS0_4arch9wavefront6targetE0EEEvSM_: ; @_ZN7rocprim17ROCPRIM_400000_NS6detail17trampoline_kernelINS0_14default_configENS1_38merge_sort_block_merge_config_selectorIlNS0_10empty_typeEEEZZNS1_27merge_sort_block_merge_implIS3_PlPS5_mZN2at6native12_GLOBAL__N_124unique_dim_cuda_templateIdEESt5tupleIJNSA_6TensorESF_SF_EERKSF_lbbbEUlllE_EE10hipError_tT0_T1_T2_jT3_P12ihipStream_tbPNSt15iterator_traitsISL_E10value_typeEPNSR_ISM_E10value_typeEPSN_NS1_7vsmem_tEENKUlT_SL_SM_SN_E_clIS8_S8_S9_S9_EESK_S10_SL_SM_SN_EUlS10_E_NS1_11comp_targetILNS1_3genE2ELNS1_11target_archE906ELNS1_3gpuE6ELNS1_3repE0EEENS1_48merge_mergepath_partition_config_static_selectorELNS0_4arch9wavefront6targetE0EEEvSM_
; %bb.0:
	.section	.rodata,"a",@progbits
	.p2align	6, 0x0
	.amdhsa_kernel _ZN7rocprim17ROCPRIM_400000_NS6detail17trampoline_kernelINS0_14default_configENS1_38merge_sort_block_merge_config_selectorIlNS0_10empty_typeEEEZZNS1_27merge_sort_block_merge_implIS3_PlPS5_mZN2at6native12_GLOBAL__N_124unique_dim_cuda_templateIdEESt5tupleIJNSA_6TensorESF_SF_EERKSF_lbbbEUlllE_EE10hipError_tT0_T1_T2_jT3_P12ihipStream_tbPNSt15iterator_traitsISL_E10value_typeEPNSR_ISM_E10value_typeEPSN_NS1_7vsmem_tEENKUlT_SL_SM_SN_E_clIS8_S8_S9_S9_EESK_S10_SL_SM_SN_EUlS10_E_NS1_11comp_targetILNS1_3genE2ELNS1_11target_archE906ELNS1_3gpuE6ELNS1_3repE0EEENS1_48merge_mergepath_partition_config_static_selectorELNS0_4arch9wavefront6targetE0EEEvSM_
		.amdhsa_group_segment_fixed_size 0
		.amdhsa_private_segment_fixed_size 0
		.amdhsa_kernarg_size 56
		.amdhsa_user_sgpr_count 15
		.amdhsa_user_sgpr_dispatch_ptr 0
		.amdhsa_user_sgpr_queue_ptr 0
		.amdhsa_user_sgpr_kernarg_segment_ptr 1
		.amdhsa_user_sgpr_dispatch_id 0
		.amdhsa_user_sgpr_private_segment_size 0
		.amdhsa_wavefront_size32 1
		.amdhsa_uses_dynamic_stack 0
		.amdhsa_enable_private_segment 0
		.amdhsa_system_sgpr_workgroup_id_x 1
		.amdhsa_system_sgpr_workgroup_id_y 0
		.amdhsa_system_sgpr_workgroup_id_z 0
		.amdhsa_system_sgpr_workgroup_info 0
		.amdhsa_system_vgpr_workitem_id 0
		.amdhsa_next_free_vgpr 1
		.amdhsa_next_free_sgpr 1
		.amdhsa_reserve_vcc 0
		.amdhsa_float_round_mode_32 0
		.amdhsa_float_round_mode_16_64 0
		.amdhsa_float_denorm_mode_32 3
		.amdhsa_float_denorm_mode_16_64 3
		.amdhsa_dx10_clamp 1
		.amdhsa_ieee_mode 1
		.amdhsa_fp16_overflow 0
		.amdhsa_workgroup_processor_mode 1
		.amdhsa_memory_ordered 1
		.amdhsa_forward_progress 0
		.amdhsa_shared_vgpr_count 0
		.amdhsa_exception_fp_ieee_invalid_op 0
		.amdhsa_exception_fp_denorm_src 0
		.amdhsa_exception_fp_ieee_div_zero 0
		.amdhsa_exception_fp_ieee_overflow 0
		.amdhsa_exception_fp_ieee_underflow 0
		.amdhsa_exception_fp_ieee_inexact 0
		.amdhsa_exception_int_div_zero 0
	.end_amdhsa_kernel
	.section	.text._ZN7rocprim17ROCPRIM_400000_NS6detail17trampoline_kernelINS0_14default_configENS1_38merge_sort_block_merge_config_selectorIlNS0_10empty_typeEEEZZNS1_27merge_sort_block_merge_implIS3_PlPS5_mZN2at6native12_GLOBAL__N_124unique_dim_cuda_templateIdEESt5tupleIJNSA_6TensorESF_SF_EERKSF_lbbbEUlllE_EE10hipError_tT0_T1_T2_jT3_P12ihipStream_tbPNSt15iterator_traitsISL_E10value_typeEPNSR_ISM_E10value_typeEPSN_NS1_7vsmem_tEENKUlT_SL_SM_SN_E_clIS8_S8_S9_S9_EESK_S10_SL_SM_SN_EUlS10_E_NS1_11comp_targetILNS1_3genE2ELNS1_11target_archE906ELNS1_3gpuE6ELNS1_3repE0EEENS1_48merge_mergepath_partition_config_static_selectorELNS0_4arch9wavefront6targetE0EEEvSM_,"axG",@progbits,_ZN7rocprim17ROCPRIM_400000_NS6detail17trampoline_kernelINS0_14default_configENS1_38merge_sort_block_merge_config_selectorIlNS0_10empty_typeEEEZZNS1_27merge_sort_block_merge_implIS3_PlPS5_mZN2at6native12_GLOBAL__N_124unique_dim_cuda_templateIdEESt5tupleIJNSA_6TensorESF_SF_EERKSF_lbbbEUlllE_EE10hipError_tT0_T1_T2_jT3_P12ihipStream_tbPNSt15iterator_traitsISL_E10value_typeEPNSR_ISM_E10value_typeEPSN_NS1_7vsmem_tEENKUlT_SL_SM_SN_E_clIS8_S8_S9_S9_EESK_S10_SL_SM_SN_EUlS10_E_NS1_11comp_targetILNS1_3genE2ELNS1_11target_archE906ELNS1_3gpuE6ELNS1_3repE0EEENS1_48merge_mergepath_partition_config_static_selectorELNS0_4arch9wavefront6targetE0EEEvSM_,comdat
.Lfunc_end763:
	.size	_ZN7rocprim17ROCPRIM_400000_NS6detail17trampoline_kernelINS0_14default_configENS1_38merge_sort_block_merge_config_selectorIlNS0_10empty_typeEEEZZNS1_27merge_sort_block_merge_implIS3_PlPS5_mZN2at6native12_GLOBAL__N_124unique_dim_cuda_templateIdEESt5tupleIJNSA_6TensorESF_SF_EERKSF_lbbbEUlllE_EE10hipError_tT0_T1_T2_jT3_P12ihipStream_tbPNSt15iterator_traitsISL_E10value_typeEPNSR_ISM_E10value_typeEPSN_NS1_7vsmem_tEENKUlT_SL_SM_SN_E_clIS8_S8_S9_S9_EESK_S10_SL_SM_SN_EUlS10_E_NS1_11comp_targetILNS1_3genE2ELNS1_11target_archE906ELNS1_3gpuE6ELNS1_3repE0EEENS1_48merge_mergepath_partition_config_static_selectorELNS0_4arch9wavefront6targetE0EEEvSM_, .Lfunc_end763-_ZN7rocprim17ROCPRIM_400000_NS6detail17trampoline_kernelINS0_14default_configENS1_38merge_sort_block_merge_config_selectorIlNS0_10empty_typeEEEZZNS1_27merge_sort_block_merge_implIS3_PlPS5_mZN2at6native12_GLOBAL__N_124unique_dim_cuda_templateIdEESt5tupleIJNSA_6TensorESF_SF_EERKSF_lbbbEUlllE_EE10hipError_tT0_T1_T2_jT3_P12ihipStream_tbPNSt15iterator_traitsISL_E10value_typeEPNSR_ISM_E10value_typeEPSN_NS1_7vsmem_tEENKUlT_SL_SM_SN_E_clIS8_S8_S9_S9_EESK_S10_SL_SM_SN_EUlS10_E_NS1_11comp_targetILNS1_3genE2ELNS1_11target_archE906ELNS1_3gpuE6ELNS1_3repE0EEENS1_48merge_mergepath_partition_config_static_selectorELNS0_4arch9wavefront6targetE0EEEvSM_
                                        ; -- End function
	.section	.AMDGPU.csdata,"",@progbits
; Kernel info:
; codeLenInByte = 0
; NumSgprs: 0
; NumVgprs: 0
; ScratchSize: 0
; MemoryBound: 0
; FloatMode: 240
; IeeeMode: 1
; LDSByteSize: 0 bytes/workgroup (compile time only)
; SGPRBlocks: 0
; VGPRBlocks: 0
; NumSGPRsForWavesPerEU: 1
; NumVGPRsForWavesPerEU: 1
; Occupancy: 16
; WaveLimiterHint : 0
; COMPUTE_PGM_RSRC2:SCRATCH_EN: 0
; COMPUTE_PGM_RSRC2:USER_SGPR: 15
; COMPUTE_PGM_RSRC2:TRAP_HANDLER: 0
; COMPUTE_PGM_RSRC2:TGID_X_EN: 1
; COMPUTE_PGM_RSRC2:TGID_Y_EN: 0
; COMPUTE_PGM_RSRC2:TGID_Z_EN: 0
; COMPUTE_PGM_RSRC2:TIDIG_COMP_CNT: 0
	.section	.text._ZN7rocprim17ROCPRIM_400000_NS6detail17trampoline_kernelINS0_14default_configENS1_38merge_sort_block_merge_config_selectorIlNS0_10empty_typeEEEZZNS1_27merge_sort_block_merge_implIS3_PlPS5_mZN2at6native12_GLOBAL__N_124unique_dim_cuda_templateIdEESt5tupleIJNSA_6TensorESF_SF_EERKSF_lbbbEUlllE_EE10hipError_tT0_T1_T2_jT3_P12ihipStream_tbPNSt15iterator_traitsISL_E10value_typeEPNSR_ISM_E10value_typeEPSN_NS1_7vsmem_tEENKUlT_SL_SM_SN_E_clIS8_S8_S9_S9_EESK_S10_SL_SM_SN_EUlS10_E_NS1_11comp_targetILNS1_3genE9ELNS1_11target_archE1100ELNS1_3gpuE3ELNS1_3repE0EEENS1_48merge_mergepath_partition_config_static_selectorELNS0_4arch9wavefront6targetE0EEEvSM_,"axG",@progbits,_ZN7rocprim17ROCPRIM_400000_NS6detail17trampoline_kernelINS0_14default_configENS1_38merge_sort_block_merge_config_selectorIlNS0_10empty_typeEEEZZNS1_27merge_sort_block_merge_implIS3_PlPS5_mZN2at6native12_GLOBAL__N_124unique_dim_cuda_templateIdEESt5tupleIJNSA_6TensorESF_SF_EERKSF_lbbbEUlllE_EE10hipError_tT0_T1_T2_jT3_P12ihipStream_tbPNSt15iterator_traitsISL_E10value_typeEPNSR_ISM_E10value_typeEPSN_NS1_7vsmem_tEENKUlT_SL_SM_SN_E_clIS8_S8_S9_S9_EESK_S10_SL_SM_SN_EUlS10_E_NS1_11comp_targetILNS1_3genE9ELNS1_11target_archE1100ELNS1_3gpuE3ELNS1_3repE0EEENS1_48merge_mergepath_partition_config_static_selectorELNS0_4arch9wavefront6targetE0EEEvSM_,comdat
	.globl	_ZN7rocprim17ROCPRIM_400000_NS6detail17trampoline_kernelINS0_14default_configENS1_38merge_sort_block_merge_config_selectorIlNS0_10empty_typeEEEZZNS1_27merge_sort_block_merge_implIS3_PlPS5_mZN2at6native12_GLOBAL__N_124unique_dim_cuda_templateIdEESt5tupleIJNSA_6TensorESF_SF_EERKSF_lbbbEUlllE_EE10hipError_tT0_T1_T2_jT3_P12ihipStream_tbPNSt15iterator_traitsISL_E10value_typeEPNSR_ISM_E10value_typeEPSN_NS1_7vsmem_tEENKUlT_SL_SM_SN_E_clIS8_S8_S9_S9_EESK_S10_SL_SM_SN_EUlS10_E_NS1_11comp_targetILNS1_3genE9ELNS1_11target_archE1100ELNS1_3gpuE3ELNS1_3repE0EEENS1_48merge_mergepath_partition_config_static_selectorELNS0_4arch9wavefront6targetE0EEEvSM_ ; -- Begin function _ZN7rocprim17ROCPRIM_400000_NS6detail17trampoline_kernelINS0_14default_configENS1_38merge_sort_block_merge_config_selectorIlNS0_10empty_typeEEEZZNS1_27merge_sort_block_merge_implIS3_PlPS5_mZN2at6native12_GLOBAL__N_124unique_dim_cuda_templateIdEESt5tupleIJNSA_6TensorESF_SF_EERKSF_lbbbEUlllE_EE10hipError_tT0_T1_T2_jT3_P12ihipStream_tbPNSt15iterator_traitsISL_E10value_typeEPNSR_ISM_E10value_typeEPSN_NS1_7vsmem_tEENKUlT_SL_SM_SN_E_clIS8_S8_S9_S9_EESK_S10_SL_SM_SN_EUlS10_E_NS1_11comp_targetILNS1_3genE9ELNS1_11target_archE1100ELNS1_3gpuE3ELNS1_3repE0EEENS1_48merge_mergepath_partition_config_static_selectorELNS0_4arch9wavefront6targetE0EEEvSM_
	.p2align	8
	.type	_ZN7rocprim17ROCPRIM_400000_NS6detail17trampoline_kernelINS0_14default_configENS1_38merge_sort_block_merge_config_selectorIlNS0_10empty_typeEEEZZNS1_27merge_sort_block_merge_implIS3_PlPS5_mZN2at6native12_GLOBAL__N_124unique_dim_cuda_templateIdEESt5tupleIJNSA_6TensorESF_SF_EERKSF_lbbbEUlllE_EE10hipError_tT0_T1_T2_jT3_P12ihipStream_tbPNSt15iterator_traitsISL_E10value_typeEPNSR_ISM_E10value_typeEPSN_NS1_7vsmem_tEENKUlT_SL_SM_SN_E_clIS8_S8_S9_S9_EESK_S10_SL_SM_SN_EUlS10_E_NS1_11comp_targetILNS1_3genE9ELNS1_11target_archE1100ELNS1_3gpuE3ELNS1_3repE0EEENS1_48merge_mergepath_partition_config_static_selectorELNS0_4arch9wavefront6targetE0EEEvSM_,@function
_ZN7rocprim17ROCPRIM_400000_NS6detail17trampoline_kernelINS0_14default_configENS1_38merge_sort_block_merge_config_selectorIlNS0_10empty_typeEEEZZNS1_27merge_sort_block_merge_implIS3_PlPS5_mZN2at6native12_GLOBAL__N_124unique_dim_cuda_templateIdEESt5tupleIJNSA_6TensorESF_SF_EERKSF_lbbbEUlllE_EE10hipError_tT0_T1_T2_jT3_P12ihipStream_tbPNSt15iterator_traitsISL_E10value_typeEPNSR_ISM_E10value_typeEPSN_NS1_7vsmem_tEENKUlT_SL_SM_SN_E_clIS8_S8_S9_S9_EESK_S10_SL_SM_SN_EUlS10_E_NS1_11comp_targetILNS1_3genE9ELNS1_11target_archE1100ELNS1_3gpuE3ELNS1_3repE0EEENS1_48merge_mergepath_partition_config_static_selectorELNS0_4arch9wavefront6targetE0EEEvSM_: ; @_ZN7rocprim17ROCPRIM_400000_NS6detail17trampoline_kernelINS0_14default_configENS1_38merge_sort_block_merge_config_selectorIlNS0_10empty_typeEEEZZNS1_27merge_sort_block_merge_implIS3_PlPS5_mZN2at6native12_GLOBAL__N_124unique_dim_cuda_templateIdEESt5tupleIJNSA_6TensorESF_SF_EERKSF_lbbbEUlllE_EE10hipError_tT0_T1_T2_jT3_P12ihipStream_tbPNSt15iterator_traitsISL_E10value_typeEPNSR_ISM_E10value_typeEPSN_NS1_7vsmem_tEENKUlT_SL_SM_SN_E_clIS8_S8_S9_S9_EESK_S10_SL_SM_SN_EUlS10_E_NS1_11comp_targetILNS1_3genE9ELNS1_11target_archE1100ELNS1_3gpuE3ELNS1_3repE0EEENS1_48merge_mergepath_partition_config_static_selectorELNS0_4arch9wavefront6targetE0EEEvSM_
; %bb.0:
	s_load_b32 s2, s[0:1], 0x0
	v_lshl_or_b32 v0, s15, 7, v0
	s_waitcnt lgkmcnt(0)
	s_delay_alu instid0(VALU_DEP_1)
	v_cmp_gt_u32_e32 vcc_lo, s2, v0
	s_and_saveexec_b32 s2, vcc_lo
	s_cbranch_execz .LBB764_13
; %bb.1:
	s_load_b128 s[4:7], s[0:1], 0x8
	s_mov_b32 s13, 0
	s_mov_b32 s12, exec_lo
	v_mov_b32_e32 v2, 0
	s_waitcnt lgkmcnt(0)
	v_alignbit_b32 v1, s5, s4, 9
	s_delay_alu instid0(VALU_DEP_1) | instskip(NEXT) | instid1(VALU_DEP_1)
	v_and_b32_e32 v3, -2, v1
	v_sub_nc_u32_e32 v1, 0, v3
	s_delay_alu instid0(VALU_DEP_1) | instskip(NEXT) | instid1(VALU_DEP_1)
	v_and_b32_e32 v1, v0, v1
	v_lshlrev_b64 v[4:5], 10, v[1:2]
	v_add_nc_u32_e32 v1, -1, v3
	s_delay_alu instid0(VALU_DEP_1) | instskip(NEXT) | instid1(VALU_DEP_3)
	v_dual_mov_b32 v11, v2 :: v_dual_and_b32 v10, v1, v0
	v_add_co_u32 v6, vcc_lo, v4, s4
	s_delay_alu instid0(VALU_DEP_4) | instskip(NEXT) | instid1(VALU_DEP_1)
	v_add_co_ci_u32_e32 v7, vcc_lo, s5, v5, vcc_lo
	v_cmp_lt_u64_e32 vcc_lo, s[6:7], v[6:7]
	v_cndmask_b32_e64 v8, v6, s6, vcc_lo
	v_cndmask_b32_e64 v9, v7, s7, vcc_lo
	s_delay_alu instid0(VALU_DEP_2) | instskip(NEXT) | instid1(VALU_DEP_2)
	v_add_co_u32 v6, vcc_lo, v8, s4
	v_add_co_ci_u32_e32 v7, vcc_lo, s5, v9, vcc_lo
	v_cmp_lt_u64_e32 vcc_lo, s[6:7], v[4:5]
	s_delay_alu instid0(VALU_DEP_2) | instskip(SKIP_3) | instid1(VALU_DEP_4)
	v_cmp_lt_u64_e64 s2, s[6:7], v[6:7]
	v_cndmask_b32_e64 v2, v4, s6, vcc_lo
	v_cndmask_b32_e64 v3, v5, s7, vcc_lo
	v_lshlrev_b64 v[4:5], 10, v[10:11]
	v_cndmask_b32_e64 v12, v6, s6, s2
	v_cndmask_b32_e64 v1, v7, s7, s2
	s_load_b256 s[4:11], s[0:1], 0x18
	s_delay_alu instid0(VALU_DEP_2) | instskip(NEXT) | instid1(VALU_DEP_2)
	v_sub_co_u32 v6, vcc_lo, v12, v2
	v_sub_co_ci_u32_e32 v7, vcc_lo, v1, v3, vcc_lo
	s_delay_alu instid0(VALU_DEP_1) | instskip(SKIP_3) | instid1(VALU_DEP_2)
	v_cmp_lt_u64_e32 vcc_lo, v[6:7], v[4:5]
	v_dual_cndmask_b32 v11, v5, v7 :: v_dual_cndmask_b32 v10, v4, v6
	v_sub_co_u32 v4, vcc_lo, v8, v12
	v_sub_co_ci_u32_e32 v1, vcc_lo, v9, v1, vcc_lo
	v_add_co_u32 v4, vcc_lo, v10, v4
	s_delay_alu instid0(VALU_DEP_2) | instskip(SKIP_2) | instid1(VALU_DEP_3)
	v_add_co_ci_u32_e32 v5, vcc_lo, v11, v1, vcc_lo
	v_sub_co_u32 v6, vcc_lo, v8, v2
	v_sub_co_ci_u32_e32 v7, vcc_lo, v9, v3, vcc_lo
	v_cmp_gt_u64_e32 vcc_lo, v[4:5], v[10:11]
	s_delay_alu instid0(VALU_DEP_2) | instskip(SKIP_2) | instid1(VALU_DEP_3)
	v_cmp_lt_u64_e64 s0, v[10:11], v[6:7]
	v_cndmask_b32_e64 v5, v5, 0, vcc_lo
	v_cndmask_b32_e64 v4, v4, 0, vcc_lo
	v_cndmask_b32_e64 v7, v7, v11, s0
	v_cndmask_b32_e64 v6, v6, v10, s0
	s_delay_alu instid0(VALU_DEP_1)
	v_cmpx_lt_u64_e64 v[4:5], v[6:7]
	s_cbranch_execz .LBB764_12
; %bb.2:
	v_lshlrev_b64 v[8:9], 3, v[8:9]
	v_lshlrev_b64 v[12:13], 3, v[2:3]
	;; [unrolled: 1-line block ×3, first 2 shown]
	s_waitcnt lgkmcnt(0)
	v_cmp_gt_i64_e64 s14, s[6:7], 0
	s_lshl_b64 s[2:3], s[6:7], 3
	v_add_co_u32 v8, vcc_lo, s4, v8
	v_add_co_ci_u32_e32 v9, vcc_lo, s5, v9, vcc_lo
	v_add_co_u32 v1, vcc_lo, s4, v12
	v_add_co_ci_u32_e32 v14, vcc_lo, s5, v13, vcc_lo
	s_delay_alu instid0(VALU_DEP_4) | instskip(NEXT) | instid1(VALU_DEP_4)
	v_add_co_u32 v15, vcc_lo, v8, v10
	v_add_co_ci_u32_e32 v16, vcc_lo, v9, v11, vcc_lo
	s_branch .LBB764_5
.LBB764_3:                              ;   in Loop: Header=BB764_5 Depth=1
	s_set_inst_prefetch_distance 0x2
	s_or_b32 exec_lo, exec_lo, s16
.LBB764_4:                              ;   in Loop: Header=BB764_5 Depth=1
	s_delay_alu instid0(VALU_DEP_1) | instskip(NEXT) | instid1(VALU_DEP_2)
	v_add_co_u32 v10, vcc_lo, v8, 1
	v_add_co_ci_u32_e32 v11, vcc_lo, 0, v9, vcc_lo
	v_cndmask_b32_e64 v7, v7, v9, s15
	v_cndmask_b32_e64 v6, v6, v8, s15
	s_delay_alu instid0(VALU_DEP_4) | instskip(NEXT) | instid1(VALU_DEP_4)
	v_cndmask_b32_e64 v4, v10, v4, s15
	v_cndmask_b32_e64 v5, v11, v5, s15
	s_delay_alu instid0(VALU_DEP_1) | instskip(SKIP_1) | instid1(SALU_CYCLE_1)
	v_cmp_ge_u64_e32 vcc_lo, v[4:5], v[6:7]
	s_or_b32 s13, vcc_lo, s13
	s_and_not1_b32 exec_lo, exec_lo, s13
	s_cbranch_execz .LBB764_11
.LBB764_5:                              ; =>This Loop Header: Depth=1
                                        ;     Child Loop BB764_8 Depth 2
	v_add_co_u32 v8, vcc_lo, v6, v4
	v_add_co_ci_u32_e32 v9, vcc_lo, v7, v5, vcc_lo
	s_and_not1_b32 vcc_lo, exec_lo, s14
	s_delay_alu instid0(VALU_DEP_1)
	v_lshrrev_b64 v[8:9], 1, v[8:9]
	s_cbranch_vccnz .LBB764_10
; %bb.6:                                ;   in Loop: Header=BB764_5 Depth=1
	s_delay_alu instid0(VALU_DEP_1) | instskip(NEXT) | instid1(VALU_DEP_2)
	v_not_b32_e32 v11, v9
	v_not_b32_e32 v10, v8
	v_lshlrev_b64 v[12:13], 3, v[8:9]
	s_mov_b32 s16, 0
	s_mov_b64 s[4:5], s[6:7]
                                        ; implicit-def: $sgpr15
                                        ; implicit-def: $sgpr17
                                        ; implicit-def: $sgpr18
                                        ; implicit-def: $sgpr19
                                        ; implicit-def: $sgpr20
	s_delay_alu instid0(VALU_DEP_2) | instskip(NEXT) | instid1(VALU_DEP_1)
	v_lshlrev_b64 v[10:11], 3, v[10:11]
	v_add_co_u32 v10, vcc_lo, v15, v10
	s_delay_alu instid0(VALU_DEP_2)
	v_add_co_ci_u32_e32 v11, vcc_lo, v16, v11, vcc_lo
	v_add_co_u32 v12, vcc_lo, v1, v12
	v_add_co_ci_u32_e32 v13, vcc_lo, v14, v13, vcc_lo
	s_clause 0x1
	global_load_b64 v[17:18], v[10:11], off
	global_load_b64 v[19:20], v[12:13], off
	s_waitcnt vmcnt(1)
	v_mul_lo_u32 v18, s2, v18
	v_mul_lo_u32 v21, s3, v17
	v_mad_u64_u32 v[10:11], null, s2, v17, s[8:9]
	s_waitcnt vmcnt(0)
	v_mul_lo_u32 v17, s2, v20
	v_mul_lo_u32 v20, s3, v19
	v_mad_u64_u32 v[12:13], null, s2, v19, s[8:9]
	s_delay_alu instid0(VALU_DEP_4) | instskip(NEXT) | instid1(VALU_DEP_2)
	v_add3_u32 v11, v21, v11, v18
	v_add3_u32 v13, v20, v13, v17
	s_set_inst_prefetch_distance 0x1
	s_branch .LBB764_8
	.p2align	6
.LBB764_7:                              ;   in Loop: Header=BB764_8 Depth=2
	s_or_b32 exec_lo, exec_lo, s0
	s_delay_alu instid0(SALU_CYCLE_1) | instskip(NEXT) | instid1(SALU_CYCLE_1)
	s_and_b32 s0, exec_lo, s17
	s_or_b32 s16, s0, s16
	s_and_not1_b32 s0, s20, exec_lo
	s_and_b32 s1, s18, exec_lo
	s_and_not1_b32 s15, s15, exec_lo
	s_and_b32 s21, s19, exec_lo
	s_or_b32 s20, s0, s1
	s_or_b32 s15, s15, s21
	s_and_not1_b32 exec_lo, exec_lo, s16
	s_cbranch_execz .LBB764_3
.LBB764_8:                              ;   Parent Loop BB764_5 Depth=1
                                        ; =>  This Inner Loop Header: Depth=2
	global_load_b64 v[17:18], v[10:11], off
	global_load_b64 v[19:20], v[12:13], off
	s_and_not1_b32 s18, s18, exec_lo
	s_or_b32 s17, s17, exec_lo
	s_waitcnt vmcnt(0)
	v_cmp_ngt_f64_e32 vcc_lo, v[17:18], v[19:20]
	v_cmp_lt_f64_e64 s0, v[17:18], v[19:20]
	s_and_b32 s21, vcc_lo, s20
	s_delay_alu instid0(VALU_DEP_1) | instid1(SALU_CYCLE_1)
	s_or_b32 s21, s0, s21
	s_and_not1_b32 s0, s19, exec_lo
	s_and_b32 s19, s21, exec_lo
	s_delay_alu instid0(SALU_CYCLE_1)
	s_or_b32 s19, s0, s19
	s_mov_b32 s0, exec_lo
	v_cmpx_nlg_f64_e32 v[17:18], v[19:20]
	s_cbranch_execz .LBB764_7
; %bb.9:                                ;   in Loop: Header=BB764_8 Depth=2
	s_add_u32 s4, s4, -1
	s_addc_u32 s5, s5, -1
	v_add_co_u32 v10, vcc_lo, v10, 8
	s_cmp_eq_u64 s[4:5], 0
	v_add_co_ci_u32_e32 v11, vcc_lo, 0, v11, vcc_lo
	s_cselect_b32 s1, -1, 0
	v_add_co_u32 v12, vcc_lo, v12, 8
	s_and_not1_b32 s18, s18, exec_lo
	s_and_b32 s20, s21, exec_lo
	s_and_not1_b32 s17, s17, exec_lo
	s_and_b32 s1, s1, exec_lo
	v_add_co_ci_u32_e32 v13, vcc_lo, 0, v13, vcc_lo
	s_and_not1_b32 s19, s19, exec_lo
	s_or_b32 s18, s18, s20
	s_or_b32 s17, s17, s1
                                        ; implicit-def: $sgpr20
	s_branch .LBB764_7
.LBB764_10:                             ;   in Loop: Header=BB764_5 Depth=1
	s_mov_b32 s15, 0
	s_branch .LBB764_4
.LBB764_11:
	s_or_b32 exec_lo, exec_lo, s13
.LBB764_12:
	s_delay_alu instid0(SALU_CYCLE_1) | instskip(SKIP_3) | instid1(VALU_DEP_3)
	s_or_b32 exec_lo, exec_lo, s12
	v_mov_b32_e32 v1, 0
	v_add_co_u32 v2, vcc_lo, v4, v2
	v_add_co_ci_u32_e32 v3, vcc_lo, v5, v3, vcc_lo
	v_lshlrev_b64 v[0:1], 3, v[0:1]
	s_waitcnt lgkmcnt(0)
	s_delay_alu instid0(VALU_DEP_1) | instskip(NEXT) | instid1(VALU_DEP_2)
	v_add_co_u32 v0, vcc_lo, s10, v0
	v_add_co_ci_u32_e32 v1, vcc_lo, s11, v1, vcc_lo
	global_store_b64 v[0:1], v[2:3], off
.LBB764_13:
	s_nop 0
	s_sendmsg sendmsg(MSG_DEALLOC_VGPRS)
	s_endpgm
	.section	.rodata,"a",@progbits
	.p2align	6, 0x0
	.amdhsa_kernel _ZN7rocprim17ROCPRIM_400000_NS6detail17trampoline_kernelINS0_14default_configENS1_38merge_sort_block_merge_config_selectorIlNS0_10empty_typeEEEZZNS1_27merge_sort_block_merge_implIS3_PlPS5_mZN2at6native12_GLOBAL__N_124unique_dim_cuda_templateIdEESt5tupleIJNSA_6TensorESF_SF_EERKSF_lbbbEUlllE_EE10hipError_tT0_T1_T2_jT3_P12ihipStream_tbPNSt15iterator_traitsISL_E10value_typeEPNSR_ISM_E10value_typeEPSN_NS1_7vsmem_tEENKUlT_SL_SM_SN_E_clIS8_S8_S9_S9_EESK_S10_SL_SM_SN_EUlS10_E_NS1_11comp_targetILNS1_3genE9ELNS1_11target_archE1100ELNS1_3gpuE3ELNS1_3repE0EEENS1_48merge_mergepath_partition_config_static_selectorELNS0_4arch9wavefront6targetE0EEEvSM_
		.amdhsa_group_segment_fixed_size 0
		.amdhsa_private_segment_fixed_size 0
		.amdhsa_kernarg_size 56
		.amdhsa_user_sgpr_count 15
		.amdhsa_user_sgpr_dispatch_ptr 0
		.amdhsa_user_sgpr_queue_ptr 0
		.amdhsa_user_sgpr_kernarg_segment_ptr 1
		.amdhsa_user_sgpr_dispatch_id 0
		.amdhsa_user_sgpr_private_segment_size 0
		.amdhsa_wavefront_size32 1
		.amdhsa_uses_dynamic_stack 0
		.amdhsa_enable_private_segment 0
		.amdhsa_system_sgpr_workgroup_id_x 1
		.amdhsa_system_sgpr_workgroup_id_y 0
		.amdhsa_system_sgpr_workgroup_id_z 0
		.amdhsa_system_sgpr_workgroup_info 0
		.amdhsa_system_vgpr_workitem_id 0
		.amdhsa_next_free_vgpr 22
		.amdhsa_next_free_sgpr 22
		.amdhsa_reserve_vcc 1
		.amdhsa_float_round_mode_32 0
		.amdhsa_float_round_mode_16_64 0
		.amdhsa_float_denorm_mode_32 3
		.amdhsa_float_denorm_mode_16_64 3
		.amdhsa_dx10_clamp 1
		.amdhsa_ieee_mode 1
		.amdhsa_fp16_overflow 0
		.amdhsa_workgroup_processor_mode 1
		.amdhsa_memory_ordered 1
		.amdhsa_forward_progress 0
		.amdhsa_shared_vgpr_count 0
		.amdhsa_exception_fp_ieee_invalid_op 0
		.amdhsa_exception_fp_denorm_src 0
		.amdhsa_exception_fp_ieee_div_zero 0
		.amdhsa_exception_fp_ieee_overflow 0
		.amdhsa_exception_fp_ieee_underflow 0
		.amdhsa_exception_fp_ieee_inexact 0
		.amdhsa_exception_int_div_zero 0
	.end_amdhsa_kernel
	.section	.text._ZN7rocprim17ROCPRIM_400000_NS6detail17trampoline_kernelINS0_14default_configENS1_38merge_sort_block_merge_config_selectorIlNS0_10empty_typeEEEZZNS1_27merge_sort_block_merge_implIS3_PlPS5_mZN2at6native12_GLOBAL__N_124unique_dim_cuda_templateIdEESt5tupleIJNSA_6TensorESF_SF_EERKSF_lbbbEUlllE_EE10hipError_tT0_T1_T2_jT3_P12ihipStream_tbPNSt15iterator_traitsISL_E10value_typeEPNSR_ISM_E10value_typeEPSN_NS1_7vsmem_tEENKUlT_SL_SM_SN_E_clIS8_S8_S9_S9_EESK_S10_SL_SM_SN_EUlS10_E_NS1_11comp_targetILNS1_3genE9ELNS1_11target_archE1100ELNS1_3gpuE3ELNS1_3repE0EEENS1_48merge_mergepath_partition_config_static_selectorELNS0_4arch9wavefront6targetE0EEEvSM_,"axG",@progbits,_ZN7rocprim17ROCPRIM_400000_NS6detail17trampoline_kernelINS0_14default_configENS1_38merge_sort_block_merge_config_selectorIlNS0_10empty_typeEEEZZNS1_27merge_sort_block_merge_implIS3_PlPS5_mZN2at6native12_GLOBAL__N_124unique_dim_cuda_templateIdEESt5tupleIJNSA_6TensorESF_SF_EERKSF_lbbbEUlllE_EE10hipError_tT0_T1_T2_jT3_P12ihipStream_tbPNSt15iterator_traitsISL_E10value_typeEPNSR_ISM_E10value_typeEPSN_NS1_7vsmem_tEENKUlT_SL_SM_SN_E_clIS8_S8_S9_S9_EESK_S10_SL_SM_SN_EUlS10_E_NS1_11comp_targetILNS1_3genE9ELNS1_11target_archE1100ELNS1_3gpuE3ELNS1_3repE0EEENS1_48merge_mergepath_partition_config_static_selectorELNS0_4arch9wavefront6targetE0EEEvSM_,comdat
.Lfunc_end764:
	.size	_ZN7rocprim17ROCPRIM_400000_NS6detail17trampoline_kernelINS0_14default_configENS1_38merge_sort_block_merge_config_selectorIlNS0_10empty_typeEEEZZNS1_27merge_sort_block_merge_implIS3_PlPS5_mZN2at6native12_GLOBAL__N_124unique_dim_cuda_templateIdEESt5tupleIJNSA_6TensorESF_SF_EERKSF_lbbbEUlllE_EE10hipError_tT0_T1_T2_jT3_P12ihipStream_tbPNSt15iterator_traitsISL_E10value_typeEPNSR_ISM_E10value_typeEPSN_NS1_7vsmem_tEENKUlT_SL_SM_SN_E_clIS8_S8_S9_S9_EESK_S10_SL_SM_SN_EUlS10_E_NS1_11comp_targetILNS1_3genE9ELNS1_11target_archE1100ELNS1_3gpuE3ELNS1_3repE0EEENS1_48merge_mergepath_partition_config_static_selectorELNS0_4arch9wavefront6targetE0EEEvSM_, .Lfunc_end764-_ZN7rocprim17ROCPRIM_400000_NS6detail17trampoline_kernelINS0_14default_configENS1_38merge_sort_block_merge_config_selectorIlNS0_10empty_typeEEEZZNS1_27merge_sort_block_merge_implIS3_PlPS5_mZN2at6native12_GLOBAL__N_124unique_dim_cuda_templateIdEESt5tupleIJNSA_6TensorESF_SF_EERKSF_lbbbEUlllE_EE10hipError_tT0_T1_T2_jT3_P12ihipStream_tbPNSt15iterator_traitsISL_E10value_typeEPNSR_ISM_E10value_typeEPSN_NS1_7vsmem_tEENKUlT_SL_SM_SN_E_clIS8_S8_S9_S9_EESK_S10_SL_SM_SN_EUlS10_E_NS1_11comp_targetILNS1_3genE9ELNS1_11target_archE1100ELNS1_3gpuE3ELNS1_3repE0EEENS1_48merge_mergepath_partition_config_static_selectorELNS0_4arch9wavefront6targetE0EEEvSM_
                                        ; -- End function
	.section	.AMDGPU.csdata,"",@progbits
; Kernel info:
; codeLenInByte = 1016
; NumSgprs: 24
; NumVgprs: 22
; ScratchSize: 0
; MemoryBound: 0
; FloatMode: 240
; IeeeMode: 1
; LDSByteSize: 0 bytes/workgroup (compile time only)
; SGPRBlocks: 2
; VGPRBlocks: 2
; NumSGPRsForWavesPerEU: 24
; NumVGPRsForWavesPerEU: 22
; Occupancy: 16
; WaveLimiterHint : 0
; COMPUTE_PGM_RSRC2:SCRATCH_EN: 0
; COMPUTE_PGM_RSRC2:USER_SGPR: 15
; COMPUTE_PGM_RSRC2:TRAP_HANDLER: 0
; COMPUTE_PGM_RSRC2:TGID_X_EN: 1
; COMPUTE_PGM_RSRC2:TGID_Y_EN: 0
; COMPUTE_PGM_RSRC2:TGID_Z_EN: 0
; COMPUTE_PGM_RSRC2:TIDIG_COMP_CNT: 0
	.section	.text._ZN7rocprim17ROCPRIM_400000_NS6detail17trampoline_kernelINS0_14default_configENS1_38merge_sort_block_merge_config_selectorIlNS0_10empty_typeEEEZZNS1_27merge_sort_block_merge_implIS3_PlPS5_mZN2at6native12_GLOBAL__N_124unique_dim_cuda_templateIdEESt5tupleIJNSA_6TensorESF_SF_EERKSF_lbbbEUlllE_EE10hipError_tT0_T1_T2_jT3_P12ihipStream_tbPNSt15iterator_traitsISL_E10value_typeEPNSR_ISM_E10value_typeEPSN_NS1_7vsmem_tEENKUlT_SL_SM_SN_E_clIS8_S8_S9_S9_EESK_S10_SL_SM_SN_EUlS10_E_NS1_11comp_targetILNS1_3genE8ELNS1_11target_archE1030ELNS1_3gpuE2ELNS1_3repE0EEENS1_48merge_mergepath_partition_config_static_selectorELNS0_4arch9wavefront6targetE0EEEvSM_,"axG",@progbits,_ZN7rocprim17ROCPRIM_400000_NS6detail17trampoline_kernelINS0_14default_configENS1_38merge_sort_block_merge_config_selectorIlNS0_10empty_typeEEEZZNS1_27merge_sort_block_merge_implIS3_PlPS5_mZN2at6native12_GLOBAL__N_124unique_dim_cuda_templateIdEESt5tupleIJNSA_6TensorESF_SF_EERKSF_lbbbEUlllE_EE10hipError_tT0_T1_T2_jT3_P12ihipStream_tbPNSt15iterator_traitsISL_E10value_typeEPNSR_ISM_E10value_typeEPSN_NS1_7vsmem_tEENKUlT_SL_SM_SN_E_clIS8_S8_S9_S9_EESK_S10_SL_SM_SN_EUlS10_E_NS1_11comp_targetILNS1_3genE8ELNS1_11target_archE1030ELNS1_3gpuE2ELNS1_3repE0EEENS1_48merge_mergepath_partition_config_static_selectorELNS0_4arch9wavefront6targetE0EEEvSM_,comdat
	.globl	_ZN7rocprim17ROCPRIM_400000_NS6detail17trampoline_kernelINS0_14default_configENS1_38merge_sort_block_merge_config_selectorIlNS0_10empty_typeEEEZZNS1_27merge_sort_block_merge_implIS3_PlPS5_mZN2at6native12_GLOBAL__N_124unique_dim_cuda_templateIdEESt5tupleIJNSA_6TensorESF_SF_EERKSF_lbbbEUlllE_EE10hipError_tT0_T1_T2_jT3_P12ihipStream_tbPNSt15iterator_traitsISL_E10value_typeEPNSR_ISM_E10value_typeEPSN_NS1_7vsmem_tEENKUlT_SL_SM_SN_E_clIS8_S8_S9_S9_EESK_S10_SL_SM_SN_EUlS10_E_NS1_11comp_targetILNS1_3genE8ELNS1_11target_archE1030ELNS1_3gpuE2ELNS1_3repE0EEENS1_48merge_mergepath_partition_config_static_selectorELNS0_4arch9wavefront6targetE0EEEvSM_ ; -- Begin function _ZN7rocprim17ROCPRIM_400000_NS6detail17trampoline_kernelINS0_14default_configENS1_38merge_sort_block_merge_config_selectorIlNS0_10empty_typeEEEZZNS1_27merge_sort_block_merge_implIS3_PlPS5_mZN2at6native12_GLOBAL__N_124unique_dim_cuda_templateIdEESt5tupleIJNSA_6TensorESF_SF_EERKSF_lbbbEUlllE_EE10hipError_tT0_T1_T2_jT3_P12ihipStream_tbPNSt15iterator_traitsISL_E10value_typeEPNSR_ISM_E10value_typeEPSN_NS1_7vsmem_tEENKUlT_SL_SM_SN_E_clIS8_S8_S9_S9_EESK_S10_SL_SM_SN_EUlS10_E_NS1_11comp_targetILNS1_3genE8ELNS1_11target_archE1030ELNS1_3gpuE2ELNS1_3repE0EEENS1_48merge_mergepath_partition_config_static_selectorELNS0_4arch9wavefront6targetE0EEEvSM_
	.p2align	8
	.type	_ZN7rocprim17ROCPRIM_400000_NS6detail17trampoline_kernelINS0_14default_configENS1_38merge_sort_block_merge_config_selectorIlNS0_10empty_typeEEEZZNS1_27merge_sort_block_merge_implIS3_PlPS5_mZN2at6native12_GLOBAL__N_124unique_dim_cuda_templateIdEESt5tupleIJNSA_6TensorESF_SF_EERKSF_lbbbEUlllE_EE10hipError_tT0_T1_T2_jT3_P12ihipStream_tbPNSt15iterator_traitsISL_E10value_typeEPNSR_ISM_E10value_typeEPSN_NS1_7vsmem_tEENKUlT_SL_SM_SN_E_clIS8_S8_S9_S9_EESK_S10_SL_SM_SN_EUlS10_E_NS1_11comp_targetILNS1_3genE8ELNS1_11target_archE1030ELNS1_3gpuE2ELNS1_3repE0EEENS1_48merge_mergepath_partition_config_static_selectorELNS0_4arch9wavefront6targetE0EEEvSM_,@function
_ZN7rocprim17ROCPRIM_400000_NS6detail17trampoline_kernelINS0_14default_configENS1_38merge_sort_block_merge_config_selectorIlNS0_10empty_typeEEEZZNS1_27merge_sort_block_merge_implIS3_PlPS5_mZN2at6native12_GLOBAL__N_124unique_dim_cuda_templateIdEESt5tupleIJNSA_6TensorESF_SF_EERKSF_lbbbEUlllE_EE10hipError_tT0_T1_T2_jT3_P12ihipStream_tbPNSt15iterator_traitsISL_E10value_typeEPNSR_ISM_E10value_typeEPSN_NS1_7vsmem_tEENKUlT_SL_SM_SN_E_clIS8_S8_S9_S9_EESK_S10_SL_SM_SN_EUlS10_E_NS1_11comp_targetILNS1_3genE8ELNS1_11target_archE1030ELNS1_3gpuE2ELNS1_3repE0EEENS1_48merge_mergepath_partition_config_static_selectorELNS0_4arch9wavefront6targetE0EEEvSM_: ; @_ZN7rocprim17ROCPRIM_400000_NS6detail17trampoline_kernelINS0_14default_configENS1_38merge_sort_block_merge_config_selectorIlNS0_10empty_typeEEEZZNS1_27merge_sort_block_merge_implIS3_PlPS5_mZN2at6native12_GLOBAL__N_124unique_dim_cuda_templateIdEESt5tupleIJNSA_6TensorESF_SF_EERKSF_lbbbEUlllE_EE10hipError_tT0_T1_T2_jT3_P12ihipStream_tbPNSt15iterator_traitsISL_E10value_typeEPNSR_ISM_E10value_typeEPSN_NS1_7vsmem_tEENKUlT_SL_SM_SN_E_clIS8_S8_S9_S9_EESK_S10_SL_SM_SN_EUlS10_E_NS1_11comp_targetILNS1_3genE8ELNS1_11target_archE1030ELNS1_3gpuE2ELNS1_3repE0EEENS1_48merge_mergepath_partition_config_static_selectorELNS0_4arch9wavefront6targetE0EEEvSM_
; %bb.0:
	.section	.rodata,"a",@progbits
	.p2align	6, 0x0
	.amdhsa_kernel _ZN7rocprim17ROCPRIM_400000_NS6detail17trampoline_kernelINS0_14default_configENS1_38merge_sort_block_merge_config_selectorIlNS0_10empty_typeEEEZZNS1_27merge_sort_block_merge_implIS3_PlPS5_mZN2at6native12_GLOBAL__N_124unique_dim_cuda_templateIdEESt5tupleIJNSA_6TensorESF_SF_EERKSF_lbbbEUlllE_EE10hipError_tT0_T1_T2_jT3_P12ihipStream_tbPNSt15iterator_traitsISL_E10value_typeEPNSR_ISM_E10value_typeEPSN_NS1_7vsmem_tEENKUlT_SL_SM_SN_E_clIS8_S8_S9_S9_EESK_S10_SL_SM_SN_EUlS10_E_NS1_11comp_targetILNS1_3genE8ELNS1_11target_archE1030ELNS1_3gpuE2ELNS1_3repE0EEENS1_48merge_mergepath_partition_config_static_selectorELNS0_4arch9wavefront6targetE0EEEvSM_
		.amdhsa_group_segment_fixed_size 0
		.amdhsa_private_segment_fixed_size 0
		.amdhsa_kernarg_size 56
		.amdhsa_user_sgpr_count 15
		.amdhsa_user_sgpr_dispatch_ptr 0
		.amdhsa_user_sgpr_queue_ptr 0
		.amdhsa_user_sgpr_kernarg_segment_ptr 1
		.amdhsa_user_sgpr_dispatch_id 0
		.amdhsa_user_sgpr_private_segment_size 0
		.amdhsa_wavefront_size32 1
		.amdhsa_uses_dynamic_stack 0
		.amdhsa_enable_private_segment 0
		.amdhsa_system_sgpr_workgroup_id_x 1
		.amdhsa_system_sgpr_workgroup_id_y 0
		.amdhsa_system_sgpr_workgroup_id_z 0
		.amdhsa_system_sgpr_workgroup_info 0
		.amdhsa_system_vgpr_workitem_id 0
		.amdhsa_next_free_vgpr 1
		.amdhsa_next_free_sgpr 1
		.amdhsa_reserve_vcc 0
		.amdhsa_float_round_mode_32 0
		.amdhsa_float_round_mode_16_64 0
		.amdhsa_float_denorm_mode_32 3
		.amdhsa_float_denorm_mode_16_64 3
		.amdhsa_dx10_clamp 1
		.amdhsa_ieee_mode 1
		.amdhsa_fp16_overflow 0
		.amdhsa_workgroup_processor_mode 1
		.amdhsa_memory_ordered 1
		.amdhsa_forward_progress 0
		.amdhsa_shared_vgpr_count 0
		.amdhsa_exception_fp_ieee_invalid_op 0
		.amdhsa_exception_fp_denorm_src 0
		.amdhsa_exception_fp_ieee_div_zero 0
		.amdhsa_exception_fp_ieee_overflow 0
		.amdhsa_exception_fp_ieee_underflow 0
		.amdhsa_exception_fp_ieee_inexact 0
		.amdhsa_exception_int_div_zero 0
	.end_amdhsa_kernel
	.section	.text._ZN7rocprim17ROCPRIM_400000_NS6detail17trampoline_kernelINS0_14default_configENS1_38merge_sort_block_merge_config_selectorIlNS0_10empty_typeEEEZZNS1_27merge_sort_block_merge_implIS3_PlPS5_mZN2at6native12_GLOBAL__N_124unique_dim_cuda_templateIdEESt5tupleIJNSA_6TensorESF_SF_EERKSF_lbbbEUlllE_EE10hipError_tT0_T1_T2_jT3_P12ihipStream_tbPNSt15iterator_traitsISL_E10value_typeEPNSR_ISM_E10value_typeEPSN_NS1_7vsmem_tEENKUlT_SL_SM_SN_E_clIS8_S8_S9_S9_EESK_S10_SL_SM_SN_EUlS10_E_NS1_11comp_targetILNS1_3genE8ELNS1_11target_archE1030ELNS1_3gpuE2ELNS1_3repE0EEENS1_48merge_mergepath_partition_config_static_selectorELNS0_4arch9wavefront6targetE0EEEvSM_,"axG",@progbits,_ZN7rocprim17ROCPRIM_400000_NS6detail17trampoline_kernelINS0_14default_configENS1_38merge_sort_block_merge_config_selectorIlNS0_10empty_typeEEEZZNS1_27merge_sort_block_merge_implIS3_PlPS5_mZN2at6native12_GLOBAL__N_124unique_dim_cuda_templateIdEESt5tupleIJNSA_6TensorESF_SF_EERKSF_lbbbEUlllE_EE10hipError_tT0_T1_T2_jT3_P12ihipStream_tbPNSt15iterator_traitsISL_E10value_typeEPNSR_ISM_E10value_typeEPSN_NS1_7vsmem_tEENKUlT_SL_SM_SN_E_clIS8_S8_S9_S9_EESK_S10_SL_SM_SN_EUlS10_E_NS1_11comp_targetILNS1_3genE8ELNS1_11target_archE1030ELNS1_3gpuE2ELNS1_3repE0EEENS1_48merge_mergepath_partition_config_static_selectorELNS0_4arch9wavefront6targetE0EEEvSM_,comdat
.Lfunc_end765:
	.size	_ZN7rocprim17ROCPRIM_400000_NS6detail17trampoline_kernelINS0_14default_configENS1_38merge_sort_block_merge_config_selectorIlNS0_10empty_typeEEEZZNS1_27merge_sort_block_merge_implIS3_PlPS5_mZN2at6native12_GLOBAL__N_124unique_dim_cuda_templateIdEESt5tupleIJNSA_6TensorESF_SF_EERKSF_lbbbEUlllE_EE10hipError_tT0_T1_T2_jT3_P12ihipStream_tbPNSt15iterator_traitsISL_E10value_typeEPNSR_ISM_E10value_typeEPSN_NS1_7vsmem_tEENKUlT_SL_SM_SN_E_clIS8_S8_S9_S9_EESK_S10_SL_SM_SN_EUlS10_E_NS1_11comp_targetILNS1_3genE8ELNS1_11target_archE1030ELNS1_3gpuE2ELNS1_3repE0EEENS1_48merge_mergepath_partition_config_static_selectorELNS0_4arch9wavefront6targetE0EEEvSM_, .Lfunc_end765-_ZN7rocprim17ROCPRIM_400000_NS6detail17trampoline_kernelINS0_14default_configENS1_38merge_sort_block_merge_config_selectorIlNS0_10empty_typeEEEZZNS1_27merge_sort_block_merge_implIS3_PlPS5_mZN2at6native12_GLOBAL__N_124unique_dim_cuda_templateIdEESt5tupleIJNSA_6TensorESF_SF_EERKSF_lbbbEUlllE_EE10hipError_tT0_T1_T2_jT3_P12ihipStream_tbPNSt15iterator_traitsISL_E10value_typeEPNSR_ISM_E10value_typeEPSN_NS1_7vsmem_tEENKUlT_SL_SM_SN_E_clIS8_S8_S9_S9_EESK_S10_SL_SM_SN_EUlS10_E_NS1_11comp_targetILNS1_3genE8ELNS1_11target_archE1030ELNS1_3gpuE2ELNS1_3repE0EEENS1_48merge_mergepath_partition_config_static_selectorELNS0_4arch9wavefront6targetE0EEEvSM_
                                        ; -- End function
	.section	.AMDGPU.csdata,"",@progbits
; Kernel info:
; codeLenInByte = 0
; NumSgprs: 0
; NumVgprs: 0
; ScratchSize: 0
; MemoryBound: 0
; FloatMode: 240
; IeeeMode: 1
; LDSByteSize: 0 bytes/workgroup (compile time only)
; SGPRBlocks: 0
; VGPRBlocks: 0
; NumSGPRsForWavesPerEU: 1
; NumVGPRsForWavesPerEU: 1
; Occupancy: 16
; WaveLimiterHint : 0
; COMPUTE_PGM_RSRC2:SCRATCH_EN: 0
; COMPUTE_PGM_RSRC2:USER_SGPR: 15
; COMPUTE_PGM_RSRC2:TRAP_HANDLER: 0
; COMPUTE_PGM_RSRC2:TGID_X_EN: 1
; COMPUTE_PGM_RSRC2:TGID_Y_EN: 0
; COMPUTE_PGM_RSRC2:TGID_Z_EN: 0
; COMPUTE_PGM_RSRC2:TIDIG_COMP_CNT: 0
	.section	.text._ZN7rocprim17ROCPRIM_400000_NS6detail17trampoline_kernelINS0_14default_configENS1_38merge_sort_block_merge_config_selectorIlNS0_10empty_typeEEEZZNS1_27merge_sort_block_merge_implIS3_PlPS5_mZN2at6native12_GLOBAL__N_124unique_dim_cuda_templateIdEESt5tupleIJNSA_6TensorESF_SF_EERKSF_lbbbEUlllE_EE10hipError_tT0_T1_T2_jT3_P12ihipStream_tbPNSt15iterator_traitsISL_E10value_typeEPNSR_ISM_E10value_typeEPSN_NS1_7vsmem_tEENKUlT_SL_SM_SN_E_clIS8_S8_S9_S9_EESK_S10_SL_SM_SN_EUlS10_E0_NS1_11comp_targetILNS1_3genE0ELNS1_11target_archE4294967295ELNS1_3gpuE0ELNS1_3repE0EEENS1_38merge_mergepath_config_static_selectorELNS0_4arch9wavefront6targetE0EEEvSM_,"axG",@progbits,_ZN7rocprim17ROCPRIM_400000_NS6detail17trampoline_kernelINS0_14default_configENS1_38merge_sort_block_merge_config_selectorIlNS0_10empty_typeEEEZZNS1_27merge_sort_block_merge_implIS3_PlPS5_mZN2at6native12_GLOBAL__N_124unique_dim_cuda_templateIdEESt5tupleIJNSA_6TensorESF_SF_EERKSF_lbbbEUlllE_EE10hipError_tT0_T1_T2_jT3_P12ihipStream_tbPNSt15iterator_traitsISL_E10value_typeEPNSR_ISM_E10value_typeEPSN_NS1_7vsmem_tEENKUlT_SL_SM_SN_E_clIS8_S8_S9_S9_EESK_S10_SL_SM_SN_EUlS10_E0_NS1_11comp_targetILNS1_3genE0ELNS1_11target_archE4294967295ELNS1_3gpuE0ELNS1_3repE0EEENS1_38merge_mergepath_config_static_selectorELNS0_4arch9wavefront6targetE0EEEvSM_,comdat
	.globl	_ZN7rocprim17ROCPRIM_400000_NS6detail17trampoline_kernelINS0_14default_configENS1_38merge_sort_block_merge_config_selectorIlNS0_10empty_typeEEEZZNS1_27merge_sort_block_merge_implIS3_PlPS5_mZN2at6native12_GLOBAL__N_124unique_dim_cuda_templateIdEESt5tupleIJNSA_6TensorESF_SF_EERKSF_lbbbEUlllE_EE10hipError_tT0_T1_T2_jT3_P12ihipStream_tbPNSt15iterator_traitsISL_E10value_typeEPNSR_ISM_E10value_typeEPSN_NS1_7vsmem_tEENKUlT_SL_SM_SN_E_clIS8_S8_S9_S9_EESK_S10_SL_SM_SN_EUlS10_E0_NS1_11comp_targetILNS1_3genE0ELNS1_11target_archE4294967295ELNS1_3gpuE0ELNS1_3repE0EEENS1_38merge_mergepath_config_static_selectorELNS0_4arch9wavefront6targetE0EEEvSM_ ; -- Begin function _ZN7rocprim17ROCPRIM_400000_NS6detail17trampoline_kernelINS0_14default_configENS1_38merge_sort_block_merge_config_selectorIlNS0_10empty_typeEEEZZNS1_27merge_sort_block_merge_implIS3_PlPS5_mZN2at6native12_GLOBAL__N_124unique_dim_cuda_templateIdEESt5tupleIJNSA_6TensorESF_SF_EERKSF_lbbbEUlllE_EE10hipError_tT0_T1_T2_jT3_P12ihipStream_tbPNSt15iterator_traitsISL_E10value_typeEPNSR_ISM_E10value_typeEPSN_NS1_7vsmem_tEENKUlT_SL_SM_SN_E_clIS8_S8_S9_S9_EESK_S10_SL_SM_SN_EUlS10_E0_NS1_11comp_targetILNS1_3genE0ELNS1_11target_archE4294967295ELNS1_3gpuE0ELNS1_3repE0EEENS1_38merge_mergepath_config_static_selectorELNS0_4arch9wavefront6targetE0EEEvSM_
	.p2align	8
	.type	_ZN7rocprim17ROCPRIM_400000_NS6detail17trampoline_kernelINS0_14default_configENS1_38merge_sort_block_merge_config_selectorIlNS0_10empty_typeEEEZZNS1_27merge_sort_block_merge_implIS3_PlPS5_mZN2at6native12_GLOBAL__N_124unique_dim_cuda_templateIdEESt5tupleIJNSA_6TensorESF_SF_EERKSF_lbbbEUlllE_EE10hipError_tT0_T1_T2_jT3_P12ihipStream_tbPNSt15iterator_traitsISL_E10value_typeEPNSR_ISM_E10value_typeEPSN_NS1_7vsmem_tEENKUlT_SL_SM_SN_E_clIS8_S8_S9_S9_EESK_S10_SL_SM_SN_EUlS10_E0_NS1_11comp_targetILNS1_3genE0ELNS1_11target_archE4294967295ELNS1_3gpuE0ELNS1_3repE0EEENS1_38merge_mergepath_config_static_selectorELNS0_4arch9wavefront6targetE0EEEvSM_,@function
_ZN7rocprim17ROCPRIM_400000_NS6detail17trampoline_kernelINS0_14default_configENS1_38merge_sort_block_merge_config_selectorIlNS0_10empty_typeEEEZZNS1_27merge_sort_block_merge_implIS3_PlPS5_mZN2at6native12_GLOBAL__N_124unique_dim_cuda_templateIdEESt5tupleIJNSA_6TensorESF_SF_EERKSF_lbbbEUlllE_EE10hipError_tT0_T1_T2_jT3_P12ihipStream_tbPNSt15iterator_traitsISL_E10value_typeEPNSR_ISM_E10value_typeEPSN_NS1_7vsmem_tEENKUlT_SL_SM_SN_E_clIS8_S8_S9_S9_EESK_S10_SL_SM_SN_EUlS10_E0_NS1_11comp_targetILNS1_3genE0ELNS1_11target_archE4294967295ELNS1_3gpuE0ELNS1_3repE0EEENS1_38merge_mergepath_config_static_selectorELNS0_4arch9wavefront6targetE0EEEvSM_: ; @_ZN7rocprim17ROCPRIM_400000_NS6detail17trampoline_kernelINS0_14default_configENS1_38merge_sort_block_merge_config_selectorIlNS0_10empty_typeEEEZZNS1_27merge_sort_block_merge_implIS3_PlPS5_mZN2at6native12_GLOBAL__N_124unique_dim_cuda_templateIdEESt5tupleIJNSA_6TensorESF_SF_EERKSF_lbbbEUlllE_EE10hipError_tT0_T1_T2_jT3_P12ihipStream_tbPNSt15iterator_traitsISL_E10value_typeEPNSR_ISM_E10value_typeEPSN_NS1_7vsmem_tEENKUlT_SL_SM_SN_E_clIS8_S8_S9_S9_EESK_S10_SL_SM_SN_EUlS10_E0_NS1_11comp_targetILNS1_3genE0ELNS1_11target_archE4294967295ELNS1_3gpuE0ELNS1_3repE0EEENS1_38merge_mergepath_config_static_selectorELNS0_4arch9wavefront6targetE0EEEvSM_
; %bb.0:
	.section	.rodata,"a",@progbits
	.p2align	6, 0x0
	.amdhsa_kernel _ZN7rocprim17ROCPRIM_400000_NS6detail17trampoline_kernelINS0_14default_configENS1_38merge_sort_block_merge_config_selectorIlNS0_10empty_typeEEEZZNS1_27merge_sort_block_merge_implIS3_PlPS5_mZN2at6native12_GLOBAL__N_124unique_dim_cuda_templateIdEESt5tupleIJNSA_6TensorESF_SF_EERKSF_lbbbEUlllE_EE10hipError_tT0_T1_T2_jT3_P12ihipStream_tbPNSt15iterator_traitsISL_E10value_typeEPNSR_ISM_E10value_typeEPSN_NS1_7vsmem_tEENKUlT_SL_SM_SN_E_clIS8_S8_S9_S9_EESK_S10_SL_SM_SN_EUlS10_E0_NS1_11comp_targetILNS1_3genE0ELNS1_11target_archE4294967295ELNS1_3gpuE0ELNS1_3repE0EEENS1_38merge_mergepath_config_static_selectorELNS0_4arch9wavefront6targetE0EEEvSM_
		.amdhsa_group_segment_fixed_size 0
		.amdhsa_private_segment_fixed_size 0
		.amdhsa_kernarg_size 88
		.amdhsa_user_sgpr_count 15
		.amdhsa_user_sgpr_dispatch_ptr 0
		.amdhsa_user_sgpr_queue_ptr 0
		.amdhsa_user_sgpr_kernarg_segment_ptr 1
		.amdhsa_user_sgpr_dispatch_id 0
		.amdhsa_user_sgpr_private_segment_size 0
		.amdhsa_wavefront_size32 1
		.amdhsa_uses_dynamic_stack 0
		.amdhsa_enable_private_segment 0
		.amdhsa_system_sgpr_workgroup_id_x 1
		.amdhsa_system_sgpr_workgroup_id_y 0
		.amdhsa_system_sgpr_workgroup_id_z 0
		.amdhsa_system_sgpr_workgroup_info 0
		.amdhsa_system_vgpr_workitem_id 0
		.amdhsa_next_free_vgpr 1
		.amdhsa_next_free_sgpr 1
		.amdhsa_reserve_vcc 0
		.amdhsa_float_round_mode_32 0
		.amdhsa_float_round_mode_16_64 0
		.amdhsa_float_denorm_mode_32 3
		.amdhsa_float_denorm_mode_16_64 3
		.amdhsa_dx10_clamp 1
		.amdhsa_ieee_mode 1
		.amdhsa_fp16_overflow 0
		.amdhsa_workgroup_processor_mode 1
		.amdhsa_memory_ordered 1
		.amdhsa_forward_progress 0
		.amdhsa_shared_vgpr_count 0
		.amdhsa_exception_fp_ieee_invalid_op 0
		.amdhsa_exception_fp_denorm_src 0
		.amdhsa_exception_fp_ieee_div_zero 0
		.amdhsa_exception_fp_ieee_overflow 0
		.amdhsa_exception_fp_ieee_underflow 0
		.amdhsa_exception_fp_ieee_inexact 0
		.amdhsa_exception_int_div_zero 0
	.end_amdhsa_kernel
	.section	.text._ZN7rocprim17ROCPRIM_400000_NS6detail17trampoline_kernelINS0_14default_configENS1_38merge_sort_block_merge_config_selectorIlNS0_10empty_typeEEEZZNS1_27merge_sort_block_merge_implIS3_PlPS5_mZN2at6native12_GLOBAL__N_124unique_dim_cuda_templateIdEESt5tupleIJNSA_6TensorESF_SF_EERKSF_lbbbEUlllE_EE10hipError_tT0_T1_T2_jT3_P12ihipStream_tbPNSt15iterator_traitsISL_E10value_typeEPNSR_ISM_E10value_typeEPSN_NS1_7vsmem_tEENKUlT_SL_SM_SN_E_clIS8_S8_S9_S9_EESK_S10_SL_SM_SN_EUlS10_E0_NS1_11comp_targetILNS1_3genE0ELNS1_11target_archE4294967295ELNS1_3gpuE0ELNS1_3repE0EEENS1_38merge_mergepath_config_static_selectorELNS0_4arch9wavefront6targetE0EEEvSM_,"axG",@progbits,_ZN7rocprim17ROCPRIM_400000_NS6detail17trampoline_kernelINS0_14default_configENS1_38merge_sort_block_merge_config_selectorIlNS0_10empty_typeEEEZZNS1_27merge_sort_block_merge_implIS3_PlPS5_mZN2at6native12_GLOBAL__N_124unique_dim_cuda_templateIdEESt5tupleIJNSA_6TensorESF_SF_EERKSF_lbbbEUlllE_EE10hipError_tT0_T1_T2_jT3_P12ihipStream_tbPNSt15iterator_traitsISL_E10value_typeEPNSR_ISM_E10value_typeEPSN_NS1_7vsmem_tEENKUlT_SL_SM_SN_E_clIS8_S8_S9_S9_EESK_S10_SL_SM_SN_EUlS10_E0_NS1_11comp_targetILNS1_3genE0ELNS1_11target_archE4294967295ELNS1_3gpuE0ELNS1_3repE0EEENS1_38merge_mergepath_config_static_selectorELNS0_4arch9wavefront6targetE0EEEvSM_,comdat
.Lfunc_end766:
	.size	_ZN7rocprim17ROCPRIM_400000_NS6detail17trampoline_kernelINS0_14default_configENS1_38merge_sort_block_merge_config_selectorIlNS0_10empty_typeEEEZZNS1_27merge_sort_block_merge_implIS3_PlPS5_mZN2at6native12_GLOBAL__N_124unique_dim_cuda_templateIdEESt5tupleIJNSA_6TensorESF_SF_EERKSF_lbbbEUlllE_EE10hipError_tT0_T1_T2_jT3_P12ihipStream_tbPNSt15iterator_traitsISL_E10value_typeEPNSR_ISM_E10value_typeEPSN_NS1_7vsmem_tEENKUlT_SL_SM_SN_E_clIS8_S8_S9_S9_EESK_S10_SL_SM_SN_EUlS10_E0_NS1_11comp_targetILNS1_3genE0ELNS1_11target_archE4294967295ELNS1_3gpuE0ELNS1_3repE0EEENS1_38merge_mergepath_config_static_selectorELNS0_4arch9wavefront6targetE0EEEvSM_, .Lfunc_end766-_ZN7rocprim17ROCPRIM_400000_NS6detail17trampoline_kernelINS0_14default_configENS1_38merge_sort_block_merge_config_selectorIlNS0_10empty_typeEEEZZNS1_27merge_sort_block_merge_implIS3_PlPS5_mZN2at6native12_GLOBAL__N_124unique_dim_cuda_templateIdEESt5tupleIJNSA_6TensorESF_SF_EERKSF_lbbbEUlllE_EE10hipError_tT0_T1_T2_jT3_P12ihipStream_tbPNSt15iterator_traitsISL_E10value_typeEPNSR_ISM_E10value_typeEPSN_NS1_7vsmem_tEENKUlT_SL_SM_SN_E_clIS8_S8_S9_S9_EESK_S10_SL_SM_SN_EUlS10_E0_NS1_11comp_targetILNS1_3genE0ELNS1_11target_archE4294967295ELNS1_3gpuE0ELNS1_3repE0EEENS1_38merge_mergepath_config_static_selectorELNS0_4arch9wavefront6targetE0EEEvSM_
                                        ; -- End function
	.section	.AMDGPU.csdata,"",@progbits
; Kernel info:
; codeLenInByte = 0
; NumSgprs: 0
; NumVgprs: 0
; ScratchSize: 0
; MemoryBound: 0
; FloatMode: 240
; IeeeMode: 1
; LDSByteSize: 0 bytes/workgroup (compile time only)
; SGPRBlocks: 0
; VGPRBlocks: 0
; NumSGPRsForWavesPerEU: 1
; NumVGPRsForWavesPerEU: 1
; Occupancy: 16
; WaveLimiterHint : 0
; COMPUTE_PGM_RSRC2:SCRATCH_EN: 0
; COMPUTE_PGM_RSRC2:USER_SGPR: 15
; COMPUTE_PGM_RSRC2:TRAP_HANDLER: 0
; COMPUTE_PGM_RSRC2:TGID_X_EN: 1
; COMPUTE_PGM_RSRC2:TGID_Y_EN: 0
; COMPUTE_PGM_RSRC2:TGID_Z_EN: 0
; COMPUTE_PGM_RSRC2:TIDIG_COMP_CNT: 0
	.section	.text._ZN7rocprim17ROCPRIM_400000_NS6detail17trampoline_kernelINS0_14default_configENS1_38merge_sort_block_merge_config_selectorIlNS0_10empty_typeEEEZZNS1_27merge_sort_block_merge_implIS3_PlPS5_mZN2at6native12_GLOBAL__N_124unique_dim_cuda_templateIdEESt5tupleIJNSA_6TensorESF_SF_EERKSF_lbbbEUlllE_EE10hipError_tT0_T1_T2_jT3_P12ihipStream_tbPNSt15iterator_traitsISL_E10value_typeEPNSR_ISM_E10value_typeEPSN_NS1_7vsmem_tEENKUlT_SL_SM_SN_E_clIS8_S8_S9_S9_EESK_S10_SL_SM_SN_EUlS10_E0_NS1_11comp_targetILNS1_3genE10ELNS1_11target_archE1201ELNS1_3gpuE5ELNS1_3repE0EEENS1_38merge_mergepath_config_static_selectorELNS0_4arch9wavefront6targetE0EEEvSM_,"axG",@progbits,_ZN7rocprim17ROCPRIM_400000_NS6detail17trampoline_kernelINS0_14default_configENS1_38merge_sort_block_merge_config_selectorIlNS0_10empty_typeEEEZZNS1_27merge_sort_block_merge_implIS3_PlPS5_mZN2at6native12_GLOBAL__N_124unique_dim_cuda_templateIdEESt5tupleIJNSA_6TensorESF_SF_EERKSF_lbbbEUlllE_EE10hipError_tT0_T1_T2_jT3_P12ihipStream_tbPNSt15iterator_traitsISL_E10value_typeEPNSR_ISM_E10value_typeEPSN_NS1_7vsmem_tEENKUlT_SL_SM_SN_E_clIS8_S8_S9_S9_EESK_S10_SL_SM_SN_EUlS10_E0_NS1_11comp_targetILNS1_3genE10ELNS1_11target_archE1201ELNS1_3gpuE5ELNS1_3repE0EEENS1_38merge_mergepath_config_static_selectorELNS0_4arch9wavefront6targetE0EEEvSM_,comdat
	.globl	_ZN7rocprim17ROCPRIM_400000_NS6detail17trampoline_kernelINS0_14default_configENS1_38merge_sort_block_merge_config_selectorIlNS0_10empty_typeEEEZZNS1_27merge_sort_block_merge_implIS3_PlPS5_mZN2at6native12_GLOBAL__N_124unique_dim_cuda_templateIdEESt5tupleIJNSA_6TensorESF_SF_EERKSF_lbbbEUlllE_EE10hipError_tT0_T1_T2_jT3_P12ihipStream_tbPNSt15iterator_traitsISL_E10value_typeEPNSR_ISM_E10value_typeEPSN_NS1_7vsmem_tEENKUlT_SL_SM_SN_E_clIS8_S8_S9_S9_EESK_S10_SL_SM_SN_EUlS10_E0_NS1_11comp_targetILNS1_3genE10ELNS1_11target_archE1201ELNS1_3gpuE5ELNS1_3repE0EEENS1_38merge_mergepath_config_static_selectorELNS0_4arch9wavefront6targetE0EEEvSM_ ; -- Begin function _ZN7rocprim17ROCPRIM_400000_NS6detail17trampoline_kernelINS0_14default_configENS1_38merge_sort_block_merge_config_selectorIlNS0_10empty_typeEEEZZNS1_27merge_sort_block_merge_implIS3_PlPS5_mZN2at6native12_GLOBAL__N_124unique_dim_cuda_templateIdEESt5tupleIJNSA_6TensorESF_SF_EERKSF_lbbbEUlllE_EE10hipError_tT0_T1_T2_jT3_P12ihipStream_tbPNSt15iterator_traitsISL_E10value_typeEPNSR_ISM_E10value_typeEPSN_NS1_7vsmem_tEENKUlT_SL_SM_SN_E_clIS8_S8_S9_S9_EESK_S10_SL_SM_SN_EUlS10_E0_NS1_11comp_targetILNS1_3genE10ELNS1_11target_archE1201ELNS1_3gpuE5ELNS1_3repE0EEENS1_38merge_mergepath_config_static_selectorELNS0_4arch9wavefront6targetE0EEEvSM_
	.p2align	8
	.type	_ZN7rocprim17ROCPRIM_400000_NS6detail17trampoline_kernelINS0_14default_configENS1_38merge_sort_block_merge_config_selectorIlNS0_10empty_typeEEEZZNS1_27merge_sort_block_merge_implIS3_PlPS5_mZN2at6native12_GLOBAL__N_124unique_dim_cuda_templateIdEESt5tupleIJNSA_6TensorESF_SF_EERKSF_lbbbEUlllE_EE10hipError_tT0_T1_T2_jT3_P12ihipStream_tbPNSt15iterator_traitsISL_E10value_typeEPNSR_ISM_E10value_typeEPSN_NS1_7vsmem_tEENKUlT_SL_SM_SN_E_clIS8_S8_S9_S9_EESK_S10_SL_SM_SN_EUlS10_E0_NS1_11comp_targetILNS1_3genE10ELNS1_11target_archE1201ELNS1_3gpuE5ELNS1_3repE0EEENS1_38merge_mergepath_config_static_selectorELNS0_4arch9wavefront6targetE0EEEvSM_,@function
_ZN7rocprim17ROCPRIM_400000_NS6detail17trampoline_kernelINS0_14default_configENS1_38merge_sort_block_merge_config_selectorIlNS0_10empty_typeEEEZZNS1_27merge_sort_block_merge_implIS3_PlPS5_mZN2at6native12_GLOBAL__N_124unique_dim_cuda_templateIdEESt5tupleIJNSA_6TensorESF_SF_EERKSF_lbbbEUlllE_EE10hipError_tT0_T1_T2_jT3_P12ihipStream_tbPNSt15iterator_traitsISL_E10value_typeEPNSR_ISM_E10value_typeEPSN_NS1_7vsmem_tEENKUlT_SL_SM_SN_E_clIS8_S8_S9_S9_EESK_S10_SL_SM_SN_EUlS10_E0_NS1_11comp_targetILNS1_3genE10ELNS1_11target_archE1201ELNS1_3gpuE5ELNS1_3repE0EEENS1_38merge_mergepath_config_static_selectorELNS0_4arch9wavefront6targetE0EEEvSM_: ; @_ZN7rocprim17ROCPRIM_400000_NS6detail17trampoline_kernelINS0_14default_configENS1_38merge_sort_block_merge_config_selectorIlNS0_10empty_typeEEEZZNS1_27merge_sort_block_merge_implIS3_PlPS5_mZN2at6native12_GLOBAL__N_124unique_dim_cuda_templateIdEESt5tupleIJNSA_6TensorESF_SF_EERKSF_lbbbEUlllE_EE10hipError_tT0_T1_T2_jT3_P12ihipStream_tbPNSt15iterator_traitsISL_E10value_typeEPNSR_ISM_E10value_typeEPSN_NS1_7vsmem_tEENKUlT_SL_SM_SN_E_clIS8_S8_S9_S9_EESK_S10_SL_SM_SN_EUlS10_E0_NS1_11comp_targetILNS1_3genE10ELNS1_11target_archE1201ELNS1_3gpuE5ELNS1_3repE0EEENS1_38merge_mergepath_config_static_selectorELNS0_4arch9wavefront6targetE0EEEvSM_
; %bb.0:
	.section	.rodata,"a",@progbits
	.p2align	6, 0x0
	.amdhsa_kernel _ZN7rocprim17ROCPRIM_400000_NS6detail17trampoline_kernelINS0_14default_configENS1_38merge_sort_block_merge_config_selectorIlNS0_10empty_typeEEEZZNS1_27merge_sort_block_merge_implIS3_PlPS5_mZN2at6native12_GLOBAL__N_124unique_dim_cuda_templateIdEESt5tupleIJNSA_6TensorESF_SF_EERKSF_lbbbEUlllE_EE10hipError_tT0_T1_T2_jT3_P12ihipStream_tbPNSt15iterator_traitsISL_E10value_typeEPNSR_ISM_E10value_typeEPSN_NS1_7vsmem_tEENKUlT_SL_SM_SN_E_clIS8_S8_S9_S9_EESK_S10_SL_SM_SN_EUlS10_E0_NS1_11comp_targetILNS1_3genE10ELNS1_11target_archE1201ELNS1_3gpuE5ELNS1_3repE0EEENS1_38merge_mergepath_config_static_selectorELNS0_4arch9wavefront6targetE0EEEvSM_
		.amdhsa_group_segment_fixed_size 0
		.amdhsa_private_segment_fixed_size 0
		.amdhsa_kernarg_size 88
		.amdhsa_user_sgpr_count 15
		.amdhsa_user_sgpr_dispatch_ptr 0
		.amdhsa_user_sgpr_queue_ptr 0
		.amdhsa_user_sgpr_kernarg_segment_ptr 1
		.amdhsa_user_sgpr_dispatch_id 0
		.amdhsa_user_sgpr_private_segment_size 0
		.amdhsa_wavefront_size32 1
		.amdhsa_uses_dynamic_stack 0
		.amdhsa_enable_private_segment 0
		.amdhsa_system_sgpr_workgroup_id_x 1
		.amdhsa_system_sgpr_workgroup_id_y 0
		.amdhsa_system_sgpr_workgroup_id_z 0
		.amdhsa_system_sgpr_workgroup_info 0
		.amdhsa_system_vgpr_workitem_id 0
		.amdhsa_next_free_vgpr 1
		.amdhsa_next_free_sgpr 1
		.amdhsa_reserve_vcc 0
		.amdhsa_float_round_mode_32 0
		.amdhsa_float_round_mode_16_64 0
		.amdhsa_float_denorm_mode_32 3
		.amdhsa_float_denorm_mode_16_64 3
		.amdhsa_dx10_clamp 1
		.amdhsa_ieee_mode 1
		.amdhsa_fp16_overflow 0
		.amdhsa_workgroup_processor_mode 1
		.amdhsa_memory_ordered 1
		.amdhsa_forward_progress 0
		.amdhsa_shared_vgpr_count 0
		.amdhsa_exception_fp_ieee_invalid_op 0
		.amdhsa_exception_fp_denorm_src 0
		.amdhsa_exception_fp_ieee_div_zero 0
		.amdhsa_exception_fp_ieee_overflow 0
		.amdhsa_exception_fp_ieee_underflow 0
		.amdhsa_exception_fp_ieee_inexact 0
		.amdhsa_exception_int_div_zero 0
	.end_amdhsa_kernel
	.section	.text._ZN7rocprim17ROCPRIM_400000_NS6detail17trampoline_kernelINS0_14default_configENS1_38merge_sort_block_merge_config_selectorIlNS0_10empty_typeEEEZZNS1_27merge_sort_block_merge_implIS3_PlPS5_mZN2at6native12_GLOBAL__N_124unique_dim_cuda_templateIdEESt5tupleIJNSA_6TensorESF_SF_EERKSF_lbbbEUlllE_EE10hipError_tT0_T1_T2_jT3_P12ihipStream_tbPNSt15iterator_traitsISL_E10value_typeEPNSR_ISM_E10value_typeEPSN_NS1_7vsmem_tEENKUlT_SL_SM_SN_E_clIS8_S8_S9_S9_EESK_S10_SL_SM_SN_EUlS10_E0_NS1_11comp_targetILNS1_3genE10ELNS1_11target_archE1201ELNS1_3gpuE5ELNS1_3repE0EEENS1_38merge_mergepath_config_static_selectorELNS0_4arch9wavefront6targetE0EEEvSM_,"axG",@progbits,_ZN7rocprim17ROCPRIM_400000_NS6detail17trampoline_kernelINS0_14default_configENS1_38merge_sort_block_merge_config_selectorIlNS0_10empty_typeEEEZZNS1_27merge_sort_block_merge_implIS3_PlPS5_mZN2at6native12_GLOBAL__N_124unique_dim_cuda_templateIdEESt5tupleIJNSA_6TensorESF_SF_EERKSF_lbbbEUlllE_EE10hipError_tT0_T1_T2_jT3_P12ihipStream_tbPNSt15iterator_traitsISL_E10value_typeEPNSR_ISM_E10value_typeEPSN_NS1_7vsmem_tEENKUlT_SL_SM_SN_E_clIS8_S8_S9_S9_EESK_S10_SL_SM_SN_EUlS10_E0_NS1_11comp_targetILNS1_3genE10ELNS1_11target_archE1201ELNS1_3gpuE5ELNS1_3repE0EEENS1_38merge_mergepath_config_static_selectorELNS0_4arch9wavefront6targetE0EEEvSM_,comdat
.Lfunc_end767:
	.size	_ZN7rocprim17ROCPRIM_400000_NS6detail17trampoline_kernelINS0_14default_configENS1_38merge_sort_block_merge_config_selectorIlNS0_10empty_typeEEEZZNS1_27merge_sort_block_merge_implIS3_PlPS5_mZN2at6native12_GLOBAL__N_124unique_dim_cuda_templateIdEESt5tupleIJNSA_6TensorESF_SF_EERKSF_lbbbEUlllE_EE10hipError_tT0_T1_T2_jT3_P12ihipStream_tbPNSt15iterator_traitsISL_E10value_typeEPNSR_ISM_E10value_typeEPSN_NS1_7vsmem_tEENKUlT_SL_SM_SN_E_clIS8_S8_S9_S9_EESK_S10_SL_SM_SN_EUlS10_E0_NS1_11comp_targetILNS1_3genE10ELNS1_11target_archE1201ELNS1_3gpuE5ELNS1_3repE0EEENS1_38merge_mergepath_config_static_selectorELNS0_4arch9wavefront6targetE0EEEvSM_, .Lfunc_end767-_ZN7rocprim17ROCPRIM_400000_NS6detail17trampoline_kernelINS0_14default_configENS1_38merge_sort_block_merge_config_selectorIlNS0_10empty_typeEEEZZNS1_27merge_sort_block_merge_implIS3_PlPS5_mZN2at6native12_GLOBAL__N_124unique_dim_cuda_templateIdEESt5tupleIJNSA_6TensorESF_SF_EERKSF_lbbbEUlllE_EE10hipError_tT0_T1_T2_jT3_P12ihipStream_tbPNSt15iterator_traitsISL_E10value_typeEPNSR_ISM_E10value_typeEPSN_NS1_7vsmem_tEENKUlT_SL_SM_SN_E_clIS8_S8_S9_S9_EESK_S10_SL_SM_SN_EUlS10_E0_NS1_11comp_targetILNS1_3genE10ELNS1_11target_archE1201ELNS1_3gpuE5ELNS1_3repE0EEENS1_38merge_mergepath_config_static_selectorELNS0_4arch9wavefront6targetE0EEEvSM_
                                        ; -- End function
	.section	.AMDGPU.csdata,"",@progbits
; Kernel info:
; codeLenInByte = 0
; NumSgprs: 0
; NumVgprs: 0
; ScratchSize: 0
; MemoryBound: 0
; FloatMode: 240
; IeeeMode: 1
; LDSByteSize: 0 bytes/workgroup (compile time only)
; SGPRBlocks: 0
; VGPRBlocks: 0
; NumSGPRsForWavesPerEU: 1
; NumVGPRsForWavesPerEU: 1
; Occupancy: 16
; WaveLimiterHint : 0
; COMPUTE_PGM_RSRC2:SCRATCH_EN: 0
; COMPUTE_PGM_RSRC2:USER_SGPR: 15
; COMPUTE_PGM_RSRC2:TRAP_HANDLER: 0
; COMPUTE_PGM_RSRC2:TGID_X_EN: 1
; COMPUTE_PGM_RSRC2:TGID_Y_EN: 0
; COMPUTE_PGM_RSRC2:TGID_Z_EN: 0
; COMPUTE_PGM_RSRC2:TIDIG_COMP_CNT: 0
	.section	.text._ZN7rocprim17ROCPRIM_400000_NS6detail17trampoline_kernelINS0_14default_configENS1_38merge_sort_block_merge_config_selectorIlNS0_10empty_typeEEEZZNS1_27merge_sort_block_merge_implIS3_PlPS5_mZN2at6native12_GLOBAL__N_124unique_dim_cuda_templateIdEESt5tupleIJNSA_6TensorESF_SF_EERKSF_lbbbEUlllE_EE10hipError_tT0_T1_T2_jT3_P12ihipStream_tbPNSt15iterator_traitsISL_E10value_typeEPNSR_ISM_E10value_typeEPSN_NS1_7vsmem_tEENKUlT_SL_SM_SN_E_clIS8_S8_S9_S9_EESK_S10_SL_SM_SN_EUlS10_E0_NS1_11comp_targetILNS1_3genE5ELNS1_11target_archE942ELNS1_3gpuE9ELNS1_3repE0EEENS1_38merge_mergepath_config_static_selectorELNS0_4arch9wavefront6targetE0EEEvSM_,"axG",@progbits,_ZN7rocprim17ROCPRIM_400000_NS6detail17trampoline_kernelINS0_14default_configENS1_38merge_sort_block_merge_config_selectorIlNS0_10empty_typeEEEZZNS1_27merge_sort_block_merge_implIS3_PlPS5_mZN2at6native12_GLOBAL__N_124unique_dim_cuda_templateIdEESt5tupleIJNSA_6TensorESF_SF_EERKSF_lbbbEUlllE_EE10hipError_tT0_T1_T2_jT3_P12ihipStream_tbPNSt15iterator_traitsISL_E10value_typeEPNSR_ISM_E10value_typeEPSN_NS1_7vsmem_tEENKUlT_SL_SM_SN_E_clIS8_S8_S9_S9_EESK_S10_SL_SM_SN_EUlS10_E0_NS1_11comp_targetILNS1_3genE5ELNS1_11target_archE942ELNS1_3gpuE9ELNS1_3repE0EEENS1_38merge_mergepath_config_static_selectorELNS0_4arch9wavefront6targetE0EEEvSM_,comdat
	.globl	_ZN7rocprim17ROCPRIM_400000_NS6detail17trampoline_kernelINS0_14default_configENS1_38merge_sort_block_merge_config_selectorIlNS0_10empty_typeEEEZZNS1_27merge_sort_block_merge_implIS3_PlPS5_mZN2at6native12_GLOBAL__N_124unique_dim_cuda_templateIdEESt5tupleIJNSA_6TensorESF_SF_EERKSF_lbbbEUlllE_EE10hipError_tT0_T1_T2_jT3_P12ihipStream_tbPNSt15iterator_traitsISL_E10value_typeEPNSR_ISM_E10value_typeEPSN_NS1_7vsmem_tEENKUlT_SL_SM_SN_E_clIS8_S8_S9_S9_EESK_S10_SL_SM_SN_EUlS10_E0_NS1_11comp_targetILNS1_3genE5ELNS1_11target_archE942ELNS1_3gpuE9ELNS1_3repE0EEENS1_38merge_mergepath_config_static_selectorELNS0_4arch9wavefront6targetE0EEEvSM_ ; -- Begin function _ZN7rocprim17ROCPRIM_400000_NS6detail17trampoline_kernelINS0_14default_configENS1_38merge_sort_block_merge_config_selectorIlNS0_10empty_typeEEEZZNS1_27merge_sort_block_merge_implIS3_PlPS5_mZN2at6native12_GLOBAL__N_124unique_dim_cuda_templateIdEESt5tupleIJNSA_6TensorESF_SF_EERKSF_lbbbEUlllE_EE10hipError_tT0_T1_T2_jT3_P12ihipStream_tbPNSt15iterator_traitsISL_E10value_typeEPNSR_ISM_E10value_typeEPSN_NS1_7vsmem_tEENKUlT_SL_SM_SN_E_clIS8_S8_S9_S9_EESK_S10_SL_SM_SN_EUlS10_E0_NS1_11comp_targetILNS1_3genE5ELNS1_11target_archE942ELNS1_3gpuE9ELNS1_3repE0EEENS1_38merge_mergepath_config_static_selectorELNS0_4arch9wavefront6targetE0EEEvSM_
	.p2align	8
	.type	_ZN7rocprim17ROCPRIM_400000_NS6detail17trampoline_kernelINS0_14default_configENS1_38merge_sort_block_merge_config_selectorIlNS0_10empty_typeEEEZZNS1_27merge_sort_block_merge_implIS3_PlPS5_mZN2at6native12_GLOBAL__N_124unique_dim_cuda_templateIdEESt5tupleIJNSA_6TensorESF_SF_EERKSF_lbbbEUlllE_EE10hipError_tT0_T1_T2_jT3_P12ihipStream_tbPNSt15iterator_traitsISL_E10value_typeEPNSR_ISM_E10value_typeEPSN_NS1_7vsmem_tEENKUlT_SL_SM_SN_E_clIS8_S8_S9_S9_EESK_S10_SL_SM_SN_EUlS10_E0_NS1_11comp_targetILNS1_3genE5ELNS1_11target_archE942ELNS1_3gpuE9ELNS1_3repE0EEENS1_38merge_mergepath_config_static_selectorELNS0_4arch9wavefront6targetE0EEEvSM_,@function
_ZN7rocprim17ROCPRIM_400000_NS6detail17trampoline_kernelINS0_14default_configENS1_38merge_sort_block_merge_config_selectorIlNS0_10empty_typeEEEZZNS1_27merge_sort_block_merge_implIS3_PlPS5_mZN2at6native12_GLOBAL__N_124unique_dim_cuda_templateIdEESt5tupleIJNSA_6TensorESF_SF_EERKSF_lbbbEUlllE_EE10hipError_tT0_T1_T2_jT3_P12ihipStream_tbPNSt15iterator_traitsISL_E10value_typeEPNSR_ISM_E10value_typeEPSN_NS1_7vsmem_tEENKUlT_SL_SM_SN_E_clIS8_S8_S9_S9_EESK_S10_SL_SM_SN_EUlS10_E0_NS1_11comp_targetILNS1_3genE5ELNS1_11target_archE942ELNS1_3gpuE9ELNS1_3repE0EEENS1_38merge_mergepath_config_static_selectorELNS0_4arch9wavefront6targetE0EEEvSM_: ; @_ZN7rocprim17ROCPRIM_400000_NS6detail17trampoline_kernelINS0_14default_configENS1_38merge_sort_block_merge_config_selectorIlNS0_10empty_typeEEEZZNS1_27merge_sort_block_merge_implIS3_PlPS5_mZN2at6native12_GLOBAL__N_124unique_dim_cuda_templateIdEESt5tupleIJNSA_6TensorESF_SF_EERKSF_lbbbEUlllE_EE10hipError_tT0_T1_T2_jT3_P12ihipStream_tbPNSt15iterator_traitsISL_E10value_typeEPNSR_ISM_E10value_typeEPSN_NS1_7vsmem_tEENKUlT_SL_SM_SN_E_clIS8_S8_S9_S9_EESK_S10_SL_SM_SN_EUlS10_E0_NS1_11comp_targetILNS1_3genE5ELNS1_11target_archE942ELNS1_3gpuE9ELNS1_3repE0EEENS1_38merge_mergepath_config_static_selectorELNS0_4arch9wavefront6targetE0EEEvSM_
; %bb.0:
	.section	.rodata,"a",@progbits
	.p2align	6, 0x0
	.amdhsa_kernel _ZN7rocprim17ROCPRIM_400000_NS6detail17trampoline_kernelINS0_14default_configENS1_38merge_sort_block_merge_config_selectorIlNS0_10empty_typeEEEZZNS1_27merge_sort_block_merge_implIS3_PlPS5_mZN2at6native12_GLOBAL__N_124unique_dim_cuda_templateIdEESt5tupleIJNSA_6TensorESF_SF_EERKSF_lbbbEUlllE_EE10hipError_tT0_T1_T2_jT3_P12ihipStream_tbPNSt15iterator_traitsISL_E10value_typeEPNSR_ISM_E10value_typeEPSN_NS1_7vsmem_tEENKUlT_SL_SM_SN_E_clIS8_S8_S9_S9_EESK_S10_SL_SM_SN_EUlS10_E0_NS1_11comp_targetILNS1_3genE5ELNS1_11target_archE942ELNS1_3gpuE9ELNS1_3repE0EEENS1_38merge_mergepath_config_static_selectorELNS0_4arch9wavefront6targetE0EEEvSM_
		.amdhsa_group_segment_fixed_size 0
		.amdhsa_private_segment_fixed_size 0
		.amdhsa_kernarg_size 88
		.amdhsa_user_sgpr_count 15
		.amdhsa_user_sgpr_dispatch_ptr 0
		.amdhsa_user_sgpr_queue_ptr 0
		.amdhsa_user_sgpr_kernarg_segment_ptr 1
		.amdhsa_user_sgpr_dispatch_id 0
		.amdhsa_user_sgpr_private_segment_size 0
		.amdhsa_wavefront_size32 1
		.amdhsa_uses_dynamic_stack 0
		.amdhsa_enable_private_segment 0
		.amdhsa_system_sgpr_workgroup_id_x 1
		.amdhsa_system_sgpr_workgroup_id_y 0
		.amdhsa_system_sgpr_workgroup_id_z 0
		.amdhsa_system_sgpr_workgroup_info 0
		.amdhsa_system_vgpr_workitem_id 0
		.amdhsa_next_free_vgpr 1
		.amdhsa_next_free_sgpr 1
		.amdhsa_reserve_vcc 0
		.amdhsa_float_round_mode_32 0
		.amdhsa_float_round_mode_16_64 0
		.amdhsa_float_denorm_mode_32 3
		.amdhsa_float_denorm_mode_16_64 3
		.amdhsa_dx10_clamp 1
		.amdhsa_ieee_mode 1
		.amdhsa_fp16_overflow 0
		.amdhsa_workgroup_processor_mode 1
		.amdhsa_memory_ordered 1
		.amdhsa_forward_progress 0
		.amdhsa_shared_vgpr_count 0
		.amdhsa_exception_fp_ieee_invalid_op 0
		.amdhsa_exception_fp_denorm_src 0
		.amdhsa_exception_fp_ieee_div_zero 0
		.amdhsa_exception_fp_ieee_overflow 0
		.amdhsa_exception_fp_ieee_underflow 0
		.amdhsa_exception_fp_ieee_inexact 0
		.amdhsa_exception_int_div_zero 0
	.end_amdhsa_kernel
	.section	.text._ZN7rocprim17ROCPRIM_400000_NS6detail17trampoline_kernelINS0_14default_configENS1_38merge_sort_block_merge_config_selectorIlNS0_10empty_typeEEEZZNS1_27merge_sort_block_merge_implIS3_PlPS5_mZN2at6native12_GLOBAL__N_124unique_dim_cuda_templateIdEESt5tupleIJNSA_6TensorESF_SF_EERKSF_lbbbEUlllE_EE10hipError_tT0_T1_T2_jT3_P12ihipStream_tbPNSt15iterator_traitsISL_E10value_typeEPNSR_ISM_E10value_typeEPSN_NS1_7vsmem_tEENKUlT_SL_SM_SN_E_clIS8_S8_S9_S9_EESK_S10_SL_SM_SN_EUlS10_E0_NS1_11comp_targetILNS1_3genE5ELNS1_11target_archE942ELNS1_3gpuE9ELNS1_3repE0EEENS1_38merge_mergepath_config_static_selectorELNS0_4arch9wavefront6targetE0EEEvSM_,"axG",@progbits,_ZN7rocprim17ROCPRIM_400000_NS6detail17trampoline_kernelINS0_14default_configENS1_38merge_sort_block_merge_config_selectorIlNS0_10empty_typeEEEZZNS1_27merge_sort_block_merge_implIS3_PlPS5_mZN2at6native12_GLOBAL__N_124unique_dim_cuda_templateIdEESt5tupleIJNSA_6TensorESF_SF_EERKSF_lbbbEUlllE_EE10hipError_tT0_T1_T2_jT3_P12ihipStream_tbPNSt15iterator_traitsISL_E10value_typeEPNSR_ISM_E10value_typeEPSN_NS1_7vsmem_tEENKUlT_SL_SM_SN_E_clIS8_S8_S9_S9_EESK_S10_SL_SM_SN_EUlS10_E0_NS1_11comp_targetILNS1_3genE5ELNS1_11target_archE942ELNS1_3gpuE9ELNS1_3repE0EEENS1_38merge_mergepath_config_static_selectorELNS0_4arch9wavefront6targetE0EEEvSM_,comdat
.Lfunc_end768:
	.size	_ZN7rocprim17ROCPRIM_400000_NS6detail17trampoline_kernelINS0_14default_configENS1_38merge_sort_block_merge_config_selectorIlNS0_10empty_typeEEEZZNS1_27merge_sort_block_merge_implIS3_PlPS5_mZN2at6native12_GLOBAL__N_124unique_dim_cuda_templateIdEESt5tupleIJNSA_6TensorESF_SF_EERKSF_lbbbEUlllE_EE10hipError_tT0_T1_T2_jT3_P12ihipStream_tbPNSt15iterator_traitsISL_E10value_typeEPNSR_ISM_E10value_typeEPSN_NS1_7vsmem_tEENKUlT_SL_SM_SN_E_clIS8_S8_S9_S9_EESK_S10_SL_SM_SN_EUlS10_E0_NS1_11comp_targetILNS1_3genE5ELNS1_11target_archE942ELNS1_3gpuE9ELNS1_3repE0EEENS1_38merge_mergepath_config_static_selectorELNS0_4arch9wavefront6targetE0EEEvSM_, .Lfunc_end768-_ZN7rocprim17ROCPRIM_400000_NS6detail17trampoline_kernelINS0_14default_configENS1_38merge_sort_block_merge_config_selectorIlNS0_10empty_typeEEEZZNS1_27merge_sort_block_merge_implIS3_PlPS5_mZN2at6native12_GLOBAL__N_124unique_dim_cuda_templateIdEESt5tupleIJNSA_6TensorESF_SF_EERKSF_lbbbEUlllE_EE10hipError_tT0_T1_T2_jT3_P12ihipStream_tbPNSt15iterator_traitsISL_E10value_typeEPNSR_ISM_E10value_typeEPSN_NS1_7vsmem_tEENKUlT_SL_SM_SN_E_clIS8_S8_S9_S9_EESK_S10_SL_SM_SN_EUlS10_E0_NS1_11comp_targetILNS1_3genE5ELNS1_11target_archE942ELNS1_3gpuE9ELNS1_3repE0EEENS1_38merge_mergepath_config_static_selectorELNS0_4arch9wavefront6targetE0EEEvSM_
                                        ; -- End function
	.section	.AMDGPU.csdata,"",@progbits
; Kernel info:
; codeLenInByte = 0
; NumSgprs: 0
; NumVgprs: 0
; ScratchSize: 0
; MemoryBound: 0
; FloatMode: 240
; IeeeMode: 1
; LDSByteSize: 0 bytes/workgroup (compile time only)
; SGPRBlocks: 0
; VGPRBlocks: 0
; NumSGPRsForWavesPerEU: 1
; NumVGPRsForWavesPerEU: 1
; Occupancy: 16
; WaveLimiterHint : 0
; COMPUTE_PGM_RSRC2:SCRATCH_EN: 0
; COMPUTE_PGM_RSRC2:USER_SGPR: 15
; COMPUTE_PGM_RSRC2:TRAP_HANDLER: 0
; COMPUTE_PGM_RSRC2:TGID_X_EN: 1
; COMPUTE_PGM_RSRC2:TGID_Y_EN: 0
; COMPUTE_PGM_RSRC2:TGID_Z_EN: 0
; COMPUTE_PGM_RSRC2:TIDIG_COMP_CNT: 0
	.section	.text._ZN7rocprim17ROCPRIM_400000_NS6detail17trampoline_kernelINS0_14default_configENS1_38merge_sort_block_merge_config_selectorIlNS0_10empty_typeEEEZZNS1_27merge_sort_block_merge_implIS3_PlPS5_mZN2at6native12_GLOBAL__N_124unique_dim_cuda_templateIdEESt5tupleIJNSA_6TensorESF_SF_EERKSF_lbbbEUlllE_EE10hipError_tT0_T1_T2_jT3_P12ihipStream_tbPNSt15iterator_traitsISL_E10value_typeEPNSR_ISM_E10value_typeEPSN_NS1_7vsmem_tEENKUlT_SL_SM_SN_E_clIS8_S8_S9_S9_EESK_S10_SL_SM_SN_EUlS10_E0_NS1_11comp_targetILNS1_3genE4ELNS1_11target_archE910ELNS1_3gpuE8ELNS1_3repE0EEENS1_38merge_mergepath_config_static_selectorELNS0_4arch9wavefront6targetE0EEEvSM_,"axG",@progbits,_ZN7rocprim17ROCPRIM_400000_NS6detail17trampoline_kernelINS0_14default_configENS1_38merge_sort_block_merge_config_selectorIlNS0_10empty_typeEEEZZNS1_27merge_sort_block_merge_implIS3_PlPS5_mZN2at6native12_GLOBAL__N_124unique_dim_cuda_templateIdEESt5tupleIJNSA_6TensorESF_SF_EERKSF_lbbbEUlllE_EE10hipError_tT0_T1_T2_jT3_P12ihipStream_tbPNSt15iterator_traitsISL_E10value_typeEPNSR_ISM_E10value_typeEPSN_NS1_7vsmem_tEENKUlT_SL_SM_SN_E_clIS8_S8_S9_S9_EESK_S10_SL_SM_SN_EUlS10_E0_NS1_11comp_targetILNS1_3genE4ELNS1_11target_archE910ELNS1_3gpuE8ELNS1_3repE0EEENS1_38merge_mergepath_config_static_selectorELNS0_4arch9wavefront6targetE0EEEvSM_,comdat
	.globl	_ZN7rocprim17ROCPRIM_400000_NS6detail17trampoline_kernelINS0_14default_configENS1_38merge_sort_block_merge_config_selectorIlNS0_10empty_typeEEEZZNS1_27merge_sort_block_merge_implIS3_PlPS5_mZN2at6native12_GLOBAL__N_124unique_dim_cuda_templateIdEESt5tupleIJNSA_6TensorESF_SF_EERKSF_lbbbEUlllE_EE10hipError_tT0_T1_T2_jT3_P12ihipStream_tbPNSt15iterator_traitsISL_E10value_typeEPNSR_ISM_E10value_typeEPSN_NS1_7vsmem_tEENKUlT_SL_SM_SN_E_clIS8_S8_S9_S9_EESK_S10_SL_SM_SN_EUlS10_E0_NS1_11comp_targetILNS1_3genE4ELNS1_11target_archE910ELNS1_3gpuE8ELNS1_3repE0EEENS1_38merge_mergepath_config_static_selectorELNS0_4arch9wavefront6targetE0EEEvSM_ ; -- Begin function _ZN7rocprim17ROCPRIM_400000_NS6detail17trampoline_kernelINS0_14default_configENS1_38merge_sort_block_merge_config_selectorIlNS0_10empty_typeEEEZZNS1_27merge_sort_block_merge_implIS3_PlPS5_mZN2at6native12_GLOBAL__N_124unique_dim_cuda_templateIdEESt5tupleIJNSA_6TensorESF_SF_EERKSF_lbbbEUlllE_EE10hipError_tT0_T1_T2_jT3_P12ihipStream_tbPNSt15iterator_traitsISL_E10value_typeEPNSR_ISM_E10value_typeEPSN_NS1_7vsmem_tEENKUlT_SL_SM_SN_E_clIS8_S8_S9_S9_EESK_S10_SL_SM_SN_EUlS10_E0_NS1_11comp_targetILNS1_3genE4ELNS1_11target_archE910ELNS1_3gpuE8ELNS1_3repE0EEENS1_38merge_mergepath_config_static_selectorELNS0_4arch9wavefront6targetE0EEEvSM_
	.p2align	8
	.type	_ZN7rocprim17ROCPRIM_400000_NS6detail17trampoline_kernelINS0_14default_configENS1_38merge_sort_block_merge_config_selectorIlNS0_10empty_typeEEEZZNS1_27merge_sort_block_merge_implIS3_PlPS5_mZN2at6native12_GLOBAL__N_124unique_dim_cuda_templateIdEESt5tupleIJNSA_6TensorESF_SF_EERKSF_lbbbEUlllE_EE10hipError_tT0_T1_T2_jT3_P12ihipStream_tbPNSt15iterator_traitsISL_E10value_typeEPNSR_ISM_E10value_typeEPSN_NS1_7vsmem_tEENKUlT_SL_SM_SN_E_clIS8_S8_S9_S9_EESK_S10_SL_SM_SN_EUlS10_E0_NS1_11comp_targetILNS1_3genE4ELNS1_11target_archE910ELNS1_3gpuE8ELNS1_3repE0EEENS1_38merge_mergepath_config_static_selectorELNS0_4arch9wavefront6targetE0EEEvSM_,@function
_ZN7rocprim17ROCPRIM_400000_NS6detail17trampoline_kernelINS0_14default_configENS1_38merge_sort_block_merge_config_selectorIlNS0_10empty_typeEEEZZNS1_27merge_sort_block_merge_implIS3_PlPS5_mZN2at6native12_GLOBAL__N_124unique_dim_cuda_templateIdEESt5tupleIJNSA_6TensorESF_SF_EERKSF_lbbbEUlllE_EE10hipError_tT0_T1_T2_jT3_P12ihipStream_tbPNSt15iterator_traitsISL_E10value_typeEPNSR_ISM_E10value_typeEPSN_NS1_7vsmem_tEENKUlT_SL_SM_SN_E_clIS8_S8_S9_S9_EESK_S10_SL_SM_SN_EUlS10_E0_NS1_11comp_targetILNS1_3genE4ELNS1_11target_archE910ELNS1_3gpuE8ELNS1_3repE0EEENS1_38merge_mergepath_config_static_selectorELNS0_4arch9wavefront6targetE0EEEvSM_: ; @_ZN7rocprim17ROCPRIM_400000_NS6detail17trampoline_kernelINS0_14default_configENS1_38merge_sort_block_merge_config_selectorIlNS0_10empty_typeEEEZZNS1_27merge_sort_block_merge_implIS3_PlPS5_mZN2at6native12_GLOBAL__N_124unique_dim_cuda_templateIdEESt5tupleIJNSA_6TensorESF_SF_EERKSF_lbbbEUlllE_EE10hipError_tT0_T1_T2_jT3_P12ihipStream_tbPNSt15iterator_traitsISL_E10value_typeEPNSR_ISM_E10value_typeEPSN_NS1_7vsmem_tEENKUlT_SL_SM_SN_E_clIS8_S8_S9_S9_EESK_S10_SL_SM_SN_EUlS10_E0_NS1_11comp_targetILNS1_3genE4ELNS1_11target_archE910ELNS1_3gpuE8ELNS1_3repE0EEENS1_38merge_mergepath_config_static_selectorELNS0_4arch9wavefront6targetE0EEEvSM_
; %bb.0:
	.section	.rodata,"a",@progbits
	.p2align	6, 0x0
	.amdhsa_kernel _ZN7rocprim17ROCPRIM_400000_NS6detail17trampoline_kernelINS0_14default_configENS1_38merge_sort_block_merge_config_selectorIlNS0_10empty_typeEEEZZNS1_27merge_sort_block_merge_implIS3_PlPS5_mZN2at6native12_GLOBAL__N_124unique_dim_cuda_templateIdEESt5tupleIJNSA_6TensorESF_SF_EERKSF_lbbbEUlllE_EE10hipError_tT0_T1_T2_jT3_P12ihipStream_tbPNSt15iterator_traitsISL_E10value_typeEPNSR_ISM_E10value_typeEPSN_NS1_7vsmem_tEENKUlT_SL_SM_SN_E_clIS8_S8_S9_S9_EESK_S10_SL_SM_SN_EUlS10_E0_NS1_11comp_targetILNS1_3genE4ELNS1_11target_archE910ELNS1_3gpuE8ELNS1_3repE0EEENS1_38merge_mergepath_config_static_selectorELNS0_4arch9wavefront6targetE0EEEvSM_
		.amdhsa_group_segment_fixed_size 0
		.amdhsa_private_segment_fixed_size 0
		.amdhsa_kernarg_size 88
		.amdhsa_user_sgpr_count 15
		.amdhsa_user_sgpr_dispatch_ptr 0
		.amdhsa_user_sgpr_queue_ptr 0
		.amdhsa_user_sgpr_kernarg_segment_ptr 1
		.amdhsa_user_sgpr_dispatch_id 0
		.amdhsa_user_sgpr_private_segment_size 0
		.amdhsa_wavefront_size32 1
		.amdhsa_uses_dynamic_stack 0
		.amdhsa_enable_private_segment 0
		.amdhsa_system_sgpr_workgroup_id_x 1
		.amdhsa_system_sgpr_workgroup_id_y 0
		.amdhsa_system_sgpr_workgroup_id_z 0
		.amdhsa_system_sgpr_workgroup_info 0
		.amdhsa_system_vgpr_workitem_id 0
		.amdhsa_next_free_vgpr 1
		.amdhsa_next_free_sgpr 1
		.amdhsa_reserve_vcc 0
		.amdhsa_float_round_mode_32 0
		.amdhsa_float_round_mode_16_64 0
		.amdhsa_float_denorm_mode_32 3
		.amdhsa_float_denorm_mode_16_64 3
		.amdhsa_dx10_clamp 1
		.amdhsa_ieee_mode 1
		.amdhsa_fp16_overflow 0
		.amdhsa_workgroup_processor_mode 1
		.amdhsa_memory_ordered 1
		.amdhsa_forward_progress 0
		.amdhsa_shared_vgpr_count 0
		.amdhsa_exception_fp_ieee_invalid_op 0
		.amdhsa_exception_fp_denorm_src 0
		.amdhsa_exception_fp_ieee_div_zero 0
		.amdhsa_exception_fp_ieee_overflow 0
		.amdhsa_exception_fp_ieee_underflow 0
		.amdhsa_exception_fp_ieee_inexact 0
		.amdhsa_exception_int_div_zero 0
	.end_amdhsa_kernel
	.section	.text._ZN7rocprim17ROCPRIM_400000_NS6detail17trampoline_kernelINS0_14default_configENS1_38merge_sort_block_merge_config_selectorIlNS0_10empty_typeEEEZZNS1_27merge_sort_block_merge_implIS3_PlPS5_mZN2at6native12_GLOBAL__N_124unique_dim_cuda_templateIdEESt5tupleIJNSA_6TensorESF_SF_EERKSF_lbbbEUlllE_EE10hipError_tT0_T1_T2_jT3_P12ihipStream_tbPNSt15iterator_traitsISL_E10value_typeEPNSR_ISM_E10value_typeEPSN_NS1_7vsmem_tEENKUlT_SL_SM_SN_E_clIS8_S8_S9_S9_EESK_S10_SL_SM_SN_EUlS10_E0_NS1_11comp_targetILNS1_3genE4ELNS1_11target_archE910ELNS1_3gpuE8ELNS1_3repE0EEENS1_38merge_mergepath_config_static_selectorELNS0_4arch9wavefront6targetE0EEEvSM_,"axG",@progbits,_ZN7rocprim17ROCPRIM_400000_NS6detail17trampoline_kernelINS0_14default_configENS1_38merge_sort_block_merge_config_selectorIlNS0_10empty_typeEEEZZNS1_27merge_sort_block_merge_implIS3_PlPS5_mZN2at6native12_GLOBAL__N_124unique_dim_cuda_templateIdEESt5tupleIJNSA_6TensorESF_SF_EERKSF_lbbbEUlllE_EE10hipError_tT0_T1_T2_jT3_P12ihipStream_tbPNSt15iterator_traitsISL_E10value_typeEPNSR_ISM_E10value_typeEPSN_NS1_7vsmem_tEENKUlT_SL_SM_SN_E_clIS8_S8_S9_S9_EESK_S10_SL_SM_SN_EUlS10_E0_NS1_11comp_targetILNS1_3genE4ELNS1_11target_archE910ELNS1_3gpuE8ELNS1_3repE0EEENS1_38merge_mergepath_config_static_selectorELNS0_4arch9wavefront6targetE0EEEvSM_,comdat
.Lfunc_end769:
	.size	_ZN7rocprim17ROCPRIM_400000_NS6detail17trampoline_kernelINS0_14default_configENS1_38merge_sort_block_merge_config_selectorIlNS0_10empty_typeEEEZZNS1_27merge_sort_block_merge_implIS3_PlPS5_mZN2at6native12_GLOBAL__N_124unique_dim_cuda_templateIdEESt5tupleIJNSA_6TensorESF_SF_EERKSF_lbbbEUlllE_EE10hipError_tT0_T1_T2_jT3_P12ihipStream_tbPNSt15iterator_traitsISL_E10value_typeEPNSR_ISM_E10value_typeEPSN_NS1_7vsmem_tEENKUlT_SL_SM_SN_E_clIS8_S8_S9_S9_EESK_S10_SL_SM_SN_EUlS10_E0_NS1_11comp_targetILNS1_3genE4ELNS1_11target_archE910ELNS1_3gpuE8ELNS1_3repE0EEENS1_38merge_mergepath_config_static_selectorELNS0_4arch9wavefront6targetE0EEEvSM_, .Lfunc_end769-_ZN7rocprim17ROCPRIM_400000_NS6detail17trampoline_kernelINS0_14default_configENS1_38merge_sort_block_merge_config_selectorIlNS0_10empty_typeEEEZZNS1_27merge_sort_block_merge_implIS3_PlPS5_mZN2at6native12_GLOBAL__N_124unique_dim_cuda_templateIdEESt5tupleIJNSA_6TensorESF_SF_EERKSF_lbbbEUlllE_EE10hipError_tT0_T1_T2_jT3_P12ihipStream_tbPNSt15iterator_traitsISL_E10value_typeEPNSR_ISM_E10value_typeEPSN_NS1_7vsmem_tEENKUlT_SL_SM_SN_E_clIS8_S8_S9_S9_EESK_S10_SL_SM_SN_EUlS10_E0_NS1_11comp_targetILNS1_3genE4ELNS1_11target_archE910ELNS1_3gpuE8ELNS1_3repE0EEENS1_38merge_mergepath_config_static_selectorELNS0_4arch9wavefront6targetE0EEEvSM_
                                        ; -- End function
	.section	.AMDGPU.csdata,"",@progbits
; Kernel info:
; codeLenInByte = 0
; NumSgprs: 0
; NumVgprs: 0
; ScratchSize: 0
; MemoryBound: 0
; FloatMode: 240
; IeeeMode: 1
; LDSByteSize: 0 bytes/workgroup (compile time only)
; SGPRBlocks: 0
; VGPRBlocks: 0
; NumSGPRsForWavesPerEU: 1
; NumVGPRsForWavesPerEU: 1
; Occupancy: 16
; WaveLimiterHint : 0
; COMPUTE_PGM_RSRC2:SCRATCH_EN: 0
; COMPUTE_PGM_RSRC2:USER_SGPR: 15
; COMPUTE_PGM_RSRC2:TRAP_HANDLER: 0
; COMPUTE_PGM_RSRC2:TGID_X_EN: 1
; COMPUTE_PGM_RSRC2:TGID_Y_EN: 0
; COMPUTE_PGM_RSRC2:TGID_Z_EN: 0
; COMPUTE_PGM_RSRC2:TIDIG_COMP_CNT: 0
	.section	.text._ZN7rocprim17ROCPRIM_400000_NS6detail17trampoline_kernelINS0_14default_configENS1_38merge_sort_block_merge_config_selectorIlNS0_10empty_typeEEEZZNS1_27merge_sort_block_merge_implIS3_PlPS5_mZN2at6native12_GLOBAL__N_124unique_dim_cuda_templateIdEESt5tupleIJNSA_6TensorESF_SF_EERKSF_lbbbEUlllE_EE10hipError_tT0_T1_T2_jT3_P12ihipStream_tbPNSt15iterator_traitsISL_E10value_typeEPNSR_ISM_E10value_typeEPSN_NS1_7vsmem_tEENKUlT_SL_SM_SN_E_clIS8_S8_S9_S9_EESK_S10_SL_SM_SN_EUlS10_E0_NS1_11comp_targetILNS1_3genE3ELNS1_11target_archE908ELNS1_3gpuE7ELNS1_3repE0EEENS1_38merge_mergepath_config_static_selectorELNS0_4arch9wavefront6targetE0EEEvSM_,"axG",@progbits,_ZN7rocprim17ROCPRIM_400000_NS6detail17trampoline_kernelINS0_14default_configENS1_38merge_sort_block_merge_config_selectorIlNS0_10empty_typeEEEZZNS1_27merge_sort_block_merge_implIS3_PlPS5_mZN2at6native12_GLOBAL__N_124unique_dim_cuda_templateIdEESt5tupleIJNSA_6TensorESF_SF_EERKSF_lbbbEUlllE_EE10hipError_tT0_T1_T2_jT3_P12ihipStream_tbPNSt15iterator_traitsISL_E10value_typeEPNSR_ISM_E10value_typeEPSN_NS1_7vsmem_tEENKUlT_SL_SM_SN_E_clIS8_S8_S9_S9_EESK_S10_SL_SM_SN_EUlS10_E0_NS1_11comp_targetILNS1_3genE3ELNS1_11target_archE908ELNS1_3gpuE7ELNS1_3repE0EEENS1_38merge_mergepath_config_static_selectorELNS0_4arch9wavefront6targetE0EEEvSM_,comdat
	.globl	_ZN7rocprim17ROCPRIM_400000_NS6detail17trampoline_kernelINS0_14default_configENS1_38merge_sort_block_merge_config_selectorIlNS0_10empty_typeEEEZZNS1_27merge_sort_block_merge_implIS3_PlPS5_mZN2at6native12_GLOBAL__N_124unique_dim_cuda_templateIdEESt5tupleIJNSA_6TensorESF_SF_EERKSF_lbbbEUlllE_EE10hipError_tT0_T1_T2_jT3_P12ihipStream_tbPNSt15iterator_traitsISL_E10value_typeEPNSR_ISM_E10value_typeEPSN_NS1_7vsmem_tEENKUlT_SL_SM_SN_E_clIS8_S8_S9_S9_EESK_S10_SL_SM_SN_EUlS10_E0_NS1_11comp_targetILNS1_3genE3ELNS1_11target_archE908ELNS1_3gpuE7ELNS1_3repE0EEENS1_38merge_mergepath_config_static_selectorELNS0_4arch9wavefront6targetE0EEEvSM_ ; -- Begin function _ZN7rocprim17ROCPRIM_400000_NS6detail17trampoline_kernelINS0_14default_configENS1_38merge_sort_block_merge_config_selectorIlNS0_10empty_typeEEEZZNS1_27merge_sort_block_merge_implIS3_PlPS5_mZN2at6native12_GLOBAL__N_124unique_dim_cuda_templateIdEESt5tupleIJNSA_6TensorESF_SF_EERKSF_lbbbEUlllE_EE10hipError_tT0_T1_T2_jT3_P12ihipStream_tbPNSt15iterator_traitsISL_E10value_typeEPNSR_ISM_E10value_typeEPSN_NS1_7vsmem_tEENKUlT_SL_SM_SN_E_clIS8_S8_S9_S9_EESK_S10_SL_SM_SN_EUlS10_E0_NS1_11comp_targetILNS1_3genE3ELNS1_11target_archE908ELNS1_3gpuE7ELNS1_3repE0EEENS1_38merge_mergepath_config_static_selectorELNS0_4arch9wavefront6targetE0EEEvSM_
	.p2align	8
	.type	_ZN7rocprim17ROCPRIM_400000_NS6detail17trampoline_kernelINS0_14default_configENS1_38merge_sort_block_merge_config_selectorIlNS0_10empty_typeEEEZZNS1_27merge_sort_block_merge_implIS3_PlPS5_mZN2at6native12_GLOBAL__N_124unique_dim_cuda_templateIdEESt5tupleIJNSA_6TensorESF_SF_EERKSF_lbbbEUlllE_EE10hipError_tT0_T1_T2_jT3_P12ihipStream_tbPNSt15iterator_traitsISL_E10value_typeEPNSR_ISM_E10value_typeEPSN_NS1_7vsmem_tEENKUlT_SL_SM_SN_E_clIS8_S8_S9_S9_EESK_S10_SL_SM_SN_EUlS10_E0_NS1_11comp_targetILNS1_3genE3ELNS1_11target_archE908ELNS1_3gpuE7ELNS1_3repE0EEENS1_38merge_mergepath_config_static_selectorELNS0_4arch9wavefront6targetE0EEEvSM_,@function
_ZN7rocprim17ROCPRIM_400000_NS6detail17trampoline_kernelINS0_14default_configENS1_38merge_sort_block_merge_config_selectorIlNS0_10empty_typeEEEZZNS1_27merge_sort_block_merge_implIS3_PlPS5_mZN2at6native12_GLOBAL__N_124unique_dim_cuda_templateIdEESt5tupleIJNSA_6TensorESF_SF_EERKSF_lbbbEUlllE_EE10hipError_tT0_T1_T2_jT3_P12ihipStream_tbPNSt15iterator_traitsISL_E10value_typeEPNSR_ISM_E10value_typeEPSN_NS1_7vsmem_tEENKUlT_SL_SM_SN_E_clIS8_S8_S9_S9_EESK_S10_SL_SM_SN_EUlS10_E0_NS1_11comp_targetILNS1_3genE3ELNS1_11target_archE908ELNS1_3gpuE7ELNS1_3repE0EEENS1_38merge_mergepath_config_static_selectorELNS0_4arch9wavefront6targetE0EEEvSM_: ; @_ZN7rocprim17ROCPRIM_400000_NS6detail17trampoline_kernelINS0_14default_configENS1_38merge_sort_block_merge_config_selectorIlNS0_10empty_typeEEEZZNS1_27merge_sort_block_merge_implIS3_PlPS5_mZN2at6native12_GLOBAL__N_124unique_dim_cuda_templateIdEESt5tupleIJNSA_6TensorESF_SF_EERKSF_lbbbEUlllE_EE10hipError_tT0_T1_T2_jT3_P12ihipStream_tbPNSt15iterator_traitsISL_E10value_typeEPNSR_ISM_E10value_typeEPSN_NS1_7vsmem_tEENKUlT_SL_SM_SN_E_clIS8_S8_S9_S9_EESK_S10_SL_SM_SN_EUlS10_E0_NS1_11comp_targetILNS1_3genE3ELNS1_11target_archE908ELNS1_3gpuE7ELNS1_3repE0EEENS1_38merge_mergepath_config_static_selectorELNS0_4arch9wavefront6targetE0EEEvSM_
; %bb.0:
	.section	.rodata,"a",@progbits
	.p2align	6, 0x0
	.amdhsa_kernel _ZN7rocprim17ROCPRIM_400000_NS6detail17trampoline_kernelINS0_14default_configENS1_38merge_sort_block_merge_config_selectorIlNS0_10empty_typeEEEZZNS1_27merge_sort_block_merge_implIS3_PlPS5_mZN2at6native12_GLOBAL__N_124unique_dim_cuda_templateIdEESt5tupleIJNSA_6TensorESF_SF_EERKSF_lbbbEUlllE_EE10hipError_tT0_T1_T2_jT3_P12ihipStream_tbPNSt15iterator_traitsISL_E10value_typeEPNSR_ISM_E10value_typeEPSN_NS1_7vsmem_tEENKUlT_SL_SM_SN_E_clIS8_S8_S9_S9_EESK_S10_SL_SM_SN_EUlS10_E0_NS1_11comp_targetILNS1_3genE3ELNS1_11target_archE908ELNS1_3gpuE7ELNS1_3repE0EEENS1_38merge_mergepath_config_static_selectorELNS0_4arch9wavefront6targetE0EEEvSM_
		.amdhsa_group_segment_fixed_size 0
		.amdhsa_private_segment_fixed_size 0
		.amdhsa_kernarg_size 88
		.amdhsa_user_sgpr_count 15
		.amdhsa_user_sgpr_dispatch_ptr 0
		.amdhsa_user_sgpr_queue_ptr 0
		.amdhsa_user_sgpr_kernarg_segment_ptr 1
		.amdhsa_user_sgpr_dispatch_id 0
		.amdhsa_user_sgpr_private_segment_size 0
		.amdhsa_wavefront_size32 1
		.amdhsa_uses_dynamic_stack 0
		.amdhsa_enable_private_segment 0
		.amdhsa_system_sgpr_workgroup_id_x 1
		.amdhsa_system_sgpr_workgroup_id_y 0
		.amdhsa_system_sgpr_workgroup_id_z 0
		.amdhsa_system_sgpr_workgroup_info 0
		.amdhsa_system_vgpr_workitem_id 0
		.amdhsa_next_free_vgpr 1
		.amdhsa_next_free_sgpr 1
		.amdhsa_reserve_vcc 0
		.amdhsa_float_round_mode_32 0
		.amdhsa_float_round_mode_16_64 0
		.amdhsa_float_denorm_mode_32 3
		.amdhsa_float_denorm_mode_16_64 3
		.amdhsa_dx10_clamp 1
		.amdhsa_ieee_mode 1
		.amdhsa_fp16_overflow 0
		.amdhsa_workgroup_processor_mode 1
		.amdhsa_memory_ordered 1
		.amdhsa_forward_progress 0
		.amdhsa_shared_vgpr_count 0
		.amdhsa_exception_fp_ieee_invalid_op 0
		.amdhsa_exception_fp_denorm_src 0
		.amdhsa_exception_fp_ieee_div_zero 0
		.amdhsa_exception_fp_ieee_overflow 0
		.amdhsa_exception_fp_ieee_underflow 0
		.amdhsa_exception_fp_ieee_inexact 0
		.amdhsa_exception_int_div_zero 0
	.end_amdhsa_kernel
	.section	.text._ZN7rocprim17ROCPRIM_400000_NS6detail17trampoline_kernelINS0_14default_configENS1_38merge_sort_block_merge_config_selectorIlNS0_10empty_typeEEEZZNS1_27merge_sort_block_merge_implIS3_PlPS5_mZN2at6native12_GLOBAL__N_124unique_dim_cuda_templateIdEESt5tupleIJNSA_6TensorESF_SF_EERKSF_lbbbEUlllE_EE10hipError_tT0_T1_T2_jT3_P12ihipStream_tbPNSt15iterator_traitsISL_E10value_typeEPNSR_ISM_E10value_typeEPSN_NS1_7vsmem_tEENKUlT_SL_SM_SN_E_clIS8_S8_S9_S9_EESK_S10_SL_SM_SN_EUlS10_E0_NS1_11comp_targetILNS1_3genE3ELNS1_11target_archE908ELNS1_3gpuE7ELNS1_3repE0EEENS1_38merge_mergepath_config_static_selectorELNS0_4arch9wavefront6targetE0EEEvSM_,"axG",@progbits,_ZN7rocprim17ROCPRIM_400000_NS6detail17trampoline_kernelINS0_14default_configENS1_38merge_sort_block_merge_config_selectorIlNS0_10empty_typeEEEZZNS1_27merge_sort_block_merge_implIS3_PlPS5_mZN2at6native12_GLOBAL__N_124unique_dim_cuda_templateIdEESt5tupleIJNSA_6TensorESF_SF_EERKSF_lbbbEUlllE_EE10hipError_tT0_T1_T2_jT3_P12ihipStream_tbPNSt15iterator_traitsISL_E10value_typeEPNSR_ISM_E10value_typeEPSN_NS1_7vsmem_tEENKUlT_SL_SM_SN_E_clIS8_S8_S9_S9_EESK_S10_SL_SM_SN_EUlS10_E0_NS1_11comp_targetILNS1_3genE3ELNS1_11target_archE908ELNS1_3gpuE7ELNS1_3repE0EEENS1_38merge_mergepath_config_static_selectorELNS0_4arch9wavefront6targetE0EEEvSM_,comdat
.Lfunc_end770:
	.size	_ZN7rocprim17ROCPRIM_400000_NS6detail17trampoline_kernelINS0_14default_configENS1_38merge_sort_block_merge_config_selectorIlNS0_10empty_typeEEEZZNS1_27merge_sort_block_merge_implIS3_PlPS5_mZN2at6native12_GLOBAL__N_124unique_dim_cuda_templateIdEESt5tupleIJNSA_6TensorESF_SF_EERKSF_lbbbEUlllE_EE10hipError_tT0_T1_T2_jT3_P12ihipStream_tbPNSt15iterator_traitsISL_E10value_typeEPNSR_ISM_E10value_typeEPSN_NS1_7vsmem_tEENKUlT_SL_SM_SN_E_clIS8_S8_S9_S9_EESK_S10_SL_SM_SN_EUlS10_E0_NS1_11comp_targetILNS1_3genE3ELNS1_11target_archE908ELNS1_3gpuE7ELNS1_3repE0EEENS1_38merge_mergepath_config_static_selectorELNS0_4arch9wavefront6targetE0EEEvSM_, .Lfunc_end770-_ZN7rocprim17ROCPRIM_400000_NS6detail17trampoline_kernelINS0_14default_configENS1_38merge_sort_block_merge_config_selectorIlNS0_10empty_typeEEEZZNS1_27merge_sort_block_merge_implIS3_PlPS5_mZN2at6native12_GLOBAL__N_124unique_dim_cuda_templateIdEESt5tupleIJNSA_6TensorESF_SF_EERKSF_lbbbEUlllE_EE10hipError_tT0_T1_T2_jT3_P12ihipStream_tbPNSt15iterator_traitsISL_E10value_typeEPNSR_ISM_E10value_typeEPSN_NS1_7vsmem_tEENKUlT_SL_SM_SN_E_clIS8_S8_S9_S9_EESK_S10_SL_SM_SN_EUlS10_E0_NS1_11comp_targetILNS1_3genE3ELNS1_11target_archE908ELNS1_3gpuE7ELNS1_3repE0EEENS1_38merge_mergepath_config_static_selectorELNS0_4arch9wavefront6targetE0EEEvSM_
                                        ; -- End function
	.section	.AMDGPU.csdata,"",@progbits
; Kernel info:
; codeLenInByte = 0
; NumSgprs: 0
; NumVgprs: 0
; ScratchSize: 0
; MemoryBound: 0
; FloatMode: 240
; IeeeMode: 1
; LDSByteSize: 0 bytes/workgroup (compile time only)
; SGPRBlocks: 0
; VGPRBlocks: 0
; NumSGPRsForWavesPerEU: 1
; NumVGPRsForWavesPerEU: 1
; Occupancy: 16
; WaveLimiterHint : 0
; COMPUTE_PGM_RSRC2:SCRATCH_EN: 0
; COMPUTE_PGM_RSRC2:USER_SGPR: 15
; COMPUTE_PGM_RSRC2:TRAP_HANDLER: 0
; COMPUTE_PGM_RSRC2:TGID_X_EN: 1
; COMPUTE_PGM_RSRC2:TGID_Y_EN: 0
; COMPUTE_PGM_RSRC2:TGID_Z_EN: 0
; COMPUTE_PGM_RSRC2:TIDIG_COMP_CNT: 0
	.section	.text._ZN7rocprim17ROCPRIM_400000_NS6detail17trampoline_kernelINS0_14default_configENS1_38merge_sort_block_merge_config_selectorIlNS0_10empty_typeEEEZZNS1_27merge_sort_block_merge_implIS3_PlPS5_mZN2at6native12_GLOBAL__N_124unique_dim_cuda_templateIdEESt5tupleIJNSA_6TensorESF_SF_EERKSF_lbbbEUlllE_EE10hipError_tT0_T1_T2_jT3_P12ihipStream_tbPNSt15iterator_traitsISL_E10value_typeEPNSR_ISM_E10value_typeEPSN_NS1_7vsmem_tEENKUlT_SL_SM_SN_E_clIS8_S8_S9_S9_EESK_S10_SL_SM_SN_EUlS10_E0_NS1_11comp_targetILNS1_3genE2ELNS1_11target_archE906ELNS1_3gpuE6ELNS1_3repE0EEENS1_38merge_mergepath_config_static_selectorELNS0_4arch9wavefront6targetE0EEEvSM_,"axG",@progbits,_ZN7rocprim17ROCPRIM_400000_NS6detail17trampoline_kernelINS0_14default_configENS1_38merge_sort_block_merge_config_selectorIlNS0_10empty_typeEEEZZNS1_27merge_sort_block_merge_implIS3_PlPS5_mZN2at6native12_GLOBAL__N_124unique_dim_cuda_templateIdEESt5tupleIJNSA_6TensorESF_SF_EERKSF_lbbbEUlllE_EE10hipError_tT0_T1_T2_jT3_P12ihipStream_tbPNSt15iterator_traitsISL_E10value_typeEPNSR_ISM_E10value_typeEPSN_NS1_7vsmem_tEENKUlT_SL_SM_SN_E_clIS8_S8_S9_S9_EESK_S10_SL_SM_SN_EUlS10_E0_NS1_11comp_targetILNS1_3genE2ELNS1_11target_archE906ELNS1_3gpuE6ELNS1_3repE0EEENS1_38merge_mergepath_config_static_selectorELNS0_4arch9wavefront6targetE0EEEvSM_,comdat
	.globl	_ZN7rocprim17ROCPRIM_400000_NS6detail17trampoline_kernelINS0_14default_configENS1_38merge_sort_block_merge_config_selectorIlNS0_10empty_typeEEEZZNS1_27merge_sort_block_merge_implIS3_PlPS5_mZN2at6native12_GLOBAL__N_124unique_dim_cuda_templateIdEESt5tupleIJNSA_6TensorESF_SF_EERKSF_lbbbEUlllE_EE10hipError_tT0_T1_T2_jT3_P12ihipStream_tbPNSt15iterator_traitsISL_E10value_typeEPNSR_ISM_E10value_typeEPSN_NS1_7vsmem_tEENKUlT_SL_SM_SN_E_clIS8_S8_S9_S9_EESK_S10_SL_SM_SN_EUlS10_E0_NS1_11comp_targetILNS1_3genE2ELNS1_11target_archE906ELNS1_3gpuE6ELNS1_3repE0EEENS1_38merge_mergepath_config_static_selectorELNS0_4arch9wavefront6targetE0EEEvSM_ ; -- Begin function _ZN7rocprim17ROCPRIM_400000_NS6detail17trampoline_kernelINS0_14default_configENS1_38merge_sort_block_merge_config_selectorIlNS0_10empty_typeEEEZZNS1_27merge_sort_block_merge_implIS3_PlPS5_mZN2at6native12_GLOBAL__N_124unique_dim_cuda_templateIdEESt5tupleIJNSA_6TensorESF_SF_EERKSF_lbbbEUlllE_EE10hipError_tT0_T1_T2_jT3_P12ihipStream_tbPNSt15iterator_traitsISL_E10value_typeEPNSR_ISM_E10value_typeEPSN_NS1_7vsmem_tEENKUlT_SL_SM_SN_E_clIS8_S8_S9_S9_EESK_S10_SL_SM_SN_EUlS10_E0_NS1_11comp_targetILNS1_3genE2ELNS1_11target_archE906ELNS1_3gpuE6ELNS1_3repE0EEENS1_38merge_mergepath_config_static_selectorELNS0_4arch9wavefront6targetE0EEEvSM_
	.p2align	8
	.type	_ZN7rocprim17ROCPRIM_400000_NS6detail17trampoline_kernelINS0_14default_configENS1_38merge_sort_block_merge_config_selectorIlNS0_10empty_typeEEEZZNS1_27merge_sort_block_merge_implIS3_PlPS5_mZN2at6native12_GLOBAL__N_124unique_dim_cuda_templateIdEESt5tupleIJNSA_6TensorESF_SF_EERKSF_lbbbEUlllE_EE10hipError_tT0_T1_T2_jT3_P12ihipStream_tbPNSt15iterator_traitsISL_E10value_typeEPNSR_ISM_E10value_typeEPSN_NS1_7vsmem_tEENKUlT_SL_SM_SN_E_clIS8_S8_S9_S9_EESK_S10_SL_SM_SN_EUlS10_E0_NS1_11comp_targetILNS1_3genE2ELNS1_11target_archE906ELNS1_3gpuE6ELNS1_3repE0EEENS1_38merge_mergepath_config_static_selectorELNS0_4arch9wavefront6targetE0EEEvSM_,@function
_ZN7rocprim17ROCPRIM_400000_NS6detail17trampoline_kernelINS0_14default_configENS1_38merge_sort_block_merge_config_selectorIlNS0_10empty_typeEEEZZNS1_27merge_sort_block_merge_implIS3_PlPS5_mZN2at6native12_GLOBAL__N_124unique_dim_cuda_templateIdEESt5tupleIJNSA_6TensorESF_SF_EERKSF_lbbbEUlllE_EE10hipError_tT0_T1_T2_jT3_P12ihipStream_tbPNSt15iterator_traitsISL_E10value_typeEPNSR_ISM_E10value_typeEPSN_NS1_7vsmem_tEENKUlT_SL_SM_SN_E_clIS8_S8_S9_S9_EESK_S10_SL_SM_SN_EUlS10_E0_NS1_11comp_targetILNS1_3genE2ELNS1_11target_archE906ELNS1_3gpuE6ELNS1_3repE0EEENS1_38merge_mergepath_config_static_selectorELNS0_4arch9wavefront6targetE0EEEvSM_: ; @_ZN7rocprim17ROCPRIM_400000_NS6detail17trampoline_kernelINS0_14default_configENS1_38merge_sort_block_merge_config_selectorIlNS0_10empty_typeEEEZZNS1_27merge_sort_block_merge_implIS3_PlPS5_mZN2at6native12_GLOBAL__N_124unique_dim_cuda_templateIdEESt5tupleIJNSA_6TensorESF_SF_EERKSF_lbbbEUlllE_EE10hipError_tT0_T1_T2_jT3_P12ihipStream_tbPNSt15iterator_traitsISL_E10value_typeEPNSR_ISM_E10value_typeEPSN_NS1_7vsmem_tEENKUlT_SL_SM_SN_E_clIS8_S8_S9_S9_EESK_S10_SL_SM_SN_EUlS10_E0_NS1_11comp_targetILNS1_3genE2ELNS1_11target_archE906ELNS1_3gpuE6ELNS1_3repE0EEENS1_38merge_mergepath_config_static_selectorELNS0_4arch9wavefront6targetE0EEEvSM_
; %bb.0:
	.section	.rodata,"a",@progbits
	.p2align	6, 0x0
	.amdhsa_kernel _ZN7rocprim17ROCPRIM_400000_NS6detail17trampoline_kernelINS0_14default_configENS1_38merge_sort_block_merge_config_selectorIlNS0_10empty_typeEEEZZNS1_27merge_sort_block_merge_implIS3_PlPS5_mZN2at6native12_GLOBAL__N_124unique_dim_cuda_templateIdEESt5tupleIJNSA_6TensorESF_SF_EERKSF_lbbbEUlllE_EE10hipError_tT0_T1_T2_jT3_P12ihipStream_tbPNSt15iterator_traitsISL_E10value_typeEPNSR_ISM_E10value_typeEPSN_NS1_7vsmem_tEENKUlT_SL_SM_SN_E_clIS8_S8_S9_S9_EESK_S10_SL_SM_SN_EUlS10_E0_NS1_11comp_targetILNS1_3genE2ELNS1_11target_archE906ELNS1_3gpuE6ELNS1_3repE0EEENS1_38merge_mergepath_config_static_selectorELNS0_4arch9wavefront6targetE0EEEvSM_
		.amdhsa_group_segment_fixed_size 0
		.amdhsa_private_segment_fixed_size 0
		.amdhsa_kernarg_size 88
		.amdhsa_user_sgpr_count 15
		.amdhsa_user_sgpr_dispatch_ptr 0
		.amdhsa_user_sgpr_queue_ptr 0
		.amdhsa_user_sgpr_kernarg_segment_ptr 1
		.amdhsa_user_sgpr_dispatch_id 0
		.amdhsa_user_sgpr_private_segment_size 0
		.amdhsa_wavefront_size32 1
		.amdhsa_uses_dynamic_stack 0
		.amdhsa_enable_private_segment 0
		.amdhsa_system_sgpr_workgroup_id_x 1
		.amdhsa_system_sgpr_workgroup_id_y 0
		.amdhsa_system_sgpr_workgroup_id_z 0
		.amdhsa_system_sgpr_workgroup_info 0
		.amdhsa_system_vgpr_workitem_id 0
		.amdhsa_next_free_vgpr 1
		.amdhsa_next_free_sgpr 1
		.amdhsa_reserve_vcc 0
		.amdhsa_float_round_mode_32 0
		.amdhsa_float_round_mode_16_64 0
		.amdhsa_float_denorm_mode_32 3
		.amdhsa_float_denorm_mode_16_64 3
		.amdhsa_dx10_clamp 1
		.amdhsa_ieee_mode 1
		.amdhsa_fp16_overflow 0
		.amdhsa_workgroup_processor_mode 1
		.amdhsa_memory_ordered 1
		.amdhsa_forward_progress 0
		.amdhsa_shared_vgpr_count 0
		.amdhsa_exception_fp_ieee_invalid_op 0
		.amdhsa_exception_fp_denorm_src 0
		.amdhsa_exception_fp_ieee_div_zero 0
		.amdhsa_exception_fp_ieee_overflow 0
		.amdhsa_exception_fp_ieee_underflow 0
		.amdhsa_exception_fp_ieee_inexact 0
		.amdhsa_exception_int_div_zero 0
	.end_amdhsa_kernel
	.section	.text._ZN7rocprim17ROCPRIM_400000_NS6detail17trampoline_kernelINS0_14default_configENS1_38merge_sort_block_merge_config_selectorIlNS0_10empty_typeEEEZZNS1_27merge_sort_block_merge_implIS3_PlPS5_mZN2at6native12_GLOBAL__N_124unique_dim_cuda_templateIdEESt5tupleIJNSA_6TensorESF_SF_EERKSF_lbbbEUlllE_EE10hipError_tT0_T1_T2_jT3_P12ihipStream_tbPNSt15iterator_traitsISL_E10value_typeEPNSR_ISM_E10value_typeEPSN_NS1_7vsmem_tEENKUlT_SL_SM_SN_E_clIS8_S8_S9_S9_EESK_S10_SL_SM_SN_EUlS10_E0_NS1_11comp_targetILNS1_3genE2ELNS1_11target_archE906ELNS1_3gpuE6ELNS1_3repE0EEENS1_38merge_mergepath_config_static_selectorELNS0_4arch9wavefront6targetE0EEEvSM_,"axG",@progbits,_ZN7rocprim17ROCPRIM_400000_NS6detail17trampoline_kernelINS0_14default_configENS1_38merge_sort_block_merge_config_selectorIlNS0_10empty_typeEEEZZNS1_27merge_sort_block_merge_implIS3_PlPS5_mZN2at6native12_GLOBAL__N_124unique_dim_cuda_templateIdEESt5tupleIJNSA_6TensorESF_SF_EERKSF_lbbbEUlllE_EE10hipError_tT0_T1_T2_jT3_P12ihipStream_tbPNSt15iterator_traitsISL_E10value_typeEPNSR_ISM_E10value_typeEPSN_NS1_7vsmem_tEENKUlT_SL_SM_SN_E_clIS8_S8_S9_S9_EESK_S10_SL_SM_SN_EUlS10_E0_NS1_11comp_targetILNS1_3genE2ELNS1_11target_archE906ELNS1_3gpuE6ELNS1_3repE0EEENS1_38merge_mergepath_config_static_selectorELNS0_4arch9wavefront6targetE0EEEvSM_,comdat
.Lfunc_end771:
	.size	_ZN7rocprim17ROCPRIM_400000_NS6detail17trampoline_kernelINS0_14default_configENS1_38merge_sort_block_merge_config_selectorIlNS0_10empty_typeEEEZZNS1_27merge_sort_block_merge_implIS3_PlPS5_mZN2at6native12_GLOBAL__N_124unique_dim_cuda_templateIdEESt5tupleIJNSA_6TensorESF_SF_EERKSF_lbbbEUlllE_EE10hipError_tT0_T1_T2_jT3_P12ihipStream_tbPNSt15iterator_traitsISL_E10value_typeEPNSR_ISM_E10value_typeEPSN_NS1_7vsmem_tEENKUlT_SL_SM_SN_E_clIS8_S8_S9_S9_EESK_S10_SL_SM_SN_EUlS10_E0_NS1_11comp_targetILNS1_3genE2ELNS1_11target_archE906ELNS1_3gpuE6ELNS1_3repE0EEENS1_38merge_mergepath_config_static_selectorELNS0_4arch9wavefront6targetE0EEEvSM_, .Lfunc_end771-_ZN7rocprim17ROCPRIM_400000_NS6detail17trampoline_kernelINS0_14default_configENS1_38merge_sort_block_merge_config_selectorIlNS0_10empty_typeEEEZZNS1_27merge_sort_block_merge_implIS3_PlPS5_mZN2at6native12_GLOBAL__N_124unique_dim_cuda_templateIdEESt5tupleIJNSA_6TensorESF_SF_EERKSF_lbbbEUlllE_EE10hipError_tT0_T1_T2_jT3_P12ihipStream_tbPNSt15iterator_traitsISL_E10value_typeEPNSR_ISM_E10value_typeEPSN_NS1_7vsmem_tEENKUlT_SL_SM_SN_E_clIS8_S8_S9_S9_EESK_S10_SL_SM_SN_EUlS10_E0_NS1_11comp_targetILNS1_3genE2ELNS1_11target_archE906ELNS1_3gpuE6ELNS1_3repE0EEENS1_38merge_mergepath_config_static_selectorELNS0_4arch9wavefront6targetE0EEEvSM_
                                        ; -- End function
	.section	.AMDGPU.csdata,"",@progbits
; Kernel info:
; codeLenInByte = 0
; NumSgprs: 0
; NumVgprs: 0
; ScratchSize: 0
; MemoryBound: 0
; FloatMode: 240
; IeeeMode: 1
; LDSByteSize: 0 bytes/workgroup (compile time only)
; SGPRBlocks: 0
; VGPRBlocks: 0
; NumSGPRsForWavesPerEU: 1
; NumVGPRsForWavesPerEU: 1
; Occupancy: 16
; WaveLimiterHint : 0
; COMPUTE_PGM_RSRC2:SCRATCH_EN: 0
; COMPUTE_PGM_RSRC2:USER_SGPR: 15
; COMPUTE_PGM_RSRC2:TRAP_HANDLER: 0
; COMPUTE_PGM_RSRC2:TGID_X_EN: 1
; COMPUTE_PGM_RSRC2:TGID_Y_EN: 0
; COMPUTE_PGM_RSRC2:TGID_Z_EN: 0
; COMPUTE_PGM_RSRC2:TIDIG_COMP_CNT: 0
	.section	.text._ZN7rocprim17ROCPRIM_400000_NS6detail17trampoline_kernelINS0_14default_configENS1_38merge_sort_block_merge_config_selectorIlNS0_10empty_typeEEEZZNS1_27merge_sort_block_merge_implIS3_PlPS5_mZN2at6native12_GLOBAL__N_124unique_dim_cuda_templateIdEESt5tupleIJNSA_6TensorESF_SF_EERKSF_lbbbEUlllE_EE10hipError_tT0_T1_T2_jT3_P12ihipStream_tbPNSt15iterator_traitsISL_E10value_typeEPNSR_ISM_E10value_typeEPSN_NS1_7vsmem_tEENKUlT_SL_SM_SN_E_clIS8_S8_S9_S9_EESK_S10_SL_SM_SN_EUlS10_E0_NS1_11comp_targetILNS1_3genE9ELNS1_11target_archE1100ELNS1_3gpuE3ELNS1_3repE0EEENS1_38merge_mergepath_config_static_selectorELNS0_4arch9wavefront6targetE0EEEvSM_,"axG",@progbits,_ZN7rocprim17ROCPRIM_400000_NS6detail17trampoline_kernelINS0_14default_configENS1_38merge_sort_block_merge_config_selectorIlNS0_10empty_typeEEEZZNS1_27merge_sort_block_merge_implIS3_PlPS5_mZN2at6native12_GLOBAL__N_124unique_dim_cuda_templateIdEESt5tupleIJNSA_6TensorESF_SF_EERKSF_lbbbEUlllE_EE10hipError_tT0_T1_T2_jT3_P12ihipStream_tbPNSt15iterator_traitsISL_E10value_typeEPNSR_ISM_E10value_typeEPSN_NS1_7vsmem_tEENKUlT_SL_SM_SN_E_clIS8_S8_S9_S9_EESK_S10_SL_SM_SN_EUlS10_E0_NS1_11comp_targetILNS1_3genE9ELNS1_11target_archE1100ELNS1_3gpuE3ELNS1_3repE0EEENS1_38merge_mergepath_config_static_selectorELNS0_4arch9wavefront6targetE0EEEvSM_,comdat
	.globl	_ZN7rocprim17ROCPRIM_400000_NS6detail17trampoline_kernelINS0_14default_configENS1_38merge_sort_block_merge_config_selectorIlNS0_10empty_typeEEEZZNS1_27merge_sort_block_merge_implIS3_PlPS5_mZN2at6native12_GLOBAL__N_124unique_dim_cuda_templateIdEESt5tupleIJNSA_6TensorESF_SF_EERKSF_lbbbEUlllE_EE10hipError_tT0_T1_T2_jT3_P12ihipStream_tbPNSt15iterator_traitsISL_E10value_typeEPNSR_ISM_E10value_typeEPSN_NS1_7vsmem_tEENKUlT_SL_SM_SN_E_clIS8_S8_S9_S9_EESK_S10_SL_SM_SN_EUlS10_E0_NS1_11comp_targetILNS1_3genE9ELNS1_11target_archE1100ELNS1_3gpuE3ELNS1_3repE0EEENS1_38merge_mergepath_config_static_selectorELNS0_4arch9wavefront6targetE0EEEvSM_ ; -- Begin function _ZN7rocprim17ROCPRIM_400000_NS6detail17trampoline_kernelINS0_14default_configENS1_38merge_sort_block_merge_config_selectorIlNS0_10empty_typeEEEZZNS1_27merge_sort_block_merge_implIS3_PlPS5_mZN2at6native12_GLOBAL__N_124unique_dim_cuda_templateIdEESt5tupleIJNSA_6TensorESF_SF_EERKSF_lbbbEUlllE_EE10hipError_tT0_T1_T2_jT3_P12ihipStream_tbPNSt15iterator_traitsISL_E10value_typeEPNSR_ISM_E10value_typeEPSN_NS1_7vsmem_tEENKUlT_SL_SM_SN_E_clIS8_S8_S9_S9_EESK_S10_SL_SM_SN_EUlS10_E0_NS1_11comp_targetILNS1_3genE9ELNS1_11target_archE1100ELNS1_3gpuE3ELNS1_3repE0EEENS1_38merge_mergepath_config_static_selectorELNS0_4arch9wavefront6targetE0EEEvSM_
	.p2align	8
	.type	_ZN7rocprim17ROCPRIM_400000_NS6detail17trampoline_kernelINS0_14default_configENS1_38merge_sort_block_merge_config_selectorIlNS0_10empty_typeEEEZZNS1_27merge_sort_block_merge_implIS3_PlPS5_mZN2at6native12_GLOBAL__N_124unique_dim_cuda_templateIdEESt5tupleIJNSA_6TensorESF_SF_EERKSF_lbbbEUlllE_EE10hipError_tT0_T1_T2_jT3_P12ihipStream_tbPNSt15iterator_traitsISL_E10value_typeEPNSR_ISM_E10value_typeEPSN_NS1_7vsmem_tEENKUlT_SL_SM_SN_E_clIS8_S8_S9_S9_EESK_S10_SL_SM_SN_EUlS10_E0_NS1_11comp_targetILNS1_3genE9ELNS1_11target_archE1100ELNS1_3gpuE3ELNS1_3repE0EEENS1_38merge_mergepath_config_static_selectorELNS0_4arch9wavefront6targetE0EEEvSM_,@function
_ZN7rocprim17ROCPRIM_400000_NS6detail17trampoline_kernelINS0_14default_configENS1_38merge_sort_block_merge_config_selectorIlNS0_10empty_typeEEEZZNS1_27merge_sort_block_merge_implIS3_PlPS5_mZN2at6native12_GLOBAL__N_124unique_dim_cuda_templateIdEESt5tupleIJNSA_6TensorESF_SF_EERKSF_lbbbEUlllE_EE10hipError_tT0_T1_T2_jT3_P12ihipStream_tbPNSt15iterator_traitsISL_E10value_typeEPNSR_ISM_E10value_typeEPSN_NS1_7vsmem_tEENKUlT_SL_SM_SN_E_clIS8_S8_S9_S9_EESK_S10_SL_SM_SN_EUlS10_E0_NS1_11comp_targetILNS1_3genE9ELNS1_11target_archE1100ELNS1_3gpuE3ELNS1_3repE0EEENS1_38merge_mergepath_config_static_selectorELNS0_4arch9wavefront6targetE0EEEvSM_: ; @_ZN7rocprim17ROCPRIM_400000_NS6detail17trampoline_kernelINS0_14default_configENS1_38merge_sort_block_merge_config_selectorIlNS0_10empty_typeEEEZZNS1_27merge_sort_block_merge_implIS3_PlPS5_mZN2at6native12_GLOBAL__N_124unique_dim_cuda_templateIdEESt5tupleIJNSA_6TensorESF_SF_EERKSF_lbbbEUlllE_EE10hipError_tT0_T1_T2_jT3_P12ihipStream_tbPNSt15iterator_traitsISL_E10value_typeEPNSR_ISM_E10value_typeEPSN_NS1_7vsmem_tEENKUlT_SL_SM_SN_E_clIS8_S8_S9_S9_EESK_S10_SL_SM_SN_EUlS10_E0_NS1_11comp_targetILNS1_3genE9ELNS1_11target_archE1100ELNS1_3gpuE3ELNS1_3repE0EEENS1_38merge_mergepath_config_static_selectorELNS0_4arch9wavefront6targetE0EEEvSM_
; %bb.0:
	s_clause 0x1
	s_load_b64 s[24:25], s[0:1], 0x58
	s_load_b32 s3, s[0:1], 0x38
	s_add_u32 s22, s0, 0x58
	s_addc_u32 s23, s1, 0
	s_waitcnt lgkmcnt(0)
	s_mul_i32 s2, s25, s15
	s_delay_alu instid0(SALU_CYCLE_1) | instskip(NEXT) | instid1(SALU_CYCLE_1)
	s_add_i32 s2, s2, s14
	s_mul_i32 s2, s2, s24
	s_delay_alu instid0(SALU_CYCLE_1) | instskip(NEXT) | instid1(SALU_CYCLE_1)
	s_add_i32 s2, s2, s13
	s_cmp_ge_u32 s2, s3
	s_cbranch_scc1 .LBB772_49
; %bb.1:
	s_clause 0x1
	s_load_b128 s[4:7], s[0:1], 0x28
	s_load_b64 s[8:9], s[0:1], 0x50
	s_mov_b32 s3, 0
	s_delay_alu instid0(SALU_CYCLE_1)
	s_lshl_b64 s[10:11], s[2:3], 3
	s_waitcnt lgkmcnt(0)
	v_alignbit_b32 v1, s7, s6, 9
	s_add_u32 s8, s8, s10
	s_addc_u32 s9, s9, s11
	s_lshl_b64 s[20:21], s[2:3], 10
	s_load_b128 s[16:19], s[8:9], 0x0
	v_readfirstlane_b32 s10, v1
	s_mov_b32 s9, s3
	s_delay_alu instid0(VALU_DEP_1) | instskip(NEXT) | instid1(SALU_CYCLE_1)
	s_and_b32 s8, s10, -2
	s_sub_i32 s25, 0, s8
	s_delay_alu instid0(SALU_CYCLE_1) | instskip(NEXT) | instid1(SALU_CYCLE_1)
	s_and_b32 s8, s2, s25
	s_lshl_b64 s[14:15], s[8:9], 10
	s_delay_alu instid0(SALU_CYCLE_1)
	s_sub_u32 s12, s20, s14
	s_subb_u32 s30, s21, s15
	s_lshl_b64 s[26:27], s[8:9], 11
	s_load_b128 s[8:11], s[0:1], 0x8
	s_add_u32 s28, s26, s6
	s_addc_u32 s29, s27, s7
	s_add_u32 s12, s28, s12
	s_addc_u32 s26, s29, s30
	s_waitcnt lgkmcnt(0)
	s_sub_u32 s27, s12, s18
	s_subb_u32 s19, s26, s19
	s_add_u32 s30, s27, 0x400
	s_addc_u32 s31, s19, 0
	s_delay_alu instid0(SALU_CYCLE_1) | instskip(NEXT) | instid1(VALU_DEP_1)
	v_cmp_lt_u64_e64 s19, s[4:5], s[30:31]
	s_and_b32 s19, s19, exec_lo
	s_cselect_b32 s27, s4, s30
	s_or_b32 s19, s2, s25
	s_mov_b32 s25, -1
	s_cmp_lg_u32 s19, -1
	s_cbranch_scc1 .LBB772_3
; %bb.2:
	s_sub_u32 s14, s28, s14
	s_subb_u32 s15, s29, s15
	s_delay_alu instid0(SALU_CYCLE_1) | instskip(NEXT) | instid1(VALU_DEP_1)
	v_cmp_lt_u64_e64 s18, s[4:5], s[14:15]
	s_and_b32 s18, s18, exec_lo
	s_cselect_b32 s18, s4, s14
	s_add_u32 s6, s14, s6
	s_addc_u32 s7, s15, s7
	s_delay_alu instid0(SALU_CYCLE_1) | instskip(NEXT) | instid1(VALU_DEP_1)
	v_cmp_lt_u64_e64 s7, s[4:5], s[6:7]
	s_and_b32 s7, s7, exec_lo
	s_cselect_b32 s27, s4, s6
.LBB772_3:
	s_lshr_b64 s[28:29], s[4:5], 10
	v_mov_b32_e32 v2, 0
	s_cmp_lg_u64 s[28:29], s[2:3]
	v_lshlrev_b32_e32 v9, 3, v0
	s_cselect_b32 s19, -1, 0
	s_sub_u32 s6, s12, s16
	s_subb_u32 s7, s26, s17
	global_load_b32 v1, v2, s[22:23] offset:14
	v_cmp_lt_u64_e64 s12, s[4:5], s[6:7]
	s_delay_alu instid0(VALU_DEP_1)
	s_and_b32 s12, s12, exec_lo
	s_cselect_b32 s30, s4, s6
	s_cselect_b32 s31, s5, s7
	s_lshl_b64 s[14:15], s[16:17], 3
	s_sub_i32 s5, s18, s16
	s_sub_i32 s6, s27, s30
	s_add_u32 s12, s8, s14
	s_addc_u32 s14, s9, s15
	s_lshl_b64 s[16:17], s[30:31], 3
	s_delay_alu instid0(SALU_CYCLE_1) | instskip(SKIP_3) | instid1(SALU_CYCLE_1)
	s_add_u32 s7, s8, s16
	s_addc_u32 s9, s9, s17
	s_cmp_lt_u32 s13, s24
	s_cselect_b32 s8, 12, 18
	s_add_u32 s16, s22, s8
	s_addc_u32 s17, s23, 0
	s_cmp_eq_u64 s[28:29], s[2:3]
	global_load_u16 v3, v2, s[16:17]
	s_waitcnt vmcnt(1)
	v_lshrrev_b32_e32 v4, 16, v1
	v_and_b32_e32 v1, 0xffff, v1
	s_delay_alu instid0(VALU_DEP_1) | instskip(SKIP_1) | instid1(VALU_DEP_1)
	v_mul_lo_u32 v1, v1, v4
	s_waitcnt vmcnt(0)
	v_mul_lo_u32 v7, v1, v3
	s_cbranch_scc1 .LBB772_5
; %bb.4:
	v_subrev_nc_u32_e32 v1, s5, v0
	v_add_co_u32 v8, s2, s12, v9
	s_delay_alu instid0(VALU_DEP_1) | instskip(NEXT) | instid1(VALU_DEP_3)
	v_add_co_ci_u32_e64 v10, null, s14, 0, s2
	v_lshlrev_b64 v[3:4], 3, v[1:2]
	v_add_nc_u32_e32 v1, v7, v0
	s_add_i32 s8, s5, s6
	s_delay_alu instid0(VALU_DEP_1) | instskip(NEXT) | instid1(VALU_DEP_3)
	v_lshlrev_b64 v[5:6], 3, v[1:2]
	v_add_co_u32 v3, s2, s7, v3
	s_delay_alu instid0(VALU_DEP_1) | instskip(SKIP_1) | instid1(VALU_DEP_4)
	v_add_co_ci_u32_e64 v4, s2, s9, v4, s2
	v_cmp_gt_u32_e64 s2, s5, v0
	v_add_co_u32 v5, vcc_lo, s12, v5
	v_add_co_ci_u32_e32 v6, vcc_lo, s14, v6, vcc_lo
	v_cmp_gt_u32_e32 vcc_lo, s5, v1
	v_subrev_nc_u32_e32 v1, s5, v1
	s_delay_alu instid0(VALU_DEP_1) | instskip(NEXT) | instid1(VALU_DEP_1)
	v_lshlrev_b64 v[1:2], 3, v[1:2]
	v_add_co_u32 v11, s3, s7, v1
	s_delay_alu instid0(VALU_DEP_1) | instskip(SKIP_2) | instid1(VALU_DEP_3)
	v_add_co_ci_u32_e64 v12, s3, s9, v2, s3
	v_cndmask_b32_e64 v2, v4, v10, s2
	v_cndmask_b32_e64 v1, v3, v8, s2
	v_dual_cndmask_b32 v3, v11, v5 :: v_dual_cndmask_b32 v4, v12, v6
	global_load_b64 v[1:2], v[1:2], off
	global_load_b64 v[5:6], v[3:4], off
	s_cbranch_execz .LBB772_6
	s_branch .LBB772_11
.LBB772_5:
                                        ; implicit-def: $vgpr5_vgpr6
                                        ; implicit-def: $sgpr8
                                        ; implicit-def: $vgpr1_vgpr2_vgpr3_vgpr4
	s_and_not1_b32 vcc_lo, exec_lo, s25
	s_cbranch_vccnz .LBB772_11
.LBB772_6:
	s_add_i32 s8, s5, s6
	s_mov_b32 s2, exec_lo
                                        ; implicit-def: $vgpr1_vgpr2
	v_cmpx_gt_u32_e64 s8, v0
	s_cbranch_execz .LBB772_8
; %bb.7:
	s_waitcnt vmcnt(1)
	v_subrev_nc_u32_e32 v1, s5, v0
	v_add_co_u32 v3, s3, s12, v9
	v_mov_b32_e32 v2, 0
	v_add_co_ci_u32_e64 v4, null, s14, 0, s3
	s_delay_alu instid0(VALU_DEP_2) | instskip(NEXT) | instid1(VALU_DEP_1)
	v_lshlrev_b64 v[1:2], 3, v[1:2]
	v_add_co_u32 v1, vcc_lo, s7, v1
	s_delay_alu instid0(VALU_DEP_2) | instskip(SKIP_1) | instid1(VALU_DEP_2)
	v_add_co_ci_u32_e32 v2, vcc_lo, s9, v2, vcc_lo
	v_cmp_gt_u32_e32 vcc_lo, s5, v0
	v_dual_cndmask_b32 v1, v1, v3 :: v_dual_cndmask_b32 v2, v2, v4
	global_load_b64 v[1:2], v[1:2], off
.LBB772_8:
	s_or_b32 exec_lo, exec_lo, s2
	v_add_nc_u32_e32 v7, v7, v0
	s_mov_b32 s3, exec_lo
	s_delay_alu instid0(VALU_DEP_1)
	v_cmpx_gt_u32_e64 s8, v7
                                        ; implicit-def: $vgpr3_vgpr4_vgpr5_vgpr6
	s_cbranch_execz .LBB772_10
; %bb.9:
	v_mov_b32_e32 v8, 0
	s_delay_alu instid0(VALU_DEP_1) | instskip(SKIP_1) | instid1(VALU_DEP_1)
	v_lshlrev_b64 v[3:4], 3, v[7:8]
	s_waitcnt vmcnt(0)
	v_add_co_u32 v5, vcc_lo, s12, v3
	s_delay_alu instid0(VALU_DEP_2) | instskip(SKIP_2) | instid1(VALU_DEP_1)
	v_add_co_ci_u32_e32 v6, vcc_lo, s14, v4, vcc_lo
	v_cmp_gt_u32_e32 vcc_lo, s5, v7
	v_subrev_nc_u32_e32 v7, s5, v7
	v_lshlrev_b64 v[3:4], 3, v[7:8]
	s_delay_alu instid0(VALU_DEP_1) | instskip(NEXT) | instid1(VALU_DEP_1)
	v_add_co_u32 v3, s2, s7, v3
	v_add_co_ci_u32_e64 v4, s2, s9, v4, s2
	s_delay_alu instid0(VALU_DEP_1)
	v_dual_cndmask_b32 v3, v3, v5 :: v_dual_cndmask_b32 v4, v4, v6
	global_load_b64 v[5:6], v[3:4], off
.LBB772_10:
	s_or_b32 exec_lo, exec_lo, s3
.LBB772_11:
	s_load_b128 s[12:15], s[0:1], 0x40
	v_lshlrev_b32_e32 v10, 1, v0
	s_mov_b32 s9, exec_lo
	s_waitcnt vmcnt(0)
	ds_store_2addr_stride64_b64 v9, v[1:2], v[5:6] offset1:8
	s_waitcnt lgkmcnt(0)
	s_barrier
	v_min_u32_e32 v12, s8, v10
	buffer_gl0_inv
	v_sub_nc_u32_e64 v11, v12, s6 clamp
	v_min_u32_e32 v13, s5, v12
	s_delay_alu instid0(VALU_DEP_1)
	v_cmpx_lt_u32_e64 v11, v13
	s_cbranch_execz .LBB772_21
; %bb.12:
	v_lshlrev_b32_e32 v3, 3, v12
	v_cmp_gt_i64_e64 s16, s[12:13], 0
	s_lshl_b64 s[2:3], s[12:13], 3
	s_mov_b32 s17, 0
	s_delay_alu instid0(VALU_DEP_2)
	v_lshl_add_u32 v14, s5, 3, v3
	s_branch .LBB772_15
.LBB772_13:                             ;   in Loop: Header=BB772_15 Depth=1
	s_set_inst_prefetch_distance 0x2
	s_or_b32 exec_lo, exec_lo, s18
.LBB772_14:                             ;   in Loop: Header=BB772_15 Depth=1
	s_delay_alu instid0(VALU_DEP_1) | instskip(SKIP_1) | instid1(VALU_DEP_2)
	v_add_nc_u32_e32 v3, 1, v15
	v_cndmask_b32_e64 v13, v13, v15, s22
	v_cndmask_b32_e64 v11, v3, v11, s22
	s_delay_alu instid0(VALU_DEP_1) | instskip(SKIP_1) | instid1(SALU_CYCLE_1)
	v_cmp_ge_u32_e32 vcc_lo, v11, v13
	s_or_b32 s17, vcc_lo, s17
	s_and_not1_b32 exec_lo, exec_lo, s17
	s_cbranch_execz .LBB772_20
.LBB772_15:                             ; =>This Loop Header: Depth=1
                                        ;     Child Loop BB772_18 Depth 2
	v_add_nc_u32_e32 v3, v13, v11
	s_and_not1_b32 vcc_lo, exec_lo, s16
	s_mov_b32 s22, 0
	s_delay_alu instid0(VALU_DEP_1)
	v_lshrrev_b32_e32 v15, 1, v3
	s_cbranch_vccnz .LBB772_14
; %bb.16:                               ;   in Loop: Header=BB772_15 Depth=1
	s_delay_alu instid0(VALU_DEP_1) | instskip(SKIP_3) | instid1(VALU_DEP_2)
	v_not_b32_e32 v3, v15
	v_lshlrev_b32_e32 v4, 3, v15
	s_mov_b32 s18, 0
	s_mov_b64 s[6:7], s[12:13]
                                        ; implicit-def: $sgpr22
                                        ; implicit-def: $sgpr23
                                        ; implicit-def: $sgpr24
                                        ; implicit-def: $sgpr25
                                        ; implicit-def: $sgpr26
	v_lshl_add_u32 v3, v3, 3, v14
	ds_load_b64 v[7:8], v3
	ds_load_b64 v[16:17], v4
	s_waitcnt lgkmcnt(1)
	v_mul_lo_u32 v18, s2, v8
	v_mul_lo_u32 v19, s3, v7
	v_mad_u64_u32 v[3:4], null, s2, v7, s[14:15]
	s_waitcnt lgkmcnt(0)
	v_mul_lo_u32 v17, s2, v17
	v_mul_lo_u32 v20, s3, v16
	v_mad_u64_u32 v[7:8], null, s2, v16, s[14:15]
	s_delay_alu instid0(VALU_DEP_4) | instskip(NEXT) | instid1(VALU_DEP_2)
	v_add3_u32 v4, v19, v4, v18
	v_add3_u32 v8, v20, v8, v17
	s_set_inst_prefetch_distance 0x1
	s_branch .LBB772_18
	.p2align	6
.LBB772_17:                             ;   in Loop: Header=BB772_18 Depth=2
	s_or_b32 exec_lo, exec_lo, s0
	s_delay_alu instid0(SALU_CYCLE_1) | instskip(NEXT) | instid1(SALU_CYCLE_1)
	s_and_b32 s0, exec_lo, s23
	s_or_b32 s18, s0, s18
	s_and_not1_b32 s0, s26, exec_lo
	s_and_b32 s1, s24, exec_lo
	s_and_not1_b32 s22, s22, exec_lo
	s_and_b32 s27, s25, exec_lo
	s_or_b32 s26, s0, s1
	s_or_b32 s22, s22, s27
	s_and_not1_b32 exec_lo, exec_lo, s18
	s_cbranch_execz .LBB772_13
.LBB772_18:                             ;   Parent Loop BB772_15 Depth=1
                                        ; =>  This Inner Loop Header: Depth=2
	global_load_b64 v[16:17], v[3:4], off
	global_load_b64 v[18:19], v[7:8], off
	s_and_not1_b32 s24, s24, exec_lo
	s_or_b32 s23, s23, exec_lo
	s_waitcnt vmcnt(0)
	v_cmp_ngt_f64_e32 vcc_lo, v[16:17], v[18:19]
	v_cmp_lt_f64_e64 s0, v[16:17], v[18:19]
	s_and_b32 s27, vcc_lo, s26
	s_delay_alu instid0(VALU_DEP_1) | instid1(SALU_CYCLE_1)
	s_or_b32 s27, s0, s27
	s_and_not1_b32 s0, s25, exec_lo
	s_and_b32 s25, s27, exec_lo
	s_delay_alu instid0(SALU_CYCLE_1)
	s_or_b32 s25, s0, s25
	s_mov_b32 s0, exec_lo
	v_cmpx_nlg_f64_e32 v[16:17], v[18:19]
	s_cbranch_execz .LBB772_17
; %bb.19:                               ;   in Loop: Header=BB772_18 Depth=2
	s_add_u32 s6, s6, -1
	s_addc_u32 s7, s7, -1
	v_add_co_u32 v3, vcc_lo, v3, 8
	v_add_co_ci_u32_e32 v4, vcc_lo, 0, v4, vcc_lo
	s_cmp_eq_u64 s[6:7], 0
	v_add_co_u32 v7, vcc_lo, v7, 8
	s_cselect_b32 s1, -1, 0
	v_add_co_ci_u32_e32 v8, vcc_lo, 0, v8, vcc_lo
	s_and_not1_b32 s24, s24, exec_lo
	s_and_b32 s26, s27, exec_lo
	s_and_not1_b32 s23, s23, exec_lo
	s_and_b32 s1, s1, exec_lo
	s_and_not1_b32 s25, s25, exec_lo
	s_or_b32 s24, s24, s26
	s_or_b32 s23, s23, s1
                                        ; implicit-def: $sgpr26
	s_branch .LBB772_17
.LBB772_20:
	s_or_b32 exec_lo, exec_lo, s17
.LBB772_21:
	s_delay_alu instid0(SALU_CYCLE_1) | instskip(SKIP_2) | instid1(VALU_DEP_2)
	s_or_b32 exec_lo, exec_lo, s9
	v_sub_nc_u32_e32 v3, v12, v11
	v_cmp_ge_u32_e32 vcc_lo, s5, v11
	v_add_nc_u32_e32 v12, s5, v3
	s_delay_alu instid0(VALU_DEP_1) | instskip(NEXT) | instid1(VALU_DEP_1)
	v_cmp_ge_u32_e64 s0, s8, v12
	s_or_b32 s0, vcc_lo, s0
	s_delay_alu instid0(SALU_CYCLE_1)
	s_and_saveexec_b32 s6, s0
	s_cbranch_execz .LBB772_41
; %bb.22:
	v_cmp_le_u32_e32 vcc_lo, s5, v11
	s_mov_b32 s1, exec_lo
                                        ; implicit-def: $vgpr1_vgpr2
	v_cmpx_gt_u32_e64 s5, v11
	s_cbranch_execz .LBB772_24
; %bb.23:
	v_lshlrev_b32_e32 v1, 3, v11
	ds_load_b64 v[1:2], v1
.LBB772_24:
	s_or_b32 exec_lo, exec_lo, s1
	v_cmp_le_u32_e64 s0, s8, v12
	s_mov_b32 s2, exec_lo
                                        ; implicit-def: $vgpr3_vgpr4
	v_cmpx_gt_u32_e64 s8, v12
	s_cbranch_execz .LBB772_26
; %bb.25:
	v_lshlrev_b32_e32 v3, 3, v12
	ds_load_b64 v[3:4], v3
.LBB772_26:
	s_or_b32 exec_lo, exec_lo, s2
	v_cmp_lt_i64_e64 s9, s[12:13], 1
	s_or_b32 s1, vcc_lo, s0
	s_xor_b32 s2, vcc_lo, -1
	s_delay_alu instid0(SALU_CYCLE_1) | instskip(NEXT) | instid1(VALU_DEP_1)
	s_or_b32 s7, s0, s2
	s_or_b32 s1, s1, s9
	s_delay_alu instid0(SALU_CYCLE_1) | instskip(NEXT) | instid1(SALU_CYCLE_1)
	s_xor_b32 s1, s1, -1
	s_and_saveexec_b32 s16, s1
	s_cbranch_execz .LBB772_32
; %bb.27:
	s_waitcnt lgkmcnt(0)
	v_mul_lo_u32 v13, v4, s12
	v_mul_lo_u32 v14, v3, s13
	v_mad_u64_u32 v[5:6], null, v3, s12, 0
	v_mul_lo_u32 v15, v2, s12
	v_mul_lo_u32 v16, v1, s13
	v_mad_u64_u32 v[7:8], null, v1, s12, 0
	s_mov_b32 s17, 0
	s_mov_b64 s[2:3], s[12:13]
	s_delay_alu instid0(VALU_DEP_4) | instskip(NEXT) | instid1(VALU_DEP_2)
	v_add3_u32 v6, v6, v14, v13
                                        ; implicit-def: $sgpr18
                                        ; implicit-def: $sgpr22
                                        ; implicit-def: $sgpr23
                                        ; implicit-def: $sgpr24
                                        ; implicit-def: $sgpr25
	v_add3_u32 v8, v8, v16, v15
	s_delay_alu instid0(VALU_DEP_2) | instskip(NEXT) | instid1(VALU_DEP_2)
	v_lshlrev_b64 v[5:6], 3, v[5:6]
	v_lshlrev_b64 v[7:8], 3, v[7:8]
	s_delay_alu instid0(VALU_DEP_2) | instskip(NEXT) | instid1(VALU_DEP_3)
	v_add_co_u32 v5, vcc_lo, s14, v5
	v_add_co_ci_u32_e32 v6, vcc_lo, s15, v6, vcc_lo
	s_delay_alu instid0(VALU_DEP_3) | instskip(NEXT) | instid1(VALU_DEP_4)
	v_add_co_u32 v7, vcc_lo, s14, v7
	v_add_co_ci_u32_e32 v8, vcc_lo, s15, v8, vcc_lo
	s_set_inst_prefetch_distance 0x1
	s_branch .LBB772_29
	.p2align	6
.LBB772_28:                             ;   in Loop: Header=BB772_29 Depth=1
	s_or_b32 exec_lo, exec_lo, s0
	s_delay_alu instid0(SALU_CYCLE_1) | instskip(NEXT) | instid1(SALU_CYCLE_1)
	s_and_b32 s0, exec_lo, s22
	s_or_b32 s17, s0, s17
	s_and_not1_b32 s0, s25, exec_lo
	s_and_b32 s1, s24, exec_lo
	s_and_not1_b32 s18, s18, exec_lo
	s_and_b32 s26, s23, exec_lo
	s_or_b32 s25, s0, s1
	s_or_b32 s18, s18, s26
	s_and_not1_b32 exec_lo, exec_lo, s17
	s_cbranch_execz .LBB772_31
.LBB772_29:                             ; =>This Inner Loop Header: Depth=1
	global_load_b64 v[13:14], v[5:6], off
	global_load_b64 v[15:16], v[7:8], off
	s_and_not1_b32 s24, s24, exec_lo
	s_or_b32 s22, s22, exec_lo
	s_waitcnt vmcnt(0)
	v_cmp_ngt_f64_e32 vcc_lo, v[13:14], v[15:16]
	v_cmp_lt_f64_e64 s0, v[13:14], v[15:16]
	s_and_b32 s26, vcc_lo, s25
	s_delay_alu instid0(VALU_DEP_1) | instid1(SALU_CYCLE_1)
	s_or_b32 s26, s0, s26
	s_and_not1_b32 s0, s23, exec_lo
	s_and_b32 s23, s26, exec_lo
	s_delay_alu instid0(SALU_CYCLE_1)
	s_or_b32 s23, s0, s23
	s_mov_b32 s0, exec_lo
	v_cmpx_nlg_f64_e32 v[13:14], v[15:16]
	s_cbranch_execz .LBB772_28
; %bb.30:                               ;   in Loop: Header=BB772_29 Depth=1
	s_add_u32 s2, s2, -1
	s_addc_u32 s3, s3, -1
	v_add_co_u32 v5, vcc_lo, v5, 8
	s_cmp_eq_u64 s[2:3], 0
	v_add_co_ci_u32_e32 v6, vcc_lo, 0, v6, vcc_lo
	v_add_co_u32 v7, vcc_lo, v7, 8
	s_cselect_b32 s1, -1, 0
	v_add_co_ci_u32_e32 v8, vcc_lo, 0, v8, vcc_lo
	s_and_not1_b32 s24, s24, exec_lo
	s_and_b32 s25, s26, exec_lo
	s_and_not1_b32 s22, s22, exec_lo
	s_and_b32 s1, s1, exec_lo
	s_or_b32 s24, s24, s25
	s_and_not1_b32 s23, s23, exec_lo
	s_or_b32 s22, s22, s1
                                        ; implicit-def: $sgpr25
	s_branch .LBB772_28
.LBB772_31:
	s_set_inst_prefetch_distance 0x2
	s_or_b32 exec_lo, exec_lo, s17
	s_xor_b32 s0, s18, -1
	s_and_not1_b32 s1, s7, exec_lo
	s_and_b32 s0, s0, exec_lo
	s_delay_alu instid0(SALU_CYCLE_1)
	s_or_b32 s7, s1, s0
.LBB772_32:
	s_or_b32 exec_lo, exec_lo, s16
	v_mov_b32_e32 v5, s5
	v_cndmask_b32_e64 v6, v12, v11, s7
	s_mov_b32 s0, -1
	s_mov_b32 s2, exec_lo
	s_delay_alu instid0(VALU_DEP_2) | instskip(NEXT) | instid1(VALU_DEP_2)
	v_cndmask_b32_e64 v7, s8, v5, s7
	v_add_nc_u32_e32 v5, 1, v6
	s_delay_alu instid0(VALU_DEP_2) | instskip(NEXT) | instid1(VALU_DEP_2)
	v_add_nc_u32_e32 v6, -1, v7
	v_cndmask_b32_e64 v8, v5, v12, s7
	s_delay_alu instid0(VALU_DEP_2) | instskip(NEXT) | instid1(VALU_DEP_1)
	v_min_u32_e32 v6, v5, v6
	v_lshlrev_b32_e32 v6, 3, v6
	ds_load_b64 v[6:7], v6
	s_waitcnt lgkmcnt(0)
	v_cndmask_b32_e64 v12, v7, v4, s7
	v_cndmask_b32_e64 v13, v6, v3, s7
	;; [unrolled: 1-line block ×4, first 2 shown]
	v_cmpx_gt_u32_e64 s8, v8
	s_cbranch_execz .LBB772_40
; %bb.33:
	v_cndmask_b32_e64 v5, v11, v5, s7
	s_xor_b32 s0, s9, -1
	s_delay_alu instid0(VALU_DEP_1) | instskip(NEXT) | instid1(VALU_DEP_1)
	v_cmp_gt_u32_e64 s3, s5, v5
	s_and_b32 s0, s3, s0
	s_delay_alu instid0(SALU_CYCLE_1)
	s_and_saveexec_b32 s5, s0
	s_cbranch_execz .LBB772_39
; %bb.34:
	v_mul_lo_u32 v11, v12, s12
	v_mul_lo_u32 v16, v13, s13
	v_mad_u64_u32 v[5:6], null, v13, s12, 0
	v_mul_lo_u32 v17, v14, s12
	v_mul_lo_u32 v18, v15, s13
	v_mad_u64_u32 v[7:8], null, v15, s12, 0
	s_mov_b32 s8, 0
                                        ; implicit-def: $sgpr9
                                        ; implicit-def: $sgpr16
                                        ; implicit-def: $sgpr17
	s_delay_alu instid0(VALU_DEP_4) | instskip(NEXT) | instid1(VALU_DEP_2)
	v_add3_u32 v6, v6, v16, v11
	v_add3_u32 v8, v8, v18, v17
	s_delay_alu instid0(VALU_DEP_2) | instskip(NEXT) | instid1(VALU_DEP_2)
	v_lshlrev_b64 v[5:6], 3, v[5:6]
	v_lshlrev_b64 v[7:8], 3, v[7:8]
	s_delay_alu instid0(VALU_DEP_2) | instskip(NEXT) | instid1(VALU_DEP_3)
	v_add_co_u32 v5, vcc_lo, s14, v5
	v_add_co_ci_u32_e32 v6, vcc_lo, s15, v6, vcc_lo
	s_delay_alu instid0(VALU_DEP_3) | instskip(NEXT) | instid1(VALU_DEP_4)
	v_add_co_u32 v7, vcc_lo, s14, v7
	v_add_co_ci_u32_e32 v8, vcc_lo, s15, v8, vcc_lo
                                        ; implicit-def: $sgpr14
                                        ; implicit-def: $sgpr15
	s_set_inst_prefetch_distance 0x1
	s_branch .LBB772_36
	.p2align	6
.LBB772_35:                             ;   in Loop: Header=BB772_36 Depth=1
	s_or_b32 exec_lo, exec_lo, s0
	s_delay_alu instid0(SALU_CYCLE_1) | instskip(NEXT) | instid1(SALU_CYCLE_1)
	s_and_b32 s0, exec_lo, s14
	s_or_b32 s8, s0, s8
	s_and_not1_b32 s0, s17, exec_lo
	s_and_b32 s1, s16, exec_lo
	s_and_not1_b32 s9, s9, exec_lo
	s_and_b32 s18, s15, exec_lo
	s_or_b32 s17, s0, s1
	s_or_b32 s9, s9, s18
	s_and_not1_b32 exec_lo, exec_lo, s8
	s_cbranch_execz .LBB772_38
.LBB772_36:                             ; =>This Inner Loop Header: Depth=1
	global_load_b64 v[16:17], v[5:6], off
	global_load_b64 v[18:19], v[7:8], off
	s_and_not1_b32 s16, s16, exec_lo
	s_or_b32 s14, s14, exec_lo
	s_waitcnt vmcnt(0)
	v_cmp_ngt_f64_e32 vcc_lo, v[16:17], v[18:19]
	v_cmp_lt_f64_e64 s0, v[16:17], v[18:19]
	s_and_b32 s18, vcc_lo, s17
	s_delay_alu instid0(VALU_DEP_1) | instid1(SALU_CYCLE_1)
	s_or_b32 s18, s0, s18
	s_and_not1_b32 s0, s15, exec_lo
	s_and_b32 s15, s18, exec_lo
	s_delay_alu instid0(SALU_CYCLE_1)
	s_or_b32 s15, s0, s15
	s_mov_b32 s0, exec_lo
	v_cmpx_nlg_f64_e32 v[16:17], v[18:19]
	s_cbranch_execz .LBB772_35
; %bb.37:                               ;   in Loop: Header=BB772_36 Depth=1
	s_add_u32 s12, s12, -1
	s_addc_u32 s13, s13, -1
	v_add_co_u32 v5, vcc_lo, v5, 8
	s_cmp_eq_u64 s[12:13], 0
	v_add_co_ci_u32_e32 v6, vcc_lo, 0, v6, vcc_lo
	v_add_co_u32 v7, vcc_lo, v7, 8
	s_cselect_b32 s1, -1, 0
	v_add_co_ci_u32_e32 v8, vcc_lo, 0, v8, vcc_lo
	s_and_not1_b32 s16, s16, exec_lo
	s_and_b32 s17, s18, exec_lo
	s_and_not1_b32 s14, s14, exec_lo
	s_and_b32 s1, s1, exec_lo
	s_or_b32 s16, s16, s17
	s_and_not1_b32 s15, s15, exec_lo
	s_or_b32 s14, s14, s1
                                        ; implicit-def: $sgpr17
	s_branch .LBB772_35
.LBB772_38:
	s_set_inst_prefetch_distance 0x2
	s_or_b32 exec_lo, exec_lo, s8
	s_xor_b32 s0, s9, -1
	s_and_not1_b32 s1, s3, exec_lo
	s_and_b32 s0, s0, exec_lo
	s_delay_alu instid0(SALU_CYCLE_1)
	s_or_b32 s3, s1, s0
.LBB772_39:
	s_or_b32 exec_lo, exec_lo, s5
	s_delay_alu instid0(SALU_CYCLE_1)
	s_or_not1_b32 s0, s3, exec_lo
.LBB772_40:
	s_or_b32 exec_lo, exec_lo, s2
	v_cndmask_b32_e64 v2, v4, v2, s7
	v_cndmask_b32_e64 v1, v3, v1, s7
	;; [unrolled: 1-line block ×4, first 2 shown]
.LBB772_41:
	s_or_b32 exec_lo, exec_lo, s6
	v_lshrrev_b32_e32 v3, 1, v0
	v_or_b32_e32 v7, 0x200, v0
	v_lshrrev_b32_e32 v4, 2, v0
	s_lshl_b64 s[0:1], s[20:21], 3
	s_delay_alu instid0(VALU_DEP_3) | instskip(NEXT) | instid1(VALU_DEP_3)
	v_and_b32_e32 v3, 0xf8, v3
	v_lshrrev_b32_e32 v8, 2, v7
	s_delay_alu instid0(VALU_DEP_3)
	v_and_b32_e32 v4, 0x78, v4
	s_add_u32 s0, s10, s0
	s_barrier
	v_lshl_add_u32 v3, v10, 3, v3
	v_and_b32_e32 v8, 0xf8, v8
	buffer_gl0_inv
	s_barrier
	buffer_gl0_inv
	s_addc_u32 s1, s11, s1
	ds_store_2addr_b64 v3, v[1:2], v[5:6] offset1:1
	v_add_co_u32 v1, s0, s0, v9
	v_add_nc_u32_e32 v5, v9, v4
	v_add_nc_u32_e32 v6, v9, v8
	v_add_co_ci_u32_e64 v2, null, s1, 0, s0
	s_and_b32 vcc_lo, exec_lo, s19
	s_mov_b32 s0, 0
	s_waitcnt lgkmcnt(0)
	s_cbranch_vccz .LBB772_43
; %bb.42:
	s_barrier
	buffer_gl0_inv
	ds_load_b64 v[8:9], v5
	ds_load_b64 v[3:4], v6 offset:4096
	s_mov_b32 s0, -1
	s_waitcnt lgkmcnt(1)
	global_store_b64 v[1:2], v[8:9], off
	s_cbranch_execz .LBB772_44
	s_branch .LBB772_47
.LBB772_43:
                                        ; implicit-def: $vgpr3_vgpr4
.LBB772_44:
	s_waitcnt lgkmcnt(0)
	s_waitcnt_vscnt null, 0x0
	s_barrier
	buffer_gl0_inv
	ds_load_b64 v[3:4], v6 offset:4096
	s_sub_i32 s0, s4, s20
	s_mov_b32 s1, exec_lo
	v_cmpx_gt_u32_e64 s0, v0
	s_cbranch_execz .LBB772_46
; %bb.45:
	ds_load_b64 v[5:6], v5
	s_waitcnt lgkmcnt(0)
	global_store_b64 v[1:2], v[5:6], off
.LBB772_46:
	s_or_b32 exec_lo, exec_lo, s1
	v_cmp_gt_u32_e64 s0, s0, v7
.LBB772_47:
	s_delay_alu instid0(VALU_DEP_1)
	s_and_saveexec_b32 s1, s0
	s_cbranch_execz .LBB772_49
; %bb.48:
	v_add_co_u32 v0, vcc_lo, 0x1000, v1
	v_add_co_ci_u32_e32 v1, vcc_lo, 0, v2, vcc_lo
	s_waitcnt lgkmcnt(0)
	global_store_b64 v[0:1], v[3:4], off
.LBB772_49:
	s_nop 0
	s_sendmsg sendmsg(MSG_DEALLOC_VGPRS)
	s_endpgm
	.section	.rodata,"a",@progbits
	.p2align	6, 0x0
	.amdhsa_kernel _ZN7rocprim17ROCPRIM_400000_NS6detail17trampoline_kernelINS0_14default_configENS1_38merge_sort_block_merge_config_selectorIlNS0_10empty_typeEEEZZNS1_27merge_sort_block_merge_implIS3_PlPS5_mZN2at6native12_GLOBAL__N_124unique_dim_cuda_templateIdEESt5tupleIJNSA_6TensorESF_SF_EERKSF_lbbbEUlllE_EE10hipError_tT0_T1_T2_jT3_P12ihipStream_tbPNSt15iterator_traitsISL_E10value_typeEPNSR_ISM_E10value_typeEPSN_NS1_7vsmem_tEENKUlT_SL_SM_SN_E_clIS8_S8_S9_S9_EESK_S10_SL_SM_SN_EUlS10_E0_NS1_11comp_targetILNS1_3genE9ELNS1_11target_archE1100ELNS1_3gpuE3ELNS1_3repE0EEENS1_38merge_mergepath_config_static_selectorELNS0_4arch9wavefront6targetE0EEEvSM_
		.amdhsa_group_segment_fixed_size 8448
		.amdhsa_private_segment_fixed_size 0
		.amdhsa_kernarg_size 344
		.amdhsa_user_sgpr_count 13
		.amdhsa_user_sgpr_dispatch_ptr 0
		.amdhsa_user_sgpr_queue_ptr 0
		.amdhsa_user_sgpr_kernarg_segment_ptr 1
		.amdhsa_user_sgpr_dispatch_id 0
		.amdhsa_user_sgpr_private_segment_size 0
		.amdhsa_wavefront_size32 1
		.amdhsa_uses_dynamic_stack 0
		.amdhsa_enable_private_segment 0
		.amdhsa_system_sgpr_workgroup_id_x 1
		.amdhsa_system_sgpr_workgroup_id_y 1
		.amdhsa_system_sgpr_workgroup_id_z 1
		.amdhsa_system_sgpr_workgroup_info 0
		.amdhsa_system_vgpr_workitem_id 0
		.amdhsa_next_free_vgpr 21
		.amdhsa_next_free_sgpr 32
		.amdhsa_reserve_vcc 1
		.amdhsa_float_round_mode_32 0
		.amdhsa_float_round_mode_16_64 0
		.amdhsa_float_denorm_mode_32 3
		.amdhsa_float_denorm_mode_16_64 3
		.amdhsa_dx10_clamp 1
		.amdhsa_ieee_mode 1
		.amdhsa_fp16_overflow 0
		.amdhsa_workgroup_processor_mode 1
		.amdhsa_memory_ordered 1
		.amdhsa_forward_progress 0
		.amdhsa_shared_vgpr_count 0
		.amdhsa_exception_fp_ieee_invalid_op 0
		.amdhsa_exception_fp_denorm_src 0
		.amdhsa_exception_fp_ieee_div_zero 0
		.amdhsa_exception_fp_ieee_overflow 0
		.amdhsa_exception_fp_ieee_underflow 0
		.amdhsa_exception_fp_ieee_inexact 0
		.amdhsa_exception_int_div_zero 0
	.end_amdhsa_kernel
	.section	.text._ZN7rocprim17ROCPRIM_400000_NS6detail17trampoline_kernelINS0_14default_configENS1_38merge_sort_block_merge_config_selectorIlNS0_10empty_typeEEEZZNS1_27merge_sort_block_merge_implIS3_PlPS5_mZN2at6native12_GLOBAL__N_124unique_dim_cuda_templateIdEESt5tupleIJNSA_6TensorESF_SF_EERKSF_lbbbEUlllE_EE10hipError_tT0_T1_T2_jT3_P12ihipStream_tbPNSt15iterator_traitsISL_E10value_typeEPNSR_ISM_E10value_typeEPSN_NS1_7vsmem_tEENKUlT_SL_SM_SN_E_clIS8_S8_S9_S9_EESK_S10_SL_SM_SN_EUlS10_E0_NS1_11comp_targetILNS1_3genE9ELNS1_11target_archE1100ELNS1_3gpuE3ELNS1_3repE0EEENS1_38merge_mergepath_config_static_selectorELNS0_4arch9wavefront6targetE0EEEvSM_,"axG",@progbits,_ZN7rocprim17ROCPRIM_400000_NS6detail17trampoline_kernelINS0_14default_configENS1_38merge_sort_block_merge_config_selectorIlNS0_10empty_typeEEEZZNS1_27merge_sort_block_merge_implIS3_PlPS5_mZN2at6native12_GLOBAL__N_124unique_dim_cuda_templateIdEESt5tupleIJNSA_6TensorESF_SF_EERKSF_lbbbEUlllE_EE10hipError_tT0_T1_T2_jT3_P12ihipStream_tbPNSt15iterator_traitsISL_E10value_typeEPNSR_ISM_E10value_typeEPSN_NS1_7vsmem_tEENKUlT_SL_SM_SN_E_clIS8_S8_S9_S9_EESK_S10_SL_SM_SN_EUlS10_E0_NS1_11comp_targetILNS1_3genE9ELNS1_11target_archE1100ELNS1_3gpuE3ELNS1_3repE0EEENS1_38merge_mergepath_config_static_selectorELNS0_4arch9wavefront6targetE0EEEvSM_,comdat
.Lfunc_end772:
	.size	_ZN7rocprim17ROCPRIM_400000_NS6detail17trampoline_kernelINS0_14default_configENS1_38merge_sort_block_merge_config_selectorIlNS0_10empty_typeEEEZZNS1_27merge_sort_block_merge_implIS3_PlPS5_mZN2at6native12_GLOBAL__N_124unique_dim_cuda_templateIdEESt5tupleIJNSA_6TensorESF_SF_EERKSF_lbbbEUlllE_EE10hipError_tT0_T1_T2_jT3_P12ihipStream_tbPNSt15iterator_traitsISL_E10value_typeEPNSR_ISM_E10value_typeEPSN_NS1_7vsmem_tEENKUlT_SL_SM_SN_E_clIS8_S8_S9_S9_EESK_S10_SL_SM_SN_EUlS10_E0_NS1_11comp_targetILNS1_3genE9ELNS1_11target_archE1100ELNS1_3gpuE3ELNS1_3repE0EEENS1_38merge_mergepath_config_static_selectorELNS0_4arch9wavefront6targetE0EEEvSM_, .Lfunc_end772-_ZN7rocprim17ROCPRIM_400000_NS6detail17trampoline_kernelINS0_14default_configENS1_38merge_sort_block_merge_config_selectorIlNS0_10empty_typeEEEZZNS1_27merge_sort_block_merge_implIS3_PlPS5_mZN2at6native12_GLOBAL__N_124unique_dim_cuda_templateIdEESt5tupleIJNSA_6TensorESF_SF_EERKSF_lbbbEUlllE_EE10hipError_tT0_T1_T2_jT3_P12ihipStream_tbPNSt15iterator_traitsISL_E10value_typeEPNSR_ISM_E10value_typeEPSN_NS1_7vsmem_tEENKUlT_SL_SM_SN_E_clIS8_S8_S9_S9_EESK_S10_SL_SM_SN_EUlS10_E0_NS1_11comp_targetILNS1_3genE9ELNS1_11target_archE1100ELNS1_3gpuE3ELNS1_3repE0EEENS1_38merge_mergepath_config_static_selectorELNS0_4arch9wavefront6targetE0EEEvSM_
                                        ; -- End function
	.section	.AMDGPU.csdata,"",@progbits
; Kernel info:
; codeLenInByte = 2856
; NumSgprs: 34
; NumVgprs: 21
; ScratchSize: 0
; MemoryBound: 0
; FloatMode: 240
; IeeeMode: 1
; LDSByteSize: 8448 bytes/workgroup (compile time only)
; SGPRBlocks: 4
; VGPRBlocks: 2
; NumSGPRsForWavesPerEU: 34
; NumVGPRsForWavesPerEU: 21
; Occupancy: 16
; WaveLimiterHint : 1
; COMPUTE_PGM_RSRC2:SCRATCH_EN: 0
; COMPUTE_PGM_RSRC2:USER_SGPR: 13
; COMPUTE_PGM_RSRC2:TRAP_HANDLER: 0
; COMPUTE_PGM_RSRC2:TGID_X_EN: 1
; COMPUTE_PGM_RSRC2:TGID_Y_EN: 1
; COMPUTE_PGM_RSRC2:TGID_Z_EN: 1
; COMPUTE_PGM_RSRC2:TIDIG_COMP_CNT: 0
	.section	.text._ZN7rocprim17ROCPRIM_400000_NS6detail17trampoline_kernelINS0_14default_configENS1_38merge_sort_block_merge_config_selectorIlNS0_10empty_typeEEEZZNS1_27merge_sort_block_merge_implIS3_PlPS5_mZN2at6native12_GLOBAL__N_124unique_dim_cuda_templateIdEESt5tupleIJNSA_6TensorESF_SF_EERKSF_lbbbEUlllE_EE10hipError_tT0_T1_T2_jT3_P12ihipStream_tbPNSt15iterator_traitsISL_E10value_typeEPNSR_ISM_E10value_typeEPSN_NS1_7vsmem_tEENKUlT_SL_SM_SN_E_clIS8_S8_S9_S9_EESK_S10_SL_SM_SN_EUlS10_E0_NS1_11comp_targetILNS1_3genE8ELNS1_11target_archE1030ELNS1_3gpuE2ELNS1_3repE0EEENS1_38merge_mergepath_config_static_selectorELNS0_4arch9wavefront6targetE0EEEvSM_,"axG",@progbits,_ZN7rocprim17ROCPRIM_400000_NS6detail17trampoline_kernelINS0_14default_configENS1_38merge_sort_block_merge_config_selectorIlNS0_10empty_typeEEEZZNS1_27merge_sort_block_merge_implIS3_PlPS5_mZN2at6native12_GLOBAL__N_124unique_dim_cuda_templateIdEESt5tupleIJNSA_6TensorESF_SF_EERKSF_lbbbEUlllE_EE10hipError_tT0_T1_T2_jT3_P12ihipStream_tbPNSt15iterator_traitsISL_E10value_typeEPNSR_ISM_E10value_typeEPSN_NS1_7vsmem_tEENKUlT_SL_SM_SN_E_clIS8_S8_S9_S9_EESK_S10_SL_SM_SN_EUlS10_E0_NS1_11comp_targetILNS1_3genE8ELNS1_11target_archE1030ELNS1_3gpuE2ELNS1_3repE0EEENS1_38merge_mergepath_config_static_selectorELNS0_4arch9wavefront6targetE0EEEvSM_,comdat
	.globl	_ZN7rocprim17ROCPRIM_400000_NS6detail17trampoline_kernelINS0_14default_configENS1_38merge_sort_block_merge_config_selectorIlNS0_10empty_typeEEEZZNS1_27merge_sort_block_merge_implIS3_PlPS5_mZN2at6native12_GLOBAL__N_124unique_dim_cuda_templateIdEESt5tupleIJNSA_6TensorESF_SF_EERKSF_lbbbEUlllE_EE10hipError_tT0_T1_T2_jT3_P12ihipStream_tbPNSt15iterator_traitsISL_E10value_typeEPNSR_ISM_E10value_typeEPSN_NS1_7vsmem_tEENKUlT_SL_SM_SN_E_clIS8_S8_S9_S9_EESK_S10_SL_SM_SN_EUlS10_E0_NS1_11comp_targetILNS1_3genE8ELNS1_11target_archE1030ELNS1_3gpuE2ELNS1_3repE0EEENS1_38merge_mergepath_config_static_selectorELNS0_4arch9wavefront6targetE0EEEvSM_ ; -- Begin function _ZN7rocprim17ROCPRIM_400000_NS6detail17trampoline_kernelINS0_14default_configENS1_38merge_sort_block_merge_config_selectorIlNS0_10empty_typeEEEZZNS1_27merge_sort_block_merge_implIS3_PlPS5_mZN2at6native12_GLOBAL__N_124unique_dim_cuda_templateIdEESt5tupleIJNSA_6TensorESF_SF_EERKSF_lbbbEUlllE_EE10hipError_tT0_T1_T2_jT3_P12ihipStream_tbPNSt15iterator_traitsISL_E10value_typeEPNSR_ISM_E10value_typeEPSN_NS1_7vsmem_tEENKUlT_SL_SM_SN_E_clIS8_S8_S9_S9_EESK_S10_SL_SM_SN_EUlS10_E0_NS1_11comp_targetILNS1_3genE8ELNS1_11target_archE1030ELNS1_3gpuE2ELNS1_3repE0EEENS1_38merge_mergepath_config_static_selectorELNS0_4arch9wavefront6targetE0EEEvSM_
	.p2align	8
	.type	_ZN7rocprim17ROCPRIM_400000_NS6detail17trampoline_kernelINS0_14default_configENS1_38merge_sort_block_merge_config_selectorIlNS0_10empty_typeEEEZZNS1_27merge_sort_block_merge_implIS3_PlPS5_mZN2at6native12_GLOBAL__N_124unique_dim_cuda_templateIdEESt5tupleIJNSA_6TensorESF_SF_EERKSF_lbbbEUlllE_EE10hipError_tT0_T1_T2_jT3_P12ihipStream_tbPNSt15iterator_traitsISL_E10value_typeEPNSR_ISM_E10value_typeEPSN_NS1_7vsmem_tEENKUlT_SL_SM_SN_E_clIS8_S8_S9_S9_EESK_S10_SL_SM_SN_EUlS10_E0_NS1_11comp_targetILNS1_3genE8ELNS1_11target_archE1030ELNS1_3gpuE2ELNS1_3repE0EEENS1_38merge_mergepath_config_static_selectorELNS0_4arch9wavefront6targetE0EEEvSM_,@function
_ZN7rocprim17ROCPRIM_400000_NS6detail17trampoline_kernelINS0_14default_configENS1_38merge_sort_block_merge_config_selectorIlNS0_10empty_typeEEEZZNS1_27merge_sort_block_merge_implIS3_PlPS5_mZN2at6native12_GLOBAL__N_124unique_dim_cuda_templateIdEESt5tupleIJNSA_6TensorESF_SF_EERKSF_lbbbEUlllE_EE10hipError_tT0_T1_T2_jT3_P12ihipStream_tbPNSt15iterator_traitsISL_E10value_typeEPNSR_ISM_E10value_typeEPSN_NS1_7vsmem_tEENKUlT_SL_SM_SN_E_clIS8_S8_S9_S9_EESK_S10_SL_SM_SN_EUlS10_E0_NS1_11comp_targetILNS1_3genE8ELNS1_11target_archE1030ELNS1_3gpuE2ELNS1_3repE0EEENS1_38merge_mergepath_config_static_selectorELNS0_4arch9wavefront6targetE0EEEvSM_: ; @_ZN7rocprim17ROCPRIM_400000_NS6detail17trampoline_kernelINS0_14default_configENS1_38merge_sort_block_merge_config_selectorIlNS0_10empty_typeEEEZZNS1_27merge_sort_block_merge_implIS3_PlPS5_mZN2at6native12_GLOBAL__N_124unique_dim_cuda_templateIdEESt5tupleIJNSA_6TensorESF_SF_EERKSF_lbbbEUlllE_EE10hipError_tT0_T1_T2_jT3_P12ihipStream_tbPNSt15iterator_traitsISL_E10value_typeEPNSR_ISM_E10value_typeEPSN_NS1_7vsmem_tEENKUlT_SL_SM_SN_E_clIS8_S8_S9_S9_EESK_S10_SL_SM_SN_EUlS10_E0_NS1_11comp_targetILNS1_3genE8ELNS1_11target_archE1030ELNS1_3gpuE2ELNS1_3repE0EEENS1_38merge_mergepath_config_static_selectorELNS0_4arch9wavefront6targetE0EEEvSM_
; %bb.0:
	.section	.rodata,"a",@progbits
	.p2align	6, 0x0
	.amdhsa_kernel _ZN7rocprim17ROCPRIM_400000_NS6detail17trampoline_kernelINS0_14default_configENS1_38merge_sort_block_merge_config_selectorIlNS0_10empty_typeEEEZZNS1_27merge_sort_block_merge_implIS3_PlPS5_mZN2at6native12_GLOBAL__N_124unique_dim_cuda_templateIdEESt5tupleIJNSA_6TensorESF_SF_EERKSF_lbbbEUlllE_EE10hipError_tT0_T1_T2_jT3_P12ihipStream_tbPNSt15iterator_traitsISL_E10value_typeEPNSR_ISM_E10value_typeEPSN_NS1_7vsmem_tEENKUlT_SL_SM_SN_E_clIS8_S8_S9_S9_EESK_S10_SL_SM_SN_EUlS10_E0_NS1_11comp_targetILNS1_3genE8ELNS1_11target_archE1030ELNS1_3gpuE2ELNS1_3repE0EEENS1_38merge_mergepath_config_static_selectorELNS0_4arch9wavefront6targetE0EEEvSM_
		.amdhsa_group_segment_fixed_size 0
		.amdhsa_private_segment_fixed_size 0
		.amdhsa_kernarg_size 88
		.amdhsa_user_sgpr_count 15
		.amdhsa_user_sgpr_dispatch_ptr 0
		.amdhsa_user_sgpr_queue_ptr 0
		.amdhsa_user_sgpr_kernarg_segment_ptr 1
		.amdhsa_user_sgpr_dispatch_id 0
		.amdhsa_user_sgpr_private_segment_size 0
		.amdhsa_wavefront_size32 1
		.amdhsa_uses_dynamic_stack 0
		.amdhsa_enable_private_segment 0
		.amdhsa_system_sgpr_workgroup_id_x 1
		.amdhsa_system_sgpr_workgroup_id_y 0
		.amdhsa_system_sgpr_workgroup_id_z 0
		.amdhsa_system_sgpr_workgroup_info 0
		.amdhsa_system_vgpr_workitem_id 0
		.amdhsa_next_free_vgpr 1
		.amdhsa_next_free_sgpr 1
		.amdhsa_reserve_vcc 0
		.amdhsa_float_round_mode_32 0
		.amdhsa_float_round_mode_16_64 0
		.amdhsa_float_denorm_mode_32 3
		.amdhsa_float_denorm_mode_16_64 3
		.amdhsa_dx10_clamp 1
		.amdhsa_ieee_mode 1
		.amdhsa_fp16_overflow 0
		.amdhsa_workgroup_processor_mode 1
		.amdhsa_memory_ordered 1
		.amdhsa_forward_progress 0
		.amdhsa_shared_vgpr_count 0
		.amdhsa_exception_fp_ieee_invalid_op 0
		.amdhsa_exception_fp_denorm_src 0
		.amdhsa_exception_fp_ieee_div_zero 0
		.amdhsa_exception_fp_ieee_overflow 0
		.amdhsa_exception_fp_ieee_underflow 0
		.amdhsa_exception_fp_ieee_inexact 0
		.amdhsa_exception_int_div_zero 0
	.end_amdhsa_kernel
	.section	.text._ZN7rocprim17ROCPRIM_400000_NS6detail17trampoline_kernelINS0_14default_configENS1_38merge_sort_block_merge_config_selectorIlNS0_10empty_typeEEEZZNS1_27merge_sort_block_merge_implIS3_PlPS5_mZN2at6native12_GLOBAL__N_124unique_dim_cuda_templateIdEESt5tupleIJNSA_6TensorESF_SF_EERKSF_lbbbEUlllE_EE10hipError_tT0_T1_T2_jT3_P12ihipStream_tbPNSt15iterator_traitsISL_E10value_typeEPNSR_ISM_E10value_typeEPSN_NS1_7vsmem_tEENKUlT_SL_SM_SN_E_clIS8_S8_S9_S9_EESK_S10_SL_SM_SN_EUlS10_E0_NS1_11comp_targetILNS1_3genE8ELNS1_11target_archE1030ELNS1_3gpuE2ELNS1_3repE0EEENS1_38merge_mergepath_config_static_selectorELNS0_4arch9wavefront6targetE0EEEvSM_,"axG",@progbits,_ZN7rocprim17ROCPRIM_400000_NS6detail17trampoline_kernelINS0_14default_configENS1_38merge_sort_block_merge_config_selectorIlNS0_10empty_typeEEEZZNS1_27merge_sort_block_merge_implIS3_PlPS5_mZN2at6native12_GLOBAL__N_124unique_dim_cuda_templateIdEESt5tupleIJNSA_6TensorESF_SF_EERKSF_lbbbEUlllE_EE10hipError_tT0_T1_T2_jT3_P12ihipStream_tbPNSt15iterator_traitsISL_E10value_typeEPNSR_ISM_E10value_typeEPSN_NS1_7vsmem_tEENKUlT_SL_SM_SN_E_clIS8_S8_S9_S9_EESK_S10_SL_SM_SN_EUlS10_E0_NS1_11comp_targetILNS1_3genE8ELNS1_11target_archE1030ELNS1_3gpuE2ELNS1_3repE0EEENS1_38merge_mergepath_config_static_selectorELNS0_4arch9wavefront6targetE0EEEvSM_,comdat
.Lfunc_end773:
	.size	_ZN7rocprim17ROCPRIM_400000_NS6detail17trampoline_kernelINS0_14default_configENS1_38merge_sort_block_merge_config_selectorIlNS0_10empty_typeEEEZZNS1_27merge_sort_block_merge_implIS3_PlPS5_mZN2at6native12_GLOBAL__N_124unique_dim_cuda_templateIdEESt5tupleIJNSA_6TensorESF_SF_EERKSF_lbbbEUlllE_EE10hipError_tT0_T1_T2_jT3_P12ihipStream_tbPNSt15iterator_traitsISL_E10value_typeEPNSR_ISM_E10value_typeEPSN_NS1_7vsmem_tEENKUlT_SL_SM_SN_E_clIS8_S8_S9_S9_EESK_S10_SL_SM_SN_EUlS10_E0_NS1_11comp_targetILNS1_3genE8ELNS1_11target_archE1030ELNS1_3gpuE2ELNS1_3repE0EEENS1_38merge_mergepath_config_static_selectorELNS0_4arch9wavefront6targetE0EEEvSM_, .Lfunc_end773-_ZN7rocprim17ROCPRIM_400000_NS6detail17trampoline_kernelINS0_14default_configENS1_38merge_sort_block_merge_config_selectorIlNS0_10empty_typeEEEZZNS1_27merge_sort_block_merge_implIS3_PlPS5_mZN2at6native12_GLOBAL__N_124unique_dim_cuda_templateIdEESt5tupleIJNSA_6TensorESF_SF_EERKSF_lbbbEUlllE_EE10hipError_tT0_T1_T2_jT3_P12ihipStream_tbPNSt15iterator_traitsISL_E10value_typeEPNSR_ISM_E10value_typeEPSN_NS1_7vsmem_tEENKUlT_SL_SM_SN_E_clIS8_S8_S9_S9_EESK_S10_SL_SM_SN_EUlS10_E0_NS1_11comp_targetILNS1_3genE8ELNS1_11target_archE1030ELNS1_3gpuE2ELNS1_3repE0EEENS1_38merge_mergepath_config_static_selectorELNS0_4arch9wavefront6targetE0EEEvSM_
                                        ; -- End function
	.section	.AMDGPU.csdata,"",@progbits
; Kernel info:
; codeLenInByte = 0
; NumSgprs: 0
; NumVgprs: 0
; ScratchSize: 0
; MemoryBound: 0
; FloatMode: 240
; IeeeMode: 1
; LDSByteSize: 0 bytes/workgroup (compile time only)
; SGPRBlocks: 0
; VGPRBlocks: 0
; NumSGPRsForWavesPerEU: 1
; NumVGPRsForWavesPerEU: 1
; Occupancy: 16
; WaveLimiterHint : 0
; COMPUTE_PGM_RSRC2:SCRATCH_EN: 0
; COMPUTE_PGM_RSRC2:USER_SGPR: 15
; COMPUTE_PGM_RSRC2:TRAP_HANDLER: 0
; COMPUTE_PGM_RSRC2:TGID_X_EN: 1
; COMPUTE_PGM_RSRC2:TGID_Y_EN: 0
; COMPUTE_PGM_RSRC2:TGID_Z_EN: 0
; COMPUTE_PGM_RSRC2:TIDIG_COMP_CNT: 0
	.section	.text._ZN7rocprim17ROCPRIM_400000_NS6detail17trampoline_kernelINS0_14default_configENS1_38merge_sort_block_merge_config_selectorIlNS0_10empty_typeEEEZZNS1_27merge_sort_block_merge_implIS3_PlPS5_mZN2at6native12_GLOBAL__N_124unique_dim_cuda_templateIdEESt5tupleIJNSA_6TensorESF_SF_EERKSF_lbbbEUlllE_EE10hipError_tT0_T1_T2_jT3_P12ihipStream_tbPNSt15iterator_traitsISL_E10value_typeEPNSR_ISM_E10value_typeEPSN_NS1_7vsmem_tEENKUlT_SL_SM_SN_E_clIS8_S8_S9_S9_EESK_S10_SL_SM_SN_EUlS10_E1_NS1_11comp_targetILNS1_3genE0ELNS1_11target_archE4294967295ELNS1_3gpuE0ELNS1_3repE0EEENS1_36merge_oddeven_config_static_selectorELNS0_4arch9wavefront6targetE0EEEvSM_,"axG",@progbits,_ZN7rocprim17ROCPRIM_400000_NS6detail17trampoline_kernelINS0_14default_configENS1_38merge_sort_block_merge_config_selectorIlNS0_10empty_typeEEEZZNS1_27merge_sort_block_merge_implIS3_PlPS5_mZN2at6native12_GLOBAL__N_124unique_dim_cuda_templateIdEESt5tupleIJNSA_6TensorESF_SF_EERKSF_lbbbEUlllE_EE10hipError_tT0_T1_T2_jT3_P12ihipStream_tbPNSt15iterator_traitsISL_E10value_typeEPNSR_ISM_E10value_typeEPSN_NS1_7vsmem_tEENKUlT_SL_SM_SN_E_clIS8_S8_S9_S9_EESK_S10_SL_SM_SN_EUlS10_E1_NS1_11comp_targetILNS1_3genE0ELNS1_11target_archE4294967295ELNS1_3gpuE0ELNS1_3repE0EEENS1_36merge_oddeven_config_static_selectorELNS0_4arch9wavefront6targetE0EEEvSM_,comdat
	.globl	_ZN7rocprim17ROCPRIM_400000_NS6detail17trampoline_kernelINS0_14default_configENS1_38merge_sort_block_merge_config_selectorIlNS0_10empty_typeEEEZZNS1_27merge_sort_block_merge_implIS3_PlPS5_mZN2at6native12_GLOBAL__N_124unique_dim_cuda_templateIdEESt5tupleIJNSA_6TensorESF_SF_EERKSF_lbbbEUlllE_EE10hipError_tT0_T1_T2_jT3_P12ihipStream_tbPNSt15iterator_traitsISL_E10value_typeEPNSR_ISM_E10value_typeEPSN_NS1_7vsmem_tEENKUlT_SL_SM_SN_E_clIS8_S8_S9_S9_EESK_S10_SL_SM_SN_EUlS10_E1_NS1_11comp_targetILNS1_3genE0ELNS1_11target_archE4294967295ELNS1_3gpuE0ELNS1_3repE0EEENS1_36merge_oddeven_config_static_selectorELNS0_4arch9wavefront6targetE0EEEvSM_ ; -- Begin function _ZN7rocprim17ROCPRIM_400000_NS6detail17trampoline_kernelINS0_14default_configENS1_38merge_sort_block_merge_config_selectorIlNS0_10empty_typeEEEZZNS1_27merge_sort_block_merge_implIS3_PlPS5_mZN2at6native12_GLOBAL__N_124unique_dim_cuda_templateIdEESt5tupleIJNSA_6TensorESF_SF_EERKSF_lbbbEUlllE_EE10hipError_tT0_T1_T2_jT3_P12ihipStream_tbPNSt15iterator_traitsISL_E10value_typeEPNSR_ISM_E10value_typeEPSN_NS1_7vsmem_tEENKUlT_SL_SM_SN_E_clIS8_S8_S9_S9_EESK_S10_SL_SM_SN_EUlS10_E1_NS1_11comp_targetILNS1_3genE0ELNS1_11target_archE4294967295ELNS1_3gpuE0ELNS1_3repE0EEENS1_36merge_oddeven_config_static_selectorELNS0_4arch9wavefront6targetE0EEEvSM_
	.p2align	8
	.type	_ZN7rocprim17ROCPRIM_400000_NS6detail17trampoline_kernelINS0_14default_configENS1_38merge_sort_block_merge_config_selectorIlNS0_10empty_typeEEEZZNS1_27merge_sort_block_merge_implIS3_PlPS5_mZN2at6native12_GLOBAL__N_124unique_dim_cuda_templateIdEESt5tupleIJNSA_6TensorESF_SF_EERKSF_lbbbEUlllE_EE10hipError_tT0_T1_T2_jT3_P12ihipStream_tbPNSt15iterator_traitsISL_E10value_typeEPNSR_ISM_E10value_typeEPSN_NS1_7vsmem_tEENKUlT_SL_SM_SN_E_clIS8_S8_S9_S9_EESK_S10_SL_SM_SN_EUlS10_E1_NS1_11comp_targetILNS1_3genE0ELNS1_11target_archE4294967295ELNS1_3gpuE0ELNS1_3repE0EEENS1_36merge_oddeven_config_static_selectorELNS0_4arch9wavefront6targetE0EEEvSM_,@function
_ZN7rocprim17ROCPRIM_400000_NS6detail17trampoline_kernelINS0_14default_configENS1_38merge_sort_block_merge_config_selectorIlNS0_10empty_typeEEEZZNS1_27merge_sort_block_merge_implIS3_PlPS5_mZN2at6native12_GLOBAL__N_124unique_dim_cuda_templateIdEESt5tupleIJNSA_6TensorESF_SF_EERKSF_lbbbEUlllE_EE10hipError_tT0_T1_T2_jT3_P12ihipStream_tbPNSt15iterator_traitsISL_E10value_typeEPNSR_ISM_E10value_typeEPSN_NS1_7vsmem_tEENKUlT_SL_SM_SN_E_clIS8_S8_S9_S9_EESK_S10_SL_SM_SN_EUlS10_E1_NS1_11comp_targetILNS1_3genE0ELNS1_11target_archE4294967295ELNS1_3gpuE0ELNS1_3repE0EEENS1_36merge_oddeven_config_static_selectorELNS0_4arch9wavefront6targetE0EEEvSM_: ; @_ZN7rocprim17ROCPRIM_400000_NS6detail17trampoline_kernelINS0_14default_configENS1_38merge_sort_block_merge_config_selectorIlNS0_10empty_typeEEEZZNS1_27merge_sort_block_merge_implIS3_PlPS5_mZN2at6native12_GLOBAL__N_124unique_dim_cuda_templateIdEESt5tupleIJNSA_6TensorESF_SF_EERKSF_lbbbEUlllE_EE10hipError_tT0_T1_T2_jT3_P12ihipStream_tbPNSt15iterator_traitsISL_E10value_typeEPNSR_ISM_E10value_typeEPSN_NS1_7vsmem_tEENKUlT_SL_SM_SN_E_clIS8_S8_S9_S9_EESK_S10_SL_SM_SN_EUlS10_E1_NS1_11comp_targetILNS1_3genE0ELNS1_11target_archE4294967295ELNS1_3gpuE0ELNS1_3repE0EEENS1_36merge_oddeven_config_static_selectorELNS0_4arch9wavefront6targetE0EEEvSM_
; %bb.0:
	.section	.rodata,"a",@progbits
	.p2align	6, 0x0
	.amdhsa_kernel _ZN7rocprim17ROCPRIM_400000_NS6detail17trampoline_kernelINS0_14default_configENS1_38merge_sort_block_merge_config_selectorIlNS0_10empty_typeEEEZZNS1_27merge_sort_block_merge_implIS3_PlPS5_mZN2at6native12_GLOBAL__N_124unique_dim_cuda_templateIdEESt5tupleIJNSA_6TensorESF_SF_EERKSF_lbbbEUlllE_EE10hipError_tT0_T1_T2_jT3_P12ihipStream_tbPNSt15iterator_traitsISL_E10value_typeEPNSR_ISM_E10value_typeEPSN_NS1_7vsmem_tEENKUlT_SL_SM_SN_E_clIS8_S8_S9_S9_EESK_S10_SL_SM_SN_EUlS10_E1_NS1_11comp_targetILNS1_3genE0ELNS1_11target_archE4294967295ELNS1_3gpuE0ELNS1_3repE0EEENS1_36merge_oddeven_config_static_selectorELNS0_4arch9wavefront6targetE0EEEvSM_
		.amdhsa_group_segment_fixed_size 0
		.amdhsa_private_segment_fixed_size 0
		.amdhsa_kernarg_size 64
		.amdhsa_user_sgpr_count 15
		.amdhsa_user_sgpr_dispatch_ptr 0
		.amdhsa_user_sgpr_queue_ptr 0
		.amdhsa_user_sgpr_kernarg_segment_ptr 1
		.amdhsa_user_sgpr_dispatch_id 0
		.amdhsa_user_sgpr_private_segment_size 0
		.amdhsa_wavefront_size32 1
		.amdhsa_uses_dynamic_stack 0
		.amdhsa_enable_private_segment 0
		.amdhsa_system_sgpr_workgroup_id_x 1
		.amdhsa_system_sgpr_workgroup_id_y 0
		.amdhsa_system_sgpr_workgroup_id_z 0
		.amdhsa_system_sgpr_workgroup_info 0
		.amdhsa_system_vgpr_workitem_id 0
		.amdhsa_next_free_vgpr 1
		.amdhsa_next_free_sgpr 1
		.amdhsa_reserve_vcc 0
		.amdhsa_float_round_mode_32 0
		.amdhsa_float_round_mode_16_64 0
		.amdhsa_float_denorm_mode_32 3
		.amdhsa_float_denorm_mode_16_64 3
		.amdhsa_dx10_clamp 1
		.amdhsa_ieee_mode 1
		.amdhsa_fp16_overflow 0
		.amdhsa_workgroup_processor_mode 1
		.amdhsa_memory_ordered 1
		.amdhsa_forward_progress 0
		.amdhsa_shared_vgpr_count 0
		.amdhsa_exception_fp_ieee_invalid_op 0
		.amdhsa_exception_fp_denorm_src 0
		.amdhsa_exception_fp_ieee_div_zero 0
		.amdhsa_exception_fp_ieee_overflow 0
		.amdhsa_exception_fp_ieee_underflow 0
		.amdhsa_exception_fp_ieee_inexact 0
		.amdhsa_exception_int_div_zero 0
	.end_amdhsa_kernel
	.section	.text._ZN7rocprim17ROCPRIM_400000_NS6detail17trampoline_kernelINS0_14default_configENS1_38merge_sort_block_merge_config_selectorIlNS0_10empty_typeEEEZZNS1_27merge_sort_block_merge_implIS3_PlPS5_mZN2at6native12_GLOBAL__N_124unique_dim_cuda_templateIdEESt5tupleIJNSA_6TensorESF_SF_EERKSF_lbbbEUlllE_EE10hipError_tT0_T1_T2_jT3_P12ihipStream_tbPNSt15iterator_traitsISL_E10value_typeEPNSR_ISM_E10value_typeEPSN_NS1_7vsmem_tEENKUlT_SL_SM_SN_E_clIS8_S8_S9_S9_EESK_S10_SL_SM_SN_EUlS10_E1_NS1_11comp_targetILNS1_3genE0ELNS1_11target_archE4294967295ELNS1_3gpuE0ELNS1_3repE0EEENS1_36merge_oddeven_config_static_selectorELNS0_4arch9wavefront6targetE0EEEvSM_,"axG",@progbits,_ZN7rocprim17ROCPRIM_400000_NS6detail17trampoline_kernelINS0_14default_configENS1_38merge_sort_block_merge_config_selectorIlNS0_10empty_typeEEEZZNS1_27merge_sort_block_merge_implIS3_PlPS5_mZN2at6native12_GLOBAL__N_124unique_dim_cuda_templateIdEESt5tupleIJNSA_6TensorESF_SF_EERKSF_lbbbEUlllE_EE10hipError_tT0_T1_T2_jT3_P12ihipStream_tbPNSt15iterator_traitsISL_E10value_typeEPNSR_ISM_E10value_typeEPSN_NS1_7vsmem_tEENKUlT_SL_SM_SN_E_clIS8_S8_S9_S9_EESK_S10_SL_SM_SN_EUlS10_E1_NS1_11comp_targetILNS1_3genE0ELNS1_11target_archE4294967295ELNS1_3gpuE0ELNS1_3repE0EEENS1_36merge_oddeven_config_static_selectorELNS0_4arch9wavefront6targetE0EEEvSM_,comdat
.Lfunc_end774:
	.size	_ZN7rocprim17ROCPRIM_400000_NS6detail17trampoline_kernelINS0_14default_configENS1_38merge_sort_block_merge_config_selectorIlNS0_10empty_typeEEEZZNS1_27merge_sort_block_merge_implIS3_PlPS5_mZN2at6native12_GLOBAL__N_124unique_dim_cuda_templateIdEESt5tupleIJNSA_6TensorESF_SF_EERKSF_lbbbEUlllE_EE10hipError_tT0_T1_T2_jT3_P12ihipStream_tbPNSt15iterator_traitsISL_E10value_typeEPNSR_ISM_E10value_typeEPSN_NS1_7vsmem_tEENKUlT_SL_SM_SN_E_clIS8_S8_S9_S9_EESK_S10_SL_SM_SN_EUlS10_E1_NS1_11comp_targetILNS1_3genE0ELNS1_11target_archE4294967295ELNS1_3gpuE0ELNS1_3repE0EEENS1_36merge_oddeven_config_static_selectorELNS0_4arch9wavefront6targetE0EEEvSM_, .Lfunc_end774-_ZN7rocprim17ROCPRIM_400000_NS6detail17trampoline_kernelINS0_14default_configENS1_38merge_sort_block_merge_config_selectorIlNS0_10empty_typeEEEZZNS1_27merge_sort_block_merge_implIS3_PlPS5_mZN2at6native12_GLOBAL__N_124unique_dim_cuda_templateIdEESt5tupleIJNSA_6TensorESF_SF_EERKSF_lbbbEUlllE_EE10hipError_tT0_T1_T2_jT3_P12ihipStream_tbPNSt15iterator_traitsISL_E10value_typeEPNSR_ISM_E10value_typeEPSN_NS1_7vsmem_tEENKUlT_SL_SM_SN_E_clIS8_S8_S9_S9_EESK_S10_SL_SM_SN_EUlS10_E1_NS1_11comp_targetILNS1_3genE0ELNS1_11target_archE4294967295ELNS1_3gpuE0ELNS1_3repE0EEENS1_36merge_oddeven_config_static_selectorELNS0_4arch9wavefront6targetE0EEEvSM_
                                        ; -- End function
	.section	.AMDGPU.csdata,"",@progbits
; Kernel info:
; codeLenInByte = 0
; NumSgprs: 0
; NumVgprs: 0
; ScratchSize: 0
; MemoryBound: 0
; FloatMode: 240
; IeeeMode: 1
; LDSByteSize: 0 bytes/workgroup (compile time only)
; SGPRBlocks: 0
; VGPRBlocks: 0
; NumSGPRsForWavesPerEU: 1
; NumVGPRsForWavesPerEU: 1
; Occupancy: 16
; WaveLimiterHint : 0
; COMPUTE_PGM_RSRC2:SCRATCH_EN: 0
; COMPUTE_PGM_RSRC2:USER_SGPR: 15
; COMPUTE_PGM_RSRC2:TRAP_HANDLER: 0
; COMPUTE_PGM_RSRC2:TGID_X_EN: 1
; COMPUTE_PGM_RSRC2:TGID_Y_EN: 0
; COMPUTE_PGM_RSRC2:TGID_Z_EN: 0
; COMPUTE_PGM_RSRC2:TIDIG_COMP_CNT: 0
	.section	.text._ZN7rocprim17ROCPRIM_400000_NS6detail17trampoline_kernelINS0_14default_configENS1_38merge_sort_block_merge_config_selectorIlNS0_10empty_typeEEEZZNS1_27merge_sort_block_merge_implIS3_PlPS5_mZN2at6native12_GLOBAL__N_124unique_dim_cuda_templateIdEESt5tupleIJNSA_6TensorESF_SF_EERKSF_lbbbEUlllE_EE10hipError_tT0_T1_T2_jT3_P12ihipStream_tbPNSt15iterator_traitsISL_E10value_typeEPNSR_ISM_E10value_typeEPSN_NS1_7vsmem_tEENKUlT_SL_SM_SN_E_clIS8_S8_S9_S9_EESK_S10_SL_SM_SN_EUlS10_E1_NS1_11comp_targetILNS1_3genE10ELNS1_11target_archE1201ELNS1_3gpuE5ELNS1_3repE0EEENS1_36merge_oddeven_config_static_selectorELNS0_4arch9wavefront6targetE0EEEvSM_,"axG",@progbits,_ZN7rocprim17ROCPRIM_400000_NS6detail17trampoline_kernelINS0_14default_configENS1_38merge_sort_block_merge_config_selectorIlNS0_10empty_typeEEEZZNS1_27merge_sort_block_merge_implIS3_PlPS5_mZN2at6native12_GLOBAL__N_124unique_dim_cuda_templateIdEESt5tupleIJNSA_6TensorESF_SF_EERKSF_lbbbEUlllE_EE10hipError_tT0_T1_T2_jT3_P12ihipStream_tbPNSt15iterator_traitsISL_E10value_typeEPNSR_ISM_E10value_typeEPSN_NS1_7vsmem_tEENKUlT_SL_SM_SN_E_clIS8_S8_S9_S9_EESK_S10_SL_SM_SN_EUlS10_E1_NS1_11comp_targetILNS1_3genE10ELNS1_11target_archE1201ELNS1_3gpuE5ELNS1_3repE0EEENS1_36merge_oddeven_config_static_selectorELNS0_4arch9wavefront6targetE0EEEvSM_,comdat
	.globl	_ZN7rocprim17ROCPRIM_400000_NS6detail17trampoline_kernelINS0_14default_configENS1_38merge_sort_block_merge_config_selectorIlNS0_10empty_typeEEEZZNS1_27merge_sort_block_merge_implIS3_PlPS5_mZN2at6native12_GLOBAL__N_124unique_dim_cuda_templateIdEESt5tupleIJNSA_6TensorESF_SF_EERKSF_lbbbEUlllE_EE10hipError_tT0_T1_T2_jT3_P12ihipStream_tbPNSt15iterator_traitsISL_E10value_typeEPNSR_ISM_E10value_typeEPSN_NS1_7vsmem_tEENKUlT_SL_SM_SN_E_clIS8_S8_S9_S9_EESK_S10_SL_SM_SN_EUlS10_E1_NS1_11comp_targetILNS1_3genE10ELNS1_11target_archE1201ELNS1_3gpuE5ELNS1_3repE0EEENS1_36merge_oddeven_config_static_selectorELNS0_4arch9wavefront6targetE0EEEvSM_ ; -- Begin function _ZN7rocprim17ROCPRIM_400000_NS6detail17trampoline_kernelINS0_14default_configENS1_38merge_sort_block_merge_config_selectorIlNS0_10empty_typeEEEZZNS1_27merge_sort_block_merge_implIS3_PlPS5_mZN2at6native12_GLOBAL__N_124unique_dim_cuda_templateIdEESt5tupleIJNSA_6TensorESF_SF_EERKSF_lbbbEUlllE_EE10hipError_tT0_T1_T2_jT3_P12ihipStream_tbPNSt15iterator_traitsISL_E10value_typeEPNSR_ISM_E10value_typeEPSN_NS1_7vsmem_tEENKUlT_SL_SM_SN_E_clIS8_S8_S9_S9_EESK_S10_SL_SM_SN_EUlS10_E1_NS1_11comp_targetILNS1_3genE10ELNS1_11target_archE1201ELNS1_3gpuE5ELNS1_3repE0EEENS1_36merge_oddeven_config_static_selectorELNS0_4arch9wavefront6targetE0EEEvSM_
	.p2align	8
	.type	_ZN7rocprim17ROCPRIM_400000_NS6detail17trampoline_kernelINS0_14default_configENS1_38merge_sort_block_merge_config_selectorIlNS0_10empty_typeEEEZZNS1_27merge_sort_block_merge_implIS3_PlPS5_mZN2at6native12_GLOBAL__N_124unique_dim_cuda_templateIdEESt5tupleIJNSA_6TensorESF_SF_EERKSF_lbbbEUlllE_EE10hipError_tT0_T1_T2_jT3_P12ihipStream_tbPNSt15iterator_traitsISL_E10value_typeEPNSR_ISM_E10value_typeEPSN_NS1_7vsmem_tEENKUlT_SL_SM_SN_E_clIS8_S8_S9_S9_EESK_S10_SL_SM_SN_EUlS10_E1_NS1_11comp_targetILNS1_3genE10ELNS1_11target_archE1201ELNS1_3gpuE5ELNS1_3repE0EEENS1_36merge_oddeven_config_static_selectorELNS0_4arch9wavefront6targetE0EEEvSM_,@function
_ZN7rocprim17ROCPRIM_400000_NS6detail17trampoline_kernelINS0_14default_configENS1_38merge_sort_block_merge_config_selectorIlNS0_10empty_typeEEEZZNS1_27merge_sort_block_merge_implIS3_PlPS5_mZN2at6native12_GLOBAL__N_124unique_dim_cuda_templateIdEESt5tupleIJNSA_6TensorESF_SF_EERKSF_lbbbEUlllE_EE10hipError_tT0_T1_T2_jT3_P12ihipStream_tbPNSt15iterator_traitsISL_E10value_typeEPNSR_ISM_E10value_typeEPSN_NS1_7vsmem_tEENKUlT_SL_SM_SN_E_clIS8_S8_S9_S9_EESK_S10_SL_SM_SN_EUlS10_E1_NS1_11comp_targetILNS1_3genE10ELNS1_11target_archE1201ELNS1_3gpuE5ELNS1_3repE0EEENS1_36merge_oddeven_config_static_selectorELNS0_4arch9wavefront6targetE0EEEvSM_: ; @_ZN7rocprim17ROCPRIM_400000_NS6detail17trampoline_kernelINS0_14default_configENS1_38merge_sort_block_merge_config_selectorIlNS0_10empty_typeEEEZZNS1_27merge_sort_block_merge_implIS3_PlPS5_mZN2at6native12_GLOBAL__N_124unique_dim_cuda_templateIdEESt5tupleIJNSA_6TensorESF_SF_EERKSF_lbbbEUlllE_EE10hipError_tT0_T1_T2_jT3_P12ihipStream_tbPNSt15iterator_traitsISL_E10value_typeEPNSR_ISM_E10value_typeEPSN_NS1_7vsmem_tEENKUlT_SL_SM_SN_E_clIS8_S8_S9_S9_EESK_S10_SL_SM_SN_EUlS10_E1_NS1_11comp_targetILNS1_3genE10ELNS1_11target_archE1201ELNS1_3gpuE5ELNS1_3repE0EEENS1_36merge_oddeven_config_static_selectorELNS0_4arch9wavefront6targetE0EEEvSM_
; %bb.0:
	.section	.rodata,"a",@progbits
	.p2align	6, 0x0
	.amdhsa_kernel _ZN7rocprim17ROCPRIM_400000_NS6detail17trampoline_kernelINS0_14default_configENS1_38merge_sort_block_merge_config_selectorIlNS0_10empty_typeEEEZZNS1_27merge_sort_block_merge_implIS3_PlPS5_mZN2at6native12_GLOBAL__N_124unique_dim_cuda_templateIdEESt5tupleIJNSA_6TensorESF_SF_EERKSF_lbbbEUlllE_EE10hipError_tT0_T1_T2_jT3_P12ihipStream_tbPNSt15iterator_traitsISL_E10value_typeEPNSR_ISM_E10value_typeEPSN_NS1_7vsmem_tEENKUlT_SL_SM_SN_E_clIS8_S8_S9_S9_EESK_S10_SL_SM_SN_EUlS10_E1_NS1_11comp_targetILNS1_3genE10ELNS1_11target_archE1201ELNS1_3gpuE5ELNS1_3repE0EEENS1_36merge_oddeven_config_static_selectorELNS0_4arch9wavefront6targetE0EEEvSM_
		.amdhsa_group_segment_fixed_size 0
		.amdhsa_private_segment_fixed_size 0
		.amdhsa_kernarg_size 64
		.amdhsa_user_sgpr_count 15
		.amdhsa_user_sgpr_dispatch_ptr 0
		.amdhsa_user_sgpr_queue_ptr 0
		.amdhsa_user_sgpr_kernarg_segment_ptr 1
		.amdhsa_user_sgpr_dispatch_id 0
		.amdhsa_user_sgpr_private_segment_size 0
		.amdhsa_wavefront_size32 1
		.amdhsa_uses_dynamic_stack 0
		.amdhsa_enable_private_segment 0
		.amdhsa_system_sgpr_workgroup_id_x 1
		.amdhsa_system_sgpr_workgroup_id_y 0
		.amdhsa_system_sgpr_workgroup_id_z 0
		.amdhsa_system_sgpr_workgroup_info 0
		.amdhsa_system_vgpr_workitem_id 0
		.amdhsa_next_free_vgpr 1
		.amdhsa_next_free_sgpr 1
		.amdhsa_reserve_vcc 0
		.amdhsa_float_round_mode_32 0
		.amdhsa_float_round_mode_16_64 0
		.amdhsa_float_denorm_mode_32 3
		.amdhsa_float_denorm_mode_16_64 3
		.amdhsa_dx10_clamp 1
		.amdhsa_ieee_mode 1
		.amdhsa_fp16_overflow 0
		.amdhsa_workgroup_processor_mode 1
		.amdhsa_memory_ordered 1
		.amdhsa_forward_progress 0
		.amdhsa_shared_vgpr_count 0
		.amdhsa_exception_fp_ieee_invalid_op 0
		.amdhsa_exception_fp_denorm_src 0
		.amdhsa_exception_fp_ieee_div_zero 0
		.amdhsa_exception_fp_ieee_overflow 0
		.amdhsa_exception_fp_ieee_underflow 0
		.amdhsa_exception_fp_ieee_inexact 0
		.amdhsa_exception_int_div_zero 0
	.end_amdhsa_kernel
	.section	.text._ZN7rocprim17ROCPRIM_400000_NS6detail17trampoline_kernelINS0_14default_configENS1_38merge_sort_block_merge_config_selectorIlNS0_10empty_typeEEEZZNS1_27merge_sort_block_merge_implIS3_PlPS5_mZN2at6native12_GLOBAL__N_124unique_dim_cuda_templateIdEESt5tupleIJNSA_6TensorESF_SF_EERKSF_lbbbEUlllE_EE10hipError_tT0_T1_T2_jT3_P12ihipStream_tbPNSt15iterator_traitsISL_E10value_typeEPNSR_ISM_E10value_typeEPSN_NS1_7vsmem_tEENKUlT_SL_SM_SN_E_clIS8_S8_S9_S9_EESK_S10_SL_SM_SN_EUlS10_E1_NS1_11comp_targetILNS1_3genE10ELNS1_11target_archE1201ELNS1_3gpuE5ELNS1_3repE0EEENS1_36merge_oddeven_config_static_selectorELNS0_4arch9wavefront6targetE0EEEvSM_,"axG",@progbits,_ZN7rocprim17ROCPRIM_400000_NS6detail17trampoline_kernelINS0_14default_configENS1_38merge_sort_block_merge_config_selectorIlNS0_10empty_typeEEEZZNS1_27merge_sort_block_merge_implIS3_PlPS5_mZN2at6native12_GLOBAL__N_124unique_dim_cuda_templateIdEESt5tupleIJNSA_6TensorESF_SF_EERKSF_lbbbEUlllE_EE10hipError_tT0_T1_T2_jT3_P12ihipStream_tbPNSt15iterator_traitsISL_E10value_typeEPNSR_ISM_E10value_typeEPSN_NS1_7vsmem_tEENKUlT_SL_SM_SN_E_clIS8_S8_S9_S9_EESK_S10_SL_SM_SN_EUlS10_E1_NS1_11comp_targetILNS1_3genE10ELNS1_11target_archE1201ELNS1_3gpuE5ELNS1_3repE0EEENS1_36merge_oddeven_config_static_selectorELNS0_4arch9wavefront6targetE0EEEvSM_,comdat
.Lfunc_end775:
	.size	_ZN7rocprim17ROCPRIM_400000_NS6detail17trampoline_kernelINS0_14default_configENS1_38merge_sort_block_merge_config_selectorIlNS0_10empty_typeEEEZZNS1_27merge_sort_block_merge_implIS3_PlPS5_mZN2at6native12_GLOBAL__N_124unique_dim_cuda_templateIdEESt5tupleIJNSA_6TensorESF_SF_EERKSF_lbbbEUlllE_EE10hipError_tT0_T1_T2_jT3_P12ihipStream_tbPNSt15iterator_traitsISL_E10value_typeEPNSR_ISM_E10value_typeEPSN_NS1_7vsmem_tEENKUlT_SL_SM_SN_E_clIS8_S8_S9_S9_EESK_S10_SL_SM_SN_EUlS10_E1_NS1_11comp_targetILNS1_3genE10ELNS1_11target_archE1201ELNS1_3gpuE5ELNS1_3repE0EEENS1_36merge_oddeven_config_static_selectorELNS0_4arch9wavefront6targetE0EEEvSM_, .Lfunc_end775-_ZN7rocprim17ROCPRIM_400000_NS6detail17trampoline_kernelINS0_14default_configENS1_38merge_sort_block_merge_config_selectorIlNS0_10empty_typeEEEZZNS1_27merge_sort_block_merge_implIS3_PlPS5_mZN2at6native12_GLOBAL__N_124unique_dim_cuda_templateIdEESt5tupleIJNSA_6TensorESF_SF_EERKSF_lbbbEUlllE_EE10hipError_tT0_T1_T2_jT3_P12ihipStream_tbPNSt15iterator_traitsISL_E10value_typeEPNSR_ISM_E10value_typeEPSN_NS1_7vsmem_tEENKUlT_SL_SM_SN_E_clIS8_S8_S9_S9_EESK_S10_SL_SM_SN_EUlS10_E1_NS1_11comp_targetILNS1_3genE10ELNS1_11target_archE1201ELNS1_3gpuE5ELNS1_3repE0EEENS1_36merge_oddeven_config_static_selectorELNS0_4arch9wavefront6targetE0EEEvSM_
                                        ; -- End function
	.section	.AMDGPU.csdata,"",@progbits
; Kernel info:
; codeLenInByte = 0
; NumSgprs: 0
; NumVgprs: 0
; ScratchSize: 0
; MemoryBound: 0
; FloatMode: 240
; IeeeMode: 1
; LDSByteSize: 0 bytes/workgroup (compile time only)
; SGPRBlocks: 0
; VGPRBlocks: 0
; NumSGPRsForWavesPerEU: 1
; NumVGPRsForWavesPerEU: 1
; Occupancy: 16
; WaveLimiterHint : 0
; COMPUTE_PGM_RSRC2:SCRATCH_EN: 0
; COMPUTE_PGM_RSRC2:USER_SGPR: 15
; COMPUTE_PGM_RSRC2:TRAP_HANDLER: 0
; COMPUTE_PGM_RSRC2:TGID_X_EN: 1
; COMPUTE_PGM_RSRC2:TGID_Y_EN: 0
; COMPUTE_PGM_RSRC2:TGID_Z_EN: 0
; COMPUTE_PGM_RSRC2:TIDIG_COMP_CNT: 0
	.section	.text._ZN7rocprim17ROCPRIM_400000_NS6detail17trampoline_kernelINS0_14default_configENS1_38merge_sort_block_merge_config_selectorIlNS0_10empty_typeEEEZZNS1_27merge_sort_block_merge_implIS3_PlPS5_mZN2at6native12_GLOBAL__N_124unique_dim_cuda_templateIdEESt5tupleIJNSA_6TensorESF_SF_EERKSF_lbbbEUlllE_EE10hipError_tT0_T1_T2_jT3_P12ihipStream_tbPNSt15iterator_traitsISL_E10value_typeEPNSR_ISM_E10value_typeEPSN_NS1_7vsmem_tEENKUlT_SL_SM_SN_E_clIS8_S8_S9_S9_EESK_S10_SL_SM_SN_EUlS10_E1_NS1_11comp_targetILNS1_3genE5ELNS1_11target_archE942ELNS1_3gpuE9ELNS1_3repE0EEENS1_36merge_oddeven_config_static_selectorELNS0_4arch9wavefront6targetE0EEEvSM_,"axG",@progbits,_ZN7rocprim17ROCPRIM_400000_NS6detail17trampoline_kernelINS0_14default_configENS1_38merge_sort_block_merge_config_selectorIlNS0_10empty_typeEEEZZNS1_27merge_sort_block_merge_implIS3_PlPS5_mZN2at6native12_GLOBAL__N_124unique_dim_cuda_templateIdEESt5tupleIJNSA_6TensorESF_SF_EERKSF_lbbbEUlllE_EE10hipError_tT0_T1_T2_jT3_P12ihipStream_tbPNSt15iterator_traitsISL_E10value_typeEPNSR_ISM_E10value_typeEPSN_NS1_7vsmem_tEENKUlT_SL_SM_SN_E_clIS8_S8_S9_S9_EESK_S10_SL_SM_SN_EUlS10_E1_NS1_11comp_targetILNS1_3genE5ELNS1_11target_archE942ELNS1_3gpuE9ELNS1_3repE0EEENS1_36merge_oddeven_config_static_selectorELNS0_4arch9wavefront6targetE0EEEvSM_,comdat
	.globl	_ZN7rocprim17ROCPRIM_400000_NS6detail17trampoline_kernelINS0_14default_configENS1_38merge_sort_block_merge_config_selectorIlNS0_10empty_typeEEEZZNS1_27merge_sort_block_merge_implIS3_PlPS5_mZN2at6native12_GLOBAL__N_124unique_dim_cuda_templateIdEESt5tupleIJNSA_6TensorESF_SF_EERKSF_lbbbEUlllE_EE10hipError_tT0_T1_T2_jT3_P12ihipStream_tbPNSt15iterator_traitsISL_E10value_typeEPNSR_ISM_E10value_typeEPSN_NS1_7vsmem_tEENKUlT_SL_SM_SN_E_clIS8_S8_S9_S9_EESK_S10_SL_SM_SN_EUlS10_E1_NS1_11comp_targetILNS1_3genE5ELNS1_11target_archE942ELNS1_3gpuE9ELNS1_3repE0EEENS1_36merge_oddeven_config_static_selectorELNS0_4arch9wavefront6targetE0EEEvSM_ ; -- Begin function _ZN7rocprim17ROCPRIM_400000_NS6detail17trampoline_kernelINS0_14default_configENS1_38merge_sort_block_merge_config_selectorIlNS0_10empty_typeEEEZZNS1_27merge_sort_block_merge_implIS3_PlPS5_mZN2at6native12_GLOBAL__N_124unique_dim_cuda_templateIdEESt5tupleIJNSA_6TensorESF_SF_EERKSF_lbbbEUlllE_EE10hipError_tT0_T1_T2_jT3_P12ihipStream_tbPNSt15iterator_traitsISL_E10value_typeEPNSR_ISM_E10value_typeEPSN_NS1_7vsmem_tEENKUlT_SL_SM_SN_E_clIS8_S8_S9_S9_EESK_S10_SL_SM_SN_EUlS10_E1_NS1_11comp_targetILNS1_3genE5ELNS1_11target_archE942ELNS1_3gpuE9ELNS1_3repE0EEENS1_36merge_oddeven_config_static_selectorELNS0_4arch9wavefront6targetE0EEEvSM_
	.p2align	8
	.type	_ZN7rocprim17ROCPRIM_400000_NS6detail17trampoline_kernelINS0_14default_configENS1_38merge_sort_block_merge_config_selectorIlNS0_10empty_typeEEEZZNS1_27merge_sort_block_merge_implIS3_PlPS5_mZN2at6native12_GLOBAL__N_124unique_dim_cuda_templateIdEESt5tupleIJNSA_6TensorESF_SF_EERKSF_lbbbEUlllE_EE10hipError_tT0_T1_T2_jT3_P12ihipStream_tbPNSt15iterator_traitsISL_E10value_typeEPNSR_ISM_E10value_typeEPSN_NS1_7vsmem_tEENKUlT_SL_SM_SN_E_clIS8_S8_S9_S9_EESK_S10_SL_SM_SN_EUlS10_E1_NS1_11comp_targetILNS1_3genE5ELNS1_11target_archE942ELNS1_3gpuE9ELNS1_3repE0EEENS1_36merge_oddeven_config_static_selectorELNS0_4arch9wavefront6targetE0EEEvSM_,@function
_ZN7rocprim17ROCPRIM_400000_NS6detail17trampoline_kernelINS0_14default_configENS1_38merge_sort_block_merge_config_selectorIlNS0_10empty_typeEEEZZNS1_27merge_sort_block_merge_implIS3_PlPS5_mZN2at6native12_GLOBAL__N_124unique_dim_cuda_templateIdEESt5tupleIJNSA_6TensorESF_SF_EERKSF_lbbbEUlllE_EE10hipError_tT0_T1_T2_jT3_P12ihipStream_tbPNSt15iterator_traitsISL_E10value_typeEPNSR_ISM_E10value_typeEPSN_NS1_7vsmem_tEENKUlT_SL_SM_SN_E_clIS8_S8_S9_S9_EESK_S10_SL_SM_SN_EUlS10_E1_NS1_11comp_targetILNS1_3genE5ELNS1_11target_archE942ELNS1_3gpuE9ELNS1_3repE0EEENS1_36merge_oddeven_config_static_selectorELNS0_4arch9wavefront6targetE0EEEvSM_: ; @_ZN7rocprim17ROCPRIM_400000_NS6detail17trampoline_kernelINS0_14default_configENS1_38merge_sort_block_merge_config_selectorIlNS0_10empty_typeEEEZZNS1_27merge_sort_block_merge_implIS3_PlPS5_mZN2at6native12_GLOBAL__N_124unique_dim_cuda_templateIdEESt5tupleIJNSA_6TensorESF_SF_EERKSF_lbbbEUlllE_EE10hipError_tT0_T1_T2_jT3_P12ihipStream_tbPNSt15iterator_traitsISL_E10value_typeEPNSR_ISM_E10value_typeEPSN_NS1_7vsmem_tEENKUlT_SL_SM_SN_E_clIS8_S8_S9_S9_EESK_S10_SL_SM_SN_EUlS10_E1_NS1_11comp_targetILNS1_3genE5ELNS1_11target_archE942ELNS1_3gpuE9ELNS1_3repE0EEENS1_36merge_oddeven_config_static_selectorELNS0_4arch9wavefront6targetE0EEEvSM_
; %bb.0:
	.section	.rodata,"a",@progbits
	.p2align	6, 0x0
	.amdhsa_kernel _ZN7rocprim17ROCPRIM_400000_NS6detail17trampoline_kernelINS0_14default_configENS1_38merge_sort_block_merge_config_selectorIlNS0_10empty_typeEEEZZNS1_27merge_sort_block_merge_implIS3_PlPS5_mZN2at6native12_GLOBAL__N_124unique_dim_cuda_templateIdEESt5tupleIJNSA_6TensorESF_SF_EERKSF_lbbbEUlllE_EE10hipError_tT0_T1_T2_jT3_P12ihipStream_tbPNSt15iterator_traitsISL_E10value_typeEPNSR_ISM_E10value_typeEPSN_NS1_7vsmem_tEENKUlT_SL_SM_SN_E_clIS8_S8_S9_S9_EESK_S10_SL_SM_SN_EUlS10_E1_NS1_11comp_targetILNS1_3genE5ELNS1_11target_archE942ELNS1_3gpuE9ELNS1_3repE0EEENS1_36merge_oddeven_config_static_selectorELNS0_4arch9wavefront6targetE0EEEvSM_
		.amdhsa_group_segment_fixed_size 0
		.amdhsa_private_segment_fixed_size 0
		.amdhsa_kernarg_size 64
		.amdhsa_user_sgpr_count 15
		.amdhsa_user_sgpr_dispatch_ptr 0
		.amdhsa_user_sgpr_queue_ptr 0
		.amdhsa_user_sgpr_kernarg_segment_ptr 1
		.amdhsa_user_sgpr_dispatch_id 0
		.amdhsa_user_sgpr_private_segment_size 0
		.amdhsa_wavefront_size32 1
		.amdhsa_uses_dynamic_stack 0
		.amdhsa_enable_private_segment 0
		.amdhsa_system_sgpr_workgroup_id_x 1
		.amdhsa_system_sgpr_workgroup_id_y 0
		.amdhsa_system_sgpr_workgroup_id_z 0
		.amdhsa_system_sgpr_workgroup_info 0
		.amdhsa_system_vgpr_workitem_id 0
		.amdhsa_next_free_vgpr 1
		.amdhsa_next_free_sgpr 1
		.amdhsa_reserve_vcc 0
		.amdhsa_float_round_mode_32 0
		.amdhsa_float_round_mode_16_64 0
		.amdhsa_float_denorm_mode_32 3
		.amdhsa_float_denorm_mode_16_64 3
		.amdhsa_dx10_clamp 1
		.amdhsa_ieee_mode 1
		.amdhsa_fp16_overflow 0
		.amdhsa_workgroup_processor_mode 1
		.amdhsa_memory_ordered 1
		.amdhsa_forward_progress 0
		.amdhsa_shared_vgpr_count 0
		.amdhsa_exception_fp_ieee_invalid_op 0
		.amdhsa_exception_fp_denorm_src 0
		.amdhsa_exception_fp_ieee_div_zero 0
		.amdhsa_exception_fp_ieee_overflow 0
		.amdhsa_exception_fp_ieee_underflow 0
		.amdhsa_exception_fp_ieee_inexact 0
		.amdhsa_exception_int_div_zero 0
	.end_amdhsa_kernel
	.section	.text._ZN7rocprim17ROCPRIM_400000_NS6detail17trampoline_kernelINS0_14default_configENS1_38merge_sort_block_merge_config_selectorIlNS0_10empty_typeEEEZZNS1_27merge_sort_block_merge_implIS3_PlPS5_mZN2at6native12_GLOBAL__N_124unique_dim_cuda_templateIdEESt5tupleIJNSA_6TensorESF_SF_EERKSF_lbbbEUlllE_EE10hipError_tT0_T1_T2_jT3_P12ihipStream_tbPNSt15iterator_traitsISL_E10value_typeEPNSR_ISM_E10value_typeEPSN_NS1_7vsmem_tEENKUlT_SL_SM_SN_E_clIS8_S8_S9_S9_EESK_S10_SL_SM_SN_EUlS10_E1_NS1_11comp_targetILNS1_3genE5ELNS1_11target_archE942ELNS1_3gpuE9ELNS1_3repE0EEENS1_36merge_oddeven_config_static_selectorELNS0_4arch9wavefront6targetE0EEEvSM_,"axG",@progbits,_ZN7rocprim17ROCPRIM_400000_NS6detail17trampoline_kernelINS0_14default_configENS1_38merge_sort_block_merge_config_selectorIlNS0_10empty_typeEEEZZNS1_27merge_sort_block_merge_implIS3_PlPS5_mZN2at6native12_GLOBAL__N_124unique_dim_cuda_templateIdEESt5tupleIJNSA_6TensorESF_SF_EERKSF_lbbbEUlllE_EE10hipError_tT0_T1_T2_jT3_P12ihipStream_tbPNSt15iterator_traitsISL_E10value_typeEPNSR_ISM_E10value_typeEPSN_NS1_7vsmem_tEENKUlT_SL_SM_SN_E_clIS8_S8_S9_S9_EESK_S10_SL_SM_SN_EUlS10_E1_NS1_11comp_targetILNS1_3genE5ELNS1_11target_archE942ELNS1_3gpuE9ELNS1_3repE0EEENS1_36merge_oddeven_config_static_selectorELNS0_4arch9wavefront6targetE0EEEvSM_,comdat
.Lfunc_end776:
	.size	_ZN7rocprim17ROCPRIM_400000_NS6detail17trampoline_kernelINS0_14default_configENS1_38merge_sort_block_merge_config_selectorIlNS0_10empty_typeEEEZZNS1_27merge_sort_block_merge_implIS3_PlPS5_mZN2at6native12_GLOBAL__N_124unique_dim_cuda_templateIdEESt5tupleIJNSA_6TensorESF_SF_EERKSF_lbbbEUlllE_EE10hipError_tT0_T1_T2_jT3_P12ihipStream_tbPNSt15iterator_traitsISL_E10value_typeEPNSR_ISM_E10value_typeEPSN_NS1_7vsmem_tEENKUlT_SL_SM_SN_E_clIS8_S8_S9_S9_EESK_S10_SL_SM_SN_EUlS10_E1_NS1_11comp_targetILNS1_3genE5ELNS1_11target_archE942ELNS1_3gpuE9ELNS1_3repE0EEENS1_36merge_oddeven_config_static_selectorELNS0_4arch9wavefront6targetE0EEEvSM_, .Lfunc_end776-_ZN7rocprim17ROCPRIM_400000_NS6detail17trampoline_kernelINS0_14default_configENS1_38merge_sort_block_merge_config_selectorIlNS0_10empty_typeEEEZZNS1_27merge_sort_block_merge_implIS3_PlPS5_mZN2at6native12_GLOBAL__N_124unique_dim_cuda_templateIdEESt5tupleIJNSA_6TensorESF_SF_EERKSF_lbbbEUlllE_EE10hipError_tT0_T1_T2_jT3_P12ihipStream_tbPNSt15iterator_traitsISL_E10value_typeEPNSR_ISM_E10value_typeEPSN_NS1_7vsmem_tEENKUlT_SL_SM_SN_E_clIS8_S8_S9_S9_EESK_S10_SL_SM_SN_EUlS10_E1_NS1_11comp_targetILNS1_3genE5ELNS1_11target_archE942ELNS1_3gpuE9ELNS1_3repE0EEENS1_36merge_oddeven_config_static_selectorELNS0_4arch9wavefront6targetE0EEEvSM_
                                        ; -- End function
	.section	.AMDGPU.csdata,"",@progbits
; Kernel info:
; codeLenInByte = 0
; NumSgprs: 0
; NumVgprs: 0
; ScratchSize: 0
; MemoryBound: 0
; FloatMode: 240
; IeeeMode: 1
; LDSByteSize: 0 bytes/workgroup (compile time only)
; SGPRBlocks: 0
; VGPRBlocks: 0
; NumSGPRsForWavesPerEU: 1
; NumVGPRsForWavesPerEU: 1
; Occupancy: 16
; WaveLimiterHint : 0
; COMPUTE_PGM_RSRC2:SCRATCH_EN: 0
; COMPUTE_PGM_RSRC2:USER_SGPR: 15
; COMPUTE_PGM_RSRC2:TRAP_HANDLER: 0
; COMPUTE_PGM_RSRC2:TGID_X_EN: 1
; COMPUTE_PGM_RSRC2:TGID_Y_EN: 0
; COMPUTE_PGM_RSRC2:TGID_Z_EN: 0
; COMPUTE_PGM_RSRC2:TIDIG_COMP_CNT: 0
	.section	.text._ZN7rocprim17ROCPRIM_400000_NS6detail17trampoline_kernelINS0_14default_configENS1_38merge_sort_block_merge_config_selectorIlNS0_10empty_typeEEEZZNS1_27merge_sort_block_merge_implIS3_PlPS5_mZN2at6native12_GLOBAL__N_124unique_dim_cuda_templateIdEESt5tupleIJNSA_6TensorESF_SF_EERKSF_lbbbEUlllE_EE10hipError_tT0_T1_T2_jT3_P12ihipStream_tbPNSt15iterator_traitsISL_E10value_typeEPNSR_ISM_E10value_typeEPSN_NS1_7vsmem_tEENKUlT_SL_SM_SN_E_clIS8_S8_S9_S9_EESK_S10_SL_SM_SN_EUlS10_E1_NS1_11comp_targetILNS1_3genE4ELNS1_11target_archE910ELNS1_3gpuE8ELNS1_3repE0EEENS1_36merge_oddeven_config_static_selectorELNS0_4arch9wavefront6targetE0EEEvSM_,"axG",@progbits,_ZN7rocprim17ROCPRIM_400000_NS6detail17trampoline_kernelINS0_14default_configENS1_38merge_sort_block_merge_config_selectorIlNS0_10empty_typeEEEZZNS1_27merge_sort_block_merge_implIS3_PlPS5_mZN2at6native12_GLOBAL__N_124unique_dim_cuda_templateIdEESt5tupleIJNSA_6TensorESF_SF_EERKSF_lbbbEUlllE_EE10hipError_tT0_T1_T2_jT3_P12ihipStream_tbPNSt15iterator_traitsISL_E10value_typeEPNSR_ISM_E10value_typeEPSN_NS1_7vsmem_tEENKUlT_SL_SM_SN_E_clIS8_S8_S9_S9_EESK_S10_SL_SM_SN_EUlS10_E1_NS1_11comp_targetILNS1_3genE4ELNS1_11target_archE910ELNS1_3gpuE8ELNS1_3repE0EEENS1_36merge_oddeven_config_static_selectorELNS0_4arch9wavefront6targetE0EEEvSM_,comdat
	.globl	_ZN7rocprim17ROCPRIM_400000_NS6detail17trampoline_kernelINS0_14default_configENS1_38merge_sort_block_merge_config_selectorIlNS0_10empty_typeEEEZZNS1_27merge_sort_block_merge_implIS3_PlPS5_mZN2at6native12_GLOBAL__N_124unique_dim_cuda_templateIdEESt5tupleIJNSA_6TensorESF_SF_EERKSF_lbbbEUlllE_EE10hipError_tT0_T1_T2_jT3_P12ihipStream_tbPNSt15iterator_traitsISL_E10value_typeEPNSR_ISM_E10value_typeEPSN_NS1_7vsmem_tEENKUlT_SL_SM_SN_E_clIS8_S8_S9_S9_EESK_S10_SL_SM_SN_EUlS10_E1_NS1_11comp_targetILNS1_3genE4ELNS1_11target_archE910ELNS1_3gpuE8ELNS1_3repE0EEENS1_36merge_oddeven_config_static_selectorELNS0_4arch9wavefront6targetE0EEEvSM_ ; -- Begin function _ZN7rocprim17ROCPRIM_400000_NS6detail17trampoline_kernelINS0_14default_configENS1_38merge_sort_block_merge_config_selectorIlNS0_10empty_typeEEEZZNS1_27merge_sort_block_merge_implIS3_PlPS5_mZN2at6native12_GLOBAL__N_124unique_dim_cuda_templateIdEESt5tupleIJNSA_6TensorESF_SF_EERKSF_lbbbEUlllE_EE10hipError_tT0_T1_T2_jT3_P12ihipStream_tbPNSt15iterator_traitsISL_E10value_typeEPNSR_ISM_E10value_typeEPSN_NS1_7vsmem_tEENKUlT_SL_SM_SN_E_clIS8_S8_S9_S9_EESK_S10_SL_SM_SN_EUlS10_E1_NS1_11comp_targetILNS1_3genE4ELNS1_11target_archE910ELNS1_3gpuE8ELNS1_3repE0EEENS1_36merge_oddeven_config_static_selectorELNS0_4arch9wavefront6targetE0EEEvSM_
	.p2align	8
	.type	_ZN7rocprim17ROCPRIM_400000_NS6detail17trampoline_kernelINS0_14default_configENS1_38merge_sort_block_merge_config_selectorIlNS0_10empty_typeEEEZZNS1_27merge_sort_block_merge_implIS3_PlPS5_mZN2at6native12_GLOBAL__N_124unique_dim_cuda_templateIdEESt5tupleIJNSA_6TensorESF_SF_EERKSF_lbbbEUlllE_EE10hipError_tT0_T1_T2_jT3_P12ihipStream_tbPNSt15iterator_traitsISL_E10value_typeEPNSR_ISM_E10value_typeEPSN_NS1_7vsmem_tEENKUlT_SL_SM_SN_E_clIS8_S8_S9_S9_EESK_S10_SL_SM_SN_EUlS10_E1_NS1_11comp_targetILNS1_3genE4ELNS1_11target_archE910ELNS1_3gpuE8ELNS1_3repE0EEENS1_36merge_oddeven_config_static_selectorELNS0_4arch9wavefront6targetE0EEEvSM_,@function
_ZN7rocprim17ROCPRIM_400000_NS6detail17trampoline_kernelINS0_14default_configENS1_38merge_sort_block_merge_config_selectorIlNS0_10empty_typeEEEZZNS1_27merge_sort_block_merge_implIS3_PlPS5_mZN2at6native12_GLOBAL__N_124unique_dim_cuda_templateIdEESt5tupleIJNSA_6TensorESF_SF_EERKSF_lbbbEUlllE_EE10hipError_tT0_T1_T2_jT3_P12ihipStream_tbPNSt15iterator_traitsISL_E10value_typeEPNSR_ISM_E10value_typeEPSN_NS1_7vsmem_tEENKUlT_SL_SM_SN_E_clIS8_S8_S9_S9_EESK_S10_SL_SM_SN_EUlS10_E1_NS1_11comp_targetILNS1_3genE4ELNS1_11target_archE910ELNS1_3gpuE8ELNS1_3repE0EEENS1_36merge_oddeven_config_static_selectorELNS0_4arch9wavefront6targetE0EEEvSM_: ; @_ZN7rocprim17ROCPRIM_400000_NS6detail17trampoline_kernelINS0_14default_configENS1_38merge_sort_block_merge_config_selectorIlNS0_10empty_typeEEEZZNS1_27merge_sort_block_merge_implIS3_PlPS5_mZN2at6native12_GLOBAL__N_124unique_dim_cuda_templateIdEESt5tupleIJNSA_6TensorESF_SF_EERKSF_lbbbEUlllE_EE10hipError_tT0_T1_T2_jT3_P12ihipStream_tbPNSt15iterator_traitsISL_E10value_typeEPNSR_ISM_E10value_typeEPSN_NS1_7vsmem_tEENKUlT_SL_SM_SN_E_clIS8_S8_S9_S9_EESK_S10_SL_SM_SN_EUlS10_E1_NS1_11comp_targetILNS1_3genE4ELNS1_11target_archE910ELNS1_3gpuE8ELNS1_3repE0EEENS1_36merge_oddeven_config_static_selectorELNS0_4arch9wavefront6targetE0EEEvSM_
; %bb.0:
	.section	.rodata,"a",@progbits
	.p2align	6, 0x0
	.amdhsa_kernel _ZN7rocprim17ROCPRIM_400000_NS6detail17trampoline_kernelINS0_14default_configENS1_38merge_sort_block_merge_config_selectorIlNS0_10empty_typeEEEZZNS1_27merge_sort_block_merge_implIS3_PlPS5_mZN2at6native12_GLOBAL__N_124unique_dim_cuda_templateIdEESt5tupleIJNSA_6TensorESF_SF_EERKSF_lbbbEUlllE_EE10hipError_tT0_T1_T2_jT3_P12ihipStream_tbPNSt15iterator_traitsISL_E10value_typeEPNSR_ISM_E10value_typeEPSN_NS1_7vsmem_tEENKUlT_SL_SM_SN_E_clIS8_S8_S9_S9_EESK_S10_SL_SM_SN_EUlS10_E1_NS1_11comp_targetILNS1_3genE4ELNS1_11target_archE910ELNS1_3gpuE8ELNS1_3repE0EEENS1_36merge_oddeven_config_static_selectorELNS0_4arch9wavefront6targetE0EEEvSM_
		.amdhsa_group_segment_fixed_size 0
		.amdhsa_private_segment_fixed_size 0
		.amdhsa_kernarg_size 64
		.amdhsa_user_sgpr_count 15
		.amdhsa_user_sgpr_dispatch_ptr 0
		.amdhsa_user_sgpr_queue_ptr 0
		.amdhsa_user_sgpr_kernarg_segment_ptr 1
		.amdhsa_user_sgpr_dispatch_id 0
		.amdhsa_user_sgpr_private_segment_size 0
		.amdhsa_wavefront_size32 1
		.amdhsa_uses_dynamic_stack 0
		.amdhsa_enable_private_segment 0
		.amdhsa_system_sgpr_workgroup_id_x 1
		.amdhsa_system_sgpr_workgroup_id_y 0
		.amdhsa_system_sgpr_workgroup_id_z 0
		.amdhsa_system_sgpr_workgroup_info 0
		.amdhsa_system_vgpr_workitem_id 0
		.amdhsa_next_free_vgpr 1
		.amdhsa_next_free_sgpr 1
		.amdhsa_reserve_vcc 0
		.amdhsa_float_round_mode_32 0
		.amdhsa_float_round_mode_16_64 0
		.amdhsa_float_denorm_mode_32 3
		.amdhsa_float_denorm_mode_16_64 3
		.amdhsa_dx10_clamp 1
		.amdhsa_ieee_mode 1
		.amdhsa_fp16_overflow 0
		.amdhsa_workgroup_processor_mode 1
		.amdhsa_memory_ordered 1
		.amdhsa_forward_progress 0
		.amdhsa_shared_vgpr_count 0
		.amdhsa_exception_fp_ieee_invalid_op 0
		.amdhsa_exception_fp_denorm_src 0
		.amdhsa_exception_fp_ieee_div_zero 0
		.amdhsa_exception_fp_ieee_overflow 0
		.amdhsa_exception_fp_ieee_underflow 0
		.amdhsa_exception_fp_ieee_inexact 0
		.amdhsa_exception_int_div_zero 0
	.end_amdhsa_kernel
	.section	.text._ZN7rocprim17ROCPRIM_400000_NS6detail17trampoline_kernelINS0_14default_configENS1_38merge_sort_block_merge_config_selectorIlNS0_10empty_typeEEEZZNS1_27merge_sort_block_merge_implIS3_PlPS5_mZN2at6native12_GLOBAL__N_124unique_dim_cuda_templateIdEESt5tupleIJNSA_6TensorESF_SF_EERKSF_lbbbEUlllE_EE10hipError_tT0_T1_T2_jT3_P12ihipStream_tbPNSt15iterator_traitsISL_E10value_typeEPNSR_ISM_E10value_typeEPSN_NS1_7vsmem_tEENKUlT_SL_SM_SN_E_clIS8_S8_S9_S9_EESK_S10_SL_SM_SN_EUlS10_E1_NS1_11comp_targetILNS1_3genE4ELNS1_11target_archE910ELNS1_3gpuE8ELNS1_3repE0EEENS1_36merge_oddeven_config_static_selectorELNS0_4arch9wavefront6targetE0EEEvSM_,"axG",@progbits,_ZN7rocprim17ROCPRIM_400000_NS6detail17trampoline_kernelINS0_14default_configENS1_38merge_sort_block_merge_config_selectorIlNS0_10empty_typeEEEZZNS1_27merge_sort_block_merge_implIS3_PlPS5_mZN2at6native12_GLOBAL__N_124unique_dim_cuda_templateIdEESt5tupleIJNSA_6TensorESF_SF_EERKSF_lbbbEUlllE_EE10hipError_tT0_T1_T2_jT3_P12ihipStream_tbPNSt15iterator_traitsISL_E10value_typeEPNSR_ISM_E10value_typeEPSN_NS1_7vsmem_tEENKUlT_SL_SM_SN_E_clIS8_S8_S9_S9_EESK_S10_SL_SM_SN_EUlS10_E1_NS1_11comp_targetILNS1_3genE4ELNS1_11target_archE910ELNS1_3gpuE8ELNS1_3repE0EEENS1_36merge_oddeven_config_static_selectorELNS0_4arch9wavefront6targetE0EEEvSM_,comdat
.Lfunc_end777:
	.size	_ZN7rocprim17ROCPRIM_400000_NS6detail17trampoline_kernelINS0_14default_configENS1_38merge_sort_block_merge_config_selectorIlNS0_10empty_typeEEEZZNS1_27merge_sort_block_merge_implIS3_PlPS5_mZN2at6native12_GLOBAL__N_124unique_dim_cuda_templateIdEESt5tupleIJNSA_6TensorESF_SF_EERKSF_lbbbEUlllE_EE10hipError_tT0_T1_T2_jT3_P12ihipStream_tbPNSt15iterator_traitsISL_E10value_typeEPNSR_ISM_E10value_typeEPSN_NS1_7vsmem_tEENKUlT_SL_SM_SN_E_clIS8_S8_S9_S9_EESK_S10_SL_SM_SN_EUlS10_E1_NS1_11comp_targetILNS1_3genE4ELNS1_11target_archE910ELNS1_3gpuE8ELNS1_3repE0EEENS1_36merge_oddeven_config_static_selectorELNS0_4arch9wavefront6targetE0EEEvSM_, .Lfunc_end777-_ZN7rocprim17ROCPRIM_400000_NS6detail17trampoline_kernelINS0_14default_configENS1_38merge_sort_block_merge_config_selectorIlNS0_10empty_typeEEEZZNS1_27merge_sort_block_merge_implIS3_PlPS5_mZN2at6native12_GLOBAL__N_124unique_dim_cuda_templateIdEESt5tupleIJNSA_6TensorESF_SF_EERKSF_lbbbEUlllE_EE10hipError_tT0_T1_T2_jT3_P12ihipStream_tbPNSt15iterator_traitsISL_E10value_typeEPNSR_ISM_E10value_typeEPSN_NS1_7vsmem_tEENKUlT_SL_SM_SN_E_clIS8_S8_S9_S9_EESK_S10_SL_SM_SN_EUlS10_E1_NS1_11comp_targetILNS1_3genE4ELNS1_11target_archE910ELNS1_3gpuE8ELNS1_3repE0EEENS1_36merge_oddeven_config_static_selectorELNS0_4arch9wavefront6targetE0EEEvSM_
                                        ; -- End function
	.section	.AMDGPU.csdata,"",@progbits
; Kernel info:
; codeLenInByte = 0
; NumSgprs: 0
; NumVgprs: 0
; ScratchSize: 0
; MemoryBound: 0
; FloatMode: 240
; IeeeMode: 1
; LDSByteSize: 0 bytes/workgroup (compile time only)
; SGPRBlocks: 0
; VGPRBlocks: 0
; NumSGPRsForWavesPerEU: 1
; NumVGPRsForWavesPerEU: 1
; Occupancy: 16
; WaveLimiterHint : 0
; COMPUTE_PGM_RSRC2:SCRATCH_EN: 0
; COMPUTE_PGM_RSRC2:USER_SGPR: 15
; COMPUTE_PGM_RSRC2:TRAP_HANDLER: 0
; COMPUTE_PGM_RSRC2:TGID_X_EN: 1
; COMPUTE_PGM_RSRC2:TGID_Y_EN: 0
; COMPUTE_PGM_RSRC2:TGID_Z_EN: 0
; COMPUTE_PGM_RSRC2:TIDIG_COMP_CNT: 0
	.section	.text._ZN7rocprim17ROCPRIM_400000_NS6detail17trampoline_kernelINS0_14default_configENS1_38merge_sort_block_merge_config_selectorIlNS0_10empty_typeEEEZZNS1_27merge_sort_block_merge_implIS3_PlPS5_mZN2at6native12_GLOBAL__N_124unique_dim_cuda_templateIdEESt5tupleIJNSA_6TensorESF_SF_EERKSF_lbbbEUlllE_EE10hipError_tT0_T1_T2_jT3_P12ihipStream_tbPNSt15iterator_traitsISL_E10value_typeEPNSR_ISM_E10value_typeEPSN_NS1_7vsmem_tEENKUlT_SL_SM_SN_E_clIS8_S8_S9_S9_EESK_S10_SL_SM_SN_EUlS10_E1_NS1_11comp_targetILNS1_3genE3ELNS1_11target_archE908ELNS1_3gpuE7ELNS1_3repE0EEENS1_36merge_oddeven_config_static_selectorELNS0_4arch9wavefront6targetE0EEEvSM_,"axG",@progbits,_ZN7rocprim17ROCPRIM_400000_NS6detail17trampoline_kernelINS0_14default_configENS1_38merge_sort_block_merge_config_selectorIlNS0_10empty_typeEEEZZNS1_27merge_sort_block_merge_implIS3_PlPS5_mZN2at6native12_GLOBAL__N_124unique_dim_cuda_templateIdEESt5tupleIJNSA_6TensorESF_SF_EERKSF_lbbbEUlllE_EE10hipError_tT0_T1_T2_jT3_P12ihipStream_tbPNSt15iterator_traitsISL_E10value_typeEPNSR_ISM_E10value_typeEPSN_NS1_7vsmem_tEENKUlT_SL_SM_SN_E_clIS8_S8_S9_S9_EESK_S10_SL_SM_SN_EUlS10_E1_NS1_11comp_targetILNS1_3genE3ELNS1_11target_archE908ELNS1_3gpuE7ELNS1_3repE0EEENS1_36merge_oddeven_config_static_selectorELNS0_4arch9wavefront6targetE0EEEvSM_,comdat
	.globl	_ZN7rocprim17ROCPRIM_400000_NS6detail17trampoline_kernelINS0_14default_configENS1_38merge_sort_block_merge_config_selectorIlNS0_10empty_typeEEEZZNS1_27merge_sort_block_merge_implIS3_PlPS5_mZN2at6native12_GLOBAL__N_124unique_dim_cuda_templateIdEESt5tupleIJNSA_6TensorESF_SF_EERKSF_lbbbEUlllE_EE10hipError_tT0_T1_T2_jT3_P12ihipStream_tbPNSt15iterator_traitsISL_E10value_typeEPNSR_ISM_E10value_typeEPSN_NS1_7vsmem_tEENKUlT_SL_SM_SN_E_clIS8_S8_S9_S9_EESK_S10_SL_SM_SN_EUlS10_E1_NS1_11comp_targetILNS1_3genE3ELNS1_11target_archE908ELNS1_3gpuE7ELNS1_3repE0EEENS1_36merge_oddeven_config_static_selectorELNS0_4arch9wavefront6targetE0EEEvSM_ ; -- Begin function _ZN7rocprim17ROCPRIM_400000_NS6detail17trampoline_kernelINS0_14default_configENS1_38merge_sort_block_merge_config_selectorIlNS0_10empty_typeEEEZZNS1_27merge_sort_block_merge_implIS3_PlPS5_mZN2at6native12_GLOBAL__N_124unique_dim_cuda_templateIdEESt5tupleIJNSA_6TensorESF_SF_EERKSF_lbbbEUlllE_EE10hipError_tT0_T1_T2_jT3_P12ihipStream_tbPNSt15iterator_traitsISL_E10value_typeEPNSR_ISM_E10value_typeEPSN_NS1_7vsmem_tEENKUlT_SL_SM_SN_E_clIS8_S8_S9_S9_EESK_S10_SL_SM_SN_EUlS10_E1_NS1_11comp_targetILNS1_3genE3ELNS1_11target_archE908ELNS1_3gpuE7ELNS1_3repE0EEENS1_36merge_oddeven_config_static_selectorELNS0_4arch9wavefront6targetE0EEEvSM_
	.p2align	8
	.type	_ZN7rocprim17ROCPRIM_400000_NS6detail17trampoline_kernelINS0_14default_configENS1_38merge_sort_block_merge_config_selectorIlNS0_10empty_typeEEEZZNS1_27merge_sort_block_merge_implIS3_PlPS5_mZN2at6native12_GLOBAL__N_124unique_dim_cuda_templateIdEESt5tupleIJNSA_6TensorESF_SF_EERKSF_lbbbEUlllE_EE10hipError_tT0_T1_T2_jT3_P12ihipStream_tbPNSt15iterator_traitsISL_E10value_typeEPNSR_ISM_E10value_typeEPSN_NS1_7vsmem_tEENKUlT_SL_SM_SN_E_clIS8_S8_S9_S9_EESK_S10_SL_SM_SN_EUlS10_E1_NS1_11comp_targetILNS1_3genE3ELNS1_11target_archE908ELNS1_3gpuE7ELNS1_3repE0EEENS1_36merge_oddeven_config_static_selectorELNS0_4arch9wavefront6targetE0EEEvSM_,@function
_ZN7rocprim17ROCPRIM_400000_NS6detail17trampoline_kernelINS0_14default_configENS1_38merge_sort_block_merge_config_selectorIlNS0_10empty_typeEEEZZNS1_27merge_sort_block_merge_implIS3_PlPS5_mZN2at6native12_GLOBAL__N_124unique_dim_cuda_templateIdEESt5tupleIJNSA_6TensorESF_SF_EERKSF_lbbbEUlllE_EE10hipError_tT0_T1_T2_jT3_P12ihipStream_tbPNSt15iterator_traitsISL_E10value_typeEPNSR_ISM_E10value_typeEPSN_NS1_7vsmem_tEENKUlT_SL_SM_SN_E_clIS8_S8_S9_S9_EESK_S10_SL_SM_SN_EUlS10_E1_NS1_11comp_targetILNS1_3genE3ELNS1_11target_archE908ELNS1_3gpuE7ELNS1_3repE0EEENS1_36merge_oddeven_config_static_selectorELNS0_4arch9wavefront6targetE0EEEvSM_: ; @_ZN7rocprim17ROCPRIM_400000_NS6detail17trampoline_kernelINS0_14default_configENS1_38merge_sort_block_merge_config_selectorIlNS0_10empty_typeEEEZZNS1_27merge_sort_block_merge_implIS3_PlPS5_mZN2at6native12_GLOBAL__N_124unique_dim_cuda_templateIdEESt5tupleIJNSA_6TensorESF_SF_EERKSF_lbbbEUlllE_EE10hipError_tT0_T1_T2_jT3_P12ihipStream_tbPNSt15iterator_traitsISL_E10value_typeEPNSR_ISM_E10value_typeEPSN_NS1_7vsmem_tEENKUlT_SL_SM_SN_E_clIS8_S8_S9_S9_EESK_S10_SL_SM_SN_EUlS10_E1_NS1_11comp_targetILNS1_3genE3ELNS1_11target_archE908ELNS1_3gpuE7ELNS1_3repE0EEENS1_36merge_oddeven_config_static_selectorELNS0_4arch9wavefront6targetE0EEEvSM_
; %bb.0:
	.section	.rodata,"a",@progbits
	.p2align	6, 0x0
	.amdhsa_kernel _ZN7rocprim17ROCPRIM_400000_NS6detail17trampoline_kernelINS0_14default_configENS1_38merge_sort_block_merge_config_selectorIlNS0_10empty_typeEEEZZNS1_27merge_sort_block_merge_implIS3_PlPS5_mZN2at6native12_GLOBAL__N_124unique_dim_cuda_templateIdEESt5tupleIJNSA_6TensorESF_SF_EERKSF_lbbbEUlllE_EE10hipError_tT0_T1_T2_jT3_P12ihipStream_tbPNSt15iterator_traitsISL_E10value_typeEPNSR_ISM_E10value_typeEPSN_NS1_7vsmem_tEENKUlT_SL_SM_SN_E_clIS8_S8_S9_S9_EESK_S10_SL_SM_SN_EUlS10_E1_NS1_11comp_targetILNS1_3genE3ELNS1_11target_archE908ELNS1_3gpuE7ELNS1_3repE0EEENS1_36merge_oddeven_config_static_selectorELNS0_4arch9wavefront6targetE0EEEvSM_
		.amdhsa_group_segment_fixed_size 0
		.amdhsa_private_segment_fixed_size 0
		.amdhsa_kernarg_size 64
		.amdhsa_user_sgpr_count 15
		.amdhsa_user_sgpr_dispatch_ptr 0
		.amdhsa_user_sgpr_queue_ptr 0
		.amdhsa_user_sgpr_kernarg_segment_ptr 1
		.amdhsa_user_sgpr_dispatch_id 0
		.amdhsa_user_sgpr_private_segment_size 0
		.amdhsa_wavefront_size32 1
		.amdhsa_uses_dynamic_stack 0
		.amdhsa_enable_private_segment 0
		.amdhsa_system_sgpr_workgroup_id_x 1
		.amdhsa_system_sgpr_workgroup_id_y 0
		.amdhsa_system_sgpr_workgroup_id_z 0
		.amdhsa_system_sgpr_workgroup_info 0
		.amdhsa_system_vgpr_workitem_id 0
		.amdhsa_next_free_vgpr 1
		.amdhsa_next_free_sgpr 1
		.amdhsa_reserve_vcc 0
		.amdhsa_float_round_mode_32 0
		.amdhsa_float_round_mode_16_64 0
		.amdhsa_float_denorm_mode_32 3
		.amdhsa_float_denorm_mode_16_64 3
		.amdhsa_dx10_clamp 1
		.amdhsa_ieee_mode 1
		.amdhsa_fp16_overflow 0
		.amdhsa_workgroup_processor_mode 1
		.amdhsa_memory_ordered 1
		.amdhsa_forward_progress 0
		.amdhsa_shared_vgpr_count 0
		.amdhsa_exception_fp_ieee_invalid_op 0
		.amdhsa_exception_fp_denorm_src 0
		.amdhsa_exception_fp_ieee_div_zero 0
		.amdhsa_exception_fp_ieee_overflow 0
		.amdhsa_exception_fp_ieee_underflow 0
		.amdhsa_exception_fp_ieee_inexact 0
		.amdhsa_exception_int_div_zero 0
	.end_amdhsa_kernel
	.section	.text._ZN7rocprim17ROCPRIM_400000_NS6detail17trampoline_kernelINS0_14default_configENS1_38merge_sort_block_merge_config_selectorIlNS0_10empty_typeEEEZZNS1_27merge_sort_block_merge_implIS3_PlPS5_mZN2at6native12_GLOBAL__N_124unique_dim_cuda_templateIdEESt5tupleIJNSA_6TensorESF_SF_EERKSF_lbbbEUlllE_EE10hipError_tT0_T1_T2_jT3_P12ihipStream_tbPNSt15iterator_traitsISL_E10value_typeEPNSR_ISM_E10value_typeEPSN_NS1_7vsmem_tEENKUlT_SL_SM_SN_E_clIS8_S8_S9_S9_EESK_S10_SL_SM_SN_EUlS10_E1_NS1_11comp_targetILNS1_3genE3ELNS1_11target_archE908ELNS1_3gpuE7ELNS1_3repE0EEENS1_36merge_oddeven_config_static_selectorELNS0_4arch9wavefront6targetE0EEEvSM_,"axG",@progbits,_ZN7rocprim17ROCPRIM_400000_NS6detail17trampoline_kernelINS0_14default_configENS1_38merge_sort_block_merge_config_selectorIlNS0_10empty_typeEEEZZNS1_27merge_sort_block_merge_implIS3_PlPS5_mZN2at6native12_GLOBAL__N_124unique_dim_cuda_templateIdEESt5tupleIJNSA_6TensorESF_SF_EERKSF_lbbbEUlllE_EE10hipError_tT0_T1_T2_jT3_P12ihipStream_tbPNSt15iterator_traitsISL_E10value_typeEPNSR_ISM_E10value_typeEPSN_NS1_7vsmem_tEENKUlT_SL_SM_SN_E_clIS8_S8_S9_S9_EESK_S10_SL_SM_SN_EUlS10_E1_NS1_11comp_targetILNS1_3genE3ELNS1_11target_archE908ELNS1_3gpuE7ELNS1_3repE0EEENS1_36merge_oddeven_config_static_selectorELNS0_4arch9wavefront6targetE0EEEvSM_,comdat
.Lfunc_end778:
	.size	_ZN7rocprim17ROCPRIM_400000_NS6detail17trampoline_kernelINS0_14default_configENS1_38merge_sort_block_merge_config_selectorIlNS0_10empty_typeEEEZZNS1_27merge_sort_block_merge_implIS3_PlPS5_mZN2at6native12_GLOBAL__N_124unique_dim_cuda_templateIdEESt5tupleIJNSA_6TensorESF_SF_EERKSF_lbbbEUlllE_EE10hipError_tT0_T1_T2_jT3_P12ihipStream_tbPNSt15iterator_traitsISL_E10value_typeEPNSR_ISM_E10value_typeEPSN_NS1_7vsmem_tEENKUlT_SL_SM_SN_E_clIS8_S8_S9_S9_EESK_S10_SL_SM_SN_EUlS10_E1_NS1_11comp_targetILNS1_3genE3ELNS1_11target_archE908ELNS1_3gpuE7ELNS1_3repE0EEENS1_36merge_oddeven_config_static_selectorELNS0_4arch9wavefront6targetE0EEEvSM_, .Lfunc_end778-_ZN7rocprim17ROCPRIM_400000_NS6detail17trampoline_kernelINS0_14default_configENS1_38merge_sort_block_merge_config_selectorIlNS0_10empty_typeEEEZZNS1_27merge_sort_block_merge_implIS3_PlPS5_mZN2at6native12_GLOBAL__N_124unique_dim_cuda_templateIdEESt5tupleIJNSA_6TensorESF_SF_EERKSF_lbbbEUlllE_EE10hipError_tT0_T1_T2_jT3_P12ihipStream_tbPNSt15iterator_traitsISL_E10value_typeEPNSR_ISM_E10value_typeEPSN_NS1_7vsmem_tEENKUlT_SL_SM_SN_E_clIS8_S8_S9_S9_EESK_S10_SL_SM_SN_EUlS10_E1_NS1_11comp_targetILNS1_3genE3ELNS1_11target_archE908ELNS1_3gpuE7ELNS1_3repE0EEENS1_36merge_oddeven_config_static_selectorELNS0_4arch9wavefront6targetE0EEEvSM_
                                        ; -- End function
	.section	.AMDGPU.csdata,"",@progbits
; Kernel info:
; codeLenInByte = 0
; NumSgprs: 0
; NumVgprs: 0
; ScratchSize: 0
; MemoryBound: 0
; FloatMode: 240
; IeeeMode: 1
; LDSByteSize: 0 bytes/workgroup (compile time only)
; SGPRBlocks: 0
; VGPRBlocks: 0
; NumSGPRsForWavesPerEU: 1
; NumVGPRsForWavesPerEU: 1
; Occupancy: 16
; WaveLimiterHint : 0
; COMPUTE_PGM_RSRC2:SCRATCH_EN: 0
; COMPUTE_PGM_RSRC2:USER_SGPR: 15
; COMPUTE_PGM_RSRC2:TRAP_HANDLER: 0
; COMPUTE_PGM_RSRC2:TGID_X_EN: 1
; COMPUTE_PGM_RSRC2:TGID_Y_EN: 0
; COMPUTE_PGM_RSRC2:TGID_Z_EN: 0
; COMPUTE_PGM_RSRC2:TIDIG_COMP_CNT: 0
	.section	.text._ZN7rocprim17ROCPRIM_400000_NS6detail17trampoline_kernelINS0_14default_configENS1_38merge_sort_block_merge_config_selectorIlNS0_10empty_typeEEEZZNS1_27merge_sort_block_merge_implIS3_PlPS5_mZN2at6native12_GLOBAL__N_124unique_dim_cuda_templateIdEESt5tupleIJNSA_6TensorESF_SF_EERKSF_lbbbEUlllE_EE10hipError_tT0_T1_T2_jT3_P12ihipStream_tbPNSt15iterator_traitsISL_E10value_typeEPNSR_ISM_E10value_typeEPSN_NS1_7vsmem_tEENKUlT_SL_SM_SN_E_clIS8_S8_S9_S9_EESK_S10_SL_SM_SN_EUlS10_E1_NS1_11comp_targetILNS1_3genE2ELNS1_11target_archE906ELNS1_3gpuE6ELNS1_3repE0EEENS1_36merge_oddeven_config_static_selectorELNS0_4arch9wavefront6targetE0EEEvSM_,"axG",@progbits,_ZN7rocprim17ROCPRIM_400000_NS6detail17trampoline_kernelINS0_14default_configENS1_38merge_sort_block_merge_config_selectorIlNS0_10empty_typeEEEZZNS1_27merge_sort_block_merge_implIS3_PlPS5_mZN2at6native12_GLOBAL__N_124unique_dim_cuda_templateIdEESt5tupleIJNSA_6TensorESF_SF_EERKSF_lbbbEUlllE_EE10hipError_tT0_T1_T2_jT3_P12ihipStream_tbPNSt15iterator_traitsISL_E10value_typeEPNSR_ISM_E10value_typeEPSN_NS1_7vsmem_tEENKUlT_SL_SM_SN_E_clIS8_S8_S9_S9_EESK_S10_SL_SM_SN_EUlS10_E1_NS1_11comp_targetILNS1_3genE2ELNS1_11target_archE906ELNS1_3gpuE6ELNS1_3repE0EEENS1_36merge_oddeven_config_static_selectorELNS0_4arch9wavefront6targetE0EEEvSM_,comdat
	.globl	_ZN7rocprim17ROCPRIM_400000_NS6detail17trampoline_kernelINS0_14default_configENS1_38merge_sort_block_merge_config_selectorIlNS0_10empty_typeEEEZZNS1_27merge_sort_block_merge_implIS3_PlPS5_mZN2at6native12_GLOBAL__N_124unique_dim_cuda_templateIdEESt5tupleIJNSA_6TensorESF_SF_EERKSF_lbbbEUlllE_EE10hipError_tT0_T1_T2_jT3_P12ihipStream_tbPNSt15iterator_traitsISL_E10value_typeEPNSR_ISM_E10value_typeEPSN_NS1_7vsmem_tEENKUlT_SL_SM_SN_E_clIS8_S8_S9_S9_EESK_S10_SL_SM_SN_EUlS10_E1_NS1_11comp_targetILNS1_3genE2ELNS1_11target_archE906ELNS1_3gpuE6ELNS1_3repE0EEENS1_36merge_oddeven_config_static_selectorELNS0_4arch9wavefront6targetE0EEEvSM_ ; -- Begin function _ZN7rocprim17ROCPRIM_400000_NS6detail17trampoline_kernelINS0_14default_configENS1_38merge_sort_block_merge_config_selectorIlNS0_10empty_typeEEEZZNS1_27merge_sort_block_merge_implIS3_PlPS5_mZN2at6native12_GLOBAL__N_124unique_dim_cuda_templateIdEESt5tupleIJNSA_6TensorESF_SF_EERKSF_lbbbEUlllE_EE10hipError_tT0_T1_T2_jT3_P12ihipStream_tbPNSt15iterator_traitsISL_E10value_typeEPNSR_ISM_E10value_typeEPSN_NS1_7vsmem_tEENKUlT_SL_SM_SN_E_clIS8_S8_S9_S9_EESK_S10_SL_SM_SN_EUlS10_E1_NS1_11comp_targetILNS1_3genE2ELNS1_11target_archE906ELNS1_3gpuE6ELNS1_3repE0EEENS1_36merge_oddeven_config_static_selectorELNS0_4arch9wavefront6targetE0EEEvSM_
	.p2align	8
	.type	_ZN7rocprim17ROCPRIM_400000_NS6detail17trampoline_kernelINS0_14default_configENS1_38merge_sort_block_merge_config_selectorIlNS0_10empty_typeEEEZZNS1_27merge_sort_block_merge_implIS3_PlPS5_mZN2at6native12_GLOBAL__N_124unique_dim_cuda_templateIdEESt5tupleIJNSA_6TensorESF_SF_EERKSF_lbbbEUlllE_EE10hipError_tT0_T1_T2_jT3_P12ihipStream_tbPNSt15iterator_traitsISL_E10value_typeEPNSR_ISM_E10value_typeEPSN_NS1_7vsmem_tEENKUlT_SL_SM_SN_E_clIS8_S8_S9_S9_EESK_S10_SL_SM_SN_EUlS10_E1_NS1_11comp_targetILNS1_3genE2ELNS1_11target_archE906ELNS1_3gpuE6ELNS1_3repE0EEENS1_36merge_oddeven_config_static_selectorELNS0_4arch9wavefront6targetE0EEEvSM_,@function
_ZN7rocprim17ROCPRIM_400000_NS6detail17trampoline_kernelINS0_14default_configENS1_38merge_sort_block_merge_config_selectorIlNS0_10empty_typeEEEZZNS1_27merge_sort_block_merge_implIS3_PlPS5_mZN2at6native12_GLOBAL__N_124unique_dim_cuda_templateIdEESt5tupleIJNSA_6TensorESF_SF_EERKSF_lbbbEUlllE_EE10hipError_tT0_T1_T2_jT3_P12ihipStream_tbPNSt15iterator_traitsISL_E10value_typeEPNSR_ISM_E10value_typeEPSN_NS1_7vsmem_tEENKUlT_SL_SM_SN_E_clIS8_S8_S9_S9_EESK_S10_SL_SM_SN_EUlS10_E1_NS1_11comp_targetILNS1_3genE2ELNS1_11target_archE906ELNS1_3gpuE6ELNS1_3repE0EEENS1_36merge_oddeven_config_static_selectorELNS0_4arch9wavefront6targetE0EEEvSM_: ; @_ZN7rocprim17ROCPRIM_400000_NS6detail17trampoline_kernelINS0_14default_configENS1_38merge_sort_block_merge_config_selectorIlNS0_10empty_typeEEEZZNS1_27merge_sort_block_merge_implIS3_PlPS5_mZN2at6native12_GLOBAL__N_124unique_dim_cuda_templateIdEESt5tupleIJNSA_6TensorESF_SF_EERKSF_lbbbEUlllE_EE10hipError_tT0_T1_T2_jT3_P12ihipStream_tbPNSt15iterator_traitsISL_E10value_typeEPNSR_ISM_E10value_typeEPSN_NS1_7vsmem_tEENKUlT_SL_SM_SN_E_clIS8_S8_S9_S9_EESK_S10_SL_SM_SN_EUlS10_E1_NS1_11comp_targetILNS1_3genE2ELNS1_11target_archE906ELNS1_3gpuE6ELNS1_3repE0EEENS1_36merge_oddeven_config_static_selectorELNS0_4arch9wavefront6targetE0EEEvSM_
; %bb.0:
	.section	.rodata,"a",@progbits
	.p2align	6, 0x0
	.amdhsa_kernel _ZN7rocprim17ROCPRIM_400000_NS6detail17trampoline_kernelINS0_14default_configENS1_38merge_sort_block_merge_config_selectorIlNS0_10empty_typeEEEZZNS1_27merge_sort_block_merge_implIS3_PlPS5_mZN2at6native12_GLOBAL__N_124unique_dim_cuda_templateIdEESt5tupleIJNSA_6TensorESF_SF_EERKSF_lbbbEUlllE_EE10hipError_tT0_T1_T2_jT3_P12ihipStream_tbPNSt15iterator_traitsISL_E10value_typeEPNSR_ISM_E10value_typeEPSN_NS1_7vsmem_tEENKUlT_SL_SM_SN_E_clIS8_S8_S9_S9_EESK_S10_SL_SM_SN_EUlS10_E1_NS1_11comp_targetILNS1_3genE2ELNS1_11target_archE906ELNS1_3gpuE6ELNS1_3repE0EEENS1_36merge_oddeven_config_static_selectorELNS0_4arch9wavefront6targetE0EEEvSM_
		.amdhsa_group_segment_fixed_size 0
		.amdhsa_private_segment_fixed_size 0
		.amdhsa_kernarg_size 64
		.amdhsa_user_sgpr_count 15
		.amdhsa_user_sgpr_dispatch_ptr 0
		.amdhsa_user_sgpr_queue_ptr 0
		.amdhsa_user_sgpr_kernarg_segment_ptr 1
		.amdhsa_user_sgpr_dispatch_id 0
		.amdhsa_user_sgpr_private_segment_size 0
		.amdhsa_wavefront_size32 1
		.amdhsa_uses_dynamic_stack 0
		.amdhsa_enable_private_segment 0
		.amdhsa_system_sgpr_workgroup_id_x 1
		.amdhsa_system_sgpr_workgroup_id_y 0
		.amdhsa_system_sgpr_workgroup_id_z 0
		.amdhsa_system_sgpr_workgroup_info 0
		.amdhsa_system_vgpr_workitem_id 0
		.amdhsa_next_free_vgpr 1
		.amdhsa_next_free_sgpr 1
		.amdhsa_reserve_vcc 0
		.amdhsa_float_round_mode_32 0
		.amdhsa_float_round_mode_16_64 0
		.amdhsa_float_denorm_mode_32 3
		.amdhsa_float_denorm_mode_16_64 3
		.amdhsa_dx10_clamp 1
		.amdhsa_ieee_mode 1
		.amdhsa_fp16_overflow 0
		.amdhsa_workgroup_processor_mode 1
		.amdhsa_memory_ordered 1
		.amdhsa_forward_progress 0
		.amdhsa_shared_vgpr_count 0
		.amdhsa_exception_fp_ieee_invalid_op 0
		.amdhsa_exception_fp_denorm_src 0
		.amdhsa_exception_fp_ieee_div_zero 0
		.amdhsa_exception_fp_ieee_overflow 0
		.amdhsa_exception_fp_ieee_underflow 0
		.amdhsa_exception_fp_ieee_inexact 0
		.amdhsa_exception_int_div_zero 0
	.end_amdhsa_kernel
	.section	.text._ZN7rocprim17ROCPRIM_400000_NS6detail17trampoline_kernelINS0_14default_configENS1_38merge_sort_block_merge_config_selectorIlNS0_10empty_typeEEEZZNS1_27merge_sort_block_merge_implIS3_PlPS5_mZN2at6native12_GLOBAL__N_124unique_dim_cuda_templateIdEESt5tupleIJNSA_6TensorESF_SF_EERKSF_lbbbEUlllE_EE10hipError_tT0_T1_T2_jT3_P12ihipStream_tbPNSt15iterator_traitsISL_E10value_typeEPNSR_ISM_E10value_typeEPSN_NS1_7vsmem_tEENKUlT_SL_SM_SN_E_clIS8_S8_S9_S9_EESK_S10_SL_SM_SN_EUlS10_E1_NS1_11comp_targetILNS1_3genE2ELNS1_11target_archE906ELNS1_3gpuE6ELNS1_3repE0EEENS1_36merge_oddeven_config_static_selectorELNS0_4arch9wavefront6targetE0EEEvSM_,"axG",@progbits,_ZN7rocprim17ROCPRIM_400000_NS6detail17trampoline_kernelINS0_14default_configENS1_38merge_sort_block_merge_config_selectorIlNS0_10empty_typeEEEZZNS1_27merge_sort_block_merge_implIS3_PlPS5_mZN2at6native12_GLOBAL__N_124unique_dim_cuda_templateIdEESt5tupleIJNSA_6TensorESF_SF_EERKSF_lbbbEUlllE_EE10hipError_tT0_T1_T2_jT3_P12ihipStream_tbPNSt15iterator_traitsISL_E10value_typeEPNSR_ISM_E10value_typeEPSN_NS1_7vsmem_tEENKUlT_SL_SM_SN_E_clIS8_S8_S9_S9_EESK_S10_SL_SM_SN_EUlS10_E1_NS1_11comp_targetILNS1_3genE2ELNS1_11target_archE906ELNS1_3gpuE6ELNS1_3repE0EEENS1_36merge_oddeven_config_static_selectorELNS0_4arch9wavefront6targetE0EEEvSM_,comdat
.Lfunc_end779:
	.size	_ZN7rocprim17ROCPRIM_400000_NS6detail17trampoline_kernelINS0_14default_configENS1_38merge_sort_block_merge_config_selectorIlNS0_10empty_typeEEEZZNS1_27merge_sort_block_merge_implIS3_PlPS5_mZN2at6native12_GLOBAL__N_124unique_dim_cuda_templateIdEESt5tupleIJNSA_6TensorESF_SF_EERKSF_lbbbEUlllE_EE10hipError_tT0_T1_T2_jT3_P12ihipStream_tbPNSt15iterator_traitsISL_E10value_typeEPNSR_ISM_E10value_typeEPSN_NS1_7vsmem_tEENKUlT_SL_SM_SN_E_clIS8_S8_S9_S9_EESK_S10_SL_SM_SN_EUlS10_E1_NS1_11comp_targetILNS1_3genE2ELNS1_11target_archE906ELNS1_3gpuE6ELNS1_3repE0EEENS1_36merge_oddeven_config_static_selectorELNS0_4arch9wavefront6targetE0EEEvSM_, .Lfunc_end779-_ZN7rocprim17ROCPRIM_400000_NS6detail17trampoline_kernelINS0_14default_configENS1_38merge_sort_block_merge_config_selectorIlNS0_10empty_typeEEEZZNS1_27merge_sort_block_merge_implIS3_PlPS5_mZN2at6native12_GLOBAL__N_124unique_dim_cuda_templateIdEESt5tupleIJNSA_6TensorESF_SF_EERKSF_lbbbEUlllE_EE10hipError_tT0_T1_T2_jT3_P12ihipStream_tbPNSt15iterator_traitsISL_E10value_typeEPNSR_ISM_E10value_typeEPSN_NS1_7vsmem_tEENKUlT_SL_SM_SN_E_clIS8_S8_S9_S9_EESK_S10_SL_SM_SN_EUlS10_E1_NS1_11comp_targetILNS1_3genE2ELNS1_11target_archE906ELNS1_3gpuE6ELNS1_3repE0EEENS1_36merge_oddeven_config_static_selectorELNS0_4arch9wavefront6targetE0EEEvSM_
                                        ; -- End function
	.section	.AMDGPU.csdata,"",@progbits
; Kernel info:
; codeLenInByte = 0
; NumSgprs: 0
; NumVgprs: 0
; ScratchSize: 0
; MemoryBound: 0
; FloatMode: 240
; IeeeMode: 1
; LDSByteSize: 0 bytes/workgroup (compile time only)
; SGPRBlocks: 0
; VGPRBlocks: 0
; NumSGPRsForWavesPerEU: 1
; NumVGPRsForWavesPerEU: 1
; Occupancy: 16
; WaveLimiterHint : 0
; COMPUTE_PGM_RSRC2:SCRATCH_EN: 0
; COMPUTE_PGM_RSRC2:USER_SGPR: 15
; COMPUTE_PGM_RSRC2:TRAP_HANDLER: 0
; COMPUTE_PGM_RSRC2:TGID_X_EN: 1
; COMPUTE_PGM_RSRC2:TGID_Y_EN: 0
; COMPUTE_PGM_RSRC2:TGID_Z_EN: 0
; COMPUTE_PGM_RSRC2:TIDIG_COMP_CNT: 0
	.section	.text._ZN7rocprim17ROCPRIM_400000_NS6detail17trampoline_kernelINS0_14default_configENS1_38merge_sort_block_merge_config_selectorIlNS0_10empty_typeEEEZZNS1_27merge_sort_block_merge_implIS3_PlPS5_mZN2at6native12_GLOBAL__N_124unique_dim_cuda_templateIdEESt5tupleIJNSA_6TensorESF_SF_EERKSF_lbbbEUlllE_EE10hipError_tT0_T1_T2_jT3_P12ihipStream_tbPNSt15iterator_traitsISL_E10value_typeEPNSR_ISM_E10value_typeEPSN_NS1_7vsmem_tEENKUlT_SL_SM_SN_E_clIS8_S8_S9_S9_EESK_S10_SL_SM_SN_EUlS10_E1_NS1_11comp_targetILNS1_3genE9ELNS1_11target_archE1100ELNS1_3gpuE3ELNS1_3repE0EEENS1_36merge_oddeven_config_static_selectorELNS0_4arch9wavefront6targetE0EEEvSM_,"axG",@progbits,_ZN7rocprim17ROCPRIM_400000_NS6detail17trampoline_kernelINS0_14default_configENS1_38merge_sort_block_merge_config_selectorIlNS0_10empty_typeEEEZZNS1_27merge_sort_block_merge_implIS3_PlPS5_mZN2at6native12_GLOBAL__N_124unique_dim_cuda_templateIdEESt5tupleIJNSA_6TensorESF_SF_EERKSF_lbbbEUlllE_EE10hipError_tT0_T1_T2_jT3_P12ihipStream_tbPNSt15iterator_traitsISL_E10value_typeEPNSR_ISM_E10value_typeEPSN_NS1_7vsmem_tEENKUlT_SL_SM_SN_E_clIS8_S8_S9_S9_EESK_S10_SL_SM_SN_EUlS10_E1_NS1_11comp_targetILNS1_3genE9ELNS1_11target_archE1100ELNS1_3gpuE3ELNS1_3repE0EEENS1_36merge_oddeven_config_static_selectorELNS0_4arch9wavefront6targetE0EEEvSM_,comdat
	.globl	_ZN7rocprim17ROCPRIM_400000_NS6detail17trampoline_kernelINS0_14default_configENS1_38merge_sort_block_merge_config_selectorIlNS0_10empty_typeEEEZZNS1_27merge_sort_block_merge_implIS3_PlPS5_mZN2at6native12_GLOBAL__N_124unique_dim_cuda_templateIdEESt5tupleIJNSA_6TensorESF_SF_EERKSF_lbbbEUlllE_EE10hipError_tT0_T1_T2_jT3_P12ihipStream_tbPNSt15iterator_traitsISL_E10value_typeEPNSR_ISM_E10value_typeEPSN_NS1_7vsmem_tEENKUlT_SL_SM_SN_E_clIS8_S8_S9_S9_EESK_S10_SL_SM_SN_EUlS10_E1_NS1_11comp_targetILNS1_3genE9ELNS1_11target_archE1100ELNS1_3gpuE3ELNS1_3repE0EEENS1_36merge_oddeven_config_static_selectorELNS0_4arch9wavefront6targetE0EEEvSM_ ; -- Begin function _ZN7rocprim17ROCPRIM_400000_NS6detail17trampoline_kernelINS0_14default_configENS1_38merge_sort_block_merge_config_selectorIlNS0_10empty_typeEEEZZNS1_27merge_sort_block_merge_implIS3_PlPS5_mZN2at6native12_GLOBAL__N_124unique_dim_cuda_templateIdEESt5tupleIJNSA_6TensorESF_SF_EERKSF_lbbbEUlllE_EE10hipError_tT0_T1_T2_jT3_P12ihipStream_tbPNSt15iterator_traitsISL_E10value_typeEPNSR_ISM_E10value_typeEPSN_NS1_7vsmem_tEENKUlT_SL_SM_SN_E_clIS8_S8_S9_S9_EESK_S10_SL_SM_SN_EUlS10_E1_NS1_11comp_targetILNS1_3genE9ELNS1_11target_archE1100ELNS1_3gpuE3ELNS1_3repE0EEENS1_36merge_oddeven_config_static_selectorELNS0_4arch9wavefront6targetE0EEEvSM_
	.p2align	8
	.type	_ZN7rocprim17ROCPRIM_400000_NS6detail17trampoline_kernelINS0_14default_configENS1_38merge_sort_block_merge_config_selectorIlNS0_10empty_typeEEEZZNS1_27merge_sort_block_merge_implIS3_PlPS5_mZN2at6native12_GLOBAL__N_124unique_dim_cuda_templateIdEESt5tupleIJNSA_6TensorESF_SF_EERKSF_lbbbEUlllE_EE10hipError_tT0_T1_T2_jT3_P12ihipStream_tbPNSt15iterator_traitsISL_E10value_typeEPNSR_ISM_E10value_typeEPSN_NS1_7vsmem_tEENKUlT_SL_SM_SN_E_clIS8_S8_S9_S9_EESK_S10_SL_SM_SN_EUlS10_E1_NS1_11comp_targetILNS1_3genE9ELNS1_11target_archE1100ELNS1_3gpuE3ELNS1_3repE0EEENS1_36merge_oddeven_config_static_selectorELNS0_4arch9wavefront6targetE0EEEvSM_,@function
_ZN7rocprim17ROCPRIM_400000_NS6detail17trampoline_kernelINS0_14default_configENS1_38merge_sort_block_merge_config_selectorIlNS0_10empty_typeEEEZZNS1_27merge_sort_block_merge_implIS3_PlPS5_mZN2at6native12_GLOBAL__N_124unique_dim_cuda_templateIdEESt5tupleIJNSA_6TensorESF_SF_EERKSF_lbbbEUlllE_EE10hipError_tT0_T1_T2_jT3_P12ihipStream_tbPNSt15iterator_traitsISL_E10value_typeEPNSR_ISM_E10value_typeEPSN_NS1_7vsmem_tEENKUlT_SL_SM_SN_E_clIS8_S8_S9_S9_EESK_S10_SL_SM_SN_EUlS10_E1_NS1_11comp_targetILNS1_3genE9ELNS1_11target_archE1100ELNS1_3gpuE3ELNS1_3repE0EEENS1_36merge_oddeven_config_static_selectorELNS0_4arch9wavefront6targetE0EEEvSM_: ; @_ZN7rocprim17ROCPRIM_400000_NS6detail17trampoline_kernelINS0_14default_configENS1_38merge_sort_block_merge_config_selectorIlNS0_10empty_typeEEEZZNS1_27merge_sort_block_merge_implIS3_PlPS5_mZN2at6native12_GLOBAL__N_124unique_dim_cuda_templateIdEESt5tupleIJNSA_6TensorESF_SF_EERKSF_lbbbEUlllE_EE10hipError_tT0_T1_T2_jT3_P12ihipStream_tbPNSt15iterator_traitsISL_E10value_typeEPNSR_ISM_E10value_typeEPSN_NS1_7vsmem_tEENKUlT_SL_SM_SN_E_clIS8_S8_S9_S9_EESK_S10_SL_SM_SN_EUlS10_E1_NS1_11comp_targetILNS1_3genE9ELNS1_11target_archE1100ELNS1_3gpuE3ELNS1_3repE0EEENS1_36merge_oddeven_config_static_selectorELNS0_4arch9wavefront6targetE0EEEvSM_
; %bb.0:
	s_load_b32 s3, s[0:1], 0x20
	s_waitcnt lgkmcnt(0)
	s_lshr_b32 s2, s3, 8
	s_delay_alu instid0(SALU_CYCLE_1) | instskip(SKIP_4) | instid1(SALU_CYCLE_1)
	s_cmp_lg_u32 s15, s2
	s_cselect_b32 s8, -1, 0
	s_cmp_eq_u32 s15, s2
	s_cselect_b32 s14, -1, 0
	s_lshl_b32 s12, s15, 8
	s_sub_i32 s2, s3, s12
	s_delay_alu instid0(SALU_CYCLE_1) | instskip(NEXT) | instid1(VALU_DEP_1)
	v_cmp_gt_u32_e64 s2, s2, v0
	s_or_b32 s4, s8, s2
	s_delay_alu instid0(SALU_CYCLE_1)
	s_and_saveexec_b32 s5, s4
	s_cbranch_execz .LBB780_54
; %bb.1:
	s_clause 0x1
	s_load_b128 s[4:7], s[0:1], 0x0
	s_load_b32 s18, s[0:1], 0x28
	s_mov_b32 s13, 0
	v_lshlrev_b32_e32 v1, 3, v0
	s_lshl_b64 s[10:11], s[12:13], 3
	s_waitcnt lgkmcnt(0)
	s_add_u32 s10, s4, s10
	s_addc_u32 s11, s5, s11
	s_lshr_b32 s9, s18, 8
	global_load_b64 v[1:2], v1, s[10:11]
	s_sub_i32 s10, 0, s9
	s_delay_alu instid0(SALU_CYCLE_1) | instskip(NEXT) | instid1(SALU_CYCLE_1)
	s_and_b32 s10, s15, s10
	s_and_b32 s9, s10, s9
	s_delay_alu instid0(SALU_CYCLE_1)
	s_cmp_lg_u32 s9, 0
	s_cselect_b32 s16, -1, 0
	s_lshl_b32 s15, s10, 8
	s_sub_i32 s10, 0, s18
	s_cmp_eq_u32 s9, 0
	s_cselect_b32 s17, s18, s10
	s_delay_alu instid0(SALU_CYCLE_1) | instskip(NEXT) | instid1(SALU_CYCLE_1)
	s_add_i32 s17, s17, s15
	s_cmp_lt_u32 s17, s3
	s_cbranch_scc1 .LBB780_3
; %bb.2:
	v_add_nc_u32_e32 v3, s12, v0
	s_delay_alu instid0(VALU_DEP_1) | instskip(SKIP_1) | instid1(SALU_CYCLE_1)
	v_cmp_gt_u32_e32 vcc_lo, s3, v3
	s_or_b32 s9, vcc_lo, s8
	s_and_b32 s13, s9, exec_lo
	s_cbranch_execz .LBB780_4
	s_branch .LBB780_52
.LBB780_3:
                                        ; implicit-def: $vgpr3
.LBB780_4:
	s_load_b128 s[8:11], s[0:1], 0x30
	v_add_nc_u32_e32 v0, s12, v0
	s_min_u32 s12, s17, s3
	s_and_b32 vcc_lo, exec_lo, s14
	s_add_i32 s0, s15, s12
	s_add_i32 s1, s12, s18
	v_subrev_nc_u32_e32 v0, s0, v0
	s_min_u32 s0, s15, s12
	s_min_u32 s18, s1, s3
	s_delay_alu instid0(VALU_DEP_1)
	v_add_nc_u32_e32 v0, s0, v0
	s_cbranch_vccz .LBB780_26
; %bb.5:
                                        ; implicit-def: $vgpr3
	s_and_saveexec_b32 s19, s2
	s_cbranch_execz .LBB780_29
; %bb.6:
	v_mov_b32_e32 v13, s12
	s_cmp_ge_u32 s17, s18
	s_cbranch_scc1 .LBB780_28
; %bb.7:
	s_waitcnt vmcnt(0) lgkmcnt(0)
	v_mul_lo_u32 v5, v2, s8
	v_mul_lo_u32 v6, v1, s9
	v_mad_u64_u32 v[3:4], null, v1, s8, 0
	v_cmp_gt_i64_e64 s20, s[8:9], 0
	v_dual_mov_b32 v14, s18 :: v_dual_mov_b32 v13, s12
	s_lshl_b64 s[2:3], s[8:9], 3
	s_mov_b32 s21, 0
	s_delay_alu instid0(VALU_DEP_3) | instskip(NEXT) | instid1(VALU_DEP_1)
	v_add3_u32 v4, v4, v6, v5
	v_lshlrev_b64 v[5:6], 3, v[3:4]
	v_mov_b32_e32 v4, 0
	s_delay_alu instid0(VALU_DEP_2) | instskip(NEXT) | instid1(VALU_DEP_3)
	v_add_co_u32 v5, vcc_lo, s10, v5
	v_add_co_ci_u32_e32 v6, vcc_lo, s11, v6, vcc_lo
	s_branch .LBB780_10
.LBB780_8:                              ;   in Loop: Header=BB780_10 Depth=1
	s_set_inst_prefetch_distance 0x2
	s_or_b32 exec_lo, exec_lo, s23
.LBB780_9:                              ;   in Loop: Header=BB780_10 Depth=1
	s_waitcnt vmcnt(0)
	v_add_nc_u32_e32 v7, 1, v3
	v_cndmask_b32_e64 v14, v3, v14, s22
	s_delay_alu instid0(VALU_DEP_2) | instskip(NEXT) | instid1(VALU_DEP_1)
	v_cndmask_b32_e64 v13, v13, v7, s22
	v_cmp_ge_u32_e32 vcc_lo, v13, v14
	s_or_b32 s21, vcc_lo, s21
	s_delay_alu instid0(SALU_CYCLE_1)
	s_and_not1_b32 exec_lo, exec_lo, s21
	s_cbranch_execz .LBB780_27
.LBB780_10:                             ; =>This Loop Header: Depth=1
                                        ;     Child Loop BB780_14 Depth 2
                                        ;     Child Loop BB780_23 Depth 2
	v_add_nc_u32_e32 v3, v13, v14
	s_mov_b32 s0, -1
                                        ; implicit-def: $sgpr22
	s_delay_alu instid0(VALU_DEP_1) | instskip(NEXT) | instid1(VALU_DEP_1)
	v_lshrrev_b32_e32 v3, 1, v3
	v_lshlrev_b64 v[7:8], 3, v[3:4]
	s_delay_alu instid0(VALU_DEP_1) | instskip(NEXT) | instid1(VALU_DEP_2)
	v_add_co_u32 v7, vcc_lo, s4, v7
	v_add_co_ci_u32_e32 v8, vcc_lo, s5, v8, vcc_lo
	s_and_not1_b32 vcc_lo, exec_lo, s16
	global_load_b64 v[7:8], v[7:8], off
	s_cbranch_vccnz .LBB780_19
; %bb.11:                               ;   in Loop: Header=BB780_10 Depth=1
	s_and_not1_b32 vcc_lo, exec_lo, s20
	s_cbranch_vccnz .LBB780_17
; %bb.12:                               ;   in Loop: Header=BB780_10 Depth=1
	s_waitcnt vmcnt(0)
	v_mad_u64_u32 v[9:10], null, s2, v7, s[10:11]
	v_mul_lo_u32 v11, s2, v8
	v_mul_lo_u32 v12, s3, v7
	s_mov_b32 s23, 0
	s_mov_b64 s[14:15], s[8:9]
                                        ; implicit-def: $sgpr22
                                        ; implicit-def: $sgpr24
                                        ; implicit-def: $sgpr25
                                        ; implicit-def: $sgpr26
                                        ; implicit-def: $sgpr27
	s_delay_alu instid0(VALU_DEP_1)
	v_add3_u32 v10, v12, v10, v11
	v_dual_mov_b32 v12, v6 :: v_dual_mov_b32 v11, v5
	s_set_inst_prefetch_distance 0x1
	s_branch .LBB780_14
	.p2align	6
.LBB780_13:                             ;   in Loop: Header=BB780_14 Depth=2
	s_or_b32 exec_lo, exec_lo, s0
	s_delay_alu instid0(SALU_CYCLE_1) | instskip(NEXT) | instid1(SALU_CYCLE_1)
	s_and_b32 s0, exec_lo, s24
	s_or_b32 s23, s0, s23
	s_and_not1_b32 s0, s27, exec_lo
	s_and_b32 s1, s25, exec_lo
	s_and_not1_b32 s22, s22, exec_lo
	s_and_b32 s28, s26, exec_lo
	s_or_b32 s27, s0, s1
	s_or_b32 s22, s22, s28
	s_and_not1_b32 exec_lo, exec_lo, s23
	s_cbranch_execz .LBB780_16
.LBB780_14:                             ;   Parent Loop BB780_10 Depth=1
                                        ; =>  This Inner Loop Header: Depth=2
	global_load_b64 v[15:16], v[11:12], off
	global_load_b64 v[17:18], v[9:10], off
	s_and_not1_b32 s25, s25, exec_lo
	s_or_b32 s24, s24, exec_lo
	s_waitcnt vmcnt(0)
	v_cmp_ngt_f64_e32 vcc_lo, v[15:16], v[17:18]
	v_cmp_lt_f64_e64 s0, v[15:16], v[17:18]
	s_and_b32 s28, vcc_lo, s27
	s_delay_alu instid0(VALU_DEP_1) | instid1(SALU_CYCLE_1)
	s_or_b32 s28, s0, s28
	s_and_not1_b32 s0, s26, exec_lo
	s_and_b32 s26, s28, exec_lo
	s_delay_alu instid0(SALU_CYCLE_1)
	s_or_b32 s26, s0, s26
	s_mov_b32 s0, exec_lo
	v_cmpx_nlg_f64_e32 v[15:16], v[17:18]
	s_cbranch_execz .LBB780_13
; %bb.15:                               ;   in Loop: Header=BB780_14 Depth=2
	s_add_u32 s14, s14, -1
	s_addc_u32 s15, s15, -1
	v_add_co_u32 v11, vcc_lo, v11, 8
	s_cmp_eq_u64 s[14:15], 0
	v_add_co_ci_u32_e32 v12, vcc_lo, 0, v12, vcc_lo
	s_cselect_b32 s1, -1, 0
	v_add_co_u32 v9, vcc_lo, v9, 8
	s_and_not1_b32 s25, s25, exec_lo
	s_and_b32 s27, s28, exec_lo
	s_and_not1_b32 s24, s24, exec_lo
	s_and_b32 s1, s1, exec_lo
	v_add_co_ci_u32_e32 v10, vcc_lo, 0, v10, vcc_lo
	s_and_not1_b32 s26, s26, exec_lo
	s_or_b32 s25, s25, s27
	s_or_b32 s24, s24, s1
                                        ; implicit-def: $sgpr27
	s_branch .LBB780_13
.LBB780_16:                             ;   in Loop: Header=BB780_10 Depth=1
	s_set_inst_prefetch_distance 0x2
	s_or_b32 exec_lo, exec_lo, s23
	s_branch .LBB780_18
.LBB780_17:                             ;   in Loop: Header=BB780_10 Depth=1
	s_mov_b32 s22, 0
.LBB780_18:                             ;   in Loop: Header=BB780_10 Depth=1
	s_delay_alu instid0(SALU_CYCLE_1)
	s_xor_b32 s22, s22, -1
	s_mov_b32 s0, 0
.LBB780_19:                             ;   in Loop: Header=BB780_10 Depth=1
	s_delay_alu instid0(SALU_CYCLE_1)
	s_and_b32 vcc_lo, exec_lo, s0
	s_cbranch_vccz .LBB780_9
; %bb.20:                               ;   in Loop: Header=BB780_10 Depth=1
	s_and_not1_b32 vcc_lo, exec_lo, s20
	s_cbranch_vccnz .LBB780_25
; %bb.21:                               ;   in Loop: Header=BB780_10 Depth=1
	s_waitcnt vmcnt(0)
	v_mad_u64_u32 v[9:10], null, s2, v7, s[10:11]
	v_mul_lo_u32 v8, s2, v8
	v_mul_lo_u32 v7, s3, v7
	s_mov_b32 s23, 0
	s_mov_b64 s[14:15], s[8:9]
                                        ; implicit-def: $sgpr22
                                        ; implicit-def: $sgpr24
                                        ; implicit-def: $sgpr25
                                        ; implicit-def: $sgpr26
                                        ; implicit-def: $sgpr27
	s_delay_alu instid0(VALU_DEP_1)
	v_add3_u32 v10, v7, v10, v8
	v_dual_mov_b32 v8, v6 :: v_dual_mov_b32 v7, v5
	s_set_inst_prefetch_distance 0x1
	s_branch .LBB780_23
	.p2align	6
.LBB780_22:                             ;   in Loop: Header=BB780_23 Depth=2
	s_or_b32 exec_lo, exec_lo, s0
	s_delay_alu instid0(SALU_CYCLE_1) | instskip(NEXT) | instid1(SALU_CYCLE_1)
	s_and_b32 s0, exec_lo, s24
	s_or_b32 s23, s0, s23
	s_and_not1_b32 s0, s27, exec_lo
	s_and_b32 s1, s25, exec_lo
	s_and_not1_b32 s22, s22, exec_lo
	s_and_b32 s28, s26, exec_lo
	s_or_b32 s27, s0, s1
	s_or_b32 s22, s22, s28
	s_and_not1_b32 exec_lo, exec_lo, s23
	s_cbranch_execz .LBB780_8
.LBB780_23:                             ;   Parent Loop BB780_10 Depth=1
                                        ; =>  This Inner Loop Header: Depth=2
	global_load_b64 v[11:12], v[9:10], off
	global_load_b64 v[15:16], v[7:8], off
	s_and_not1_b32 s25, s25, exec_lo
	s_or_b32 s24, s24, exec_lo
	s_waitcnt vmcnt(0)
	v_cmp_ngt_f64_e32 vcc_lo, v[11:12], v[15:16]
	v_cmp_lt_f64_e64 s0, v[11:12], v[15:16]
	s_and_b32 s28, vcc_lo, s27
	s_delay_alu instid0(VALU_DEP_1) | instid1(SALU_CYCLE_1)
	s_or_b32 s28, s0, s28
	s_and_not1_b32 s0, s26, exec_lo
	s_and_b32 s26, s28, exec_lo
	s_delay_alu instid0(SALU_CYCLE_1)
	s_or_b32 s26, s0, s26
	s_mov_b32 s0, exec_lo
	v_cmpx_nlg_f64_e32 v[11:12], v[15:16]
	s_cbranch_execz .LBB780_22
; %bb.24:                               ;   in Loop: Header=BB780_23 Depth=2
	s_add_u32 s14, s14, -1
	s_addc_u32 s15, s15, -1
	v_add_co_u32 v9, vcc_lo, v9, 8
	s_cmp_eq_u64 s[14:15], 0
	v_add_co_ci_u32_e32 v10, vcc_lo, 0, v10, vcc_lo
	s_cselect_b32 s1, -1, 0
	v_add_co_u32 v7, vcc_lo, v7, 8
	s_and_not1_b32 s25, s25, exec_lo
	s_and_b32 s27, s28, exec_lo
	s_and_not1_b32 s24, s24, exec_lo
	s_and_b32 s1, s1, exec_lo
	v_add_co_ci_u32_e32 v8, vcc_lo, 0, v8, vcc_lo
	s_and_not1_b32 s26, s26, exec_lo
	s_or_b32 s25, s25, s27
	s_or_b32 s24, s24, s1
                                        ; implicit-def: $sgpr27
	s_branch .LBB780_22
.LBB780_25:                             ;   in Loop: Header=BB780_10 Depth=1
	s_mov_b32 s22, 0
	s_branch .LBB780_9
.LBB780_26:
                                        ; implicit-def: $vgpr3
	s_cbranch_execnz .LBB780_30
	s_branch .LBB780_52
.LBB780_27:
	s_or_b32 exec_lo, exec_lo, s21
.LBB780_28:
	s_delay_alu instid0(VALU_DEP_1)
	v_add_nc_u32_e32 v3, v13, v0
	s_or_b32 s13, s13, exec_lo
.LBB780_29:
	s_or_b32 exec_lo, exec_lo, s19
	s_branch .LBB780_52
.LBB780_30:
	v_mov_b32_e32 v13, s12
	s_cmp_ge_u32 s17, s18
	s_cbranch_scc1 .LBB780_51
; %bb.31:
	s_waitcnt vmcnt(0) lgkmcnt(0)
	v_mul_lo_u32 v5, v2, s8
	v_mul_lo_u32 v6, v1, s9
	v_mad_u64_u32 v[3:4], null, v1, s8, 0
	v_cmp_gt_i64_e64 s14, s[8:9], 0
	v_dual_mov_b32 v14, s18 :: v_dual_mov_b32 v13, s12
	s_lshl_b64 s[2:3], s[8:9], 3
	s_mov_b32 s15, 0
	s_delay_alu instid0(VALU_DEP_3) | instskip(NEXT) | instid1(VALU_DEP_3)
	v_add3_u32 v4, v4, v6, v5
	v_cndmask_b32_e64 v15, 0, 1, s14
	s_delay_alu instid0(VALU_DEP_2) | instskip(SKIP_1) | instid1(VALU_DEP_2)
	v_lshlrev_b64 v[5:6], 3, v[3:4]
	v_mov_b32_e32 v4, 0
	v_add_co_u32 v5, vcc_lo, s10, v5
	s_delay_alu instid0(VALU_DEP_3)
	v_add_co_ci_u32_e32 v6, vcc_lo, s11, v6, vcc_lo
	s_branch .LBB780_34
.LBB780_32:                             ;   in Loop: Header=BB780_34 Depth=1
	s_set_inst_prefetch_distance 0x2
	s_or_b32 exec_lo, exec_lo, s18
.LBB780_33:                             ;   in Loop: Header=BB780_34 Depth=1
	s_waitcnt vmcnt(0)
	v_add_nc_u32_e32 v7, 1, v3
	v_cndmask_b32_e64 v14, v3, v14, s17
	s_delay_alu instid0(VALU_DEP_2) | instskip(NEXT) | instid1(VALU_DEP_1)
	v_cndmask_b32_e64 v13, v13, v7, s17
	v_cmp_ge_u32_e32 vcc_lo, v13, v14
	s_or_b32 s15, vcc_lo, s15
	s_delay_alu instid0(SALU_CYCLE_1)
	s_and_not1_b32 exec_lo, exec_lo, s15
	s_cbranch_execz .LBB780_50
.LBB780_34:                             ; =>This Loop Header: Depth=1
                                        ;     Child Loop BB780_38 Depth 2
                                        ;     Child Loop BB780_47 Depth 2
	v_add_nc_u32_e32 v3, v13, v14
	v_cmp_ne_u32_e64 s0, 1, v15
	s_mov_b32 s1, -1
                                        ; implicit-def: $sgpr17
	s_delay_alu instid0(VALU_DEP_2) | instskip(NEXT) | instid1(VALU_DEP_1)
	v_lshrrev_b32_e32 v3, 1, v3
	v_lshlrev_b64 v[7:8], 3, v[3:4]
	s_delay_alu instid0(VALU_DEP_1) | instskip(NEXT) | instid1(VALU_DEP_2)
	v_add_co_u32 v7, vcc_lo, s4, v7
	v_add_co_ci_u32_e32 v8, vcc_lo, s5, v8, vcc_lo
	s_and_not1_b32 vcc_lo, exec_lo, s16
	global_load_b64 v[7:8], v[7:8], off
	s_cbranch_vccnz .LBB780_43
; %bb.35:                               ;   in Loop: Header=BB780_34 Depth=1
	s_and_b32 vcc_lo, exec_lo, s0
	s_cbranch_vccnz .LBB780_41
; %bb.36:                               ;   in Loop: Header=BB780_34 Depth=1
	s_waitcnt vmcnt(0)
	v_mad_u64_u32 v[9:10], null, s2, v7, s[10:11]
	v_mul_lo_u32 v11, s2, v8
	v_mul_lo_u32 v12, s3, v7
	s_mov_b32 s18, 0
	s_mov_b64 s[12:13], s[8:9]
                                        ; implicit-def: $sgpr17
                                        ; implicit-def: $sgpr19
                                        ; implicit-def: $sgpr20
                                        ; implicit-def: $sgpr21
                                        ; implicit-def: $sgpr22
	s_delay_alu instid0(VALU_DEP_1)
	v_add3_u32 v10, v12, v10, v11
	v_dual_mov_b32 v12, v6 :: v_dual_mov_b32 v11, v5
	s_set_inst_prefetch_distance 0x1
	s_branch .LBB780_38
	.p2align	6
.LBB780_37:                             ;   in Loop: Header=BB780_38 Depth=2
	s_or_b32 exec_lo, exec_lo, s0
	s_delay_alu instid0(SALU_CYCLE_1) | instskip(NEXT) | instid1(SALU_CYCLE_1)
	s_and_b32 s0, exec_lo, s19
	s_or_b32 s18, s0, s18
	s_and_not1_b32 s0, s22, exec_lo
	s_and_b32 s1, s20, exec_lo
	s_and_not1_b32 s17, s17, exec_lo
	s_and_b32 s23, s21, exec_lo
	s_or_b32 s22, s0, s1
	s_or_b32 s17, s17, s23
	s_and_not1_b32 exec_lo, exec_lo, s18
	s_cbranch_execz .LBB780_40
.LBB780_38:                             ;   Parent Loop BB780_34 Depth=1
                                        ; =>  This Inner Loop Header: Depth=2
	global_load_b64 v[16:17], v[11:12], off
	global_load_b64 v[18:19], v[9:10], off
	s_and_not1_b32 s20, s20, exec_lo
	s_or_b32 s19, s19, exec_lo
	s_waitcnt vmcnt(0)
	v_cmp_ngt_f64_e32 vcc_lo, v[16:17], v[18:19]
	v_cmp_lt_f64_e64 s0, v[16:17], v[18:19]
	s_and_b32 s23, vcc_lo, s22
	s_delay_alu instid0(VALU_DEP_1) | instid1(SALU_CYCLE_1)
	s_or_b32 s23, s0, s23
	s_and_not1_b32 s0, s21, exec_lo
	s_and_b32 s21, s23, exec_lo
	s_delay_alu instid0(SALU_CYCLE_1)
	s_or_b32 s21, s0, s21
	s_mov_b32 s0, exec_lo
	v_cmpx_nlg_f64_e32 v[16:17], v[18:19]
	s_cbranch_execz .LBB780_37
; %bb.39:                               ;   in Loop: Header=BB780_38 Depth=2
	s_add_u32 s12, s12, -1
	s_addc_u32 s13, s13, -1
	v_add_co_u32 v11, vcc_lo, v11, 8
	s_cmp_eq_u64 s[12:13], 0
	v_add_co_ci_u32_e32 v12, vcc_lo, 0, v12, vcc_lo
	s_cselect_b32 s1, -1, 0
	v_add_co_u32 v9, vcc_lo, v9, 8
	s_and_not1_b32 s20, s20, exec_lo
	s_and_b32 s22, s23, exec_lo
	s_and_not1_b32 s19, s19, exec_lo
	s_and_b32 s1, s1, exec_lo
	v_add_co_ci_u32_e32 v10, vcc_lo, 0, v10, vcc_lo
	s_and_not1_b32 s21, s21, exec_lo
	s_or_b32 s20, s20, s22
	s_or_b32 s19, s19, s1
                                        ; implicit-def: $sgpr22
	s_branch .LBB780_37
.LBB780_40:                             ;   in Loop: Header=BB780_34 Depth=1
	s_set_inst_prefetch_distance 0x2
	s_or_b32 exec_lo, exec_lo, s18
	s_branch .LBB780_42
.LBB780_41:                             ;   in Loop: Header=BB780_34 Depth=1
	s_mov_b32 s17, 0
.LBB780_42:                             ;   in Loop: Header=BB780_34 Depth=1
	s_delay_alu instid0(SALU_CYCLE_1)
	s_xor_b32 s17, s17, -1
	s_mov_b32 s1, 0
.LBB780_43:                             ;   in Loop: Header=BB780_34 Depth=1
	s_delay_alu instid0(SALU_CYCLE_1)
	s_and_b32 vcc_lo, exec_lo, s1
	s_cbranch_vccz .LBB780_33
; %bb.44:                               ;   in Loop: Header=BB780_34 Depth=1
	s_and_not1_b32 vcc_lo, exec_lo, s14
	s_cbranch_vccnz .LBB780_49
; %bb.45:                               ;   in Loop: Header=BB780_34 Depth=1
	s_waitcnt vmcnt(0)
	v_mad_u64_u32 v[9:10], null, s2, v7, s[10:11]
	v_mul_lo_u32 v8, s2, v8
	v_mul_lo_u32 v7, s3, v7
	s_mov_b32 s18, 0
	s_mov_b64 s[12:13], s[8:9]
                                        ; implicit-def: $sgpr17
                                        ; implicit-def: $sgpr19
                                        ; implicit-def: $sgpr20
                                        ; implicit-def: $sgpr21
                                        ; implicit-def: $sgpr22
	s_delay_alu instid0(VALU_DEP_1)
	v_add3_u32 v10, v7, v10, v8
	v_dual_mov_b32 v8, v6 :: v_dual_mov_b32 v7, v5
	s_set_inst_prefetch_distance 0x1
	s_branch .LBB780_47
	.p2align	6
.LBB780_46:                             ;   in Loop: Header=BB780_47 Depth=2
	s_or_b32 exec_lo, exec_lo, s0
	s_delay_alu instid0(SALU_CYCLE_1) | instskip(NEXT) | instid1(SALU_CYCLE_1)
	s_and_b32 s0, exec_lo, s19
	s_or_b32 s18, s0, s18
	s_and_not1_b32 s0, s22, exec_lo
	s_and_b32 s1, s20, exec_lo
	s_and_not1_b32 s17, s17, exec_lo
	s_and_b32 s23, s21, exec_lo
	s_or_b32 s22, s0, s1
	s_or_b32 s17, s17, s23
	s_and_not1_b32 exec_lo, exec_lo, s18
	s_cbranch_execz .LBB780_32
.LBB780_47:                             ;   Parent Loop BB780_34 Depth=1
                                        ; =>  This Inner Loop Header: Depth=2
	global_load_b64 v[11:12], v[9:10], off
	global_load_b64 v[16:17], v[7:8], off
	s_and_not1_b32 s20, s20, exec_lo
	s_or_b32 s19, s19, exec_lo
	s_waitcnt vmcnt(0)
	v_cmp_ngt_f64_e32 vcc_lo, v[11:12], v[16:17]
	v_cmp_lt_f64_e64 s0, v[11:12], v[16:17]
	s_and_b32 s23, vcc_lo, s22
	s_delay_alu instid0(VALU_DEP_1) | instid1(SALU_CYCLE_1)
	s_or_b32 s23, s0, s23
	s_and_not1_b32 s0, s21, exec_lo
	s_and_b32 s21, s23, exec_lo
	s_delay_alu instid0(SALU_CYCLE_1)
	s_or_b32 s21, s0, s21
	s_mov_b32 s0, exec_lo
	v_cmpx_nlg_f64_e32 v[11:12], v[16:17]
	s_cbranch_execz .LBB780_46
; %bb.48:                               ;   in Loop: Header=BB780_47 Depth=2
	s_add_u32 s12, s12, -1
	s_addc_u32 s13, s13, -1
	v_add_co_u32 v9, vcc_lo, v9, 8
	s_cmp_eq_u64 s[12:13], 0
	v_add_co_ci_u32_e32 v10, vcc_lo, 0, v10, vcc_lo
	s_cselect_b32 s1, -1, 0
	v_add_co_u32 v7, vcc_lo, v7, 8
	s_and_not1_b32 s20, s20, exec_lo
	s_and_b32 s22, s23, exec_lo
	s_and_not1_b32 s19, s19, exec_lo
	s_and_b32 s1, s1, exec_lo
	v_add_co_ci_u32_e32 v8, vcc_lo, 0, v8, vcc_lo
	s_and_not1_b32 s21, s21, exec_lo
	s_or_b32 s20, s20, s22
	s_or_b32 s19, s19, s1
                                        ; implicit-def: $sgpr22
	s_branch .LBB780_46
.LBB780_49:                             ;   in Loop: Header=BB780_34 Depth=1
	s_mov_b32 s17, 0
	s_branch .LBB780_33
.LBB780_50:
	s_or_b32 exec_lo, exec_lo, s15
.LBB780_51:
	s_delay_alu instid0(VALU_DEP_1)
	v_add_nc_u32_e32 v3, v13, v0
	s_mov_b32 s13, -1
.LBB780_52:
	s_delay_alu instid0(SALU_CYCLE_1)
	s_and_b32 exec_lo, exec_lo, s13
	s_cbranch_execz .LBB780_54
; %bb.53:
	v_mov_b32_e32 v4, 0
	s_delay_alu instid0(VALU_DEP_1) | instskip(NEXT) | instid1(VALU_DEP_1)
	v_lshlrev_b64 v[3:4], 3, v[3:4]
	v_add_co_u32 v3, vcc_lo, s6, v3
	s_delay_alu instid0(VALU_DEP_2)
	v_add_co_ci_u32_e32 v4, vcc_lo, s7, v4, vcc_lo
	s_waitcnt vmcnt(0)
	global_store_b64 v[3:4], v[1:2], off
.LBB780_54:
	s_nop 0
	s_sendmsg sendmsg(MSG_DEALLOC_VGPRS)
	s_endpgm
	.section	.rodata,"a",@progbits
	.p2align	6, 0x0
	.amdhsa_kernel _ZN7rocprim17ROCPRIM_400000_NS6detail17trampoline_kernelINS0_14default_configENS1_38merge_sort_block_merge_config_selectorIlNS0_10empty_typeEEEZZNS1_27merge_sort_block_merge_implIS3_PlPS5_mZN2at6native12_GLOBAL__N_124unique_dim_cuda_templateIdEESt5tupleIJNSA_6TensorESF_SF_EERKSF_lbbbEUlllE_EE10hipError_tT0_T1_T2_jT3_P12ihipStream_tbPNSt15iterator_traitsISL_E10value_typeEPNSR_ISM_E10value_typeEPSN_NS1_7vsmem_tEENKUlT_SL_SM_SN_E_clIS8_S8_S9_S9_EESK_S10_SL_SM_SN_EUlS10_E1_NS1_11comp_targetILNS1_3genE9ELNS1_11target_archE1100ELNS1_3gpuE3ELNS1_3repE0EEENS1_36merge_oddeven_config_static_selectorELNS0_4arch9wavefront6targetE0EEEvSM_
		.amdhsa_group_segment_fixed_size 0
		.amdhsa_private_segment_fixed_size 0
		.amdhsa_kernarg_size 64
		.amdhsa_user_sgpr_count 15
		.amdhsa_user_sgpr_dispatch_ptr 0
		.amdhsa_user_sgpr_queue_ptr 0
		.amdhsa_user_sgpr_kernarg_segment_ptr 1
		.amdhsa_user_sgpr_dispatch_id 0
		.amdhsa_user_sgpr_private_segment_size 0
		.amdhsa_wavefront_size32 1
		.amdhsa_uses_dynamic_stack 0
		.amdhsa_enable_private_segment 0
		.amdhsa_system_sgpr_workgroup_id_x 1
		.amdhsa_system_sgpr_workgroup_id_y 0
		.amdhsa_system_sgpr_workgroup_id_z 0
		.amdhsa_system_sgpr_workgroup_info 0
		.amdhsa_system_vgpr_workitem_id 0
		.amdhsa_next_free_vgpr 20
		.amdhsa_next_free_sgpr 29
		.amdhsa_reserve_vcc 1
		.amdhsa_float_round_mode_32 0
		.amdhsa_float_round_mode_16_64 0
		.amdhsa_float_denorm_mode_32 3
		.amdhsa_float_denorm_mode_16_64 3
		.amdhsa_dx10_clamp 1
		.amdhsa_ieee_mode 1
		.amdhsa_fp16_overflow 0
		.amdhsa_workgroup_processor_mode 1
		.amdhsa_memory_ordered 1
		.amdhsa_forward_progress 0
		.amdhsa_shared_vgpr_count 0
		.amdhsa_exception_fp_ieee_invalid_op 0
		.amdhsa_exception_fp_denorm_src 0
		.amdhsa_exception_fp_ieee_div_zero 0
		.amdhsa_exception_fp_ieee_overflow 0
		.amdhsa_exception_fp_ieee_underflow 0
		.amdhsa_exception_fp_ieee_inexact 0
		.amdhsa_exception_int_div_zero 0
	.end_amdhsa_kernel
	.section	.text._ZN7rocprim17ROCPRIM_400000_NS6detail17trampoline_kernelINS0_14default_configENS1_38merge_sort_block_merge_config_selectorIlNS0_10empty_typeEEEZZNS1_27merge_sort_block_merge_implIS3_PlPS5_mZN2at6native12_GLOBAL__N_124unique_dim_cuda_templateIdEESt5tupleIJNSA_6TensorESF_SF_EERKSF_lbbbEUlllE_EE10hipError_tT0_T1_T2_jT3_P12ihipStream_tbPNSt15iterator_traitsISL_E10value_typeEPNSR_ISM_E10value_typeEPSN_NS1_7vsmem_tEENKUlT_SL_SM_SN_E_clIS8_S8_S9_S9_EESK_S10_SL_SM_SN_EUlS10_E1_NS1_11comp_targetILNS1_3genE9ELNS1_11target_archE1100ELNS1_3gpuE3ELNS1_3repE0EEENS1_36merge_oddeven_config_static_selectorELNS0_4arch9wavefront6targetE0EEEvSM_,"axG",@progbits,_ZN7rocprim17ROCPRIM_400000_NS6detail17trampoline_kernelINS0_14default_configENS1_38merge_sort_block_merge_config_selectorIlNS0_10empty_typeEEEZZNS1_27merge_sort_block_merge_implIS3_PlPS5_mZN2at6native12_GLOBAL__N_124unique_dim_cuda_templateIdEESt5tupleIJNSA_6TensorESF_SF_EERKSF_lbbbEUlllE_EE10hipError_tT0_T1_T2_jT3_P12ihipStream_tbPNSt15iterator_traitsISL_E10value_typeEPNSR_ISM_E10value_typeEPSN_NS1_7vsmem_tEENKUlT_SL_SM_SN_E_clIS8_S8_S9_S9_EESK_S10_SL_SM_SN_EUlS10_E1_NS1_11comp_targetILNS1_3genE9ELNS1_11target_archE1100ELNS1_3gpuE3ELNS1_3repE0EEENS1_36merge_oddeven_config_static_selectorELNS0_4arch9wavefront6targetE0EEEvSM_,comdat
.Lfunc_end780:
	.size	_ZN7rocprim17ROCPRIM_400000_NS6detail17trampoline_kernelINS0_14default_configENS1_38merge_sort_block_merge_config_selectorIlNS0_10empty_typeEEEZZNS1_27merge_sort_block_merge_implIS3_PlPS5_mZN2at6native12_GLOBAL__N_124unique_dim_cuda_templateIdEESt5tupleIJNSA_6TensorESF_SF_EERKSF_lbbbEUlllE_EE10hipError_tT0_T1_T2_jT3_P12ihipStream_tbPNSt15iterator_traitsISL_E10value_typeEPNSR_ISM_E10value_typeEPSN_NS1_7vsmem_tEENKUlT_SL_SM_SN_E_clIS8_S8_S9_S9_EESK_S10_SL_SM_SN_EUlS10_E1_NS1_11comp_targetILNS1_3genE9ELNS1_11target_archE1100ELNS1_3gpuE3ELNS1_3repE0EEENS1_36merge_oddeven_config_static_selectorELNS0_4arch9wavefront6targetE0EEEvSM_, .Lfunc_end780-_ZN7rocprim17ROCPRIM_400000_NS6detail17trampoline_kernelINS0_14default_configENS1_38merge_sort_block_merge_config_selectorIlNS0_10empty_typeEEEZZNS1_27merge_sort_block_merge_implIS3_PlPS5_mZN2at6native12_GLOBAL__N_124unique_dim_cuda_templateIdEESt5tupleIJNSA_6TensorESF_SF_EERKSF_lbbbEUlllE_EE10hipError_tT0_T1_T2_jT3_P12ihipStream_tbPNSt15iterator_traitsISL_E10value_typeEPNSR_ISM_E10value_typeEPSN_NS1_7vsmem_tEENKUlT_SL_SM_SN_E_clIS8_S8_S9_S9_EESK_S10_SL_SM_SN_EUlS10_E1_NS1_11comp_targetILNS1_3genE9ELNS1_11target_archE1100ELNS1_3gpuE3ELNS1_3repE0EEENS1_36merge_oddeven_config_static_selectorELNS0_4arch9wavefront6targetE0EEEvSM_
                                        ; -- End function
	.section	.AMDGPU.csdata,"",@progbits
; Kernel info:
; codeLenInByte = 2036
; NumSgprs: 31
; NumVgprs: 20
; ScratchSize: 0
; MemoryBound: 0
; FloatMode: 240
; IeeeMode: 1
; LDSByteSize: 0 bytes/workgroup (compile time only)
; SGPRBlocks: 3
; VGPRBlocks: 2
; NumSGPRsForWavesPerEU: 31
; NumVGPRsForWavesPerEU: 20
; Occupancy: 16
; WaveLimiterHint : 0
; COMPUTE_PGM_RSRC2:SCRATCH_EN: 0
; COMPUTE_PGM_RSRC2:USER_SGPR: 15
; COMPUTE_PGM_RSRC2:TRAP_HANDLER: 0
; COMPUTE_PGM_RSRC2:TGID_X_EN: 1
; COMPUTE_PGM_RSRC2:TGID_Y_EN: 0
; COMPUTE_PGM_RSRC2:TGID_Z_EN: 0
; COMPUTE_PGM_RSRC2:TIDIG_COMP_CNT: 0
	.section	.text._ZN7rocprim17ROCPRIM_400000_NS6detail17trampoline_kernelINS0_14default_configENS1_38merge_sort_block_merge_config_selectorIlNS0_10empty_typeEEEZZNS1_27merge_sort_block_merge_implIS3_PlPS5_mZN2at6native12_GLOBAL__N_124unique_dim_cuda_templateIdEESt5tupleIJNSA_6TensorESF_SF_EERKSF_lbbbEUlllE_EE10hipError_tT0_T1_T2_jT3_P12ihipStream_tbPNSt15iterator_traitsISL_E10value_typeEPNSR_ISM_E10value_typeEPSN_NS1_7vsmem_tEENKUlT_SL_SM_SN_E_clIS8_S8_S9_S9_EESK_S10_SL_SM_SN_EUlS10_E1_NS1_11comp_targetILNS1_3genE8ELNS1_11target_archE1030ELNS1_3gpuE2ELNS1_3repE0EEENS1_36merge_oddeven_config_static_selectorELNS0_4arch9wavefront6targetE0EEEvSM_,"axG",@progbits,_ZN7rocprim17ROCPRIM_400000_NS6detail17trampoline_kernelINS0_14default_configENS1_38merge_sort_block_merge_config_selectorIlNS0_10empty_typeEEEZZNS1_27merge_sort_block_merge_implIS3_PlPS5_mZN2at6native12_GLOBAL__N_124unique_dim_cuda_templateIdEESt5tupleIJNSA_6TensorESF_SF_EERKSF_lbbbEUlllE_EE10hipError_tT0_T1_T2_jT3_P12ihipStream_tbPNSt15iterator_traitsISL_E10value_typeEPNSR_ISM_E10value_typeEPSN_NS1_7vsmem_tEENKUlT_SL_SM_SN_E_clIS8_S8_S9_S9_EESK_S10_SL_SM_SN_EUlS10_E1_NS1_11comp_targetILNS1_3genE8ELNS1_11target_archE1030ELNS1_3gpuE2ELNS1_3repE0EEENS1_36merge_oddeven_config_static_selectorELNS0_4arch9wavefront6targetE0EEEvSM_,comdat
	.globl	_ZN7rocprim17ROCPRIM_400000_NS6detail17trampoline_kernelINS0_14default_configENS1_38merge_sort_block_merge_config_selectorIlNS0_10empty_typeEEEZZNS1_27merge_sort_block_merge_implIS3_PlPS5_mZN2at6native12_GLOBAL__N_124unique_dim_cuda_templateIdEESt5tupleIJNSA_6TensorESF_SF_EERKSF_lbbbEUlllE_EE10hipError_tT0_T1_T2_jT3_P12ihipStream_tbPNSt15iterator_traitsISL_E10value_typeEPNSR_ISM_E10value_typeEPSN_NS1_7vsmem_tEENKUlT_SL_SM_SN_E_clIS8_S8_S9_S9_EESK_S10_SL_SM_SN_EUlS10_E1_NS1_11comp_targetILNS1_3genE8ELNS1_11target_archE1030ELNS1_3gpuE2ELNS1_3repE0EEENS1_36merge_oddeven_config_static_selectorELNS0_4arch9wavefront6targetE0EEEvSM_ ; -- Begin function _ZN7rocprim17ROCPRIM_400000_NS6detail17trampoline_kernelINS0_14default_configENS1_38merge_sort_block_merge_config_selectorIlNS0_10empty_typeEEEZZNS1_27merge_sort_block_merge_implIS3_PlPS5_mZN2at6native12_GLOBAL__N_124unique_dim_cuda_templateIdEESt5tupleIJNSA_6TensorESF_SF_EERKSF_lbbbEUlllE_EE10hipError_tT0_T1_T2_jT3_P12ihipStream_tbPNSt15iterator_traitsISL_E10value_typeEPNSR_ISM_E10value_typeEPSN_NS1_7vsmem_tEENKUlT_SL_SM_SN_E_clIS8_S8_S9_S9_EESK_S10_SL_SM_SN_EUlS10_E1_NS1_11comp_targetILNS1_3genE8ELNS1_11target_archE1030ELNS1_3gpuE2ELNS1_3repE0EEENS1_36merge_oddeven_config_static_selectorELNS0_4arch9wavefront6targetE0EEEvSM_
	.p2align	8
	.type	_ZN7rocprim17ROCPRIM_400000_NS6detail17trampoline_kernelINS0_14default_configENS1_38merge_sort_block_merge_config_selectorIlNS0_10empty_typeEEEZZNS1_27merge_sort_block_merge_implIS3_PlPS5_mZN2at6native12_GLOBAL__N_124unique_dim_cuda_templateIdEESt5tupleIJNSA_6TensorESF_SF_EERKSF_lbbbEUlllE_EE10hipError_tT0_T1_T2_jT3_P12ihipStream_tbPNSt15iterator_traitsISL_E10value_typeEPNSR_ISM_E10value_typeEPSN_NS1_7vsmem_tEENKUlT_SL_SM_SN_E_clIS8_S8_S9_S9_EESK_S10_SL_SM_SN_EUlS10_E1_NS1_11comp_targetILNS1_3genE8ELNS1_11target_archE1030ELNS1_3gpuE2ELNS1_3repE0EEENS1_36merge_oddeven_config_static_selectorELNS0_4arch9wavefront6targetE0EEEvSM_,@function
_ZN7rocprim17ROCPRIM_400000_NS6detail17trampoline_kernelINS0_14default_configENS1_38merge_sort_block_merge_config_selectorIlNS0_10empty_typeEEEZZNS1_27merge_sort_block_merge_implIS3_PlPS5_mZN2at6native12_GLOBAL__N_124unique_dim_cuda_templateIdEESt5tupleIJNSA_6TensorESF_SF_EERKSF_lbbbEUlllE_EE10hipError_tT0_T1_T2_jT3_P12ihipStream_tbPNSt15iterator_traitsISL_E10value_typeEPNSR_ISM_E10value_typeEPSN_NS1_7vsmem_tEENKUlT_SL_SM_SN_E_clIS8_S8_S9_S9_EESK_S10_SL_SM_SN_EUlS10_E1_NS1_11comp_targetILNS1_3genE8ELNS1_11target_archE1030ELNS1_3gpuE2ELNS1_3repE0EEENS1_36merge_oddeven_config_static_selectorELNS0_4arch9wavefront6targetE0EEEvSM_: ; @_ZN7rocprim17ROCPRIM_400000_NS6detail17trampoline_kernelINS0_14default_configENS1_38merge_sort_block_merge_config_selectorIlNS0_10empty_typeEEEZZNS1_27merge_sort_block_merge_implIS3_PlPS5_mZN2at6native12_GLOBAL__N_124unique_dim_cuda_templateIdEESt5tupleIJNSA_6TensorESF_SF_EERKSF_lbbbEUlllE_EE10hipError_tT0_T1_T2_jT3_P12ihipStream_tbPNSt15iterator_traitsISL_E10value_typeEPNSR_ISM_E10value_typeEPSN_NS1_7vsmem_tEENKUlT_SL_SM_SN_E_clIS8_S8_S9_S9_EESK_S10_SL_SM_SN_EUlS10_E1_NS1_11comp_targetILNS1_3genE8ELNS1_11target_archE1030ELNS1_3gpuE2ELNS1_3repE0EEENS1_36merge_oddeven_config_static_selectorELNS0_4arch9wavefront6targetE0EEEvSM_
; %bb.0:
	.section	.rodata,"a",@progbits
	.p2align	6, 0x0
	.amdhsa_kernel _ZN7rocprim17ROCPRIM_400000_NS6detail17trampoline_kernelINS0_14default_configENS1_38merge_sort_block_merge_config_selectorIlNS0_10empty_typeEEEZZNS1_27merge_sort_block_merge_implIS3_PlPS5_mZN2at6native12_GLOBAL__N_124unique_dim_cuda_templateIdEESt5tupleIJNSA_6TensorESF_SF_EERKSF_lbbbEUlllE_EE10hipError_tT0_T1_T2_jT3_P12ihipStream_tbPNSt15iterator_traitsISL_E10value_typeEPNSR_ISM_E10value_typeEPSN_NS1_7vsmem_tEENKUlT_SL_SM_SN_E_clIS8_S8_S9_S9_EESK_S10_SL_SM_SN_EUlS10_E1_NS1_11comp_targetILNS1_3genE8ELNS1_11target_archE1030ELNS1_3gpuE2ELNS1_3repE0EEENS1_36merge_oddeven_config_static_selectorELNS0_4arch9wavefront6targetE0EEEvSM_
		.amdhsa_group_segment_fixed_size 0
		.amdhsa_private_segment_fixed_size 0
		.amdhsa_kernarg_size 64
		.amdhsa_user_sgpr_count 15
		.amdhsa_user_sgpr_dispatch_ptr 0
		.amdhsa_user_sgpr_queue_ptr 0
		.amdhsa_user_sgpr_kernarg_segment_ptr 1
		.amdhsa_user_sgpr_dispatch_id 0
		.amdhsa_user_sgpr_private_segment_size 0
		.amdhsa_wavefront_size32 1
		.amdhsa_uses_dynamic_stack 0
		.amdhsa_enable_private_segment 0
		.amdhsa_system_sgpr_workgroup_id_x 1
		.amdhsa_system_sgpr_workgroup_id_y 0
		.amdhsa_system_sgpr_workgroup_id_z 0
		.amdhsa_system_sgpr_workgroup_info 0
		.amdhsa_system_vgpr_workitem_id 0
		.amdhsa_next_free_vgpr 1
		.amdhsa_next_free_sgpr 1
		.amdhsa_reserve_vcc 0
		.amdhsa_float_round_mode_32 0
		.amdhsa_float_round_mode_16_64 0
		.amdhsa_float_denorm_mode_32 3
		.amdhsa_float_denorm_mode_16_64 3
		.amdhsa_dx10_clamp 1
		.amdhsa_ieee_mode 1
		.amdhsa_fp16_overflow 0
		.amdhsa_workgroup_processor_mode 1
		.amdhsa_memory_ordered 1
		.amdhsa_forward_progress 0
		.amdhsa_shared_vgpr_count 0
		.amdhsa_exception_fp_ieee_invalid_op 0
		.amdhsa_exception_fp_denorm_src 0
		.amdhsa_exception_fp_ieee_div_zero 0
		.amdhsa_exception_fp_ieee_overflow 0
		.amdhsa_exception_fp_ieee_underflow 0
		.amdhsa_exception_fp_ieee_inexact 0
		.amdhsa_exception_int_div_zero 0
	.end_amdhsa_kernel
	.section	.text._ZN7rocprim17ROCPRIM_400000_NS6detail17trampoline_kernelINS0_14default_configENS1_38merge_sort_block_merge_config_selectorIlNS0_10empty_typeEEEZZNS1_27merge_sort_block_merge_implIS3_PlPS5_mZN2at6native12_GLOBAL__N_124unique_dim_cuda_templateIdEESt5tupleIJNSA_6TensorESF_SF_EERKSF_lbbbEUlllE_EE10hipError_tT0_T1_T2_jT3_P12ihipStream_tbPNSt15iterator_traitsISL_E10value_typeEPNSR_ISM_E10value_typeEPSN_NS1_7vsmem_tEENKUlT_SL_SM_SN_E_clIS8_S8_S9_S9_EESK_S10_SL_SM_SN_EUlS10_E1_NS1_11comp_targetILNS1_3genE8ELNS1_11target_archE1030ELNS1_3gpuE2ELNS1_3repE0EEENS1_36merge_oddeven_config_static_selectorELNS0_4arch9wavefront6targetE0EEEvSM_,"axG",@progbits,_ZN7rocprim17ROCPRIM_400000_NS6detail17trampoline_kernelINS0_14default_configENS1_38merge_sort_block_merge_config_selectorIlNS0_10empty_typeEEEZZNS1_27merge_sort_block_merge_implIS3_PlPS5_mZN2at6native12_GLOBAL__N_124unique_dim_cuda_templateIdEESt5tupleIJNSA_6TensorESF_SF_EERKSF_lbbbEUlllE_EE10hipError_tT0_T1_T2_jT3_P12ihipStream_tbPNSt15iterator_traitsISL_E10value_typeEPNSR_ISM_E10value_typeEPSN_NS1_7vsmem_tEENKUlT_SL_SM_SN_E_clIS8_S8_S9_S9_EESK_S10_SL_SM_SN_EUlS10_E1_NS1_11comp_targetILNS1_3genE8ELNS1_11target_archE1030ELNS1_3gpuE2ELNS1_3repE0EEENS1_36merge_oddeven_config_static_selectorELNS0_4arch9wavefront6targetE0EEEvSM_,comdat
.Lfunc_end781:
	.size	_ZN7rocprim17ROCPRIM_400000_NS6detail17trampoline_kernelINS0_14default_configENS1_38merge_sort_block_merge_config_selectorIlNS0_10empty_typeEEEZZNS1_27merge_sort_block_merge_implIS3_PlPS5_mZN2at6native12_GLOBAL__N_124unique_dim_cuda_templateIdEESt5tupleIJNSA_6TensorESF_SF_EERKSF_lbbbEUlllE_EE10hipError_tT0_T1_T2_jT3_P12ihipStream_tbPNSt15iterator_traitsISL_E10value_typeEPNSR_ISM_E10value_typeEPSN_NS1_7vsmem_tEENKUlT_SL_SM_SN_E_clIS8_S8_S9_S9_EESK_S10_SL_SM_SN_EUlS10_E1_NS1_11comp_targetILNS1_3genE8ELNS1_11target_archE1030ELNS1_3gpuE2ELNS1_3repE0EEENS1_36merge_oddeven_config_static_selectorELNS0_4arch9wavefront6targetE0EEEvSM_, .Lfunc_end781-_ZN7rocprim17ROCPRIM_400000_NS6detail17trampoline_kernelINS0_14default_configENS1_38merge_sort_block_merge_config_selectorIlNS0_10empty_typeEEEZZNS1_27merge_sort_block_merge_implIS3_PlPS5_mZN2at6native12_GLOBAL__N_124unique_dim_cuda_templateIdEESt5tupleIJNSA_6TensorESF_SF_EERKSF_lbbbEUlllE_EE10hipError_tT0_T1_T2_jT3_P12ihipStream_tbPNSt15iterator_traitsISL_E10value_typeEPNSR_ISM_E10value_typeEPSN_NS1_7vsmem_tEENKUlT_SL_SM_SN_E_clIS8_S8_S9_S9_EESK_S10_SL_SM_SN_EUlS10_E1_NS1_11comp_targetILNS1_3genE8ELNS1_11target_archE1030ELNS1_3gpuE2ELNS1_3repE0EEENS1_36merge_oddeven_config_static_selectorELNS0_4arch9wavefront6targetE0EEEvSM_
                                        ; -- End function
	.section	.AMDGPU.csdata,"",@progbits
; Kernel info:
; codeLenInByte = 0
; NumSgprs: 0
; NumVgprs: 0
; ScratchSize: 0
; MemoryBound: 0
; FloatMode: 240
; IeeeMode: 1
; LDSByteSize: 0 bytes/workgroup (compile time only)
; SGPRBlocks: 0
; VGPRBlocks: 0
; NumSGPRsForWavesPerEU: 1
; NumVGPRsForWavesPerEU: 1
; Occupancy: 16
; WaveLimiterHint : 0
; COMPUTE_PGM_RSRC2:SCRATCH_EN: 0
; COMPUTE_PGM_RSRC2:USER_SGPR: 15
; COMPUTE_PGM_RSRC2:TRAP_HANDLER: 0
; COMPUTE_PGM_RSRC2:TGID_X_EN: 1
; COMPUTE_PGM_RSRC2:TGID_Y_EN: 0
; COMPUTE_PGM_RSRC2:TGID_Z_EN: 0
; COMPUTE_PGM_RSRC2:TIDIG_COMP_CNT: 0
	.section	.text._ZN7rocprim17ROCPRIM_400000_NS6detail17trampoline_kernelINS0_14default_configENS1_35adjacent_difference_config_selectorILb0ElEEZNS1_24adjacent_difference_implIS3_Lb0ELb0EPlS7_ZN2at6native12_GLOBAL__N_124unique_dim_cuda_templateIdEESt5tupleIJNS8_6TensorESD_SD_EERKSD_lbbbEUlllE1_EE10hipError_tPvRmT2_T3_mT4_P12ihipStream_tbEUlT_E_NS1_11comp_targetILNS1_3genE0ELNS1_11target_archE4294967295ELNS1_3gpuE0ELNS1_3repE0EEENS1_30default_config_static_selectorELNS0_4arch9wavefront6targetE0EEEvT1_,"axG",@progbits,_ZN7rocprim17ROCPRIM_400000_NS6detail17trampoline_kernelINS0_14default_configENS1_35adjacent_difference_config_selectorILb0ElEEZNS1_24adjacent_difference_implIS3_Lb0ELb0EPlS7_ZN2at6native12_GLOBAL__N_124unique_dim_cuda_templateIdEESt5tupleIJNS8_6TensorESD_SD_EERKSD_lbbbEUlllE1_EE10hipError_tPvRmT2_T3_mT4_P12ihipStream_tbEUlT_E_NS1_11comp_targetILNS1_3genE0ELNS1_11target_archE4294967295ELNS1_3gpuE0ELNS1_3repE0EEENS1_30default_config_static_selectorELNS0_4arch9wavefront6targetE0EEEvT1_,comdat
	.globl	_ZN7rocprim17ROCPRIM_400000_NS6detail17trampoline_kernelINS0_14default_configENS1_35adjacent_difference_config_selectorILb0ElEEZNS1_24adjacent_difference_implIS3_Lb0ELb0EPlS7_ZN2at6native12_GLOBAL__N_124unique_dim_cuda_templateIdEESt5tupleIJNS8_6TensorESD_SD_EERKSD_lbbbEUlllE1_EE10hipError_tPvRmT2_T3_mT4_P12ihipStream_tbEUlT_E_NS1_11comp_targetILNS1_3genE0ELNS1_11target_archE4294967295ELNS1_3gpuE0ELNS1_3repE0EEENS1_30default_config_static_selectorELNS0_4arch9wavefront6targetE0EEEvT1_ ; -- Begin function _ZN7rocprim17ROCPRIM_400000_NS6detail17trampoline_kernelINS0_14default_configENS1_35adjacent_difference_config_selectorILb0ElEEZNS1_24adjacent_difference_implIS3_Lb0ELb0EPlS7_ZN2at6native12_GLOBAL__N_124unique_dim_cuda_templateIdEESt5tupleIJNS8_6TensorESD_SD_EERKSD_lbbbEUlllE1_EE10hipError_tPvRmT2_T3_mT4_P12ihipStream_tbEUlT_E_NS1_11comp_targetILNS1_3genE0ELNS1_11target_archE4294967295ELNS1_3gpuE0ELNS1_3repE0EEENS1_30default_config_static_selectorELNS0_4arch9wavefront6targetE0EEEvT1_
	.p2align	8
	.type	_ZN7rocprim17ROCPRIM_400000_NS6detail17trampoline_kernelINS0_14default_configENS1_35adjacent_difference_config_selectorILb0ElEEZNS1_24adjacent_difference_implIS3_Lb0ELb0EPlS7_ZN2at6native12_GLOBAL__N_124unique_dim_cuda_templateIdEESt5tupleIJNS8_6TensorESD_SD_EERKSD_lbbbEUlllE1_EE10hipError_tPvRmT2_T3_mT4_P12ihipStream_tbEUlT_E_NS1_11comp_targetILNS1_3genE0ELNS1_11target_archE4294967295ELNS1_3gpuE0ELNS1_3repE0EEENS1_30default_config_static_selectorELNS0_4arch9wavefront6targetE0EEEvT1_,@function
_ZN7rocprim17ROCPRIM_400000_NS6detail17trampoline_kernelINS0_14default_configENS1_35adjacent_difference_config_selectorILb0ElEEZNS1_24adjacent_difference_implIS3_Lb0ELb0EPlS7_ZN2at6native12_GLOBAL__N_124unique_dim_cuda_templateIdEESt5tupleIJNS8_6TensorESD_SD_EERKSD_lbbbEUlllE1_EE10hipError_tPvRmT2_T3_mT4_P12ihipStream_tbEUlT_E_NS1_11comp_targetILNS1_3genE0ELNS1_11target_archE4294967295ELNS1_3gpuE0ELNS1_3repE0EEENS1_30default_config_static_selectorELNS0_4arch9wavefront6targetE0EEEvT1_: ; @_ZN7rocprim17ROCPRIM_400000_NS6detail17trampoline_kernelINS0_14default_configENS1_35adjacent_difference_config_selectorILb0ElEEZNS1_24adjacent_difference_implIS3_Lb0ELb0EPlS7_ZN2at6native12_GLOBAL__N_124unique_dim_cuda_templateIdEESt5tupleIJNS8_6TensorESD_SD_EERKSD_lbbbEUlllE1_EE10hipError_tPvRmT2_T3_mT4_P12ihipStream_tbEUlT_E_NS1_11comp_targetILNS1_3genE0ELNS1_11target_archE4294967295ELNS1_3gpuE0ELNS1_3repE0EEENS1_30default_config_static_selectorELNS0_4arch9wavefront6targetE0EEEvT1_
; %bb.0:
	.section	.rodata,"a",@progbits
	.p2align	6, 0x0
	.amdhsa_kernel _ZN7rocprim17ROCPRIM_400000_NS6detail17trampoline_kernelINS0_14default_configENS1_35adjacent_difference_config_selectorILb0ElEEZNS1_24adjacent_difference_implIS3_Lb0ELb0EPlS7_ZN2at6native12_GLOBAL__N_124unique_dim_cuda_templateIdEESt5tupleIJNS8_6TensorESD_SD_EERKSD_lbbbEUlllE1_EE10hipError_tPvRmT2_T3_mT4_P12ihipStream_tbEUlT_E_NS1_11comp_targetILNS1_3genE0ELNS1_11target_archE4294967295ELNS1_3gpuE0ELNS1_3repE0EEENS1_30default_config_static_selectorELNS0_4arch9wavefront6targetE0EEEvT1_
		.amdhsa_group_segment_fixed_size 0
		.amdhsa_private_segment_fixed_size 0
		.amdhsa_kernarg_size 64
		.amdhsa_user_sgpr_count 15
		.amdhsa_user_sgpr_dispatch_ptr 0
		.amdhsa_user_sgpr_queue_ptr 0
		.amdhsa_user_sgpr_kernarg_segment_ptr 1
		.amdhsa_user_sgpr_dispatch_id 0
		.amdhsa_user_sgpr_private_segment_size 0
		.amdhsa_wavefront_size32 1
		.amdhsa_uses_dynamic_stack 0
		.amdhsa_enable_private_segment 0
		.amdhsa_system_sgpr_workgroup_id_x 1
		.amdhsa_system_sgpr_workgroup_id_y 0
		.amdhsa_system_sgpr_workgroup_id_z 0
		.amdhsa_system_sgpr_workgroup_info 0
		.amdhsa_system_vgpr_workitem_id 0
		.amdhsa_next_free_vgpr 1
		.amdhsa_next_free_sgpr 1
		.amdhsa_reserve_vcc 0
		.amdhsa_float_round_mode_32 0
		.amdhsa_float_round_mode_16_64 0
		.amdhsa_float_denorm_mode_32 3
		.amdhsa_float_denorm_mode_16_64 3
		.amdhsa_dx10_clamp 1
		.amdhsa_ieee_mode 1
		.amdhsa_fp16_overflow 0
		.amdhsa_workgroup_processor_mode 1
		.amdhsa_memory_ordered 1
		.amdhsa_forward_progress 0
		.amdhsa_shared_vgpr_count 0
		.amdhsa_exception_fp_ieee_invalid_op 0
		.amdhsa_exception_fp_denorm_src 0
		.amdhsa_exception_fp_ieee_div_zero 0
		.amdhsa_exception_fp_ieee_overflow 0
		.amdhsa_exception_fp_ieee_underflow 0
		.amdhsa_exception_fp_ieee_inexact 0
		.amdhsa_exception_int_div_zero 0
	.end_amdhsa_kernel
	.section	.text._ZN7rocprim17ROCPRIM_400000_NS6detail17trampoline_kernelINS0_14default_configENS1_35adjacent_difference_config_selectorILb0ElEEZNS1_24adjacent_difference_implIS3_Lb0ELb0EPlS7_ZN2at6native12_GLOBAL__N_124unique_dim_cuda_templateIdEESt5tupleIJNS8_6TensorESD_SD_EERKSD_lbbbEUlllE1_EE10hipError_tPvRmT2_T3_mT4_P12ihipStream_tbEUlT_E_NS1_11comp_targetILNS1_3genE0ELNS1_11target_archE4294967295ELNS1_3gpuE0ELNS1_3repE0EEENS1_30default_config_static_selectorELNS0_4arch9wavefront6targetE0EEEvT1_,"axG",@progbits,_ZN7rocprim17ROCPRIM_400000_NS6detail17trampoline_kernelINS0_14default_configENS1_35adjacent_difference_config_selectorILb0ElEEZNS1_24adjacent_difference_implIS3_Lb0ELb0EPlS7_ZN2at6native12_GLOBAL__N_124unique_dim_cuda_templateIdEESt5tupleIJNS8_6TensorESD_SD_EERKSD_lbbbEUlllE1_EE10hipError_tPvRmT2_T3_mT4_P12ihipStream_tbEUlT_E_NS1_11comp_targetILNS1_3genE0ELNS1_11target_archE4294967295ELNS1_3gpuE0ELNS1_3repE0EEENS1_30default_config_static_selectorELNS0_4arch9wavefront6targetE0EEEvT1_,comdat
.Lfunc_end782:
	.size	_ZN7rocprim17ROCPRIM_400000_NS6detail17trampoline_kernelINS0_14default_configENS1_35adjacent_difference_config_selectorILb0ElEEZNS1_24adjacent_difference_implIS3_Lb0ELb0EPlS7_ZN2at6native12_GLOBAL__N_124unique_dim_cuda_templateIdEESt5tupleIJNS8_6TensorESD_SD_EERKSD_lbbbEUlllE1_EE10hipError_tPvRmT2_T3_mT4_P12ihipStream_tbEUlT_E_NS1_11comp_targetILNS1_3genE0ELNS1_11target_archE4294967295ELNS1_3gpuE0ELNS1_3repE0EEENS1_30default_config_static_selectorELNS0_4arch9wavefront6targetE0EEEvT1_, .Lfunc_end782-_ZN7rocprim17ROCPRIM_400000_NS6detail17trampoline_kernelINS0_14default_configENS1_35adjacent_difference_config_selectorILb0ElEEZNS1_24adjacent_difference_implIS3_Lb0ELb0EPlS7_ZN2at6native12_GLOBAL__N_124unique_dim_cuda_templateIdEESt5tupleIJNS8_6TensorESD_SD_EERKSD_lbbbEUlllE1_EE10hipError_tPvRmT2_T3_mT4_P12ihipStream_tbEUlT_E_NS1_11comp_targetILNS1_3genE0ELNS1_11target_archE4294967295ELNS1_3gpuE0ELNS1_3repE0EEENS1_30default_config_static_selectorELNS0_4arch9wavefront6targetE0EEEvT1_
                                        ; -- End function
	.section	.AMDGPU.csdata,"",@progbits
; Kernel info:
; codeLenInByte = 0
; NumSgprs: 0
; NumVgprs: 0
; ScratchSize: 0
; MemoryBound: 0
; FloatMode: 240
; IeeeMode: 1
; LDSByteSize: 0 bytes/workgroup (compile time only)
; SGPRBlocks: 0
; VGPRBlocks: 0
; NumSGPRsForWavesPerEU: 1
; NumVGPRsForWavesPerEU: 1
; Occupancy: 16
; WaveLimiterHint : 0
; COMPUTE_PGM_RSRC2:SCRATCH_EN: 0
; COMPUTE_PGM_RSRC2:USER_SGPR: 15
; COMPUTE_PGM_RSRC2:TRAP_HANDLER: 0
; COMPUTE_PGM_RSRC2:TGID_X_EN: 1
; COMPUTE_PGM_RSRC2:TGID_Y_EN: 0
; COMPUTE_PGM_RSRC2:TGID_Z_EN: 0
; COMPUTE_PGM_RSRC2:TIDIG_COMP_CNT: 0
	.section	.text._ZN7rocprim17ROCPRIM_400000_NS6detail17trampoline_kernelINS0_14default_configENS1_35adjacent_difference_config_selectorILb0ElEEZNS1_24adjacent_difference_implIS3_Lb0ELb0EPlS7_ZN2at6native12_GLOBAL__N_124unique_dim_cuda_templateIdEESt5tupleIJNS8_6TensorESD_SD_EERKSD_lbbbEUlllE1_EE10hipError_tPvRmT2_T3_mT4_P12ihipStream_tbEUlT_E_NS1_11comp_targetILNS1_3genE10ELNS1_11target_archE1201ELNS1_3gpuE5ELNS1_3repE0EEENS1_30default_config_static_selectorELNS0_4arch9wavefront6targetE0EEEvT1_,"axG",@progbits,_ZN7rocprim17ROCPRIM_400000_NS6detail17trampoline_kernelINS0_14default_configENS1_35adjacent_difference_config_selectorILb0ElEEZNS1_24adjacent_difference_implIS3_Lb0ELb0EPlS7_ZN2at6native12_GLOBAL__N_124unique_dim_cuda_templateIdEESt5tupleIJNS8_6TensorESD_SD_EERKSD_lbbbEUlllE1_EE10hipError_tPvRmT2_T3_mT4_P12ihipStream_tbEUlT_E_NS1_11comp_targetILNS1_3genE10ELNS1_11target_archE1201ELNS1_3gpuE5ELNS1_3repE0EEENS1_30default_config_static_selectorELNS0_4arch9wavefront6targetE0EEEvT1_,comdat
	.globl	_ZN7rocprim17ROCPRIM_400000_NS6detail17trampoline_kernelINS0_14default_configENS1_35adjacent_difference_config_selectorILb0ElEEZNS1_24adjacent_difference_implIS3_Lb0ELb0EPlS7_ZN2at6native12_GLOBAL__N_124unique_dim_cuda_templateIdEESt5tupleIJNS8_6TensorESD_SD_EERKSD_lbbbEUlllE1_EE10hipError_tPvRmT2_T3_mT4_P12ihipStream_tbEUlT_E_NS1_11comp_targetILNS1_3genE10ELNS1_11target_archE1201ELNS1_3gpuE5ELNS1_3repE0EEENS1_30default_config_static_selectorELNS0_4arch9wavefront6targetE0EEEvT1_ ; -- Begin function _ZN7rocprim17ROCPRIM_400000_NS6detail17trampoline_kernelINS0_14default_configENS1_35adjacent_difference_config_selectorILb0ElEEZNS1_24adjacent_difference_implIS3_Lb0ELb0EPlS7_ZN2at6native12_GLOBAL__N_124unique_dim_cuda_templateIdEESt5tupleIJNS8_6TensorESD_SD_EERKSD_lbbbEUlllE1_EE10hipError_tPvRmT2_T3_mT4_P12ihipStream_tbEUlT_E_NS1_11comp_targetILNS1_3genE10ELNS1_11target_archE1201ELNS1_3gpuE5ELNS1_3repE0EEENS1_30default_config_static_selectorELNS0_4arch9wavefront6targetE0EEEvT1_
	.p2align	8
	.type	_ZN7rocprim17ROCPRIM_400000_NS6detail17trampoline_kernelINS0_14default_configENS1_35adjacent_difference_config_selectorILb0ElEEZNS1_24adjacent_difference_implIS3_Lb0ELb0EPlS7_ZN2at6native12_GLOBAL__N_124unique_dim_cuda_templateIdEESt5tupleIJNS8_6TensorESD_SD_EERKSD_lbbbEUlllE1_EE10hipError_tPvRmT2_T3_mT4_P12ihipStream_tbEUlT_E_NS1_11comp_targetILNS1_3genE10ELNS1_11target_archE1201ELNS1_3gpuE5ELNS1_3repE0EEENS1_30default_config_static_selectorELNS0_4arch9wavefront6targetE0EEEvT1_,@function
_ZN7rocprim17ROCPRIM_400000_NS6detail17trampoline_kernelINS0_14default_configENS1_35adjacent_difference_config_selectorILb0ElEEZNS1_24adjacent_difference_implIS3_Lb0ELb0EPlS7_ZN2at6native12_GLOBAL__N_124unique_dim_cuda_templateIdEESt5tupleIJNS8_6TensorESD_SD_EERKSD_lbbbEUlllE1_EE10hipError_tPvRmT2_T3_mT4_P12ihipStream_tbEUlT_E_NS1_11comp_targetILNS1_3genE10ELNS1_11target_archE1201ELNS1_3gpuE5ELNS1_3repE0EEENS1_30default_config_static_selectorELNS0_4arch9wavefront6targetE0EEEvT1_: ; @_ZN7rocprim17ROCPRIM_400000_NS6detail17trampoline_kernelINS0_14default_configENS1_35adjacent_difference_config_selectorILb0ElEEZNS1_24adjacent_difference_implIS3_Lb0ELb0EPlS7_ZN2at6native12_GLOBAL__N_124unique_dim_cuda_templateIdEESt5tupleIJNS8_6TensorESD_SD_EERKSD_lbbbEUlllE1_EE10hipError_tPvRmT2_T3_mT4_P12ihipStream_tbEUlT_E_NS1_11comp_targetILNS1_3genE10ELNS1_11target_archE1201ELNS1_3gpuE5ELNS1_3repE0EEENS1_30default_config_static_selectorELNS0_4arch9wavefront6targetE0EEEvT1_
; %bb.0:
	.section	.rodata,"a",@progbits
	.p2align	6, 0x0
	.amdhsa_kernel _ZN7rocprim17ROCPRIM_400000_NS6detail17trampoline_kernelINS0_14default_configENS1_35adjacent_difference_config_selectorILb0ElEEZNS1_24adjacent_difference_implIS3_Lb0ELb0EPlS7_ZN2at6native12_GLOBAL__N_124unique_dim_cuda_templateIdEESt5tupleIJNS8_6TensorESD_SD_EERKSD_lbbbEUlllE1_EE10hipError_tPvRmT2_T3_mT4_P12ihipStream_tbEUlT_E_NS1_11comp_targetILNS1_3genE10ELNS1_11target_archE1201ELNS1_3gpuE5ELNS1_3repE0EEENS1_30default_config_static_selectorELNS0_4arch9wavefront6targetE0EEEvT1_
		.amdhsa_group_segment_fixed_size 0
		.amdhsa_private_segment_fixed_size 0
		.amdhsa_kernarg_size 64
		.amdhsa_user_sgpr_count 15
		.amdhsa_user_sgpr_dispatch_ptr 0
		.amdhsa_user_sgpr_queue_ptr 0
		.amdhsa_user_sgpr_kernarg_segment_ptr 1
		.amdhsa_user_sgpr_dispatch_id 0
		.amdhsa_user_sgpr_private_segment_size 0
		.amdhsa_wavefront_size32 1
		.amdhsa_uses_dynamic_stack 0
		.amdhsa_enable_private_segment 0
		.amdhsa_system_sgpr_workgroup_id_x 1
		.amdhsa_system_sgpr_workgroup_id_y 0
		.amdhsa_system_sgpr_workgroup_id_z 0
		.amdhsa_system_sgpr_workgroup_info 0
		.amdhsa_system_vgpr_workitem_id 0
		.amdhsa_next_free_vgpr 1
		.amdhsa_next_free_sgpr 1
		.amdhsa_reserve_vcc 0
		.amdhsa_float_round_mode_32 0
		.amdhsa_float_round_mode_16_64 0
		.amdhsa_float_denorm_mode_32 3
		.amdhsa_float_denorm_mode_16_64 3
		.amdhsa_dx10_clamp 1
		.amdhsa_ieee_mode 1
		.amdhsa_fp16_overflow 0
		.amdhsa_workgroup_processor_mode 1
		.amdhsa_memory_ordered 1
		.amdhsa_forward_progress 0
		.amdhsa_shared_vgpr_count 0
		.amdhsa_exception_fp_ieee_invalid_op 0
		.amdhsa_exception_fp_denorm_src 0
		.amdhsa_exception_fp_ieee_div_zero 0
		.amdhsa_exception_fp_ieee_overflow 0
		.amdhsa_exception_fp_ieee_underflow 0
		.amdhsa_exception_fp_ieee_inexact 0
		.amdhsa_exception_int_div_zero 0
	.end_amdhsa_kernel
	.section	.text._ZN7rocprim17ROCPRIM_400000_NS6detail17trampoline_kernelINS0_14default_configENS1_35adjacent_difference_config_selectorILb0ElEEZNS1_24adjacent_difference_implIS3_Lb0ELb0EPlS7_ZN2at6native12_GLOBAL__N_124unique_dim_cuda_templateIdEESt5tupleIJNS8_6TensorESD_SD_EERKSD_lbbbEUlllE1_EE10hipError_tPvRmT2_T3_mT4_P12ihipStream_tbEUlT_E_NS1_11comp_targetILNS1_3genE10ELNS1_11target_archE1201ELNS1_3gpuE5ELNS1_3repE0EEENS1_30default_config_static_selectorELNS0_4arch9wavefront6targetE0EEEvT1_,"axG",@progbits,_ZN7rocprim17ROCPRIM_400000_NS6detail17trampoline_kernelINS0_14default_configENS1_35adjacent_difference_config_selectorILb0ElEEZNS1_24adjacent_difference_implIS3_Lb0ELb0EPlS7_ZN2at6native12_GLOBAL__N_124unique_dim_cuda_templateIdEESt5tupleIJNS8_6TensorESD_SD_EERKSD_lbbbEUlllE1_EE10hipError_tPvRmT2_T3_mT4_P12ihipStream_tbEUlT_E_NS1_11comp_targetILNS1_3genE10ELNS1_11target_archE1201ELNS1_3gpuE5ELNS1_3repE0EEENS1_30default_config_static_selectorELNS0_4arch9wavefront6targetE0EEEvT1_,comdat
.Lfunc_end783:
	.size	_ZN7rocprim17ROCPRIM_400000_NS6detail17trampoline_kernelINS0_14default_configENS1_35adjacent_difference_config_selectorILb0ElEEZNS1_24adjacent_difference_implIS3_Lb0ELb0EPlS7_ZN2at6native12_GLOBAL__N_124unique_dim_cuda_templateIdEESt5tupleIJNS8_6TensorESD_SD_EERKSD_lbbbEUlllE1_EE10hipError_tPvRmT2_T3_mT4_P12ihipStream_tbEUlT_E_NS1_11comp_targetILNS1_3genE10ELNS1_11target_archE1201ELNS1_3gpuE5ELNS1_3repE0EEENS1_30default_config_static_selectorELNS0_4arch9wavefront6targetE0EEEvT1_, .Lfunc_end783-_ZN7rocprim17ROCPRIM_400000_NS6detail17trampoline_kernelINS0_14default_configENS1_35adjacent_difference_config_selectorILb0ElEEZNS1_24adjacent_difference_implIS3_Lb0ELb0EPlS7_ZN2at6native12_GLOBAL__N_124unique_dim_cuda_templateIdEESt5tupleIJNS8_6TensorESD_SD_EERKSD_lbbbEUlllE1_EE10hipError_tPvRmT2_T3_mT4_P12ihipStream_tbEUlT_E_NS1_11comp_targetILNS1_3genE10ELNS1_11target_archE1201ELNS1_3gpuE5ELNS1_3repE0EEENS1_30default_config_static_selectorELNS0_4arch9wavefront6targetE0EEEvT1_
                                        ; -- End function
	.section	.AMDGPU.csdata,"",@progbits
; Kernel info:
; codeLenInByte = 0
; NumSgprs: 0
; NumVgprs: 0
; ScratchSize: 0
; MemoryBound: 0
; FloatMode: 240
; IeeeMode: 1
; LDSByteSize: 0 bytes/workgroup (compile time only)
; SGPRBlocks: 0
; VGPRBlocks: 0
; NumSGPRsForWavesPerEU: 1
; NumVGPRsForWavesPerEU: 1
; Occupancy: 16
; WaveLimiterHint : 0
; COMPUTE_PGM_RSRC2:SCRATCH_EN: 0
; COMPUTE_PGM_RSRC2:USER_SGPR: 15
; COMPUTE_PGM_RSRC2:TRAP_HANDLER: 0
; COMPUTE_PGM_RSRC2:TGID_X_EN: 1
; COMPUTE_PGM_RSRC2:TGID_Y_EN: 0
; COMPUTE_PGM_RSRC2:TGID_Z_EN: 0
; COMPUTE_PGM_RSRC2:TIDIG_COMP_CNT: 0
	.section	.text._ZN7rocprim17ROCPRIM_400000_NS6detail17trampoline_kernelINS0_14default_configENS1_35adjacent_difference_config_selectorILb0ElEEZNS1_24adjacent_difference_implIS3_Lb0ELb0EPlS7_ZN2at6native12_GLOBAL__N_124unique_dim_cuda_templateIdEESt5tupleIJNS8_6TensorESD_SD_EERKSD_lbbbEUlllE1_EE10hipError_tPvRmT2_T3_mT4_P12ihipStream_tbEUlT_E_NS1_11comp_targetILNS1_3genE5ELNS1_11target_archE942ELNS1_3gpuE9ELNS1_3repE0EEENS1_30default_config_static_selectorELNS0_4arch9wavefront6targetE0EEEvT1_,"axG",@progbits,_ZN7rocprim17ROCPRIM_400000_NS6detail17trampoline_kernelINS0_14default_configENS1_35adjacent_difference_config_selectorILb0ElEEZNS1_24adjacent_difference_implIS3_Lb0ELb0EPlS7_ZN2at6native12_GLOBAL__N_124unique_dim_cuda_templateIdEESt5tupleIJNS8_6TensorESD_SD_EERKSD_lbbbEUlllE1_EE10hipError_tPvRmT2_T3_mT4_P12ihipStream_tbEUlT_E_NS1_11comp_targetILNS1_3genE5ELNS1_11target_archE942ELNS1_3gpuE9ELNS1_3repE0EEENS1_30default_config_static_selectorELNS0_4arch9wavefront6targetE0EEEvT1_,comdat
	.globl	_ZN7rocprim17ROCPRIM_400000_NS6detail17trampoline_kernelINS0_14default_configENS1_35adjacent_difference_config_selectorILb0ElEEZNS1_24adjacent_difference_implIS3_Lb0ELb0EPlS7_ZN2at6native12_GLOBAL__N_124unique_dim_cuda_templateIdEESt5tupleIJNS8_6TensorESD_SD_EERKSD_lbbbEUlllE1_EE10hipError_tPvRmT2_T3_mT4_P12ihipStream_tbEUlT_E_NS1_11comp_targetILNS1_3genE5ELNS1_11target_archE942ELNS1_3gpuE9ELNS1_3repE0EEENS1_30default_config_static_selectorELNS0_4arch9wavefront6targetE0EEEvT1_ ; -- Begin function _ZN7rocprim17ROCPRIM_400000_NS6detail17trampoline_kernelINS0_14default_configENS1_35adjacent_difference_config_selectorILb0ElEEZNS1_24adjacent_difference_implIS3_Lb0ELb0EPlS7_ZN2at6native12_GLOBAL__N_124unique_dim_cuda_templateIdEESt5tupleIJNS8_6TensorESD_SD_EERKSD_lbbbEUlllE1_EE10hipError_tPvRmT2_T3_mT4_P12ihipStream_tbEUlT_E_NS1_11comp_targetILNS1_3genE5ELNS1_11target_archE942ELNS1_3gpuE9ELNS1_3repE0EEENS1_30default_config_static_selectorELNS0_4arch9wavefront6targetE0EEEvT1_
	.p2align	8
	.type	_ZN7rocprim17ROCPRIM_400000_NS6detail17trampoline_kernelINS0_14default_configENS1_35adjacent_difference_config_selectorILb0ElEEZNS1_24adjacent_difference_implIS3_Lb0ELb0EPlS7_ZN2at6native12_GLOBAL__N_124unique_dim_cuda_templateIdEESt5tupleIJNS8_6TensorESD_SD_EERKSD_lbbbEUlllE1_EE10hipError_tPvRmT2_T3_mT4_P12ihipStream_tbEUlT_E_NS1_11comp_targetILNS1_3genE5ELNS1_11target_archE942ELNS1_3gpuE9ELNS1_3repE0EEENS1_30default_config_static_selectorELNS0_4arch9wavefront6targetE0EEEvT1_,@function
_ZN7rocprim17ROCPRIM_400000_NS6detail17trampoline_kernelINS0_14default_configENS1_35adjacent_difference_config_selectorILb0ElEEZNS1_24adjacent_difference_implIS3_Lb0ELb0EPlS7_ZN2at6native12_GLOBAL__N_124unique_dim_cuda_templateIdEESt5tupleIJNS8_6TensorESD_SD_EERKSD_lbbbEUlllE1_EE10hipError_tPvRmT2_T3_mT4_P12ihipStream_tbEUlT_E_NS1_11comp_targetILNS1_3genE5ELNS1_11target_archE942ELNS1_3gpuE9ELNS1_3repE0EEENS1_30default_config_static_selectorELNS0_4arch9wavefront6targetE0EEEvT1_: ; @_ZN7rocprim17ROCPRIM_400000_NS6detail17trampoline_kernelINS0_14default_configENS1_35adjacent_difference_config_selectorILb0ElEEZNS1_24adjacent_difference_implIS3_Lb0ELb0EPlS7_ZN2at6native12_GLOBAL__N_124unique_dim_cuda_templateIdEESt5tupleIJNS8_6TensorESD_SD_EERKSD_lbbbEUlllE1_EE10hipError_tPvRmT2_T3_mT4_P12ihipStream_tbEUlT_E_NS1_11comp_targetILNS1_3genE5ELNS1_11target_archE942ELNS1_3gpuE9ELNS1_3repE0EEENS1_30default_config_static_selectorELNS0_4arch9wavefront6targetE0EEEvT1_
; %bb.0:
	.section	.rodata,"a",@progbits
	.p2align	6, 0x0
	.amdhsa_kernel _ZN7rocprim17ROCPRIM_400000_NS6detail17trampoline_kernelINS0_14default_configENS1_35adjacent_difference_config_selectorILb0ElEEZNS1_24adjacent_difference_implIS3_Lb0ELb0EPlS7_ZN2at6native12_GLOBAL__N_124unique_dim_cuda_templateIdEESt5tupleIJNS8_6TensorESD_SD_EERKSD_lbbbEUlllE1_EE10hipError_tPvRmT2_T3_mT4_P12ihipStream_tbEUlT_E_NS1_11comp_targetILNS1_3genE5ELNS1_11target_archE942ELNS1_3gpuE9ELNS1_3repE0EEENS1_30default_config_static_selectorELNS0_4arch9wavefront6targetE0EEEvT1_
		.amdhsa_group_segment_fixed_size 0
		.amdhsa_private_segment_fixed_size 0
		.amdhsa_kernarg_size 64
		.amdhsa_user_sgpr_count 15
		.amdhsa_user_sgpr_dispatch_ptr 0
		.amdhsa_user_sgpr_queue_ptr 0
		.amdhsa_user_sgpr_kernarg_segment_ptr 1
		.amdhsa_user_sgpr_dispatch_id 0
		.amdhsa_user_sgpr_private_segment_size 0
		.amdhsa_wavefront_size32 1
		.amdhsa_uses_dynamic_stack 0
		.amdhsa_enable_private_segment 0
		.amdhsa_system_sgpr_workgroup_id_x 1
		.amdhsa_system_sgpr_workgroup_id_y 0
		.amdhsa_system_sgpr_workgroup_id_z 0
		.amdhsa_system_sgpr_workgroup_info 0
		.amdhsa_system_vgpr_workitem_id 0
		.amdhsa_next_free_vgpr 1
		.amdhsa_next_free_sgpr 1
		.amdhsa_reserve_vcc 0
		.amdhsa_float_round_mode_32 0
		.amdhsa_float_round_mode_16_64 0
		.amdhsa_float_denorm_mode_32 3
		.amdhsa_float_denorm_mode_16_64 3
		.amdhsa_dx10_clamp 1
		.amdhsa_ieee_mode 1
		.amdhsa_fp16_overflow 0
		.amdhsa_workgroup_processor_mode 1
		.amdhsa_memory_ordered 1
		.amdhsa_forward_progress 0
		.amdhsa_shared_vgpr_count 0
		.amdhsa_exception_fp_ieee_invalid_op 0
		.amdhsa_exception_fp_denorm_src 0
		.amdhsa_exception_fp_ieee_div_zero 0
		.amdhsa_exception_fp_ieee_overflow 0
		.amdhsa_exception_fp_ieee_underflow 0
		.amdhsa_exception_fp_ieee_inexact 0
		.amdhsa_exception_int_div_zero 0
	.end_amdhsa_kernel
	.section	.text._ZN7rocprim17ROCPRIM_400000_NS6detail17trampoline_kernelINS0_14default_configENS1_35adjacent_difference_config_selectorILb0ElEEZNS1_24adjacent_difference_implIS3_Lb0ELb0EPlS7_ZN2at6native12_GLOBAL__N_124unique_dim_cuda_templateIdEESt5tupleIJNS8_6TensorESD_SD_EERKSD_lbbbEUlllE1_EE10hipError_tPvRmT2_T3_mT4_P12ihipStream_tbEUlT_E_NS1_11comp_targetILNS1_3genE5ELNS1_11target_archE942ELNS1_3gpuE9ELNS1_3repE0EEENS1_30default_config_static_selectorELNS0_4arch9wavefront6targetE0EEEvT1_,"axG",@progbits,_ZN7rocprim17ROCPRIM_400000_NS6detail17trampoline_kernelINS0_14default_configENS1_35adjacent_difference_config_selectorILb0ElEEZNS1_24adjacent_difference_implIS3_Lb0ELb0EPlS7_ZN2at6native12_GLOBAL__N_124unique_dim_cuda_templateIdEESt5tupleIJNS8_6TensorESD_SD_EERKSD_lbbbEUlllE1_EE10hipError_tPvRmT2_T3_mT4_P12ihipStream_tbEUlT_E_NS1_11comp_targetILNS1_3genE5ELNS1_11target_archE942ELNS1_3gpuE9ELNS1_3repE0EEENS1_30default_config_static_selectorELNS0_4arch9wavefront6targetE0EEEvT1_,comdat
.Lfunc_end784:
	.size	_ZN7rocprim17ROCPRIM_400000_NS6detail17trampoline_kernelINS0_14default_configENS1_35adjacent_difference_config_selectorILb0ElEEZNS1_24adjacent_difference_implIS3_Lb0ELb0EPlS7_ZN2at6native12_GLOBAL__N_124unique_dim_cuda_templateIdEESt5tupleIJNS8_6TensorESD_SD_EERKSD_lbbbEUlllE1_EE10hipError_tPvRmT2_T3_mT4_P12ihipStream_tbEUlT_E_NS1_11comp_targetILNS1_3genE5ELNS1_11target_archE942ELNS1_3gpuE9ELNS1_3repE0EEENS1_30default_config_static_selectorELNS0_4arch9wavefront6targetE0EEEvT1_, .Lfunc_end784-_ZN7rocprim17ROCPRIM_400000_NS6detail17trampoline_kernelINS0_14default_configENS1_35adjacent_difference_config_selectorILb0ElEEZNS1_24adjacent_difference_implIS3_Lb0ELb0EPlS7_ZN2at6native12_GLOBAL__N_124unique_dim_cuda_templateIdEESt5tupleIJNS8_6TensorESD_SD_EERKSD_lbbbEUlllE1_EE10hipError_tPvRmT2_T3_mT4_P12ihipStream_tbEUlT_E_NS1_11comp_targetILNS1_3genE5ELNS1_11target_archE942ELNS1_3gpuE9ELNS1_3repE0EEENS1_30default_config_static_selectorELNS0_4arch9wavefront6targetE0EEEvT1_
                                        ; -- End function
	.section	.AMDGPU.csdata,"",@progbits
; Kernel info:
; codeLenInByte = 0
; NumSgprs: 0
; NumVgprs: 0
; ScratchSize: 0
; MemoryBound: 0
; FloatMode: 240
; IeeeMode: 1
; LDSByteSize: 0 bytes/workgroup (compile time only)
; SGPRBlocks: 0
; VGPRBlocks: 0
; NumSGPRsForWavesPerEU: 1
; NumVGPRsForWavesPerEU: 1
; Occupancy: 16
; WaveLimiterHint : 0
; COMPUTE_PGM_RSRC2:SCRATCH_EN: 0
; COMPUTE_PGM_RSRC2:USER_SGPR: 15
; COMPUTE_PGM_RSRC2:TRAP_HANDLER: 0
; COMPUTE_PGM_RSRC2:TGID_X_EN: 1
; COMPUTE_PGM_RSRC2:TGID_Y_EN: 0
; COMPUTE_PGM_RSRC2:TGID_Z_EN: 0
; COMPUTE_PGM_RSRC2:TIDIG_COMP_CNT: 0
	.section	.text._ZN7rocprim17ROCPRIM_400000_NS6detail17trampoline_kernelINS0_14default_configENS1_35adjacent_difference_config_selectorILb0ElEEZNS1_24adjacent_difference_implIS3_Lb0ELb0EPlS7_ZN2at6native12_GLOBAL__N_124unique_dim_cuda_templateIdEESt5tupleIJNS8_6TensorESD_SD_EERKSD_lbbbEUlllE1_EE10hipError_tPvRmT2_T3_mT4_P12ihipStream_tbEUlT_E_NS1_11comp_targetILNS1_3genE4ELNS1_11target_archE910ELNS1_3gpuE8ELNS1_3repE0EEENS1_30default_config_static_selectorELNS0_4arch9wavefront6targetE0EEEvT1_,"axG",@progbits,_ZN7rocprim17ROCPRIM_400000_NS6detail17trampoline_kernelINS0_14default_configENS1_35adjacent_difference_config_selectorILb0ElEEZNS1_24adjacent_difference_implIS3_Lb0ELb0EPlS7_ZN2at6native12_GLOBAL__N_124unique_dim_cuda_templateIdEESt5tupleIJNS8_6TensorESD_SD_EERKSD_lbbbEUlllE1_EE10hipError_tPvRmT2_T3_mT4_P12ihipStream_tbEUlT_E_NS1_11comp_targetILNS1_3genE4ELNS1_11target_archE910ELNS1_3gpuE8ELNS1_3repE0EEENS1_30default_config_static_selectorELNS0_4arch9wavefront6targetE0EEEvT1_,comdat
	.globl	_ZN7rocprim17ROCPRIM_400000_NS6detail17trampoline_kernelINS0_14default_configENS1_35adjacent_difference_config_selectorILb0ElEEZNS1_24adjacent_difference_implIS3_Lb0ELb0EPlS7_ZN2at6native12_GLOBAL__N_124unique_dim_cuda_templateIdEESt5tupleIJNS8_6TensorESD_SD_EERKSD_lbbbEUlllE1_EE10hipError_tPvRmT2_T3_mT4_P12ihipStream_tbEUlT_E_NS1_11comp_targetILNS1_3genE4ELNS1_11target_archE910ELNS1_3gpuE8ELNS1_3repE0EEENS1_30default_config_static_selectorELNS0_4arch9wavefront6targetE0EEEvT1_ ; -- Begin function _ZN7rocprim17ROCPRIM_400000_NS6detail17trampoline_kernelINS0_14default_configENS1_35adjacent_difference_config_selectorILb0ElEEZNS1_24adjacent_difference_implIS3_Lb0ELb0EPlS7_ZN2at6native12_GLOBAL__N_124unique_dim_cuda_templateIdEESt5tupleIJNS8_6TensorESD_SD_EERKSD_lbbbEUlllE1_EE10hipError_tPvRmT2_T3_mT4_P12ihipStream_tbEUlT_E_NS1_11comp_targetILNS1_3genE4ELNS1_11target_archE910ELNS1_3gpuE8ELNS1_3repE0EEENS1_30default_config_static_selectorELNS0_4arch9wavefront6targetE0EEEvT1_
	.p2align	8
	.type	_ZN7rocprim17ROCPRIM_400000_NS6detail17trampoline_kernelINS0_14default_configENS1_35adjacent_difference_config_selectorILb0ElEEZNS1_24adjacent_difference_implIS3_Lb0ELb0EPlS7_ZN2at6native12_GLOBAL__N_124unique_dim_cuda_templateIdEESt5tupleIJNS8_6TensorESD_SD_EERKSD_lbbbEUlllE1_EE10hipError_tPvRmT2_T3_mT4_P12ihipStream_tbEUlT_E_NS1_11comp_targetILNS1_3genE4ELNS1_11target_archE910ELNS1_3gpuE8ELNS1_3repE0EEENS1_30default_config_static_selectorELNS0_4arch9wavefront6targetE0EEEvT1_,@function
_ZN7rocprim17ROCPRIM_400000_NS6detail17trampoline_kernelINS0_14default_configENS1_35adjacent_difference_config_selectorILb0ElEEZNS1_24adjacent_difference_implIS3_Lb0ELb0EPlS7_ZN2at6native12_GLOBAL__N_124unique_dim_cuda_templateIdEESt5tupleIJNS8_6TensorESD_SD_EERKSD_lbbbEUlllE1_EE10hipError_tPvRmT2_T3_mT4_P12ihipStream_tbEUlT_E_NS1_11comp_targetILNS1_3genE4ELNS1_11target_archE910ELNS1_3gpuE8ELNS1_3repE0EEENS1_30default_config_static_selectorELNS0_4arch9wavefront6targetE0EEEvT1_: ; @_ZN7rocprim17ROCPRIM_400000_NS6detail17trampoline_kernelINS0_14default_configENS1_35adjacent_difference_config_selectorILb0ElEEZNS1_24adjacent_difference_implIS3_Lb0ELb0EPlS7_ZN2at6native12_GLOBAL__N_124unique_dim_cuda_templateIdEESt5tupleIJNS8_6TensorESD_SD_EERKSD_lbbbEUlllE1_EE10hipError_tPvRmT2_T3_mT4_P12ihipStream_tbEUlT_E_NS1_11comp_targetILNS1_3genE4ELNS1_11target_archE910ELNS1_3gpuE8ELNS1_3repE0EEENS1_30default_config_static_selectorELNS0_4arch9wavefront6targetE0EEEvT1_
; %bb.0:
	.section	.rodata,"a",@progbits
	.p2align	6, 0x0
	.amdhsa_kernel _ZN7rocprim17ROCPRIM_400000_NS6detail17trampoline_kernelINS0_14default_configENS1_35adjacent_difference_config_selectorILb0ElEEZNS1_24adjacent_difference_implIS3_Lb0ELb0EPlS7_ZN2at6native12_GLOBAL__N_124unique_dim_cuda_templateIdEESt5tupleIJNS8_6TensorESD_SD_EERKSD_lbbbEUlllE1_EE10hipError_tPvRmT2_T3_mT4_P12ihipStream_tbEUlT_E_NS1_11comp_targetILNS1_3genE4ELNS1_11target_archE910ELNS1_3gpuE8ELNS1_3repE0EEENS1_30default_config_static_selectorELNS0_4arch9wavefront6targetE0EEEvT1_
		.amdhsa_group_segment_fixed_size 0
		.amdhsa_private_segment_fixed_size 0
		.amdhsa_kernarg_size 64
		.amdhsa_user_sgpr_count 15
		.amdhsa_user_sgpr_dispatch_ptr 0
		.amdhsa_user_sgpr_queue_ptr 0
		.amdhsa_user_sgpr_kernarg_segment_ptr 1
		.amdhsa_user_sgpr_dispatch_id 0
		.amdhsa_user_sgpr_private_segment_size 0
		.amdhsa_wavefront_size32 1
		.amdhsa_uses_dynamic_stack 0
		.amdhsa_enable_private_segment 0
		.amdhsa_system_sgpr_workgroup_id_x 1
		.amdhsa_system_sgpr_workgroup_id_y 0
		.amdhsa_system_sgpr_workgroup_id_z 0
		.amdhsa_system_sgpr_workgroup_info 0
		.amdhsa_system_vgpr_workitem_id 0
		.amdhsa_next_free_vgpr 1
		.amdhsa_next_free_sgpr 1
		.amdhsa_reserve_vcc 0
		.amdhsa_float_round_mode_32 0
		.amdhsa_float_round_mode_16_64 0
		.amdhsa_float_denorm_mode_32 3
		.amdhsa_float_denorm_mode_16_64 3
		.amdhsa_dx10_clamp 1
		.amdhsa_ieee_mode 1
		.amdhsa_fp16_overflow 0
		.amdhsa_workgroup_processor_mode 1
		.amdhsa_memory_ordered 1
		.amdhsa_forward_progress 0
		.amdhsa_shared_vgpr_count 0
		.amdhsa_exception_fp_ieee_invalid_op 0
		.amdhsa_exception_fp_denorm_src 0
		.amdhsa_exception_fp_ieee_div_zero 0
		.amdhsa_exception_fp_ieee_overflow 0
		.amdhsa_exception_fp_ieee_underflow 0
		.amdhsa_exception_fp_ieee_inexact 0
		.amdhsa_exception_int_div_zero 0
	.end_amdhsa_kernel
	.section	.text._ZN7rocprim17ROCPRIM_400000_NS6detail17trampoline_kernelINS0_14default_configENS1_35adjacent_difference_config_selectorILb0ElEEZNS1_24adjacent_difference_implIS3_Lb0ELb0EPlS7_ZN2at6native12_GLOBAL__N_124unique_dim_cuda_templateIdEESt5tupleIJNS8_6TensorESD_SD_EERKSD_lbbbEUlllE1_EE10hipError_tPvRmT2_T3_mT4_P12ihipStream_tbEUlT_E_NS1_11comp_targetILNS1_3genE4ELNS1_11target_archE910ELNS1_3gpuE8ELNS1_3repE0EEENS1_30default_config_static_selectorELNS0_4arch9wavefront6targetE0EEEvT1_,"axG",@progbits,_ZN7rocprim17ROCPRIM_400000_NS6detail17trampoline_kernelINS0_14default_configENS1_35adjacent_difference_config_selectorILb0ElEEZNS1_24adjacent_difference_implIS3_Lb0ELb0EPlS7_ZN2at6native12_GLOBAL__N_124unique_dim_cuda_templateIdEESt5tupleIJNS8_6TensorESD_SD_EERKSD_lbbbEUlllE1_EE10hipError_tPvRmT2_T3_mT4_P12ihipStream_tbEUlT_E_NS1_11comp_targetILNS1_3genE4ELNS1_11target_archE910ELNS1_3gpuE8ELNS1_3repE0EEENS1_30default_config_static_selectorELNS0_4arch9wavefront6targetE0EEEvT1_,comdat
.Lfunc_end785:
	.size	_ZN7rocprim17ROCPRIM_400000_NS6detail17trampoline_kernelINS0_14default_configENS1_35adjacent_difference_config_selectorILb0ElEEZNS1_24adjacent_difference_implIS3_Lb0ELb0EPlS7_ZN2at6native12_GLOBAL__N_124unique_dim_cuda_templateIdEESt5tupleIJNS8_6TensorESD_SD_EERKSD_lbbbEUlllE1_EE10hipError_tPvRmT2_T3_mT4_P12ihipStream_tbEUlT_E_NS1_11comp_targetILNS1_3genE4ELNS1_11target_archE910ELNS1_3gpuE8ELNS1_3repE0EEENS1_30default_config_static_selectorELNS0_4arch9wavefront6targetE0EEEvT1_, .Lfunc_end785-_ZN7rocprim17ROCPRIM_400000_NS6detail17trampoline_kernelINS0_14default_configENS1_35adjacent_difference_config_selectorILb0ElEEZNS1_24adjacent_difference_implIS3_Lb0ELb0EPlS7_ZN2at6native12_GLOBAL__N_124unique_dim_cuda_templateIdEESt5tupleIJNS8_6TensorESD_SD_EERKSD_lbbbEUlllE1_EE10hipError_tPvRmT2_T3_mT4_P12ihipStream_tbEUlT_E_NS1_11comp_targetILNS1_3genE4ELNS1_11target_archE910ELNS1_3gpuE8ELNS1_3repE0EEENS1_30default_config_static_selectorELNS0_4arch9wavefront6targetE0EEEvT1_
                                        ; -- End function
	.section	.AMDGPU.csdata,"",@progbits
; Kernel info:
; codeLenInByte = 0
; NumSgprs: 0
; NumVgprs: 0
; ScratchSize: 0
; MemoryBound: 0
; FloatMode: 240
; IeeeMode: 1
; LDSByteSize: 0 bytes/workgroup (compile time only)
; SGPRBlocks: 0
; VGPRBlocks: 0
; NumSGPRsForWavesPerEU: 1
; NumVGPRsForWavesPerEU: 1
; Occupancy: 16
; WaveLimiterHint : 0
; COMPUTE_PGM_RSRC2:SCRATCH_EN: 0
; COMPUTE_PGM_RSRC2:USER_SGPR: 15
; COMPUTE_PGM_RSRC2:TRAP_HANDLER: 0
; COMPUTE_PGM_RSRC2:TGID_X_EN: 1
; COMPUTE_PGM_RSRC2:TGID_Y_EN: 0
; COMPUTE_PGM_RSRC2:TGID_Z_EN: 0
; COMPUTE_PGM_RSRC2:TIDIG_COMP_CNT: 0
	.section	.text._ZN7rocprim17ROCPRIM_400000_NS6detail17trampoline_kernelINS0_14default_configENS1_35adjacent_difference_config_selectorILb0ElEEZNS1_24adjacent_difference_implIS3_Lb0ELb0EPlS7_ZN2at6native12_GLOBAL__N_124unique_dim_cuda_templateIdEESt5tupleIJNS8_6TensorESD_SD_EERKSD_lbbbEUlllE1_EE10hipError_tPvRmT2_T3_mT4_P12ihipStream_tbEUlT_E_NS1_11comp_targetILNS1_3genE3ELNS1_11target_archE908ELNS1_3gpuE7ELNS1_3repE0EEENS1_30default_config_static_selectorELNS0_4arch9wavefront6targetE0EEEvT1_,"axG",@progbits,_ZN7rocprim17ROCPRIM_400000_NS6detail17trampoline_kernelINS0_14default_configENS1_35adjacent_difference_config_selectorILb0ElEEZNS1_24adjacent_difference_implIS3_Lb0ELb0EPlS7_ZN2at6native12_GLOBAL__N_124unique_dim_cuda_templateIdEESt5tupleIJNS8_6TensorESD_SD_EERKSD_lbbbEUlllE1_EE10hipError_tPvRmT2_T3_mT4_P12ihipStream_tbEUlT_E_NS1_11comp_targetILNS1_3genE3ELNS1_11target_archE908ELNS1_3gpuE7ELNS1_3repE0EEENS1_30default_config_static_selectorELNS0_4arch9wavefront6targetE0EEEvT1_,comdat
	.globl	_ZN7rocprim17ROCPRIM_400000_NS6detail17trampoline_kernelINS0_14default_configENS1_35adjacent_difference_config_selectorILb0ElEEZNS1_24adjacent_difference_implIS3_Lb0ELb0EPlS7_ZN2at6native12_GLOBAL__N_124unique_dim_cuda_templateIdEESt5tupleIJNS8_6TensorESD_SD_EERKSD_lbbbEUlllE1_EE10hipError_tPvRmT2_T3_mT4_P12ihipStream_tbEUlT_E_NS1_11comp_targetILNS1_3genE3ELNS1_11target_archE908ELNS1_3gpuE7ELNS1_3repE0EEENS1_30default_config_static_selectorELNS0_4arch9wavefront6targetE0EEEvT1_ ; -- Begin function _ZN7rocprim17ROCPRIM_400000_NS6detail17trampoline_kernelINS0_14default_configENS1_35adjacent_difference_config_selectorILb0ElEEZNS1_24adjacent_difference_implIS3_Lb0ELb0EPlS7_ZN2at6native12_GLOBAL__N_124unique_dim_cuda_templateIdEESt5tupleIJNS8_6TensorESD_SD_EERKSD_lbbbEUlllE1_EE10hipError_tPvRmT2_T3_mT4_P12ihipStream_tbEUlT_E_NS1_11comp_targetILNS1_3genE3ELNS1_11target_archE908ELNS1_3gpuE7ELNS1_3repE0EEENS1_30default_config_static_selectorELNS0_4arch9wavefront6targetE0EEEvT1_
	.p2align	8
	.type	_ZN7rocprim17ROCPRIM_400000_NS6detail17trampoline_kernelINS0_14default_configENS1_35adjacent_difference_config_selectorILb0ElEEZNS1_24adjacent_difference_implIS3_Lb0ELb0EPlS7_ZN2at6native12_GLOBAL__N_124unique_dim_cuda_templateIdEESt5tupleIJNS8_6TensorESD_SD_EERKSD_lbbbEUlllE1_EE10hipError_tPvRmT2_T3_mT4_P12ihipStream_tbEUlT_E_NS1_11comp_targetILNS1_3genE3ELNS1_11target_archE908ELNS1_3gpuE7ELNS1_3repE0EEENS1_30default_config_static_selectorELNS0_4arch9wavefront6targetE0EEEvT1_,@function
_ZN7rocprim17ROCPRIM_400000_NS6detail17trampoline_kernelINS0_14default_configENS1_35adjacent_difference_config_selectorILb0ElEEZNS1_24adjacent_difference_implIS3_Lb0ELb0EPlS7_ZN2at6native12_GLOBAL__N_124unique_dim_cuda_templateIdEESt5tupleIJNS8_6TensorESD_SD_EERKSD_lbbbEUlllE1_EE10hipError_tPvRmT2_T3_mT4_P12ihipStream_tbEUlT_E_NS1_11comp_targetILNS1_3genE3ELNS1_11target_archE908ELNS1_3gpuE7ELNS1_3repE0EEENS1_30default_config_static_selectorELNS0_4arch9wavefront6targetE0EEEvT1_: ; @_ZN7rocprim17ROCPRIM_400000_NS6detail17trampoline_kernelINS0_14default_configENS1_35adjacent_difference_config_selectorILb0ElEEZNS1_24adjacent_difference_implIS3_Lb0ELb0EPlS7_ZN2at6native12_GLOBAL__N_124unique_dim_cuda_templateIdEESt5tupleIJNS8_6TensorESD_SD_EERKSD_lbbbEUlllE1_EE10hipError_tPvRmT2_T3_mT4_P12ihipStream_tbEUlT_E_NS1_11comp_targetILNS1_3genE3ELNS1_11target_archE908ELNS1_3gpuE7ELNS1_3repE0EEENS1_30default_config_static_selectorELNS0_4arch9wavefront6targetE0EEEvT1_
; %bb.0:
	.section	.rodata,"a",@progbits
	.p2align	6, 0x0
	.amdhsa_kernel _ZN7rocprim17ROCPRIM_400000_NS6detail17trampoline_kernelINS0_14default_configENS1_35adjacent_difference_config_selectorILb0ElEEZNS1_24adjacent_difference_implIS3_Lb0ELb0EPlS7_ZN2at6native12_GLOBAL__N_124unique_dim_cuda_templateIdEESt5tupleIJNS8_6TensorESD_SD_EERKSD_lbbbEUlllE1_EE10hipError_tPvRmT2_T3_mT4_P12ihipStream_tbEUlT_E_NS1_11comp_targetILNS1_3genE3ELNS1_11target_archE908ELNS1_3gpuE7ELNS1_3repE0EEENS1_30default_config_static_selectorELNS0_4arch9wavefront6targetE0EEEvT1_
		.amdhsa_group_segment_fixed_size 0
		.amdhsa_private_segment_fixed_size 0
		.amdhsa_kernarg_size 64
		.amdhsa_user_sgpr_count 15
		.amdhsa_user_sgpr_dispatch_ptr 0
		.amdhsa_user_sgpr_queue_ptr 0
		.amdhsa_user_sgpr_kernarg_segment_ptr 1
		.amdhsa_user_sgpr_dispatch_id 0
		.amdhsa_user_sgpr_private_segment_size 0
		.amdhsa_wavefront_size32 1
		.amdhsa_uses_dynamic_stack 0
		.amdhsa_enable_private_segment 0
		.amdhsa_system_sgpr_workgroup_id_x 1
		.amdhsa_system_sgpr_workgroup_id_y 0
		.amdhsa_system_sgpr_workgroup_id_z 0
		.amdhsa_system_sgpr_workgroup_info 0
		.amdhsa_system_vgpr_workitem_id 0
		.amdhsa_next_free_vgpr 1
		.amdhsa_next_free_sgpr 1
		.amdhsa_reserve_vcc 0
		.amdhsa_float_round_mode_32 0
		.amdhsa_float_round_mode_16_64 0
		.amdhsa_float_denorm_mode_32 3
		.amdhsa_float_denorm_mode_16_64 3
		.amdhsa_dx10_clamp 1
		.amdhsa_ieee_mode 1
		.amdhsa_fp16_overflow 0
		.amdhsa_workgroup_processor_mode 1
		.amdhsa_memory_ordered 1
		.amdhsa_forward_progress 0
		.amdhsa_shared_vgpr_count 0
		.amdhsa_exception_fp_ieee_invalid_op 0
		.amdhsa_exception_fp_denorm_src 0
		.amdhsa_exception_fp_ieee_div_zero 0
		.amdhsa_exception_fp_ieee_overflow 0
		.amdhsa_exception_fp_ieee_underflow 0
		.amdhsa_exception_fp_ieee_inexact 0
		.amdhsa_exception_int_div_zero 0
	.end_amdhsa_kernel
	.section	.text._ZN7rocprim17ROCPRIM_400000_NS6detail17trampoline_kernelINS0_14default_configENS1_35adjacent_difference_config_selectorILb0ElEEZNS1_24adjacent_difference_implIS3_Lb0ELb0EPlS7_ZN2at6native12_GLOBAL__N_124unique_dim_cuda_templateIdEESt5tupleIJNS8_6TensorESD_SD_EERKSD_lbbbEUlllE1_EE10hipError_tPvRmT2_T3_mT4_P12ihipStream_tbEUlT_E_NS1_11comp_targetILNS1_3genE3ELNS1_11target_archE908ELNS1_3gpuE7ELNS1_3repE0EEENS1_30default_config_static_selectorELNS0_4arch9wavefront6targetE0EEEvT1_,"axG",@progbits,_ZN7rocprim17ROCPRIM_400000_NS6detail17trampoline_kernelINS0_14default_configENS1_35adjacent_difference_config_selectorILb0ElEEZNS1_24adjacent_difference_implIS3_Lb0ELb0EPlS7_ZN2at6native12_GLOBAL__N_124unique_dim_cuda_templateIdEESt5tupleIJNS8_6TensorESD_SD_EERKSD_lbbbEUlllE1_EE10hipError_tPvRmT2_T3_mT4_P12ihipStream_tbEUlT_E_NS1_11comp_targetILNS1_3genE3ELNS1_11target_archE908ELNS1_3gpuE7ELNS1_3repE0EEENS1_30default_config_static_selectorELNS0_4arch9wavefront6targetE0EEEvT1_,comdat
.Lfunc_end786:
	.size	_ZN7rocprim17ROCPRIM_400000_NS6detail17trampoline_kernelINS0_14default_configENS1_35adjacent_difference_config_selectorILb0ElEEZNS1_24adjacent_difference_implIS3_Lb0ELb0EPlS7_ZN2at6native12_GLOBAL__N_124unique_dim_cuda_templateIdEESt5tupleIJNS8_6TensorESD_SD_EERKSD_lbbbEUlllE1_EE10hipError_tPvRmT2_T3_mT4_P12ihipStream_tbEUlT_E_NS1_11comp_targetILNS1_3genE3ELNS1_11target_archE908ELNS1_3gpuE7ELNS1_3repE0EEENS1_30default_config_static_selectorELNS0_4arch9wavefront6targetE0EEEvT1_, .Lfunc_end786-_ZN7rocprim17ROCPRIM_400000_NS6detail17trampoline_kernelINS0_14default_configENS1_35adjacent_difference_config_selectorILb0ElEEZNS1_24adjacent_difference_implIS3_Lb0ELb0EPlS7_ZN2at6native12_GLOBAL__N_124unique_dim_cuda_templateIdEESt5tupleIJNS8_6TensorESD_SD_EERKSD_lbbbEUlllE1_EE10hipError_tPvRmT2_T3_mT4_P12ihipStream_tbEUlT_E_NS1_11comp_targetILNS1_3genE3ELNS1_11target_archE908ELNS1_3gpuE7ELNS1_3repE0EEENS1_30default_config_static_selectorELNS0_4arch9wavefront6targetE0EEEvT1_
                                        ; -- End function
	.section	.AMDGPU.csdata,"",@progbits
; Kernel info:
; codeLenInByte = 0
; NumSgprs: 0
; NumVgprs: 0
; ScratchSize: 0
; MemoryBound: 0
; FloatMode: 240
; IeeeMode: 1
; LDSByteSize: 0 bytes/workgroup (compile time only)
; SGPRBlocks: 0
; VGPRBlocks: 0
; NumSGPRsForWavesPerEU: 1
; NumVGPRsForWavesPerEU: 1
; Occupancy: 16
; WaveLimiterHint : 0
; COMPUTE_PGM_RSRC2:SCRATCH_EN: 0
; COMPUTE_PGM_RSRC2:USER_SGPR: 15
; COMPUTE_PGM_RSRC2:TRAP_HANDLER: 0
; COMPUTE_PGM_RSRC2:TGID_X_EN: 1
; COMPUTE_PGM_RSRC2:TGID_Y_EN: 0
; COMPUTE_PGM_RSRC2:TGID_Z_EN: 0
; COMPUTE_PGM_RSRC2:TIDIG_COMP_CNT: 0
	.section	.text._ZN7rocprim17ROCPRIM_400000_NS6detail17trampoline_kernelINS0_14default_configENS1_35adjacent_difference_config_selectorILb0ElEEZNS1_24adjacent_difference_implIS3_Lb0ELb0EPlS7_ZN2at6native12_GLOBAL__N_124unique_dim_cuda_templateIdEESt5tupleIJNS8_6TensorESD_SD_EERKSD_lbbbEUlllE1_EE10hipError_tPvRmT2_T3_mT4_P12ihipStream_tbEUlT_E_NS1_11comp_targetILNS1_3genE2ELNS1_11target_archE906ELNS1_3gpuE6ELNS1_3repE0EEENS1_30default_config_static_selectorELNS0_4arch9wavefront6targetE0EEEvT1_,"axG",@progbits,_ZN7rocprim17ROCPRIM_400000_NS6detail17trampoline_kernelINS0_14default_configENS1_35adjacent_difference_config_selectorILb0ElEEZNS1_24adjacent_difference_implIS3_Lb0ELb0EPlS7_ZN2at6native12_GLOBAL__N_124unique_dim_cuda_templateIdEESt5tupleIJNS8_6TensorESD_SD_EERKSD_lbbbEUlllE1_EE10hipError_tPvRmT2_T3_mT4_P12ihipStream_tbEUlT_E_NS1_11comp_targetILNS1_3genE2ELNS1_11target_archE906ELNS1_3gpuE6ELNS1_3repE0EEENS1_30default_config_static_selectorELNS0_4arch9wavefront6targetE0EEEvT1_,comdat
	.globl	_ZN7rocprim17ROCPRIM_400000_NS6detail17trampoline_kernelINS0_14default_configENS1_35adjacent_difference_config_selectorILb0ElEEZNS1_24adjacent_difference_implIS3_Lb0ELb0EPlS7_ZN2at6native12_GLOBAL__N_124unique_dim_cuda_templateIdEESt5tupleIJNS8_6TensorESD_SD_EERKSD_lbbbEUlllE1_EE10hipError_tPvRmT2_T3_mT4_P12ihipStream_tbEUlT_E_NS1_11comp_targetILNS1_3genE2ELNS1_11target_archE906ELNS1_3gpuE6ELNS1_3repE0EEENS1_30default_config_static_selectorELNS0_4arch9wavefront6targetE0EEEvT1_ ; -- Begin function _ZN7rocprim17ROCPRIM_400000_NS6detail17trampoline_kernelINS0_14default_configENS1_35adjacent_difference_config_selectorILb0ElEEZNS1_24adjacent_difference_implIS3_Lb0ELb0EPlS7_ZN2at6native12_GLOBAL__N_124unique_dim_cuda_templateIdEESt5tupleIJNS8_6TensorESD_SD_EERKSD_lbbbEUlllE1_EE10hipError_tPvRmT2_T3_mT4_P12ihipStream_tbEUlT_E_NS1_11comp_targetILNS1_3genE2ELNS1_11target_archE906ELNS1_3gpuE6ELNS1_3repE0EEENS1_30default_config_static_selectorELNS0_4arch9wavefront6targetE0EEEvT1_
	.p2align	8
	.type	_ZN7rocprim17ROCPRIM_400000_NS6detail17trampoline_kernelINS0_14default_configENS1_35adjacent_difference_config_selectorILb0ElEEZNS1_24adjacent_difference_implIS3_Lb0ELb0EPlS7_ZN2at6native12_GLOBAL__N_124unique_dim_cuda_templateIdEESt5tupleIJNS8_6TensorESD_SD_EERKSD_lbbbEUlllE1_EE10hipError_tPvRmT2_T3_mT4_P12ihipStream_tbEUlT_E_NS1_11comp_targetILNS1_3genE2ELNS1_11target_archE906ELNS1_3gpuE6ELNS1_3repE0EEENS1_30default_config_static_selectorELNS0_4arch9wavefront6targetE0EEEvT1_,@function
_ZN7rocprim17ROCPRIM_400000_NS6detail17trampoline_kernelINS0_14default_configENS1_35adjacent_difference_config_selectorILb0ElEEZNS1_24adjacent_difference_implIS3_Lb0ELb0EPlS7_ZN2at6native12_GLOBAL__N_124unique_dim_cuda_templateIdEESt5tupleIJNS8_6TensorESD_SD_EERKSD_lbbbEUlllE1_EE10hipError_tPvRmT2_T3_mT4_P12ihipStream_tbEUlT_E_NS1_11comp_targetILNS1_3genE2ELNS1_11target_archE906ELNS1_3gpuE6ELNS1_3repE0EEENS1_30default_config_static_selectorELNS0_4arch9wavefront6targetE0EEEvT1_: ; @_ZN7rocprim17ROCPRIM_400000_NS6detail17trampoline_kernelINS0_14default_configENS1_35adjacent_difference_config_selectorILb0ElEEZNS1_24adjacent_difference_implIS3_Lb0ELb0EPlS7_ZN2at6native12_GLOBAL__N_124unique_dim_cuda_templateIdEESt5tupleIJNS8_6TensorESD_SD_EERKSD_lbbbEUlllE1_EE10hipError_tPvRmT2_T3_mT4_P12ihipStream_tbEUlT_E_NS1_11comp_targetILNS1_3genE2ELNS1_11target_archE906ELNS1_3gpuE6ELNS1_3repE0EEENS1_30default_config_static_selectorELNS0_4arch9wavefront6targetE0EEEvT1_
; %bb.0:
	.section	.rodata,"a",@progbits
	.p2align	6, 0x0
	.amdhsa_kernel _ZN7rocprim17ROCPRIM_400000_NS6detail17trampoline_kernelINS0_14default_configENS1_35adjacent_difference_config_selectorILb0ElEEZNS1_24adjacent_difference_implIS3_Lb0ELb0EPlS7_ZN2at6native12_GLOBAL__N_124unique_dim_cuda_templateIdEESt5tupleIJNS8_6TensorESD_SD_EERKSD_lbbbEUlllE1_EE10hipError_tPvRmT2_T3_mT4_P12ihipStream_tbEUlT_E_NS1_11comp_targetILNS1_3genE2ELNS1_11target_archE906ELNS1_3gpuE6ELNS1_3repE0EEENS1_30default_config_static_selectorELNS0_4arch9wavefront6targetE0EEEvT1_
		.amdhsa_group_segment_fixed_size 0
		.amdhsa_private_segment_fixed_size 0
		.amdhsa_kernarg_size 64
		.amdhsa_user_sgpr_count 15
		.amdhsa_user_sgpr_dispatch_ptr 0
		.amdhsa_user_sgpr_queue_ptr 0
		.amdhsa_user_sgpr_kernarg_segment_ptr 1
		.amdhsa_user_sgpr_dispatch_id 0
		.amdhsa_user_sgpr_private_segment_size 0
		.amdhsa_wavefront_size32 1
		.amdhsa_uses_dynamic_stack 0
		.amdhsa_enable_private_segment 0
		.amdhsa_system_sgpr_workgroup_id_x 1
		.amdhsa_system_sgpr_workgroup_id_y 0
		.amdhsa_system_sgpr_workgroup_id_z 0
		.amdhsa_system_sgpr_workgroup_info 0
		.amdhsa_system_vgpr_workitem_id 0
		.amdhsa_next_free_vgpr 1
		.amdhsa_next_free_sgpr 1
		.amdhsa_reserve_vcc 0
		.amdhsa_float_round_mode_32 0
		.amdhsa_float_round_mode_16_64 0
		.amdhsa_float_denorm_mode_32 3
		.amdhsa_float_denorm_mode_16_64 3
		.amdhsa_dx10_clamp 1
		.amdhsa_ieee_mode 1
		.amdhsa_fp16_overflow 0
		.amdhsa_workgroup_processor_mode 1
		.amdhsa_memory_ordered 1
		.amdhsa_forward_progress 0
		.amdhsa_shared_vgpr_count 0
		.amdhsa_exception_fp_ieee_invalid_op 0
		.amdhsa_exception_fp_denorm_src 0
		.amdhsa_exception_fp_ieee_div_zero 0
		.amdhsa_exception_fp_ieee_overflow 0
		.amdhsa_exception_fp_ieee_underflow 0
		.amdhsa_exception_fp_ieee_inexact 0
		.amdhsa_exception_int_div_zero 0
	.end_amdhsa_kernel
	.section	.text._ZN7rocprim17ROCPRIM_400000_NS6detail17trampoline_kernelINS0_14default_configENS1_35adjacent_difference_config_selectorILb0ElEEZNS1_24adjacent_difference_implIS3_Lb0ELb0EPlS7_ZN2at6native12_GLOBAL__N_124unique_dim_cuda_templateIdEESt5tupleIJNS8_6TensorESD_SD_EERKSD_lbbbEUlllE1_EE10hipError_tPvRmT2_T3_mT4_P12ihipStream_tbEUlT_E_NS1_11comp_targetILNS1_3genE2ELNS1_11target_archE906ELNS1_3gpuE6ELNS1_3repE0EEENS1_30default_config_static_selectorELNS0_4arch9wavefront6targetE0EEEvT1_,"axG",@progbits,_ZN7rocprim17ROCPRIM_400000_NS6detail17trampoline_kernelINS0_14default_configENS1_35adjacent_difference_config_selectorILb0ElEEZNS1_24adjacent_difference_implIS3_Lb0ELb0EPlS7_ZN2at6native12_GLOBAL__N_124unique_dim_cuda_templateIdEESt5tupleIJNS8_6TensorESD_SD_EERKSD_lbbbEUlllE1_EE10hipError_tPvRmT2_T3_mT4_P12ihipStream_tbEUlT_E_NS1_11comp_targetILNS1_3genE2ELNS1_11target_archE906ELNS1_3gpuE6ELNS1_3repE0EEENS1_30default_config_static_selectorELNS0_4arch9wavefront6targetE0EEEvT1_,comdat
.Lfunc_end787:
	.size	_ZN7rocprim17ROCPRIM_400000_NS6detail17trampoline_kernelINS0_14default_configENS1_35adjacent_difference_config_selectorILb0ElEEZNS1_24adjacent_difference_implIS3_Lb0ELb0EPlS7_ZN2at6native12_GLOBAL__N_124unique_dim_cuda_templateIdEESt5tupleIJNS8_6TensorESD_SD_EERKSD_lbbbEUlllE1_EE10hipError_tPvRmT2_T3_mT4_P12ihipStream_tbEUlT_E_NS1_11comp_targetILNS1_3genE2ELNS1_11target_archE906ELNS1_3gpuE6ELNS1_3repE0EEENS1_30default_config_static_selectorELNS0_4arch9wavefront6targetE0EEEvT1_, .Lfunc_end787-_ZN7rocprim17ROCPRIM_400000_NS6detail17trampoline_kernelINS0_14default_configENS1_35adjacent_difference_config_selectorILb0ElEEZNS1_24adjacent_difference_implIS3_Lb0ELb0EPlS7_ZN2at6native12_GLOBAL__N_124unique_dim_cuda_templateIdEESt5tupleIJNS8_6TensorESD_SD_EERKSD_lbbbEUlllE1_EE10hipError_tPvRmT2_T3_mT4_P12ihipStream_tbEUlT_E_NS1_11comp_targetILNS1_3genE2ELNS1_11target_archE906ELNS1_3gpuE6ELNS1_3repE0EEENS1_30default_config_static_selectorELNS0_4arch9wavefront6targetE0EEEvT1_
                                        ; -- End function
	.section	.AMDGPU.csdata,"",@progbits
; Kernel info:
; codeLenInByte = 0
; NumSgprs: 0
; NumVgprs: 0
; ScratchSize: 0
; MemoryBound: 0
; FloatMode: 240
; IeeeMode: 1
; LDSByteSize: 0 bytes/workgroup (compile time only)
; SGPRBlocks: 0
; VGPRBlocks: 0
; NumSGPRsForWavesPerEU: 1
; NumVGPRsForWavesPerEU: 1
; Occupancy: 16
; WaveLimiterHint : 0
; COMPUTE_PGM_RSRC2:SCRATCH_EN: 0
; COMPUTE_PGM_RSRC2:USER_SGPR: 15
; COMPUTE_PGM_RSRC2:TRAP_HANDLER: 0
; COMPUTE_PGM_RSRC2:TGID_X_EN: 1
; COMPUTE_PGM_RSRC2:TGID_Y_EN: 0
; COMPUTE_PGM_RSRC2:TGID_Z_EN: 0
; COMPUTE_PGM_RSRC2:TIDIG_COMP_CNT: 0
	.section	.text._ZN7rocprim17ROCPRIM_400000_NS6detail17trampoline_kernelINS0_14default_configENS1_35adjacent_difference_config_selectorILb0ElEEZNS1_24adjacent_difference_implIS3_Lb0ELb0EPlS7_ZN2at6native12_GLOBAL__N_124unique_dim_cuda_templateIdEESt5tupleIJNS8_6TensorESD_SD_EERKSD_lbbbEUlllE1_EE10hipError_tPvRmT2_T3_mT4_P12ihipStream_tbEUlT_E_NS1_11comp_targetILNS1_3genE9ELNS1_11target_archE1100ELNS1_3gpuE3ELNS1_3repE0EEENS1_30default_config_static_selectorELNS0_4arch9wavefront6targetE0EEEvT1_,"axG",@progbits,_ZN7rocprim17ROCPRIM_400000_NS6detail17trampoline_kernelINS0_14default_configENS1_35adjacent_difference_config_selectorILb0ElEEZNS1_24adjacent_difference_implIS3_Lb0ELb0EPlS7_ZN2at6native12_GLOBAL__N_124unique_dim_cuda_templateIdEESt5tupleIJNS8_6TensorESD_SD_EERKSD_lbbbEUlllE1_EE10hipError_tPvRmT2_T3_mT4_P12ihipStream_tbEUlT_E_NS1_11comp_targetILNS1_3genE9ELNS1_11target_archE1100ELNS1_3gpuE3ELNS1_3repE0EEENS1_30default_config_static_selectorELNS0_4arch9wavefront6targetE0EEEvT1_,comdat
	.globl	_ZN7rocprim17ROCPRIM_400000_NS6detail17trampoline_kernelINS0_14default_configENS1_35adjacent_difference_config_selectorILb0ElEEZNS1_24adjacent_difference_implIS3_Lb0ELb0EPlS7_ZN2at6native12_GLOBAL__N_124unique_dim_cuda_templateIdEESt5tupleIJNS8_6TensorESD_SD_EERKSD_lbbbEUlllE1_EE10hipError_tPvRmT2_T3_mT4_P12ihipStream_tbEUlT_E_NS1_11comp_targetILNS1_3genE9ELNS1_11target_archE1100ELNS1_3gpuE3ELNS1_3repE0EEENS1_30default_config_static_selectorELNS0_4arch9wavefront6targetE0EEEvT1_ ; -- Begin function _ZN7rocprim17ROCPRIM_400000_NS6detail17trampoline_kernelINS0_14default_configENS1_35adjacent_difference_config_selectorILb0ElEEZNS1_24adjacent_difference_implIS3_Lb0ELb0EPlS7_ZN2at6native12_GLOBAL__N_124unique_dim_cuda_templateIdEESt5tupleIJNS8_6TensorESD_SD_EERKSD_lbbbEUlllE1_EE10hipError_tPvRmT2_T3_mT4_P12ihipStream_tbEUlT_E_NS1_11comp_targetILNS1_3genE9ELNS1_11target_archE1100ELNS1_3gpuE3ELNS1_3repE0EEENS1_30default_config_static_selectorELNS0_4arch9wavefront6targetE0EEEvT1_
	.p2align	8
	.type	_ZN7rocprim17ROCPRIM_400000_NS6detail17trampoline_kernelINS0_14default_configENS1_35adjacent_difference_config_selectorILb0ElEEZNS1_24adjacent_difference_implIS3_Lb0ELb0EPlS7_ZN2at6native12_GLOBAL__N_124unique_dim_cuda_templateIdEESt5tupleIJNS8_6TensorESD_SD_EERKSD_lbbbEUlllE1_EE10hipError_tPvRmT2_T3_mT4_P12ihipStream_tbEUlT_E_NS1_11comp_targetILNS1_3genE9ELNS1_11target_archE1100ELNS1_3gpuE3ELNS1_3repE0EEENS1_30default_config_static_selectorELNS0_4arch9wavefront6targetE0EEEvT1_,@function
_ZN7rocprim17ROCPRIM_400000_NS6detail17trampoline_kernelINS0_14default_configENS1_35adjacent_difference_config_selectorILb0ElEEZNS1_24adjacent_difference_implIS3_Lb0ELb0EPlS7_ZN2at6native12_GLOBAL__N_124unique_dim_cuda_templateIdEESt5tupleIJNS8_6TensorESD_SD_EERKSD_lbbbEUlllE1_EE10hipError_tPvRmT2_T3_mT4_P12ihipStream_tbEUlT_E_NS1_11comp_targetILNS1_3genE9ELNS1_11target_archE1100ELNS1_3gpuE3ELNS1_3repE0EEENS1_30default_config_static_selectorELNS0_4arch9wavefront6targetE0EEEvT1_: ; @_ZN7rocprim17ROCPRIM_400000_NS6detail17trampoline_kernelINS0_14default_configENS1_35adjacent_difference_config_selectorILb0ElEEZNS1_24adjacent_difference_implIS3_Lb0ELb0EPlS7_ZN2at6native12_GLOBAL__N_124unique_dim_cuda_templateIdEESt5tupleIJNS8_6TensorESD_SD_EERKSD_lbbbEUlllE1_EE10hipError_tPvRmT2_T3_mT4_P12ihipStream_tbEUlT_E_NS1_11comp_targetILNS1_3genE9ELNS1_11target_archE1100ELNS1_3gpuE3ELNS1_3repE0EEENS1_30default_config_static_selectorELNS0_4arch9wavefront6targetE0EEEvT1_
; %bb.0:
	s_clause 0x1
	s_load_b256 s[4:11], s[0:1], 0x0
	s_load_b64 s[18:19], s[0:1], 0x38
	s_mov_b32 s17, 0
	s_waitcnt lgkmcnt(0)
	s_lshl_b64 s[12:13], s[6:7], 3
	s_delay_alu instid0(SALU_CYCLE_1)
	s_add_u32 s20, s4, s12
	s_addc_u32 s21, s5, s13
	s_load_b128 s[4:7], s[0:1], 0x20
	s_and_b32 s16, s10, 0x1ff
	s_lshl_b32 s2, s15, 9
	s_lshr_b64 s[22:23], s[10:11], 9
	s_cmp_lg_u64 s[16:17], 0
	s_cselect_b32 s3, -1, 0
	s_delay_alu instid0(SALU_CYCLE_1) | instskip(NEXT) | instid1(VALU_DEP_1)
	v_cndmask_b32_e64 v1, 0, 1, s3
	v_readfirstlane_b32 s3, v1
	s_delay_alu instid0(VALU_DEP_1)
	s_add_u32 s16, s22, s3
	s_addc_u32 s17, s23, 0
	s_add_u32 s18, s18, s15
	s_addc_u32 s19, s19, 0
	s_add_u32 s14, s16, -1
	s_addc_u32 s15, s17, -1
	s_delay_alu instid0(SALU_CYCLE_1) | instskip(NEXT) | instid1(VALU_DEP_1)
	v_cmp_ge_u64_e64 s1, s[18:19], s[14:15]
	s_and_b32 vcc_lo, exec_lo, s1
	s_cbranch_vccz .LBB788_4
; %bb.1:
	s_lshl_b32 s0, s14, 9
                                        ; implicit-def: $vgpr1_vgpr2
	s_delay_alu instid0(SALU_CYCLE_1) | instskip(NEXT) | instid1(SALU_CYCLE_1)
	s_sub_i32 s0, s10, s0
	v_cmp_gt_u32_e32 vcc_lo, s0, v0
	s_and_saveexec_b32 s0, vcc_lo
	s_cbranch_execz .LBB788_3
; %bb.2:
	s_mov_b32 s3, 0
	v_lshlrev_b32_e32 v1, 3, v0
	s_lshl_b64 s[22:23], s[2:3], 3
	s_delay_alu instid0(SALU_CYCLE_1)
	s_add_u32 s22, s20, s22
	s_addc_u32 s23, s21, s23
	global_load_b64 v[1:2], v1, s[22:23]
.LBB788_3:
	s_or_b32 exec_lo, exec_lo, s0
	v_lshlrev_b32_e32 v3, 3, v0
	s_waitcnt vmcnt(0)
	ds_store_b64 v3, v[1:2]
	s_waitcnt lgkmcnt(0)
	s_barrier
	v_lshlrev_b32_e32 v9, 3, v0
	s_branch .LBB788_6
.LBB788_4:
                                        ; implicit-def: $vgpr3
	v_lshlrev_b32_e32 v9, 3, v0
	s_cbranch_execz .LBB788_6
; %bb.5:
	s_mov_b32 s3, 0
	s_delay_alu instid0(VALU_DEP_1) | instskip(SKIP_1) | instid1(SALU_CYCLE_1)
	v_mov_b32_e32 v3, v9
	s_lshl_b64 s[22:23], s[2:3], 3
	s_add_u32 s22, s20, s22
	s_addc_u32 s23, s21, s23
	global_load_b64 v[1:2], v9, s[22:23]
	s_waitcnt vmcnt(0)
	ds_store_b64 v9, v[1:2]
	s_waitcnt lgkmcnt(0)
	s_barrier
.LBB788_6:
	s_waitcnt lgkmcnt(0)
	buffer_gl0_inv
	ds_load_b64 v[1:2], v3
	s_cmp_eq_u64 s[18:19], 0
	s_waitcnt lgkmcnt(0)
	s_barrier
	buffer_gl0_inv
	s_cbranch_scc1 .LBB788_17
; %bb.7:
	s_mov_b32 s3, 0
	s_delay_alu instid0(SALU_CYCLE_1) | instskip(NEXT) | instid1(SALU_CYCLE_1)
	s_lshl_b64 s[22:23], s[2:3], 3
	s_add_u32 s0, s20, s22
	s_addc_u32 s11, s21, s23
	s_add_u32 s20, s0, -8
	s_addc_u32 s21, s11, -1
	s_cmp_lg_u64 s[18:19], s[14:15]
	s_load_b64 s[20:21], s[20:21], 0x0
	s_cbranch_scc0 .LBB788_18
; %bb.8:
	s_waitcnt lgkmcnt(0)
	v_dual_mov_b32 v3, s20 :: v_dual_mov_b32 v4, s21
	s_mov_b32 s0, 0
	s_mov_b32 s3, exec_lo
	ds_store_b64 v9, v[1:2]
	s_waitcnt lgkmcnt(0)
	s_barrier
	buffer_gl0_inv
	v_cmpx_ne_u32_e32 0, v0
	s_cbranch_execz .LBB788_10
; %bb.9:
	v_add_nc_u32_e32 v3, -8, v9
	ds_load_b64 v[3:4], v3
.LBB788_10:
	s_or_b32 exec_lo, exec_lo, s3
	v_cmp_lt_i64_e64 s3, s[4:5], 1
	s_delay_alu instid0(VALU_DEP_1)
	s_and_b32 vcc_lo, exec_lo, s3
	s_cbranch_vccnz .LBB788_21
; %bb.11:
	v_mul_lo_u32 v10, v2, s4
	v_mul_lo_u32 v11, v1, s5
	v_mad_u64_u32 v[5:6], null, v1, s4, 0
	s_waitcnt lgkmcnt(0)
	v_mul_lo_u32 v4, v4, s4
	v_mul_lo_u32 v12, v3, s5
	v_mad_u64_u32 v[7:8], null, v3, s4, 0
	s_mov_b32 s0, -1
	s_mov_b32 s3, exec_lo
	s_delay_alu instid0(VALU_DEP_4) | instskip(NEXT) | instid1(VALU_DEP_2)
	v_add3_u32 v6, v6, v11, v10
	v_add3_u32 v8, v8, v12, v4
	s_delay_alu instid0(VALU_DEP_2) | instskip(NEXT) | instid1(VALU_DEP_2)
	v_lshlrev_b64 v[3:4], 3, v[5:6]
	v_lshlrev_b64 v[7:8], 3, v[7:8]
	s_delay_alu instid0(VALU_DEP_2) | instskip(NEXT) | instid1(VALU_DEP_3)
	v_add_co_u32 v5, vcc_lo, s6, v3
	v_add_co_ci_u32_e32 v6, vcc_lo, s7, v4, vcc_lo
	s_delay_alu instid0(VALU_DEP_3) | instskip(NEXT) | instid1(VALU_DEP_4)
	v_add_co_u32 v3, vcc_lo, s6, v7
	v_add_co_ci_u32_e32 v4, vcc_lo, s7, v8, vcc_lo
	s_clause 0x1
	global_load_b64 v[7:8], v[5:6], off
	global_load_b64 v[10:11], v[3:4], off
	s_waitcnt vmcnt(0)
	v_cmpx_eq_f64_e32 v[7:8], v[10:11]
	s_cbranch_execz .LBB788_20
; %bb.12:
	v_add_co_u32 v3, vcc_lo, v3, 8
	v_add_co_ci_u32_e32 v4, vcc_lo, 0, v4, vcc_lo
	v_add_co_u32 v5, vcc_lo, v5, 8
	v_add_co_ci_u32_e32 v6, vcc_lo, 0, v6, vcc_lo
	s_add_u32 s22, s4, -1
	s_addc_u32 s23, s5, -1
	s_mov_b64 s[24:25], 0
	s_mov_b32 s11, 0
                                        ; implicit-def: $sgpr15
	s_set_inst_prefetch_distance 0x1
	s_branch .LBB788_15
	.p2align	6
.LBB788_13:                             ;   in Loop: Header=BB788_15 Depth=1
	global_load_b64 v[7:8], v[5:6], off
	global_load_b64 v[10:11], v[3:4], off
	v_add_co_u32 v3, s0, v3, 8
	s_delay_alu instid0(VALU_DEP_1) | instskip(SKIP_1) | instid1(VALU_DEP_1)
	v_add_co_ci_u32_e64 v4, s0, 0, v4, s0
	v_add_co_u32 v5, s0, v5, 8
	v_add_co_ci_u32_e64 v6, s0, 0, v6, s0
	s_add_u32 s24, s24, 1
	s_addc_u32 s25, s25, 0
	s_and_not1_b32 s0, s15, exec_lo
	s_waitcnt vmcnt(0)
	v_cmp_neq_f64_e32 vcc_lo, v[7:8], v[10:11]
	s_and_b32 s15, vcc_lo, exec_lo
	s_delay_alu instid0(SALU_CYCLE_1)
	s_or_b32 s15, s0, s15
.LBB788_14:                             ;   in Loop: Header=BB788_15 Depth=1
	v_dual_mov_b32 v7, s24 :: v_dual_mov_b32 v8, s25
	s_and_b32 s0, exec_lo, s15
	s_delay_alu instid0(SALU_CYCLE_1) | instskip(NEXT) | instid1(SALU_CYCLE_1)
	s_or_b32 s11, s0, s11
	s_and_not1_b32 exec_lo, exec_lo, s11
	s_cbranch_execz .LBB788_19
.LBB788_15:                             ; =>This Inner Loop Header: Depth=1
	s_or_b32 s15, s15, exec_lo
	s_cmp_eq_u64 s[22:23], s[24:25]
	s_cbranch_scc0 .LBB788_13
; %bb.16:                               ;   in Loop: Header=BB788_15 Depth=1
	s_mov_b64 s[24:25], s[4:5]
                                        ; implicit-def: $vgpr3_vgpr4
                                        ; implicit-def: $vgpr5_vgpr6
	s_branch .LBB788_14
.LBB788_17:
	s_mov_b32 s3, 0
                                        ; implicit-def: $sgpr0
	s_cbranch_execnz .LBB788_38
	s_branch .LBB788_65
.LBB788_18:
                                        ; implicit-def: $sgpr0
	s_cbranch_execnz .LBB788_22
	s_branch .LBB788_37
.LBB788_19:
	s_set_inst_prefetch_distance 0x2
	s_or_b32 exec_lo, exec_lo, s11
	v_cmp_gt_i64_e32 vcc_lo, s[4:5], v[7:8]
	s_or_not1_b32 s0, vcc_lo, exec_lo
.LBB788_20:
	s_or_b32 exec_lo, exec_lo, s3
.LBB788_21:
	s_mov_b32 s3, -1
	s_branch .LBB788_37
.LBB788_22:
	s_waitcnt lgkmcnt(0)
	v_dual_mov_b32 v3, s20 :: v_dual_mov_b32 v4, s21
	s_mov_b32 s0, exec_lo
	ds_store_b64 v9, v[1:2]
	s_waitcnt lgkmcnt(0)
	s_barrier
	buffer_gl0_inv
	v_cmpx_ne_u32_e32 0, v0
	s_cbranch_execz .LBB788_24
; %bb.23:
	v_add_nc_u32_e32 v3, -8, v9
	ds_load_b64 v[3:4], v3
.LBB788_24:
	s_or_b32 exec_lo, exec_lo, s0
	s_lshl_b32 s0, s18, 9
	s_delay_alu instid0(SALU_CYCLE_1) | instskip(NEXT) | instid1(SALU_CYCLE_1)
	s_sub_i32 s0, s10, s0
	v_cmp_gt_u32_e32 vcc_lo, s0, v0
                                        ; implicit-def: $sgpr0
	s_and_saveexec_b32 s11, vcc_lo
	s_cbranch_execz .LBB788_36
; %bb.25:
	v_cmp_lt_i64_e64 s0, s[4:5], 1
	s_delay_alu instid0(VALU_DEP_1)
	s_and_b32 vcc_lo, exec_lo, s0
	s_cbranch_vccnz .LBB788_32
; %bb.26:
	v_mul_lo_u32 v10, v2, s4
	v_mul_lo_u32 v11, v1, s5
	v_mad_u64_u32 v[5:6], null, v1, s4, 0
	s_waitcnt lgkmcnt(0)
	v_mul_lo_u32 v4, v4, s4
	v_mul_lo_u32 v12, v3, s5
	v_mad_u64_u32 v[7:8], null, v3, s4, 0
	s_mov_b32 s0, -1
	s_mov_b32 s15, exec_lo
	s_delay_alu instid0(VALU_DEP_4) | instskip(NEXT) | instid1(VALU_DEP_2)
	v_add3_u32 v6, v6, v11, v10
	v_add3_u32 v8, v8, v12, v4
	s_delay_alu instid0(VALU_DEP_2) | instskip(NEXT) | instid1(VALU_DEP_2)
	v_lshlrev_b64 v[3:4], 3, v[5:6]
	v_lshlrev_b64 v[7:8], 3, v[7:8]
	s_delay_alu instid0(VALU_DEP_2) | instskip(NEXT) | instid1(VALU_DEP_3)
	v_add_co_u32 v5, vcc_lo, s6, v3
	v_add_co_ci_u32_e32 v6, vcc_lo, s7, v4, vcc_lo
	s_delay_alu instid0(VALU_DEP_3) | instskip(NEXT) | instid1(VALU_DEP_4)
	v_add_co_u32 v3, vcc_lo, s6, v7
	v_add_co_ci_u32_e32 v4, vcc_lo, s7, v8, vcc_lo
	s_clause 0x1
	global_load_b64 v[7:8], v[5:6], off
	global_load_b64 v[10:11], v[3:4], off
	s_waitcnt vmcnt(0)
	v_cmpx_eq_f64_e32 v[7:8], v[10:11]
	s_cbranch_execz .LBB788_34
; %bb.27:
	v_add_co_u32 v3, vcc_lo, v3, 8
	v_add_co_ci_u32_e32 v4, vcc_lo, 0, v4, vcc_lo
	v_add_co_u32 v5, vcc_lo, v5, 8
	v_add_co_ci_u32_e32 v6, vcc_lo, 0, v6, vcc_lo
	s_add_u32 s18, s4, -1
	s_addc_u32 s19, s5, -1
	s_mov_b64 s[20:21], 0
	s_mov_b32 s22, 0
                                        ; implicit-def: $sgpr23
	s_set_inst_prefetch_distance 0x1
	s_branch .LBB788_30
	.p2align	6
.LBB788_28:                             ;   in Loop: Header=BB788_30 Depth=1
	global_load_b64 v[7:8], v[5:6], off
	global_load_b64 v[10:11], v[3:4], off
	v_add_co_u32 v3, s0, v3, 8
	s_delay_alu instid0(VALU_DEP_1) | instskip(SKIP_1) | instid1(VALU_DEP_1)
	v_add_co_ci_u32_e64 v4, s0, 0, v4, s0
	v_add_co_u32 v5, s0, v5, 8
	v_add_co_ci_u32_e64 v6, s0, 0, v6, s0
	s_add_u32 s20, s20, 1
	s_addc_u32 s21, s21, 0
	s_and_not1_b32 s0, s23, exec_lo
	s_waitcnt vmcnt(0)
	v_cmp_neq_f64_e32 vcc_lo, v[7:8], v[10:11]
	s_and_b32 s23, vcc_lo, exec_lo
	s_delay_alu instid0(SALU_CYCLE_1)
	s_or_b32 s23, s0, s23
.LBB788_29:                             ;   in Loop: Header=BB788_30 Depth=1
	v_dual_mov_b32 v7, s20 :: v_dual_mov_b32 v8, s21
	s_and_b32 s0, exec_lo, s23
	s_delay_alu instid0(SALU_CYCLE_1) | instskip(NEXT) | instid1(SALU_CYCLE_1)
	s_or_b32 s22, s0, s22
	s_and_not1_b32 exec_lo, exec_lo, s22
	s_cbranch_execz .LBB788_33
.LBB788_30:                             ; =>This Inner Loop Header: Depth=1
	s_or_b32 s23, s23, exec_lo
	s_cmp_eq_u64 s[18:19], s[20:21]
	s_cbranch_scc0 .LBB788_28
; %bb.31:                               ;   in Loop: Header=BB788_30 Depth=1
	s_mov_b64 s[20:21], s[4:5]
                                        ; implicit-def: $vgpr3_vgpr4
                                        ; implicit-def: $vgpr5_vgpr6
	s_branch .LBB788_29
.LBB788_32:
	s_mov_b32 s0, 0
	s_branch .LBB788_35
.LBB788_33:
	s_set_inst_prefetch_distance 0x2
	s_or_b32 exec_lo, exec_lo, s22
	v_cmp_gt_i64_e32 vcc_lo, s[4:5], v[7:8]
	s_or_not1_b32 s0, vcc_lo, exec_lo
.LBB788_34:
	s_or_b32 exec_lo, exec_lo, s15
.LBB788_35:
	s_delay_alu instid0(SALU_CYCLE_1)
	s_and_b32 s0, s0, exec_lo
	s_or_b32 s3, s3, exec_lo
.LBB788_36:
	s_or_b32 exec_lo, exec_lo, s11
.LBB788_37:
	s_branch .LBB788_65
.LBB788_38:
	s_cmp_lg_u64 s[16:17], 1
	s_cbranch_scc0 .LBB788_47
; %bb.39:
	s_mov_b32 s11, 0
	s_mov_b32 s15, exec_lo
	ds_store_b64 v9, v[1:2]
	s_waitcnt lgkmcnt(0)
	s_barrier
	buffer_gl0_inv
                                        ; implicit-def: $sgpr0
	v_cmpx_ne_u32_e32 0, v0
	s_cbranch_execz .LBB788_48
; %bb.40:
	v_cmp_lt_i64_e64 s0, s[4:5], 1
	s_delay_alu instid0(VALU_DEP_1)
	s_and_b32 vcc_lo, exec_lo, s0
	s_cbranch_vccnz .LBB788_49
; %bb.41:
	v_add_nc_u32_e32 v3, -8, v9
	v_mul_lo_u32 v10, v2, s4
	v_mul_lo_u32 v11, v1, s5
	v_mad_u64_u32 v[5:6], null, v1, s4, 0
	ds_load_b64 v[3:4], v3
	s_mov_b32 s0, -1
	s_mov_b32 s20, exec_lo
	v_add3_u32 v6, v6, v11, v10
	s_waitcnt lgkmcnt(0)
	v_mul_lo_u32 v4, v4, s4
	v_mul_lo_u32 v12, v3, s5
	v_mad_u64_u32 v[7:8], null, v3, s4, 0
	s_delay_alu instid0(VALU_DEP_1) | instskip(SKIP_1) | instid1(VALU_DEP_2)
	v_add3_u32 v8, v8, v12, v4
	v_lshlrev_b64 v[3:4], 3, v[5:6]
	v_lshlrev_b64 v[7:8], 3, v[7:8]
	s_delay_alu instid0(VALU_DEP_2) | instskip(NEXT) | instid1(VALU_DEP_3)
	v_add_co_u32 v5, vcc_lo, s6, v3
	v_add_co_ci_u32_e32 v6, vcc_lo, s7, v4, vcc_lo
	s_delay_alu instid0(VALU_DEP_3) | instskip(NEXT) | instid1(VALU_DEP_4)
	v_add_co_u32 v3, vcc_lo, s6, v7
	v_add_co_ci_u32_e32 v4, vcc_lo, s7, v8, vcc_lo
	s_clause 0x1
	global_load_b64 v[7:8], v[5:6], off
	global_load_b64 v[10:11], v[3:4], off
	s_waitcnt vmcnt(0)
	v_cmpx_eq_f64_e32 v[7:8], v[10:11]
	s_cbranch_execz .LBB788_51
; %bb.42:
	v_add_co_u32 v3, vcc_lo, v3, 8
	v_add_co_ci_u32_e32 v4, vcc_lo, 0, v4, vcc_lo
	v_add_co_u32 v5, vcc_lo, v5, 8
	v_add_co_ci_u32_e32 v6, vcc_lo, 0, v6, vcc_lo
	s_add_u32 s16, s4, -1
	s_addc_u32 s17, s5, -1
	s_mov_b64 s[18:19], 0
	s_mov_b32 s21, 0
                                        ; implicit-def: $sgpr22
	s_set_inst_prefetch_distance 0x1
	s_branch .LBB788_45
	.p2align	6
.LBB788_43:                             ;   in Loop: Header=BB788_45 Depth=1
	global_load_b64 v[7:8], v[5:6], off
	global_load_b64 v[10:11], v[3:4], off
	v_add_co_u32 v3, s0, v3, 8
	s_delay_alu instid0(VALU_DEP_1) | instskip(SKIP_1) | instid1(VALU_DEP_1)
	v_add_co_ci_u32_e64 v4, s0, 0, v4, s0
	v_add_co_u32 v5, s0, v5, 8
	v_add_co_ci_u32_e64 v6, s0, 0, v6, s0
	s_add_u32 s18, s18, 1
	s_addc_u32 s19, s19, 0
	s_and_not1_b32 s0, s22, exec_lo
	s_waitcnt vmcnt(0)
	v_cmp_neq_f64_e32 vcc_lo, v[7:8], v[10:11]
	s_and_b32 s22, vcc_lo, exec_lo
	s_delay_alu instid0(SALU_CYCLE_1)
	s_or_b32 s22, s0, s22
.LBB788_44:                             ;   in Loop: Header=BB788_45 Depth=1
	v_dual_mov_b32 v7, s18 :: v_dual_mov_b32 v8, s19
	s_and_b32 s0, exec_lo, s22
	s_delay_alu instid0(SALU_CYCLE_1) | instskip(NEXT) | instid1(SALU_CYCLE_1)
	s_or_b32 s21, s0, s21
	s_and_not1_b32 exec_lo, exec_lo, s21
	s_cbranch_execz .LBB788_50
.LBB788_45:                             ; =>This Inner Loop Header: Depth=1
	s_or_b32 s22, s22, exec_lo
	s_cmp_eq_u64 s[16:17], s[18:19]
	s_cbranch_scc0 .LBB788_43
; %bb.46:                               ;   in Loop: Header=BB788_45 Depth=1
	s_mov_b64 s[18:19], s[4:5]
                                        ; implicit-def: $vgpr3_vgpr4
                                        ; implicit-def: $vgpr5_vgpr6
	s_branch .LBB788_44
.LBB788_47:
                                        ; implicit-def: $sgpr0
	s_cbranch_execnz .LBB788_53
	s_branch .LBB788_65
.LBB788_48:
	s_or_b32 exec_lo, exec_lo, s15
	s_delay_alu instid0(SALU_CYCLE_1)
	s_and_b32 vcc_lo, exec_lo, s11
	s_cbranch_vccnz .LBB788_53
	s_branch .LBB788_65
.LBB788_49:
	s_mov_b32 s0, 0
	s_branch .LBB788_52
.LBB788_50:
	s_set_inst_prefetch_distance 0x2
	s_or_b32 exec_lo, exec_lo, s21
	v_cmp_gt_i64_e32 vcc_lo, s[4:5], v[7:8]
	s_or_not1_b32 s0, vcc_lo, exec_lo
.LBB788_51:
	s_or_b32 exec_lo, exec_lo, s20
.LBB788_52:
	s_delay_alu instid0(SALU_CYCLE_1) | instskip(SKIP_2) | instid1(SALU_CYCLE_1)
	s_and_b32 s0, s0, exec_lo
	s_or_b32 s3, s3, exec_lo
	s_or_b32 exec_lo, exec_lo, s15
	s_and_b32 vcc_lo, exec_lo, s11
	s_cbranch_vccz .LBB788_65
.LBB788_53:
	v_cmp_ne_u32_e32 vcc_lo, 0, v0
	v_cmp_gt_u32_e64 s0, s10, v0
	s_mov_b32 s16, 0
	ds_store_b64 v9, v[1:2]
	s_waitcnt lgkmcnt(0)
	s_barrier
	s_and_b32 s15, vcc_lo, s0
	buffer_gl0_inv
                                        ; implicit-def: $sgpr0
	s_and_saveexec_b32 s11, s15
	s_cbranch_execz .LBB788_64
; %bb.54:
	v_cmp_lt_i64_e64 s0, s[4:5], 1
	s_delay_alu instid0(VALU_DEP_1)
	s_and_b32 vcc_lo, exec_lo, s0
	s_cbranch_vccnz .LBB788_63
; %bb.55:
	v_add_nc_u32_e32 v3, -8, v9
	v_mul_lo_u32 v7, v2, s4
	v_mul_lo_u32 v8, v1, s5
	v_mad_u64_u32 v[5:6], null, v1, s4, 0
	ds_load_b64 v[3:4], v3
	s_mov_b32 s16, -1
	s_mov_b32 s15, exec_lo
	v_add3_u32 v6, v6, v8, v7
	s_waitcnt lgkmcnt(0)
	v_mul_lo_u32 v4, v4, s4
	v_mul_lo_u32 v10, v3, s5
	v_mad_u64_u32 v[1:2], null, v3, s4, 0
	s_delay_alu instid0(VALU_DEP_1) | instskip(SKIP_1) | instid1(VALU_DEP_2)
	v_add3_u32 v2, v2, v10, v4
	v_lshlrev_b64 v[3:4], 3, v[5:6]
	v_lshlrev_b64 v[1:2], 3, v[1:2]
	s_delay_alu instid0(VALU_DEP_2) | instskip(NEXT) | instid1(VALU_DEP_3)
	v_add_co_u32 v3, vcc_lo, s6, v3
	v_add_co_ci_u32_e32 v4, vcc_lo, s7, v4, vcc_lo
	s_delay_alu instid0(VALU_DEP_3) | instskip(NEXT) | instid1(VALU_DEP_4)
	v_add_co_u32 v1, vcc_lo, s6, v1
	v_add_co_ci_u32_e32 v2, vcc_lo, s7, v2, vcc_lo
	s_clause 0x1
	global_load_b64 v[5:6], v[3:4], off
	global_load_b64 v[7:8], v[1:2], off
	s_waitcnt vmcnt(0)
	v_cmpx_eq_f64_e32 v[5:6], v[7:8]
	s_cbranch_execz .LBB788_62
; %bb.56:
	v_add_co_u32 v1, vcc_lo, v1, 8
	v_add_co_ci_u32_e32 v2, vcc_lo, 0, v2, vcc_lo
	v_add_co_u32 v3, vcc_lo, v3, 8
	v_add_co_ci_u32_e32 v4, vcc_lo, 0, v4, vcc_lo
	s_add_u32 s6, s4, -1
	s_addc_u32 s7, s5, -1
	s_mov_b64 s[16:17], 0
	s_mov_b32 s18, 0
                                        ; implicit-def: $sgpr19
	s_set_inst_prefetch_distance 0x1
	s_branch .LBB788_59
	.p2align	6
.LBB788_57:                             ;   in Loop: Header=BB788_59 Depth=1
	global_load_b64 v[5:6], v[3:4], off
	global_load_b64 v[7:8], v[1:2], off
	v_add_co_u32 v1, s0, v1, 8
	s_delay_alu instid0(VALU_DEP_1) | instskip(SKIP_1) | instid1(VALU_DEP_1)
	v_add_co_ci_u32_e64 v2, s0, 0, v2, s0
	v_add_co_u32 v3, s0, v3, 8
	v_add_co_ci_u32_e64 v4, s0, 0, v4, s0
	s_add_u32 s16, s16, 1
	s_addc_u32 s17, s17, 0
	s_and_not1_b32 s0, s19, exec_lo
	s_waitcnt vmcnt(0)
	v_cmp_neq_f64_e32 vcc_lo, v[5:6], v[7:8]
	s_and_b32 s19, vcc_lo, exec_lo
	s_delay_alu instid0(SALU_CYCLE_1)
	s_or_b32 s19, s0, s19
.LBB788_58:                             ;   in Loop: Header=BB788_59 Depth=1
	v_dual_mov_b32 v5, s16 :: v_dual_mov_b32 v6, s17
	s_and_b32 s0, exec_lo, s19
	s_delay_alu instid0(SALU_CYCLE_1) | instskip(NEXT) | instid1(SALU_CYCLE_1)
	s_or_b32 s18, s0, s18
	s_and_not1_b32 exec_lo, exec_lo, s18
	s_cbranch_execz .LBB788_61
.LBB788_59:                             ; =>This Inner Loop Header: Depth=1
	s_or_b32 s19, s19, exec_lo
	s_cmp_eq_u64 s[6:7], s[16:17]
	s_cbranch_scc0 .LBB788_57
; %bb.60:                               ;   in Loop: Header=BB788_59 Depth=1
	s_mov_b64 s[16:17], s[4:5]
                                        ; implicit-def: $vgpr1_vgpr2
                                        ; implicit-def: $vgpr3_vgpr4
	s_branch .LBB788_58
.LBB788_61:
	s_set_inst_prefetch_distance 0x2
	s_or_b32 exec_lo, exec_lo, s18
	v_cmp_gt_i64_e32 vcc_lo, s[4:5], v[5:6]
	s_or_not1_b32 s16, vcc_lo, exec_lo
.LBB788_62:
	s_or_b32 exec_lo, exec_lo, s15
.LBB788_63:
	s_delay_alu instid0(SALU_CYCLE_1)
	s_and_b32 s0, s16, exec_lo
	s_or_b32 s3, s3, exec_lo
                                        ; implicit-def: $vgpr1_vgpr2
.LBB788_64:
	s_or_b32 exec_lo, exec_lo, s11
.LBB788_65:
	s_and_saveexec_b32 s4, s3
; %bb.66:
	s_mov_b32 s3, 0
	v_cndmask_b32_e64 v1, 0, 1, s0
	v_mov_b32_e32 v2, s3
; %bb.67:
	s_or_b32 exec_lo, exec_lo, s4
	s_add_u32 s0, s8, s12
	s_addc_u32 s4, s9, s13
	s_and_b32 vcc_lo, exec_lo, s1
	s_mov_b32 s1, -1
	s_waitcnt lgkmcnt(0)
	s_barrier
	buffer_gl0_inv
	s_cbranch_vccnz .LBB788_70
; %bb.68:
	s_and_not1_b32 vcc_lo, exec_lo, s1
	s_cbranch_vccz .LBB788_73
.LBB788_69:
	s_nop 0
	s_sendmsg sendmsg(MSG_DEALLOC_VGPRS)
	s_endpgm
.LBB788_70:
	s_lshl_b32 s1, s14, 9
	ds_store_b64 v9, v[1:2]
	s_sub_i32 s1, s10, s1
	s_waitcnt lgkmcnt(0)
	v_cmp_gt_u32_e32 vcc_lo, s1, v0
	s_barrier
	buffer_gl0_inv
	s_and_saveexec_b32 s1, vcc_lo
	s_cbranch_execz .LBB788_72
; %bb.71:
	ds_load_b64 v[3:4], v9
	s_mov_b32 s3, 0
	s_delay_alu instid0(SALU_CYCLE_1) | instskip(NEXT) | instid1(SALU_CYCLE_1)
	s_lshl_b64 s[6:7], s[2:3], 3
	s_add_u32 s6, s0, s6
	s_addc_u32 s7, s4, s7
	s_waitcnt lgkmcnt(0)
	global_store_b64 v9, v[3:4], s[6:7]
.LBB788_72:
	s_or_b32 exec_lo, exec_lo, s1
	s_cbranch_execnz .LBB788_69
.LBB788_73:
	ds_store_b64 v9, v[1:2]
	s_waitcnt lgkmcnt(0)
	s_waitcnt_vscnt null, 0x0
	s_barrier
	buffer_gl0_inv
	ds_load_b64 v[0:1], v9
	s_mov_b32 s3, 0
	s_delay_alu instid0(SALU_CYCLE_1) | instskip(NEXT) | instid1(SALU_CYCLE_1)
	s_lshl_b64 s[2:3], s[2:3], 3
	s_add_u32 s0, s0, s2
	s_addc_u32 s1, s4, s3
	s_waitcnt lgkmcnt(0)
	global_store_b64 v9, v[0:1], s[0:1]
	s_nop 0
	s_sendmsg sendmsg(MSG_DEALLOC_VGPRS)
	s_endpgm
	.section	.rodata,"a",@progbits
	.p2align	6, 0x0
	.amdhsa_kernel _ZN7rocprim17ROCPRIM_400000_NS6detail17trampoline_kernelINS0_14default_configENS1_35adjacent_difference_config_selectorILb0ElEEZNS1_24adjacent_difference_implIS3_Lb0ELb0EPlS7_ZN2at6native12_GLOBAL__N_124unique_dim_cuda_templateIdEESt5tupleIJNS8_6TensorESD_SD_EERKSD_lbbbEUlllE1_EE10hipError_tPvRmT2_T3_mT4_P12ihipStream_tbEUlT_E_NS1_11comp_targetILNS1_3genE9ELNS1_11target_archE1100ELNS1_3gpuE3ELNS1_3repE0EEENS1_30default_config_static_selectorELNS0_4arch9wavefront6targetE0EEEvT1_
		.amdhsa_group_segment_fixed_size 8192
		.amdhsa_private_segment_fixed_size 0
		.amdhsa_kernarg_size 64
		.amdhsa_user_sgpr_count 15
		.amdhsa_user_sgpr_dispatch_ptr 0
		.amdhsa_user_sgpr_queue_ptr 0
		.amdhsa_user_sgpr_kernarg_segment_ptr 1
		.amdhsa_user_sgpr_dispatch_id 0
		.amdhsa_user_sgpr_private_segment_size 0
		.amdhsa_wavefront_size32 1
		.amdhsa_uses_dynamic_stack 0
		.amdhsa_enable_private_segment 0
		.amdhsa_system_sgpr_workgroup_id_x 1
		.amdhsa_system_sgpr_workgroup_id_y 0
		.amdhsa_system_sgpr_workgroup_id_z 0
		.amdhsa_system_sgpr_workgroup_info 0
		.amdhsa_system_vgpr_workitem_id 0
		.amdhsa_next_free_vgpr 13
		.amdhsa_next_free_sgpr 26
		.amdhsa_reserve_vcc 1
		.amdhsa_float_round_mode_32 0
		.amdhsa_float_round_mode_16_64 0
		.amdhsa_float_denorm_mode_32 3
		.amdhsa_float_denorm_mode_16_64 3
		.amdhsa_dx10_clamp 1
		.amdhsa_ieee_mode 1
		.amdhsa_fp16_overflow 0
		.amdhsa_workgroup_processor_mode 1
		.amdhsa_memory_ordered 1
		.amdhsa_forward_progress 0
		.amdhsa_shared_vgpr_count 0
		.amdhsa_exception_fp_ieee_invalid_op 0
		.amdhsa_exception_fp_denorm_src 0
		.amdhsa_exception_fp_ieee_div_zero 0
		.amdhsa_exception_fp_ieee_overflow 0
		.amdhsa_exception_fp_ieee_underflow 0
		.amdhsa_exception_fp_ieee_inexact 0
		.amdhsa_exception_int_div_zero 0
	.end_amdhsa_kernel
	.section	.text._ZN7rocprim17ROCPRIM_400000_NS6detail17trampoline_kernelINS0_14default_configENS1_35adjacent_difference_config_selectorILb0ElEEZNS1_24adjacent_difference_implIS3_Lb0ELb0EPlS7_ZN2at6native12_GLOBAL__N_124unique_dim_cuda_templateIdEESt5tupleIJNS8_6TensorESD_SD_EERKSD_lbbbEUlllE1_EE10hipError_tPvRmT2_T3_mT4_P12ihipStream_tbEUlT_E_NS1_11comp_targetILNS1_3genE9ELNS1_11target_archE1100ELNS1_3gpuE3ELNS1_3repE0EEENS1_30default_config_static_selectorELNS0_4arch9wavefront6targetE0EEEvT1_,"axG",@progbits,_ZN7rocprim17ROCPRIM_400000_NS6detail17trampoline_kernelINS0_14default_configENS1_35adjacent_difference_config_selectorILb0ElEEZNS1_24adjacent_difference_implIS3_Lb0ELb0EPlS7_ZN2at6native12_GLOBAL__N_124unique_dim_cuda_templateIdEESt5tupleIJNS8_6TensorESD_SD_EERKSD_lbbbEUlllE1_EE10hipError_tPvRmT2_T3_mT4_P12ihipStream_tbEUlT_E_NS1_11comp_targetILNS1_3genE9ELNS1_11target_archE1100ELNS1_3gpuE3ELNS1_3repE0EEENS1_30default_config_static_selectorELNS0_4arch9wavefront6targetE0EEEvT1_,comdat
.Lfunc_end788:
	.size	_ZN7rocprim17ROCPRIM_400000_NS6detail17trampoline_kernelINS0_14default_configENS1_35adjacent_difference_config_selectorILb0ElEEZNS1_24adjacent_difference_implIS3_Lb0ELb0EPlS7_ZN2at6native12_GLOBAL__N_124unique_dim_cuda_templateIdEESt5tupleIJNS8_6TensorESD_SD_EERKSD_lbbbEUlllE1_EE10hipError_tPvRmT2_T3_mT4_P12ihipStream_tbEUlT_E_NS1_11comp_targetILNS1_3genE9ELNS1_11target_archE1100ELNS1_3gpuE3ELNS1_3repE0EEENS1_30default_config_static_selectorELNS0_4arch9wavefront6targetE0EEEvT1_, .Lfunc_end788-_ZN7rocprim17ROCPRIM_400000_NS6detail17trampoline_kernelINS0_14default_configENS1_35adjacent_difference_config_selectorILb0ElEEZNS1_24adjacent_difference_implIS3_Lb0ELb0EPlS7_ZN2at6native12_GLOBAL__N_124unique_dim_cuda_templateIdEESt5tupleIJNS8_6TensorESD_SD_EERKSD_lbbbEUlllE1_EE10hipError_tPvRmT2_T3_mT4_P12ihipStream_tbEUlT_E_NS1_11comp_targetILNS1_3genE9ELNS1_11target_archE1100ELNS1_3gpuE3ELNS1_3repE0EEENS1_30default_config_static_selectorELNS0_4arch9wavefront6targetE0EEEvT1_
                                        ; -- End function
	.section	.AMDGPU.csdata,"",@progbits
; Kernel info:
; codeLenInByte = 2572
; NumSgprs: 28
; NumVgprs: 13
; ScratchSize: 0
; MemoryBound: 1
; FloatMode: 240
; IeeeMode: 1
; LDSByteSize: 8192 bytes/workgroup (compile time only)
; SGPRBlocks: 3
; VGPRBlocks: 1
; NumSGPRsForWavesPerEU: 28
; NumVGPRsForWavesPerEU: 13
; Occupancy: 16
; WaveLimiterHint : 0
; COMPUTE_PGM_RSRC2:SCRATCH_EN: 0
; COMPUTE_PGM_RSRC2:USER_SGPR: 15
; COMPUTE_PGM_RSRC2:TRAP_HANDLER: 0
; COMPUTE_PGM_RSRC2:TGID_X_EN: 1
; COMPUTE_PGM_RSRC2:TGID_Y_EN: 0
; COMPUTE_PGM_RSRC2:TGID_Z_EN: 0
; COMPUTE_PGM_RSRC2:TIDIG_COMP_CNT: 0
	.section	.text._ZN7rocprim17ROCPRIM_400000_NS6detail17trampoline_kernelINS0_14default_configENS1_35adjacent_difference_config_selectorILb0ElEEZNS1_24adjacent_difference_implIS3_Lb0ELb0EPlS7_ZN2at6native12_GLOBAL__N_124unique_dim_cuda_templateIdEESt5tupleIJNS8_6TensorESD_SD_EERKSD_lbbbEUlllE1_EE10hipError_tPvRmT2_T3_mT4_P12ihipStream_tbEUlT_E_NS1_11comp_targetILNS1_3genE8ELNS1_11target_archE1030ELNS1_3gpuE2ELNS1_3repE0EEENS1_30default_config_static_selectorELNS0_4arch9wavefront6targetE0EEEvT1_,"axG",@progbits,_ZN7rocprim17ROCPRIM_400000_NS6detail17trampoline_kernelINS0_14default_configENS1_35adjacent_difference_config_selectorILb0ElEEZNS1_24adjacent_difference_implIS3_Lb0ELb0EPlS7_ZN2at6native12_GLOBAL__N_124unique_dim_cuda_templateIdEESt5tupleIJNS8_6TensorESD_SD_EERKSD_lbbbEUlllE1_EE10hipError_tPvRmT2_T3_mT4_P12ihipStream_tbEUlT_E_NS1_11comp_targetILNS1_3genE8ELNS1_11target_archE1030ELNS1_3gpuE2ELNS1_3repE0EEENS1_30default_config_static_selectorELNS0_4arch9wavefront6targetE0EEEvT1_,comdat
	.globl	_ZN7rocprim17ROCPRIM_400000_NS6detail17trampoline_kernelINS0_14default_configENS1_35adjacent_difference_config_selectorILb0ElEEZNS1_24adjacent_difference_implIS3_Lb0ELb0EPlS7_ZN2at6native12_GLOBAL__N_124unique_dim_cuda_templateIdEESt5tupleIJNS8_6TensorESD_SD_EERKSD_lbbbEUlllE1_EE10hipError_tPvRmT2_T3_mT4_P12ihipStream_tbEUlT_E_NS1_11comp_targetILNS1_3genE8ELNS1_11target_archE1030ELNS1_3gpuE2ELNS1_3repE0EEENS1_30default_config_static_selectorELNS0_4arch9wavefront6targetE0EEEvT1_ ; -- Begin function _ZN7rocprim17ROCPRIM_400000_NS6detail17trampoline_kernelINS0_14default_configENS1_35adjacent_difference_config_selectorILb0ElEEZNS1_24adjacent_difference_implIS3_Lb0ELb0EPlS7_ZN2at6native12_GLOBAL__N_124unique_dim_cuda_templateIdEESt5tupleIJNS8_6TensorESD_SD_EERKSD_lbbbEUlllE1_EE10hipError_tPvRmT2_T3_mT4_P12ihipStream_tbEUlT_E_NS1_11comp_targetILNS1_3genE8ELNS1_11target_archE1030ELNS1_3gpuE2ELNS1_3repE0EEENS1_30default_config_static_selectorELNS0_4arch9wavefront6targetE0EEEvT1_
	.p2align	8
	.type	_ZN7rocprim17ROCPRIM_400000_NS6detail17trampoline_kernelINS0_14default_configENS1_35adjacent_difference_config_selectorILb0ElEEZNS1_24adjacent_difference_implIS3_Lb0ELb0EPlS7_ZN2at6native12_GLOBAL__N_124unique_dim_cuda_templateIdEESt5tupleIJNS8_6TensorESD_SD_EERKSD_lbbbEUlllE1_EE10hipError_tPvRmT2_T3_mT4_P12ihipStream_tbEUlT_E_NS1_11comp_targetILNS1_3genE8ELNS1_11target_archE1030ELNS1_3gpuE2ELNS1_3repE0EEENS1_30default_config_static_selectorELNS0_4arch9wavefront6targetE0EEEvT1_,@function
_ZN7rocprim17ROCPRIM_400000_NS6detail17trampoline_kernelINS0_14default_configENS1_35adjacent_difference_config_selectorILb0ElEEZNS1_24adjacent_difference_implIS3_Lb0ELb0EPlS7_ZN2at6native12_GLOBAL__N_124unique_dim_cuda_templateIdEESt5tupleIJNS8_6TensorESD_SD_EERKSD_lbbbEUlllE1_EE10hipError_tPvRmT2_T3_mT4_P12ihipStream_tbEUlT_E_NS1_11comp_targetILNS1_3genE8ELNS1_11target_archE1030ELNS1_3gpuE2ELNS1_3repE0EEENS1_30default_config_static_selectorELNS0_4arch9wavefront6targetE0EEEvT1_: ; @_ZN7rocprim17ROCPRIM_400000_NS6detail17trampoline_kernelINS0_14default_configENS1_35adjacent_difference_config_selectorILb0ElEEZNS1_24adjacent_difference_implIS3_Lb0ELb0EPlS7_ZN2at6native12_GLOBAL__N_124unique_dim_cuda_templateIdEESt5tupleIJNS8_6TensorESD_SD_EERKSD_lbbbEUlllE1_EE10hipError_tPvRmT2_T3_mT4_P12ihipStream_tbEUlT_E_NS1_11comp_targetILNS1_3genE8ELNS1_11target_archE1030ELNS1_3gpuE2ELNS1_3repE0EEENS1_30default_config_static_selectorELNS0_4arch9wavefront6targetE0EEEvT1_
; %bb.0:
	.section	.rodata,"a",@progbits
	.p2align	6, 0x0
	.amdhsa_kernel _ZN7rocprim17ROCPRIM_400000_NS6detail17trampoline_kernelINS0_14default_configENS1_35adjacent_difference_config_selectorILb0ElEEZNS1_24adjacent_difference_implIS3_Lb0ELb0EPlS7_ZN2at6native12_GLOBAL__N_124unique_dim_cuda_templateIdEESt5tupleIJNS8_6TensorESD_SD_EERKSD_lbbbEUlllE1_EE10hipError_tPvRmT2_T3_mT4_P12ihipStream_tbEUlT_E_NS1_11comp_targetILNS1_3genE8ELNS1_11target_archE1030ELNS1_3gpuE2ELNS1_3repE0EEENS1_30default_config_static_selectorELNS0_4arch9wavefront6targetE0EEEvT1_
		.amdhsa_group_segment_fixed_size 0
		.amdhsa_private_segment_fixed_size 0
		.amdhsa_kernarg_size 64
		.amdhsa_user_sgpr_count 15
		.amdhsa_user_sgpr_dispatch_ptr 0
		.amdhsa_user_sgpr_queue_ptr 0
		.amdhsa_user_sgpr_kernarg_segment_ptr 1
		.amdhsa_user_sgpr_dispatch_id 0
		.amdhsa_user_sgpr_private_segment_size 0
		.amdhsa_wavefront_size32 1
		.amdhsa_uses_dynamic_stack 0
		.amdhsa_enable_private_segment 0
		.amdhsa_system_sgpr_workgroup_id_x 1
		.amdhsa_system_sgpr_workgroup_id_y 0
		.amdhsa_system_sgpr_workgroup_id_z 0
		.amdhsa_system_sgpr_workgroup_info 0
		.amdhsa_system_vgpr_workitem_id 0
		.amdhsa_next_free_vgpr 1
		.amdhsa_next_free_sgpr 1
		.amdhsa_reserve_vcc 0
		.amdhsa_float_round_mode_32 0
		.amdhsa_float_round_mode_16_64 0
		.amdhsa_float_denorm_mode_32 3
		.amdhsa_float_denorm_mode_16_64 3
		.amdhsa_dx10_clamp 1
		.amdhsa_ieee_mode 1
		.amdhsa_fp16_overflow 0
		.amdhsa_workgroup_processor_mode 1
		.amdhsa_memory_ordered 1
		.amdhsa_forward_progress 0
		.amdhsa_shared_vgpr_count 0
		.amdhsa_exception_fp_ieee_invalid_op 0
		.amdhsa_exception_fp_denorm_src 0
		.amdhsa_exception_fp_ieee_div_zero 0
		.amdhsa_exception_fp_ieee_overflow 0
		.amdhsa_exception_fp_ieee_underflow 0
		.amdhsa_exception_fp_ieee_inexact 0
		.amdhsa_exception_int_div_zero 0
	.end_amdhsa_kernel
	.section	.text._ZN7rocprim17ROCPRIM_400000_NS6detail17trampoline_kernelINS0_14default_configENS1_35adjacent_difference_config_selectorILb0ElEEZNS1_24adjacent_difference_implIS3_Lb0ELb0EPlS7_ZN2at6native12_GLOBAL__N_124unique_dim_cuda_templateIdEESt5tupleIJNS8_6TensorESD_SD_EERKSD_lbbbEUlllE1_EE10hipError_tPvRmT2_T3_mT4_P12ihipStream_tbEUlT_E_NS1_11comp_targetILNS1_3genE8ELNS1_11target_archE1030ELNS1_3gpuE2ELNS1_3repE0EEENS1_30default_config_static_selectorELNS0_4arch9wavefront6targetE0EEEvT1_,"axG",@progbits,_ZN7rocprim17ROCPRIM_400000_NS6detail17trampoline_kernelINS0_14default_configENS1_35adjacent_difference_config_selectorILb0ElEEZNS1_24adjacent_difference_implIS3_Lb0ELb0EPlS7_ZN2at6native12_GLOBAL__N_124unique_dim_cuda_templateIdEESt5tupleIJNS8_6TensorESD_SD_EERKSD_lbbbEUlllE1_EE10hipError_tPvRmT2_T3_mT4_P12ihipStream_tbEUlT_E_NS1_11comp_targetILNS1_3genE8ELNS1_11target_archE1030ELNS1_3gpuE2ELNS1_3repE0EEENS1_30default_config_static_selectorELNS0_4arch9wavefront6targetE0EEEvT1_,comdat
.Lfunc_end789:
	.size	_ZN7rocprim17ROCPRIM_400000_NS6detail17trampoline_kernelINS0_14default_configENS1_35adjacent_difference_config_selectorILb0ElEEZNS1_24adjacent_difference_implIS3_Lb0ELb0EPlS7_ZN2at6native12_GLOBAL__N_124unique_dim_cuda_templateIdEESt5tupleIJNS8_6TensorESD_SD_EERKSD_lbbbEUlllE1_EE10hipError_tPvRmT2_T3_mT4_P12ihipStream_tbEUlT_E_NS1_11comp_targetILNS1_3genE8ELNS1_11target_archE1030ELNS1_3gpuE2ELNS1_3repE0EEENS1_30default_config_static_selectorELNS0_4arch9wavefront6targetE0EEEvT1_, .Lfunc_end789-_ZN7rocprim17ROCPRIM_400000_NS6detail17trampoline_kernelINS0_14default_configENS1_35adjacent_difference_config_selectorILb0ElEEZNS1_24adjacent_difference_implIS3_Lb0ELb0EPlS7_ZN2at6native12_GLOBAL__N_124unique_dim_cuda_templateIdEESt5tupleIJNS8_6TensorESD_SD_EERKSD_lbbbEUlllE1_EE10hipError_tPvRmT2_T3_mT4_P12ihipStream_tbEUlT_E_NS1_11comp_targetILNS1_3genE8ELNS1_11target_archE1030ELNS1_3gpuE2ELNS1_3repE0EEENS1_30default_config_static_selectorELNS0_4arch9wavefront6targetE0EEEvT1_
                                        ; -- End function
	.section	.AMDGPU.csdata,"",@progbits
; Kernel info:
; codeLenInByte = 0
; NumSgprs: 0
; NumVgprs: 0
; ScratchSize: 0
; MemoryBound: 0
; FloatMode: 240
; IeeeMode: 1
; LDSByteSize: 0 bytes/workgroup (compile time only)
; SGPRBlocks: 0
; VGPRBlocks: 0
; NumSGPRsForWavesPerEU: 1
; NumVGPRsForWavesPerEU: 1
; Occupancy: 16
; WaveLimiterHint : 0
; COMPUTE_PGM_RSRC2:SCRATCH_EN: 0
; COMPUTE_PGM_RSRC2:USER_SGPR: 15
; COMPUTE_PGM_RSRC2:TRAP_HANDLER: 0
; COMPUTE_PGM_RSRC2:TGID_X_EN: 1
; COMPUTE_PGM_RSRC2:TGID_Y_EN: 0
; COMPUTE_PGM_RSRC2:TGID_Z_EN: 0
; COMPUTE_PGM_RSRC2:TIDIG_COMP_CNT: 0
	.section	.text._ZN7rocprim17ROCPRIM_400000_NS6detail17trampoline_kernelINS0_14default_configENS1_25transform_config_selectorIlLb0EEEZNS1_14transform_implILb0ES3_S5_NS0_18transform_iteratorINS0_17counting_iteratorImlEEZNS1_24adjacent_difference_implIS3_Lb1ELb0EPlSB_ZN2at6native12_GLOBAL__N_124unique_dim_cuda_templateIdEESt5tupleIJNSC_6TensorESH_SH_EERKSH_lbbbEUlllE1_EE10hipError_tPvRmT2_T3_mT4_P12ihipStream_tbEUlmE_lEESB_NS0_8identityIvEEEESM_SP_SQ_mSR_ST_bEUlT_E_NS1_11comp_targetILNS1_3genE0ELNS1_11target_archE4294967295ELNS1_3gpuE0ELNS1_3repE0EEENS1_30default_config_static_selectorELNS0_4arch9wavefront6targetE0EEEvT1_,"axG",@progbits,_ZN7rocprim17ROCPRIM_400000_NS6detail17trampoline_kernelINS0_14default_configENS1_25transform_config_selectorIlLb0EEEZNS1_14transform_implILb0ES3_S5_NS0_18transform_iteratorINS0_17counting_iteratorImlEEZNS1_24adjacent_difference_implIS3_Lb1ELb0EPlSB_ZN2at6native12_GLOBAL__N_124unique_dim_cuda_templateIdEESt5tupleIJNSC_6TensorESH_SH_EERKSH_lbbbEUlllE1_EE10hipError_tPvRmT2_T3_mT4_P12ihipStream_tbEUlmE_lEESB_NS0_8identityIvEEEESM_SP_SQ_mSR_ST_bEUlT_E_NS1_11comp_targetILNS1_3genE0ELNS1_11target_archE4294967295ELNS1_3gpuE0ELNS1_3repE0EEENS1_30default_config_static_selectorELNS0_4arch9wavefront6targetE0EEEvT1_,comdat
	.globl	_ZN7rocprim17ROCPRIM_400000_NS6detail17trampoline_kernelINS0_14default_configENS1_25transform_config_selectorIlLb0EEEZNS1_14transform_implILb0ES3_S5_NS0_18transform_iteratorINS0_17counting_iteratorImlEEZNS1_24adjacent_difference_implIS3_Lb1ELb0EPlSB_ZN2at6native12_GLOBAL__N_124unique_dim_cuda_templateIdEESt5tupleIJNSC_6TensorESH_SH_EERKSH_lbbbEUlllE1_EE10hipError_tPvRmT2_T3_mT4_P12ihipStream_tbEUlmE_lEESB_NS0_8identityIvEEEESM_SP_SQ_mSR_ST_bEUlT_E_NS1_11comp_targetILNS1_3genE0ELNS1_11target_archE4294967295ELNS1_3gpuE0ELNS1_3repE0EEENS1_30default_config_static_selectorELNS0_4arch9wavefront6targetE0EEEvT1_ ; -- Begin function _ZN7rocprim17ROCPRIM_400000_NS6detail17trampoline_kernelINS0_14default_configENS1_25transform_config_selectorIlLb0EEEZNS1_14transform_implILb0ES3_S5_NS0_18transform_iteratorINS0_17counting_iteratorImlEEZNS1_24adjacent_difference_implIS3_Lb1ELb0EPlSB_ZN2at6native12_GLOBAL__N_124unique_dim_cuda_templateIdEESt5tupleIJNSC_6TensorESH_SH_EERKSH_lbbbEUlllE1_EE10hipError_tPvRmT2_T3_mT4_P12ihipStream_tbEUlmE_lEESB_NS0_8identityIvEEEESM_SP_SQ_mSR_ST_bEUlT_E_NS1_11comp_targetILNS1_3genE0ELNS1_11target_archE4294967295ELNS1_3gpuE0ELNS1_3repE0EEENS1_30default_config_static_selectorELNS0_4arch9wavefront6targetE0EEEvT1_
	.p2align	8
	.type	_ZN7rocprim17ROCPRIM_400000_NS6detail17trampoline_kernelINS0_14default_configENS1_25transform_config_selectorIlLb0EEEZNS1_14transform_implILb0ES3_S5_NS0_18transform_iteratorINS0_17counting_iteratorImlEEZNS1_24adjacent_difference_implIS3_Lb1ELb0EPlSB_ZN2at6native12_GLOBAL__N_124unique_dim_cuda_templateIdEESt5tupleIJNSC_6TensorESH_SH_EERKSH_lbbbEUlllE1_EE10hipError_tPvRmT2_T3_mT4_P12ihipStream_tbEUlmE_lEESB_NS0_8identityIvEEEESM_SP_SQ_mSR_ST_bEUlT_E_NS1_11comp_targetILNS1_3genE0ELNS1_11target_archE4294967295ELNS1_3gpuE0ELNS1_3repE0EEENS1_30default_config_static_selectorELNS0_4arch9wavefront6targetE0EEEvT1_,@function
_ZN7rocprim17ROCPRIM_400000_NS6detail17trampoline_kernelINS0_14default_configENS1_25transform_config_selectorIlLb0EEEZNS1_14transform_implILb0ES3_S5_NS0_18transform_iteratorINS0_17counting_iteratorImlEEZNS1_24adjacent_difference_implIS3_Lb1ELb0EPlSB_ZN2at6native12_GLOBAL__N_124unique_dim_cuda_templateIdEESt5tupleIJNSC_6TensorESH_SH_EERKSH_lbbbEUlllE1_EE10hipError_tPvRmT2_T3_mT4_P12ihipStream_tbEUlmE_lEESB_NS0_8identityIvEEEESM_SP_SQ_mSR_ST_bEUlT_E_NS1_11comp_targetILNS1_3genE0ELNS1_11target_archE4294967295ELNS1_3gpuE0ELNS1_3repE0EEENS1_30default_config_static_selectorELNS0_4arch9wavefront6targetE0EEEvT1_: ; @_ZN7rocprim17ROCPRIM_400000_NS6detail17trampoline_kernelINS0_14default_configENS1_25transform_config_selectorIlLb0EEEZNS1_14transform_implILb0ES3_S5_NS0_18transform_iteratorINS0_17counting_iteratorImlEEZNS1_24adjacent_difference_implIS3_Lb1ELb0EPlSB_ZN2at6native12_GLOBAL__N_124unique_dim_cuda_templateIdEESt5tupleIJNSC_6TensorESH_SH_EERKSH_lbbbEUlllE1_EE10hipError_tPvRmT2_T3_mT4_P12ihipStream_tbEUlmE_lEESB_NS0_8identityIvEEEESM_SP_SQ_mSR_ST_bEUlT_E_NS1_11comp_targetILNS1_3genE0ELNS1_11target_archE4294967295ELNS1_3gpuE0ELNS1_3repE0EEENS1_30default_config_static_selectorELNS0_4arch9wavefront6targetE0EEEvT1_
; %bb.0:
	.section	.rodata,"a",@progbits
	.p2align	6, 0x0
	.amdhsa_kernel _ZN7rocprim17ROCPRIM_400000_NS6detail17trampoline_kernelINS0_14default_configENS1_25transform_config_selectorIlLb0EEEZNS1_14transform_implILb0ES3_S5_NS0_18transform_iteratorINS0_17counting_iteratorImlEEZNS1_24adjacent_difference_implIS3_Lb1ELb0EPlSB_ZN2at6native12_GLOBAL__N_124unique_dim_cuda_templateIdEESt5tupleIJNSC_6TensorESH_SH_EERKSH_lbbbEUlllE1_EE10hipError_tPvRmT2_T3_mT4_P12ihipStream_tbEUlmE_lEESB_NS0_8identityIvEEEESM_SP_SQ_mSR_ST_bEUlT_E_NS1_11comp_targetILNS1_3genE0ELNS1_11target_archE4294967295ELNS1_3gpuE0ELNS1_3repE0EEENS1_30default_config_static_selectorELNS0_4arch9wavefront6targetE0EEEvT1_
		.amdhsa_group_segment_fixed_size 0
		.amdhsa_private_segment_fixed_size 0
		.amdhsa_kernarg_size 56
		.amdhsa_user_sgpr_count 15
		.amdhsa_user_sgpr_dispatch_ptr 0
		.amdhsa_user_sgpr_queue_ptr 0
		.amdhsa_user_sgpr_kernarg_segment_ptr 1
		.amdhsa_user_sgpr_dispatch_id 0
		.amdhsa_user_sgpr_private_segment_size 0
		.amdhsa_wavefront_size32 1
		.amdhsa_uses_dynamic_stack 0
		.amdhsa_enable_private_segment 0
		.amdhsa_system_sgpr_workgroup_id_x 1
		.amdhsa_system_sgpr_workgroup_id_y 0
		.amdhsa_system_sgpr_workgroup_id_z 0
		.amdhsa_system_sgpr_workgroup_info 0
		.amdhsa_system_vgpr_workitem_id 0
		.amdhsa_next_free_vgpr 1
		.amdhsa_next_free_sgpr 1
		.amdhsa_reserve_vcc 0
		.amdhsa_float_round_mode_32 0
		.amdhsa_float_round_mode_16_64 0
		.amdhsa_float_denorm_mode_32 3
		.amdhsa_float_denorm_mode_16_64 3
		.amdhsa_dx10_clamp 1
		.amdhsa_ieee_mode 1
		.amdhsa_fp16_overflow 0
		.amdhsa_workgroup_processor_mode 1
		.amdhsa_memory_ordered 1
		.amdhsa_forward_progress 0
		.amdhsa_shared_vgpr_count 0
		.amdhsa_exception_fp_ieee_invalid_op 0
		.amdhsa_exception_fp_denorm_src 0
		.amdhsa_exception_fp_ieee_div_zero 0
		.amdhsa_exception_fp_ieee_overflow 0
		.amdhsa_exception_fp_ieee_underflow 0
		.amdhsa_exception_fp_ieee_inexact 0
		.amdhsa_exception_int_div_zero 0
	.end_amdhsa_kernel
	.section	.text._ZN7rocprim17ROCPRIM_400000_NS6detail17trampoline_kernelINS0_14default_configENS1_25transform_config_selectorIlLb0EEEZNS1_14transform_implILb0ES3_S5_NS0_18transform_iteratorINS0_17counting_iteratorImlEEZNS1_24adjacent_difference_implIS3_Lb1ELb0EPlSB_ZN2at6native12_GLOBAL__N_124unique_dim_cuda_templateIdEESt5tupleIJNSC_6TensorESH_SH_EERKSH_lbbbEUlllE1_EE10hipError_tPvRmT2_T3_mT4_P12ihipStream_tbEUlmE_lEESB_NS0_8identityIvEEEESM_SP_SQ_mSR_ST_bEUlT_E_NS1_11comp_targetILNS1_3genE0ELNS1_11target_archE4294967295ELNS1_3gpuE0ELNS1_3repE0EEENS1_30default_config_static_selectorELNS0_4arch9wavefront6targetE0EEEvT1_,"axG",@progbits,_ZN7rocprim17ROCPRIM_400000_NS6detail17trampoline_kernelINS0_14default_configENS1_25transform_config_selectorIlLb0EEEZNS1_14transform_implILb0ES3_S5_NS0_18transform_iteratorINS0_17counting_iteratorImlEEZNS1_24adjacent_difference_implIS3_Lb1ELb0EPlSB_ZN2at6native12_GLOBAL__N_124unique_dim_cuda_templateIdEESt5tupleIJNSC_6TensorESH_SH_EERKSH_lbbbEUlllE1_EE10hipError_tPvRmT2_T3_mT4_P12ihipStream_tbEUlmE_lEESB_NS0_8identityIvEEEESM_SP_SQ_mSR_ST_bEUlT_E_NS1_11comp_targetILNS1_3genE0ELNS1_11target_archE4294967295ELNS1_3gpuE0ELNS1_3repE0EEENS1_30default_config_static_selectorELNS0_4arch9wavefront6targetE0EEEvT1_,comdat
.Lfunc_end790:
	.size	_ZN7rocprim17ROCPRIM_400000_NS6detail17trampoline_kernelINS0_14default_configENS1_25transform_config_selectorIlLb0EEEZNS1_14transform_implILb0ES3_S5_NS0_18transform_iteratorINS0_17counting_iteratorImlEEZNS1_24adjacent_difference_implIS3_Lb1ELb0EPlSB_ZN2at6native12_GLOBAL__N_124unique_dim_cuda_templateIdEESt5tupleIJNSC_6TensorESH_SH_EERKSH_lbbbEUlllE1_EE10hipError_tPvRmT2_T3_mT4_P12ihipStream_tbEUlmE_lEESB_NS0_8identityIvEEEESM_SP_SQ_mSR_ST_bEUlT_E_NS1_11comp_targetILNS1_3genE0ELNS1_11target_archE4294967295ELNS1_3gpuE0ELNS1_3repE0EEENS1_30default_config_static_selectorELNS0_4arch9wavefront6targetE0EEEvT1_, .Lfunc_end790-_ZN7rocprim17ROCPRIM_400000_NS6detail17trampoline_kernelINS0_14default_configENS1_25transform_config_selectorIlLb0EEEZNS1_14transform_implILb0ES3_S5_NS0_18transform_iteratorINS0_17counting_iteratorImlEEZNS1_24adjacent_difference_implIS3_Lb1ELb0EPlSB_ZN2at6native12_GLOBAL__N_124unique_dim_cuda_templateIdEESt5tupleIJNSC_6TensorESH_SH_EERKSH_lbbbEUlllE1_EE10hipError_tPvRmT2_T3_mT4_P12ihipStream_tbEUlmE_lEESB_NS0_8identityIvEEEESM_SP_SQ_mSR_ST_bEUlT_E_NS1_11comp_targetILNS1_3genE0ELNS1_11target_archE4294967295ELNS1_3gpuE0ELNS1_3repE0EEENS1_30default_config_static_selectorELNS0_4arch9wavefront6targetE0EEEvT1_
                                        ; -- End function
	.section	.AMDGPU.csdata,"",@progbits
; Kernel info:
; codeLenInByte = 0
; NumSgprs: 0
; NumVgprs: 0
; ScratchSize: 0
; MemoryBound: 0
; FloatMode: 240
; IeeeMode: 1
; LDSByteSize: 0 bytes/workgroup (compile time only)
; SGPRBlocks: 0
; VGPRBlocks: 0
; NumSGPRsForWavesPerEU: 1
; NumVGPRsForWavesPerEU: 1
; Occupancy: 16
; WaveLimiterHint : 0
; COMPUTE_PGM_RSRC2:SCRATCH_EN: 0
; COMPUTE_PGM_RSRC2:USER_SGPR: 15
; COMPUTE_PGM_RSRC2:TRAP_HANDLER: 0
; COMPUTE_PGM_RSRC2:TGID_X_EN: 1
; COMPUTE_PGM_RSRC2:TGID_Y_EN: 0
; COMPUTE_PGM_RSRC2:TGID_Z_EN: 0
; COMPUTE_PGM_RSRC2:TIDIG_COMP_CNT: 0
	.section	.text._ZN7rocprim17ROCPRIM_400000_NS6detail17trampoline_kernelINS0_14default_configENS1_25transform_config_selectorIlLb0EEEZNS1_14transform_implILb0ES3_S5_NS0_18transform_iteratorINS0_17counting_iteratorImlEEZNS1_24adjacent_difference_implIS3_Lb1ELb0EPlSB_ZN2at6native12_GLOBAL__N_124unique_dim_cuda_templateIdEESt5tupleIJNSC_6TensorESH_SH_EERKSH_lbbbEUlllE1_EE10hipError_tPvRmT2_T3_mT4_P12ihipStream_tbEUlmE_lEESB_NS0_8identityIvEEEESM_SP_SQ_mSR_ST_bEUlT_E_NS1_11comp_targetILNS1_3genE5ELNS1_11target_archE942ELNS1_3gpuE9ELNS1_3repE0EEENS1_30default_config_static_selectorELNS0_4arch9wavefront6targetE0EEEvT1_,"axG",@progbits,_ZN7rocprim17ROCPRIM_400000_NS6detail17trampoline_kernelINS0_14default_configENS1_25transform_config_selectorIlLb0EEEZNS1_14transform_implILb0ES3_S5_NS0_18transform_iteratorINS0_17counting_iteratorImlEEZNS1_24adjacent_difference_implIS3_Lb1ELb0EPlSB_ZN2at6native12_GLOBAL__N_124unique_dim_cuda_templateIdEESt5tupleIJNSC_6TensorESH_SH_EERKSH_lbbbEUlllE1_EE10hipError_tPvRmT2_T3_mT4_P12ihipStream_tbEUlmE_lEESB_NS0_8identityIvEEEESM_SP_SQ_mSR_ST_bEUlT_E_NS1_11comp_targetILNS1_3genE5ELNS1_11target_archE942ELNS1_3gpuE9ELNS1_3repE0EEENS1_30default_config_static_selectorELNS0_4arch9wavefront6targetE0EEEvT1_,comdat
	.globl	_ZN7rocprim17ROCPRIM_400000_NS6detail17trampoline_kernelINS0_14default_configENS1_25transform_config_selectorIlLb0EEEZNS1_14transform_implILb0ES3_S5_NS0_18transform_iteratorINS0_17counting_iteratorImlEEZNS1_24adjacent_difference_implIS3_Lb1ELb0EPlSB_ZN2at6native12_GLOBAL__N_124unique_dim_cuda_templateIdEESt5tupleIJNSC_6TensorESH_SH_EERKSH_lbbbEUlllE1_EE10hipError_tPvRmT2_T3_mT4_P12ihipStream_tbEUlmE_lEESB_NS0_8identityIvEEEESM_SP_SQ_mSR_ST_bEUlT_E_NS1_11comp_targetILNS1_3genE5ELNS1_11target_archE942ELNS1_3gpuE9ELNS1_3repE0EEENS1_30default_config_static_selectorELNS0_4arch9wavefront6targetE0EEEvT1_ ; -- Begin function _ZN7rocprim17ROCPRIM_400000_NS6detail17trampoline_kernelINS0_14default_configENS1_25transform_config_selectorIlLb0EEEZNS1_14transform_implILb0ES3_S5_NS0_18transform_iteratorINS0_17counting_iteratorImlEEZNS1_24adjacent_difference_implIS3_Lb1ELb0EPlSB_ZN2at6native12_GLOBAL__N_124unique_dim_cuda_templateIdEESt5tupleIJNSC_6TensorESH_SH_EERKSH_lbbbEUlllE1_EE10hipError_tPvRmT2_T3_mT4_P12ihipStream_tbEUlmE_lEESB_NS0_8identityIvEEEESM_SP_SQ_mSR_ST_bEUlT_E_NS1_11comp_targetILNS1_3genE5ELNS1_11target_archE942ELNS1_3gpuE9ELNS1_3repE0EEENS1_30default_config_static_selectorELNS0_4arch9wavefront6targetE0EEEvT1_
	.p2align	8
	.type	_ZN7rocprim17ROCPRIM_400000_NS6detail17trampoline_kernelINS0_14default_configENS1_25transform_config_selectorIlLb0EEEZNS1_14transform_implILb0ES3_S5_NS0_18transform_iteratorINS0_17counting_iteratorImlEEZNS1_24adjacent_difference_implIS3_Lb1ELb0EPlSB_ZN2at6native12_GLOBAL__N_124unique_dim_cuda_templateIdEESt5tupleIJNSC_6TensorESH_SH_EERKSH_lbbbEUlllE1_EE10hipError_tPvRmT2_T3_mT4_P12ihipStream_tbEUlmE_lEESB_NS0_8identityIvEEEESM_SP_SQ_mSR_ST_bEUlT_E_NS1_11comp_targetILNS1_3genE5ELNS1_11target_archE942ELNS1_3gpuE9ELNS1_3repE0EEENS1_30default_config_static_selectorELNS0_4arch9wavefront6targetE0EEEvT1_,@function
_ZN7rocprim17ROCPRIM_400000_NS6detail17trampoline_kernelINS0_14default_configENS1_25transform_config_selectorIlLb0EEEZNS1_14transform_implILb0ES3_S5_NS0_18transform_iteratorINS0_17counting_iteratorImlEEZNS1_24adjacent_difference_implIS3_Lb1ELb0EPlSB_ZN2at6native12_GLOBAL__N_124unique_dim_cuda_templateIdEESt5tupleIJNSC_6TensorESH_SH_EERKSH_lbbbEUlllE1_EE10hipError_tPvRmT2_T3_mT4_P12ihipStream_tbEUlmE_lEESB_NS0_8identityIvEEEESM_SP_SQ_mSR_ST_bEUlT_E_NS1_11comp_targetILNS1_3genE5ELNS1_11target_archE942ELNS1_3gpuE9ELNS1_3repE0EEENS1_30default_config_static_selectorELNS0_4arch9wavefront6targetE0EEEvT1_: ; @_ZN7rocprim17ROCPRIM_400000_NS6detail17trampoline_kernelINS0_14default_configENS1_25transform_config_selectorIlLb0EEEZNS1_14transform_implILb0ES3_S5_NS0_18transform_iteratorINS0_17counting_iteratorImlEEZNS1_24adjacent_difference_implIS3_Lb1ELb0EPlSB_ZN2at6native12_GLOBAL__N_124unique_dim_cuda_templateIdEESt5tupleIJNSC_6TensorESH_SH_EERKSH_lbbbEUlllE1_EE10hipError_tPvRmT2_T3_mT4_P12ihipStream_tbEUlmE_lEESB_NS0_8identityIvEEEESM_SP_SQ_mSR_ST_bEUlT_E_NS1_11comp_targetILNS1_3genE5ELNS1_11target_archE942ELNS1_3gpuE9ELNS1_3repE0EEENS1_30default_config_static_selectorELNS0_4arch9wavefront6targetE0EEEvT1_
; %bb.0:
	.section	.rodata,"a",@progbits
	.p2align	6, 0x0
	.amdhsa_kernel _ZN7rocprim17ROCPRIM_400000_NS6detail17trampoline_kernelINS0_14default_configENS1_25transform_config_selectorIlLb0EEEZNS1_14transform_implILb0ES3_S5_NS0_18transform_iteratorINS0_17counting_iteratorImlEEZNS1_24adjacent_difference_implIS3_Lb1ELb0EPlSB_ZN2at6native12_GLOBAL__N_124unique_dim_cuda_templateIdEESt5tupleIJNSC_6TensorESH_SH_EERKSH_lbbbEUlllE1_EE10hipError_tPvRmT2_T3_mT4_P12ihipStream_tbEUlmE_lEESB_NS0_8identityIvEEEESM_SP_SQ_mSR_ST_bEUlT_E_NS1_11comp_targetILNS1_3genE5ELNS1_11target_archE942ELNS1_3gpuE9ELNS1_3repE0EEENS1_30default_config_static_selectorELNS0_4arch9wavefront6targetE0EEEvT1_
		.amdhsa_group_segment_fixed_size 0
		.amdhsa_private_segment_fixed_size 0
		.amdhsa_kernarg_size 56
		.amdhsa_user_sgpr_count 15
		.amdhsa_user_sgpr_dispatch_ptr 0
		.amdhsa_user_sgpr_queue_ptr 0
		.amdhsa_user_sgpr_kernarg_segment_ptr 1
		.amdhsa_user_sgpr_dispatch_id 0
		.amdhsa_user_sgpr_private_segment_size 0
		.amdhsa_wavefront_size32 1
		.amdhsa_uses_dynamic_stack 0
		.amdhsa_enable_private_segment 0
		.amdhsa_system_sgpr_workgroup_id_x 1
		.amdhsa_system_sgpr_workgroup_id_y 0
		.amdhsa_system_sgpr_workgroup_id_z 0
		.amdhsa_system_sgpr_workgroup_info 0
		.amdhsa_system_vgpr_workitem_id 0
		.amdhsa_next_free_vgpr 1
		.amdhsa_next_free_sgpr 1
		.amdhsa_reserve_vcc 0
		.amdhsa_float_round_mode_32 0
		.amdhsa_float_round_mode_16_64 0
		.amdhsa_float_denorm_mode_32 3
		.amdhsa_float_denorm_mode_16_64 3
		.amdhsa_dx10_clamp 1
		.amdhsa_ieee_mode 1
		.amdhsa_fp16_overflow 0
		.amdhsa_workgroup_processor_mode 1
		.amdhsa_memory_ordered 1
		.amdhsa_forward_progress 0
		.amdhsa_shared_vgpr_count 0
		.amdhsa_exception_fp_ieee_invalid_op 0
		.amdhsa_exception_fp_denorm_src 0
		.amdhsa_exception_fp_ieee_div_zero 0
		.amdhsa_exception_fp_ieee_overflow 0
		.amdhsa_exception_fp_ieee_underflow 0
		.amdhsa_exception_fp_ieee_inexact 0
		.amdhsa_exception_int_div_zero 0
	.end_amdhsa_kernel
	.section	.text._ZN7rocprim17ROCPRIM_400000_NS6detail17trampoline_kernelINS0_14default_configENS1_25transform_config_selectorIlLb0EEEZNS1_14transform_implILb0ES3_S5_NS0_18transform_iteratorINS0_17counting_iteratorImlEEZNS1_24adjacent_difference_implIS3_Lb1ELb0EPlSB_ZN2at6native12_GLOBAL__N_124unique_dim_cuda_templateIdEESt5tupleIJNSC_6TensorESH_SH_EERKSH_lbbbEUlllE1_EE10hipError_tPvRmT2_T3_mT4_P12ihipStream_tbEUlmE_lEESB_NS0_8identityIvEEEESM_SP_SQ_mSR_ST_bEUlT_E_NS1_11comp_targetILNS1_3genE5ELNS1_11target_archE942ELNS1_3gpuE9ELNS1_3repE0EEENS1_30default_config_static_selectorELNS0_4arch9wavefront6targetE0EEEvT1_,"axG",@progbits,_ZN7rocprim17ROCPRIM_400000_NS6detail17trampoline_kernelINS0_14default_configENS1_25transform_config_selectorIlLb0EEEZNS1_14transform_implILb0ES3_S5_NS0_18transform_iteratorINS0_17counting_iteratorImlEEZNS1_24adjacent_difference_implIS3_Lb1ELb0EPlSB_ZN2at6native12_GLOBAL__N_124unique_dim_cuda_templateIdEESt5tupleIJNSC_6TensorESH_SH_EERKSH_lbbbEUlllE1_EE10hipError_tPvRmT2_T3_mT4_P12ihipStream_tbEUlmE_lEESB_NS0_8identityIvEEEESM_SP_SQ_mSR_ST_bEUlT_E_NS1_11comp_targetILNS1_3genE5ELNS1_11target_archE942ELNS1_3gpuE9ELNS1_3repE0EEENS1_30default_config_static_selectorELNS0_4arch9wavefront6targetE0EEEvT1_,comdat
.Lfunc_end791:
	.size	_ZN7rocprim17ROCPRIM_400000_NS6detail17trampoline_kernelINS0_14default_configENS1_25transform_config_selectorIlLb0EEEZNS1_14transform_implILb0ES3_S5_NS0_18transform_iteratorINS0_17counting_iteratorImlEEZNS1_24adjacent_difference_implIS3_Lb1ELb0EPlSB_ZN2at6native12_GLOBAL__N_124unique_dim_cuda_templateIdEESt5tupleIJNSC_6TensorESH_SH_EERKSH_lbbbEUlllE1_EE10hipError_tPvRmT2_T3_mT4_P12ihipStream_tbEUlmE_lEESB_NS0_8identityIvEEEESM_SP_SQ_mSR_ST_bEUlT_E_NS1_11comp_targetILNS1_3genE5ELNS1_11target_archE942ELNS1_3gpuE9ELNS1_3repE0EEENS1_30default_config_static_selectorELNS0_4arch9wavefront6targetE0EEEvT1_, .Lfunc_end791-_ZN7rocprim17ROCPRIM_400000_NS6detail17trampoline_kernelINS0_14default_configENS1_25transform_config_selectorIlLb0EEEZNS1_14transform_implILb0ES3_S5_NS0_18transform_iteratorINS0_17counting_iteratorImlEEZNS1_24adjacent_difference_implIS3_Lb1ELb0EPlSB_ZN2at6native12_GLOBAL__N_124unique_dim_cuda_templateIdEESt5tupleIJNSC_6TensorESH_SH_EERKSH_lbbbEUlllE1_EE10hipError_tPvRmT2_T3_mT4_P12ihipStream_tbEUlmE_lEESB_NS0_8identityIvEEEESM_SP_SQ_mSR_ST_bEUlT_E_NS1_11comp_targetILNS1_3genE5ELNS1_11target_archE942ELNS1_3gpuE9ELNS1_3repE0EEENS1_30default_config_static_selectorELNS0_4arch9wavefront6targetE0EEEvT1_
                                        ; -- End function
	.section	.AMDGPU.csdata,"",@progbits
; Kernel info:
; codeLenInByte = 0
; NumSgprs: 0
; NumVgprs: 0
; ScratchSize: 0
; MemoryBound: 0
; FloatMode: 240
; IeeeMode: 1
; LDSByteSize: 0 bytes/workgroup (compile time only)
; SGPRBlocks: 0
; VGPRBlocks: 0
; NumSGPRsForWavesPerEU: 1
; NumVGPRsForWavesPerEU: 1
; Occupancy: 16
; WaveLimiterHint : 0
; COMPUTE_PGM_RSRC2:SCRATCH_EN: 0
; COMPUTE_PGM_RSRC2:USER_SGPR: 15
; COMPUTE_PGM_RSRC2:TRAP_HANDLER: 0
; COMPUTE_PGM_RSRC2:TGID_X_EN: 1
; COMPUTE_PGM_RSRC2:TGID_Y_EN: 0
; COMPUTE_PGM_RSRC2:TGID_Z_EN: 0
; COMPUTE_PGM_RSRC2:TIDIG_COMP_CNT: 0
	.section	.text._ZN7rocprim17ROCPRIM_400000_NS6detail17trampoline_kernelINS0_14default_configENS1_25transform_config_selectorIlLb0EEEZNS1_14transform_implILb0ES3_S5_NS0_18transform_iteratorINS0_17counting_iteratorImlEEZNS1_24adjacent_difference_implIS3_Lb1ELb0EPlSB_ZN2at6native12_GLOBAL__N_124unique_dim_cuda_templateIdEESt5tupleIJNSC_6TensorESH_SH_EERKSH_lbbbEUlllE1_EE10hipError_tPvRmT2_T3_mT4_P12ihipStream_tbEUlmE_lEESB_NS0_8identityIvEEEESM_SP_SQ_mSR_ST_bEUlT_E_NS1_11comp_targetILNS1_3genE4ELNS1_11target_archE910ELNS1_3gpuE8ELNS1_3repE0EEENS1_30default_config_static_selectorELNS0_4arch9wavefront6targetE0EEEvT1_,"axG",@progbits,_ZN7rocprim17ROCPRIM_400000_NS6detail17trampoline_kernelINS0_14default_configENS1_25transform_config_selectorIlLb0EEEZNS1_14transform_implILb0ES3_S5_NS0_18transform_iteratorINS0_17counting_iteratorImlEEZNS1_24adjacent_difference_implIS3_Lb1ELb0EPlSB_ZN2at6native12_GLOBAL__N_124unique_dim_cuda_templateIdEESt5tupleIJNSC_6TensorESH_SH_EERKSH_lbbbEUlllE1_EE10hipError_tPvRmT2_T3_mT4_P12ihipStream_tbEUlmE_lEESB_NS0_8identityIvEEEESM_SP_SQ_mSR_ST_bEUlT_E_NS1_11comp_targetILNS1_3genE4ELNS1_11target_archE910ELNS1_3gpuE8ELNS1_3repE0EEENS1_30default_config_static_selectorELNS0_4arch9wavefront6targetE0EEEvT1_,comdat
	.globl	_ZN7rocprim17ROCPRIM_400000_NS6detail17trampoline_kernelINS0_14default_configENS1_25transform_config_selectorIlLb0EEEZNS1_14transform_implILb0ES3_S5_NS0_18transform_iteratorINS0_17counting_iteratorImlEEZNS1_24adjacent_difference_implIS3_Lb1ELb0EPlSB_ZN2at6native12_GLOBAL__N_124unique_dim_cuda_templateIdEESt5tupleIJNSC_6TensorESH_SH_EERKSH_lbbbEUlllE1_EE10hipError_tPvRmT2_T3_mT4_P12ihipStream_tbEUlmE_lEESB_NS0_8identityIvEEEESM_SP_SQ_mSR_ST_bEUlT_E_NS1_11comp_targetILNS1_3genE4ELNS1_11target_archE910ELNS1_3gpuE8ELNS1_3repE0EEENS1_30default_config_static_selectorELNS0_4arch9wavefront6targetE0EEEvT1_ ; -- Begin function _ZN7rocprim17ROCPRIM_400000_NS6detail17trampoline_kernelINS0_14default_configENS1_25transform_config_selectorIlLb0EEEZNS1_14transform_implILb0ES3_S5_NS0_18transform_iteratorINS0_17counting_iteratorImlEEZNS1_24adjacent_difference_implIS3_Lb1ELb0EPlSB_ZN2at6native12_GLOBAL__N_124unique_dim_cuda_templateIdEESt5tupleIJNSC_6TensorESH_SH_EERKSH_lbbbEUlllE1_EE10hipError_tPvRmT2_T3_mT4_P12ihipStream_tbEUlmE_lEESB_NS0_8identityIvEEEESM_SP_SQ_mSR_ST_bEUlT_E_NS1_11comp_targetILNS1_3genE4ELNS1_11target_archE910ELNS1_3gpuE8ELNS1_3repE0EEENS1_30default_config_static_selectorELNS0_4arch9wavefront6targetE0EEEvT1_
	.p2align	8
	.type	_ZN7rocprim17ROCPRIM_400000_NS6detail17trampoline_kernelINS0_14default_configENS1_25transform_config_selectorIlLb0EEEZNS1_14transform_implILb0ES3_S5_NS0_18transform_iteratorINS0_17counting_iteratorImlEEZNS1_24adjacent_difference_implIS3_Lb1ELb0EPlSB_ZN2at6native12_GLOBAL__N_124unique_dim_cuda_templateIdEESt5tupleIJNSC_6TensorESH_SH_EERKSH_lbbbEUlllE1_EE10hipError_tPvRmT2_T3_mT4_P12ihipStream_tbEUlmE_lEESB_NS0_8identityIvEEEESM_SP_SQ_mSR_ST_bEUlT_E_NS1_11comp_targetILNS1_3genE4ELNS1_11target_archE910ELNS1_3gpuE8ELNS1_3repE0EEENS1_30default_config_static_selectorELNS0_4arch9wavefront6targetE0EEEvT1_,@function
_ZN7rocprim17ROCPRIM_400000_NS6detail17trampoline_kernelINS0_14default_configENS1_25transform_config_selectorIlLb0EEEZNS1_14transform_implILb0ES3_S5_NS0_18transform_iteratorINS0_17counting_iteratorImlEEZNS1_24adjacent_difference_implIS3_Lb1ELb0EPlSB_ZN2at6native12_GLOBAL__N_124unique_dim_cuda_templateIdEESt5tupleIJNSC_6TensorESH_SH_EERKSH_lbbbEUlllE1_EE10hipError_tPvRmT2_T3_mT4_P12ihipStream_tbEUlmE_lEESB_NS0_8identityIvEEEESM_SP_SQ_mSR_ST_bEUlT_E_NS1_11comp_targetILNS1_3genE4ELNS1_11target_archE910ELNS1_3gpuE8ELNS1_3repE0EEENS1_30default_config_static_selectorELNS0_4arch9wavefront6targetE0EEEvT1_: ; @_ZN7rocprim17ROCPRIM_400000_NS6detail17trampoline_kernelINS0_14default_configENS1_25transform_config_selectorIlLb0EEEZNS1_14transform_implILb0ES3_S5_NS0_18transform_iteratorINS0_17counting_iteratorImlEEZNS1_24adjacent_difference_implIS3_Lb1ELb0EPlSB_ZN2at6native12_GLOBAL__N_124unique_dim_cuda_templateIdEESt5tupleIJNSC_6TensorESH_SH_EERKSH_lbbbEUlllE1_EE10hipError_tPvRmT2_T3_mT4_P12ihipStream_tbEUlmE_lEESB_NS0_8identityIvEEEESM_SP_SQ_mSR_ST_bEUlT_E_NS1_11comp_targetILNS1_3genE4ELNS1_11target_archE910ELNS1_3gpuE8ELNS1_3repE0EEENS1_30default_config_static_selectorELNS0_4arch9wavefront6targetE0EEEvT1_
; %bb.0:
	.section	.rodata,"a",@progbits
	.p2align	6, 0x0
	.amdhsa_kernel _ZN7rocprim17ROCPRIM_400000_NS6detail17trampoline_kernelINS0_14default_configENS1_25transform_config_selectorIlLb0EEEZNS1_14transform_implILb0ES3_S5_NS0_18transform_iteratorINS0_17counting_iteratorImlEEZNS1_24adjacent_difference_implIS3_Lb1ELb0EPlSB_ZN2at6native12_GLOBAL__N_124unique_dim_cuda_templateIdEESt5tupleIJNSC_6TensorESH_SH_EERKSH_lbbbEUlllE1_EE10hipError_tPvRmT2_T3_mT4_P12ihipStream_tbEUlmE_lEESB_NS0_8identityIvEEEESM_SP_SQ_mSR_ST_bEUlT_E_NS1_11comp_targetILNS1_3genE4ELNS1_11target_archE910ELNS1_3gpuE8ELNS1_3repE0EEENS1_30default_config_static_selectorELNS0_4arch9wavefront6targetE0EEEvT1_
		.amdhsa_group_segment_fixed_size 0
		.amdhsa_private_segment_fixed_size 0
		.amdhsa_kernarg_size 56
		.amdhsa_user_sgpr_count 15
		.amdhsa_user_sgpr_dispatch_ptr 0
		.amdhsa_user_sgpr_queue_ptr 0
		.amdhsa_user_sgpr_kernarg_segment_ptr 1
		.amdhsa_user_sgpr_dispatch_id 0
		.amdhsa_user_sgpr_private_segment_size 0
		.amdhsa_wavefront_size32 1
		.amdhsa_uses_dynamic_stack 0
		.amdhsa_enable_private_segment 0
		.amdhsa_system_sgpr_workgroup_id_x 1
		.amdhsa_system_sgpr_workgroup_id_y 0
		.amdhsa_system_sgpr_workgroup_id_z 0
		.amdhsa_system_sgpr_workgroup_info 0
		.amdhsa_system_vgpr_workitem_id 0
		.amdhsa_next_free_vgpr 1
		.amdhsa_next_free_sgpr 1
		.amdhsa_reserve_vcc 0
		.amdhsa_float_round_mode_32 0
		.amdhsa_float_round_mode_16_64 0
		.amdhsa_float_denorm_mode_32 3
		.amdhsa_float_denorm_mode_16_64 3
		.amdhsa_dx10_clamp 1
		.amdhsa_ieee_mode 1
		.amdhsa_fp16_overflow 0
		.amdhsa_workgroup_processor_mode 1
		.amdhsa_memory_ordered 1
		.amdhsa_forward_progress 0
		.amdhsa_shared_vgpr_count 0
		.amdhsa_exception_fp_ieee_invalid_op 0
		.amdhsa_exception_fp_denorm_src 0
		.amdhsa_exception_fp_ieee_div_zero 0
		.amdhsa_exception_fp_ieee_overflow 0
		.amdhsa_exception_fp_ieee_underflow 0
		.amdhsa_exception_fp_ieee_inexact 0
		.amdhsa_exception_int_div_zero 0
	.end_amdhsa_kernel
	.section	.text._ZN7rocprim17ROCPRIM_400000_NS6detail17trampoline_kernelINS0_14default_configENS1_25transform_config_selectorIlLb0EEEZNS1_14transform_implILb0ES3_S5_NS0_18transform_iteratorINS0_17counting_iteratorImlEEZNS1_24adjacent_difference_implIS3_Lb1ELb0EPlSB_ZN2at6native12_GLOBAL__N_124unique_dim_cuda_templateIdEESt5tupleIJNSC_6TensorESH_SH_EERKSH_lbbbEUlllE1_EE10hipError_tPvRmT2_T3_mT4_P12ihipStream_tbEUlmE_lEESB_NS0_8identityIvEEEESM_SP_SQ_mSR_ST_bEUlT_E_NS1_11comp_targetILNS1_3genE4ELNS1_11target_archE910ELNS1_3gpuE8ELNS1_3repE0EEENS1_30default_config_static_selectorELNS0_4arch9wavefront6targetE0EEEvT1_,"axG",@progbits,_ZN7rocprim17ROCPRIM_400000_NS6detail17trampoline_kernelINS0_14default_configENS1_25transform_config_selectorIlLb0EEEZNS1_14transform_implILb0ES3_S5_NS0_18transform_iteratorINS0_17counting_iteratorImlEEZNS1_24adjacent_difference_implIS3_Lb1ELb0EPlSB_ZN2at6native12_GLOBAL__N_124unique_dim_cuda_templateIdEESt5tupleIJNSC_6TensorESH_SH_EERKSH_lbbbEUlllE1_EE10hipError_tPvRmT2_T3_mT4_P12ihipStream_tbEUlmE_lEESB_NS0_8identityIvEEEESM_SP_SQ_mSR_ST_bEUlT_E_NS1_11comp_targetILNS1_3genE4ELNS1_11target_archE910ELNS1_3gpuE8ELNS1_3repE0EEENS1_30default_config_static_selectorELNS0_4arch9wavefront6targetE0EEEvT1_,comdat
.Lfunc_end792:
	.size	_ZN7rocprim17ROCPRIM_400000_NS6detail17trampoline_kernelINS0_14default_configENS1_25transform_config_selectorIlLb0EEEZNS1_14transform_implILb0ES3_S5_NS0_18transform_iteratorINS0_17counting_iteratorImlEEZNS1_24adjacent_difference_implIS3_Lb1ELb0EPlSB_ZN2at6native12_GLOBAL__N_124unique_dim_cuda_templateIdEESt5tupleIJNSC_6TensorESH_SH_EERKSH_lbbbEUlllE1_EE10hipError_tPvRmT2_T3_mT4_P12ihipStream_tbEUlmE_lEESB_NS0_8identityIvEEEESM_SP_SQ_mSR_ST_bEUlT_E_NS1_11comp_targetILNS1_3genE4ELNS1_11target_archE910ELNS1_3gpuE8ELNS1_3repE0EEENS1_30default_config_static_selectorELNS0_4arch9wavefront6targetE0EEEvT1_, .Lfunc_end792-_ZN7rocprim17ROCPRIM_400000_NS6detail17trampoline_kernelINS0_14default_configENS1_25transform_config_selectorIlLb0EEEZNS1_14transform_implILb0ES3_S5_NS0_18transform_iteratorINS0_17counting_iteratorImlEEZNS1_24adjacent_difference_implIS3_Lb1ELb0EPlSB_ZN2at6native12_GLOBAL__N_124unique_dim_cuda_templateIdEESt5tupleIJNSC_6TensorESH_SH_EERKSH_lbbbEUlllE1_EE10hipError_tPvRmT2_T3_mT4_P12ihipStream_tbEUlmE_lEESB_NS0_8identityIvEEEESM_SP_SQ_mSR_ST_bEUlT_E_NS1_11comp_targetILNS1_3genE4ELNS1_11target_archE910ELNS1_3gpuE8ELNS1_3repE0EEENS1_30default_config_static_selectorELNS0_4arch9wavefront6targetE0EEEvT1_
                                        ; -- End function
	.section	.AMDGPU.csdata,"",@progbits
; Kernel info:
; codeLenInByte = 0
; NumSgprs: 0
; NumVgprs: 0
; ScratchSize: 0
; MemoryBound: 0
; FloatMode: 240
; IeeeMode: 1
; LDSByteSize: 0 bytes/workgroup (compile time only)
; SGPRBlocks: 0
; VGPRBlocks: 0
; NumSGPRsForWavesPerEU: 1
; NumVGPRsForWavesPerEU: 1
; Occupancy: 16
; WaveLimiterHint : 0
; COMPUTE_PGM_RSRC2:SCRATCH_EN: 0
; COMPUTE_PGM_RSRC2:USER_SGPR: 15
; COMPUTE_PGM_RSRC2:TRAP_HANDLER: 0
; COMPUTE_PGM_RSRC2:TGID_X_EN: 1
; COMPUTE_PGM_RSRC2:TGID_Y_EN: 0
; COMPUTE_PGM_RSRC2:TGID_Z_EN: 0
; COMPUTE_PGM_RSRC2:TIDIG_COMP_CNT: 0
	.section	.text._ZN7rocprim17ROCPRIM_400000_NS6detail17trampoline_kernelINS0_14default_configENS1_25transform_config_selectorIlLb0EEEZNS1_14transform_implILb0ES3_S5_NS0_18transform_iteratorINS0_17counting_iteratorImlEEZNS1_24adjacent_difference_implIS3_Lb1ELb0EPlSB_ZN2at6native12_GLOBAL__N_124unique_dim_cuda_templateIdEESt5tupleIJNSC_6TensorESH_SH_EERKSH_lbbbEUlllE1_EE10hipError_tPvRmT2_T3_mT4_P12ihipStream_tbEUlmE_lEESB_NS0_8identityIvEEEESM_SP_SQ_mSR_ST_bEUlT_E_NS1_11comp_targetILNS1_3genE3ELNS1_11target_archE908ELNS1_3gpuE7ELNS1_3repE0EEENS1_30default_config_static_selectorELNS0_4arch9wavefront6targetE0EEEvT1_,"axG",@progbits,_ZN7rocprim17ROCPRIM_400000_NS6detail17trampoline_kernelINS0_14default_configENS1_25transform_config_selectorIlLb0EEEZNS1_14transform_implILb0ES3_S5_NS0_18transform_iteratorINS0_17counting_iteratorImlEEZNS1_24adjacent_difference_implIS3_Lb1ELb0EPlSB_ZN2at6native12_GLOBAL__N_124unique_dim_cuda_templateIdEESt5tupleIJNSC_6TensorESH_SH_EERKSH_lbbbEUlllE1_EE10hipError_tPvRmT2_T3_mT4_P12ihipStream_tbEUlmE_lEESB_NS0_8identityIvEEEESM_SP_SQ_mSR_ST_bEUlT_E_NS1_11comp_targetILNS1_3genE3ELNS1_11target_archE908ELNS1_3gpuE7ELNS1_3repE0EEENS1_30default_config_static_selectorELNS0_4arch9wavefront6targetE0EEEvT1_,comdat
	.globl	_ZN7rocprim17ROCPRIM_400000_NS6detail17trampoline_kernelINS0_14default_configENS1_25transform_config_selectorIlLb0EEEZNS1_14transform_implILb0ES3_S5_NS0_18transform_iteratorINS0_17counting_iteratorImlEEZNS1_24adjacent_difference_implIS3_Lb1ELb0EPlSB_ZN2at6native12_GLOBAL__N_124unique_dim_cuda_templateIdEESt5tupleIJNSC_6TensorESH_SH_EERKSH_lbbbEUlllE1_EE10hipError_tPvRmT2_T3_mT4_P12ihipStream_tbEUlmE_lEESB_NS0_8identityIvEEEESM_SP_SQ_mSR_ST_bEUlT_E_NS1_11comp_targetILNS1_3genE3ELNS1_11target_archE908ELNS1_3gpuE7ELNS1_3repE0EEENS1_30default_config_static_selectorELNS0_4arch9wavefront6targetE0EEEvT1_ ; -- Begin function _ZN7rocprim17ROCPRIM_400000_NS6detail17trampoline_kernelINS0_14default_configENS1_25transform_config_selectorIlLb0EEEZNS1_14transform_implILb0ES3_S5_NS0_18transform_iteratorINS0_17counting_iteratorImlEEZNS1_24adjacent_difference_implIS3_Lb1ELb0EPlSB_ZN2at6native12_GLOBAL__N_124unique_dim_cuda_templateIdEESt5tupleIJNSC_6TensorESH_SH_EERKSH_lbbbEUlllE1_EE10hipError_tPvRmT2_T3_mT4_P12ihipStream_tbEUlmE_lEESB_NS0_8identityIvEEEESM_SP_SQ_mSR_ST_bEUlT_E_NS1_11comp_targetILNS1_3genE3ELNS1_11target_archE908ELNS1_3gpuE7ELNS1_3repE0EEENS1_30default_config_static_selectorELNS0_4arch9wavefront6targetE0EEEvT1_
	.p2align	8
	.type	_ZN7rocprim17ROCPRIM_400000_NS6detail17trampoline_kernelINS0_14default_configENS1_25transform_config_selectorIlLb0EEEZNS1_14transform_implILb0ES3_S5_NS0_18transform_iteratorINS0_17counting_iteratorImlEEZNS1_24adjacent_difference_implIS3_Lb1ELb0EPlSB_ZN2at6native12_GLOBAL__N_124unique_dim_cuda_templateIdEESt5tupleIJNSC_6TensorESH_SH_EERKSH_lbbbEUlllE1_EE10hipError_tPvRmT2_T3_mT4_P12ihipStream_tbEUlmE_lEESB_NS0_8identityIvEEEESM_SP_SQ_mSR_ST_bEUlT_E_NS1_11comp_targetILNS1_3genE3ELNS1_11target_archE908ELNS1_3gpuE7ELNS1_3repE0EEENS1_30default_config_static_selectorELNS0_4arch9wavefront6targetE0EEEvT1_,@function
_ZN7rocprim17ROCPRIM_400000_NS6detail17trampoline_kernelINS0_14default_configENS1_25transform_config_selectorIlLb0EEEZNS1_14transform_implILb0ES3_S5_NS0_18transform_iteratorINS0_17counting_iteratorImlEEZNS1_24adjacent_difference_implIS3_Lb1ELb0EPlSB_ZN2at6native12_GLOBAL__N_124unique_dim_cuda_templateIdEESt5tupleIJNSC_6TensorESH_SH_EERKSH_lbbbEUlllE1_EE10hipError_tPvRmT2_T3_mT4_P12ihipStream_tbEUlmE_lEESB_NS0_8identityIvEEEESM_SP_SQ_mSR_ST_bEUlT_E_NS1_11comp_targetILNS1_3genE3ELNS1_11target_archE908ELNS1_3gpuE7ELNS1_3repE0EEENS1_30default_config_static_selectorELNS0_4arch9wavefront6targetE0EEEvT1_: ; @_ZN7rocprim17ROCPRIM_400000_NS6detail17trampoline_kernelINS0_14default_configENS1_25transform_config_selectorIlLb0EEEZNS1_14transform_implILb0ES3_S5_NS0_18transform_iteratorINS0_17counting_iteratorImlEEZNS1_24adjacent_difference_implIS3_Lb1ELb0EPlSB_ZN2at6native12_GLOBAL__N_124unique_dim_cuda_templateIdEESt5tupleIJNSC_6TensorESH_SH_EERKSH_lbbbEUlllE1_EE10hipError_tPvRmT2_T3_mT4_P12ihipStream_tbEUlmE_lEESB_NS0_8identityIvEEEESM_SP_SQ_mSR_ST_bEUlT_E_NS1_11comp_targetILNS1_3genE3ELNS1_11target_archE908ELNS1_3gpuE7ELNS1_3repE0EEENS1_30default_config_static_selectorELNS0_4arch9wavefront6targetE0EEEvT1_
; %bb.0:
	.section	.rodata,"a",@progbits
	.p2align	6, 0x0
	.amdhsa_kernel _ZN7rocprim17ROCPRIM_400000_NS6detail17trampoline_kernelINS0_14default_configENS1_25transform_config_selectorIlLb0EEEZNS1_14transform_implILb0ES3_S5_NS0_18transform_iteratorINS0_17counting_iteratorImlEEZNS1_24adjacent_difference_implIS3_Lb1ELb0EPlSB_ZN2at6native12_GLOBAL__N_124unique_dim_cuda_templateIdEESt5tupleIJNSC_6TensorESH_SH_EERKSH_lbbbEUlllE1_EE10hipError_tPvRmT2_T3_mT4_P12ihipStream_tbEUlmE_lEESB_NS0_8identityIvEEEESM_SP_SQ_mSR_ST_bEUlT_E_NS1_11comp_targetILNS1_3genE3ELNS1_11target_archE908ELNS1_3gpuE7ELNS1_3repE0EEENS1_30default_config_static_selectorELNS0_4arch9wavefront6targetE0EEEvT1_
		.amdhsa_group_segment_fixed_size 0
		.amdhsa_private_segment_fixed_size 0
		.amdhsa_kernarg_size 56
		.amdhsa_user_sgpr_count 15
		.amdhsa_user_sgpr_dispatch_ptr 0
		.amdhsa_user_sgpr_queue_ptr 0
		.amdhsa_user_sgpr_kernarg_segment_ptr 1
		.amdhsa_user_sgpr_dispatch_id 0
		.amdhsa_user_sgpr_private_segment_size 0
		.amdhsa_wavefront_size32 1
		.amdhsa_uses_dynamic_stack 0
		.amdhsa_enable_private_segment 0
		.amdhsa_system_sgpr_workgroup_id_x 1
		.amdhsa_system_sgpr_workgroup_id_y 0
		.amdhsa_system_sgpr_workgroup_id_z 0
		.amdhsa_system_sgpr_workgroup_info 0
		.amdhsa_system_vgpr_workitem_id 0
		.amdhsa_next_free_vgpr 1
		.amdhsa_next_free_sgpr 1
		.amdhsa_reserve_vcc 0
		.amdhsa_float_round_mode_32 0
		.amdhsa_float_round_mode_16_64 0
		.amdhsa_float_denorm_mode_32 3
		.amdhsa_float_denorm_mode_16_64 3
		.amdhsa_dx10_clamp 1
		.amdhsa_ieee_mode 1
		.amdhsa_fp16_overflow 0
		.amdhsa_workgroup_processor_mode 1
		.amdhsa_memory_ordered 1
		.amdhsa_forward_progress 0
		.amdhsa_shared_vgpr_count 0
		.amdhsa_exception_fp_ieee_invalid_op 0
		.amdhsa_exception_fp_denorm_src 0
		.amdhsa_exception_fp_ieee_div_zero 0
		.amdhsa_exception_fp_ieee_overflow 0
		.amdhsa_exception_fp_ieee_underflow 0
		.amdhsa_exception_fp_ieee_inexact 0
		.amdhsa_exception_int_div_zero 0
	.end_amdhsa_kernel
	.section	.text._ZN7rocprim17ROCPRIM_400000_NS6detail17trampoline_kernelINS0_14default_configENS1_25transform_config_selectorIlLb0EEEZNS1_14transform_implILb0ES3_S5_NS0_18transform_iteratorINS0_17counting_iteratorImlEEZNS1_24adjacent_difference_implIS3_Lb1ELb0EPlSB_ZN2at6native12_GLOBAL__N_124unique_dim_cuda_templateIdEESt5tupleIJNSC_6TensorESH_SH_EERKSH_lbbbEUlllE1_EE10hipError_tPvRmT2_T3_mT4_P12ihipStream_tbEUlmE_lEESB_NS0_8identityIvEEEESM_SP_SQ_mSR_ST_bEUlT_E_NS1_11comp_targetILNS1_3genE3ELNS1_11target_archE908ELNS1_3gpuE7ELNS1_3repE0EEENS1_30default_config_static_selectorELNS0_4arch9wavefront6targetE0EEEvT1_,"axG",@progbits,_ZN7rocprim17ROCPRIM_400000_NS6detail17trampoline_kernelINS0_14default_configENS1_25transform_config_selectorIlLb0EEEZNS1_14transform_implILb0ES3_S5_NS0_18transform_iteratorINS0_17counting_iteratorImlEEZNS1_24adjacent_difference_implIS3_Lb1ELb0EPlSB_ZN2at6native12_GLOBAL__N_124unique_dim_cuda_templateIdEESt5tupleIJNSC_6TensorESH_SH_EERKSH_lbbbEUlllE1_EE10hipError_tPvRmT2_T3_mT4_P12ihipStream_tbEUlmE_lEESB_NS0_8identityIvEEEESM_SP_SQ_mSR_ST_bEUlT_E_NS1_11comp_targetILNS1_3genE3ELNS1_11target_archE908ELNS1_3gpuE7ELNS1_3repE0EEENS1_30default_config_static_selectorELNS0_4arch9wavefront6targetE0EEEvT1_,comdat
.Lfunc_end793:
	.size	_ZN7rocprim17ROCPRIM_400000_NS6detail17trampoline_kernelINS0_14default_configENS1_25transform_config_selectorIlLb0EEEZNS1_14transform_implILb0ES3_S5_NS0_18transform_iteratorINS0_17counting_iteratorImlEEZNS1_24adjacent_difference_implIS3_Lb1ELb0EPlSB_ZN2at6native12_GLOBAL__N_124unique_dim_cuda_templateIdEESt5tupleIJNSC_6TensorESH_SH_EERKSH_lbbbEUlllE1_EE10hipError_tPvRmT2_T3_mT4_P12ihipStream_tbEUlmE_lEESB_NS0_8identityIvEEEESM_SP_SQ_mSR_ST_bEUlT_E_NS1_11comp_targetILNS1_3genE3ELNS1_11target_archE908ELNS1_3gpuE7ELNS1_3repE0EEENS1_30default_config_static_selectorELNS0_4arch9wavefront6targetE0EEEvT1_, .Lfunc_end793-_ZN7rocprim17ROCPRIM_400000_NS6detail17trampoline_kernelINS0_14default_configENS1_25transform_config_selectorIlLb0EEEZNS1_14transform_implILb0ES3_S5_NS0_18transform_iteratorINS0_17counting_iteratorImlEEZNS1_24adjacent_difference_implIS3_Lb1ELb0EPlSB_ZN2at6native12_GLOBAL__N_124unique_dim_cuda_templateIdEESt5tupleIJNSC_6TensorESH_SH_EERKSH_lbbbEUlllE1_EE10hipError_tPvRmT2_T3_mT4_P12ihipStream_tbEUlmE_lEESB_NS0_8identityIvEEEESM_SP_SQ_mSR_ST_bEUlT_E_NS1_11comp_targetILNS1_3genE3ELNS1_11target_archE908ELNS1_3gpuE7ELNS1_3repE0EEENS1_30default_config_static_selectorELNS0_4arch9wavefront6targetE0EEEvT1_
                                        ; -- End function
	.section	.AMDGPU.csdata,"",@progbits
; Kernel info:
; codeLenInByte = 0
; NumSgprs: 0
; NumVgprs: 0
; ScratchSize: 0
; MemoryBound: 0
; FloatMode: 240
; IeeeMode: 1
; LDSByteSize: 0 bytes/workgroup (compile time only)
; SGPRBlocks: 0
; VGPRBlocks: 0
; NumSGPRsForWavesPerEU: 1
; NumVGPRsForWavesPerEU: 1
; Occupancy: 16
; WaveLimiterHint : 0
; COMPUTE_PGM_RSRC2:SCRATCH_EN: 0
; COMPUTE_PGM_RSRC2:USER_SGPR: 15
; COMPUTE_PGM_RSRC2:TRAP_HANDLER: 0
; COMPUTE_PGM_RSRC2:TGID_X_EN: 1
; COMPUTE_PGM_RSRC2:TGID_Y_EN: 0
; COMPUTE_PGM_RSRC2:TGID_Z_EN: 0
; COMPUTE_PGM_RSRC2:TIDIG_COMP_CNT: 0
	.section	.text._ZN7rocprim17ROCPRIM_400000_NS6detail17trampoline_kernelINS0_14default_configENS1_25transform_config_selectorIlLb0EEEZNS1_14transform_implILb0ES3_S5_NS0_18transform_iteratorINS0_17counting_iteratorImlEEZNS1_24adjacent_difference_implIS3_Lb1ELb0EPlSB_ZN2at6native12_GLOBAL__N_124unique_dim_cuda_templateIdEESt5tupleIJNSC_6TensorESH_SH_EERKSH_lbbbEUlllE1_EE10hipError_tPvRmT2_T3_mT4_P12ihipStream_tbEUlmE_lEESB_NS0_8identityIvEEEESM_SP_SQ_mSR_ST_bEUlT_E_NS1_11comp_targetILNS1_3genE2ELNS1_11target_archE906ELNS1_3gpuE6ELNS1_3repE0EEENS1_30default_config_static_selectorELNS0_4arch9wavefront6targetE0EEEvT1_,"axG",@progbits,_ZN7rocprim17ROCPRIM_400000_NS6detail17trampoline_kernelINS0_14default_configENS1_25transform_config_selectorIlLb0EEEZNS1_14transform_implILb0ES3_S5_NS0_18transform_iteratorINS0_17counting_iteratorImlEEZNS1_24adjacent_difference_implIS3_Lb1ELb0EPlSB_ZN2at6native12_GLOBAL__N_124unique_dim_cuda_templateIdEESt5tupleIJNSC_6TensorESH_SH_EERKSH_lbbbEUlllE1_EE10hipError_tPvRmT2_T3_mT4_P12ihipStream_tbEUlmE_lEESB_NS0_8identityIvEEEESM_SP_SQ_mSR_ST_bEUlT_E_NS1_11comp_targetILNS1_3genE2ELNS1_11target_archE906ELNS1_3gpuE6ELNS1_3repE0EEENS1_30default_config_static_selectorELNS0_4arch9wavefront6targetE0EEEvT1_,comdat
	.globl	_ZN7rocprim17ROCPRIM_400000_NS6detail17trampoline_kernelINS0_14default_configENS1_25transform_config_selectorIlLb0EEEZNS1_14transform_implILb0ES3_S5_NS0_18transform_iteratorINS0_17counting_iteratorImlEEZNS1_24adjacent_difference_implIS3_Lb1ELb0EPlSB_ZN2at6native12_GLOBAL__N_124unique_dim_cuda_templateIdEESt5tupleIJNSC_6TensorESH_SH_EERKSH_lbbbEUlllE1_EE10hipError_tPvRmT2_T3_mT4_P12ihipStream_tbEUlmE_lEESB_NS0_8identityIvEEEESM_SP_SQ_mSR_ST_bEUlT_E_NS1_11comp_targetILNS1_3genE2ELNS1_11target_archE906ELNS1_3gpuE6ELNS1_3repE0EEENS1_30default_config_static_selectorELNS0_4arch9wavefront6targetE0EEEvT1_ ; -- Begin function _ZN7rocprim17ROCPRIM_400000_NS6detail17trampoline_kernelINS0_14default_configENS1_25transform_config_selectorIlLb0EEEZNS1_14transform_implILb0ES3_S5_NS0_18transform_iteratorINS0_17counting_iteratorImlEEZNS1_24adjacent_difference_implIS3_Lb1ELb0EPlSB_ZN2at6native12_GLOBAL__N_124unique_dim_cuda_templateIdEESt5tupleIJNSC_6TensorESH_SH_EERKSH_lbbbEUlllE1_EE10hipError_tPvRmT2_T3_mT4_P12ihipStream_tbEUlmE_lEESB_NS0_8identityIvEEEESM_SP_SQ_mSR_ST_bEUlT_E_NS1_11comp_targetILNS1_3genE2ELNS1_11target_archE906ELNS1_3gpuE6ELNS1_3repE0EEENS1_30default_config_static_selectorELNS0_4arch9wavefront6targetE0EEEvT1_
	.p2align	8
	.type	_ZN7rocprim17ROCPRIM_400000_NS6detail17trampoline_kernelINS0_14default_configENS1_25transform_config_selectorIlLb0EEEZNS1_14transform_implILb0ES3_S5_NS0_18transform_iteratorINS0_17counting_iteratorImlEEZNS1_24adjacent_difference_implIS3_Lb1ELb0EPlSB_ZN2at6native12_GLOBAL__N_124unique_dim_cuda_templateIdEESt5tupleIJNSC_6TensorESH_SH_EERKSH_lbbbEUlllE1_EE10hipError_tPvRmT2_T3_mT4_P12ihipStream_tbEUlmE_lEESB_NS0_8identityIvEEEESM_SP_SQ_mSR_ST_bEUlT_E_NS1_11comp_targetILNS1_3genE2ELNS1_11target_archE906ELNS1_3gpuE6ELNS1_3repE0EEENS1_30default_config_static_selectorELNS0_4arch9wavefront6targetE0EEEvT1_,@function
_ZN7rocprim17ROCPRIM_400000_NS6detail17trampoline_kernelINS0_14default_configENS1_25transform_config_selectorIlLb0EEEZNS1_14transform_implILb0ES3_S5_NS0_18transform_iteratorINS0_17counting_iteratorImlEEZNS1_24adjacent_difference_implIS3_Lb1ELb0EPlSB_ZN2at6native12_GLOBAL__N_124unique_dim_cuda_templateIdEESt5tupleIJNSC_6TensorESH_SH_EERKSH_lbbbEUlllE1_EE10hipError_tPvRmT2_T3_mT4_P12ihipStream_tbEUlmE_lEESB_NS0_8identityIvEEEESM_SP_SQ_mSR_ST_bEUlT_E_NS1_11comp_targetILNS1_3genE2ELNS1_11target_archE906ELNS1_3gpuE6ELNS1_3repE0EEENS1_30default_config_static_selectorELNS0_4arch9wavefront6targetE0EEEvT1_: ; @_ZN7rocprim17ROCPRIM_400000_NS6detail17trampoline_kernelINS0_14default_configENS1_25transform_config_selectorIlLb0EEEZNS1_14transform_implILb0ES3_S5_NS0_18transform_iteratorINS0_17counting_iteratorImlEEZNS1_24adjacent_difference_implIS3_Lb1ELb0EPlSB_ZN2at6native12_GLOBAL__N_124unique_dim_cuda_templateIdEESt5tupleIJNSC_6TensorESH_SH_EERKSH_lbbbEUlllE1_EE10hipError_tPvRmT2_T3_mT4_P12ihipStream_tbEUlmE_lEESB_NS0_8identityIvEEEESM_SP_SQ_mSR_ST_bEUlT_E_NS1_11comp_targetILNS1_3genE2ELNS1_11target_archE906ELNS1_3gpuE6ELNS1_3repE0EEENS1_30default_config_static_selectorELNS0_4arch9wavefront6targetE0EEEvT1_
; %bb.0:
	.section	.rodata,"a",@progbits
	.p2align	6, 0x0
	.amdhsa_kernel _ZN7rocprim17ROCPRIM_400000_NS6detail17trampoline_kernelINS0_14default_configENS1_25transform_config_selectorIlLb0EEEZNS1_14transform_implILb0ES3_S5_NS0_18transform_iteratorINS0_17counting_iteratorImlEEZNS1_24adjacent_difference_implIS3_Lb1ELb0EPlSB_ZN2at6native12_GLOBAL__N_124unique_dim_cuda_templateIdEESt5tupleIJNSC_6TensorESH_SH_EERKSH_lbbbEUlllE1_EE10hipError_tPvRmT2_T3_mT4_P12ihipStream_tbEUlmE_lEESB_NS0_8identityIvEEEESM_SP_SQ_mSR_ST_bEUlT_E_NS1_11comp_targetILNS1_3genE2ELNS1_11target_archE906ELNS1_3gpuE6ELNS1_3repE0EEENS1_30default_config_static_selectorELNS0_4arch9wavefront6targetE0EEEvT1_
		.amdhsa_group_segment_fixed_size 0
		.amdhsa_private_segment_fixed_size 0
		.amdhsa_kernarg_size 56
		.amdhsa_user_sgpr_count 15
		.amdhsa_user_sgpr_dispatch_ptr 0
		.amdhsa_user_sgpr_queue_ptr 0
		.amdhsa_user_sgpr_kernarg_segment_ptr 1
		.amdhsa_user_sgpr_dispatch_id 0
		.amdhsa_user_sgpr_private_segment_size 0
		.amdhsa_wavefront_size32 1
		.amdhsa_uses_dynamic_stack 0
		.amdhsa_enable_private_segment 0
		.amdhsa_system_sgpr_workgroup_id_x 1
		.amdhsa_system_sgpr_workgroup_id_y 0
		.amdhsa_system_sgpr_workgroup_id_z 0
		.amdhsa_system_sgpr_workgroup_info 0
		.amdhsa_system_vgpr_workitem_id 0
		.amdhsa_next_free_vgpr 1
		.amdhsa_next_free_sgpr 1
		.amdhsa_reserve_vcc 0
		.amdhsa_float_round_mode_32 0
		.amdhsa_float_round_mode_16_64 0
		.amdhsa_float_denorm_mode_32 3
		.amdhsa_float_denorm_mode_16_64 3
		.amdhsa_dx10_clamp 1
		.amdhsa_ieee_mode 1
		.amdhsa_fp16_overflow 0
		.amdhsa_workgroup_processor_mode 1
		.amdhsa_memory_ordered 1
		.amdhsa_forward_progress 0
		.amdhsa_shared_vgpr_count 0
		.amdhsa_exception_fp_ieee_invalid_op 0
		.amdhsa_exception_fp_denorm_src 0
		.amdhsa_exception_fp_ieee_div_zero 0
		.amdhsa_exception_fp_ieee_overflow 0
		.amdhsa_exception_fp_ieee_underflow 0
		.amdhsa_exception_fp_ieee_inexact 0
		.amdhsa_exception_int_div_zero 0
	.end_amdhsa_kernel
	.section	.text._ZN7rocprim17ROCPRIM_400000_NS6detail17trampoline_kernelINS0_14default_configENS1_25transform_config_selectorIlLb0EEEZNS1_14transform_implILb0ES3_S5_NS0_18transform_iteratorINS0_17counting_iteratorImlEEZNS1_24adjacent_difference_implIS3_Lb1ELb0EPlSB_ZN2at6native12_GLOBAL__N_124unique_dim_cuda_templateIdEESt5tupleIJNSC_6TensorESH_SH_EERKSH_lbbbEUlllE1_EE10hipError_tPvRmT2_T3_mT4_P12ihipStream_tbEUlmE_lEESB_NS0_8identityIvEEEESM_SP_SQ_mSR_ST_bEUlT_E_NS1_11comp_targetILNS1_3genE2ELNS1_11target_archE906ELNS1_3gpuE6ELNS1_3repE0EEENS1_30default_config_static_selectorELNS0_4arch9wavefront6targetE0EEEvT1_,"axG",@progbits,_ZN7rocprim17ROCPRIM_400000_NS6detail17trampoline_kernelINS0_14default_configENS1_25transform_config_selectorIlLb0EEEZNS1_14transform_implILb0ES3_S5_NS0_18transform_iteratorINS0_17counting_iteratorImlEEZNS1_24adjacent_difference_implIS3_Lb1ELb0EPlSB_ZN2at6native12_GLOBAL__N_124unique_dim_cuda_templateIdEESt5tupleIJNSC_6TensorESH_SH_EERKSH_lbbbEUlllE1_EE10hipError_tPvRmT2_T3_mT4_P12ihipStream_tbEUlmE_lEESB_NS0_8identityIvEEEESM_SP_SQ_mSR_ST_bEUlT_E_NS1_11comp_targetILNS1_3genE2ELNS1_11target_archE906ELNS1_3gpuE6ELNS1_3repE0EEENS1_30default_config_static_selectorELNS0_4arch9wavefront6targetE0EEEvT1_,comdat
.Lfunc_end794:
	.size	_ZN7rocprim17ROCPRIM_400000_NS6detail17trampoline_kernelINS0_14default_configENS1_25transform_config_selectorIlLb0EEEZNS1_14transform_implILb0ES3_S5_NS0_18transform_iteratorINS0_17counting_iteratorImlEEZNS1_24adjacent_difference_implIS3_Lb1ELb0EPlSB_ZN2at6native12_GLOBAL__N_124unique_dim_cuda_templateIdEESt5tupleIJNSC_6TensorESH_SH_EERKSH_lbbbEUlllE1_EE10hipError_tPvRmT2_T3_mT4_P12ihipStream_tbEUlmE_lEESB_NS0_8identityIvEEEESM_SP_SQ_mSR_ST_bEUlT_E_NS1_11comp_targetILNS1_3genE2ELNS1_11target_archE906ELNS1_3gpuE6ELNS1_3repE0EEENS1_30default_config_static_selectorELNS0_4arch9wavefront6targetE0EEEvT1_, .Lfunc_end794-_ZN7rocprim17ROCPRIM_400000_NS6detail17trampoline_kernelINS0_14default_configENS1_25transform_config_selectorIlLb0EEEZNS1_14transform_implILb0ES3_S5_NS0_18transform_iteratorINS0_17counting_iteratorImlEEZNS1_24adjacent_difference_implIS3_Lb1ELb0EPlSB_ZN2at6native12_GLOBAL__N_124unique_dim_cuda_templateIdEESt5tupleIJNSC_6TensorESH_SH_EERKSH_lbbbEUlllE1_EE10hipError_tPvRmT2_T3_mT4_P12ihipStream_tbEUlmE_lEESB_NS0_8identityIvEEEESM_SP_SQ_mSR_ST_bEUlT_E_NS1_11comp_targetILNS1_3genE2ELNS1_11target_archE906ELNS1_3gpuE6ELNS1_3repE0EEENS1_30default_config_static_selectorELNS0_4arch9wavefront6targetE0EEEvT1_
                                        ; -- End function
	.section	.AMDGPU.csdata,"",@progbits
; Kernel info:
; codeLenInByte = 0
; NumSgprs: 0
; NumVgprs: 0
; ScratchSize: 0
; MemoryBound: 0
; FloatMode: 240
; IeeeMode: 1
; LDSByteSize: 0 bytes/workgroup (compile time only)
; SGPRBlocks: 0
; VGPRBlocks: 0
; NumSGPRsForWavesPerEU: 1
; NumVGPRsForWavesPerEU: 1
; Occupancy: 16
; WaveLimiterHint : 0
; COMPUTE_PGM_RSRC2:SCRATCH_EN: 0
; COMPUTE_PGM_RSRC2:USER_SGPR: 15
; COMPUTE_PGM_RSRC2:TRAP_HANDLER: 0
; COMPUTE_PGM_RSRC2:TGID_X_EN: 1
; COMPUTE_PGM_RSRC2:TGID_Y_EN: 0
; COMPUTE_PGM_RSRC2:TGID_Z_EN: 0
; COMPUTE_PGM_RSRC2:TIDIG_COMP_CNT: 0
	.section	.text._ZN7rocprim17ROCPRIM_400000_NS6detail17trampoline_kernelINS0_14default_configENS1_25transform_config_selectorIlLb0EEEZNS1_14transform_implILb0ES3_S5_NS0_18transform_iteratorINS0_17counting_iteratorImlEEZNS1_24adjacent_difference_implIS3_Lb1ELb0EPlSB_ZN2at6native12_GLOBAL__N_124unique_dim_cuda_templateIdEESt5tupleIJNSC_6TensorESH_SH_EERKSH_lbbbEUlllE1_EE10hipError_tPvRmT2_T3_mT4_P12ihipStream_tbEUlmE_lEESB_NS0_8identityIvEEEESM_SP_SQ_mSR_ST_bEUlT_E_NS1_11comp_targetILNS1_3genE10ELNS1_11target_archE1201ELNS1_3gpuE5ELNS1_3repE0EEENS1_30default_config_static_selectorELNS0_4arch9wavefront6targetE0EEEvT1_,"axG",@progbits,_ZN7rocprim17ROCPRIM_400000_NS6detail17trampoline_kernelINS0_14default_configENS1_25transform_config_selectorIlLb0EEEZNS1_14transform_implILb0ES3_S5_NS0_18transform_iteratorINS0_17counting_iteratorImlEEZNS1_24adjacent_difference_implIS3_Lb1ELb0EPlSB_ZN2at6native12_GLOBAL__N_124unique_dim_cuda_templateIdEESt5tupleIJNSC_6TensorESH_SH_EERKSH_lbbbEUlllE1_EE10hipError_tPvRmT2_T3_mT4_P12ihipStream_tbEUlmE_lEESB_NS0_8identityIvEEEESM_SP_SQ_mSR_ST_bEUlT_E_NS1_11comp_targetILNS1_3genE10ELNS1_11target_archE1201ELNS1_3gpuE5ELNS1_3repE0EEENS1_30default_config_static_selectorELNS0_4arch9wavefront6targetE0EEEvT1_,comdat
	.globl	_ZN7rocprim17ROCPRIM_400000_NS6detail17trampoline_kernelINS0_14default_configENS1_25transform_config_selectorIlLb0EEEZNS1_14transform_implILb0ES3_S5_NS0_18transform_iteratorINS0_17counting_iteratorImlEEZNS1_24adjacent_difference_implIS3_Lb1ELb0EPlSB_ZN2at6native12_GLOBAL__N_124unique_dim_cuda_templateIdEESt5tupleIJNSC_6TensorESH_SH_EERKSH_lbbbEUlllE1_EE10hipError_tPvRmT2_T3_mT4_P12ihipStream_tbEUlmE_lEESB_NS0_8identityIvEEEESM_SP_SQ_mSR_ST_bEUlT_E_NS1_11comp_targetILNS1_3genE10ELNS1_11target_archE1201ELNS1_3gpuE5ELNS1_3repE0EEENS1_30default_config_static_selectorELNS0_4arch9wavefront6targetE0EEEvT1_ ; -- Begin function _ZN7rocprim17ROCPRIM_400000_NS6detail17trampoline_kernelINS0_14default_configENS1_25transform_config_selectorIlLb0EEEZNS1_14transform_implILb0ES3_S5_NS0_18transform_iteratorINS0_17counting_iteratorImlEEZNS1_24adjacent_difference_implIS3_Lb1ELb0EPlSB_ZN2at6native12_GLOBAL__N_124unique_dim_cuda_templateIdEESt5tupleIJNSC_6TensorESH_SH_EERKSH_lbbbEUlllE1_EE10hipError_tPvRmT2_T3_mT4_P12ihipStream_tbEUlmE_lEESB_NS0_8identityIvEEEESM_SP_SQ_mSR_ST_bEUlT_E_NS1_11comp_targetILNS1_3genE10ELNS1_11target_archE1201ELNS1_3gpuE5ELNS1_3repE0EEENS1_30default_config_static_selectorELNS0_4arch9wavefront6targetE0EEEvT1_
	.p2align	8
	.type	_ZN7rocprim17ROCPRIM_400000_NS6detail17trampoline_kernelINS0_14default_configENS1_25transform_config_selectorIlLb0EEEZNS1_14transform_implILb0ES3_S5_NS0_18transform_iteratorINS0_17counting_iteratorImlEEZNS1_24adjacent_difference_implIS3_Lb1ELb0EPlSB_ZN2at6native12_GLOBAL__N_124unique_dim_cuda_templateIdEESt5tupleIJNSC_6TensorESH_SH_EERKSH_lbbbEUlllE1_EE10hipError_tPvRmT2_T3_mT4_P12ihipStream_tbEUlmE_lEESB_NS0_8identityIvEEEESM_SP_SQ_mSR_ST_bEUlT_E_NS1_11comp_targetILNS1_3genE10ELNS1_11target_archE1201ELNS1_3gpuE5ELNS1_3repE0EEENS1_30default_config_static_selectorELNS0_4arch9wavefront6targetE0EEEvT1_,@function
_ZN7rocprim17ROCPRIM_400000_NS6detail17trampoline_kernelINS0_14default_configENS1_25transform_config_selectorIlLb0EEEZNS1_14transform_implILb0ES3_S5_NS0_18transform_iteratorINS0_17counting_iteratorImlEEZNS1_24adjacent_difference_implIS3_Lb1ELb0EPlSB_ZN2at6native12_GLOBAL__N_124unique_dim_cuda_templateIdEESt5tupleIJNSC_6TensorESH_SH_EERKSH_lbbbEUlllE1_EE10hipError_tPvRmT2_T3_mT4_P12ihipStream_tbEUlmE_lEESB_NS0_8identityIvEEEESM_SP_SQ_mSR_ST_bEUlT_E_NS1_11comp_targetILNS1_3genE10ELNS1_11target_archE1201ELNS1_3gpuE5ELNS1_3repE0EEENS1_30default_config_static_selectorELNS0_4arch9wavefront6targetE0EEEvT1_: ; @_ZN7rocprim17ROCPRIM_400000_NS6detail17trampoline_kernelINS0_14default_configENS1_25transform_config_selectorIlLb0EEEZNS1_14transform_implILb0ES3_S5_NS0_18transform_iteratorINS0_17counting_iteratorImlEEZNS1_24adjacent_difference_implIS3_Lb1ELb0EPlSB_ZN2at6native12_GLOBAL__N_124unique_dim_cuda_templateIdEESt5tupleIJNSC_6TensorESH_SH_EERKSH_lbbbEUlllE1_EE10hipError_tPvRmT2_T3_mT4_P12ihipStream_tbEUlmE_lEESB_NS0_8identityIvEEEESM_SP_SQ_mSR_ST_bEUlT_E_NS1_11comp_targetILNS1_3genE10ELNS1_11target_archE1201ELNS1_3gpuE5ELNS1_3repE0EEENS1_30default_config_static_selectorELNS0_4arch9wavefront6targetE0EEEvT1_
; %bb.0:
	.section	.rodata,"a",@progbits
	.p2align	6, 0x0
	.amdhsa_kernel _ZN7rocprim17ROCPRIM_400000_NS6detail17trampoline_kernelINS0_14default_configENS1_25transform_config_selectorIlLb0EEEZNS1_14transform_implILb0ES3_S5_NS0_18transform_iteratorINS0_17counting_iteratorImlEEZNS1_24adjacent_difference_implIS3_Lb1ELb0EPlSB_ZN2at6native12_GLOBAL__N_124unique_dim_cuda_templateIdEESt5tupleIJNSC_6TensorESH_SH_EERKSH_lbbbEUlllE1_EE10hipError_tPvRmT2_T3_mT4_P12ihipStream_tbEUlmE_lEESB_NS0_8identityIvEEEESM_SP_SQ_mSR_ST_bEUlT_E_NS1_11comp_targetILNS1_3genE10ELNS1_11target_archE1201ELNS1_3gpuE5ELNS1_3repE0EEENS1_30default_config_static_selectorELNS0_4arch9wavefront6targetE0EEEvT1_
		.amdhsa_group_segment_fixed_size 0
		.amdhsa_private_segment_fixed_size 0
		.amdhsa_kernarg_size 56
		.amdhsa_user_sgpr_count 15
		.amdhsa_user_sgpr_dispatch_ptr 0
		.amdhsa_user_sgpr_queue_ptr 0
		.amdhsa_user_sgpr_kernarg_segment_ptr 1
		.amdhsa_user_sgpr_dispatch_id 0
		.amdhsa_user_sgpr_private_segment_size 0
		.amdhsa_wavefront_size32 1
		.amdhsa_uses_dynamic_stack 0
		.amdhsa_enable_private_segment 0
		.amdhsa_system_sgpr_workgroup_id_x 1
		.amdhsa_system_sgpr_workgroup_id_y 0
		.amdhsa_system_sgpr_workgroup_id_z 0
		.amdhsa_system_sgpr_workgroup_info 0
		.amdhsa_system_vgpr_workitem_id 0
		.amdhsa_next_free_vgpr 1
		.amdhsa_next_free_sgpr 1
		.amdhsa_reserve_vcc 0
		.amdhsa_float_round_mode_32 0
		.amdhsa_float_round_mode_16_64 0
		.amdhsa_float_denorm_mode_32 3
		.amdhsa_float_denorm_mode_16_64 3
		.amdhsa_dx10_clamp 1
		.amdhsa_ieee_mode 1
		.amdhsa_fp16_overflow 0
		.amdhsa_workgroup_processor_mode 1
		.amdhsa_memory_ordered 1
		.amdhsa_forward_progress 0
		.amdhsa_shared_vgpr_count 0
		.amdhsa_exception_fp_ieee_invalid_op 0
		.amdhsa_exception_fp_denorm_src 0
		.amdhsa_exception_fp_ieee_div_zero 0
		.amdhsa_exception_fp_ieee_overflow 0
		.amdhsa_exception_fp_ieee_underflow 0
		.amdhsa_exception_fp_ieee_inexact 0
		.amdhsa_exception_int_div_zero 0
	.end_amdhsa_kernel
	.section	.text._ZN7rocprim17ROCPRIM_400000_NS6detail17trampoline_kernelINS0_14default_configENS1_25transform_config_selectorIlLb0EEEZNS1_14transform_implILb0ES3_S5_NS0_18transform_iteratorINS0_17counting_iteratorImlEEZNS1_24adjacent_difference_implIS3_Lb1ELb0EPlSB_ZN2at6native12_GLOBAL__N_124unique_dim_cuda_templateIdEESt5tupleIJNSC_6TensorESH_SH_EERKSH_lbbbEUlllE1_EE10hipError_tPvRmT2_T3_mT4_P12ihipStream_tbEUlmE_lEESB_NS0_8identityIvEEEESM_SP_SQ_mSR_ST_bEUlT_E_NS1_11comp_targetILNS1_3genE10ELNS1_11target_archE1201ELNS1_3gpuE5ELNS1_3repE0EEENS1_30default_config_static_selectorELNS0_4arch9wavefront6targetE0EEEvT1_,"axG",@progbits,_ZN7rocprim17ROCPRIM_400000_NS6detail17trampoline_kernelINS0_14default_configENS1_25transform_config_selectorIlLb0EEEZNS1_14transform_implILb0ES3_S5_NS0_18transform_iteratorINS0_17counting_iteratorImlEEZNS1_24adjacent_difference_implIS3_Lb1ELb0EPlSB_ZN2at6native12_GLOBAL__N_124unique_dim_cuda_templateIdEESt5tupleIJNSC_6TensorESH_SH_EERKSH_lbbbEUlllE1_EE10hipError_tPvRmT2_T3_mT4_P12ihipStream_tbEUlmE_lEESB_NS0_8identityIvEEEESM_SP_SQ_mSR_ST_bEUlT_E_NS1_11comp_targetILNS1_3genE10ELNS1_11target_archE1201ELNS1_3gpuE5ELNS1_3repE0EEENS1_30default_config_static_selectorELNS0_4arch9wavefront6targetE0EEEvT1_,comdat
.Lfunc_end795:
	.size	_ZN7rocprim17ROCPRIM_400000_NS6detail17trampoline_kernelINS0_14default_configENS1_25transform_config_selectorIlLb0EEEZNS1_14transform_implILb0ES3_S5_NS0_18transform_iteratorINS0_17counting_iteratorImlEEZNS1_24adjacent_difference_implIS3_Lb1ELb0EPlSB_ZN2at6native12_GLOBAL__N_124unique_dim_cuda_templateIdEESt5tupleIJNSC_6TensorESH_SH_EERKSH_lbbbEUlllE1_EE10hipError_tPvRmT2_T3_mT4_P12ihipStream_tbEUlmE_lEESB_NS0_8identityIvEEEESM_SP_SQ_mSR_ST_bEUlT_E_NS1_11comp_targetILNS1_3genE10ELNS1_11target_archE1201ELNS1_3gpuE5ELNS1_3repE0EEENS1_30default_config_static_selectorELNS0_4arch9wavefront6targetE0EEEvT1_, .Lfunc_end795-_ZN7rocprim17ROCPRIM_400000_NS6detail17trampoline_kernelINS0_14default_configENS1_25transform_config_selectorIlLb0EEEZNS1_14transform_implILb0ES3_S5_NS0_18transform_iteratorINS0_17counting_iteratorImlEEZNS1_24adjacent_difference_implIS3_Lb1ELb0EPlSB_ZN2at6native12_GLOBAL__N_124unique_dim_cuda_templateIdEESt5tupleIJNSC_6TensorESH_SH_EERKSH_lbbbEUlllE1_EE10hipError_tPvRmT2_T3_mT4_P12ihipStream_tbEUlmE_lEESB_NS0_8identityIvEEEESM_SP_SQ_mSR_ST_bEUlT_E_NS1_11comp_targetILNS1_3genE10ELNS1_11target_archE1201ELNS1_3gpuE5ELNS1_3repE0EEENS1_30default_config_static_selectorELNS0_4arch9wavefront6targetE0EEEvT1_
                                        ; -- End function
	.section	.AMDGPU.csdata,"",@progbits
; Kernel info:
; codeLenInByte = 0
; NumSgprs: 0
; NumVgprs: 0
; ScratchSize: 0
; MemoryBound: 0
; FloatMode: 240
; IeeeMode: 1
; LDSByteSize: 0 bytes/workgroup (compile time only)
; SGPRBlocks: 0
; VGPRBlocks: 0
; NumSGPRsForWavesPerEU: 1
; NumVGPRsForWavesPerEU: 1
; Occupancy: 16
; WaveLimiterHint : 0
; COMPUTE_PGM_RSRC2:SCRATCH_EN: 0
; COMPUTE_PGM_RSRC2:USER_SGPR: 15
; COMPUTE_PGM_RSRC2:TRAP_HANDLER: 0
; COMPUTE_PGM_RSRC2:TGID_X_EN: 1
; COMPUTE_PGM_RSRC2:TGID_Y_EN: 0
; COMPUTE_PGM_RSRC2:TGID_Z_EN: 0
; COMPUTE_PGM_RSRC2:TIDIG_COMP_CNT: 0
	.section	.text._ZN7rocprim17ROCPRIM_400000_NS6detail17trampoline_kernelINS0_14default_configENS1_25transform_config_selectorIlLb0EEEZNS1_14transform_implILb0ES3_S5_NS0_18transform_iteratorINS0_17counting_iteratorImlEEZNS1_24adjacent_difference_implIS3_Lb1ELb0EPlSB_ZN2at6native12_GLOBAL__N_124unique_dim_cuda_templateIdEESt5tupleIJNSC_6TensorESH_SH_EERKSH_lbbbEUlllE1_EE10hipError_tPvRmT2_T3_mT4_P12ihipStream_tbEUlmE_lEESB_NS0_8identityIvEEEESM_SP_SQ_mSR_ST_bEUlT_E_NS1_11comp_targetILNS1_3genE10ELNS1_11target_archE1200ELNS1_3gpuE4ELNS1_3repE0EEENS1_30default_config_static_selectorELNS0_4arch9wavefront6targetE0EEEvT1_,"axG",@progbits,_ZN7rocprim17ROCPRIM_400000_NS6detail17trampoline_kernelINS0_14default_configENS1_25transform_config_selectorIlLb0EEEZNS1_14transform_implILb0ES3_S5_NS0_18transform_iteratorINS0_17counting_iteratorImlEEZNS1_24adjacent_difference_implIS3_Lb1ELb0EPlSB_ZN2at6native12_GLOBAL__N_124unique_dim_cuda_templateIdEESt5tupleIJNSC_6TensorESH_SH_EERKSH_lbbbEUlllE1_EE10hipError_tPvRmT2_T3_mT4_P12ihipStream_tbEUlmE_lEESB_NS0_8identityIvEEEESM_SP_SQ_mSR_ST_bEUlT_E_NS1_11comp_targetILNS1_3genE10ELNS1_11target_archE1200ELNS1_3gpuE4ELNS1_3repE0EEENS1_30default_config_static_selectorELNS0_4arch9wavefront6targetE0EEEvT1_,comdat
	.globl	_ZN7rocprim17ROCPRIM_400000_NS6detail17trampoline_kernelINS0_14default_configENS1_25transform_config_selectorIlLb0EEEZNS1_14transform_implILb0ES3_S5_NS0_18transform_iteratorINS0_17counting_iteratorImlEEZNS1_24adjacent_difference_implIS3_Lb1ELb0EPlSB_ZN2at6native12_GLOBAL__N_124unique_dim_cuda_templateIdEESt5tupleIJNSC_6TensorESH_SH_EERKSH_lbbbEUlllE1_EE10hipError_tPvRmT2_T3_mT4_P12ihipStream_tbEUlmE_lEESB_NS0_8identityIvEEEESM_SP_SQ_mSR_ST_bEUlT_E_NS1_11comp_targetILNS1_3genE10ELNS1_11target_archE1200ELNS1_3gpuE4ELNS1_3repE0EEENS1_30default_config_static_selectorELNS0_4arch9wavefront6targetE0EEEvT1_ ; -- Begin function _ZN7rocprim17ROCPRIM_400000_NS6detail17trampoline_kernelINS0_14default_configENS1_25transform_config_selectorIlLb0EEEZNS1_14transform_implILb0ES3_S5_NS0_18transform_iteratorINS0_17counting_iteratorImlEEZNS1_24adjacent_difference_implIS3_Lb1ELb0EPlSB_ZN2at6native12_GLOBAL__N_124unique_dim_cuda_templateIdEESt5tupleIJNSC_6TensorESH_SH_EERKSH_lbbbEUlllE1_EE10hipError_tPvRmT2_T3_mT4_P12ihipStream_tbEUlmE_lEESB_NS0_8identityIvEEEESM_SP_SQ_mSR_ST_bEUlT_E_NS1_11comp_targetILNS1_3genE10ELNS1_11target_archE1200ELNS1_3gpuE4ELNS1_3repE0EEENS1_30default_config_static_selectorELNS0_4arch9wavefront6targetE0EEEvT1_
	.p2align	8
	.type	_ZN7rocprim17ROCPRIM_400000_NS6detail17trampoline_kernelINS0_14default_configENS1_25transform_config_selectorIlLb0EEEZNS1_14transform_implILb0ES3_S5_NS0_18transform_iteratorINS0_17counting_iteratorImlEEZNS1_24adjacent_difference_implIS3_Lb1ELb0EPlSB_ZN2at6native12_GLOBAL__N_124unique_dim_cuda_templateIdEESt5tupleIJNSC_6TensorESH_SH_EERKSH_lbbbEUlllE1_EE10hipError_tPvRmT2_T3_mT4_P12ihipStream_tbEUlmE_lEESB_NS0_8identityIvEEEESM_SP_SQ_mSR_ST_bEUlT_E_NS1_11comp_targetILNS1_3genE10ELNS1_11target_archE1200ELNS1_3gpuE4ELNS1_3repE0EEENS1_30default_config_static_selectorELNS0_4arch9wavefront6targetE0EEEvT1_,@function
_ZN7rocprim17ROCPRIM_400000_NS6detail17trampoline_kernelINS0_14default_configENS1_25transform_config_selectorIlLb0EEEZNS1_14transform_implILb0ES3_S5_NS0_18transform_iteratorINS0_17counting_iteratorImlEEZNS1_24adjacent_difference_implIS3_Lb1ELb0EPlSB_ZN2at6native12_GLOBAL__N_124unique_dim_cuda_templateIdEESt5tupleIJNSC_6TensorESH_SH_EERKSH_lbbbEUlllE1_EE10hipError_tPvRmT2_T3_mT4_P12ihipStream_tbEUlmE_lEESB_NS0_8identityIvEEEESM_SP_SQ_mSR_ST_bEUlT_E_NS1_11comp_targetILNS1_3genE10ELNS1_11target_archE1200ELNS1_3gpuE4ELNS1_3repE0EEENS1_30default_config_static_selectorELNS0_4arch9wavefront6targetE0EEEvT1_: ; @_ZN7rocprim17ROCPRIM_400000_NS6detail17trampoline_kernelINS0_14default_configENS1_25transform_config_selectorIlLb0EEEZNS1_14transform_implILb0ES3_S5_NS0_18transform_iteratorINS0_17counting_iteratorImlEEZNS1_24adjacent_difference_implIS3_Lb1ELb0EPlSB_ZN2at6native12_GLOBAL__N_124unique_dim_cuda_templateIdEESt5tupleIJNSC_6TensorESH_SH_EERKSH_lbbbEUlllE1_EE10hipError_tPvRmT2_T3_mT4_P12ihipStream_tbEUlmE_lEESB_NS0_8identityIvEEEESM_SP_SQ_mSR_ST_bEUlT_E_NS1_11comp_targetILNS1_3genE10ELNS1_11target_archE1200ELNS1_3gpuE4ELNS1_3repE0EEENS1_30default_config_static_selectorELNS0_4arch9wavefront6targetE0EEEvT1_
; %bb.0:
	.section	.rodata,"a",@progbits
	.p2align	6, 0x0
	.amdhsa_kernel _ZN7rocprim17ROCPRIM_400000_NS6detail17trampoline_kernelINS0_14default_configENS1_25transform_config_selectorIlLb0EEEZNS1_14transform_implILb0ES3_S5_NS0_18transform_iteratorINS0_17counting_iteratorImlEEZNS1_24adjacent_difference_implIS3_Lb1ELb0EPlSB_ZN2at6native12_GLOBAL__N_124unique_dim_cuda_templateIdEESt5tupleIJNSC_6TensorESH_SH_EERKSH_lbbbEUlllE1_EE10hipError_tPvRmT2_T3_mT4_P12ihipStream_tbEUlmE_lEESB_NS0_8identityIvEEEESM_SP_SQ_mSR_ST_bEUlT_E_NS1_11comp_targetILNS1_3genE10ELNS1_11target_archE1200ELNS1_3gpuE4ELNS1_3repE0EEENS1_30default_config_static_selectorELNS0_4arch9wavefront6targetE0EEEvT1_
		.amdhsa_group_segment_fixed_size 0
		.amdhsa_private_segment_fixed_size 0
		.amdhsa_kernarg_size 56
		.amdhsa_user_sgpr_count 15
		.amdhsa_user_sgpr_dispatch_ptr 0
		.amdhsa_user_sgpr_queue_ptr 0
		.amdhsa_user_sgpr_kernarg_segment_ptr 1
		.amdhsa_user_sgpr_dispatch_id 0
		.amdhsa_user_sgpr_private_segment_size 0
		.amdhsa_wavefront_size32 1
		.amdhsa_uses_dynamic_stack 0
		.amdhsa_enable_private_segment 0
		.amdhsa_system_sgpr_workgroup_id_x 1
		.amdhsa_system_sgpr_workgroup_id_y 0
		.amdhsa_system_sgpr_workgroup_id_z 0
		.amdhsa_system_sgpr_workgroup_info 0
		.amdhsa_system_vgpr_workitem_id 0
		.amdhsa_next_free_vgpr 1
		.amdhsa_next_free_sgpr 1
		.amdhsa_reserve_vcc 0
		.amdhsa_float_round_mode_32 0
		.amdhsa_float_round_mode_16_64 0
		.amdhsa_float_denorm_mode_32 3
		.amdhsa_float_denorm_mode_16_64 3
		.amdhsa_dx10_clamp 1
		.amdhsa_ieee_mode 1
		.amdhsa_fp16_overflow 0
		.amdhsa_workgroup_processor_mode 1
		.amdhsa_memory_ordered 1
		.amdhsa_forward_progress 0
		.amdhsa_shared_vgpr_count 0
		.amdhsa_exception_fp_ieee_invalid_op 0
		.amdhsa_exception_fp_denorm_src 0
		.amdhsa_exception_fp_ieee_div_zero 0
		.amdhsa_exception_fp_ieee_overflow 0
		.amdhsa_exception_fp_ieee_underflow 0
		.amdhsa_exception_fp_ieee_inexact 0
		.amdhsa_exception_int_div_zero 0
	.end_amdhsa_kernel
	.section	.text._ZN7rocprim17ROCPRIM_400000_NS6detail17trampoline_kernelINS0_14default_configENS1_25transform_config_selectorIlLb0EEEZNS1_14transform_implILb0ES3_S5_NS0_18transform_iteratorINS0_17counting_iteratorImlEEZNS1_24adjacent_difference_implIS3_Lb1ELb0EPlSB_ZN2at6native12_GLOBAL__N_124unique_dim_cuda_templateIdEESt5tupleIJNSC_6TensorESH_SH_EERKSH_lbbbEUlllE1_EE10hipError_tPvRmT2_T3_mT4_P12ihipStream_tbEUlmE_lEESB_NS0_8identityIvEEEESM_SP_SQ_mSR_ST_bEUlT_E_NS1_11comp_targetILNS1_3genE10ELNS1_11target_archE1200ELNS1_3gpuE4ELNS1_3repE0EEENS1_30default_config_static_selectorELNS0_4arch9wavefront6targetE0EEEvT1_,"axG",@progbits,_ZN7rocprim17ROCPRIM_400000_NS6detail17trampoline_kernelINS0_14default_configENS1_25transform_config_selectorIlLb0EEEZNS1_14transform_implILb0ES3_S5_NS0_18transform_iteratorINS0_17counting_iteratorImlEEZNS1_24adjacent_difference_implIS3_Lb1ELb0EPlSB_ZN2at6native12_GLOBAL__N_124unique_dim_cuda_templateIdEESt5tupleIJNSC_6TensorESH_SH_EERKSH_lbbbEUlllE1_EE10hipError_tPvRmT2_T3_mT4_P12ihipStream_tbEUlmE_lEESB_NS0_8identityIvEEEESM_SP_SQ_mSR_ST_bEUlT_E_NS1_11comp_targetILNS1_3genE10ELNS1_11target_archE1200ELNS1_3gpuE4ELNS1_3repE0EEENS1_30default_config_static_selectorELNS0_4arch9wavefront6targetE0EEEvT1_,comdat
.Lfunc_end796:
	.size	_ZN7rocprim17ROCPRIM_400000_NS6detail17trampoline_kernelINS0_14default_configENS1_25transform_config_selectorIlLb0EEEZNS1_14transform_implILb0ES3_S5_NS0_18transform_iteratorINS0_17counting_iteratorImlEEZNS1_24adjacent_difference_implIS3_Lb1ELb0EPlSB_ZN2at6native12_GLOBAL__N_124unique_dim_cuda_templateIdEESt5tupleIJNSC_6TensorESH_SH_EERKSH_lbbbEUlllE1_EE10hipError_tPvRmT2_T3_mT4_P12ihipStream_tbEUlmE_lEESB_NS0_8identityIvEEEESM_SP_SQ_mSR_ST_bEUlT_E_NS1_11comp_targetILNS1_3genE10ELNS1_11target_archE1200ELNS1_3gpuE4ELNS1_3repE0EEENS1_30default_config_static_selectorELNS0_4arch9wavefront6targetE0EEEvT1_, .Lfunc_end796-_ZN7rocprim17ROCPRIM_400000_NS6detail17trampoline_kernelINS0_14default_configENS1_25transform_config_selectorIlLb0EEEZNS1_14transform_implILb0ES3_S5_NS0_18transform_iteratorINS0_17counting_iteratorImlEEZNS1_24adjacent_difference_implIS3_Lb1ELb0EPlSB_ZN2at6native12_GLOBAL__N_124unique_dim_cuda_templateIdEESt5tupleIJNSC_6TensorESH_SH_EERKSH_lbbbEUlllE1_EE10hipError_tPvRmT2_T3_mT4_P12ihipStream_tbEUlmE_lEESB_NS0_8identityIvEEEESM_SP_SQ_mSR_ST_bEUlT_E_NS1_11comp_targetILNS1_3genE10ELNS1_11target_archE1200ELNS1_3gpuE4ELNS1_3repE0EEENS1_30default_config_static_selectorELNS0_4arch9wavefront6targetE0EEEvT1_
                                        ; -- End function
	.section	.AMDGPU.csdata,"",@progbits
; Kernel info:
; codeLenInByte = 0
; NumSgprs: 0
; NumVgprs: 0
; ScratchSize: 0
; MemoryBound: 0
; FloatMode: 240
; IeeeMode: 1
; LDSByteSize: 0 bytes/workgroup (compile time only)
; SGPRBlocks: 0
; VGPRBlocks: 0
; NumSGPRsForWavesPerEU: 1
; NumVGPRsForWavesPerEU: 1
; Occupancy: 16
; WaveLimiterHint : 0
; COMPUTE_PGM_RSRC2:SCRATCH_EN: 0
; COMPUTE_PGM_RSRC2:USER_SGPR: 15
; COMPUTE_PGM_RSRC2:TRAP_HANDLER: 0
; COMPUTE_PGM_RSRC2:TGID_X_EN: 1
; COMPUTE_PGM_RSRC2:TGID_Y_EN: 0
; COMPUTE_PGM_RSRC2:TGID_Z_EN: 0
; COMPUTE_PGM_RSRC2:TIDIG_COMP_CNT: 0
	.section	.text._ZN7rocprim17ROCPRIM_400000_NS6detail17trampoline_kernelINS0_14default_configENS1_25transform_config_selectorIlLb0EEEZNS1_14transform_implILb0ES3_S5_NS0_18transform_iteratorINS0_17counting_iteratorImlEEZNS1_24adjacent_difference_implIS3_Lb1ELb0EPlSB_ZN2at6native12_GLOBAL__N_124unique_dim_cuda_templateIdEESt5tupleIJNSC_6TensorESH_SH_EERKSH_lbbbEUlllE1_EE10hipError_tPvRmT2_T3_mT4_P12ihipStream_tbEUlmE_lEESB_NS0_8identityIvEEEESM_SP_SQ_mSR_ST_bEUlT_E_NS1_11comp_targetILNS1_3genE9ELNS1_11target_archE1100ELNS1_3gpuE3ELNS1_3repE0EEENS1_30default_config_static_selectorELNS0_4arch9wavefront6targetE0EEEvT1_,"axG",@progbits,_ZN7rocprim17ROCPRIM_400000_NS6detail17trampoline_kernelINS0_14default_configENS1_25transform_config_selectorIlLb0EEEZNS1_14transform_implILb0ES3_S5_NS0_18transform_iteratorINS0_17counting_iteratorImlEEZNS1_24adjacent_difference_implIS3_Lb1ELb0EPlSB_ZN2at6native12_GLOBAL__N_124unique_dim_cuda_templateIdEESt5tupleIJNSC_6TensorESH_SH_EERKSH_lbbbEUlllE1_EE10hipError_tPvRmT2_T3_mT4_P12ihipStream_tbEUlmE_lEESB_NS0_8identityIvEEEESM_SP_SQ_mSR_ST_bEUlT_E_NS1_11comp_targetILNS1_3genE9ELNS1_11target_archE1100ELNS1_3gpuE3ELNS1_3repE0EEENS1_30default_config_static_selectorELNS0_4arch9wavefront6targetE0EEEvT1_,comdat
	.globl	_ZN7rocprim17ROCPRIM_400000_NS6detail17trampoline_kernelINS0_14default_configENS1_25transform_config_selectorIlLb0EEEZNS1_14transform_implILb0ES3_S5_NS0_18transform_iteratorINS0_17counting_iteratorImlEEZNS1_24adjacent_difference_implIS3_Lb1ELb0EPlSB_ZN2at6native12_GLOBAL__N_124unique_dim_cuda_templateIdEESt5tupleIJNSC_6TensorESH_SH_EERKSH_lbbbEUlllE1_EE10hipError_tPvRmT2_T3_mT4_P12ihipStream_tbEUlmE_lEESB_NS0_8identityIvEEEESM_SP_SQ_mSR_ST_bEUlT_E_NS1_11comp_targetILNS1_3genE9ELNS1_11target_archE1100ELNS1_3gpuE3ELNS1_3repE0EEENS1_30default_config_static_selectorELNS0_4arch9wavefront6targetE0EEEvT1_ ; -- Begin function _ZN7rocprim17ROCPRIM_400000_NS6detail17trampoline_kernelINS0_14default_configENS1_25transform_config_selectorIlLb0EEEZNS1_14transform_implILb0ES3_S5_NS0_18transform_iteratorINS0_17counting_iteratorImlEEZNS1_24adjacent_difference_implIS3_Lb1ELb0EPlSB_ZN2at6native12_GLOBAL__N_124unique_dim_cuda_templateIdEESt5tupleIJNSC_6TensorESH_SH_EERKSH_lbbbEUlllE1_EE10hipError_tPvRmT2_T3_mT4_P12ihipStream_tbEUlmE_lEESB_NS0_8identityIvEEEESM_SP_SQ_mSR_ST_bEUlT_E_NS1_11comp_targetILNS1_3genE9ELNS1_11target_archE1100ELNS1_3gpuE3ELNS1_3repE0EEENS1_30default_config_static_selectorELNS0_4arch9wavefront6targetE0EEEvT1_
	.p2align	8
	.type	_ZN7rocprim17ROCPRIM_400000_NS6detail17trampoline_kernelINS0_14default_configENS1_25transform_config_selectorIlLb0EEEZNS1_14transform_implILb0ES3_S5_NS0_18transform_iteratorINS0_17counting_iteratorImlEEZNS1_24adjacent_difference_implIS3_Lb1ELb0EPlSB_ZN2at6native12_GLOBAL__N_124unique_dim_cuda_templateIdEESt5tupleIJNSC_6TensorESH_SH_EERKSH_lbbbEUlllE1_EE10hipError_tPvRmT2_T3_mT4_P12ihipStream_tbEUlmE_lEESB_NS0_8identityIvEEEESM_SP_SQ_mSR_ST_bEUlT_E_NS1_11comp_targetILNS1_3genE9ELNS1_11target_archE1100ELNS1_3gpuE3ELNS1_3repE0EEENS1_30default_config_static_selectorELNS0_4arch9wavefront6targetE0EEEvT1_,@function
_ZN7rocprim17ROCPRIM_400000_NS6detail17trampoline_kernelINS0_14default_configENS1_25transform_config_selectorIlLb0EEEZNS1_14transform_implILb0ES3_S5_NS0_18transform_iteratorINS0_17counting_iteratorImlEEZNS1_24adjacent_difference_implIS3_Lb1ELb0EPlSB_ZN2at6native12_GLOBAL__N_124unique_dim_cuda_templateIdEESt5tupleIJNSC_6TensorESH_SH_EERKSH_lbbbEUlllE1_EE10hipError_tPvRmT2_T3_mT4_P12ihipStream_tbEUlmE_lEESB_NS0_8identityIvEEEESM_SP_SQ_mSR_ST_bEUlT_E_NS1_11comp_targetILNS1_3genE9ELNS1_11target_archE1100ELNS1_3gpuE3ELNS1_3repE0EEENS1_30default_config_static_selectorELNS0_4arch9wavefront6targetE0EEEvT1_: ; @_ZN7rocprim17ROCPRIM_400000_NS6detail17trampoline_kernelINS0_14default_configENS1_25transform_config_selectorIlLb0EEEZNS1_14transform_implILb0ES3_S5_NS0_18transform_iteratorINS0_17counting_iteratorImlEEZNS1_24adjacent_difference_implIS3_Lb1ELb0EPlSB_ZN2at6native12_GLOBAL__N_124unique_dim_cuda_templateIdEESt5tupleIJNSC_6TensorESH_SH_EERKSH_lbbbEUlllE1_EE10hipError_tPvRmT2_T3_mT4_P12ihipStream_tbEUlmE_lEESB_NS0_8identityIvEEEESM_SP_SQ_mSR_ST_bEUlT_E_NS1_11comp_targetILNS1_3genE9ELNS1_11target_archE1100ELNS1_3gpuE3ELNS1_3repE0EEENS1_30default_config_static_selectorELNS0_4arch9wavefront6targetE0EEEvT1_
; %bb.0:
	s_clause 0x4
	s_load_b128 s[4:7], s[0:1], 0x0
	s_load_b64 s[2:3], s[0:1], 0x18
	s_load_b64 s[12:13], s[0:1], 0x28
	s_load_b32 s11, s[0:1], 0x38
	s_load_b32 s8, s[0:1], 0x10
	s_waitcnt lgkmcnt(0)
	s_add_u32 s9, s2, s4
	s_addc_u32 s10, s3, s5
	s_lshl_b64 s[2:3], s[2:3], 3
	s_delay_alu instid0(SALU_CYCLE_1)
	s_add_u32 s4, s12, s2
	s_addc_u32 s5, s13, s3
	s_add_i32 s11, s11, -1
	s_lshl_b32 s2, s15, 9
	s_mov_b32 s3, 0
	s_cmp_lg_u32 s15, s11
	s_mov_b32 s11, -1
	s_cbranch_scc0 .LBB797_2
; %bb.1:
	s_add_u32 s11, s9, s2
	s_addc_u32 s12, s10, 0
	v_add_co_u32 v3, s11, s11, v0
	s_delay_alu instid0(VALU_DEP_1) | instskip(SKIP_1) | instid1(VALU_DEP_2)
	v_add_co_ci_u32_e64 v5, null, s12, 0, s11
	s_lshl_b64 s[12:13], s[2:3], 3
	v_mad_u64_u32 v[1:2], null, v3, s8, 0
	s_add_u32 s12, s4, s12
	s_addc_u32 s13, s5, s13
	s_mov_b32 s11, s3
	s_delay_alu instid0(VALU_DEP_1) | instskip(NEXT) | instid1(VALU_DEP_1)
	v_mad_u64_u32 v[3:4], null, v5, s8, v[2:3]
	v_dual_mov_b32 v2, v3 :: v_dual_lshlrev_b32 v3, 3, v0
	s_delay_alu instid0(VALU_DEP_1) | instskip(NEXT) | instid1(VALU_DEP_1)
	v_lshlrev_b64 v[1:2], 3, v[1:2]
	v_add_co_u32 v1, vcc_lo, s6, v1
	s_delay_alu instid0(VALU_DEP_2)
	v_add_co_ci_u32_e32 v2, vcc_lo, s7, v2, vcc_lo
	global_load_b64 v[1:2], v[1:2], off
	s_waitcnt vmcnt(0)
	global_store_b64 v3, v[1:2], s[12:13]
.LBB797_2:
	s_and_not1_b32 vcc_lo, exec_lo, s11
	s_cbranch_vccnz .LBB797_7
; %bb.3:
	s_load_b32 s0, s[0:1], 0x20
                                        ; implicit-def: $vgpr1_vgpr2
	s_waitcnt lgkmcnt(0)
	s_sub_i32 s0, s0, s2
	s_delay_alu instid0(SALU_CYCLE_1)
	v_cmp_gt_u32_e32 vcc_lo, s0, v0
	s_and_saveexec_b32 s1, vcc_lo
	s_cbranch_execz .LBB797_5
; %bb.4:
	s_add_u32 s0, s9, s2
	s_addc_u32 s9, s10, 0
	v_add_co_u32 v3, s0, s0, v0
	s_delay_alu instid0(VALU_DEP_1) | instskip(NEXT) | instid1(VALU_DEP_2)
	v_add_co_ci_u32_e64 v5, null, s9, 0, s0
	v_mad_u64_u32 v[1:2], null, v3, s8, 0
	s_delay_alu instid0(VALU_DEP_1) | instskip(NEXT) | instid1(VALU_DEP_1)
	v_mad_u64_u32 v[3:4], null, v5, s8, v[2:3]
	v_mov_b32_e32 v2, v3
	s_delay_alu instid0(VALU_DEP_1) | instskip(NEXT) | instid1(VALU_DEP_1)
	v_lshlrev_b64 v[1:2], 3, v[1:2]
	v_add_co_u32 v1, s0, s6, v1
	s_delay_alu instid0(VALU_DEP_1)
	v_add_co_ci_u32_e64 v2, s0, s7, v2, s0
	global_load_b64 v[1:2], v[1:2], off
.LBB797_5:
	s_or_b32 exec_lo, exec_lo, s1
	s_and_saveexec_b32 s0, vcc_lo
	s_cbranch_execz .LBB797_7
; %bb.6:
	s_lshl_b64 s[0:1], s[2:3], 3
	v_lshlrev_b32_e32 v0, 3, v0
	s_add_u32 s0, s4, s0
	s_addc_u32 s1, s5, s1
	s_waitcnt vmcnt(0)
	global_store_b64 v0, v[1:2], s[0:1]
.LBB797_7:
	s_nop 0
	s_sendmsg sendmsg(MSG_DEALLOC_VGPRS)
	s_endpgm
	.section	.rodata,"a",@progbits
	.p2align	6, 0x0
	.amdhsa_kernel _ZN7rocprim17ROCPRIM_400000_NS6detail17trampoline_kernelINS0_14default_configENS1_25transform_config_selectorIlLb0EEEZNS1_14transform_implILb0ES3_S5_NS0_18transform_iteratorINS0_17counting_iteratorImlEEZNS1_24adjacent_difference_implIS3_Lb1ELb0EPlSB_ZN2at6native12_GLOBAL__N_124unique_dim_cuda_templateIdEESt5tupleIJNSC_6TensorESH_SH_EERKSH_lbbbEUlllE1_EE10hipError_tPvRmT2_T3_mT4_P12ihipStream_tbEUlmE_lEESB_NS0_8identityIvEEEESM_SP_SQ_mSR_ST_bEUlT_E_NS1_11comp_targetILNS1_3genE9ELNS1_11target_archE1100ELNS1_3gpuE3ELNS1_3repE0EEENS1_30default_config_static_selectorELNS0_4arch9wavefront6targetE0EEEvT1_
		.amdhsa_group_segment_fixed_size 0
		.amdhsa_private_segment_fixed_size 0
		.amdhsa_kernarg_size 312
		.amdhsa_user_sgpr_count 15
		.amdhsa_user_sgpr_dispatch_ptr 0
		.amdhsa_user_sgpr_queue_ptr 0
		.amdhsa_user_sgpr_kernarg_segment_ptr 1
		.amdhsa_user_sgpr_dispatch_id 0
		.amdhsa_user_sgpr_private_segment_size 0
		.amdhsa_wavefront_size32 1
		.amdhsa_uses_dynamic_stack 0
		.amdhsa_enable_private_segment 0
		.amdhsa_system_sgpr_workgroup_id_x 1
		.amdhsa_system_sgpr_workgroup_id_y 0
		.amdhsa_system_sgpr_workgroup_id_z 0
		.amdhsa_system_sgpr_workgroup_info 0
		.amdhsa_system_vgpr_workitem_id 0
		.amdhsa_next_free_vgpr 6
		.amdhsa_next_free_sgpr 16
		.amdhsa_reserve_vcc 1
		.amdhsa_float_round_mode_32 0
		.amdhsa_float_round_mode_16_64 0
		.amdhsa_float_denorm_mode_32 3
		.amdhsa_float_denorm_mode_16_64 3
		.amdhsa_dx10_clamp 1
		.amdhsa_ieee_mode 1
		.amdhsa_fp16_overflow 0
		.amdhsa_workgroup_processor_mode 1
		.amdhsa_memory_ordered 1
		.amdhsa_forward_progress 0
		.amdhsa_shared_vgpr_count 0
		.amdhsa_exception_fp_ieee_invalid_op 0
		.amdhsa_exception_fp_denorm_src 0
		.amdhsa_exception_fp_ieee_div_zero 0
		.amdhsa_exception_fp_ieee_overflow 0
		.amdhsa_exception_fp_ieee_underflow 0
		.amdhsa_exception_fp_ieee_inexact 0
		.amdhsa_exception_int_div_zero 0
	.end_amdhsa_kernel
	.section	.text._ZN7rocprim17ROCPRIM_400000_NS6detail17trampoline_kernelINS0_14default_configENS1_25transform_config_selectorIlLb0EEEZNS1_14transform_implILb0ES3_S5_NS0_18transform_iteratorINS0_17counting_iteratorImlEEZNS1_24adjacent_difference_implIS3_Lb1ELb0EPlSB_ZN2at6native12_GLOBAL__N_124unique_dim_cuda_templateIdEESt5tupleIJNSC_6TensorESH_SH_EERKSH_lbbbEUlllE1_EE10hipError_tPvRmT2_T3_mT4_P12ihipStream_tbEUlmE_lEESB_NS0_8identityIvEEEESM_SP_SQ_mSR_ST_bEUlT_E_NS1_11comp_targetILNS1_3genE9ELNS1_11target_archE1100ELNS1_3gpuE3ELNS1_3repE0EEENS1_30default_config_static_selectorELNS0_4arch9wavefront6targetE0EEEvT1_,"axG",@progbits,_ZN7rocprim17ROCPRIM_400000_NS6detail17trampoline_kernelINS0_14default_configENS1_25transform_config_selectorIlLb0EEEZNS1_14transform_implILb0ES3_S5_NS0_18transform_iteratorINS0_17counting_iteratorImlEEZNS1_24adjacent_difference_implIS3_Lb1ELb0EPlSB_ZN2at6native12_GLOBAL__N_124unique_dim_cuda_templateIdEESt5tupleIJNSC_6TensorESH_SH_EERKSH_lbbbEUlllE1_EE10hipError_tPvRmT2_T3_mT4_P12ihipStream_tbEUlmE_lEESB_NS0_8identityIvEEEESM_SP_SQ_mSR_ST_bEUlT_E_NS1_11comp_targetILNS1_3genE9ELNS1_11target_archE1100ELNS1_3gpuE3ELNS1_3repE0EEENS1_30default_config_static_selectorELNS0_4arch9wavefront6targetE0EEEvT1_,comdat
.Lfunc_end797:
	.size	_ZN7rocprim17ROCPRIM_400000_NS6detail17trampoline_kernelINS0_14default_configENS1_25transform_config_selectorIlLb0EEEZNS1_14transform_implILb0ES3_S5_NS0_18transform_iteratorINS0_17counting_iteratorImlEEZNS1_24adjacent_difference_implIS3_Lb1ELb0EPlSB_ZN2at6native12_GLOBAL__N_124unique_dim_cuda_templateIdEESt5tupleIJNSC_6TensorESH_SH_EERKSH_lbbbEUlllE1_EE10hipError_tPvRmT2_T3_mT4_P12ihipStream_tbEUlmE_lEESB_NS0_8identityIvEEEESM_SP_SQ_mSR_ST_bEUlT_E_NS1_11comp_targetILNS1_3genE9ELNS1_11target_archE1100ELNS1_3gpuE3ELNS1_3repE0EEENS1_30default_config_static_selectorELNS0_4arch9wavefront6targetE0EEEvT1_, .Lfunc_end797-_ZN7rocprim17ROCPRIM_400000_NS6detail17trampoline_kernelINS0_14default_configENS1_25transform_config_selectorIlLb0EEEZNS1_14transform_implILb0ES3_S5_NS0_18transform_iteratorINS0_17counting_iteratorImlEEZNS1_24adjacent_difference_implIS3_Lb1ELb0EPlSB_ZN2at6native12_GLOBAL__N_124unique_dim_cuda_templateIdEESt5tupleIJNSC_6TensorESH_SH_EERKSH_lbbbEUlllE1_EE10hipError_tPvRmT2_T3_mT4_P12ihipStream_tbEUlmE_lEESB_NS0_8identityIvEEEESM_SP_SQ_mSR_ST_bEUlT_E_NS1_11comp_targetILNS1_3genE9ELNS1_11target_archE1100ELNS1_3gpuE3ELNS1_3repE0EEENS1_30default_config_static_selectorELNS0_4arch9wavefront6targetE0EEEvT1_
                                        ; -- End function
	.section	.AMDGPU.csdata,"",@progbits
; Kernel info:
; codeLenInByte = 400
; NumSgprs: 18
; NumVgprs: 6
; ScratchSize: 0
; MemoryBound: 0
; FloatMode: 240
; IeeeMode: 1
; LDSByteSize: 0 bytes/workgroup (compile time only)
; SGPRBlocks: 2
; VGPRBlocks: 0
; NumSGPRsForWavesPerEU: 18
; NumVGPRsForWavesPerEU: 6
; Occupancy: 16
; WaveLimiterHint : 0
; COMPUTE_PGM_RSRC2:SCRATCH_EN: 0
; COMPUTE_PGM_RSRC2:USER_SGPR: 15
; COMPUTE_PGM_RSRC2:TRAP_HANDLER: 0
; COMPUTE_PGM_RSRC2:TGID_X_EN: 1
; COMPUTE_PGM_RSRC2:TGID_Y_EN: 0
; COMPUTE_PGM_RSRC2:TGID_Z_EN: 0
; COMPUTE_PGM_RSRC2:TIDIG_COMP_CNT: 0
	.section	.text._ZN7rocprim17ROCPRIM_400000_NS6detail17trampoline_kernelINS0_14default_configENS1_25transform_config_selectorIlLb0EEEZNS1_14transform_implILb0ES3_S5_NS0_18transform_iteratorINS0_17counting_iteratorImlEEZNS1_24adjacent_difference_implIS3_Lb1ELb0EPlSB_ZN2at6native12_GLOBAL__N_124unique_dim_cuda_templateIdEESt5tupleIJNSC_6TensorESH_SH_EERKSH_lbbbEUlllE1_EE10hipError_tPvRmT2_T3_mT4_P12ihipStream_tbEUlmE_lEESB_NS0_8identityIvEEEESM_SP_SQ_mSR_ST_bEUlT_E_NS1_11comp_targetILNS1_3genE8ELNS1_11target_archE1030ELNS1_3gpuE2ELNS1_3repE0EEENS1_30default_config_static_selectorELNS0_4arch9wavefront6targetE0EEEvT1_,"axG",@progbits,_ZN7rocprim17ROCPRIM_400000_NS6detail17trampoline_kernelINS0_14default_configENS1_25transform_config_selectorIlLb0EEEZNS1_14transform_implILb0ES3_S5_NS0_18transform_iteratorINS0_17counting_iteratorImlEEZNS1_24adjacent_difference_implIS3_Lb1ELb0EPlSB_ZN2at6native12_GLOBAL__N_124unique_dim_cuda_templateIdEESt5tupleIJNSC_6TensorESH_SH_EERKSH_lbbbEUlllE1_EE10hipError_tPvRmT2_T3_mT4_P12ihipStream_tbEUlmE_lEESB_NS0_8identityIvEEEESM_SP_SQ_mSR_ST_bEUlT_E_NS1_11comp_targetILNS1_3genE8ELNS1_11target_archE1030ELNS1_3gpuE2ELNS1_3repE0EEENS1_30default_config_static_selectorELNS0_4arch9wavefront6targetE0EEEvT1_,comdat
	.globl	_ZN7rocprim17ROCPRIM_400000_NS6detail17trampoline_kernelINS0_14default_configENS1_25transform_config_selectorIlLb0EEEZNS1_14transform_implILb0ES3_S5_NS0_18transform_iteratorINS0_17counting_iteratorImlEEZNS1_24adjacent_difference_implIS3_Lb1ELb0EPlSB_ZN2at6native12_GLOBAL__N_124unique_dim_cuda_templateIdEESt5tupleIJNSC_6TensorESH_SH_EERKSH_lbbbEUlllE1_EE10hipError_tPvRmT2_T3_mT4_P12ihipStream_tbEUlmE_lEESB_NS0_8identityIvEEEESM_SP_SQ_mSR_ST_bEUlT_E_NS1_11comp_targetILNS1_3genE8ELNS1_11target_archE1030ELNS1_3gpuE2ELNS1_3repE0EEENS1_30default_config_static_selectorELNS0_4arch9wavefront6targetE0EEEvT1_ ; -- Begin function _ZN7rocprim17ROCPRIM_400000_NS6detail17trampoline_kernelINS0_14default_configENS1_25transform_config_selectorIlLb0EEEZNS1_14transform_implILb0ES3_S5_NS0_18transform_iteratorINS0_17counting_iteratorImlEEZNS1_24adjacent_difference_implIS3_Lb1ELb0EPlSB_ZN2at6native12_GLOBAL__N_124unique_dim_cuda_templateIdEESt5tupleIJNSC_6TensorESH_SH_EERKSH_lbbbEUlllE1_EE10hipError_tPvRmT2_T3_mT4_P12ihipStream_tbEUlmE_lEESB_NS0_8identityIvEEEESM_SP_SQ_mSR_ST_bEUlT_E_NS1_11comp_targetILNS1_3genE8ELNS1_11target_archE1030ELNS1_3gpuE2ELNS1_3repE0EEENS1_30default_config_static_selectorELNS0_4arch9wavefront6targetE0EEEvT1_
	.p2align	8
	.type	_ZN7rocprim17ROCPRIM_400000_NS6detail17trampoline_kernelINS0_14default_configENS1_25transform_config_selectorIlLb0EEEZNS1_14transform_implILb0ES3_S5_NS0_18transform_iteratorINS0_17counting_iteratorImlEEZNS1_24adjacent_difference_implIS3_Lb1ELb0EPlSB_ZN2at6native12_GLOBAL__N_124unique_dim_cuda_templateIdEESt5tupleIJNSC_6TensorESH_SH_EERKSH_lbbbEUlllE1_EE10hipError_tPvRmT2_T3_mT4_P12ihipStream_tbEUlmE_lEESB_NS0_8identityIvEEEESM_SP_SQ_mSR_ST_bEUlT_E_NS1_11comp_targetILNS1_3genE8ELNS1_11target_archE1030ELNS1_3gpuE2ELNS1_3repE0EEENS1_30default_config_static_selectorELNS0_4arch9wavefront6targetE0EEEvT1_,@function
_ZN7rocprim17ROCPRIM_400000_NS6detail17trampoline_kernelINS0_14default_configENS1_25transform_config_selectorIlLb0EEEZNS1_14transform_implILb0ES3_S5_NS0_18transform_iteratorINS0_17counting_iteratorImlEEZNS1_24adjacent_difference_implIS3_Lb1ELb0EPlSB_ZN2at6native12_GLOBAL__N_124unique_dim_cuda_templateIdEESt5tupleIJNSC_6TensorESH_SH_EERKSH_lbbbEUlllE1_EE10hipError_tPvRmT2_T3_mT4_P12ihipStream_tbEUlmE_lEESB_NS0_8identityIvEEEESM_SP_SQ_mSR_ST_bEUlT_E_NS1_11comp_targetILNS1_3genE8ELNS1_11target_archE1030ELNS1_3gpuE2ELNS1_3repE0EEENS1_30default_config_static_selectorELNS0_4arch9wavefront6targetE0EEEvT1_: ; @_ZN7rocprim17ROCPRIM_400000_NS6detail17trampoline_kernelINS0_14default_configENS1_25transform_config_selectorIlLb0EEEZNS1_14transform_implILb0ES3_S5_NS0_18transform_iteratorINS0_17counting_iteratorImlEEZNS1_24adjacent_difference_implIS3_Lb1ELb0EPlSB_ZN2at6native12_GLOBAL__N_124unique_dim_cuda_templateIdEESt5tupleIJNSC_6TensorESH_SH_EERKSH_lbbbEUlllE1_EE10hipError_tPvRmT2_T3_mT4_P12ihipStream_tbEUlmE_lEESB_NS0_8identityIvEEEESM_SP_SQ_mSR_ST_bEUlT_E_NS1_11comp_targetILNS1_3genE8ELNS1_11target_archE1030ELNS1_3gpuE2ELNS1_3repE0EEENS1_30default_config_static_selectorELNS0_4arch9wavefront6targetE0EEEvT1_
; %bb.0:
	.section	.rodata,"a",@progbits
	.p2align	6, 0x0
	.amdhsa_kernel _ZN7rocprim17ROCPRIM_400000_NS6detail17trampoline_kernelINS0_14default_configENS1_25transform_config_selectorIlLb0EEEZNS1_14transform_implILb0ES3_S5_NS0_18transform_iteratorINS0_17counting_iteratorImlEEZNS1_24adjacent_difference_implIS3_Lb1ELb0EPlSB_ZN2at6native12_GLOBAL__N_124unique_dim_cuda_templateIdEESt5tupleIJNSC_6TensorESH_SH_EERKSH_lbbbEUlllE1_EE10hipError_tPvRmT2_T3_mT4_P12ihipStream_tbEUlmE_lEESB_NS0_8identityIvEEEESM_SP_SQ_mSR_ST_bEUlT_E_NS1_11comp_targetILNS1_3genE8ELNS1_11target_archE1030ELNS1_3gpuE2ELNS1_3repE0EEENS1_30default_config_static_selectorELNS0_4arch9wavefront6targetE0EEEvT1_
		.amdhsa_group_segment_fixed_size 0
		.amdhsa_private_segment_fixed_size 0
		.amdhsa_kernarg_size 56
		.amdhsa_user_sgpr_count 15
		.amdhsa_user_sgpr_dispatch_ptr 0
		.amdhsa_user_sgpr_queue_ptr 0
		.amdhsa_user_sgpr_kernarg_segment_ptr 1
		.amdhsa_user_sgpr_dispatch_id 0
		.amdhsa_user_sgpr_private_segment_size 0
		.amdhsa_wavefront_size32 1
		.amdhsa_uses_dynamic_stack 0
		.amdhsa_enable_private_segment 0
		.amdhsa_system_sgpr_workgroup_id_x 1
		.amdhsa_system_sgpr_workgroup_id_y 0
		.amdhsa_system_sgpr_workgroup_id_z 0
		.amdhsa_system_sgpr_workgroup_info 0
		.amdhsa_system_vgpr_workitem_id 0
		.amdhsa_next_free_vgpr 1
		.amdhsa_next_free_sgpr 1
		.amdhsa_reserve_vcc 0
		.amdhsa_float_round_mode_32 0
		.amdhsa_float_round_mode_16_64 0
		.amdhsa_float_denorm_mode_32 3
		.amdhsa_float_denorm_mode_16_64 3
		.amdhsa_dx10_clamp 1
		.amdhsa_ieee_mode 1
		.amdhsa_fp16_overflow 0
		.amdhsa_workgroup_processor_mode 1
		.amdhsa_memory_ordered 1
		.amdhsa_forward_progress 0
		.amdhsa_shared_vgpr_count 0
		.amdhsa_exception_fp_ieee_invalid_op 0
		.amdhsa_exception_fp_denorm_src 0
		.amdhsa_exception_fp_ieee_div_zero 0
		.amdhsa_exception_fp_ieee_overflow 0
		.amdhsa_exception_fp_ieee_underflow 0
		.amdhsa_exception_fp_ieee_inexact 0
		.amdhsa_exception_int_div_zero 0
	.end_amdhsa_kernel
	.section	.text._ZN7rocprim17ROCPRIM_400000_NS6detail17trampoline_kernelINS0_14default_configENS1_25transform_config_selectorIlLb0EEEZNS1_14transform_implILb0ES3_S5_NS0_18transform_iteratorINS0_17counting_iteratorImlEEZNS1_24adjacent_difference_implIS3_Lb1ELb0EPlSB_ZN2at6native12_GLOBAL__N_124unique_dim_cuda_templateIdEESt5tupleIJNSC_6TensorESH_SH_EERKSH_lbbbEUlllE1_EE10hipError_tPvRmT2_T3_mT4_P12ihipStream_tbEUlmE_lEESB_NS0_8identityIvEEEESM_SP_SQ_mSR_ST_bEUlT_E_NS1_11comp_targetILNS1_3genE8ELNS1_11target_archE1030ELNS1_3gpuE2ELNS1_3repE0EEENS1_30default_config_static_selectorELNS0_4arch9wavefront6targetE0EEEvT1_,"axG",@progbits,_ZN7rocprim17ROCPRIM_400000_NS6detail17trampoline_kernelINS0_14default_configENS1_25transform_config_selectorIlLb0EEEZNS1_14transform_implILb0ES3_S5_NS0_18transform_iteratorINS0_17counting_iteratorImlEEZNS1_24adjacent_difference_implIS3_Lb1ELb0EPlSB_ZN2at6native12_GLOBAL__N_124unique_dim_cuda_templateIdEESt5tupleIJNSC_6TensorESH_SH_EERKSH_lbbbEUlllE1_EE10hipError_tPvRmT2_T3_mT4_P12ihipStream_tbEUlmE_lEESB_NS0_8identityIvEEEESM_SP_SQ_mSR_ST_bEUlT_E_NS1_11comp_targetILNS1_3genE8ELNS1_11target_archE1030ELNS1_3gpuE2ELNS1_3repE0EEENS1_30default_config_static_selectorELNS0_4arch9wavefront6targetE0EEEvT1_,comdat
.Lfunc_end798:
	.size	_ZN7rocprim17ROCPRIM_400000_NS6detail17trampoline_kernelINS0_14default_configENS1_25transform_config_selectorIlLb0EEEZNS1_14transform_implILb0ES3_S5_NS0_18transform_iteratorINS0_17counting_iteratorImlEEZNS1_24adjacent_difference_implIS3_Lb1ELb0EPlSB_ZN2at6native12_GLOBAL__N_124unique_dim_cuda_templateIdEESt5tupleIJNSC_6TensorESH_SH_EERKSH_lbbbEUlllE1_EE10hipError_tPvRmT2_T3_mT4_P12ihipStream_tbEUlmE_lEESB_NS0_8identityIvEEEESM_SP_SQ_mSR_ST_bEUlT_E_NS1_11comp_targetILNS1_3genE8ELNS1_11target_archE1030ELNS1_3gpuE2ELNS1_3repE0EEENS1_30default_config_static_selectorELNS0_4arch9wavefront6targetE0EEEvT1_, .Lfunc_end798-_ZN7rocprim17ROCPRIM_400000_NS6detail17trampoline_kernelINS0_14default_configENS1_25transform_config_selectorIlLb0EEEZNS1_14transform_implILb0ES3_S5_NS0_18transform_iteratorINS0_17counting_iteratorImlEEZNS1_24adjacent_difference_implIS3_Lb1ELb0EPlSB_ZN2at6native12_GLOBAL__N_124unique_dim_cuda_templateIdEESt5tupleIJNSC_6TensorESH_SH_EERKSH_lbbbEUlllE1_EE10hipError_tPvRmT2_T3_mT4_P12ihipStream_tbEUlmE_lEESB_NS0_8identityIvEEEESM_SP_SQ_mSR_ST_bEUlT_E_NS1_11comp_targetILNS1_3genE8ELNS1_11target_archE1030ELNS1_3gpuE2ELNS1_3repE0EEENS1_30default_config_static_selectorELNS0_4arch9wavefront6targetE0EEEvT1_
                                        ; -- End function
	.section	.AMDGPU.csdata,"",@progbits
; Kernel info:
; codeLenInByte = 0
; NumSgprs: 0
; NumVgprs: 0
; ScratchSize: 0
; MemoryBound: 0
; FloatMode: 240
; IeeeMode: 1
; LDSByteSize: 0 bytes/workgroup (compile time only)
; SGPRBlocks: 0
; VGPRBlocks: 0
; NumSGPRsForWavesPerEU: 1
; NumVGPRsForWavesPerEU: 1
; Occupancy: 16
; WaveLimiterHint : 0
; COMPUTE_PGM_RSRC2:SCRATCH_EN: 0
; COMPUTE_PGM_RSRC2:USER_SGPR: 15
; COMPUTE_PGM_RSRC2:TRAP_HANDLER: 0
; COMPUTE_PGM_RSRC2:TGID_X_EN: 1
; COMPUTE_PGM_RSRC2:TGID_Y_EN: 0
; COMPUTE_PGM_RSRC2:TGID_Z_EN: 0
; COMPUTE_PGM_RSRC2:TIDIG_COMP_CNT: 0
	.section	.text._ZN7rocprim17ROCPRIM_400000_NS6detail17trampoline_kernelINS0_14default_configENS1_35adjacent_difference_config_selectorILb1ElEEZNS1_24adjacent_difference_implIS3_Lb1ELb0EPlS7_ZN2at6native12_GLOBAL__N_124unique_dim_cuda_templateIdEESt5tupleIJNS8_6TensorESD_SD_EERKSD_lbbbEUlllE1_EE10hipError_tPvRmT2_T3_mT4_P12ihipStream_tbEUlT_E_NS1_11comp_targetILNS1_3genE0ELNS1_11target_archE4294967295ELNS1_3gpuE0ELNS1_3repE0EEENS1_30default_config_static_selectorELNS0_4arch9wavefront6targetE0EEEvT1_,"axG",@progbits,_ZN7rocprim17ROCPRIM_400000_NS6detail17trampoline_kernelINS0_14default_configENS1_35adjacent_difference_config_selectorILb1ElEEZNS1_24adjacent_difference_implIS3_Lb1ELb0EPlS7_ZN2at6native12_GLOBAL__N_124unique_dim_cuda_templateIdEESt5tupleIJNS8_6TensorESD_SD_EERKSD_lbbbEUlllE1_EE10hipError_tPvRmT2_T3_mT4_P12ihipStream_tbEUlT_E_NS1_11comp_targetILNS1_3genE0ELNS1_11target_archE4294967295ELNS1_3gpuE0ELNS1_3repE0EEENS1_30default_config_static_selectorELNS0_4arch9wavefront6targetE0EEEvT1_,comdat
	.globl	_ZN7rocprim17ROCPRIM_400000_NS6detail17trampoline_kernelINS0_14default_configENS1_35adjacent_difference_config_selectorILb1ElEEZNS1_24adjacent_difference_implIS3_Lb1ELb0EPlS7_ZN2at6native12_GLOBAL__N_124unique_dim_cuda_templateIdEESt5tupleIJNS8_6TensorESD_SD_EERKSD_lbbbEUlllE1_EE10hipError_tPvRmT2_T3_mT4_P12ihipStream_tbEUlT_E_NS1_11comp_targetILNS1_3genE0ELNS1_11target_archE4294967295ELNS1_3gpuE0ELNS1_3repE0EEENS1_30default_config_static_selectorELNS0_4arch9wavefront6targetE0EEEvT1_ ; -- Begin function _ZN7rocprim17ROCPRIM_400000_NS6detail17trampoline_kernelINS0_14default_configENS1_35adjacent_difference_config_selectorILb1ElEEZNS1_24adjacent_difference_implIS3_Lb1ELb0EPlS7_ZN2at6native12_GLOBAL__N_124unique_dim_cuda_templateIdEESt5tupleIJNS8_6TensorESD_SD_EERKSD_lbbbEUlllE1_EE10hipError_tPvRmT2_T3_mT4_P12ihipStream_tbEUlT_E_NS1_11comp_targetILNS1_3genE0ELNS1_11target_archE4294967295ELNS1_3gpuE0ELNS1_3repE0EEENS1_30default_config_static_selectorELNS0_4arch9wavefront6targetE0EEEvT1_
	.p2align	8
	.type	_ZN7rocprim17ROCPRIM_400000_NS6detail17trampoline_kernelINS0_14default_configENS1_35adjacent_difference_config_selectorILb1ElEEZNS1_24adjacent_difference_implIS3_Lb1ELb0EPlS7_ZN2at6native12_GLOBAL__N_124unique_dim_cuda_templateIdEESt5tupleIJNS8_6TensorESD_SD_EERKSD_lbbbEUlllE1_EE10hipError_tPvRmT2_T3_mT4_P12ihipStream_tbEUlT_E_NS1_11comp_targetILNS1_3genE0ELNS1_11target_archE4294967295ELNS1_3gpuE0ELNS1_3repE0EEENS1_30default_config_static_selectorELNS0_4arch9wavefront6targetE0EEEvT1_,@function
_ZN7rocprim17ROCPRIM_400000_NS6detail17trampoline_kernelINS0_14default_configENS1_35adjacent_difference_config_selectorILb1ElEEZNS1_24adjacent_difference_implIS3_Lb1ELb0EPlS7_ZN2at6native12_GLOBAL__N_124unique_dim_cuda_templateIdEESt5tupleIJNS8_6TensorESD_SD_EERKSD_lbbbEUlllE1_EE10hipError_tPvRmT2_T3_mT4_P12ihipStream_tbEUlT_E_NS1_11comp_targetILNS1_3genE0ELNS1_11target_archE4294967295ELNS1_3gpuE0ELNS1_3repE0EEENS1_30default_config_static_selectorELNS0_4arch9wavefront6targetE0EEEvT1_: ; @_ZN7rocprim17ROCPRIM_400000_NS6detail17trampoline_kernelINS0_14default_configENS1_35adjacent_difference_config_selectorILb1ElEEZNS1_24adjacent_difference_implIS3_Lb1ELb0EPlS7_ZN2at6native12_GLOBAL__N_124unique_dim_cuda_templateIdEESt5tupleIJNS8_6TensorESD_SD_EERKSD_lbbbEUlllE1_EE10hipError_tPvRmT2_T3_mT4_P12ihipStream_tbEUlT_E_NS1_11comp_targetILNS1_3genE0ELNS1_11target_archE4294967295ELNS1_3gpuE0ELNS1_3repE0EEENS1_30default_config_static_selectorELNS0_4arch9wavefront6targetE0EEEvT1_
; %bb.0:
	.section	.rodata,"a",@progbits
	.p2align	6, 0x0
	.amdhsa_kernel _ZN7rocprim17ROCPRIM_400000_NS6detail17trampoline_kernelINS0_14default_configENS1_35adjacent_difference_config_selectorILb1ElEEZNS1_24adjacent_difference_implIS3_Lb1ELb0EPlS7_ZN2at6native12_GLOBAL__N_124unique_dim_cuda_templateIdEESt5tupleIJNS8_6TensorESD_SD_EERKSD_lbbbEUlllE1_EE10hipError_tPvRmT2_T3_mT4_P12ihipStream_tbEUlT_E_NS1_11comp_targetILNS1_3genE0ELNS1_11target_archE4294967295ELNS1_3gpuE0ELNS1_3repE0EEENS1_30default_config_static_selectorELNS0_4arch9wavefront6targetE0EEEvT1_
		.amdhsa_group_segment_fixed_size 0
		.amdhsa_private_segment_fixed_size 0
		.amdhsa_kernarg_size 64
		.amdhsa_user_sgpr_count 15
		.amdhsa_user_sgpr_dispatch_ptr 0
		.amdhsa_user_sgpr_queue_ptr 0
		.amdhsa_user_sgpr_kernarg_segment_ptr 1
		.amdhsa_user_sgpr_dispatch_id 0
		.amdhsa_user_sgpr_private_segment_size 0
		.amdhsa_wavefront_size32 1
		.amdhsa_uses_dynamic_stack 0
		.amdhsa_enable_private_segment 0
		.amdhsa_system_sgpr_workgroup_id_x 1
		.amdhsa_system_sgpr_workgroup_id_y 0
		.amdhsa_system_sgpr_workgroup_id_z 0
		.amdhsa_system_sgpr_workgroup_info 0
		.amdhsa_system_vgpr_workitem_id 0
		.amdhsa_next_free_vgpr 1
		.amdhsa_next_free_sgpr 1
		.amdhsa_reserve_vcc 0
		.amdhsa_float_round_mode_32 0
		.amdhsa_float_round_mode_16_64 0
		.amdhsa_float_denorm_mode_32 3
		.amdhsa_float_denorm_mode_16_64 3
		.amdhsa_dx10_clamp 1
		.amdhsa_ieee_mode 1
		.amdhsa_fp16_overflow 0
		.amdhsa_workgroup_processor_mode 1
		.amdhsa_memory_ordered 1
		.amdhsa_forward_progress 0
		.amdhsa_shared_vgpr_count 0
		.amdhsa_exception_fp_ieee_invalid_op 0
		.amdhsa_exception_fp_denorm_src 0
		.amdhsa_exception_fp_ieee_div_zero 0
		.amdhsa_exception_fp_ieee_overflow 0
		.amdhsa_exception_fp_ieee_underflow 0
		.amdhsa_exception_fp_ieee_inexact 0
		.amdhsa_exception_int_div_zero 0
	.end_amdhsa_kernel
	.section	.text._ZN7rocprim17ROCPRIM_400000_NS6detail17trampoline_kernelINS0_14default_configENS1_35adjacent_difference_config_selectorILb1ElEEZNS1_24adjacent_difference_implIS3_Lb1ELb0EPlS7_ZN2at6native12_GLOBAL__N_124unique_dim_cuda_templateIdEESt5tupleIJNS8_6TensorESD_SD_EERKSD_lbbbEUlllE1_EE10hipError_tPvRmT2_T3_mT4_P12ihipStream_tbEUlT_E_NS1_11comp_targetILNS1_3genE0ELNS1_11target_archE4294967295ELNS1_3gpuE0ELNS1_3repE0EEENS1_30default_config_static_selectorELNS0_4arch9wavefront6targetE0EEEvT1_,"axG",@progbits,_ZN7rocprim17ROCPRIM_400000_NS6detail17trampoline_kernelINS0_14default_configENS1_35adjacent_difference_config_selectorILb1ElEEZNS1_24adjacent_difference_implIS3_Lb1ELb0EPlS7_ZN2at6native12_GLOBAL__N_124unique_dim_cuda_templateIdEESt5tupleIJNS8_6TensorESD_SD_EERKSD_lbbbEUlllE1_EE10hipError_tPvRmT2_T3_mT4_P12ihipStream_tbEUlT_E_NS1_11comp_targetILNS1_3genE0ELNS1_11target_archE4294967295ELNS1_3gpuE0ELNS1_3repE0EEENS1_30default_config_static_selectorELNS0_4arch9wavefront6targetE0EEEvT1_,comdat
.Lfunc_end799:
	.size	_ZN7rocprim17ROCPRIM_400000_NS6detail17trampoline_kernelINS0_14default_configENS1_35adjacent_difference_config_selectorILb1ElEEZNS1_24adjacent_difference_implIS3_Lb1ELb0EPlS7_ZN2at6native12_GLOBAL__N_124unique_dim_cuda_templateIdEESt5tupleIJNS8_6TensorESD_SD_EERKSD_lbbbEUlllE1_EE10hipError_tPvRmT2_T3_mT4_P12ihipStream_tbEUlT_E_NS1_11comp_targetILNS1_3genE0ELNS1_11target_archE4294967295ELNS1_3gpuE0ELNS1_3repE0EEENS1_30default_config_static_selectorELNS0_4arch9wavefront6targetE0EEEvT1_, .Lfunc_end799-_ZN7rocprim17ROCPRIM_400000_NS6detail17trampoline_kernelINS0_14default_configENS1_35adjacent_difference_config_selectorILb1ElEEZNS1_24adjacent_difference_implIS3_Lb1ELb0EPlS7_ZN2at6native12_GLOBAL__N_124unique_dim_cuda_templateIdEESt5tupleIJNS8_6TensorESD_SD_EERKSD_lbbbEUlllE1_EE10hipError_tPvRmT2_T3_mT4_P12ihipStream_tbEUlT_E_NS1_11comp_targetILNS1_3genE0ELNS1_11target_archE4294967295ELNS1_3gpuE0ELNS1_3repE0EEENS1_30default_config_static_selectorELNS0_4arch9wavefront6targetE0EEEvT1_
                                        ; -- End function
	.section	.AMDGPU.csdata,"",@progbits
; Kernel info:
; codeLenInByte = 0
; NumSgprs: 0
; NumVgprs: 0
; ScratchSize: 0
; MemoryBound: 0
; FloatMode: 240
; IeeeMode: 1
; LDSByteSize: 0 bytes/workgroup (compile time only)
; SGPRBlocks: 0
; VGPRBlocks: 0
; NumSGPRsForWavesPerEU: 1
; NumVGPRsForWavesPerEU: 1
; Occupancy: 16
; WaveLimiterHint : 0
; COMPUTE_PGM_RSRC2:SCRATCH_EN: 0
; COMPUTE_PGM_RSRC2:USER_SGPR: 15
; COMPUTE_PGM_RSRC2:TRAP_HANDLER: 0
; COMPUTE_PGM_RSRC2:TGID_X_EN: 1
; COMPUTE_PGM_RSRC2:TGID_Y_EN: 0
; COMPUTE_PGM_RSRC2:TGID_Z_EN: 0
; COMPUTE_PGM_RSRC2:TIDIG_COMP_CNT: 0
	.section	.text._ZN7rocprim17ROCPRIM_400000_NS6detail17trampoline_kernelINS0_14default_configENS1_35adjacent_difference_config_selectorILb1ElEEZNS1_24adjacent_difference_implIS3_Lb1ELb0EPlS7_ZN2at6native12_GLOBAL__N_124unique_dim_cuda_templateIdEESt5tupleIJNS8_6TensorESD_SD_EERKSD_lbbbEUlllE1_EE10hipError_tPvRmT2_T3_mT4_P12ihipStream_tbEUlT_E_NS1_11comp_targetILNS1_3genE10ELNS1_11target_archE1201ELNS1_3gpuE5ELNS1_3repE0EEENS1_30default_config_static_selectorELNS0_4arch9wavefront6targetE0EEEvT1_,"axG",@progbits,_ZN7rocprim17ROCPRIM_400000_NS6detail17trampoline_kernelINS0_14default_configENS1_35adjacent_difference_config_selectorILb1ElEEZNS1_24adjacent_difference_implIS3_Lb1ELb0EPlS7_ZN2at6native12_GLOBAL__N_124unique_dim_cuda_templateIdEESt5tupleIJNS8_6TensorESD_SD_EERKSD_lbbbEUlllE1_EE10hipError_tPvRmT2_T3_mT4_P12ihipStream_tbEUlT_E_NS1_11comp_targetILNS1_3genE10ELNS1_11target_archE1201ELNS1_3gpuE5ELNS1_3repE0EEENS1_30default_config_static_selectorELNS0_4arch9wavefront6targetE0EEEvT1_,comdat
	.globl	_ZN7rocprim17ROCPRIM_400000_NS6detail17trampoline_kernelINS0_14default_configENS1_35adjacent_difference_config_selectorILb1ElEEZNS1_24adjacent_difference_implIS3_Lb1ELb0EPlS7_ZN2at6native12_GLOBAL__N_124unique_dim_cuda_templateIdEESt5tupleIJNS8_6TensorESD_SD_EERKSD_lbbbEUlllE1_EE10hipError_tPvRmT2_T3_mT4_P12ihipStream_tbEUlT_E_NS1_11comp_targetILNS1_3genE10ELNS1_11target_archE1201ELNS1_3gpuE5ELNS1_3repE0EEENS1_30default_config_static_selectorELNS0_4arch9wavefront6targetE0EEEvT1_ ; -- Begin function _ZN7rocprim17ROCPRIM_400000_NS6detail17trampoline_kernelINS0_14default_configENS1_35adjacent_difference_config_selectorILb1ElEEZNS1_24adjacent_difference_implIS3_Lb1ELb0EPlS7_ZN2at6native12_GLOBAL__N_124unique_dim_cuda_templateIdEESt5tupleIJNS8_6TensorESD_SD_EERKSD_lbbbEUlllE1_EE10hipError_tPvRmT2_T3_mT4_P12ihipStream_tbEUlT_E_NS1_11comp_targetILNS1_3genE10ELNS1_11target_archE1201ELNS1_3gpuE5ELNS1_3repE0EEENS1_30default_config_static_selectorELNS0_4arch9wavefront6targetE0EEEvT1_
	.p2align	8
	.type	_ZN7rocprim17ROCPRIM_400000_NS6detail17trampoline_kernelINS0_14default_configENS1_35adjacent_difference_config_selectorILb1ElEEZNS1_24adjacent_difference_implIS3_Lb1ELb0EPlS7_ZN2at6native12_GLOBAL__N_124unique_dim_cuda_templateIdEESt5tupleIJNS8_6TensorESD_SD_EERKSD_lbbbEUlllE1_EE10hipError_tPvRmT2_T3_mT4_P12ihipStream_tbEUlT_E_NS1_11comp_targetILNS1_3genE10ELNS1_11target_archE1201ELNS1_3gpuE5ELNS1_3repE0EEENS1_30default_config_static_selectorELNS0_4arch9wavefront6targetE0EEEvT1_,@function
_ZN7rocprim17ROCPRIM_400000_NS6detail17trampoline_kernelINS0_14default_configENS1_35adjacent_difference_config_selectorILb1ElEEZNS1_24adjacent_difference_implIS3_Lb1ELb0EPlS7_ZN2at6native12_GLOBAL__N_124unique_dim_cuda_templateIdEESt5tupleIJNS8_6TensorESD_SD_EERKSD_lbbbEUlllE1_EE10hipError_tPvRmT2_T3_mT4_P12ihipStream_tbEUlT_E_NS1_11comp_targetILNS1_3genE10ELNS1_11target_archE1201ELNS1_3gpuE5ELNS1_3repE0EEENS1_30default_config_static_selectorELNS0_4arch9wavefront6targetE0EEEvT1_: ; @_ZN7rocprim17ROCPRIM_400000_NS6detail17trampoline_kernelINS0_14default_configENS1_35adjacent_difference_config_selectorILb1ElEEZNS1_24adjacent_difference_implIS3_Lb1ELb0EPlS7_ZN2at6native12_GLOBAL__N_124unique_dim_cuda_templateIdEESt5tupleIJNS8_6TensorESD_SD_EERKSD_lbbbEUlllE1_EE10hipError_tPvRmT2_T3_mT4_P12ihipStream_tbEUlT_E_NS1_11comp_targetILNS1_3genE10ELNS1_11target_archE1201ELNS1_3gpuE5ELNS1_3repE0EEENS1_30default_config_static_selectorELNS0_4arch9wavefront6targetE0EEEvT1_
; %bb.0:
	.section	.rodata,"a",@progbits
	.p2align	6, 0x0
	.amdhsa_kernel _ZN7rocprim17ROCPRIM_400000_NS6detail17trampoline_kernelINS0_14default_configENS1_35adjacent_difference_config_selectorILb1ElEEZNS1_24adjacent_difference_implIS3_Lb1ELb0EPlS7_ZN2at6native12_GLOBAL__N_124unique_dim_cuda_templateIdEESt5tupleIJNS8_6TensorESD_SD_EERKSD_lbbbEUlllE1_EE10hipError_tPvRmT2_T3_mT4_P12ihipStream_tbEUlT_E_NS1_11comp_targetILNS1_3genE10ELNS1_11target_archE1201ELNS1_3gpuE5ELNS1_3repE0EEENS1_30default_config_static_selectorELNS0_4arch9wavefront6targetE0EEEvT1_
		.amdhsa_group_segment_fixed_size 0
		.amdhsa_private_segment_fixed_size 0
		.amdhsa_kernarg_size 64
		.amdhsa_user_sgpr_count 15
		.amdhsa_user_sgpr_dispatch_ptr 0
		.amdhsa_user_sgpr_queue_ptr 0
		.amdhsa_user_sgpr_kernarg_segment_ptr 1
		.amdhsa_user_sgpr_dispatch_id 0
		.amdhsa_user_sgpr_private_segment_size 0
		.amdhsa_wavefront_size32 1
		.amdhsa_uses_dynamic_stack 0
		.amdhsa_enable_private_segment 0
		.amdhsa_system_sgpr_workgroup_id_x 1
		.amdhsa_system_sgpr_workgroup_id_y 0
		.amdhsa_system_sgpr_workgroup_id_z 0
		.amdhsa_system_sgpr_workgroup_info 0
		.amdhsa_system_vgpr_workitem_id 0
		.amdhsa_next_free_vgpr 1
		.amdhsa_next_free_sgpr 1
		.amdhsa_reserve_vcc 0
		.amdhsa_float_round_mode_32 0
		.amdhsa_float_round_mode_16_64 0
		.amdhsa_float_denorm_mode_32 3
		.amdhsa_float_denorm_mode_16_64 3
		.amdhsa_dx10_clamp 1
		.amdhsa_ieee_mode 1
		.amdhsa_fp16_overflow 0
		.amdhsa_workgroup_processor_mode 1
		.amdhsa_memory_ordered 1
		.amdhsa_forward_progress 0
		.amdhsa_shared_vgpr_count 0
		.amdhsa_exception_fp_ieee_invalid_op 0
		.amdhsa_exception_fp_denorm_src 0
		.amdhsa_exception_fp_ieee_div_zero 0
		.amdhsa_exception_fp_ieee_overflow 0
		.amdhsa_exception_fp_ieee_underflow 0
		.amdhsa_exception_fp_ieee_inexact 0
		.amdhsa_exception_int_div_zero 0
	.end_amdhsa_kernel
	.section	.text._ZN7rocprim17ROCPRIM_400000_NS6detail17trampoline_kernelINS0_14default_configENS1_35adjacent_difference_config_selectorILb1ElEEZNS1_24adjacent_difference_implIS3_Lb1ELb0EPlS7_ZN2at6native12_GLOBAL__N_124unique_dim_cuda_templateIdEESt5tupleIJNS8_6TensorESD_SD_EERKSD_lbbbEUlllE1_EE10hipError_tPvRmT2_T3_mT4_P12ihipStream_tbEUlT_E_NS1_11comp_targetILNS1_3genE10ELNS1_11target_archE1201ELNS1_3gpuE5ELNS1_3repE0EEENS1_30default_config_static_selectorELNS0_4arch9wavefront6targetE0EEEvT1_,"axG",@progbits,_ZN7rocprim17ROCPRIM_400000_NS6detail17trampoline_kernelINS0_14default_configENS1_35adjacent_difference_config_selectorILb1ElEEZNS1_24adjacent_difference_implIS3_Lb1ELb0EPlS7_ZN2at6native12_GLOBAL__N_124unique_dim_cuda_templateIdEESt5tupleIJNS8_6TensorESD_SD_EERKSD_lbbbEUlllE1_EE10hipError_tPvRmT2_T3_mT4_P12ihipStream_tbEUlT_E_NS1_11comp_targetILNS1_3genE10ELNS1_11target_archE1201ELNS1_3gpuE5ELNS1_3repE0EEENS1_30default_config_static_selectorELNS0_4arch9wavefront6targetE0EEEvT1_,comdat
.Lfunc_end800:
	.size	_ZN7rocprim17ROCPRIM_400000_NS6detail17trampoline_kernelINS0_14default_configENS1_35adjacent_difference_config_selectorILb1ElEEZNS1_24adjacent_difference_implIS3_Lb1ELb0EPlS7_ZN2at6native12_GLOBAL__N_124unique_dim_cuda_templateIdEESt5tupleIJNS8_6TensorESD_SD_EERKSD_lbbbEUlllE1_EE10hipError_tPvRmT2_T3_mT4_P12ihipStream_tbEUlT_E_NS1_11comp_targetILNS1_3genE10ELNS1_11target_archE1201ELNS1_3gpuE5ELNS1_3repE0EEENS1_30default_config_static_selectorELNS0_4arch9wavefront6targetE0EEEvT1_, .Lfunc_end800-_ZN7rocprim17ROCPRIM_400000_NS6detail17trampoline_kernelINS0_14default_configENS1_35adjacent_difference_config_selectorILb1ElEEZNS1_24adjacent_difference_implIS3_Lb1ELb0EPlS7_ZN2at6native12_GLOBAL__N_124unique_dim_cuda_templateIdEESt5tupleIJNS8_6TensorESD_SD_EERKSD_lbbbEUlllE1_EE10hipError_tPvRmT2_T3_mT4_P12ihipStream_tbEUlT_E_NS1_11comp_targetILNS1_3genE10ELNS1_11target_archE1201ELNS1_3gpuE5ELNS1_3repE0EEENS1_30default_config_static_selectorELNS0_4arch9wavefront6targetE0EEEvT1_
                                        ; -- End function
	.section	.AMDGPU.csdata,"",@progbits
; Kernel info:
; codeLenInByte = 0
; NumSgprs: 0
; NumVgprs: 0
; ScratchSize: 0
; MemoryBound: 0
; FloatMode: 240
; IeeeMode: 1
; LDSByteSize: 0 bytes/workgroup (compile time only)
; SGPRBlocks: 0
; VGPRBlocks: 0
; NumSGPRsForWavesPerEU: 1
; NumVGPRsForWavesPerEU: 1
; Occupancy: 16
; WaveLimiterHint : 0
; COMPUTE_PGM_RSRC2:SCRATCH_EN: 0
; COMPUTE_PGM_RSRC2:USER_SGPR: 15
; COMPUTE_PGM_RSRC2:TRAP_HANDLER: 0
; COMPUTE_PGM_RSRC2:TGID_X_EN: 1
; COMPUTE_PGM_RSRC2:TGID_Y_EN: 0
; COMPUTE_PGM_RSRC2:TGID_Z_EN: 0
; COMPUTE_PGM_RSRC2:TIDIG_COMP_CNT: 0
	.section	.text._ZN7rocprim17ROCPRIM_400000_NS6detail17trampoline_kernelINS0_14default_configENS1_35adjacent_difference_config_selectorILb1ElEEZNS1_24adjacent_difference_implIS3_Lb1ELb0EPlS7_ZN2at6native12_GLOBAL__N_124unique_dim_cuda_templateIdEESt5tupleIJNS8_6TensorESD_SD_EERKSD_lbbbEUlllE1_EE10hipError_tPvRmT2_T3_mT4_P12ihipStream_tbEUlT_E_NS1_11comp_targetILNS1_3genE5ELNS1_11target_archE942ELNS1_3gpuE9ELNS1_3repE0EEENS1_30default_config_static_selectorELNS0_4arch9wavefront6targetE0EEEvT1_,"axG",@progbits,_ZN7rocprim17ROCPRIM_400000_NS6detail17trampoline_kernelINS0_14default_configENS1_35adjacent_difference_config_selectorILb1ElEEZNS1_24adjacent_difference_implIS3_Lb1ELb0EPlS7_ZN2at6native12_GLOBAL__N_124unique_dim_cuda_templateIdEESt5tupleIJNS8_6TensorESD_SD_EERKSD_lbbbEUlllE1_EE10hipError_tPvRmT2_T3_mT4_P12ihipStream_tbEUlT_E_NS1_11comp_targetILNS1_3genE5ELNS1_11target_archE942ELNS1_3gpuE9ELNS1_3repE0EEENS1_30default_config_static_selectorELNS0_4arch9wavefront6targetE0EEEvT1_,comdat
	.globl	_ZN7rocprim17ROCPRIM_400000_NS6detail17trampoline_kernelINS0_14default_configENS1_35adjacent_difference_config_selectorILb1ElEEZNS1_24adjacent_difference_implIS3_Lb1ELb0EPlS7_ZN2at6native12_GLOBAL__N_124unique_dim_cuda_templateIdEESt5tupleIJNS8_6TensorESD_SD_EERKSD_lbbbEUlllE1_EE10hipError_tPvRmT2_T3_mT4_P12ihipStream_tbEUlT_E_NS1_11comp_targetILNS1_3genE5ELNS1_11target_archE942ELNS1_3gpuE9ELNS1_3repE0EEENS1_30default_config_static_selectorELNS0_4arch9wavefront6targetE0EEEvT1_ ; -- Begin function _ZN7rocprim17ROCPRIM_400000_NS6detail17trampoline_kernelINS0_14default_configENS1_35adjacent_difference_config_selectorILb1ElEEZNS1_24adjacent_difference_implIS3_Lb1ELb0EPlS7_ZN2at6native12_GLOBAL__N_124unique_dim_cuda_templateIdEESt5tupleIJNS8_6TensorESD_SD_EERKSD_lbbbEUlllE1_EE10hipError_tPvRmT2_T3_mT4_P12ihipStream_tbEUlT_E_NS1_11comp_targetILNS1_3genE5ELNS1_11target_archE942ELNS1_3gpuE9ELNS1_3repE0EEENS1_30default_config_static_selectorELNS0_4arch9wavefront6targetE0EEEvT1_
	.p2align	8
	.type	_ZN7rocprim17ROCPRIM_400000_NS6detail17trampoline_kernelINS0_14default_configENS1_35adjacent_difference_config_selectorILb1ElEEZNS1_24adjacent_difference_implIS3_Lb1ELb0EPlS7_ZN2at6native12_GLOBAL__N_124unique_dim_cuda_templateIdEESt5tupleIJNS8_6TensorESD_SD_EERKSD_lbbbEUlllE1_EE10hipError_tPvRmT2_T3_mT4_P12ihipStream_tbEUlT_E_NS1_11comp_targetILNS1_3genE5ELNS1_11target_archE942ELNS1_3gpuE9ELNS1_3repE0EEENS1_30default_config_static_selectorELNS0_4arch9wavefront6targetE0EEEvT1_,@function
_ZN7rocprim17ROCPRIM_400000_NS6detail17trampoline_kernelINS0_14default_configENS1_35adjacent_difference_config_selectorILb1ElEEZNS1_24adjacent_difference_implIS3_Lb1ELb0EPlS7_ZN2at6native12_GLOBAL__N_124unique_dim_cuda_templateIdEESt5tupleIJNS8_6TensorESD_SD_EERKSD_lbbbEUlllE1_EE10hipError_tPvRmT2_T3_mT4_P12ihipStream_tbEUlT_E_NS1_11comp_targetILNS1_3genE5ELNS1_11target_archE942ELNS1_3gpuE9ELNS1_3repE0EEENS1_30default_config_static_selectorELNS0_4arch9wavefront6targetE0EEEvT1_: ; @_ZN7rocprim17ROCPRIM_400000_NS6detail17trampoline_kernelINS0_14default_configENS1_35adjacent_difference_config_selectorILb1ElEEZNS1_24adjacent_difference_implIS3_Lb1ELb0EPlS7_ZN2at6native12_GLOBAL__N_124unique_dim_cuda_templateIdEESt5tupleIJNS8_6TensorESD_SD_EERKSD_lbbbEUlllE1_EE10hipError_tPvRmT2_T3_mT4_P12ihipStream_tbEUlT_E_NS1_11comp_targetILNS1_3genE5ELNS1_11target_archE942ELNS1_3gpuE9ELNS1_3repE0EEENS1_30default_config_static_selectorELNS0_4arch9wavefront6targetE0EEEvT1_
; %bb.0:
	.section	.rodata,"a",@progbits
	.p2align	6, 0x0
	.amdhsa_kernel _ZN7rocprim17ROCPRIM_400000_NS6detail17trampoline_kernelINS0_14default_configENS1_35adjacent_difference_config_selectorILb1ElEEZNS1_24adjacent_difference_implIS3_Lb1ELb0EPlS7_ZN2at6native12_GLOBAL__N_124unique_dim_cuda_templateIdEESt5tupleIJNS8_6TensorESD_SD_EERKSD_lbbbEUlllE1_EE10hipError_tPvRmT2_T3_mT4_P12ihipStream_tbEUlT_E_NS1_11comp_targetILNS1_3genE5ELNS1_11target_archE942ELNS1_3gpuE9ELNS1_3repE0EEENS1_30default_config_static_selectorELNS0_4arch9wavefront6targetE0EEEvT1_
		.amdhsa_group_segment_fixed_size 0
		.amdhsa_private_segment_fixed_size 0
		.amdhsa_kernarg_size 64
		.amdhsa_user_sgpr_count 15
		.amdhsa_user_sgpr_dispatch_ptr 0
		.amdhsa_user_sgpr_queue_ptr 0
		.amdhsa_user_sgpr_kernarg_segment_ptr 1
		.amdhsa_user_sgpr_dispatch_id 0
		.amdhsa_user_sgpr_private_segment_size 0
		.amdhsa_wavefront_size32 1
		.amdhsa_uses_dynamic_stack 0
		.amdhsa_enable_private_segment 0
		.amdhsa_system_sgpr_workgroup_id_x 1
		.amdhsa_system_sgpr_workgroup_id_y 0
		.amdhsa_system_sgpr_workgroup_id_z 0
		.amdhsa_system_sgpr_workgroup_info 0
		.amdhsa_system_vgpr_workitem_id 0
		.amdhsa_next_free_vgpr 1
		.amdhsa_next_free_sgpr 1
		.amdhsa_reserve_vcc 0
		.amdhsa_float_round_mode_32 0
		.amdhsa_float_round_mode_16_64 0
		.amdhsa_float_denorm_mode_32 3
		.amdhsa_float_denorm_mode_16_64 3
		.amdhsa_dx10_clamp 1
		.amdhsa_ieee_mode 1
		.amdhsa_fp16_overflow 0
		.amdhsa_workgroup_processor_mode 1
		.amdhsa_memory_ordered 1
		.amdhsa_forward_progress 0
		.amdhsa_shared_vgpr_count 0
		.amdhsa_exception_fp_ieee_invalid_op 0
		.amdhsa_exception_fp_denorm_src 0
		.amdhsa_exception_fp_ieee_div_zero 0
		.amdhsa_exception_fp_ieee_overflow 0
		.amdhsa_exception_fp_ieee_underflow 0
		.amdhsa_exception_fp_ieee_inexact 0
		.amdhsa_exception_int_div_zero 0
	.end_amdhsa_kernel
	.section	.text._ZN7rocprim17ROCPRIM_400000_NS6detail17trampoline_kernelINS0_14default_configENS1_35adjacent_difference_config_selectorILb1ElEEZNS1_24adjacent_difference_implIS3_Lb1ELb0EPlS7_ZN2at6native12_GLOBAL__N_124unique_dim_cuda_templateIdEESt5tupleIJNS8_6TensorESD_SD_EERKSD_lbbbEUlllE1_EE10hipError_tPvRmT2_T3_mT4_P12ihipStream_tbEUlT_E_NS1_11comp_targetILNS1_3genE5ELNS1_11target_archE942ELNS1_3gpuE9ELNS1_3repE0EEENS1_30default_config_static_selectorELNS0_4arch9wavefront6targetE0EEEvT1_,"axG",@progbits,_ZN7rocprim17ROCPRIM_400000_NS6detail17trampoline_kernelINS0_14default_configENS1_35adjacent_difference_config_selectorILb1ElEEZNS1_24adjacent_difference_implIS3_Lb1ELb0EPlS7_ZN2at6native12_GLOBAL__N_124unique_dim_cuda_templateIdEESt5tupleIJNS8_6TensorESD_SD_EERKSD_lbbbEUlllE1_EE10hipError_tPvRmT2_T3_mT4_P12ihipStream_tbEUlT_E_NS1_11comp_targetILNS1_3genE5ELNS1_11target_archE942ELNS1_3gpuE9ELNS1_3repE0EEENS1_30default_config_static_selectorELNS0_4arch9wavefront6targetE0EEEvT1_,comdat
.Lfunc_end801:
	.size	_ZN7rocprim17ROCPRIM_400000_NS6detail17trampoline_kernelINS0_14default_configENS1_35adjacent_difference_config_selectorILb1ElEEZNS1_24adjacent_difference_implIS3_Lb1ELb0EPlS7_ZN2at6native12_GLOBAL__N_124unique_dim_cuda_templateIdEESt5tupleIJNS8_6TensorESD_SD_EERKSD_lbbbEUlllE1_EE10hipError_tPvRmT2_T3_mT4_P12ihipStream_tbEUlT_E_NS1_11comp_targetILNS1_3genE5ELNS1_11target_archE942ELNS1_3gpuE9ELNS1_3repE0EEENS1_30default_config_static_selectorELNS0_4arch9wavefront6targetE0EEEvT1_, .Lfunc_end801-_ZN7rocprim17ROCPRIM_400000_NS6detail17trampoline_kernelINS0_14default_configENS1_35adjacent_difference_config_selectorILb1ElEEZNS1_24adjacent_difference_implIS3_Lb1ELb0EPlS7_ZN2at6native12_GLOBAL__N_124unique_dim_cuda_templateIdEESt5tupleIJNS8_6TensorESD_SD_EERKSD_lbbbEUlllE1_EE10hipError_tPvRmT2_T3_mT4_P12ihipStream_tbEUlT_E_NS1_11comp_targetILNS1_3genE5ELNS1_11target_archE942ELNS1_3gpuE9ELNS1_3repE0EEENS1_30default_config_static_selectorELNS0_4arch9wavefront6targetE0EEEvT1_
                                        ; -- End function
	.section	.AMDGPU.csdata,"",@progbits
; Kernel info:
; codeLenInByte = 0
; NumSgprs: 0
; NumVgprs: 0
; ScratchSize: 0
; MemoryBound: 0
; FloatMode: 240
; IeeeMode: 1
; LDSByteSize: 0 bytes/workgroup (compile time only)
; SGPRBlocks: 0
; VGPRBlocks: 0
; NumSGPRsForWavesPerEU: 1
; NumVGPRsForWavesPerEU: 1
; Occupancy: 16
; WaveLimiterHint : 0
; COMPUTE_PGM_RSRC2:SCRATCH_EN: 0
; COMPUTE_PGM_RSRC2:USER_SGPR: 15
; COMPUTE_PGM_RSRC2:TRAP_HANDLER: 0
; COMPUTE_PGM_RSRC2:TGID_X_EN: 1
; COMPUTE_PGM_RSRC2:TGID_Y_EN: 0
; COMPUTE_PGM_RSRC2:TGID_Z_EN: 0
; COMPUTE_PGM_RSRC2:TIDIG_COMP_CNT: 0
	.section	.text._ZN7rocprim17ROCPRIM_400000_NS6detail17trampoline_kernelINS0_14default_configENS1_35adjacent_difference_config_selectorILb1ElEEZNS1_24adjacent_difference_implIS3_Lb1ELb0EPlS7_ZN2at6native12_GLOBAL__N_124unique_dim_cuda_templateIdEESt5tupleIJNS8_6TensorESD_SD_EERKSD_lbbbEUlllE1_EE10hipError_tPvRmT2_T3_mT4_P12ihipStream_tbEUlT_E_NS1_11comp_targetILNS1_3genE4ELNS1_11target_archE910ELNS1_3gpuE8ELNS1_3repE0EEENS1_30default_config_static_selectorELNS0_4arch9wavefront6targetE0EEEvT1_,"axG",@progbits,_ZN7rocprim17ROCPRIM_400000_NS6detail17trampoline_kernelINS0_14default_configENS1_35adjacent_difference_config_selectorILb1ElEEZNS1_24adjacent_difference_implIS3_Lb1ELb0EPlS7_ZN2at6native12_GLOBAL__N_124unique_dim_cuda_templateIdEESt5tupleIJNS8_6TensorESD_SD_EERKSD_lbbbEUlllE1_EE10hipError_tPvRmT2_T3_mT4_P12ihipStream_tbEUlT_E_NS1_11comp_targetILNS1_3genE4ELNS1_11target_archE910ELNS1_3gpuE8ELNS1_3repE0EEENS1_30default_config_static_selectorELNS0_4arch9wavefront6targetE0EEEvT1_,comdat
	.globl	_ZN7rocprim17ROCPRIM_400000_NS6detail17trampoline_kernelINS0_14default_configENS1_35adjacent_difference_config_selectorILb1ElEEZNS1_24adjacent_difference_implIS3_Lb1ELb0EPlS7_ZN2at6native12_GLOBAL__N_124unique_dim_cuda_templateIdEESt5tupleIJNS8_6TensorESD_SD_EERKSD_lbbbEUlllE1_EE10hipError_tPvRmT2_T3_mT4_P12ihipStream_tbEUlT_E_NS1_11comp_targetILNS1_3genE4ELNS1_11target_archE910ELNS1_3gpuE8ELNS1_3repE0EEENS1_30default_config_static_selectorELNS0_4arch9wavefront6targetE0EEEvT1_ ; -- Begin function _ZN7rocprim17ROCPRIM_400000_NS6detail17trampoline_kernelINS0_14default_configENS1_35adjacent_difference_config_selectorILb1ElEEZNS1_24adjacent_difference_implIS3_Lb1ELb0EPlS7_ZN2at6native12_GLOBAL__N_124unique_dim_cuda_templateIdEESt5tupleIJNS8_6TensorESD_SD_EERKSD_lbbbEUlllE1_EE10hipError_tPvRmT2_T3_mT4_P12ihipStream_tbEUlT_E_NS1_11comp_targetILNS1_3genE4ELNS1_11target_archE910ELNS1_3gpuE8ELNS1_3repE0EEENS1_30default_config_static_selectorELNS0_4arch9wavefront6targetE0EEEvT1_
	.p2align	8
	.type	_ZN7rocprim17ROCPRIM_400000_NS6detail17trampoline_kernelINS0_14default_configENS1_35adjacent_difference_config_selectorILb1ElEEZNS1_24adjacent_difference_implIS3_Lb1ELb0EPlS7_ZN2at6native12_GLOBAL__N_124unique_dim_cuda_templateIdEESt5tupleIJNS8_6TensorESD_SD_EERKSD_lbbbEUlllE1_EE10hipError_tPvRmT2_T3_mT4_P12ihipStream_tbEUlT_E_NS1_11comp_targetILNS1_3genE4ELNS1_11target_archE910ELNS1_3gpuE8ELNS1_3repE0EEENS1_30default_config_static_selectorELNS0_4arch9wavefront6targetE0EEEvT1_,@function
_ZN7rocprim17ROCPRIM_400000_NS6detail17trampoline_kernelINS0_14default_configENS1_35adjacent_difference_config_selectorILb1ElEEZNS1_24adjacent_difference_implIS3_Lb1ELb0EPlS7_ZN2at6native12_GLOBAL__N_124unique_dim_cuda_templateIdEESt5tupleIJNS8_6TensorESD_SD_EERKSD_lbbbEUlllE1_EE10hipError_tPvRmT2_T3_mT4_P12ihipStream_tbEUlT_E_NS1_11comp_targetILNS1_3genE4ELNS1_11target_archE910ELNS1_3gpuE8ELNS1_3repE0EEENS1_30default_config_static_selectorELNS0_4arch9wavefront6targetE0EEEvT1_: ; @_ZN7rocprim17ROCPRIM_400000_NS6detail17trampoline_kernelINS0_14default_configENS1_35adjacent_difference_config_selectorILb1ElEEZNS1_24adjacent_difference_implIS3_Lb1ELb0EPlS7_ZN2at6native12_GLOBAL__N_124unique_dim_cuda_templateIdEESt5tupleIJNS8_6TensorESD_SD_EERKSD_lbbbEUlllE1_EE10hipError_tPvRmT2_T3_mT4_P12ihipStream_tbEUlT_E_NS1_11comp_targetILNS1_3genE4ELNS1_11target_archE910ELNS1_3gpuE8ELNS1_3repE0EEENS1_30default_config_static_selectorELNS0_4arch9wavefront6targetE0EEEvT1_
; %bb.0:
	.section	.rodata,"a",@progbits
	.p2align	6, 0x0
	.amdhsa_kernel _ZN7rocprim17ROCPRIM_400000_NS6detail17trampoline_kernelINS0_14default_configENS1_35adjacent_difference_config_selectorILb1ElEEZNS1_24adjacent_difference_implIS3_Lb1ELb0EPlS7_ZN2at6native12_GLOBAL__N_124unique_dim_cuda_templateIdEESt5tupleIJNS8_6TensorESD_SD_EERKSD_lbbbEUlllE1_EE10hipError_tPvRmT2_T3_mT4_P12ihipStream_tbEUlT_E_NS1_11comp_targetILNS1_3genE4ELNS1_11target_archE910ELNS1_3gpuE8ELNS1_3repE0EEENS1_30default_config_static_selectorELNS0_4arch9wavefront6targetE0EEEvT1_
		.amdhsa_group_segment_fixed_size 0
		.amdhsa_private_segment_fixed_size 0
		.amdhsa_kernarg_size 64
		.amdhsa_user_sgpr_count 15
		.amdhsa_user_sgpr_dispatch_ptr 0
		.amdhsa_user_sgpr_queue_ptr 0
		.amdhsa_user_sgpr_kernarg_segment_ptr 1
		.amdhsa_user_sgpr_dispatch_id 0
		.amdhsa_user_sgpr_private_segment_size 0
		.amdhsa_wavefront_size32 1
		.amdhsa_uses_dynamic_stack 0
		.amdhsa_enable_private_segment 0
		.amdhsa_system_sgpr_workgroup_id_x 1
		.amdhsa_system_sgpr_workgroup_id_y 0
		.amdhsa_system_sgpr_workgroup_id_z 0
		.amdhsa_system_sgpr_workgroup_info 0
		.amdhsa_system_vgpr_workitem_id 0
		.amdhsa_next_free_vgpr 1
		.amdhsa_next_free_sgpr 1
		.amdhsa_reserve_vcc 0
		.amdhsa_float_round_mode_32 0
		.amdhsa_float_round_mode_16_64 0
		.amdhsa_float_denorm_mode_32 3
		.amdhsa_float_denorm_mode_16_64 3
		.amdhsa_dx10_clamp 1
		.amdhsa_ieee_mode 1
		.amdhsa_fp16_overflow 0
		.amdhsa_workgroup_processor_mode 1
		.amdhsa_memory_ordered 1
		.amdhsa_forward_progress 0
		.amdhsa_shared_vgpr_count 0
		.amdhsa_exception_fp_ieee_invalid_op 0
		.amdhsa_exception_fp_denorm_src 0
		.amdhsa_exception_fp_ieee_div_zero 0
		.amdhsa_exception_fp_ieee_overflow 0
		.amdhsa_exception_fp_ieee_underflow 0
		.amdhsa_exception_fp_ieee_inexact 0
		.amdhsa_exception_int_div_zero 0
	.end_amdhsa_kernel
	.section	.text._ZN7rocprim17ROCPRIM_400000_NS6detail17trampoline_kernelINS0_14default_configENS1_35adjacent_difference_config_selectorILb1ElEEZNS1_24adjacent_difference_implIS3_Lb1ELb0EPlS7_ZN2at6native12_GLOBAL__N_124unique_dim_cuda_templateIdEESt5tupleIJNS8_6TensorESD_SD_EERKSD_lbbbEUlllE1_EE10hipError_tPvRmT2_T3_mT4_P12ihipStream_tbEUlT_E_NS1_11comp_targetILNS1_3genE4ELNS1_11target_archE910ELNS1_3gpuE8ELNS1_3repE0EEENS1_30default_config_static_selectorELNS0_4arch9wavefront6targetE0EEEvT1_,"axG",@progbits,_ZN7rocprim17ROCPRIM_400000_NS6detail17trampoline_kernelINS0_14default_configENS1_35adjacent_difference_config_selectorILb1ElEEZNS1_24adjacent_difference_implIS3_Lb1ELb0EPlS7_ZN2at6native12_GLOBAL__N_124unique_dim_cuda_templateIdEESt5tupleIJNS8_6TensorESD_SD_EERKSD_lbbbEUlllE1_EE10hipError_tPvRmT2_T3_mT4_P12ihipStream_tbEUlT_E_NS1_11comp_targetILNS1_3genE4ELNS1_11target_archE910ELNS1_3gpuE8ELNS1_3repE0EEENS1_30default_config_static_selectorELNS0_4arch9wavefront6targetE0EEEvT1_,comdat
.Lfunc_end802:
	.size	_ZN7rocprim17ROCPRIM_400000_NS6detail17trampoline_kernelINS0_14default_configENS1_35adjacent_difference_config_selectorILb1ElEEZNS1_24adjacent_difference_implIS3_Lb1ELb0EPlS7_ZN2at6native12_GLOBAL__N_124unique_dim_cuda_templateIdEESt5tupleIJNS8_6TensorESD_SD_EERKSD_lbbbEUlllE1_EE10hipError_tPvRmT2_T3_mT4_P12ihipStream_tbEUlT_E_NS1_11comp_targetILNS1_3genE4ELNS1_11target_archE910ELNS1_3gpuE8ELNS1_3repE0EEENS1_30default_config_static_selectorELNS0_4arch9wavefront6targetE0EEEvT1_, .Lfunc_end802-_ZN7rocprim17ROCPRIM_400000_NS6detail17trampoline_kernelINS0_14default_configENS1_35adjacent_difference_config_selectorILb1ElEEZNS1_24adjacent_difference_implIS3_Lb1ELb0EPlS7_ZN2at6native12_GLOBAL__N_124unique_dim_cuda_templateIdEESt5tupleIJNS8_6TensorESD_SD_EERKSD_lbbbEUlllE1_EE10hipError_tPvRmT2_T3_mT4_P12ihipStream_tbEUlT_E_NS1_11comp_targetILNS1_3genE4ELNS1_11target_archE910ELNS1_3gpuE8ELNS1_3repE0EEENS1_30default_config_static_selectorELNS0_4arch9wavefront6targetE0EEEvT1_
                                        ; -- End function
	.section	.AMDGPU.csdata,"",@progbits
; Kernel info:
; codeLenInByte = 0
; NumSgprs: 0
; NumVgprs: 0
; ScratchSize: 0
; MemoryBound: 0
; FloatMode: 240
; IeeeMode: 1
; LDSByteSize: 0 bytes/workgroup (compile time only)
; SGPRBlocks: 0
; VGPRBlocks: 0
; NumSGPRsForWavesPerEU: 1
; NumVGPRsForWavesPerEU: 1
; Occupancy: 16
; WaveLimiterHint : 0
; COMPUTE_PGM_RSRC2:SCRATCH_EN: 0
; COMPUTE_PGM_RSRC2:USER_SGPR: 15
; COMPUTE_PGM_RSRC2:TRAP_HANDLER: 0
; COMPUTE_PGM_RSRC2:TGID_X_EN: 1
; COMPUTE_PGM_RSRC2:TGID_Y_EN: 0
; COMPUTE_PGM_RSRC2:TGID_Z_EN: 0
; COMPUTE_PGM_RSRC2:TIDIG_COMP_CNT: 0
	.section	.text._ZN7rocprim17ROCPRIM_400000_NS6detail17trampoline_kernelINS0_14default_configENS1_35adjacent_difference_config_selectorILb1ElEEZNS1_24adjacent_difference_implIS3_Lb1ELb0EPlS7_ZN2at6native12_GLOBAL__N_124unique_dim_cuda_templateIdEESt5tupleIJNS8_6TensorESD_SD_EERKSD_lbbbEUlllE1_EE10hipError_tPvRmT2_T3_mT4_P12ihipStream_tbEUlT_E_NS1_11comp_targetILNS1_3genE3ELNS1_11target_archE908ELNS1_3gpuE7ELNS1_3repE0EEENS1_30default_config_static_selectorELNS0_4arch9wavefront6targetE0EEEvT1_,"axG",@progbits,_ZN7rocprim17ROCPRIM_400000_NS6detail17trampoline_kernelINS0_14default_configENS1_35adjacent_difference_config_selectorILb1ElEEZNS1_24adjacent_difference_implIS3_Lb1ELb0EPlS7_ZN2at6native12_GLOBAL__N_124unique_dim_cuda_templateIdEESt5tupleIJNS8_6TensorESD_SD_EERKSD_lbbbEUlllE1_EE10hipError_tPvRmT2_T3_mT4_P12ihipStream_tbEUlT_E_NS1_11comp_targetILNS1_3genE3ELNS1_11target_archE908ELNS1_3gpuE7ELNS1_3repE0EEENS1_30default_config_static_selectorELNS0_4arch9wavefront6targetE0EEEvT1_,comdat
	.globl	_ZN7rocprim17ROCPRIM_400000_NS6detail17trampoline_kernelINS0_14default_configENS1_35adjacent_difference_config_selectorILb1ElEEZNS1_24adjacent_difference_implIS3_Lb1ELb0EPlS7_ZN2at6native12_GLOBAL__N_124unique_dim_cuda_templateIdEESt5tupleIJNS8_6TensorESD_SD_EERKSD_lbbbEUlllE1_EE10hipError_tPvRmT2_T3_mT4_P12ihipStream_tbEUlT_E_NS1_11comp_targetILNS1_3genE3ELNS1_11target_archE908ELNS1_3gpuE7ELNS1_3repE0EEENS1_30default_config_static_selectorELNS0_4arch9wavefront6targetE0EEEvT1_ ; -- Begin function _ZN7rocprim17ROCPRIM_400000_NS6detail17trampoline_kernelINS0_14default_configENS1_35adjacent_difference_config_selectorILb1ElEEZNS1_24adjacent_difference_implIS3_Lb1ELb0EPlS7_ZN2at6native12_GLOBAL__N_124unique_dim_cuda_templateIdEESt5tupleIJNS8_6TensorESD_SD_EERKSD_lbbbEUlllE1_EE10hipError_tPvRmT2_T3_mT4_P12ihipStream_tbEUlT_E_NS1_11comp_targetILNS1_3genE3ELNS1_11target_archE908ELNS1_3gpuE7ELNS1_3repE0EEENS1_30default_config_static_selectorELNS0_4arch9wavefront6targetE0EEEvT1_
	.p2align	8
	.type	_ZN7rocprim17ROCPRIM_400000_NS6detail17trampoline_kernelINS0_14default_configENS1_35adjacent_difference_config_selectorILb1ElEEZNS1_24adjacent_difference_implIS3_Lb1ELb0EPlS7_ZN2at6native12_GLOBAL__N_124unique_dim_cuda_templateIdEESt5tupleIJNS8_6TensorESD_SD_EERKSD_lbbbEUlllE1_EE10hipError_tPvRmT2_T3_mT4_P12ihipStream_tbEUlT_E_NS1_11comp_targetILNS1_3genE3ELNS1_11target_archE908ELNS1_3gpuE7ELNS1_3repE0EEENS1_30default_config_static_selectorELNS0_4arch9wavefront6targetE0EEEvT1_,@function
_ZN7rocprim17ROCPRIM_400000_NS6detail17trampoline_kernelINS0_14default_configENS1_35adjacent_difference_config_selectorILb1ElEEZNS1_24adjacent_difference_implIS3_Lb1ELb0EPlS7_ZN2at6native12_GLOBAL__N_124unique_dim_cuda_templateIdEESt5tupleIJNS8_6TensorESD_SD_EERKSD_lbbbEUlllE1_EE10hipError_tPvRmT2_T3_mT4_P12ihipStream_tbEUlT_E_NS1_11comp_targetILNS1_3genE3ELNS1_11target_archE908ELNS1_3gpuE7ELNS1_3repE0EEENS1_30default_config_static_selectorELNS0_4arch9wavefront6targetE0EEEvT1_: ; @_ZN7rocprim17ROCPRIM_400000_NS6detail17trampoline_kernelINS0_14default_configENS1_35adjacent_difference_config_selectorILb1ElEEZNS1_24adjacent_difference_implIS3_Lb1ELb0EPlS7_ZN2at6native12_GLOBAL__N_124unique_dim_cuda_templateIdEESt5tupleIJNS8_6TensorESD_SD_EERKSD_lbbbEUlllE1_EE10hipError_tPvRmT2_T3_mT4_P12ihipStream_tbEUlT_E_NS1_11comp_targetILNS1_3genE3ELNS1_11target_archE908ELNS1_3gpuE7ELNS1_3repE0EEENS1_30default_config_static_selectorELNS0_4arch9wavefront6targetE0EEEvT1_
; %bb.0:
	.section	.rodata,"a",@progbits
	.p2align	6, 0x0
	.amdhsa_kernel _ZN7rocprim17ROCPRIM_400000_NS6detail17trampoline_kernelINS0_14default_configENS1_35adjacent_difference_config_selectorILb1ElEEZNS1_24adjacent_difference_implIS3_Lb1ELb0EPlS7_ZN2at6native12_GLOBAL__N_124unique_dim_cuda_templateIdEESt5tupleIJNS8_6TensorESD_SD_EERKSD_lbbbEUlllE1_EE10hipError_tPvRmT2_T3_mT4_P12ihipStream_tbEUlT_E_NS1_11comp_targetILNS1_3genE3ELNS1_11target_archE908ELNS1_3gpuE7ELNS1_3repE0EEENS1_30default_config_static_selectorELNS0_4arch9wavefront6targetE0EEEvT1_
		.amdhsa_group_segment_fixed_size 0
		.amdhsa_private_segment_fixed_size 0
		.amdhsa_kernarg_size 64
		.amdhsa_user_sgpr_count 15
		.amdhsa_user_sgpr_dispatch_ptr 0
		.amdhsa_user_sgpr_queue_ptr 0
		.amdhsa_user_sgpr_kernarg_segment_ptr 1
		.amdhsa_user_sgpr_dispatch_id 0
		.amdhsa_user_sgpr_private_segment_size 0
		.amdhsa_wavefront_size32 1
		.amdhsa_uses_dynamic_stack 0
		.amdhsa_enable_private_segment 0
		.amdhsa_system_sgpr_workgroup_id_x 1
		.amdhsa_system_sgpr_workgroup_id_y 0
		.amdhsa_system_sgpr_workgroup_id_z 0
		.amdhsa_system_sgpr_workgroup_info 0
		.amdhsa_system_vgpr_workitem_id 0
		.amdhsa_next_free_vgpr 1
		.amdhsa_next_free_sgpr 1
		.amdhsa_reserve_vcc 0
		.amdhsa_float_round_mode_32 0
		.amdhsa_float_round_mode_16_64 0
		.amdhsa_float_denorm_mode_32 3
		.amdhsa_float_denorm_mode_16_64 3
		.amdhsa_dx10_clamp 1
		.amdhsa_ieee_mode 1
		.amdhsa_fp16_overflow 0
		.amdhsa_workgroup_processor_mode 1
		.amdhsa_memory_ordered 1
		.amdhsa_forward_progress 0
		.amdhsa_shared_vgpr_count 0
		.amdhsa_exception_fp_ieee_invalid_op 0
		.amdhsa_exception_fp_denorm_src 0
		.amdhsa_exception_fp_ieee_div_zero 0
		.amdhsa_exception_fp_ieee_overflow 0
		.amdhsa_exception_fp_ieee_underflow 0
		.amdhsa_exception_fp_ieee_inexact 0
		.amdhsa_exception_int_div_zero 0
	.end_amdhsa_kernel
	.section	.text._ZN7rocprim17ROCPRIM_400000_NS6detail17trampoline_kernelINS0_14default_configENS1_35adjacent_difference_config_selectorILb1ElEEZNS1_24adjacent_difference_implIS3_Lb1ELb0EPlS7_ZN2at6native12_GLOBAL__N_124unique_dim_cuda_templateIdEESt5tupleIJNS8_6TensorESD_SD_EERKSD_lbbbEUlllE1_EE10hipError_tPvRmT2_T3_mT4_P12ihipStream_tbEUlT_E_NS1_11comp_targetILNS1_3genE3ELNS1_11target_archE908ELNS1_3gpuE7ELNS1_3repE0EEENS1_30default_config_static_selectorELNS0_4arch9wavefront6targetE0EEEvT1_,"axG",@progbits,_ZN7rocprim17ROCPRIM_400000_NS6detail17trampoline_kernelINS0_14default_configENS1_35adjacent_difference_config_selectorILb1ElEEZNS1_24adjacent_difference_implIS3_Lb1ELb0EPlS7_ZN2at6native12_GLOBAL__N_124unique_dim_cuda_templateIdEESt5tupleIJNS8_6TensorESD_SD_EERKSD_lbbbEUlllE1_EE10hipError_tPvRmT2_T3_mT4_P12ihipStream_tbEUlT_E_NS1_11comp_targetILNS1_3genE3ELNS1_11target_archE908ELNS1_3gpuE7ELNS1_3repE0EEENS1_30default_config_static_selectorELNS0_4arch9wavefront6targetE0EEEvT1_,comdat
.Lfunc_end803:
	.size	_ZN7rocprim17ROCPRIM_400000_NS6detail17trampoline_kernelINS0_14default_configENS1_35adjacent_difference_config_selectorILb1ElEEZNS1_24adjacent_difference_implIS3_Lb1ELb0EPlS7_ZN2at6native12_GLOBAL__N_124unique_dim_cuda_templateIdEESt5tupleIJNS8_6TensorESD_SD_EERKSD_lbbbEUlllE1_EE10hipError_tPvRmT2_T3_mT4_P12ihipStream_tbEUlT_E_NS1_11comp_targetILNS1_3genE3ELNS1_11target_archE908ELNS1_3gpuE7ELNS1_3repE0EEENS1_30default_config_static_selectorELNS0_4arch9wavefront6targetE0EEEvT1_, .Lfunc_end803-_ZN7rocprim17ROCPRIM_400000_NS6detail17trampoline_kernelINS0_14default_configENS1_35adjacent_difference_config_selectorILb1ElEEZNS1_24adjacent_difference_implIS3_Lb1ELb0EPlS7_ZN2at6native12_GLOBAL__N_124unique_dim_cuda_templateIdEESt5tupleIJNS8_6TensorESD_SD_EERKSD_lbbbEUlllE1_EE10hipError_tPvRmT2_T3_mT4_P12ihipStream_tbEUlT_E_NS1_11comp_targetILNS1_3genE3ELNS1_11target_archE908ELNS1_3gpuE7ELNS1_3repE0EEENS1_30default_config_static_selectorELNS0_4arch9wavefront6targetE0EEEvT1_
                                        ; -- End function
	.section	.AMDGPU.csdata,"",@progbits
; Kernel info:
; codeLenInByte = 0
; NumSgprs: 0
; NumVgprs: 0
; ScratchSize: 0
; MemoryBound: 0
; FloatMode: 240
; IeeeMode: 1
; LDSByteSize: 0 bytes/workgroup (compile time only)
; SGPRBlocks: 0
; VGPRBlocks: 0
; NumSGPRsForWavesPerEU: 1
; NumVGPRsForWavesPerEU: 1
; Occupancy: 16
; WaveLimiterHint : 0
; COMPUTE_PGM_RSRC2:SCRATCH_EN: 0
; COMPUTE_PGM_RSRC2:USER_SGPR: 15
; COMPUTE_PGM_RSRC2:TRAP_HANDLER: 0
; COMPUTE_PGM_RSRC2:TGID_X_EN: 1
; COMPUTE_PGM_RSRC2:TGID_Y_EN: 0
; COMPUTE_PGM_RSRC2:TGID_Z_EN: 0
; COMPUTE_PGM_RSRC2:TIDIG_COMP_CNT: 0
	.section	.text._ZN7rocprim17ROCPRIM_400000_NS6detail17trampoline_kernelINS0_14default_configENS1_35adjacent_difference_config_selectorILb1ElEEZNS1_24adjacent_difference_implIS3_Lb1ELb0EPlS7_ZN2at6native12_GLOBAL__N_124unique_dim_cuda_templateIdEESt5tupleIJNS8_6TensorESD_SD_EERKSD_lbbbEUlllE1_EE10hipError_tPvRmT2_T3_mT4_P12ihipStream_tbEUlT_E_NS1_11comp_targetILNS1_3genE2ELNS1_11target_archE906ELNS1_3gpuE6ELNS1_3repE0EEENS1_30default_config_static_selectorELNS0_4arch9wavefront6targetE0EEEvT1_,"axG",@progbits,_ZN7rocprim17ROCPRIM_400000_NS6detail17trampoline_kernelINS0_14default_configENS1_35adjacent_difference_config_selectorILb1ElEEZNS1_24adjacent_difference_implIS3_Lb1ELb0EPlS7_ZN2at6native12_GLOBAL__N_124unique_dim_cuda_templateIdEESt5tupleIJNS8_6TensorESD_SD_EERKSD_lbbbEUlllE1_EE10hipError_tPvRmT2_T3_mT4_P12ihipStream_tbEUlT_E_NS1_11comp_targetILNS1_3genE2ELNS1_11target_archE906ELNS1_3gpuE6ELNS1_3repE0EEENS1_30default_config_static_selectorELNS0_4arch9wavefront6targetE0EEEvT1_,comdat
	.globl	_ZN7rocprim17ROCPRIM_400000_NS6detail17trampoline_kernelINS0_14default_configENS1_35adjacent_difference_config_selectorILb1ElEEZNS1_24adjacent_difference_implIS3_Lb1ELb0EPlS7_ZN2at6native12_GLOBAL__N_124unique_dim_cuda_templateIdEESt5tupleIJNS8_6TensorESD_SD_EERKSD_lbbbEUlllE1_EE10hipError_tPvRmT2_T3_mT4_P12ihipStream_tbEUlT_E_NS1_11comp_targetILNS1_3genE2ELNS1_11target_archE906ELNS1_3gpuE6ELNS1_3repE0EEENS1_30default_config_static_selectorELNS0_4arch9wavefront6targetE0EEEvT1_ ; -- Begin function _ZN7rocprim17ROCPRIM_400000_NS6detail17trampoline_kernelINS0_14default_configENS1_35adjacent_difference_config_selectorILb1ElEEZNS1_24adjacent_difference_implIS3_Lb1ELb0EPlS7_ZN2at6native12_GLOBAL__N_124unique_dim_cuda_templateIdEESt5tupleIJNS8_6TensorESD_SD_EERKSD_lbbbEUlllE1_EE10hipError_tPvRmT2_T3_mT4_P12ihipStream_tbEUlT_E_NS1_11comp_targetILNS1_3genE2ELNS1_11target_archE906ELNS1_3gpuE6ELNS1_3repE0EEENS1_30default_config_static_selectorELNS0_4arch9wavefront6targetE0EEEvT1_
	.p2align	8
	.type	_ZN7rocprim17ROCPRIM_400000_NS6detail17trampoline_kernelINS0_14default_configENS1_35adjacent_difference_config_selectorILb1ElEEZNS1_24adjacent_difference_implIS3_Lb1ELb0EPlS7_ZN2at6native12_GLOBAL__N_124unique_dim_cuda_templateIdEESt5tupleIJNS8_6TensorESD_SD_EERKSD_lbbbEUlllE1_EE10hipError_tPvRmT2_T3_mT4_P12ihipStream_tbEUlT_E_NS1_11comp_targetILNS1_3genE2ELNS1_11target_archE906ELNS1_3gpuE6ELNS1_3repE0EEENS1_30default_config_static_selectorELNS0_4arch9wavefront6targetE0EEEvT1_,@function
_ZN7rocprim17ROCPRIM_400000_NS6detail17trampoline_kernelINS0_14default_configENS1_35adjacent_difference_config_selectorILb1ElEEZNS1_24adjacent_difference_implIS3_Lb1ELb0EPlS7_ZN2at6native12_GLOBAL__N_124unique_dim_cuda_templateIdEESt5tupleIJNS8_6TensorESD_SD_EERKSD_lbbbEUlllE1_EE10hipError_tPvRmT2_T3_mT4_P12ihipStream_tbEUlT_E_NS1_11comp_targetILNS1_3genE2ELNS1_11target_archE906ELNS1_3gpuE6ELNS1_3repE0EEENS1_30default_config_static_selectorELNS0_4arch9wavefront6targetE0EEEvT1_: ; @_ZN7rocprim17ROCPRIM_400000_NS6detail17trampoline_kernelINS0_14default_configENS1_35adjacent_difference_config_selectorILb1ElEEZNS1_24adjacent_difference_implIS3_Lb1ELb0EPlS7_ZN2at6native12_GLOBAL__N_124unique_dim_cuda_templateIdEESt5tupleIJNS8_6TensorESD_SD_EERKSD_lbbbEUlllE1_EE10hipError_tPvRmT2_T3_mT4_P12ihipStream_tbEUlT_E_NS1_11comp_targetILNS1_3genE2ELNS1_11target_archE906ELNS1_3gpuE6ELNS1_3repE0EEENS1_30default_config_static_selectorELNS0_4arch9wavefront6targetE0EEEvT1_
; %bb.0:
	.section	.rodata,"a",@progbits
	.p2align	6, 0x0
	.amdhsa_kernel _ZN7rocprim17ROCPRIM_400000_NS6detail17trampoline_kernelINS0_14default_configENS1_35adjacent_difference_config_selectorILb1ElEEZNS1_24adjacent_difference_implIS3_Lb1ELb0EPlS7_ZN2at6native12_GLOBAL__N_124unique_dim_cuda_templateIdEESt5tupleIJNS8_6TensorESD_SD_EERKSD_lbbbEUlllE1_EE10hipError_tPvRmT2_T3_mT4_P12ihipStream_tbEUlT_E_NS1_11comp_targetILNS1_3genE2ELNS1_11target_archE906ELNS1_3gpuE6ELNS1_3repE0EEENS1_30default_config_static_selectorELNS0_4arch9wavefront6targetE0EEEvT1_
		.amdhsa_group_segment_fixed_size 0
		.amdhsa_private_segment_fixed_size 0
		.amdhsa_kernarg_size 64
		.amdhsa_user_sgpr_count 15
		.amdhsa_user_sgpr_dispatch_ptr 0
		.amdhsa_user_sgpr_queue_ptr 0
		.amdhsa_user_sgpr_kernarg_segment_ptr 1
		.amdhsa_user_sgpr_dispatch_id 0
		.amdhsa_user_sgpr_private_segment_size 0
		.amdhsa_wavefront_size32 1
		.amdhsa_uses_dynamic_stack 0
		.amdhsa_enable_private_segment 0
		.amdhsa_system_sgpr_workgroup_id_x 1
		.amdhsa_system_sgpr_workgroup_id_y 0
		.amdhsa_system_sgpr_workgroup_id_z 0
		.amdhsa_system_sgpr_workgroup_info 0
		.amdhsa_system_vgpr_workitem_id 0
		.amdhsa_next_free_vgpr 1
		.amdhsa_next_free_sgpr 1
		.amdhsa_reserve_vcc 0
		.amdhsa_float_round_mode_32 0
		.amdhsa_float_round_mode_16_64 0
		.amdhsa_float_denorm_mode_32 3
		.amdhsa_float_denorm_mode_16_64 3
		.amdhsa_dx10_clamp 1
		.amdhsa_ieee_mode 1
		.amdhsa_fp16_overflow 0
		.amdhsa_workgroup_processor_mode 1
		.amdhsa_memory_ordered 1
		.amdhsa_forward_progress 0
		.amdhsa_shared_vgpr_count 0
		.amdhsa_exception_fp_ieee_invalid_op 0
		.amdhsa_exception_fp_denorm_src 0
		.amdhsa_exception_fp_ieee_div_zero 0
		.amdhsa_exception_fp_ieee_overflow 0
		.amdhsa_exception_fp_ieee_underflow 0
		.amdhsa_exception_fp_ieee_inexact 0
		.amdhsa_exception_int_div_zero 0
	.end_amdhsa_kernel
	.section	.text._ZN7rocprim17ROCPRIM_400000_NS6detail17trampoline_kernelINS0_14default_configENS1_35adjacent_difference_config_selectorILb1ElEEZNS1_24adjacent_difference_implIS3_Lb1ELb0EPlS7_ZN2at6native12_GLOBAL__N_124unique_dim_cuda_templateIdEESt5tupleIJNS8_6TensorESD_SD_EERKSD_lbbbEUlllE1_EE10hipError_tPvRmT2_T3_mT4_P12ihipStream_tbEUlT_E_NS1_11comp_targetILNS1_3genE2ELNS1_11target_archE906ELNS1_3gpuE6ELNS1_3repE0EEENS1_30default_config_static_selectorELNS0_4arch9wavefront6targetE0EEEvT1_,"axG",@progbits,_ZN7rocprim17ROCPRIM_400000_NS6detail17trampoline_kernelINS0_14default_configENS1_35adjacent_difference_config_selectorILb1ElEEZNS1_24adjacent_difference_implIS3_Lb1ELb0EPlS7_ZN2at6native12_GLOBAL__N_124unique_dim_cuda_templateIdEESt5tupleIJNS8_6TensorESD_SD_EERKSD_lbbbEUlllE1_EE10hipError_tPvRmT2_T3_mT4_P12ihipStream_tbEUlT_E_NS1_11comp_targetILNS1_3genE2ELNS1_11target_archE906ELNS1_3gpuE6ELNS1_3repE0EEENS1_30default_config_static_selectorELNS0_4arch9wavefront6targetE0EEEvT1_,comdat
.Lfunc_end804:
	.size	_ZN7rocprim17ROCPRIM_400000_NS6detail17trampoline_kernelINS0_14default_configENS1_35adjacent_difference_config_selectorILb1ElEEZNS1_24adjacent_difference_implIS3_Lb1ELb0EPlS7_ZN2at6native12_GLOBAL__N_124unique_dim_cuda_templateIdEESt5tupleIJNS8_6TensorESD_SD_EERKSD_lbbbEUlllE1_EE10hipError_tPvRmT2_T3_mT4_P12ihipStream_tbEUlT_E_NS1_11comp_targetILNS1_3genE2ELNS1_11target_archE906ELNS1_3gpuE6ELNS1_3repE0EEENS1_30default_config_static_selectorELNS0_4arch9wavefront6targetE0EEEvT1_, .Lfunc_end804-_ZN7rocprim17ROCPRIM_400000_NS6detail17trampoline_kernelINS0_14default_configENS1_35adjacent_difference_config_selectorILb1ElEEZNS1_24adjacent_difference_implIS3_Lb1ELb0EPlS7_ZN2at6native12_GLOBAL__N_124unique_dim_cuda_templateIdEESt5tupleIJNS8_6TensorESD_SD_EERKSD_lbbbEUlllE1_EE10hipError_tPvRmT2_T3_mT4_P12ihipStream_tbEUlT_E_NS1_11comp_targetILNS1_3genE2ELNS1_11target_archE906ELNS1_3gpuE6ELNS1_3repE0EEENS1_30default_config_static_selectorELNS0_4arch9wavefront6targetE0EEEvT1_
                                        ; -- End function
	.section	.AMDGPU.csdata,"",@progbits
; Kernel info:
; codeLenInByte = 0
; NumSgprs: 0
; NumVgprs: 0
; ScratchSize: 0
; MemoryBound: 0
; FloatMode: 240
; IeeeMode: 1
; LDSByteSize: 0 bytes/workgroup (compile time only)
; SGPRBlocks: 0
; VGPRBlocks: 0
; NumSGPRsForWavesPerEU: 1
; NumVGPRsForWavesPerEU: 1
; Occupancy: 16
; WaveLimiterHint : 0
; COMPUTE_PGM_RSRC2:SCRATCH_EN: 0
; COMPUTE_PGM_RSRC2:USER_SGPR: 15
; COMPUTE_PGM_RSRC2:TRAP_HANDLER: 0
; COMPUTE_PGM_RSRC2:TGID_X_EN: 1
; COMPUTE_PGM_RSRC2:TGID_Y_EN: 0
; COMPUTE_PGM_RSRC2:TGID_Z_EN: 0
; COMPUTE_PGM_RSRC2:TIDIG_COMP_CNT: 0
	.section	.text._ZN7rocprim17ROCPRIM_400000_NS6detail17trampoline_kernelINS0_14default_configENS1_35adjacent_difference_config_selectorILb1ElEEZNS1_24adjacent_difference_implIS3_Lb1ELb0EPlS7_ZN2at6native12_GLOBAL__N_124unique_dim_cuda_templateIdEESt5tupleIJNS8_6TensorESD_SD_EERKSD_lbbbEUlllE1_EE10hipError_tPvRmT2_T3_mT4_P12ihipStream_tbEUlT_E_NS1_11comp_targetILNS1_3genE9ELNS1_11target_archE1100ELNS1_3gpuE3ELNS1_3repE0EEENS1_30default_config_static_selectorELNS0_4arch9wavefront6targetE0EEEvT1_,"axG",@progbits,_ZN7rocprim17ROCPRIM_400000_NS6detail17trampoline_kernelINS0_14default_configENS1_35adjacent_difference_config_selectorILb1ElEEZNS1_24adjacent_difference_implIS3_Lb1ELb0EPlS7_ZN2at6native12_GLOBAL__N_124unique_dim_cuda_templateIdEESt5tupleIJNS8_6TensorESD_SD_EERKSD_lbbbEUlllE1_EE10hipError_tPvRmT2_T3_mT4_P12ihipStream_tbEUlT_E_NS1_11comp_targetILNS1_3genE9ELNS1_11target_archE1100ELNS1_3gpuE3ELNS1_3repE0EEENS1_30default_config_static_selectorELNS0_4arch9wavefront6targetE0EEEvT1_,comdat
	.globl	_ZN7rocprim17ROCPRIM_400000_NS6detail17trampoline_kernelINS0_14default_configENS1_35adjacent_difference_config_selectorILb1ElEEZNS1_24adjacent_difference_implIS3_Lb1ELb0EPlS7_ZN2at6native12_GLOBAL__N_124unique_dim_cuda_templateIdEESt5tupleIJNS8_6TensorESD_SD_EERKSD_lbbbEUlllE1_EE10hipError_tPvRmT2_T3_mT4_P12ihipStream_tbEUlT_E_NS1_11comp_targetILNS1_3genE9ELNS1_11target_archE1100ELNS1_3gpuE3ELNS1_3repE0EEENS1_30default_config_static_selectorELNS0_4arch9wavefront6targetE0EEEvT1_ ; -- Begin function _ZN7rocprim17ROCPRIM_400000_NS6detail17trampoline_kernelINS0_14default_configENS1_35adjacent_difference_config_selectorILb1ElEEZNS1_24adjacent_difference_implIS3_Lb1ELb0EPlS7_ZN2at6native12_GLOBAL__N_124unique_dim_cuda_templateIdEESt5tupleIJNS8_6TensorESD_SD_EERKSD_lbbbEUlllE1_EE10hipError_tPvRmT2_T3_mT4_P12ihipStream_tbEUlT_E_NS1_11comp_targetILNS1_3genE9ELNS1_11target_archE1100ELNS1_3gpuE3ELNS1_3repE0EEENS1_30default_config_static_selectorELNS0_4arch9wavefront6targetE0EEEvT1_
	.p2align	8
	.type	_ZN7rocprim17ROCPRIM_400000_NS6detail17trampoline_kernelINS0_14default_configENS1_35adjacent_difference_config_selectorILb1ElEEZNS1_24adjacent_difference_implIS3_Lb1ELb0EPlS7_ZN2at6native12_GLOBAL__N_124unique_dim_cuda_templateIdEESt5tupleIJNS8_6TensorESD_SD_EERKSD_lbbbEUlllE1_EE10hipError_tPvRmT2_T3_mT4_P12ihipStream_tbEUlT_E_NS1_11comp_targetILNS1_3genE9ELNS1_11target_archE1100ELNS1_3gpuE3ELNS1_3repE0EEENS1_30default_config_static_selectorELNS0_4arch9wavefront6targetE0EEEvT1_,@function
_ZN7rocprim17ROCPRIM_400000_NS6detail17trampoline_kernelINS0_14default_configENS1_35adjacent_difference_config_selectorILb1ElEEZNS1_24adjacent_difference_implIS3_Lb1ELb0EPlS7_ZN2at6native12_GLOBAL__N_124unique_dim_cuda_templateIdEESt5tupleIJNS8_6TensorESD_SD_EERKSD_lbbbEUlllE1_EE10hipError_tPvRmT2_T3_mT4_P12ihipStream_tbEUlT_E_NS1_11comp_targetILNS1_3genE9ELNS1_11target_archE1100ELNS1_3gpuE3ELNS1_3repE0EEENS1_30default_config_static_selectorELNS0_4arch9wavefront6targetE0EEEvT1_: ; @_ZN7rocprim17ROCPRIM_400000_NS6detail17trampoline_kernelINS0_14default_configENS1_35adjacent_difference_config_selectorILb1ElEEZNS1_24adjacent_difference_implIS3_Lb1ELb0EPlS7_ZN2at6native12_GLOBAL__N_124unique_dim_cuda_templateIdEESt5tupleIJNS8_6TensorESD_SD_EERKSD_lbbbEUlllE1_EE10hipError_tPvRmT2_T3_mT4_P12ihipStream_tbEUlT_E_NS1_11comp_targetILNS1_3genE9ELNS1_11target_archE1100ELNS1_3gpuE3ELNS1_3repE0EEENS1_30default_config_static_selectorELNS0_4arch9wavefront6targetE0EEEvT1_
; %bb.0:
	s_mov_b32 s22, s15
	s_load_b512 s[0:15], s[0:1], 0x0
	s_waitcnt lgkmcnt(0)
	s_lshl_b64 s[16:17], s[2:3], 3
	s_mov_b32 s2, 0x411a7a30
	s_add_u32 s27, s0, s16
	s_addc_u32 s28, s1, s17
	s_add_u32 s0, 0x76, s2
	s_addc_u32 s1, 0, 0
	v_add_co_u32 v1, s0, 0x20000000, s0
	s_delay_alu instid0(VALU_DEP_1) | instskip(SKIP_1) | instid1(VALU_DEP_1)
	s_cmp_lg_u32 s0, 0
	s_addc_u32 s1, s1, 0x11a7b9
	v_readfirstlane_b32 s0, v1
	s_mul_i32 s2, s1, 0xfffff180
	s_delay_alu instid0(VALU_DEP_1)
	s_mul_hi_u32 s3, s0, 0xfffff180
	s_mul_i32 s18, s0, 0xfffff180
	s_sub_i32 s3, s3, s0
	s_mul_hi_u32 s19, s0, s18
	s_add_i32 s3, s3, s2
	s_mul_hi_u32 s20, s1, s18
	s_mul_i32 s2, s1, s18
	s_mul_hi_u32 s18, s0, s3
	s_mul_i32 s0, s0, s3
	s_mul_hi_u32 s21, s1, s3
	s_add_u32 s0, s19, s0
	s_addc_u32 s18, 0, s18
	s_add_u32 s0, s0, s2
	s_mul_i32 s3, s1, s3
	s_addc_u32 s0, s18, s20
	s_addc_u32 s2, s21, 0
	s_add_u32 s0, s0, s3
	s_addc_u32 s2, 0, s2
	v_add_co_u32 v1, s0, v1, s0
	s_delay_alu instid0(VALU_DEP_1) | instskip(SKIP_1) | instid1(VALU_DEP_1)
	s_cmp_lg_u32 s0, 0
	s_addc_u32 s0, s1, s2
	v_readfirstlane_b32 s1, v1
	s_mul_i32 s3, s6, s0
	s_mul_hi_u32 s2, s6, s0
	s_mul_hi_u32 s18, s7, s0
	s_mul_i32 s0, s7, s0
	s_mul_hi_u32 s19, s6, s1
	s_mul_hi_u32 s20, s7, s1
	s_mul_i32 s1, s7, s1
	s_add_u32 s3, s19, s3
	s_addc_u32 s2, 0, s2
	s_add_u32 s1, s3, s1
	s_addc_u32 s1, s2, s20
	s_addc_u32 s2, s18, 0
	s_add_u32 s0, s1, s0
	s_addc_u32 s1, 0, s2
	s_mul_i32 s3, s0, 0xe80
	s_add_u32 s2, s0, 1
	v_sub_co_u32 v1, s3, s6, s3
	s_mul_hi_u32 s18, s0, 0xe80
	s_addc_u32 s19, s1, 0
	s_mul_i32 s20, s1, 0xe80
	s_delay_alu instid0(VALU_DEP_1)
	v_subrev_co_u32 v2, s21, 0xe80, v1
	s_add_u32 s23, s0, 2
	s_addc_u32 s24, s1, 0
	s_add_i32 s18, s18, s20
	s_cmp_lg_u32 s3, 0
	v_readfirstlane_b32 s3, v2
	s_subb_u32 s18, s7, s18
	s_cmp_lg_u32 s21, 0
	s_subb_u32 s20, s18, 0
	s_delay_alu instid0(VALU_DEP_1) | instskip(SKIP_4) | instid1(SALU_CYCLE_1)
	s_cmpk_gt_u32 s3, 0xe7f
	s_cselect_b32 s3, -1, 0
	s_cmp_eq_u32 s20, 0
	v_readfirstlane_b32 s20, v1
	s_cselect_b32 s3, s3, -1
	s_cmp_lg_u32 s3, 0
	s_cselect_b32 s2, s23, s2
	s_cselect_b32 s3, s24, s19
	s_cmpk_gt_u32 s20, 0xe7f
	s_mov_b32 s23, 0
	s_cselect_b32 s19, -1, 0
	s_cmp_eq_u32 s18, 0
	s_cselect_b32 s18, s19, -1
	s_delay_alu instid0(SALU_CYCLE_1)
	s_cmp_lg_u32 s18, 0
	s_cselect_b32 s3, s3, s1
	s_cselect_b32 s2, s2, s0
	s_mul_i32 s0, s3, 0xe80
	s_mul_hi_u32 s1, s2, 0xe80
	s_mul_i32 s18, s2, 0xe80
	s_add_i32 s1, s1, s0
	s_sub_u32 s0, s6, s18
	s_subb_u32 s1, s7, s1
	s_delay_alu instid0(SALU_CYCLE_1) | instskip(SKIP_1) | instid1(SALU_CYCLE_1)
	s_cmp_lg_u64 s[0:1], 0
	s_cselect_b32 s0, -1, 0
	v_cndmask_b32_e64 v1, 0, 1, s0
	s_delay_alu instid0(VALU_DEP_1) | instskip(NEXT) | instid1(VALU_DEP_1)
	v_readfirstlane_b32 s0, v1
	s_add_u32 s18, s2, s0
	s_addc_u32 s19, s3, 0
	s_add_u32 s20, s14, s22
	s_addc_u32 s21, s15, 0
	s_add_u32 s0, s18, -1
	s_addc_u32 s1, s19, -1
	s_mul_i32 s2, s22, 0xe80
	v_cmp_ge_u64_e64 s26, s[20:21], s[0:1]
	s_mov_b32 s3, -1
	s_mul_i32 s7, s0, 0xfffff180
	s_delay_alu instid0(VALU_DEP_1)
	s_and_b32 vcc_lo, exec_lo, s26
	s_cbranch_vccz .LBB805_60
; %bb.1:
	s_mov_b32 s3, s23
	s_add_i32 s29, s7, s6
	s_lshl_b64 s[24:25], s[2:3], 3
	s_mov_b32 s3, exec_lo
	s_add_u32 s24, s27, s24
	s_addc_u32 s25, s28, s25
                                        ; implicit-def: $vgpr1_vgpr2
	v_cmpx_gt_u32_e64 s29, v0
	s_cbranch_execz .LBB805_3
; %bb.2:
	v_lshlrev_b32_e32 v1, 3, v0
	global_load_b64 v[1:2], v1, s[24:25]
.LBB805_3:
	s_or_b32 exec_lo, exec_lo, s3
	v_or_b32_e32 v3, 0x80, v0
	s_delay_alu instid0(VALU_DEP_1)
	v_cmp_gt_u32_e32 vcc_lo, s29, v3
                                        ; implicit-def: $vgpr3_vgpr4
	s_and_saveexec_b32 s3, vcc_lo
	s_cbranch_execz .LBB805_5
; %bb.4:
	v_lshlrev_b32_e32 v3, 3, v0
	global_load_b64 v[3:4], v3, s[24:25] offset:1024
.LBB805_5:
	s_or_b32 exec_lo, exec_lo, s3
	v_or_b32_e32 v5, 0x100, v0
	s_delay_alu instid0(VALU_DEP_1)
	v_cmp_gt_u32_e32 vcc_lo, s29, v5
                                        ; implicit-def: $vgpr5_vgpr6
	s_and_saveexec_b32 s3, vcc_lo
	s_cbranch_execz .LBB805_7
; %bb.6:
	v_lshlrev_b32_e32 v5, 3, v0
	global_load_b64 v[5:6], v5, s[24:25] offset:2048
.LBB805_7:
	s_or_b32 exec_lo, exec_lo, s3
	v_or_b32_e32 v7, 0x180, v0
	s_delay_alu instid0(VALU_DEP_1)
	v_cmp_gt_u32_e32 vcc_lo, s29, v7
                                        ; implicit-def: $vgpr7_vgpr8
	s_and_saveexec_b32 s3, vcc_lo
	s_cbranch_execz .LBB805_9
; %bb.8:
	v_lshlrev_b32_e32 v7, 3, v0
	global_load_b64 v[7:8], v7, s[24:25] offset:3072
.LBB805_9:
	s_or_b32 exec_lo, exec_lo, s3
	v_or_b32_e32 v11, 0x200, v0
	s_mov_b32 s3, exec_lo
                                        ; implicit-def: $vgpr9_vgpr10
	s_delay_alu instid0(VALU_DEP_1)
	v_cmpx_gt_u32_e64 s29, v11
	s_cbranch_execz .LBB805_11
; %bb.10:
	v_lshlrev_b32_e32 v9, 3, v11
	global_load_b64 v[9:10], v9, s[24:25]
.LBB805_11:
	s_or_b32 exec_lo, exec_lo, s3
	v_or_b32_e32 v13, 0x280, v0
	s_mov_b32 s3, exec_lo
                                        ; implicit-def: $vgpr11_vgpr12
	s_delay_alu instid0(VALU_DEP_1)
	v_cmpx_gt_u32_e64 s29, v13
	s_cbranch_execz .LBB805_13
; %bb.12:
	v_lshlrev_b32_e32 v11, 3, v13
	global_load_b64 v[11:12], v11, s[24:25]
.LBB805_13:
	s_or_b32 exec_lo, exec_lo, s3
	v_or_b32_e32 v15, 0x300, v0
	s_mov_b32 s3, exec_lo
                                        ; implicit-def: $vgpr13_vgpr14
	s_delay_alu instid0(VALU_DEP_1)
	v_cmpx_gt_u32_e64 s29, v15
	s_cbranch_execz .LBB805_15
; %bb.14:
	v_lshlrev_b32_e32 v13, 3, v15
	global_load_b64 v[13:14], v13, s[24:25]
.LBB805_15:
	s_or_b32 exec_lo, exec_lo, s3
	v_or_b32_e32 v17, 0x380, v0
	s_mov_b32 s3, exec_lo
                                        ; implicit-def: $vgpr15_vgpr16
	s_delay_alu instid0(VALU_DEP_1)
	v_cmpx_gt_u32_e64 s29, v17
	s_cbranch_execz .LBB805_17
; %bb.16:
	v_lshlrev_b32_e32 v15, 3, v17
	global_load_b64 v[15:16], v15, s[24:25]
.LBB805_17:
	s_or_b32 exec_lo, exec_lo, s3
	v_or_b32_e32 v19, 0x400, v0
	s_mov_b32 s3, exec_lo
                                        ; implicit-def: $vgpr17_vgpr18
	s_delay_alu instid0(VALU_DEP_1)
	v_cmpx_gt_u32_e64 s29, v19
	s_cbranch_execz .LBB805_19
; %bb.18:
	v_lshlrev_b32_e32 v17, 3, v19
	global_load_b64 v[17:18], v17, s[24:25]
.LBB805_19:
	s_or_b32 exec_lo, exec_lo, s3
	v_or_b32_e32 v21, 0x480, v0
	s_mov_b32 s3, exec_lo
                                        ; implicit-def: $vgpr19_vgpr20
	s_delay_alu instid0(VALU_DEP_1)
	v_cmpx_gt_u32_e64 s29, v21
	s_cbranch_execz .LBB805_21
; %bb.20:
	v_lshlrev_b32_e32 v19, 3, v21
	global_load_b64 v[19:20], v19, s[24:25]
.LBB805_21:
	s_or_b32 exec_lo, exec_lo, s3
	v_or_b32_e32 v23, 0x500, v0
	s_mov_b32 s3, exec_lo
                                        ; implicit-def: $vgpr21_vgpr22
	s_delay_alu instid0(VALU_DEP_1)
	v_cmpx_gt_u32_e64 s29, v23
	s_cbranch_execz .LBB805_23
; %bb.22:
	v_lshlrev_b32_e32 v21, 3, v23
	global_load_b64 v[21:22], v21, s[24:25]
.LBB805_23:
	s_or_b32 exec_lo, exec_lo, s3
	v_or_b32_e32 v25, 0x580, v0
	s_mov_b32 s3, exec_lo
                                        ; implicit-def: $vgpr23_vgpr24
	s_delay_alu instid0(VALU_DEP_1)
	v_cmpx_gt_u32_e64 s29, v25
	s_cbranch_execz .LBB805_25
; %bb.24:
	v_lshlrev_b32_e32 v23, 3, v25
	global_load_b64 v[23:24], v23, s[24:25]
.LBB805_25:
	s_or_b32 exec_lo, exec_lo, s3
	v_or_b32_e32 v27, 0x600, v0
	s_mov_b32 s3, exec_lo
                                        ; implicit-def: $vgpr25_vgpr26
	s_delay_alu instid0(VALU_DEP_1)
	v_cmpx_gt_u32_e64 s29, v27
	s_cbranch_execz .LBB805_27
; %bb.26:
	v_lshlrev_b32_e32 v25, 3, v27
	global_load_b64 v[25:26], v25, s[24:25]
.LBB805_27:
	s_or_b32 exec_lo, exec_lo, s3
	v_or_b32_e32 v29, 0x680, v0
	s_mov_b32 s3, exec_lo
                                        ; implicit-def: $vgpr27_vgpr28
	s_delay_alu instid0(VALU_DEP_1)
	v_cmpx_gt_u32_e64 s29, v29
	s_cbranch_execz .LBB805_29
; %bb.28:
	v_lshlrev_b32_e32 v27, 3, v29
	global_load_b64 v[27:28], v27, s[24:25]
.LBB805_29:
	s_or_b32 exec_lo, exec_lo, s3
	v_or_b32_e32 v31, 0x700, v0
	s_mov_b32 s3, exec_lo
                                        ; implicit-def: $vgpr29_vgpr30
	s_delay_alu instid0(VALU_DEP_1)
	v_cmpx_gt_u32_e64 s29, v31
	s_cbranch_execz .LBB805_31
; %bb.30:
	v_lshlrev_b32_e32 v29, 3, v31
	global_load_b64 v[29:30], v29, s[24:25]
.LBB805_31:
	s_or_b32 exec_lo, exec_lo, s3
	v_or_b32_e32 v33, 0x780, v0
	s_mov_b32 s3, exec_lo
                                        ; implicit-def: $vgpr31_vgpr32
	s_delay_alu instid0(VALU_DEP_1)
	v_cmpx_gt_u32_e64 s29, v33
	s_cbranch_execz .LBB805_33
; %bb.32:
	v_lshlrev_b32_e32 v31, 3, v33
	global_load_b64 v[31:32], v31, s[24:25]
.LBB805_33:
	s_or_b32 exec_lo, exec_lo, s3
	v_or_b32_e32 v35, 0x800, v0
	s_mov_b32 s3, exec_lo
                                        ; implicit-def: $vgpr33_vgpr34
	s_delay_alu instid0(VALU_DEP_1)
	v_cmpx_gt_u32_e64 s29, v35
	s_cbranch_execz .LBB805_35
; %bb.34:
	v_lshlrev_b32_e32 v33, 3, v35
	global_load_b64 v[33:34], v33, s[24:25]
.LBB805_35:
	s_or_b32 exec_lo, exec_lo, s3
	v_or_b32_e32 v37, 0x880, v0
	s_mov_b32 s3, exec_lo
                                        ; implicit-def: $vgpr35_vgpr36
	s_delay_alu instid0(VALU_DEP_1)
	v_cmpx_gt_u32_e64 s29, v37
	s_cbranch_execz .LBB805_37
; %bb.36:
	v_lshlrev_b32_e32 v35, 3, v37
	global_load_b64 v[35:36], v35, s[24:25]
.LBB805_37:
	s_or_b32 exec_lo, exec_lo, s3
	v_or_b32_e32 v39, 0x900, v0
	s_mov_b32 s3, exec_lo
                                        ; implicit-def: $vgpr37_vgpr38
	s_delay_alu instid0(VALU_DEP_1)
	v_cmpx_gt_u32_e64 s29, v39
	s_cbranch_execz .LBB805_39
; %bb.38:
	v_lshlrev_b32_e32 v37, 3, v39
	global_load_b64 v[37:38], v37, s[24:25]
.LBB805_39:
	s_or_b32 exec_lo, exec_lo, s3
	v_or_b32_e32 v41, 0x980, v0
	s_mov_b32 s3, exec_lo
                                        ; implicit-def: $vgpr39_vgpr40
	s_delay_alu instid0(VALU_DEP_1)
	v_cmpx_gt_u32_e64 s29, v41
	s_cbranch_execz .LBB805_41
; %bb.40:
	v_lshlrev_b32_e32 v39, 3, v41
	global_load_b64 v[39:40], v39, s[24:25]
.LBB805_41:
	s_or_b32 exec_lo, exec_lo, s3
	v_or_b32_e32 v43, 0xa00, v0
	s_mov_b32 s3, exec_lo
                                        ; implicit-def: $vgpr41_vgpr42
	s_delay_alu instid0(VALU_DEP_1)
	v_cmpx_gt_u32_e64 s29, v43
	s_cbranch_execz .LBB805_43
; %bb.42:
	v_lshlrev_b32_e32 v41, 3, v43
	global_load_b64 v[41:42], v41, s[24:25]
.LBB805_43:
	s_or_b32 exec_lo, exec_lo, s3
	v_or_b32_e32 v45, 0xa80, v0
	s_mov_b32 s3, exec_lo
                                        ; implicit-def: $vgpr43_vgpr44
	s_delay_alu instid0(VALU_DEP_1)
	v_cmpx_gt_u32_e64 s29, v45
	s_cbranch_execz .LBB805_45
; %bb.44:
	v_lshlrev_b32_e32 v43, 3, v45
	global_load_b64 v[43:44], v43, s[24:25]
.LBB805_45:
	s_or_b32 exec_lo, exec_lo, s3
	v_or_b32_e32 v47, 0xb00, v0
	s_mov_b32 s3, exec_lo
                                        ; implicit-def: $vgpr45_vgpr46
	s_delay_alu instid0(VALU_DEP_1)
	v_cmpx_gt_u32_e64 s29, v47
	s_cbranch_execz .LBB805_47
; %bb.46:
	v_lshlrev_b32_e32 v45, 3, v47
	global_load_b64 v[45:46], v45, s[24:25]
.LBB805_47:
	s_or_b32 exec_lo, exec_lo, s3
	v_or_b32_e32 v49, 0xb80, v0
	s_mov_b32 s3, exec_lo
                                        ; implicit-def: $vgpr47_vgpr48
	s_delay_alu instid0(VALU_DEP_1)
	v_cmpx_gt_u32_e64 s29, v49
	s_cbranch_execz .LBB805_49
; %bb.48:
	v_lshlrev_b32_e32 v47, 3, v49
	global_load_b64 v[47:48], v47, s[24:25]
.LBB805_49:
	s_or_b32 exec_lo, exec_lo, s3
	v_or_b32_e32 v51, 0xc00, v0
	s_mov_b32 s3, exec_lo
                                        ; implicit-def: $vgpr49_vgpr50
	s_delay_alu instid0(VALU_DEP_1)
	v_cmpx_gt_u32_e64 s29, v51
	s_cbranch_execz .LBB805_51
; %bb.50:
	v_lshlrev_b32_e32 v49, 3, v51
	global_load_b64 v[49:50], v49, s[24:25]
.LBB805_51:
	s_or_b32 exec_lo, exec_lo, s3
	v_or_b32_e32 v53, 0xc80, v0
	s_mov_b32 s3, exec_lo
                                        ; implicit-def: $vgpr51_vgpr52
	s_delay_alu instid0(VALU_DEP_1)
	v_cmpx_gt_u32_e64 s29, v53
	s_cbranch_execz .LBB805_53
; %bb.52:
	v_lshlrev_b32_e32 v51, 3, v53
	global_load_b64 v[51:52], v51, s[24:25]
.LBB805_53:
	s_or_b32 exec_lo, exec_lo, s3
	v_or_b32_e32 v55, 0xd00, v0
	s_mov_b32 s3, exec_lo
                                        ; implicit-def: $vgpr53_vgpr54
	s_delay_alu instid0(VALU_DEP_1)
	v_cmpx_gt_u32_e64 s29, v55
	s_cbranch_execz .LBB805_55
; %bb.54:
	v_lshlrev_b32_e32 v53, 3, v55
	global_load_b64 v[53:54], v53, s[24:25]
.LBB805_55:
	s_or_b32 exec_lo, exec_lo, s3
	v_or_b32_e32 v57, 0xd80, v0
	s_mov_b32 s3, exec_lo
                                        ; implicit-def: $vgpr55_vgpr56
	s_delay_alu instid0(VALU_DEP_1)
	v_cmpx_gt_u32_e64 s29, v57
	s_cbranch_execz .LBB805_57
; %bb.56:
	v_lshlrev_b32_e32 v55, 3, v57
	global_load_b64 v[55:56], v55, s[24:25]
.LBB805_57:
	s_or_b32 exec_lo, exec_lo, s3
	v_or_b32_e32 v59, 0xe00, v0
	s_mov_b32 s3, exec_lo
                                        ; implicit-def: $vgpr57_vgpr58
	s_delay_alu instid0(VALU_DEP_1)
	v_cmpx_gt_u32_e64 s29, v59
	s_cbranch_execz .LBB805_59
; %bb.58:
	v_lshlrev_b32_e32 v57, 3, v59
	global_load_b64 v[57:58], v57, s[24:25]
.LBB805_59:
	s_or_b32 exec_lo, exec_lo, s3
	v_lshlrev_b32_e32 v59, 3, v0
	s_mov_b32 s3, 0
	s_waitcnt vmcnt(0)
	ds_store_2addr_stride64_b64 v59, v[1:2], v[3:4] offset1:2
	ds_store_2addr_stride64_b64 v59, v[5:6], v[7:8] offset0:4 offset1:6
	ds_store_2addr_stride64_b64 v59, v[9:10], v[11:12] offset0:8 offset1:10
	ds_store_2addr_stride64_b64 v59, v[13:14], v[15:16] offset0:12 offset1:14
	ds_store_2addr_stride64_b64 v59, v[17:18], v[19:20] offset0:16 offset1:18
	ds_store_2addr_stride64_b64 v59, v[21:22], v[23:24] offset0:20 offset1:22
	ds_store_2addr_stride64_b64 v59, v[25:26], v[27:28] offset0:24 offset1:26
	ds_store_2addr_stride64_b64 v59, v[29:30], v[31:32] offset0:28 offset1:30
	ds_store_2addr_stride64_b64 v59, v[33:34], v[35:36] offset0:32 offset1:34
	ds_store_2addr_stride64_b64 v59, v[37:38], v[39:40] offset0:36 offset1:38
	ds_store_2addr_stride64_b64 v59, v[41:42], v[43:44] offset0:40 offset1:42
	ds_store_2addr_stride64_b64 v59, v[45:46], v[47:48] offset0:44 offset1:46
	ds_store_2addr_stride64_b64 v59, v[49:50], v[51:52] offset0:48 offset1:50
	ds_store_2addr_stride64_b64 v59, v[53:54], v[55:56] offset0:52 offset1:54
	ds_store_b64 v59, v[57:58] offset:28672
	s_waitcnt lgkmcnt(0)
	s_barrier
.LBB805_60:
	v_lshlrev_b32_e32 v195, 3, v0
	s_and_b32 vcc_lo, exec_lo, s3
	s_cbranch_vccz .LBB805_62
; %bb.61:
	s_mov_b32 s3, 0
	s_delay_alu instid0(SALU_CYCLE_1) | instskip(NEXT) | instid1(SALU_CYCLE_1)
	s_lshl_b64 s[24:25], s[2:3], 3
	s_add_u32 s24, s27, s24
	s_addc_u32 s25, s28, s25
	v_add_co_u32 v49, s3, s24, v195
	s_delay_alu instid0(VALU_DEP_1)
	v_add_co_ci_u32_e64 v50, null, s25, 0, s3
	s_clause 0x3
	global_load_b64 v[1:2], v195, s[24:25]
	global_load_b64 v[3:4], v195, s[24:25] offset:1024
	global_load_b64 v[5:6], v195, s[24:25] offset:2048
	;; [unrolled: 1-line block ×3, first 2 shown]
	v_add_co_u32 v9, vcc_lo, 0x1000, v49
	v_add_co_ci_u32_e32 v10, vcc_lo, 0, v50, vcc_lo
	v_add_co_u32 v11, vcc_lo, v49, 0x2000
	v_add_co_ci_u32_e32 v12, vcc_lo, 0, v50, vcc_lo
	;; [unrolled: 2-line block ×10, first 2 shown]
	s_clause 0x18
	global_load_b64 v[15:16], v[11:12], off offset:-4096
	global_load_b64 v[17:18], v[9:10], off offset:1024
	global_load_b64 v[19:20], v[9:10], off offset:2048
	global_load_b64 v[9:10], v[9:10], off offset:3072
	global_load_b64 v[21:22], v[13:14], off offset:1024
	global_load_b64 v[29:30], v[13:14], off offset:2048
	global_load_b64 v[13:14], v[13:14], off offset:3072
	global_load_b64 v[31:32], v[23:24], off offset:1024
	global_load_b64 v[33:34], v[23:24], off offset:2048
	global_load_b64 v[23:24], v[23:24], off offset:3072
	global_load_b64 v[35:36], v[27:28], off offset:1024
	global_load_b64 v[37:38], v[27:28], off offset:2048
	global_load_b64 v[27:28], v[27:28], off offset:3072
	global_load_b64 v[11:12], v[11:12], off
	global_load_b64 v[43:44], v[25:26], off offset:-4096
	global_load_b64 v[25:26], v[25:26], off
	global_load_b64 v[45:46], v[39:40], off offset:-4096
	global_load_b64 v[39:40], v[39:40], off
	global_load_b64 v[51:52], v[41:42], off offset:1024
	global_load_b64 v[53:54], v[41:42], off offset:2048
	;; [unrolled: 1-line block ×6, first 2 shown]
	global_load_b64 v[49:50], v[49:50], off
	s_waitcnt vmcnt(27)
	ds_store_2addr_stride64_b64 v195, v[1:2], v[3:4] offset1:2
	s_waitcnt vmcnt(25)
	ds_store_2addr_stride64_b64 v195, v[5:6], v[7:8] offset0:4 offset1:6
	s_waitcnt vmcnt(23)
	ds_store_2addr_stride64_b64 v195, v[15:16], v[17:18] offset0:8 offset1:10
	;; [unrolled: 2-line block ×4, first 2 shown]
	ds_store_2addr_stride64_b64 v195, v[29:30], v[13:14] offset0:20 offset1:22
	s_waitcnt vmcnt(10)
	ds_store_2addr_stride64_b64 v195, v[43:44], v[31:32] offset0:24 offset1:26
	ds_store_2addr_stride64_b64 v195, v[33:34], v[23:24] offset0:28 offset1:30
	s_waitcnt vmcnt(9)
	ds_store_2addr_stride64_b64 v195, v[25:26], v[35:36] offset0:32 offset1:34
	;; [unrolled: 3-line block ×3, first 2 shown]
	s_waitcnt vmcnt(4)
	ds_store_2addr_stride64_b64 v195, v[53:54], v[41:42] offset0:44 offset1:46
	s_waitcnt vmcnt(3)
	ds_store_2addr_stride64_b64 v195, v[39:40], v[55:56] offset0:48 offset1:50
	;; [unrolled: 2-line block ×3, first 2 shown]
	s_waitcnt vmcnt(0)
	ds_store_b64 v195, v[49:50] offset:28672
	s_waitcnt lgkmcnt(0)
	s_barrier
.LBB805_62:
	v_mul_u32_u24_e32 v1, 29, v0
	buffer_gl0_inv
	s_cmp_eq_u64 s[20:21], 0
	v_lshlrev_b32_e32 v53, 3, v1
	ds_load_b64 v[109:110], v53 offset:224
	ds_load_2addr_b64 v[5:8], v53 offset0:26 offset1:27
	ds_load_2addr_b64 v[9:12], v53 offset0:24 offset1:25
	ds_load_2addr_b64 v[1:4], v53 offset1:1
	ds_load_2addr_b64 v[13:16], v53 offset0:2 offset1:3
	ds_load_2addr_b64 v[17:20], v53 offset0:4 offset1:5
	;; [unrolled: 1-line block ×11, first 2 shown]
	s_waitcnt lgkmcnt(0)
	s_barrier
	buffer_gl0_inv
	s_cbranch_scc1 .LBB805_71
; %bb.63:
	s_lshl_b64 s[14:15], s[14:15], 3
	s_delay_alu instid0(SALU_CYCLE_1) | instskip(SKIP_2) | instid1(SALU_CYCLE_1)
	s_add_u32 s3, s12, s14
	s_addc_u32 s14, s13, s15
	s_lshl_b64 s[12:13], s[22:23], 3
	s_add_u32 s3, s3, s12
	s_addc_u32 s13, s14, s13
	s_add_u32 s12, s3, -8
	s_addc_u32 s13, s13, -1
	s_cmp_lg_u64 s[20:21], s[0:1]
	s_load_b64 s[12:13], s[12:13], 0x0
	s_cbranch_scc0 .LBB805_72
; %bb.64:
	v_mul_lo_u32 v59, v8, s8
	v_mul_lo_u32 v60, v7, s9
	v_mad_u64_u32 v[57:58], null, v7, s8, 0
	v_mov_b32_e32 v113, 0
	v_mov_b32_e32 v114, 0
	v_cmp_lt_i64_e64 s0, s[8:9], 1
	v_cmp_gt_i64_e64 s1, s[8:9], 0
	s_delay_alu instid0(VALU_DEP_4) | instskip(SKIP_4) | instid1(VALU_DEP_1)
	v_mov_b32_e32 v111, v113
	ds_store_b64 v195, v[109:110]
	v_mov_b32_e32 v112, v114
	v_add3_u32 v58, v58, v60, v59
	s_and_b32 vcc_lo, exec_lo, s0
	v_lshlrev_b64 v[57:58], 3, v[57:58]
	s_cbranch_vccnz .LBB805_76
; %bb.65:
	v_mul_lo_u32 v61, v110, s8
	v_mul_lo_u32 v62, v109, s9
	v_mad_u64_u32 v[59:60], null, v109, s8, 0
	v_mov_b32_e32 v111, 1
	v_mov_b32_e32 v112, 0
	s_mov_b32 s3, exec_lo
	s_delay_alu instid0(VALU_DEP_3) | instskip(NEXT) | instid1(VALU_DEP_1)
	v_add3_u32 v60, v60, v62, v61
	v_lshlrev_b64 v[59:60], 3, v[59:60]
	s_delay_alu instid0(VALU_DEP_1) | instskip(NEXT) | instid1(VALU_DEP_2)
	v_add_co_u32 v61, vcc_lo, s10, v59
	v_add_co_ci_u32_e32 v62, vcc_lo, s11, v60, vcc_lo
	v_add_co_u32 v59, vcc_lo, s10, v57
	v_add_co_ci_u32_e32 v60, vcc_lo, s11, v58, vcc_lo
	s_clause 0x1
	global_load_b64 v[63:64], v[61:62], off
	global_load_b64 v[65:66], v[59:60], off
	s_waitcnt vmcnt(0)
	v_cmpx_eq_f64_e32 v[63:64], v[65:66]
	s_cbranch_execz .LBB805_75
; %bb.66:
	v_add_co_u32 v59, vcc_lo, v59, 8
	v_add_co_ci_u32_e32 v60, vcc_lo, 0, v60, vcc_lo
	v_add_co_u32 v61, vcc_lo, v61, 8
	v_add_co_ci_u32_e32 v62, vcc_lo, 0, v62, vcc_lo
	s_add_u32 s14, s8, -1
	s_addc_u32 s15, s9, -1
	s_mov_b64 s[22:23], 0
	s_mov_b32 s21, 0
                                        ; implicit-def: $sgpr24
	s_set_inst_prefetch_distance 0x1
	s_branch .LBB805_69
	.p2align	6
.LBB805_67:                             ;   in Loop: Header=BB805_69 Depth=1
	global_load_b64 v[63:64], v[61:62], off
	global_load_b64 v[65:66], v[59:60], off
	v_add_co_u32 v59, s0, v59, 8
	s_delay_alu instid0(VALU_DEP_1) | instskip(SKIP_1) | instid1(VALU_DEP_1)
	v_add_co_ci_u32_e64 v60, s0, 0, v60, s0
	v_add_co_u32 v61, s0, v61, 8
	v_add_co_ci_u32_e64 v62, s0, 0, v62, s0
	s_add_u32 s22, s22, 1
	s_addc_u32 s23, s23, 0
	s_and_not1_b32 s0, s24, exec_lo
	s_waitcnt vmcnt(0)
	v_cmp_neq_f64_e32 vcc_lo, v[63:64], v[65:66]
	s_and_b32 s24, vcc_lo, exec_lo
	s_delay_alu instid0(SALU_CYCLE_1)
	s_or_b32 s24, s0, s24
.LBB805_68:                             ;   in Loop: Header=BB805_69 Depth=1
	v_dual_mov_b32 v64, s23 :: v_dual_mov_b32 v63, s22
	s_and_b32 s0, exec_lo, s24
	s_delay_alu instid0(SALU_CYCLE_1) | instskip(NEXT) | instid1(SALU_CYCLE_1)
	s_or_b32 s21, s0, s21
	s_and_not1_b32 exec_lo, exec_lo, s21
	s_cbranch_execz .LBB805_74
.LBB805_69:                             ; =>This Inner Loop Header: Depth=1
	s_or_b32 s24, s24, exec_lo
	s_cmp_eq_u64 s[14:15], s[22:23]
	s_cbranch_scc0 .LBB805_67
; %bb.70:                               ;   in Loop: Header=BB805_69 Depth=1
	s_mov_b64 s[22:23], s[8:9]
                                        ; implicit-def: $vgpr59_vgpr60
                                        ; implicit-def: $vgpr61_vgpr62
	s_branch .LBB805_68
.LBB805_71:
	s_mov_b32 s1, 0
                                        ; implicit-def: $sgpr0
                                        ; implicit-def: $vgpr165_vgpr166
                                        ; implicit-def: $vgpr163_vgpr164
                                        ; implicit-def: $vgpr161_vgpr162
                                        ; implicit-def: $vgpr159_vgpr160
                                        ; implicit-def: $vgpr157_vgpr158
                                        ; implicit-def: $vgpr155_vgpr156
                                        ; implicit-def: $vgpr153_vgpr154
                                        ; implicit-def: $vgpr151_vgpr152
                                        ; implicit-def: $vgpr149_vgpr150
                                        ; implicit-def: $vgpr147_vgpr148
                                        ; implicit-def: $vgpr145_vgpr146
                                        ; implicit-def: $vgpr143_vgpr144
                                        ; implicit-def: $vgpr141_vgpr142
                                        ; implicit-def: $vgpr139_vgpr140
                                        ; implicit-def: $vgpr137_vgpr138
                                        ; implicit-def: $vgpr135_vgpr136
                                        ; implicit-def: $vgpr133_vgpr134
                                        ; implicit-def: $vgpr131_vgpr132
                                        ; implicit-def: $vgpr129_vgpr130
                                        ; implicit-def: $vgpr127_vgpr128
                                        ; implicit-def: $vgpr125_vgpr126
                                        ; implicit-def: $vgpr123_vgpr124
                                        ; implicit-def: $vgpr121_vgpr122
                                        ; implicit-def: $vgpr119_vgpr120
                                        ; implicit-def: $vgpr117_vgpr118
                                        ; implicit-def: $vgpr113_vgpr114
                                        ; implicit-def: $vgpr115_vgpr116
                                        ; implicit-def: $vgpr111_vgpr112
                                        ; implicit-def: $vgpr181_vgpr182
                                        ; implicit-def: $vgpr167_vgpr168
                                        ; implicit-def: $vgpr169_vgpr170
                                        ; implicit-def: $vgpr171_vgpr172
                                        ; implicit-def: $vgpr173_vgpr174
                                        ; implicit-def: $vgpr175_vgpr176
                                        ; implicit-def: $vgpr177_vgpr178
                                        ; implicit-def: $vgpr179_vgpr180
                                        ; implicit-def: $vgpr183_vgpr184
                                        ; implicit-def: $vgpr185_vgpr186
                                        ; implicit-def: $vgpr187_vgpr188
                                        ; implicit-def: $vgpr189_vgpr190
                                        ; implicit-def: $vgpr191_vgpr192
                                        ; implicit-def: $vgpr193_vgpr194
                                        ; implicit-def: $vgpr57_vgpr58_vgpr59_vgpr60
                                        ; implicit-def: $vgpr61_vgpr62_vgpr63_vgpr64
                                        ; implicit-def: $vgpr65_vgpr66_vgpr67_vgpr68
                                        ; implicit-def: $vgpr69_vgpr70_vgpr71_vgpr72
                                        ; implicit-def: $vgpr73_vgpr74_vgpr75_vgpr76
                                        ; implicit-def: $vgpr77_vgpr78_vgpr79_vgpr80
                                        ; implicit-def: $vgpr81_vgpr82_vgpr83_vgpr84
                                        ; implicit-def: $vgpr85_vgpr86_vgpr87_vgpr88
                                        ; implicit-def: $vgpr89_vgpr90_vgpr91_vgpr92
                                        ; implicit-def: $vgpr93_vgpr94_vgpr95_vgpr96
                                        ; implicit-def: $vgpr97_vgpr98_vgpr99_vgpr100
                                        ; implicit-def: $vgpr101_vgpr102_vgpr103_vgpr104
                                        ; implicit-def: $vgpr105_vgpr106_vgpr107_vgpr108
	s_cbranch_execnz .LBB805_655
	s_branch .LBB805_1243
.LBB805_72:
	s_mov_b32 s1, 0
                                        ; implicit-def: $sgpr0
                                        ; implicit-def: $vgpr165_vgpr166
                                        ; implicit-def: $vgpr163_vgpr164
                                        ; implicit-def: $vgpr161_vgpr162
                                        ; implicit-def: $vgpr159_vgpr160
                                        ; implicit-def: $vgpr157_vgpr158
                                        ; implicit-def: $vgpr155_vgpr156
                                        ; implicit-def: $vgpr153_vgpr154
                                        ; implicit-def: $vgpr151_vgpr152
                                        ; implicit-def: $vgpr149_vgpr150
                                        ; implicit-def: $vgpr147_vgpr148
                                        ; implicit-def: $vgpr145_vgpr146
                                        ; implicit-def: $vgpr143_vgpr144
                                        ; implicit-def: $vgpr141_vgpr142
                                        ; implicit-def: $vgpr139_vgpr140
                                        ; implicit-def: $vgpr137_vgpr138
                                        ; implicit-def: $vgpr135_vgpr136
                                        ; implicit-def: $vgpr133_vgpr134
                                        ; implicit-def: $vgpr131_vgpr132
                                        ; implicit-def: $vgpr129_vgpr130
                                        ; implicit-def: $vgpr127_vgpr128
                                        ; implicit-def: $vgpr125_vgpr126
                                        ; implicit-def: $vgpr123_vgpr124
                                        ; implicit-def: $vgpr121_vgpr122
                                        ; implicit-def: $vgpr119_vgpr120
                                        ; implicit-def: $vgpr117_vgpr118
                                        ; implicit-def: $vgpr113_vgpr114
                                        ; implicit-def: $vgpr115_vgpr116
                                        ; implicit-def: $vgpr111_vgpr112
	s_cbranch_execnz .LBB805_332
.LBB805_73:
                                        ; implicit-def: $vgpr181_vgpr182
                                        ; implicit-def: $vgpr167_vgpr168
                                        ; implicit-def: $vgpr169_vgpr170
                                        ; implicit-def: $vgpr171_vgpr172
                                        ; implicit-def: $vgpr173_vgpr174
                                        ; implicit-def: $vgpr175_vgpr176
                                        ; implicit-def: $vgpr177_vgpr178
                                        ; implicit-def: $vgpr179_vgpr180
                                        ; implicit-def: $vgpr183_vgpr184
                                        ; implicit-def: $vgpr185_vgpr186
                                        ; implicit-def: $vgpr187_vgpr188
                                        ; implicit-def: $vgpr189_vgpr190
                                        ; implicit-def: $vgpr191_vgpr192
                                        ; implicit-def: $vgpr193_vgpr194
                                        ; implicit-def: $vgpr57_vgpr58_vgpr59_vgpr60
                                        ; implicit-def: $vgpr61_vgpr62_vgpr63_vgpr64
                                        ; implicit-def: $vgpr65_vgpr66_vgpr67_vgpr68
                                        ; implicit-def: $vgpr69_vgpr70_vgpr71_vgpr72
                                        ; implicit-def: $vgpr73_vgpr74_vgpr75_vgpr76
                                        ; implicit-def: $vgpr77_vgpr78_vgpr79_vgpr80
                                        ; implicit-def: $vgpr81_vgpr82_vgpr83_vgpr84
                                        ; implicit-def: $vgpr85_vgpr86_vgpr87_vgpr88
                                        ; implicit-def: $vgpr89_vgpr90_vgpr91_vgpr92
                                        ; implicit-def: $vgpr93_vgpr94_vgpr95_vgpr96
                                        ; implicit-def: $vgpr97_vgpr98_vgpr99_vgpr100
                                        ; implicit-def: $vgpr101_vgpr102_vgpr103_vgpr104
                                        ; implicit-def: $vgpr105_vgpr106_vgpr107_vgpr108
	s_branch .LBB805_1243
.LBB805_74:
	s_set_inst_prefetch_distance 0x2
	s_or_b32 exec_lo, exec_lo, s21
	v_cmp_gt_i64_e32 vcc_lo, s[8:9], v[63:64]
	s_mov_b32 s0, 0
	s_delay_alu instid0(SALU_CYCLE_1)
	v_mov_b32_e32 v112, s0
	v_cndmask_b32_e64 v111, 0, 1, vcc_lo
.LBB805_75:
	s_or_b32 exec_lo, exec_lo, s3
.LBB805_76:
	v_mul_lo_u32 v61, v6, s8
	v_mul_lo_u32 v62, v5, s9
	v_mad_u64_u32 v[59:60], null, v5, s8, 0
	v_cndmask_b32_e64 v65, 0, 1, s1
	v_dual_mov_b32 v116, v114 :: v_dual_mov_b32 v115, v113
	s_and_not1_b32 vcc_lo, exec_lo, s1
	s_delay_alu instid0(VALU_DEP_3) | instskip(NEXT) | instid1(VALU_DEP_1)
	v_add3_u32 v60, v60, v62, v61
	v_lshlrev_b64 v[59:60], 3, v[59:60]
	s_cbranch_vccnz .LBB805_85
; %bb.77:
	v_add_co_u32 v61, vcc_lo, s10, v57
	v_add_co_ci_u32_e32 v62, vcc_lo, s11, v58, vcc_lo
	s_delay_alu instid0(VALU_DEP_3) | instskip(NEXT) | instid1(VALU_DEP_4)
	v_add_co_u32 v57, vcc_lo, s10, v59
	v_add_co_ci_u32_e32 v58, vcc_lo, s11, v60, vcc_lo
	v_mov_b32_e32 v115, 1
	s_clause 0x1
	global_load_b64 v[63:64], v[61:62], off
	global_load_b64 v[66:67], v[57:58], off
	v_mov_b32_e32 v116, 0
	s_mov_b32 s1, exec_lo
	s_waitcnt vmcnt(0)
	v_cmpx_eq_f64_e32 v[63:64], v[66:67]
	s_cbranch_execz .LBB805_84
; %bb.78:
	v_add_co_u32 v57, vcc_lo, v57, 8
	v_add_co_ci_u32_e32 v58, vcc_lo, 0, v58, vcc_lo
	v_add_co_u32 v61, vcc_lo, v61, 8
	v_add_co_ci_u32_e32 v62, vcc_lo, 0, v62, vcc_lo
	s_add_u32 s14, s8, -1
	s_addc_u32 s15, s9, -1
	s_mov_b64 s[22:23], 0
	s_mov_b32 s3, 0
                                        ; implicit-def: $sgpr21
	s_set_inst_prefetch_distance 0x1
	s_branch .LBB805_81
	.p2align	6
.LBB805_79:                             ;   in Loop: Header=BB805_81 Depth=1
	global_load_b64 v[63:64], v[61:62], off
	global_load_b64 v[66:67], v[57:58], off
	v_add_co_u32 v57, s0, v57, 8
	s_delay_alu instid0(VALU_DEP_1) | instskip(SKIP_1) | instid1(VALU_DEP_1)
	v_add_co_ci_u32_e64 v58, s0, 0, v58, s0
	v_add_co_u32 v61, s0, v61, 8
	v_add_co_ci_u32_e64 v62, s0, 0, v62, s0
	s_add_u32 s22, s22, 1
	s_addc_u32 s23, s23, 0
	s_and_not1_b32 s0, s21, exec_lo
	s_waitcnt vmcnt(0)
	v_cmp_neq_f64_e32 vcc_lo, v[63:64], v[66:67]
	s_and_b32 s21, vcc_lo, exec_lo
	s_delay_alu instid0(SALU_CYCLE_1)
	s_or_b32 s21, s0, s21
.LBB805_80:                             ;   in Loop: Header=BB805_81 Depth=1
	v_dual_mov_b32 v64, s23 :: v_dual_mov_b32 v63, s22
	s_and_b32 s0, exec_lo, s21
	s_delay_alu instid0(SALU_CYCLE_1) | instskip(NEXT) | instid1(SALU_CYCLE_1)
	s_or_b32 s3, s0, s3
	s_and_not1_b32 exec_lo, exec_lo, s3
	s_cbranch_execz .LBB805_83
.LBB805_81:                             ; =>This Inner Loop Header: Depth=1
	s_or_b32 s21, s21, exec_lo
	s_cmp_eq_u64 s[14:15], s[22:23]
	s_cbranch_scc0 .LBB805_79
; %bb.82:                               ;   in Loop: Header=BB805_81 Depth=1
	s_mov_b64 s[22:23], s[8:9]
                                        ; implicit-def: $vgpr57_vgpr58
                                        ; implicit-def: $vgpr61_vgpr62
	s_branch .LBB805_80
.LBB805_83:
	s_set_inst_prefetch_distance 0x2
	s_or_b32 exec_lo, exec_lo, s3
	v_cmp_gt_i64_e32 vcc_lo, s[8:9], v[63:64]
	s_mov_b32 s0, 0
	s_delay_alu instid0(SALU_CYCLE_1)
	v_mov_b32_e32 v116, s0
	v_cndmask_b32_e64 v115, 0, 1, vcc_lo
.LBB805_84:
	s_or_b32 exec_lo, exec_lo, s1
.LBB805_85:
	v_mul_lo_u32 v61, v12, s8
	v_mul_lo_u32 v62, v11, s9
	v_mad_u64_u32 v[57:58], null, v11, s8, 0
	v_cmp_ne_u32_e32 vcc_lo, 1, v65
	s_delay_alu instid0(VALU_DEP_2) | instskip(NEXT) | instid1(VALU_DEP_1)
	v_add3_u32 v58, v58, v62, v61
	v_lshlrev_b64 v[57:58], 3, v[57:58]
	s_cbranch_vccnz .LBB805_94
; %bb.86:
	v_add_co_u32 v61, vcc_lo, s10, v59
	v_add_co_ci_u32_e32 v62, vcc_lo, s11, v60, vcc_lo
	s_delay_alu instid0(VALU_DEP_3) | instskip(NEXT) | instid1(VALU_DEP_4)
	v_add_co_u32 v59, vcc_lo, s10, v57
	v_add_co_ci_u32_e32 v60, vcc_lo, s11, v58, vcc_lo
	v_mov_b32_e32 v113, 1
	s_clause 0x1
	global_load_b64 v[63:64], v[61:62], off
	global_load_b64 v[66:67], v[59:60], off
	v_mov_b32_e32 v114, 0
	s_mov_b32 s1, exec_lo
	s_waitcnt vmcnt(0)
	v_cmpx_eq_f64_e32 v[63:64], v[66:67]
	s_cbranch_execz .LBB805_93
; %bb.87:
	v_add_co_u32 v59, vcc_lo, v59, 8
	v_add_co_ci_u32_e32 v60, vcc_lo, 0, v60, vcc_lo
	v_add_co_u32 v61, vcc_lo, v61, 8
	v_add_co_ci_u32_e32 v62, vcc_lo, 0, v62, vcc_lo
	s_add_u32 s14, s8, -1
	s_addc_u32 s15, s9, -1
	s_mov_b64 s[22:23], 0
	s_mov_b32 s3, 0
                                        ; implicit-def: $sgpr21
	s_set_inst_prefetch_distance 0x1
	s_branch .LBB805_90
	.p2align	6
.LBB805_88:                             ;   in Loop: Header=BB805_90 Depth=1
	global_load_b64 v[63:64], v[61:62], off
	global_load_b64 v[66:67], v[59:60], off
	v_add_co_u32 v59, s0, v59, 8
	s_delay_alu instid0(VALU_DEP_1) | instskip(SKIP_1) | instid1(VALU_DEP_1)
	v_add_co_ci_u32_e64 v60, s0, 0, v60, s0
	v_add_co_u32 v61, s0, v61, 8
	v_add_co_ci_u32_e64 v62, s0, 0, v62, s0
	s_add_u32 s22, s22, 1
	s_addc_u32 s23, s23, 0
	s_and_not1_b32 s0, s21, exec_lo
	s_waitcnt vmcnt(0)
	v_cmp_neq_f64_e32 vcc_lo, v[63:64], v[66:67]
	s_and_b32 s21, vcc_lo, exec_lo
	s_delay_alu instid0(SALU_CYCLE_1)
	s_or_b32 s21, s0, s21
.LBB805_89:                             ;   in Loop: Header=BB805_90 Depth=1
	v_dual_mov_b32 v64, s23 :: v_dual_mov_b32 v63, s22
	s_and_b32 s0, exec_lo, s21
	s_delay_alu instid0(SALU_CYCLE_1) | instskip(NEXT) | instid1(SALU_CYCLE_1)
	s_or_b32 s3, s0, s3
	s_and_not1_b32 exec_lo, exec_lo, s3
	s_cbranch_execz .LBB805_92
.LBB805_90:                             ; =>This Inner Loop Header: Depth=1
	s_or_b32 s21, s21, exec_lo
	s_cmp_eq_u64 s[14:15], s[22:23]
	s_cbranch_scc0 .LBB805_88
; %bb.91:                               ;   in Loop: Header=BB805_90 Depth=1
	s_mov_b64 s[22:23], s[8:9]
                                        ; implicit-def: $vgpr59_vgpr60
                                        ; implicit-def: $vgpr61_vgpr62
	s_branch .LBB805_89
.LBB805_92:
	s_set_inst_prefetch_distance 0x2
	s_or_b32 exec_lo, exec_lo, s3
	v_cmp_gt_i64_e32 vcc_lo, s[8:9], v[63:64]
	s_mov_b32 s0, 0
	s_delay_alu instid0(SALU_CYCLE_1)
	v_mov_b32_e32 v114, s0
	v_cndmask_b32_e64 v113, 0, 1, vcc_lo
.LBB805_93:
	s_or_b32 exec_lo, exec_lo, s1
.LBB805_94:
	v_mul_lo_u32 v61, v10, s8
	v_mul_lo_u32 v62, v9, s9
	v_mad_u64_u32 v[59:60], null, v9, s8, 0
	v_mov_b32_e32 v119, 0
	v_mov_b32_e32 v120, 0
	v_cmp_ne_u32_e32 vcc_lo, 1, v65
	s_delay_alu instid0(VALU_DEP_2) | instskip(SKIP_1) | instid1(VALU_DEP_1)
	v_dual_mov_b32 v117, v119 :: v_dual_mov_b32 v118, v120
	v_add3_u32 v60, v60, v62, v61
	v_lshlrev_b64 v[59:60], 3, v[59:60]
	s_cbranch_vccnz .LBB805_103
; %bb.95:
	v_add_co_u32 v61, vcc_lo, s10, v57
	v_add_co_ci_u32_e32 v62, vcc_lo, s11, v58, vcc_lo
	s_delay_alu instid0(VALU_DEP_3) | instskip(NEXT) | instid1(VALU_DEP_4)
	v_add_co_u32 v57, vcc_lo, s10, v59
	v_add_co_ci_u32_e32 v58, vcc_lo, s11, v60, vcc_lo
	v_mov_b32_e32 v117, 1
	s_clause 0x1
	global_load_b64 v[63:64], v[61:62], off
	global_load_b64 v[66:67], v[57:58], off
	v_mov_b32_e32 v118, 0
	s_mov_b32 s1, exec_lo
	s_waitcnt vmcnt(0)
	v_cmpx_eq_f64_e32 v[63:64], v[66:67]
	s_cbranch_execz .LBB805_102
; %bb.96:
	v_add_co_u32 v57, vcc_lo, v57, 8
	v_add_co_ci_u32_e32 v58, vcc_lo, 0, v58, vcc_lo
	v_add_co_u32 v61, vcc_lo, v61, 8
	v_add_co_ci_u32_e32 v62, vcc_lo, 0, v62, vcc_lo
	s_add_u32 s14, s8, -1
	s_addc_u32 s15, s9, -1
	s_mov_b64 s[22:23], 0
	s_mov_b32 s3, 0
                                        ; implicit-def: $sgpr21
	s_set_inst_prefetch_distance 0x1
	s_branch .LBB805_99
	.p2align	6
.LBB805_97:                             ;   in Loop: Header=BB805_99 Depth=1
	global_load_b64 v[63:64], v[61:62], off
	global_load_b64 v[66:67], v[57:58], off
	v_add_co_u32 v57, s0, v57, 8
	s_delay_alu instid0(VALU_DEP_1) | instskip(SKIP_1) | instid1(VALU_DEP_1)
	v_add_co_ci_u32_e64 v58, s0, 0, v58, s0
	v_add_co_u32 v61, s0, v61, 8
	v_add_co_ci_u32_e64 v62, s0, 0, v62, s0
	s_add_u32 s22, s22, 1
	s_addc_u32 s23, s23, 0
	s_and_not1_b32 s0, s21, exec_lo
	s_waitcnt vmcnt(0)
	v_cmp_neq_f64_e32 vcc_lo, v[63:64], v[66:67]
	s_and_b32 s21, vcc_lo, exec_lo
	s_delay_alu instid0(SALU_CYCLE_1)
	s_or_b32 s21, s0, s21
.LBB805_98:                             ;   in Loop: Header=BB805_99 Depth=1
	v_dual_mov_b32 v64, s23 :: v_dual_mov_b32 v63, s22
	s_and_b32 s0, exec_lo, s21
	s_delay_alu instid0(SALU_CYCLE_1) | instskip(NEXT) | instid1(SALU_CYCLE_1)
	s_or_b32 s3, s0, s3
	s_and_not1_b32 exec_lo, exec_lo, s3
	s_cbranch_execz .LBB805_101
.LBB805_99:                             ; =>This Inner Loop Header: Depth=1
	s_or_b32 s21, s21, exec_lo
	s_cmp_eq_u64 s[14:15], s[22:23]
	s_cbranch_scc0 .LBB805_97
; %bb.100:                              ;   in Loop: Header=BB805_99 Depth=1
	s_mov_b64 s[22:23], s[8:9]
                                        ; implicit-def: $vgpr57_vgpr58
                                        ; implicit-def: $vgpr61_vgpr62
	s_branch .LBB805_98
.LBB805_101:
	s_set_inst_prefetch_distance 0x2
	s_or_b32 exec_lo, exec_lo, s3
	v_cmp_gt_i64_e32 vcc_lo, s[8:9], v[63:64]
	s_mov_b32 s0, 0
	s_delay_alu instid0(SALU_CYCLE_1)
	v_mov_b32_e32 v118, s0
	v_cndmask_b32_e64 v117, 0, 1, vcc_lo
.LBB805_102:
	s_or_b32 exec_lo, exec_lo, s1
.LBB805_103:
	v_mul_lo_u32 v61, v56, s8
	v_mul_lo_u32 v62, v55, s9
	v_mad_u64_u32 v[57:58], null, v55, s8, 0
	v_cmp_ne_u32_e32 vcc_lo, 1, v65
	s_delay_alu instid0(VALU_DEP_2) | instskip(NEXT) | instid1(VALU_DEP_1)
	v_add3_u32 v58, v58, v62, v61
	v_lshlrev_b64 v[57:58], 3, v[57:58]
	s_cbranch_vccnz .LBB805_112
; %bb.104:
	v_add_co_u32 v61, vcc_lo, s10, v59
	v_add_co_ci_u32_e32 v62, vcc_lo, s11, v60, vcc_lo
	s_delay_alu instid0(VALU_DEP_3) | instskip(NEXT) | instid1(VALU_DEP_4)
	v_add_co_u32 v59, vcc_lo, s10, v57
	v_add_co_ci_u32_e32 v60, vcc_lo, s11, v58, vcc_lo
	v_mov_b32_e32 v119, 1
	s_clause 0x1
	global_load_b64 v[63:64], v[61:62], off
	global_load_b64 v[66:67], v[59:60], off
	v_mov_b32_e32 v120, 0
	s_mov_b32 s1, exec_lo
	s_waitcnt vmcnt(0)
	v_cmpx_eq_f64_e32 v[63:64], v[66:67]
	s_cbranch_execz .LBB805_111
; %bb.105:
	v_add_co_u32 v59, vcc_lo, v59, 8
	v_add_co_ci_u32_e32 v60, vcc_lo, 0, v60, vcc_lo
	v_add_co_u32 v61, vcc_lo, v61, 8
	v_add_co_ci_u32_e32 v62, vcc_lo, 0, v62, vcc_lo
	s_add_u32 s14, s8, -1
	s_addc_u32 s15, s9, -1
	s_mov_b64 s[22:23], 0
	s_mov_b32 s3, 0
                                        ; implicit-def: $sgpr21
	s_set_inst_prefetch_distance 0x1
	s_branch .LBB805_108
	.p2align	6
.LBB805_106:                            ;   in Loop: Header=BB805_108 Depth=1
	global_load_b64 v[63:64], v[61:62], off
	global_load_b64 v[66:67], v[59:60], off
	v_add_co_u32 v59, s0, v59, 8
	s_delay_alu instid0(VALU_DEP_1) | instskip(SKIP_1) | instid1(VALU_DEP_1)
	v_add_co_ci_u32_e64 v60, s0, 0, v60, s0
	v_add_co_u32 v61, s0, v61, 8
	v_add_co_ci_u32_e64 v62, s0, 0, v62, s0
	s_add_u32 s22, s22, 1
	s_addc_u32 s23, s23, 0
	s_and_not1_b32 s0, s21, exec_lo
	s_waitcnt vmcnt(0)
	v_cmp_neq_f64_e32 vcc_lo, v[63:64], v[66:67]
	s_and_b32 s21, vcc_lo, exec_lo
	s_delay_alu instid0(SALU_CYCLE_1)
	s_or_b32 s21, s0, s21
.LBB805_107:                            ;   in Loop: Header=BB805_108 Depth=1
	v_dual_mov_b32 v64, s23 :: v_dual_mov_b32 v63, s22
	s_and_b32 s0, exec_lo, s21
	s_delay_alu instid0(SALU_CYCLE_1) | instskip(NEXT) | instid1(SALU_CYCLE_1)
	s_or_b32 s3, s0, s3
	s_and_not1_b32 exec_lo, exec_lo, s3
	s_cbranch_execz .LBB805_110
.LBB805_108:                            ; =>This Inner Loop Header: Depth=1
	s_or_b32 s21, s21, exec_lo
	s_cmp_eq_u64 s[14:15], s[22:23]
	s_cbranch_scc0 .LBB805_106
; %bb.109:                              ;   in Loop: Header=BB805_108 Depth=1
	s_mov_b64 s[22:23], s[8:9]
                                        ; implicit-def: $vgpr59_vgpr60
                                        ; implicit-def: $vgpr61_vgpr62
	s_branch .LBB805_107
.LBB805_110:
	s_set_inst_prefetch_distance 0x2
	s_or_b32 exec_lo, exec_lo, s3
	v_cmp_gt_i64_e32 vcc_lo, s[8:9], v[63:64]
	s_mov_b32 s0, 0
	s_delay_alu instid0(SALU_CYCLE_1)
	v_mov_b32_e32 v120, s0
	v_cndmask_b32_e64 v119, 0, 1, vcc_lo
.LBB805_111:
	s_or_b32 exec_lo, exec_lo, s1
.LBB805_112:
	v_mul_lo_u32 v61, v54, s8
	v_mul_lo_u32 v62, v53, s9
	v_mad_u64_u32 v[59:60], null, v53, s8, 0
	v_mov_b32_e32 v123, 0
	v_mov_b32_e32 v124, 0
	v_cmp_ne_u32_e32 vcc_lo, 1, v65
	s_delay_alu instid0(VALU_DEP_2) | instskip(SKIP_1) | instid1(VALU_DEP_1)
	v_dual_mov_b32 v121, v123 :: v_dual_mov_b32 v122, v124
	v_add3_u32 v60, v60, v62, v61
	v_lshlrev_b64 v[59:60], 3, v[59:60]
	s_cbranch_vccnz .LBB805_121
; %bb.113:
	v_add_co_u32 v61, vcc_lo, s10, v57
	v_add_co_ci_u32_e32 v62, vcc_lo, s11, v58, vcc_lo
	s_delay_alu instid0(VALU_DEP_3) | instskip(NEXT) | instid1(VALU_DEP_4)
	v_add_co_u32 v57, vcc_lo, s10, v59
	v_add_co_ci_u32_e32 v58, vcc_lo, s11, v60, vcc_lo
	v_mov_b32_e32 v121, 1
	s_clause 0x1
	global_load_b64 v[63:64], v[61:62], off
	global_load_b64 v[66:67], v[57:58], off
	v_mov_b32_e32 v122, 0
	s_mov_b32 s1, exec_lo
	s_waitcnt vmcnt(0)
	v_cmpx_eq_f64_e32 v[63:64], v[66:67]
	s_cbranch_execz .LBB805_120
; %bb.114:
	v_add_co_u32 v57, vcc_lo, v57, 8
	v_add_co_ci_u32_e32 v58, vcc_lo, 0, v58, vcc_lo
	v_add_co_u32 v61, vcc_lo, v61, 8
	v_add_co_ci_u32_e32 v62, vcc_lo, 0, v62, vcc_lo
	s_add_u32 s14, s8, -1
	s_addc_u32 s15, s9, -1
	s_mov_b64 s[22:23], 0
	s_mov_b32 s3, 0
                                        ; implicit-def: $sgpr21
	s_set_inst_prefetch_distance 0x1
	s_branch .LBB805_117
	.p2align	6
.LBB805_115:                            ;   in Loop: Header=BB805_117 Depth=1
	global_load_b64 v[63:64], v[61:62], off
	global_load_b64 v[66:67], v[57:58], off
	v_add_co_u32 v57, s0, v57, 8
	s_delay_alu instid0(VALU_DEP_1) | instskip(SKIP_1) | instid1(VALU_DEP_1)
	v_add_co_ci_u32_e64 v58, s0, 0, v58, s0
	v_add_co_u32 v61, s0, v61, 8
	v_add_co_ci_u32_e64 v62, s0, 0, v62, s0
	s_add_u32 s22, s22, 1
	s_addc_u32 s23, s23, 0
	s_and_not1_b32 s0, s21, exec_lo
	s_waitcnt vmcnt(0)
	v_cmp_neq_f64_e32 vcc_lo, v[63:64], v[66:67]
	s_and_b32 s21, vcc_lo, exec_lo
	s_delay_alu instid0(SALU_CYCLE_1)
	s_or_b32 s21, s0, s21
.LBB805_116:                            ;   in Loop: Header=BB805_117 Depth=1
	v_dual_mov_b32 v64, s23 :: v_dual_mov_b32 v63, s22
	s_and_b32 s0, exec_lo, s21
	s_delay_alu instid0(SALU_CYCLE_1) | instskip(NEXT) | instid1(SALU_CYCLE_1)
	s_or_b32 s3, s0, s3
	s_and_not1_b32 exec_lo, exec_lo, s3
	s_cbranch_execz .LBB805_119
.LBB805_117:                            ; =>This Inner Loop Header: Depth=1
	s_or_b32 s21, s21, exec_lo
	s_cmp_eq_u64 s[14:15], s[22:23]
	s_cbranch_scc0 .LBB805_115
; %bb.118:                              ;   in Loop: Header=BB805_117 Depth=1
	s_mov_b64 s[22:23], s[8:9]
                                        ; implicit-def: $vgpr57_vgpr58
                                        ; implicit-def: $vgpr61_vgpr62
	s_branch .LBB805_116
.LBB805_119:
	s_set_inst_prefetch_distance 0x2
	s_or_b32 exec_lo, exec_lo, s3
	v_cmp_gt_i64_e32 vcc_lo, s[8:9], v[63:64]
	s_mov_b32 s0, 0
	s_delay_alu instid0(SALU_CYCLE_1)
	v_mov_b32_e32 v122, s0
	v_cndmask_b32_e64 v121, 0, 1, vcc_lo
.LBB805_120:
	s_or_b32 exec_lo, exec_lo, s1
.LBB805_121:
	v_mul_lo_u32 v61, v52, s8
	v_mul_lo_u32 v62, v51, s9
	v_mad_u64_u32 v[57:58], null, v51, s8, 0
	v_cmp_ne_u32_e32 vcc_lo, 1, v65
	s_delay_alu instid0(VALU_DEP_2) | instskip(NEXT) | instid1(VALU_DEP_1)
	v_add3_u32 v58, v58, v62, v61
	v_lshlrev_b64 v[57:58], 3, v[57:58]
	s_cbranch_vccnz .LBB805_130
; %bb.122:
	v_add_co_u32 v61, vcc_lo, s10, v59
	v_add_co_ci_u32_e32 v62, vcc_lo, s11, v60, vcc_lo
	s_delay_alu instid0(VALU_DEP_3) | instskip(NEXT) | instid1(VALU_DEP_4)
	v_add_co_u32 v59, vcc_lo, s10, v57
	v_add_co_ci_u32_e32 v60, vcc_lo, s11, v58, vcc_lo
	v_mov_b32_e32 v123, 1
	s_clause 0x1
	global_load_b64 v[63:64], v[61:62], off
	global_load_b64 v[66:67], v[59:60], off
	v_mov_b32_e32 v124, 0
	s_mov_b32 s1, exec_lo
	s_waitcnt vmcnt(0)
	v_cmpx_eq_f64_e32 v[63:64], v[66:67]
	s_cbranch_execz .LBB805_129
; %bb.123:
	v_add_co_u32 v59, vcc_lo, v59, 8
	v_add_co_ci_u32_e32 v60, vcc_lo, 0, v60, vcc_lo
	v_add_co_u32 v61, vcc_lo, v61, 8
	v_add_co_ci_u32_e32 v62, vcc_lo, 0, v62, vcc_lo
	s_add_u32 s14, s8, -1
	s_addc_u32 s15, s9, -1
	s_mov_b64 s[22:23], 0
	s_mov_b32 s3, 0
                                        ; implicit-def: $sgpr21
	s_set_inst_prefetch_distance 0x1
	s_branch .LBB805_126
	.p2align	6
.LBB805_124:                            ;   in Loop: Header=BB805_126 Depth=1
	global_load_b64 v[63:64], v[61:62], off
	global_load_b64 v[66:67], v[59:60], off
	v_add_co_u32 v59, s0, v59, 8
	s_delay_alu instid0(VALU_DEP_1) | instskip(SKIP_1) | instid1(VALU_DEP_1)
	v_add_co_ci_u32_e64 v60, s0, 0, v60, s0
	v_add_co_u32 v61, s0, v61, 8
	v_add_co_ci_u32_e64 v62, s0, 0, v62, s0
	s_add_u32 s22, s22, 1
	s_addc_u32 s23, s23, 0
	s_and_not1_b32 s0, s21, exec_lo
	s_waitcnt vmcnt(0)
	v_cmp_neq_f64_e32 vcc_lo, v[63:64], v[66:67]
	s_and_b32 s21, vcc_lo, exec_lo
	s_delay_alu instid0(SALU_CYCLE_1)
	s_or_b32 s21, s0, s21
.LBB805_125:                            ;   in Loop: Header=BB805_126 Depth=1
	v_dual_mov_b32 v64, s23 :: v_dual_mov_b32 v63, s22
	s_and_b32 s0, exec_lo, s21
	s_delay_alu instid0(SALU_CYCLE_1) | instskip(NEXT) | instid1(SALU_CYCLE_1)
	s_or_b32 s3, s0, s3
	s_and_not1_b32 exec_lo, exec_lo, s3
	s_cbranch_execz .LBB805_128
.LBB805_126:                            ; =>This Inner Loop Header: Depth=1
	s_or_b32 s21, s21, exec_lo
	s_cmp_eq_u64 s[14:15], s[22:23]
	s_cbranch_scc0 .LBB805_124
; %bb.127:                              ;   in Loop: Header=BB805_126 Depth=1
	s_mov_b64 s[22:23], s[8:9]
                                        ; implicit-def: $vgpr59_vgpr60
                                        ; implicit-def: $vgpr61_vgpr62
	s_branch .LBB805_125
.LBB805_128:
	s_set_inst_prefetch_distance 0x2
	s_or_b32 exec_lo, exec_lo, s3
	v_cmp_gt_i64_e32 vcc_lo, s[8:9], v[63:64]
	s_mov_b32 s0, 0
	s_delay_alu instid0(SALU_CYCLE_1)
	v_mov_b32_e32 v124, s0
	v_cndmask_b32_e64 v123, 0, 1, vcc_lo
.LBB805_129:
	s_or_b32 exec_lo, exec_lo, s1
.LBB805_130:
	v_mul_lo_u32 v61, v50, s8
	v_mul_lo_u32 v62, v49, s9
	v_mad_u64_u32 v[59:60], null, v49, s8, 0
	v_mov_b32_e32 v127, 0
	v_mov_b32_e32 v128, 0
	v_cmp_ne_u32_e32 vcc_lo, 1, v65
	s_delay_alu instid0(VALU_DEP_2) | instskip(SKIP_1) | instid1(VALU_DEP_1)
	v_dual_mov_b32 v125, v127 :: v_dual_mov_b32 v126, v128
	v_add3_u32 v60, v60, v62, v61
	v_lshlrev_b64 v[59:60], 3, v[59:60]
	s_cbranch_vccnz .LBB805_139
; %bb.131:
	v_add_co_u32 v61, vcc_lo, s10, v57
	v_add_co_ci_u32_e32 v62, vcc_lo, s11, v58, vcc_lo
	s_delay_alu instid0(VALU_DEP_3) | instskip(NEXT) | instid1(VALU_DEP_4)
	v_add_co_u32 v57, vcc_lo, s10, v59
	v_add_co_ci_u32_e32 v58, vcc_lo, s11, v60, vcc_lo
	v_mov_b32_e32 v125, 1
	s_clause 0x1
	global_load_b64 v[63:64], v[61:62], off
	global_load_b64 v[66:67], v[57:58], off
	v_mov_b32_e32 v126, 0
	s_mov_b32 s1, exec_lo
	s_waitcnt vmcnt(0)
	v_cmpx_eq_f64_e32 v[63:64], v[66:67]
	s_cbranch_execz .LBB805_138
; %bb.132:
	v_add_co_u32 v57, vcc_lo, v57, 8
	v_add_co_ci_u32_e32 v58, vcc_lo, 0, v58, vcc_lo
	v_add_co_u32 v61, vcc_lo, v61, 8
	v_add_co_ci_u32_e32 v62, vcc_lo, 0, v62, vcc_lo
	s_add_u32 s14, s8, -1
	s_addc_u32 s15, s9, -1
	s_mov_b64 s[22:23], 0
	s_mov_b32 s3, 0
                                        ; implicit-def: $sgpr21
	s_set_inst_prefetch_distance 0x1
	s_branch .LBB805_135
	.p2align	6
.LBB805_133:                            ;   in Loop: Header=BB805_135 Depth=1
	global_load_b64 v[63:64], v[61:62], off
	global_load_b64 v[66:67], v[57:58], off
	v_add_co_u32 v57, s0, v57, 8
	s_delay_alu instid0(VALU_DEP_1) | instskip(SKIP_1) | instid1(VALU_DEP_1)
	v_add_co_ci_u32_e64 v58, s0, 0, v58, s0
	v_add_co_u32 v61, s0, v61, 8
	v_add_co_ci_u32_e64 v62, s0, 0, v62, s0
	s_add_u32 s22, s22, 1
	s_addc_u32 s23, s23, 0
	s_and_not1_b32 s0, s21, exec_lo
	s_waitcnt vmcnt(0)
	v_cmp_neq_f64_e32 vcc_lo, v[63:64], v[66:67]
	s_and_b32 s21, vcc_lo, exec_lo
	s_delay_alu instid0(SALU_CYCLE_1)
	s_or_b32 s21, s0, s21
.LBB805_134:                            ;   in Loop: Header=BB805_135 Depth=1
	v_dual_mov_b32 v64, s23 :: v_dual_mov_b32 v63, s22
	s_and_b32 s0, exec_lo, s21
	s_delay_alu instid0(SALU_CYCLE_1) | instskip(NEXT) | instid1(SALU_CYCLE_1)
	s_or_b32 s3, s0, s3
	s_and_not1_b32 exec_lo, exec_lo, s3
	s_cbranch_execz .LBB805_137
.LBB805_135:                            ; =>This Inner Loop Header: Depth=1
	s_or_b32 s21, s21, exec_lo
	s_cmp_eq_u64 s[14:15], s[22:23]
	s_cbranch_scc0 .LBB805_133
; %bb.136:                              ;   in Loop: Header=BB805_135 Depth=1
	s_mov_b64 s[22:23], s[8:9]
                                        ; implicit-def: $vgpr57_vgpr58
                                        ; implicit-def: $vgpr61_vgpr62
	s_branch .LBB805_134
.LBB805_137:
	s_set_inst_prefetch_distance 0x2
	s_or_b32 exec_lo, exec_lo, s3
	v_cmp_gt_i64_e32 vcc_lo, s[8:9], v[63:64]
	s_mov_b32 s0, 0
	s_delay_alu instid0(SALU_CYCLE_1)
	v_mov_b32_e32 v126, s0
	v_cndmask_b32_e64 v125, 0, 1, vcc_lo
.LBB805_138:
	s_or_b32 exec_lo, exec_lo, s1
.LBB805_139:
	v_mul_lo_u32 v61, v48, s8
	v_mul_lo_u32 v62, v47, s9
	v_mad_u64_u32 v[57:58], null, v47, s8, 0
	v_cmp_ne_u32_e32 vcc_lo, 1, v65
	s_delay_alu instid0(VALU_DEP_2) | instskip(NEXT) | instid1(VALU_DEP_1)
	v_add3_u32 v58, v58, v62, v61
	v_lshlrev_b64 v[57:58], 3, v[57:58]
	s_cbranch_vccnz .LBB805_148
; %bb.140:
	v_add_co_u32 v61, vcc_lo, s10, v59
	v_add_co_ci_u32_e32 v62, vcc_lo, s11, v60, vcc_lo
	s_delay_alu instid0(VALU_DEP_3) | instskip(NEXT) | instid1(VALU_DEP_4)
	v_add_co_u32 v59, vcc_lo, s10, v57
	v_add_co_ci_u32_e32 v60, vcc_lo, s11, v58, vcc_lo
	v_mov_b32_e32 v127, 1
	s_clause 0x1
	global_load_b64 v[63:64], v[61:62], off
	global_load_b64 v[66:67], v[59:60], off
	v_mov_b32_e32 v128, 0
	s_mov_b32 s1, exec_lo
	s_waitcnt vmcnt(0)
	v_cmpx_eq_f64_e32 v[63:64], v[66:67]
	s_cbranch_execz .LBB805_147
; %bb.141:
	v_add_co_u32 v59, vcc_lo, v59, 8
	v_add_co_ci_u32_e32 v60, vcc_lo, 0, v60, vcc_lo
	v_add_co_u32 v61, vcc_lo, v61, 8
	v_add_co_ci_u32_e32 v62, vcc_lo, 0, v62, vcc_lo
	s_add_u32 s14, s8, -1
	s_addc_u32 s15, s9, -1
	s_mov_b64 s[22:23], 0
	s_mov_b32 s3, 0
                                        ; implicit-def: $sgpr21
	s_set_inst_prefetch_distance 0x1
	s_branch .LBB805_144
	.p2align	6
.LBB805_142:                            ;   in Loop: Header=BB805_144 Depth=1
	global_load_b64 v[63:64], v[61:62], off
	global_load_b64 v[66:67], v[59:60], off
	v_add_co_u32 v59, s0, v59, 8
	s_delay_alu instid0(VALU_DEP_1) | instskip(SKIP_1) | instid1(VALU_DEP_1)
	v_add_co_ci_u32_e64 v60, s0, 0, v60, s0
	v_add_co_u32 v61, s0, v61, 8
	v_add_co_ci_u32_e64 v62, s0, 0, v62, s0
	s_add_u32 s22, s22, 1
	s_addc_u32 s23, s23, 0
	s_and_not1_b32 s0, s21, exec_lo
	s_waitcnt vmcnt(0)
	v_cmp_neq_f64_e32 vcc_lo, v[63:64], v[66:67]
	s_and_b32 s21, vcc_lo, exec_lo
	s_delay_alu instid0(SALU_CYCLE_1)
	s_or_b32 s21, s0, s21
.LBB805_143:                            ;   in Loop: Header=BB805_144 Depth=1
	v_dual_mov_b32 v64, s23 :: v_dual_mov_b32 v63, s22
	s_and_b32 s0, exec_lo, s21
	s_delay_alu instid0(SALU_CYCLE_1) | instskip(NEXT) | instid1(SALU_CYCLE_1)
	s_or_b32 s3, s0, s3
	s_and_not1_b32 exec_lo, exec_lo, s3
	s_cbranch_execz .LBB805_146
.LBB805_144:                            ; =>This Inner Loop Header: Depth=1
	s_or_b32 s21, s21, exec_lo
	s_cmp_eq_u64 s[14:15], s[22:23]
	s_cbranch_scc0 .LBB805_142
; %bb.145:                              ;   in Loop: Header=BB805_144 Depth=1
	s_mov_b64 s[22:23], s[8:9]
                                        ; implicit-def: $vgpr59_vgpr60
                                        ; implicit-def: $vgpr61_vgpr62
	s_branch .LBB805_143
.LBB805_146:
	s_set_inst_prefetch_distance 0x2
	s_or_b32 exec_lo, exec_lo, s3
	v_cmp_gt_i64_e32 vcc_lo, s[8:9], v[63:64]
	s_mov_b32 s0, 0
	s_delay_alu instid0(SALU_CYCLE_1)
	v_mov_b32_e32 v128, s0
	v_cndmask_b32_e64 v127, 0, 1, vcc_lo
.LBB805_147:
	s_or_b32 exec_lo, exec_lo, s1
.LBB805_148:
	v_mul_lo_u32 v61, v46, s8
	v_mul_lo_u32 v62, v45, s9
	v_mad_u64_u32 v[59:60], null, v45, s8, 0
	v_mov_b32_e32 v131, 0
	v_mov_b32_e32 v132, 0
	v_cmp_ne_u32_e32 vcc_lo, 1, v65
	s_delay_alu instid0(VALU_DEP_2) | instskip(SKIP_1) | instid1(VALU_DEP_1)
	v_dual_mov_b32 v129, v131 :: v_dual_mov_b32 v130, v132
	v_add3_u32 v60, v60, v62, v61
	v_lshlrev_b64 v[59:60], 3, v[59:60]
	s_cbranch_vccnz .LBB805_157
; %bb.149:
	v_add_co_u32 v61, vcc_lo, s10, v57
	v_add_co_ci_u32_e32 v62, vcc_lo, s11, v58, vcc_lo
	s_delay_alu instid0(VALU_DEP_3) | instskip(NEXT) | instid1(VALU_DEP_4)
	v_add_co_u32 v57, vcc_lo, s10, v59
	v_add_co_ci_u32_e32 v58, vcc_lo, s11, v60, vcc_lo
	v_mov_b32_e32 v129, 1
	s_clause 0x1
	global_load_b64 v[63:64], v[61:62], off
	global_load_b64 v[66:67], v[57:58], off
	v_mov_b32_e32 v130, 0
	s_mov_b32 s1, exec_lo
	s_waitcnt vmcnt(0)
	v_cmpx_eq_f64_e32 v[63:64], v[66:67]
	s_cbranch_execz .LBB805_156
; %bb.150:
	v_add_co_u32 v57, vcc_lo, v57, 8
	v_add_co_ci_u32_e32 v58, vcc_lo, 0, v58, vcc_lo
	v_add_co_u32 v61, vcc_lo, v61, 8
	v_add_co_ci_u32_e32 v62, vcc_lo, 0, v62, vcc_lo
	s_add_u32 s14, s8, -1
	s_addc_u32 s15, s9, -1
	s_mov_b64 s[22:23], 0
	s_mov_b32 s3, 0
                                        ; implicit-def: $sgpr21
	s_set_inst_prefetch_distance 0x1
	s_branch .LBB805_153
	.p2align	6
.LBB805_151:                            ;   in Loop: Header=BB805_153 Depth=1
	global_load_b64 v[63:64], v[61:62], off
	global_load_b64 v[66:67], v[57:58], off
	v_add_co_u32 v57, s0, v57, 8
	s_delay_alu instid0(VALU_DEP_1) | instskip(SKIP_1) | instid1(VALU_DEP_1)
	v_add_co_ci_u32_e64 v58, s0, 0, v58, s0
	v_add_co_u32 v61, s0, v61, 8
	v_add_co_ci_u32_e64 v62, s0, 0, v62, s0
	s_add_u32 s22, s22, 1
	s_addc_u32 s23, s23, 0
	s_and_not1_b32 s0, s21, exec_lo
	s_waitcnt vmcnt(0)
	v_cmp_neq_f64_e32 vcc_lo, v[63:64], v[66:67]
	s_and_b32 s21, vcc_lo, exec_lo
	s_delay_alu instid0(SALU_CYCLE_1)
	s_or_b32 s21, s0, s21
.LBB805_152:                            ;   in Loop: Header=BB805_153 Depth=1
	v_dual_mov_b32 v64, s23 :: v_dual_mov_b32 v63, s22
	s_and_b32 s0, exec_lo, s21
	s_delay_alu instid0(SALU_CYCLE_1) | instskip(NEXT) | instid1(SALU_CYCLE_1)
	s_or_b32 s3, s0, s3
	s_and_not1_b32 exec_lo, exec_lo, s3
	s_cbranch_execz .LBB805_155
.LBB805_153:                            ; =>This Inner Loop Header: Depth=1
	s_or_b32 s21, s21, exec_lo
	s_cmp_eq_u64 s[14:15], s[22:23]
	s_cbranch_scc0 .LBB805_151
; %bb.154:                              ;   in Loop: Header=BB805_153 Depth=1
	s_mov_b64 s[22:23], s[8:9]
                                        ; implicit-def: $vgpr57_vgpr58
                                        ; implicit-def: $vgpr61_vgpr62
	s_branch .LBB805_152
.LBB805_155:
	s_set_inst_prefetch_distance 0x2
	s_or_b32 exec_lo, exec_lo, s3
	v_cmp_gt_i64_e32 vcc_lo, s[8:9], v[63:64]
	s_mov_b32 s0, 0
	s_delay_alu instid0(SALU_CYCLE_1)
	v_mov_b32_e32 v130, s0
	v_cndmask_b32_e64 v129, 0, 1, vcc_lo
.LBB805_156:
	s_or_b32 exec_lo, exec_lo, s1
.LBB805_157:
	v_mul_lo_u32 v61, v44, s8
	v_mul_lo_u32 v62, v43, s9
	v_mad_u64_u32 v[57:58], null, v43, s8, 0
	v_cmp_ne_u32_e32 vcc_lo, 1, v65
	s_delay_alu instid0(VALU_DEP_2) | instskip(NEXT) | instid1(VALU_DEP_1)
	v_add3_u32 v58, v58, v62, v61
	v_lshlrev_b64 v[57:58], 3, v[57:58]
	s_cbranch_vccnz .LBB805_166
; %bb.158:
	v_add_co_u32 v61, vcc_lo, s10, v59
	v_add_co_ci_u32_e32 v62, vcc_lo, s11, v60, vcc_lo
	s_delay_alu instid0(VALU_DEP_3) | instskip(NEXT) | instid1(VALU_DEP_4)
	v_add_co_u32 v59, vcc_lo, s10, v57
	v_add_co_ci_u32_e32 v60, vcc_lo, s11, v58, vcc_lo
	v_mov_b32_e32 v131, 1
	s_clause 0x1
	global_load_b64 v[63:64], v[61:62], off
	global_load_b64 v[66:67], v[59:60], off
	v_mov_b32_e32 v132, 0
	s_mov_b32 s1, exec_lo
	s_waitcnt vmcnt(0)
	v_cmpx_eq_f64_e32 v[63:64], v[66:67]
	s_cbranch_execz .LBB805_165
; %bb.159:
	v_add_co_u32 v59, vcc_lo, v59, 8
	v_add_co_ci_u32_e32 v60, vcc_lo, 0, v60, vcc_lo
	v_add_co_u32 v61, vcc_lo, v61, 8
	v_add_co_ci_u32_e32 v62, vcc_lo, 0, v62, vcc_lo
	s_add_u32 s14, s8, -1
	s_addc_u32 s15, s9, -1
	s_mov_b64 s[22:23], 0
	s_mov_b32 s3, 0
                                        ; implicit-def: $sgpr21
	s_set_inst_prefetch_distance 0x1
	s_branch .LBB805_162
	.p2align	6
.LBB805_160:                            ;   in Loop: Header=BB805_162 Depth=1
	global_load_b64 v[63:64], v[61:62], off
	global_load_b64 v[66:67], v[59:60], off
	v_add_co_u32 v59, s0, v59, 8
	s_delay_alu instid0(VALU_DEP_1) | instskip(SKIP_1) | instid1(VALU_DEP_1)
	v_add_co_ci_u32_e64 v60, s0, 0, v60, s0
	v_add_co_u32 v61, s0, v61, 8
	v_add_co_ci_u32_e64 v62, s0, 0, v62, s0
	s_add_u32 s22, s22, 1
	s_addc_u32 s23, s23, 0
	s_and_not1_b32 s0, s21, exec_lo
	s_waitcnt vmcnt(0)
	v_cmp_neq_f64_e32 vcc_lo, v[63:64], v[66:67]
	s_and_b32 s21, vcc_lo, exec_lo
	s_delay_alu instid0(SALU_CYCLE_1)
	s_or_b32 s21, s0, s21
.LBB805_161:                            ;   in Loop: Header=BB805_162 Depth=1
	v_dual_mov_b32 v64, s23 :: v_dual_mov_b32 v63, s22
	s_and_b32 s0, exec_lo, s21
	s_delay_alu instid0(SALU_CYCLE_1) | instskip(NEXT) | instid1(SALU_CYCLE_1)
	s_or_b32 s3, s0, s3
	s_and_not1_b32 exec_lo, exec_lo, s3
	s_cbranch_execz .LBB805_164
.LBB805_162:                            ; =>This Inner Loop Header: Depth=1
	s_or_b32 s21, s21, exec_lo
	s_cmp_eq_u64 s[14:15], s[22:23]
	s_cbranch_scc0 .LBB805_160
; %bb.163:                              ;   in Loop: Header=BB805_162 Depth=1
	s_mov_b64 s[22:23], s[8:9]
                                        ; implicit-def: $vgpr59_vgpr60
                                        ; implicit-def: $vgpr61_vgpr62
	s_branch .LBB805_161
.LBB805_164:
	s_set_inst_prefetch_distance 0x2
	s_or_b32 exec_lo, exec_lo, s3
	v_cmp_gt_i64_e32 vcc_lo, s[8:9], v[63:64]
	s_mov_b32 s0, 0
	s_delay_alu instid0(SALU_CYCLE_1)
	v_mov_b32_e32 v132, s0
	v_cndmask_b32_e64 v131, 0, 1, vcc_lo
.LBB805_165:
	s_or_b32 exec_lo, exec_lo, s1
.LBB805_166:
	v_mul_lo_u32 v61, v42, s8
	v_mul_lo_u32 v62, v41, s9
	v_mad_u64_u32 v[59:60], null, v41, s8, 0
	v_mov_b32_e32 v135, 0
	v_mov_b32_e32 v136, 0
	v_cmp_ne_u32_e32 vcc_lo, 1, v65
	s_delay_alu instid0(VALU_DEP_2) | instskip(SKIP_1) | instid1(VALU_DEP_1)
	v_dual_mov_b32 v133, v135 :: v_dual_mov_b32 v134, v136
	v_add3_u32 v60, v60, v62, v61
	v_lshlrev_b64 v[59:60], 3, v[59:60]
	s_cbranch_vccnz .LBB805_175
; %bb.167:
	v_add_co_u32 v61, vcc_lo, s10, v57
	v_add_co_ci_u32_e32 v62, vcc_lo, s11, v58, vcc_lo
	s_delay_alu instid0(VALU_DEP_3) | instskip(NEXT) | instid1(VALU_DEP_4)
	v_add_co_u32 v57, vcc_lo, s10, v59
	v_add_co_ci_u32_e32 v58, vcc_lo, s11, v60, vcc_lo
	v_mov_b32_e32 v133, 1
	s_clause 0x1
	global_load_b64 v[63:64], v[61:62], off
	global_load_b64 v[66:67], v[57:58], off
	v_mov_b32_e32 v134, 0
	s_mov_b32 s1, exec_lo
	s_waitcnt vmcnt(0)
	v_cmpx_eq_f64_e32 v[63:64], v[66:67]
	s_cbranch_execz .LBB805_174
; %bb.168:
	v_add_co_u32 v57, vcc_lo, v57, 8
	v_add_co_ci_u32_e32 v58, vcc_lo, 0, v58, vcc_lo
	v_add_co_u32 v61, vcc_lo, v61, 8
	v_add_co_ci_u32_e32 v62, vcc_lo, 0, v62, vcc_lo
	s_add_u32 s14, s8, -1
	s_addc_u32 s15, s9, -1
	s_mov_b64 s[22:23], 0
	s_mov_b32 s3, 0
                                        ; implicit-def: $sgpr21
	s_set_inst_prefetch_distance 0x1
	s_branch .LBB805_171
	.p2align	6
.LBB805_169:                            ;   in Loop: Header=BB805_171 Depth=1
	global_load_b64 v[63:64], v[61:62], off
	global_load_b64 v[66:67], v[57:58], off
	v_add_co_u32 v57, s0, v57, 8
	s_delay_alu instid0(VALU_DEP_1) | instskip(SKIP_1) | instid1(VALU_DEP_1)
	v_add_co_ci_u32_e64 v58, s0, 0, v58, s0
	v_add_co_u32 v61, s0, v61, 8
	v_add_co_ci_u32_e64 v62, s0, 0, v62, s0
	s_add_u32 s22, s22, 1
	s_addc_u32 s23, s23, 0
	s_and_not1_b32 s0, s21, exec_lo
	s_waitcnt vmcnt(0)
	v_cmp_neq_f64_e32 vcc_lo, v[63:64], v[66:67]
	s_and_b32 s21, vcc_lo, exec_lo
	s_delay_alu instid0(SALU_CYCLE_1)
	s_or_b32 s21, s0, s21
.LBB805_170:                            ;   in Loop: Header=BB805_171 Depth=1
	v_dual_mov_b32 v64, s23 :: v_dual_mov_b32 v63, s22
	s_and_b32 s0, exec_lo, s21
	s_delay_alu instid0(SALU_CYCLE_1) | instskip(NEXT) | instid1(SALU_CYCLE_1)
	s_or_b32 s3, s0, s3
	s_and_not1_b32 exec_lo, exec_lo, s3
	s_cbranch_execz .LBB805_173
.LBB805_171:                            ; =>This Inner Loop Header: Depth=1
	s_or_b32 s21, s21, exec_lo
	s_cmp_eq_u64 s[14:15], s[22:23]
	s_cbranch_scc0 .LBB805_169
; %bb.172:                              ;   in Loop: Header=BB805_171 Depth=1
	s_mov_b64 s[22:23], s[8:9]
                                        ; implicit-def: $vgpr57_vgpr58
                                        ; implicit-def: $vgpr61_vgpr62
	s_branch .LBB805_170
.LBB805_173:
	s_set_inst_prefetch_distance 0x2
	s_or_b32 exec_lo, exec_lo, s3
	v_cmp_gt_i64_e32 vcc_lo, s[8:9], v[63:64]
	s_mov_b32 s0, 0
	s_delay_alu instid0(SALU_CYCLE_1)
	v_mov_b32_e32 v134, s0
	v_cndmask_b32_e64 v133, 0, 1, vcc_lo
.LBB805_174:
	s_or_b32 exec_lo, exec_lo, s1
.LBB805_175:
	v_mul_lo_u32 v61, v40, s8
	v_mul_lo_u32 v62, v39, s9
	v_mad_u64_u32 v[57:58], null, v39, s8, 0
	v_cmp_ne_u32_e32 vcc_lo, 1, v65
	s_delay_alu instid0(VALU_DEP_2) | instskip(NEXT) | instid1(VALU_DEP_1)
	v_add3_u32 v58, v58, v62, v61
	v_lshlrev_b64 v[57:58], 3, v[57:58]
	s_cbranch_vccnz .LBB805_184
; %bb.176:
	v_add_co_u32 v61, vcc_lo, s10, v59
	v_add_co_ci_u32_e32 v62, vcc_lo, s11, v60, vcc_lo
	s_delay_alu instid0(VALU_DEP_3) | instskip(NEXT) | instid1(VALU_DEP_4)
	v_add_co_u32 v59, vcc_lo, s10, v57
	v_add_co_ci_u32_e32 v60, vcc_lo, s11, v58, vcc_lo
	v_mov_b32_e32 v135, 1
	s_clause 0x1
	global_load_b64 v[63:64], v[61:62], off
	global_load_b64 v[66:67], v[59:60], off
	v_mov_b32_e32 v136, 0
	s_mov_b32 s1, exec_lo
	s_waitcnt vmcnt(0)
	v_cmpx_eq_f64_e32 v[63:64], v[66:67]
	s_cbranch_execz .LBB805_183
; %bb.177:
	v_add_co_u32 v59, vcc_lo, v59, 8
	v_add_co_ci_u32_e32 v60, vcc_lo, 0, v60, vcc_lo
	v_add_co_u32 v61, vcc_lo, v61, 8
	v_add_co_ci_u32_e32 v62, vcc_lo, 0, v62, vcc_lo
	s_add_u32 s14, s8, -1
	s_addc_u32 s15, s9, -1
	s_mov_b64 s[22:23], 0
	s_mov_b32 s3, 0
                                        ; implicit-def: $sgpr21
	s_set_inst_prefetch_distance 0x1
	s_branch .LBB805_180
	.p2align	6
.LBB805_178:                            ;   in Loop: Header=BB805_180 Depth=1
	global_load_b64 v[63:64], v[61:62], off
	global_load_b64 v[66:67], v[59:60], off
	v_add_co_u32 v59, s0, v59, 8
	s_delay_alu instid0(VALU_DEP_1) | instskip(SKIP_1) | instid1(VALU_DEP_1)
	v_add_co_ci_u32_e64 v60, s0, 0, v60, s0
	v_add_co_u32 v61, s0, v61, 8
	v_add_co_ci_u32_e64 v62, s0, 0, v62, s0
	s_add_u32 s22, s22, 1
	s_addc_u32 s23, s23, 0
	s_and_not1_b32 s0, s21, exec_lo
	s_waitcnt vmcnt(0)
	v_cmp_neq_f64_e32 vcc_lo, v[63:64], v[66:67]
	s_and_b32 s21, vcc_lo, exec_lo
	s_delay_alu instid0(SALU_CYCLE_1)
	s_or_b32 s21, s0, s21
.LBB805_179:                            ;   in Loop: Header=BB805_180 Depth=1
	v_dual_mov_b32 v64, s23 :: v_dual_mov_b32 v63, s22
	s_and_b32 s0, exec_lo, s21
	s_delay_alu instid0(SALU_CYCLE_1) | instskip(NEXT) | instid1(SALU_CYCLE_1)
	s_or_b32 s3, s0, s3
	s_and_not1_b32 exec_lo, exec_lo, s3
	s_cbranch_execz .LBB805_182
.LBB805_180:                            ; =>This Inner Loop Header: Depth=1
	s_or_b32 s21, s21, exec_lo
	s_cmp_eq_u64 s[14:15], s[22:23]
	s_cbranch_scc0 .LBB805_178
; %bb.181:                              ;   in Loop: Header=BB805_180 Depth=1
	s_mov_b64 s[22:23], s[8:9]
                                        ; implicit-def: $vgpr59_vgpr60
                                        ; implicit-def: $vgpr61_vgpr62
	s_branch .LBB805_179
.LBB805_182:
	s_set_inst_prefetch_distance 0x2
	s_or_b32 exec_lo, exec_lo, s3
	v_cmp_gt_i64_e32 vcc_lo, s[8:9], v[63:64]
	s_mov_b32 s0, 0
	s_delay_alu instid0(SALU_CYCLE_1)
	v_mov_b32_e32 v136, s0
	v_cndmask_b32_e64 v135, 0, 1, vcc_lo
.LBB805_183:
	s_or_b32 exec_lo, exec_lo, s1
.LBB805_184:
	v_mul_lo_u32 v61, v38, s8
	v_mul_lo_u32 v62, v37, s9
	v_mad_u64_u32 v[59:60], null, v37, s8, 0
	v_mov_b32_e32 v139, 0
	v_mov_b32_e32 v140, 0
	v_cmp_ne_u32_e32 vcc_lo, 1, v65
	s_delay_alu instid0(VALU_DEP_2) | instskip(SKIP_1) | instid1(VALU_DEP_1)
	v_dual_mov_b32 v137, v139 :: v_dual_mov_b32 v138, v140
	v_add3_u32 v60, v60, v62, v61
	v_lshlrev_b64 v[59:60], 3, v[59:60]
	s_cbranch_vccnz .LBB805_193
; %bb.185:
	v_add_co_u32 v61, vcc_lo, s10, v57
	v_add_co_ci_u32_e32 v62, vcc_lo, s11, v58, vcc_lo
	s_delay_alu instid0(VALU_DEP_3) | instskip(NEXT) | instid1(VALU_DEP_4)
	v_add_co_u32 v57, vcc_lo, s10, v59
	v_add_co_ci_u32_e32 v58, vcc_lo, s11, v60, vcc_lo
	v_mov_b32_e32 v137, 1
	s_clause 0x1
	global_load_b64 v[63:64], v[61:62], off
	global_load_b64 v[66:67], v[57:58], off
	v_mov_b32_e32 v138, 0
	s_mov_b32 s1, exec_lo
	s_waitcnt vmcnt(0)
	v_cmpx_eq_f64_e32 v[63:64], v[66:67]
	s_cbranch_execz .LBB805_192
; %bb.186:
	v_add_co_u32 v57, vcc_lo, v57, 8
	v_add_co_ci_u32_e32 v58, vcc_lo, 0, v58, vcc_lo
	v_add_co_u32 v61, vcc_lo, v61, 8
	v_add_co_ci_u32_e32 v62, vcc_lo, 0, v62, vcc_lo
	s_add_u32 s14, s8, -1
	s_addc_u32 s15, s9, -1
	s_mov_b64 s[22:23], 0
	s_mov_b32 s3, 0
                                        ; implicit-def: $sgpr21
	s_set_inst_prefetch_distance 0x1
	s_branch .LBB805_189
	.p2align	6
.LBB805_187:                            ;   in Loop: Header=BB805_189 Depth=1
	global_load_b64 v[63:64], v[61:62], off
	global_load_b64 v[66:67], v[57:58], off
	v_add_co_u32 v57, s0, v57, 8
	s_delay_alu instid0(VALU_DEP_1) | instskip(SKIP_1) | instid1(VALU_DEP_1)
	v_add_co_ci_u32_e64 v58, s0, 0, v58, s0
	v_add_co_u32 v61, s0, v61, 8
	v_add_co_ci_u32_e64 v62, s0, 0, v62, s0
	s_add_u32 s22, s22, 1
	s_addc_u32 s23, s23, 0
	s_and_not1_b32 s0, s21, exec_lo
	s_waitcnt vmcnt(0)
	v_cmp_neq_f64_e32 vcc_lo, v[63:64], v[66:67]
	s_and_b32 s21, vcc_lo, exec_lo
	s_delay_alu instid0(SALU_CYCLE_1)
	s_or_b32 s21, s0, s21
.LBB805_188:                            ;   in Loop: Header=BB805_189 Depth=1
	v_dual_mov_b32 v64, s23 :: v_dual_mov_b32 v63, s22
	s_and_b32 s0, exec_lo, s21
	s_delay_alu instid0(SALU_CYCLE_1) | instskip(NEXT) | instid1(SALU_CYCLE_1)
	s_or_b32 s3, s0, s3
	s_and_not1_b32 exec_lo, exec_lo, s3
	s_cbranch_execz .LBB805_191
.LBB805_189:                            ; =>This Inner Loop Header: Depth=1
	s_or_b32 s21, s21, exec_lo
	s_cmp_eq_u64 s[14:15], s[22:23]
	s_cbranch_scc0 .LBB805_187
; %bb.190:                              ;   in Loop: Header=BB805_189 Depth=1
	s_mov_b64 s[22:23], s[8:9]
                                        ; implicit-def: $vgpr57_vgpr58
                                        ; implicit-def: $vgpr61_vgpr62
	s_branch .LBB805_188
.LBB805_191:
	s_set_inst_prefetch_distance 0x2
	s_or_b32 exec_lo, exec_lo, s3
	v_cmp_gt_i64_e32 vcc_lo, s[8:9], v[63:64]
	s_mov_b32 s0, 0
	s_delay_alu instid0(SALU_CYCLE_1)
	v_mov_b32_e32 v138, s0
	v_cndmask_b32_e64 v137, 0, 1, vcc_lo
.LBB805_192:
	s_or_b32 exec_lo, exec_lo, s1
.LBB805_193:
	v_mul_lo_u32 v61, v36, s8
	v_mul_lo_u32 v62, v35, s9
	v_mad_u64_u32 v[57:58], null, v35, s8, 0
	v_cmp_ne_u32_e32 vcc_lo, 1, v65
	s_delay_alu instid0(VALU_DEP_2) | instskip(NEXT) | instid1(VALU_DEP_1)
	v_add3_u32 v58, v58, v62, v61
	v_lshlrev_b64 v[57:58], 3, v[57:58]
	s_cbranch_vccnz .LBB805_202
; %bb.194:
	v_add_co_u32 v61, vcc_lo, s10, v59
	v_add_co_ci_u32_e32 v62, vcc_lo, s11, v60, vcc_lo
	s_delay_alu instid0(VALU_DEP_3) | instskip(NEXT) | instid1(VALU_DEP_4)
	v_add_co_u32 v59, vcc_lo, s10, v57
	v_add_co_ci_u32_e32 v60, vcc_lo, s11, v58, vcc_lo
	v_mov_b32_e32 v139, 1
	s_clause 0x1
	global_load_b64 v[63:64], v[61:62], off
	global_load_b64 v[66:67], v[59:60], off
	v_mov_b32_e32 v140, 0
	s_mov_b32 s1, exec_lo
	s_waitcnt vmcnt(0)
	v_cmpx_eq_f64_e32 v[63:64], v[66:67]
	s_cbranch_execz .LBB805_201
; %bb.195:
	v_add_co_u32 v59, vcc_lo, v59, 8
	v_add_co_ci_u32_e32 v60, vcc_lo, 0, v60, vcc_lo
	v_add_co_u32 v61, vcc_lo, v61, 8
	v_add_co_ci_u32_e32 v62, vcc_lo, 0, v62, vcc_lo
	s_add_u32 s14, s8, -1
	s_addc_u32 s15, s9, -1
	s_mov_b64 s[22:23], 0
	s_mov_b32 s3, 0
                                        ; implicit-def: $sgpr21
	s_set_inst_prefetch_distance 0x1
	s_branch .LBB805_198
	.p2align	6
.LBB805_196:                            ;   in Loop: Header=BB805_198 Depth=1
	global_load_b64 v[63:64], v[61:62], off
	global_load_b64 v[66:67], v[59:60], off
	v_add_co_u32 v59, s0, v59, 8
	s_delay_alu instid0(VALU_DEP_1) | instskip(SKIP_1) | instid1(VALU_DEP_1)
	v_add_co_ci_u32_e64 v60, s0, 0, v60, s0
	v_add_co_u32 v61, s0, v61, 8
	v_add_co_ci_u32_e64 v62, s0, 0, v62, s0
	s_add_u32 s22, s22, 1
	s_addc_u32 s23, s23, 0
	s_and_not1_b32 s0, s21, exec_lo
	s_waitcnt vmcnt(0)
	v_cmp_neq_f64_e32 vcc_lo, v[63:64], v[66:67]
	s_and_b32 s21, vcc_lo, exec_lo
	s_delay_alu instid0(SALU_CYCLE_1)
	s_or_b32 s21, s0, s21
.LBB805_197:                            ;   in Loop: Header=BB805_198 Depth=1
	v_dual_mov_b32 v64, s23 :: v_dual_mov_b32 v63, s22
	s_and_b32 s0, exec_lo, s21
	s_delay_alu instid0(SALU_CYCLE_1) | instskip(NEXT) | instid1(SALU_CYCLE_1)
	s_or_b32 s3, s0, s3
	s_and_not1_b32 exec_lo, exec_lo, s3
	s_cbranch_execz .LBB805_200
.LBB805_198:                            ; =>This Inner Loop Header: Depth=1
	s_or_b32 s21, s21, exec_lo
	s_cmp_eq_u64 s[14:15], s[22:23]
	s_cbranch_scc0 .LBB805_196
; %bb.199:                              ;   in Loop: Header=BB805_198 Depth=1
	s_mov_b64 s[22:23], s[8:9]
                                        ; implicit-def: $vgpr59_vgpr60
                                        ; implicit-def: $vgpr61_vgpr62
	s_branch .LBB805_197
.LBB805_200:
	s_set_inst_prefetch_distance 0x2
	s_or_b32 exec_lo, exec_lo, s3
	v_cmp_gt_i64_e32 vcc_lo, s[8:9], v[63:64]
	s_mov_b32 s0, 0
	s_delay_alu instid0(SALU_CYCLE_1)
	v_mov_b32_e32 v140, s0
	v_cndmask_b32_e64 v139, 0, 1, vcc_lo
.LBB805_201:
	s_or_b32 exec_lo, exec_lo, s1
.LBB805_202:
	v_mul_lo_u32 v61, v34, s8
	v_mul_lo_u32 v62, v33, s9
	v_mad_u64_u32 v[59:60], null, v33, s8, 0
	v_mov_b32_e32 v143, 0
	v_mov_b32_e32 v144, 0
	v_cmp_ne_u32_e32 vcc_lo, 1, v65
	s_delay_alu instid0(VALU_DEP_2) | instskip(SKIP_1) | instid1(VALU_DEP_1)
	v_dual_mov_b32 v141, v143 :: v_dual_mov_b32 v142, v144
	v_add3_u32 v60, v60, v62, v61
	v_lshlrev_b64 v[59:60], 3, v[59:60]
	s_cbranch_vccnz .LBB805_211
; %bb.203:
	v_add_co_u32 v61, vcc_lo, s10, v57
	v_add_co_ci_u32_e32 v62, vcc_lo, s11, v58, vcc_lo
	s_delay_alu instid0(VALU_DEP_3) | instskip(NEXT) | instid1(VALU_DEP_4)
	v_add_co_u32 v57, vcc_lo, s10, v59
	v_add_co_ci_u32_e32 v58, vcc_lo, s11, v60, vcc_lo
	v_mov_b32_e32 v141, 1
	s_clause 0x1
	global_load_b64 v[63:64], v[61:62], off
	global_load_b64 v[66:67], v[57:58], off
	v_mov_b32_e32 v142, 0
	s_mov_b32 s1, exec_lo
	s_waitcnt vmcnt(0)
	v_cmpx_eq_f64_e32 v[63:64], v[66:67]
	s_cbranch_execz .LBB805_210
; %bb.204:
	v_add_co_u32 v57, vcc_lo, v57, 8
	v_add_co_ci_u32_e32 v58, vcc_lo, 0, v58, vcc_lo
	v_add_co_u32 v61, vcc_lo, v61, 8
	v_add_co_ci_u32_e32 v62, vcc_lo, 0, v62, vcc_lo
	s_add_u32 s14, s8, -1
	s_addc_u32 s15, s9, -1
	s_mov_b64 s[22:23], 0
	s_mov_b32 s3, 0
                                        ; implicit-def: $sgpr21
	s_set_inst_prefetch_distance 0x1
	s_branch .LBB805_207
	.p2align	6
.LBB805_205:                            ;   in Loop: Header=BB805_207 Depth=1
	global_load_b64 v[63:64], v[61:62], off
	global_load_b64 v[66:67], v[57:58], off
	v_add_co_u32 v57, s0, v57, 8
	s_delay_alu instid0(VALU_DEP_1) | instskip(SKIP_1) | instid1(VALU_DEP_1)
	v_add_co_ci_u32_e64 v58, s0, 0, v58, s0
	v_add_co_u32 v61, s0, v61, 8
	v_add_co_ci_u32_e64 v62, s0, 0, v62, s0
	s_add_u32 s22, s22, 1
	s_addc_u32 s23, s23, 0
	s_and_not1_b32 s0, s21, exec_lo
	s_waitcnt vmcnt(0)
	v_cmp_neq_f64_e32 vcc_lo, v[63:64], v[66:67]
	s_and_b32 s21, vcc_lo, exec_lo
	s_delay_alu instid0(SALU_CYCLE_1)
	s_or_b32 s21, s0, s21
.LBB805_206:                            ;   in Loop: Header=BB805_207 Depth=1
	v_dual_mov_b32 v64, s23 :: v_dual_mov_b32 v63, s22
	s_and_b32 s0, exec_lo, s21
	s_delay_alu instid0(SALU_CYCLE_1) | instskip(NEXT) | instid1(SALU_CYCLE_1)
	s_or_b32 s3, s0, s3
	s_and_not1_b32 exec_lo, exec_lo, s3
	s_cbranch_execz .LBB805_209
.LBB805_207:                            ; =>This Inner Loop Header: Depth=1
	s_or_b32 s21, s21, exec_lo
	s_cmp_eq_u64 s[14:15], s[22:23]
	s_cbranch_scc0 .LBB805_205
; %bb.208:                              ;   in Loop: Header=BB805_207 Depth=1
	s_mov_b64 s[22:23], s[8:9]
                                        ; implicit-def: $vgpr57_vgpr58
                                        ; implicit-def: $vgpr61_vgpr62
	s_branch .LBB805_206
.LBB805_209:
	s_set_inst_prefetch_distance 0x2
	s_or_b32 exec_lo, exec_lo, s3
	v_cmp_gt_i64_e32 vcc_lo, s[8:9], v[63:64]
	s_mov_b32 s0, 0
	s_delay_alu instid0(SALU_CYCLE_1)
	v_mov_b32_e32 v142, s0
	v_cndmask_b32_e64 v141, 0, 1, vcc_lo
.LBB805_210:
	s_or_b32 exec_lo, exec_lo, s1
.LBB805_211:
	v_mul_lo_u32 v61, v32, s8
	v_mul_lo_u32 v62, v31, s9
	v_mad_u64_u32 v[57:58], null, v31, s8, 0
	v_cmp_ne_u32_e32 vcc_lo, 1, v65
	s_delay_alu instid0(VALU_DEP_2) | instskip(NEXT) | instid1(VALU_DEP_1)
	v_add3_u32 v58, v58, v62, v61
	v_lshlrev_b64 v[57:58], 3, v[57:58]
	s_cbranch_vccnz .LBB805_220
; %bb.212:
	v_add_co_u32 v61, vcc_lo, s10, v59
	v_add_co_ci_u32_e32 v62, vcc_lo, s11, v60, vcc_lo
	s_delay_alu instid0(VALU_DEP_3) | instskip(NEXT) | instid1(VALU_DEP_4)
	v_add_co_u32 v59, vcc_lo, s10, v57
	v_add_co_ci_u32_e32 v60, vcc_lo, s11, v58, vcc_lo
	v_mov_b32_e32 v143, 1
	s_clause 0x1
	global_load_b64 v[63:64], v[61:62], off
	global_load_b64 v[66:67], v[59:60], off
	v_mov_b32_e32 v144, 0
	s_mov_b32 s1, exec_lo
	s_waitcnt vmcnt(0)
	v_cmpx_eq_f64_e32 v[63:64], v[66:67]
	s_cbranch_execz .LBB805_219
; %bb.213:
	v_add_co_u32 v59, vcc_lo, v59, 8
	v_add_co_ci_u32_e32 v60, vcc_lo, 0, v60, vcc_lo
	v_add_co_u32 v61, vcc_lo, v61, 8
	v_add_co_ci_u32_e32 v62, vcc_lo, 0, v62, vcc_lo
	s_add_u32 s14, s8, -1
	s_addc_u32 s15, s9, -1
	s_mov_b64 s[22:23], 0
	s_mov_b32 s3, 0
                                        ; implicit-def: $sgpr21
	s_set_inst_prefetch_distance 0x1
	s_branch .LBB805_216
	.p2align	6
.LBB805_214:                            ;   in Loop: Header=BB805_216 Depth=1
	global_load_b64 v[63:64], v[61:62], off
	global_load_b64 v[66:67], v[59:60], off
	v_add_co_u32 v59, s0, v59, 8
	s_delay_alu instid0(VALU_DEP_1) | instskip(SKIP_1) | instid1(VALU_DEP_1)
	v_add_co_ci_u32_e64 v60, s0, 0, v60, s0
	v_add_co_u32 v61, s0, v61, 8
	v_add_co_ci_u32_e64 v62, s0, 0, v62, s0
	s_add_u32 s22, s22, 1
	s_addc_u32 s23, s23, 0
	s_and_not1_b32 s0, s21, exec_lo
	s_waitcnt vmcnt(0)
	v_cmp_neq_f64_e32 vcc_lo, v[63:64], v[66:67]
	s_and_b32 s21, vcc_lo, exec_lo
	s_delay_alu instid0(SALU_CYCLE_1)
	s_or_b32 s21, s0, s21
.LBB805_215:                            ;   in Loop: Header=BB805_216 Depth=1
	v_dual_mov_b32 v64, s23 :: v_dual_mov_b32 v63, s22
	s_and_b32 s0, exec_lo, s21
	s_delay_alu instid0(SALU_CYCLE_1) | instskip(NEXT) | instid1(SALU_CYCLE_1)
	s_or_b32 s3, s0, s3
	s_and_not1_b32 exec_lo, exec_lo, s3
	s_cbranch_execz .LBB805_218
.LBB805_216:                            ; =>This Inner Loop Header: Depth=1
	s_or_b32 s21, s21, exec_lo
	s_cmp_eq_u64 s[14:15], s[22:23]
	s_cbranch_scc0 .LBB805_214
; %bb.217:                              ;   in Loop: Header=BB805_216 Depth=1
	s_mov_b64 s[22:23], s[8:9]
                                        ; implicit-def: $vgpr59_vgpr60
                                        ; implicit-def: $vgpr61_vgpr62
	s_branch .LBB805_215
.LBB805_218:
	s_set_inst_prefetch_distance 0x2
	s_or_b32 exec_lo, exec_lo, s3
	v_cmp_gt_i64_e32 vcc_lo, s[8:9], v[63:64]
	s_mov_b32 s0, 0
	s_delay_alu instid0(SALU_CYCLE_1)
	v_mov_b32_e32 v144, s0
	v_cndmask_b32_e64 v143, 0, 1, vcc_lo
.LBB805_219:
	s_or_b32 exec_lo, exec_lo, s1
.LBB805_220:
	v_mul_lo_u32 v61, v30, s8
	v_mul_lo_u32 v62, v29, s9
	v_mad_u64_u32 v[59:60], null, v29, s8, 0
	v_mov_b32_e32 v147, 0
	v_mov_b32_e32 v148, 0
	v_cmp_ne_u32_e32 vcc_lo, 1, v65
	s_delay_alu instid0(VALU_DEP_2) | instskip(SKIP_1) | instid1(VALU_DEP_1)
	v_dual_mov_b32 v145, v147 :: v_dual_mov_b32 v146, v148
	v_add3_u32 v60, v60, v62, v61
	v_lshlrev_b64 v[59:60], 3, v[59:60]
	s_cbranch_vccnz .LBB805_229
; %bb.221:
	v_add_co_u32 v61, vcc_lo, s10, v57
	v_add_co_ci_u32_e32 v62, vcc_lo, s11, v58, vcc_lo
	s_delay_alu instid0(VALU_DEP_3) | instskip(NEXT) | instid1(VALU_DEP_4)
	v_add_co_u32 v57, vcc_lo, s10, v59
	v_add_co_ci_u32_e32 v58, vcc_lo, s11, v60, vcc_lo
	v_mov_b32_e32 v145, 1
	s_clause 0x1
	global_load_b64 v[63:64], v[61:62], off
	global_load_b64 v[66:67], v[57:58], off
	v_mov_b32_e32 v146, 0
	s_mov_b32 s1, exec_lo
	s_waitcnt vmcnt(0)
	v_cmpx_eq_f64_e32 v[63:64], v[66:67]
	s_cbranch_execz .LBB805_228
; %bb.222:
	v_add_co_u32 v57, vcc_lo, v57, 8
	v_add_co_ci_u32_e32 v58, vcc_lo, 0, v58, vcc_lo
	v_add_co_u32 v61, vcc_lo, v61, 8
	v_add_co_ci_u32_e32 v62, vcc_lo, 0, v62, vcc_lo
	s_add_u32 s14, s8, -1
	s_addc_u32 s15, s9, -1
	s_mov_b64 s[22:23], 0
	s_mov_b32 s3, 0
                                        ; implicit-def: $sgpr21
	s_set_inst_prefetch_distance 0x1
	s_branch .LBB805_225
	.p2align	6
.LBB805_223:                            ;   in Loop: Header=BB805_225 Depth=1
	global_load_b64 v[63:64], v[61:62], off
	global_load_b64 v[66:67], v[57:58], off
	v_add_co_u32 v57, s0, v57, 8
	s_delay_alu instid0(VALU_DEP_1) | instskip(SKIP_1) | instid1(VALU_DEP_1)
	v_add_co_ci_u32_e64 v58, s0, 0, v58, s0
	v_add_co_u32 v61, s0, v61, 8
	v_add_co_ci_u32_e64 v62, s0, 0, v62, s0
	s_add_u32 s22, s22, 1
	s_addc_u32 s23, s23, 0
	s_and_not1_b32 s0, s21, exec_lo
	s_waitcnt vmcnt(0)
	v_cmp_neq_f64_e32 vcc_lo, v[63:64], v[66:67]
	s_and_b32 s21, vcc_lo, exec_lo
	s_delay_alu instid0(SALU_CYCLE_1)
	s_or_b32 s21, s0, s21
.LBB805_224:                            ;   in Loop: Header=BB805_225 Depth=1
	v_dual_mov_b32 v64, s23 :: v_dual_mov_b32 v63, s22
	s_and_b32 s0, exec_lo, s21
	s_delay_alu instid0(SALU_CYCLE_1) | instskip(NEXT) | instid1(SALU_CYCLE_1)
	s_or_b32 s3, s0, s3
	s_and_not1_b32 exec_lo, exec_lo, s3
	s_cbranch_execz .LBB805_227
.LBB805_225:                            ; =>This Inner Loop Header: Depth=1
	s_or_b32 s21, s21, exec_lo
	s_cmp_eq_u64 s[14:15], s[22:23]
	s_cbranch_scc0 .LBB805_223
; %bb.226:                              ;   in Loop: Header=BB805_225 Depth=1
	s_mov_b64 s[22:23], s[8:9]
                                        ; implicit-def: $vgpr57_vgpr58
                                        ; implicit-def: $vgpr61_vgpr62
	s_branch .LBB805_224
.LBB805_227:
	s_set_inst_prefetch_distance 0x2
	s_or_b32 exec_lo, exec_lo, s3
	v_cmp_gt_i64_e32 vcc_lo, s[8:9], v[63:64]
	s_mov_b32 s0, 0
	s_delay_alu instid0(SALU_CYCLE_1)
	v_mov_b32_e32 v146, s0
	v_cndmask_b32_e64 v145, 0, 1, vcc_lo
.LBB805_228:
	s_or_b32 exec_lo, exec_lo, s1
.LBB805_229:
	v_mul_lo_u32 v61, v28, s8
	v_mul_lo_u32 v62, v27, s9
	v_mad_u64_u32 v[57:58], null, v27, s8, 0
	v_cmp_ne_u32_e32 vcc_lo, 1, v65
	s_delay_alu instid0(VALU_DEP_2) | instskip(NEXT) | instid1(VALU_DEP_1)
	v_add3_u32 v58, v58, v62, v61
	v_lshlrev_b64 v[57:58], 3, v[57:58]
	s_cbranch_vccnz .LBB805_238
; %bb.230:
	v_add_co_u32 v61, vcc_lo, s10, v59
	v_add_co_ci_u32_e32 v62, vcc_lo, s11, v60, vcc_lo
	s_delay_alu instid0(VALU_DEP_3) | instskip(NEXT) | instid1(VALU_DEP_4)
	v_add_co_u32 v59, vcc_lo, s10, v57
	v_add_co_ci_u32_e32 v60, vcc_lo, s11, v58, vcc_lo
	v_mov_b32_e32 v147, 1
	s_clause 0x1
	global_load_b64 v[63:64], v[61:62], off
	global_load_b64 v[66:67], v[59:60], off
	v_mov_b32_e32 v148, 0
	s_mov_b32 s1, exec_lo
	s_waitcnt vmcnt(0)
	v_cmpx_eq_f64_e32 v[63:64], v[66:67]
	s_cbranch_execz .LBB805_237
; %bb.231:
	v_add_co_u32 v59, vcc_lo, v59, 8
	v_add_co_ci_u32_e32 v60, vcc_lo, 0, v60, vcc_lo
	v_add_co_u32 v61, vcc_lo, v61, 8
	v_add_co_ci_u32_e32 v62, vcc_lo, 0, v62, vcc_lo
	s_add_u32 s14, s8, -1
	s_addc_u32 s15, s9, -1
	s_mov_b64 s[22:23], 0
	s_mov_b32 s3, 0
                                        ; implicit-def: $sgpr21
	s_set_inst_prefetch_distance 0x1
	s_branch .LBB805_234
	.p2align	6
.LBB805_232:                            ;   in Loop: Header=BB805_234 Depth=1
	global_load_b64 v[63:64], v[61:62], off
	global_load_b64 v[66:67], v[59:60], off
	v_add_co_u32 v59, s0, v59, 8
	s_delay_alu instid0(VALU_DEP_1) | instskip(SKIP_1) | instid1(VALU_DEP_1)
	v_add_co_ci_u32_e64 v60, s0, 0, v60, s0
	v_add_co_u32 v61, s0, v61, 8
	v_add_co_ci_u32_e64 v62, s0, 0, v62, s0
	s_add_u32 s22, s22, 1
	s_addc_u32 s23, s23, 0
	s_and_not1_b32 s0, s21, exec_lo
	s_waitcnt vmcnt(0)
	v_cmp_neq_f64_e32 vcc_lo, v[63:64], v[66:67]
	s_and_b32 s21, vcc_lo, exec_lo
	s_delay_alu instid0(SALU_CYCLE_1)
	s_or_b32 s21, s0, s21
.LBB805_233:                            ;   in Loop: Header=BB805_234 Depth=1
	v_dual_mov_b32 v64, s23 :: v_dual_mov_b32 v63, s22
	s_and_b32 s0, exec_lo, s21
	s_delay_alu instid0(SALU_CYCLE_1) | instskip(NEXT) | instid1(SALU_CYCLE_1)
	s_or_b32 s3, s0, s3
	s_and_not1_b32 exec_lo, exec_lo, s3
	s_cbranch_execz .LBB805_236
.LBB805_234:                            ; =>This Inner Loop Header: Depth=1
	s_or_b32 s21, s21, exec_lo
	s_cmp_eq_u64 s[14:15], s[22:23]
	s_cbranch_scc0 .LBB805_232
; %bb.235:                              ;   in Loop: Header=BB805_234 Depth=1
	s_mov_b64 s[22:23], s[8:9]
                                        ; implicit-def: $vgpr59_vgpr60
                                        ; implicit-def: $vgpr61_vgpr62
	s_branch .LBB805_233
.LBB805_236:
	s_set_inst_prefetch_distance 0x2
	s_or_b32 exec_lo, exec_lo, s3
	v_cmp_gt_i64_e32 vcc_lo, s[8:9], v[63:64]
	s_mov_b32 s0, 0
	s_delay_alu instid0(SALU_CYCLE_1)
	v_mov_b32_e32 v148, s0
	v_cndmask_b32_e64 v147, 0, 1, vcc_lo
.LBB805_237:
	s_or_b32 exec_lo, exec_lo, s1
.LBB805_238:
	v_mul_lo_u32 v61, v26, s8
	v_mul_lo_u32 v62, v25, s9
	v_mad_u64_u32 v[59:60], null, v25, s8, 0
	v_mov_b32_e32 v151, 0
	v_mov_b32_e32 v152, 0
	v_cmp_ne_u32_e32 vcc_lo, 1, v65
	s_delay_alu instid0(VALU_DEP_2) | instskip(SKIP_1) | instid1(VALU_DEP_1)
	v_dual_mov_b32 v149, v151 :: v_dual_mov_b32 v150, v152
	v_add3_u32 v60, v60, v62, v61
	v_lshlrev_b64 v[59:60], 3, v[59:60]
	s_cbranch_vccnz .LBB805_247
; %bb.239:
	v_add_co_u32 v61, vcc_lo, s10, v57
	v_add_co_ci_u32_e32 v62, vcc_lo, s11, v58, vcc_lo
	s_delay_alu instid0(VALU_DEP_3) | instskip(NEXT) | instid1(VALU_DEP_4)
	v_add_co_u32 v57, vcc_lo, s10, v59
	v_add_co_ci_u32_e32 v58, vcc_lo, s11, v60, vcc_lo
	v_mov_b32_e32 v149, 1
	s_clause 0x1
	global_load_b64 v[63:64], v[61:62], off
	global_load_b64 v[66:67], v[57:58], off
	v_mov_b32_e32 v150, 0
	s_mov_b32 s1, exec_lo
	s_waitcnt vmcnt(0)
	v_cmpx_eq_f64_e32 v[63:64], v[66:67]
	s_cbranch_execz .LBB805_246
; %bb.240:
	v_add_co_u32 v57, vcc_lo, v57, 8
	v_add_co_ci_u32_e32 v58, vcc_lo, 0, v58, vcc_lo
	v_add_co_u32 v61, vcc_lo, v61, 8
	v_add_co_ci_u32_e32 v62, vcc_lo, 0, v62, vcc_lo
	s_add_u32 s14, s8, -1
	s_addc_u32 s15, s9, -1
	s_mov_b64 s[22:23], 0
	s_mov_b32 s3, 0
                                        ; implicit-def: $sgpr21
	s_set_inst_prefetch_distance 0x1
	s_branch .LBB805_243
	.p2align	6
.LBB805_241:                            ;   in Loop: Header=BB805_243 Depth=1
	global_load_b64 v[63:64], v[61:62], off
	global_load_b64 v[66:67], v[57:58], off
	v_add_co_u32 v57, s0, v57, 8
	s_delay_alu instid0(VALU_DEP_1) | instskip(SKIP_1) | instid1(VALU_DEP_1)
	v_add_co_ci_u32_e64 v58, s0, 0, v58, s0
	v_add_co_u32 v61, s0, v61, 8
	v_add_co_ci_u32_e64 v62, s0, 0, v62, s0
	s_add_u32 s22, s22, 1
	s_addc_u32 s23, s23, 0
	s_and_not1_b32 s0, s21, exec_lo
	s_waitcnt vmcnt(0)
	v_cmp_neq_f64_e32 vcc_lo, v[63:64], v[66:67]
	s_and_b32 s21, vcc_lo, exec_lo
	s_delay_alu instid0(SALU_CYCLE_1)
	s_or_b32 s21, s0, s21
.LBB805_242:                            ;   in Loop: Header=BB805_243 Depth=1
	v_dual_mov_b32 v64, s23 :: v_dual_mov_b32 v63, s22
	s_and_b32 s0, exec_lo, s21
	s_delay_alu instid0(SALU_CYCLE_1) | instskip(NEXT) | instid1(SALU_CYCLE_1)
	s_or_b32 s3, s0, s3
	s_and_not1_b32 exec_lo, exec_lo, s3
	s_cbranch_execz .LBB805_245
.LBB805_243:                            ; =>This Inner Loop Header: Depth=1
	s_or_b32 s21, s21, exec_lo
	s_cmp_eq_u64 s[14:15], s[22:23]
	s_cbranch_scc0 .LBB805_241
; %bb.244:                              ;   in Loop: Header=BB805_243 Depth=1
	s_mov_b64 s[22:23], s[8:9]
                                        ; implicit-def: $vgpr57_vgpr58
                                        ; implicit-def: $vgpr61_vgpr62
	s_branch .LBB805_242
.LBB805_245:
	s_set_inst_prefetch_distance 0x2
	s_or_b32 exec_lo, exec_lo, s3
	v_cmp_gt_i64_e32 vcc_lo, s[8:9], v[63:64]
	s_mov_b32 s0, 0
	s_delay_alu instid0(SALU_CYCLE_1)
	v_mov_b32_e32 v150, s0
	v_cndmask_b32_e64 v149, 0, 1, vcc_lo
.LBB805_246:
	s_or_b32 exec_lo, exec_lo, s1
.LBB805_247:
	v_mul_lo_u32 v61, v24, s8
	v_mul_lo_u32 v62, v23, s9
	v_mad_u64_u32 v[57:58], null, v23, s8, 0
	v_cmp_ne_u32_e32 vcc_lo, 1, v65
	s_delay_alu instid0(VALU_DEP_2) | instskip(NEXT) | instid1(VALU_DEP_1)
	v_add3_u32 v58, v58, v62, v61
	v_lshlrev_b64 v[57:58], 3, v[57:58]
	s_cbranch_vccnz .LBB805_256
; %bb.248:
	v_add_co_u32 v61, vcc_lo, s10, v59
	v_add_co_ci_u32_e32 v62, vcc_lo, s11, v60, vcc_lo
	s_delay_alu instid0(VALU_DEP_3) | instskip(NEXT) | instid1(VALU_DEP_4)
	v_add_co_u32 v59, vcc_lo, s10, v57
	v_add_co_ci_u32_e32 v60, vcc_lo, s11, v58, vcc_lo
	v_mov_b32_e32 v151, 1
	s_clause 0x1
	global_load_b64 v[63:64], v[61:62], off
	global_load_b64 v[66:67], v[59:60], off
	v_mov_b32_e32 v152, 0
	s_mov_b32 s1, exec_lo
	s_waitcnt vmcnt(0)
	v_cmpx_eq_f64_e32 v[63:64], v[66:67]
	s_cbranch_execz .LBB805_255
; %bb.249:
	v_add_co_u32 v59, vcc_lo, v59, 8
	v_add_co_ci_u32_e32 v60, vcc_lo, 0, v60, vcc_lo
	v_add_co_u32 v61, vcc_lo, v61, 8
	v_add_co_ci_u32_e32 v62, vcc_lo, 0, v62, vcc_lo
	s_add_u32 s14, s8, -1
	s_addc_u32 s15, s9, -1
	s_mov_b64 s[22:23], 0
	s_mov_b32 s3, 0
                                        ; implicit-def: $sgpr21
	s_set_inst_prefetch_distance 0x1
	s_branch .LBB805_252
	.p2align	6
.LBB805_250:                            ;   in Loop: Header=BB805_252 Depth=1
	global_load_b64 v[63:64], v[61:62], off
	global_load_b64 v[66:67], v[59:60], off
	v_add_co_u32 v59, s0, v59, 8
	s_delay_alu instid0(VALU_DEP_1) | instskip(SKIP_1) | instid1(VALU_DEP_1)
	v_add_co_ci_u32_e64 v60, s0, 0, v60, s0
	v_add_co_u32 v61, s0, v61, 8
	v_add_co_ci_u32_e64 v62, s0, 0, v62, s0
	s_add_u32 s22, s22, 1
	s_addc_u32 s23, s23, 0
	s_and_not1_b32 s0, s21, exec_lo
	s_waitcnt vmcnt(0)
	v_cmp_neq_f64_e32 vcc_lo, v[63:64], v[66:67]
	s_and_b32 s21, vcc_lo, exec_lo
	s_delay_alu instid0(SALU_CYCLE_1)
	s_or_b32 s21, s0, s21
.LBB805_251:                            ;   in Loop: Header=BB805_252 Depth=1
	v_dual_mov_b32 v64, s23 :: v_dual_mov_b32 v63, s22
	s_and_b32 s0, exec_lo, s21
	s_delay_alu instid0(SALU_CYCLE_1) | instskip(NEXT) | instid1(SALU_CYCLE_1)
	s_or_b32 s3, s0, s3
	s_and_not1_b32 exec_lo, exec_lo, s3
	s_cbranch_execz .LBB805_254
.LBB805_252:                            ; =>This Inner Loop Header: Depth=1
	s_or_b32 s21, s21, exec_lo
	s_cmp_eq_u64 s[14:15], s[22:23]
	s_cbranch_scc0 .LBB805_250
; %bb.253:                              ;   in Loop: Header=BB805_252 Depth=1
	s_mov_b64 s[22:23], s[8:9]
                                        ; implicit-def: $vgpr59_vgpr60
                                        ; implicit-def: $vgpr61_vgpr62
	s_branch .LBB805_251
.LBB805_254:
	s_set_inst_prefetch_distance 0x2
	s_or_b32 exec_lo, exec_lo, s3
	v_cmp_gt_i64_e32 vcc_lo, s[8:9], v[63:64]
	s_mov_b32 s0, 0
	s_delay_alu instid0(SALU_CYCLE_1)
	v_mov_b32_e32 v152, s0
	v_cndmask_b32_e64 v151, 0, 1, vcc_lo
.LBB805_255:
	s_or_b32 exec_lo, exec_lo, s1
.LBB805_256:
	v_mul_lo_u32 v61, v22, s8
	v_mul_lo_u32 v62, v21, s9
	v_mad_u64_u32 v[59:60], null, v21, s8, 0
	v_mov_b32_e32 v155, 0
	v_mov_b32_e32 v156, 0
	v_cmp_ne_u32_e32 vcc_lo, 1, v65
	s_delay_alu instid0(VALU_DEP_2) | instskip(SKIP_1) | instid1(VALU_DEP_1)
	v_dual_mov_b32 v153, v155 :: v_dual_mov_b32 v154, v156
	v_add3_u32 v60, v60, v62, v61
	v_lshlrev_b64 v[59:60], 3, v[59:60]
	s_cbranch_vccnz .LBB805_265
; %bb.257:
	v_add_co_u32 v61, vcc_lo, s10, v57
	v_add_co_ci_u32_e32 v62, vcc_lo, s11, v58, vcc_lo
	s_delay_alu instid0(VALU_DEP_3) | instskip(NEXT) | instid1(VALU_DEP_4)
	v_add_co_u32 v57, vcc_lo, s10, v59
	v_add_co_ci_u32_e32 v58, vcc_lo, s11, v60, vcc_lo
	v_mov_b32_e32 v153, 1
	s_clause 0x1
	global_load_b64 v[63:64], v[61:62], off
	global_load_b64 v[66:67], v[57:58], off
	v_mov_b32_e32 v154, 0
	s_mov_b32 s1, exec_lo
	s_waitcnt vmcnt(0)
	v_cmpx_eq_f64_e32 v[63:64], v[66:67]
	s_cbranch_execz .LBB805_264
; %bb.258:
	v_add_co_u32 v57, vcc_lo, v57, 8
	v_add_co_ci_u32_e32 v58, vcc_lo, 0, v58, vcc_lo
	v_add_co_u32 v61, vcc_lo, v61, 8
	v_add_co_ci_u32_e32 v62, vcc_lo, 0, v62, vcc_lo
	s_add_u32 s14, s8, -1
	s_addc_u32 s15, s9, -1
	s_mov_b64 s[22:23], 0
	s_mov_b32 s3, 0
                                        ; implicit-def: $sgpr21
	s_set_inst_prefetch_distance 0x1
	s_branch .LBB805_261
	.p2align	6
.LBB805_259:                            ;   in Loop: Header=BB805_261 Depth=1
	global_load_b64 v[63:64], v[61:62], off
	global_load_b64 v[66:67], v[57:58], off
	v_add_co_u32 v57, s0, v57, 8
	s_delay_alu instid0(VALU_DEP_1) | instskip(SKIP_1) | instid1(VALU_DEP_1)
	v_add_co_ci_u32_e64 v58, s0, 0, v58, s0
	v_add_co_u32 v61, s0, v61, 8
	v_add_co_ci_u32_e64 v62, s0, 0, v62, s0
	s_add_u32 s22, s22, 1
	s_addc_u32 s23, s23, 0
	s_and_not1_b32 s0, s21, exec_lo
	s_waitcnt vmcnt(0)
	v_cmp_neq_f64_e32 vcc_lo, v[63:64], v[66:67]
	s_and_b32 s21, vcc_lo, exec_lo
	s_delay_alu instid0(SALU_CYCLE_1)
	s_or_b32 s21, s0, s21
.LBB805_260:                            ;   in Loop: Header=BB805_261 Depth=1
	v_dual_mov_b32 v64, s23 :: v_dual_mov_b32 v63, s22
	s_and_b32 s0, exec_lo, s21
	s_delay_alu instid0(SALU_CYCLE_1) | instskip(NEXT) | instid1(SALU_CYCLE_1)
	s_or_b32 s3, s0, s3
	s_and_not1_b32 exec_lo, exec_lo, s3
	s_cbranch_execz .LBB805_263
.LBB805_261:                            ; =>This Inner Loop Header: Depth=1
	s_or_b32 s21, s21, exec_lo
	s_cmp_eq_u64 s[14:15], s[22:23]
	s_cbranch_scc0 .LBB805_259
; %bb.262:                              ;   in Loop: Header=BB805_261 Depth=1
	s_mov_b64 s[22:23], s[8:9]
                                        ; implicit-def: $vgpr57_vgpr58
                                        ; implicit-def: $vgpr61_vgpr62
	s_branch .LBB805_260
.LBB805_263:
	s_set_inst_prefetch_distance 0x2
	s_or_b32 exec_lo, exec_lo, s3
	v_cmp_gt_i64_e32 vcc_lo, s[8:9], v[63:64]
	s_mov_b32 s0, 0
	s_delay_alu instid0(SALU_CYCLE_1)
	v_mov_b32_e32 v154, s0
	v_cndmask_b32_e64 v153, 0, 1, vcc_lo
.LBB805_264:
	s_or_b32 exec_lo, exec_lo, s1
.LBB805_265:
	v_mul_lo_u32 v61, v20, s8
	v_mul_lo_u32 v62, v19, s9
	v_mad_u64_u32 v[57:58], null, v19, s8, 0
	v_cmp_ne_u32_e32 vcc_lo, 1, v65
	s_delay_alu instid0(VALU_DEP_2) | instskip(NEXT) | instid1(VALU_DEP_1)
	v_add3_u32 v58, v58, v62, v61
	v_lshlrev_b64 v[57:58], 3, v[57:58]
	s_cbranch_vccnz .LBB805_274
; %bb.266:
	v_add_co_u32 v61, vcc_lo, s10, v59
	v_add_co_ci_u32_e32 v62, vcc_lo, s11, v60, vcc_lo
	s_delay_alu instid0(VALU_DEP_3) | instskip(NEXT) | instid1(VALU_DEP_4)
	v_add_co_u32 v59, vcc_lo, s10, v57
	v_add_co_ci_u32_e32 v60, vcc_lo, s11, v58, vcc_lo
	v_mov_b32_e32 v155, 1
	s_clause 0x1
	global_load_b64 v[63:64], v[61:62], off
	global_load_b64 v[66:67], v[59:60], off
	v_mov_b32_e32 v156, 0
	s_mov_b32 s1, exec_lo
	s_waitcnt vmcnt(0)
	v_cmpx_eq_f64_e32 v[63:64], v[66:67]
	s_cbranch_execz .LBB805_273
; %bb.267:
	v_add_co_u32 v59, vcc_lo, v59, 8
	v_add_co_ci_u32_e32 v60, vcc_lo, 0, v60, vcc_lo
	v_add_co_u32 v61, vcc_lo, v61, 8
	v_add_co_ci_u32_e32 v62, vcc_lo, 0, v62, vcc_lo
	s_add_u32 s14, s8, -1
	s_addc_u32 s15, s9, -1
	s_mov_b64 s[22:23], 0
	s_mov_b32 s3, 0
                                        ; implicit-def: $sgpr21
	s_set_inst_prefetch_distance 0x1
	s_branch .LBB805_270
	.p2align	6
.LBB805_268:                            ;   in Loop: Header=BB805_270 Depth=1
	global_load_b64 v[63:64], v[61:62], off
	global_load_b64 v[66:67], v[59:60], off
	v_add_co_u32 v59, s0, v59, 8
	s_delay_alu instid0(VALU_DEP_1) | instskip(SKIP_1) | instid1(VALU_DEP_1)
	v_add_co_ci_u32_e64 v60, s0, 0, v60, s0
	v_add_co_u32 v61, s0, v61, 8
	v_add_co_ci_u32_e64 v62, s0, 0, v62, s0
	s_add_u32 s22, s22, 1
	s_addc_u32 s23, s23, 0
	s_and_not1_b32 s0, s21, exec_lo
	s_waitcnt vmcnt(0)
	v_cmp_neq_f64_e32 vcc_lo, v[63:64], v[66:67]
	s_and_b32 s21, vcc_lo, exec_lo
	s_delay_alu instid0(SALU_CYCLE_1)
	s_or_b32 s21, s0, s21
.LBB805_269:                            ;   in Loop: Header=BB805_270 Depth=1
	v_dual_mov_b32 v64, s23 :: v_dual_mov_b32 v63, s22
	s_and_b32 s0, exec_lo, s21
	s_delay_alu instid0(SALU_CYCLE_1) | instskip(NEXT) | instid1(SALU_CYCLE_1)
	s_or_b32 s3, s0, s3
	s_and_not1_b32 exec_lo, exec_lo, s3
	s_cbranch_execz .LBB805_272
.LBB805_270:                            ; =>This Inner Loop Header: Depth=1
	s_or_b32 s21, s21, exec_lo
	s_cmp_eq_u64 s[14:15], s[22:23]
	s_cbranch_scc0 .LBB805_268
; %bb.271:                              ;   in Loop: Header=BB805_270 Depth=1
	s_mov_b64 s[22:23], s[8:9]
                                        ; implicit-def: $vgpr59_vgpr60
                                        ; implicit-def: $vgpr61_vgpr62
	s_branch .LBB805_269
.LBB805_272:
	s_set_inst_prefetch_distance 0x2
	s_or_b32 exec_lo, exec_lo, s3
	v_cmp_gt_i64_e32 vcc_lo, s[8:9], v[63:64]
	s_mov_b32 s0, 0
	s_delay_alu instid0(SALU_CYCLE_1)
	v_mov_b32_e32 v156, s0
	v_cndmask_b32_e64 v155, 0, 1, vcc_lo
.LBB805_273:
	s_or_b32 exec_lo, exec_lo, s1
.LBB805_274:
	v_mul_lo_u32 v61, v18, s8
	v_mul_lo_u32 v62, v17, s9
	v_mad_u64_u32 v[59:60], null, v17, s8, 0
	v_mov_b32_e32 v159, 0
	v_mov_b32_e32 v160, 0
	v_cmp_ne_u32_e32 vcc_lo, 1, v65
	s_delay_alu instid0(VALU_DEP_2) | instskip(SKIP_1) | instid1(VALU_DEP_1)
	v_dual_mov_b32 v157, v159 :: v_dual_mov_b32 v158, v160
	v_add3_u32 v60, v60, v62, v61
	v_lshlrev_b64 v[59:60], 3, v[59:60]
	s_cbranch_vccnz .LBB805_283
; %bb.275:
	v_add_co_u32 v61, vcc_lo, s10, v57
	v_add_co_ci_u32_e32 v62, vcc_lo, s11, v58, vcc_lo
	s_delay_alu instid0(VALU_DEP_3) | instskip(NEXT) | instid1(VALU_DEP_4)
	v_add_co_u32 v57, vcc_lo, s10, v59
	v_add_co_ci_u32_e32 v58, vcc_lo, s11, v60, vcc_lo
	v_mov_b32_e32 v157, 1
	s_clause 0x1
	global_load_b64 v[63:64], v[61:62], off
	global_load_b64 v[66:67], v[57:58], off
	v_mov_b32_e32 v158, 0
	s_mov_b32 s1, exec_lo
	s_waitcnt vmcnt(0)
	v_cmpx_eq_f64_e32 v[63:64], v[66:67]
	s_cbranch_execz .LBB805_282
; %bb.276:
	v_add_co_u32 v57, vcc_lo, v57, 8
	v_add_co_ci_u32_e32 v58, vcc_lo, 0, v58, vcc_lo
	v_add_co_u32 v61, vcc_lo, v61, 8
	v_add_co_ci_u32_e32 v62, vcc_lo, 0, v62, vcc_lo
	s_add_u32 s14, s8, -1
	s_addc_u32 s15, s9, -1
	s_mov_b64 s[22:23], 0
	s_mov_b32 s3, 0
                                        ; implicit-def: $sgpr21
	s_set_inst_prefetch_distance 0x1
	s_branch .LBB805_279
	.p2align	6
.LBB805_277:                            ;   in Loop: Header=BB805_279 Depth=1
	global_load_b64 v[63:64], v[61:62], off
	global_load_b64 v[66:67], v[57:58], off
	v_add_co_u32 v57, s0, v57, 8
	s_delay_alu instid0(VALU_DEP_1) | instskip(SKIP_1) | instid1(VALU_DEP_1)
	v_add_co_ci_u32_e64 v58, s0, 0, v58, s0
	v_add_co_u32 v61, s0, v61, 8
	v_add_co_ci_u32_e64 v62, s0, 0, v62, s0
	s_add_u32 s22, s22, 1
	s_addc_u32 s23, s23, 0
	s_and_not1_b32 s0, s21, exec_lo
	s_waitcnt vmcnt(0)
	v_cmp_neq_f64_e32 vcc_lo, v[63:64], v[66:67]
	s_and_b32 s21, vcc_lo, exec_lo
	s_delay_alu instid0(SALU_CYCLE_1)
	s_or_b32 s21, s0, s21
.LBB805_278:                            ;   in Loop: Header=BB805_279 Depth=1
	v_dual_mov_b32 v64, s23 :: v_dual_mov_b32 v63, s22
	s_and_b32 s0, exec_lo, s21
	s_delay_alu instid0(SALU_CYCLE_1) | instskip(NEXT) | instid1(SALU_CYCLE_1)
	s_or_b32 s3, s0, s3
	s_and_not1_b32 exec_lo, exec_lo, s3
	s_cbranch_execz .LBB805_281
.LBB805_279:                            ; =>This Inner Loop Header: Depth=1
	s_or_b32 s21, s21, exec_lo
	s_cmp_eq_u64 s[14:15], s[22:23]
	s_cbranch_scc0 .LBB805_277
; %bb.280:                              ;   in Loop: Header=BB805_279 Depth=1
	s_mov_b64 s[22:23], s[8:9]
                                        ; implicit-def: $vgpr57_vgpr58
                                        ; implicit-def: $vgpr61_vgpr62
	s_branch .LBB805_278
.LBB805_281:
	s_set_inst_prefetch_distance 0x2
	s_or_b32 exec_lo, exec_lo, s3
	v_cmp_gt_i64_e32 vcc_lo, s[8:9], v[63:64]
	s_mov_b32 s0, 0
	s_delay_alu instid0(SALU_CYCLE_1)
	v_mov_b32_e32 v158, s0
	v_cndmask_b32_e64 v157, 0, 1, vcc_lo
.LBB805_282:
	s_or_b32 exec_lo, exec_lo, s1
.LBB805_283:
	v_mul_lo_u32 v61, v16, s8
	v_mul_lo_u32 v62, v15, s9
	v_mad_u64_u32 v[57:58], null, v15, s8, 0
	v_cmp_ne_u32_e32 vcc_lo, 1, v65
	s_delay_alu instid0(VALU_DEP_2) | instskip(NEXT) | instid1(VALU_DEP_1)
	v_add3_u32 v58, v58, v62, v61
	v_lshlrev_b64 v[57:58], 3, v[57:58]
	s_cbranch_vccnz .LBB805_292
; %bb.284:
	v_add_co_u32 v61, vcc_lo, s10, v59
	v_add_co_ci_u32_e32 v62, vcc_lo, s11, v60, vcc_lo
	s_delay_alu instid0(VALU_DEP_3) | instskip(NEXT) | instid1(VALU_DEP_4)
	v_add_co_u32 v59, vcc_lo, s10, v57
	v_add_co_ci_u32_e32 v60, vcc_lo, s11, v58, vcc_lo
	v_mov_b32_e32 v159, 1
	s_clause 0x1
	global_load_b64 v[63:64], v[61:62], off
	global_load_b64 v[66:67], v[59:60], off
	v_mov_b32_e32 v160, 0
	s_mov_b32 s1, exec_lo
	s_waitcnt vmcnt(0)
	v_cmpx_eq_f64_e32 v[63:64], v[66:67]
	s_cbranch_execz .LBB805_291
; %bb.285:
	v_add_co_u32 v59, vcc_lo, v59, 8
	v_add_co_ci_u32_e32 v60, vcc_lo, 0, v60, vcc_lo
	v_add_co_u32 v61, vcc_lo, v61, 8
	v_add_co_ci_u32_e32 v62, vcc_lo, 0, v62, vcc_lo
	s_add_u32 s14, s8, -1
	s_addc_u32 s15, s9, -1
	s_mov_b64 s[22:23], 0
	s_mov_b32 s3, 0
                                        ; implicit-def: $sgpr21
	s_set_inst_prefetch_distance 0x1
	s_branch .LBB805_288
	.p2align	6
.LBB805_286:                            ;   in Loop: Header=BB805_288 Depth=1
	global_load_b64 v[63:64], v[61:62], off
	global_load_b64 v[66:67], v[59:60], off
	v_add_co_u32 v59, s0, v59, 8
	s_delay_alu instid0(VALU_DEP_1) | instskip(SKIP_1) | instid1(VALU_DEP_1)
	v_add_co_ci_u32_e64 v60, s0, 0, v60, s0
	v_add_co_u32 v61, s0, v61, 8
	v_add_co_ci_u32_e64 v62, s0, 0, v62, s0
	s_add_u32 s22, s22, 1
	s_addc_u32 s23, s23, 0
	s_and_not1_b32 s0, s21, exec_lo
	s_waitcnt vmcnt(0)
	v_cmp_neq_f64_e32 vcc_lo, v[63:64], v[66:67]
	s_and_b32 s21, vcc_lo, exec_lo
	s_delay_alu instid0(SALU_CYCLE_1)
	s_or_b32 s21, s0, s21
.LBB805_287:                            ;   in Loop: Header=BB805_288 Depth=1
	v_dual_mov_b32 v64, s23 :: v_dual_mov_b32 v63, s22
	s_and_b32 s0, exec_lo, s21
	s_delay_alu instid0(SALU_CYCLE_1) | instskip(NEXT) | instid1(SALU_CYCLE_1)
	s_or_b32 s3, s0, s3
	s_and_not1_b32 exec_lo, exec_lo, s3
	s_cbranch_execz .LBB805_290
.LBB805_288:                            ; =>This Inner Loop Header: Depth=1
	s_or_b32 s21, s21, exec_lo
	s_cmp_eq_u64 s[14:15], s[22:23]
	s_cbranch_scc0 .LBB805_286
; %bb.289:                              ;   in Loop: Header=BB805_288 Depth=1
	s_mov_b64 s[22:23], s[8:9]
                                        ; implicit-def: $vgpr59_vgpr60
                                        ; implicit-def: $vgpr61_vgpr62
	s_branch .LBB805_287
.LBB805_290:
	s_set_inst_prefetch_distance 0x2
	s_or_b32 exec_lo, exec_lo, s3
	v_cmp_gt_i64_e32 vcc_lo, s[8:9], v[63:64]
	s_mov_b32 s0, 0
	s_delay_alu instid0(SALU_CYCLE_1)
	v_mov_b32_e32 v160, s0
	v_cndmask_b32_e64 v159, 0, 1, vcc_lo
.LBB805_291:
	s_or_b32 exec_lo, exec_lo, s1
.LBB805_292:
	v_mul_lo_u32 v61, v14, s8
	v_mul_lo_u32 v62, v13, s9
	v_mad_u64_u32 v[59:60], null, v13, s8, 0
	v_mov_b32_e32 v163, 0
	v_mov_b32_e32 v164, 0
	v_cmp_ne_u32_e32 vcc_lo, 1, v65
	s_delay_alu instid0(VALU_DEP_2) | instskip(SKIP_1) | instid1(VALU_DEP_1)
	v_dual_mov_b32 v161, v163 :: v_dual_mov_b32 v162, v164
	v_add3_u32 v60, v60, v62, v61
	v_lshlrev_b64 v[59:60], 3, v[59:60]
	s_cbranch_vccnz .LBB805_301
; %bb.293:
	v_add_co_u32 v61, vcc_lo, s10, v57
	v_add_co_ci_u32_e32 v62, vcc_lo, s11, v58, vcc_lo
	s_delay_alu instid0(VALU_DEP_3) | instskip(NEXT) | instid1(VALU_DEP_4)
	v_add_co_u32 v57, vcc_lo, s10, v59
	v_add_co_ci_u32_e32 v58, vcc_lo, s11, v60, vcc_lo
	v_mov_b32_e32 v161, 1
	s_clause 0x1
	global_load_b64 v[63:64], v[61:62], off
	global_load_b64 v[66:67], v[57:58], off
	v_mov_b32_e32 v162, 0
	s_mov_b32 s1, exec_lo
	s_waitcnt vmcnt(0)
	v_cmpx_eq_f64_e32 v[63:64], v[66:67]
	s_cbranch_execz .LBB805_300
; %bb.294:
	v_add_co_u32 v57, vcc_lo, v57, 8
	v_add_co_ci_u32_e32 v58, vcc_lo, 0, v58, vcc_lo
	v_add_co_u32 v61, vcc_lo, v61, 8
	v_add_co_ci_u32_e32 v62, vcc_lo, 0, v62, vcc_lo
	s_add_u32 s14, s8, -1
	s_addc_u32 s15, s9, -1
	s_mov_b64 s[22:23], 0
	s_mov_b32 s3, 0
                                        ; implicit-def: $sgpr21
	s_set_inst_prefetch_distance 0x1
	s_branch .LBB805_297
	.p2align	6
.LBB805_295:                            ;   in Loop: Header=BB805_297 Depth=1
	global_load_b64 v[63:64], v[61:62], off
	global_load_b64 v[66:67], v[57:58], off
	v_add_co_u32 v57, s0, v57, 8
	s_delay_alu instid0(VALU_DEP_1) | instskip(SKIP_1) | instid1(VALU_DEP_1)
	v_add_co_ci_u32_e64 v58, s0, 0, v58, s0
	v_add_co_u32 v61, s0, v61, 8
	v_add_co_ci_u32_e64 v62, s0, 0, v62, s0
	s_add_u32 s22, s22, 1
	s_addc_u32 s23, s23, 0
	s_and_not1_b32 s0, s21, exec_lo
	s_waitcnt vmcnt(0)
	v_cmp_neq_f64_e32 vcc_lo, v[63:64], v[66:67]
	s_and_b32 s21, vcc_lo, exec_lo
	s_delay_alu instid0(SALU_CYCLE_1)
	s_or_b32 s21, s0, s21
.LBB805_296:                            ;   in Loop: Header=BB805_297 Depth=1
	v_dual_mov_b32 v64, s23 :: v_dual_mov_b32 v63, s22
	s_and_b32 s0, exec_lo, s21
	s_delay_alu instid0(SALU_CYCLE_1) | instskip(NEXT) | instid1(SALU_CYCLE_1)
	s_or_b32 s3, s0, s3
	s_and_not1_b32 exec_lo, exec_lo, s3
	s_cbranch_execz .LBB805_299
.LBB805_297:                            ; =>This Inner Loop Header: Depth=1
	s_or_b32 s21, s21, exec_lo
	s_cmp_eq_u64 s[14:15], s[22:23]
	s_cbranch_scc0 .LBB805_295
; %bb.298:                              ;   in Loop: Header=BB805_297 Depth=1
	s_mov_b64 s[22:23], s[8:9]
                                        ; implicit-def: $vgpr57_vgpr58
                                        ; implicit-def: $vgpr61_vgpr62
	s_branch .LBB805_296
.LBB805_299:
	s_set_inst_prefetch_distance 0x2
	s_or_b32 exec_lo, exec_lo, s3
	v_cmp_gt_i64_e32 vcc_lo, s[8:9], v[63:64]
	s_mov_b32 s0, 0
	s_delay_alu instid0(SALU_CYCLE_1)
	v_mov_b32_e32 v162, s0
	v_cndmask_b32_e64 v161, 0, 1, vcc_lo
.LBB805_300:
	s_or_b32 exec_lo, exec_lo, s1
.LBB805_301:
	v_mul_lo_u32 v61, v4, s8
	v_mul_lo_u32 v62, v3, s9
	v_mad_u64_u32 v[57:58], null, v3, s8, 0
	v_cmp_ne_u32_e32 vcc_lo, 1, v65
	s_delay_alu instid0(VALU_DEP_2) | instskip(NEXT) | instid1(VALU_DEP_1)
	v_add3_u32 v58, v58, v62, v61
	v_lshlrev_b64 v[57:58], 3, v[57:58]
	s_cbranch_vccnz .LBB805_310
; %bb.302:
	v_add_co_u32 v61, vcc_lo, s10, v59
	v_add_co_ci_u32_e32 v62, vcc_lo, s11, v60, vcc_lo
	s_delay_alu instid0(VALU_DEP_3) | instskip(NEXT) | instid1(VALU_DEP_4)
	v_add_co_u32 v59, vcc_lo, s10, v57
	v_add_co_ci_u32_e32 v60, vcc_lo, s11, v58, vcc_lo
	v_mov_b32_e32 v163, 1
	s_clause 0x1
	global_load_b64 v[63:64], v[61:62], off
	global_load_b64 v[66:67], v[59:60], off
	v_mov_b32_e32 v164, 0
	s_mov_b32 s1, exec_lo
	s_waitcnt vmcnt(0)
	v_cmpx_eq_f64_e32 v[63:64], v[66:67]
	s_cbranch_execz .LBB805_309
; %bb.303:
	v_add_co_u32 v59, vcc_lo, v59, 8
	v_add_co_ci_u32_e32 v60, vcc_lo, 0, v60, vcc_lo
	v_add_co_u32 v61, vcc_lo, v61, 8
	v_add_co_ci_u32_e32 v62, vcc_lo, 0, v62, vcc_lo
	s_add_u32 s14, s8, -1
	s_addc_u32 s15, s9, -1
	s_mov_b64 s[22:23], 0
	s_mov_b32 s3, 0
                                        ; implicit-def: $sgpr21
	s_set_inst_prefetch_distance 0x1
	s_branch .LBB805_306
	.p2align	6
.LBB805_304:                            ;   in Loop: Header=BB805_306 Depth=1
	global_load_b64 v[63:64], v[61:62], off
	global_load_b64 v[66:67], v[59:60], off
	v_add_co_u32 v59, s0, v59, 8
	s_delay_alu instid0(VALU_DEP_1) | instskip(SKIP_1) | instid1(VALU_DEP_1)
	v_add_co_ci_u32_e64 v60, s0, 0, v60, s0
	v_add_co_u32 v61, s0, v61, 8
	v_add_co_ci_u32_e64 v62, s0, 0, v62, s0
	s_add_u32 s22, s22, 1
	s_addc_u32 s23, s23, 0
	s_and_not1_b32 s0, s21, exec_lo
	s_waitcnt vmcnt(0)
	v_cmp_neq_f64_e32 vcc_lo, v[63:64], v[66:67]
	s_and_b32 s21, vcc_lo, exec_lo
	s_delay_alu instid0(SALU_CYCLE_1)
	s_or_b32 s21, s0, s21
.LBB805_305:                            ;   in Loop: Header=BB805_306 Depth=1
	v_dual_mov_b32 v64, s23 :: v_dual_mov_b32 v63, s22
	s_and_b32 s0, exec_lo, s21
	s_delay_alu instid0(SALU_CYCLE_1) | instskip(NEXT) | instid1(SALU_CYCLE_1)
	s_or_b32 s3, s0, s3
	s_and_not1_b32 exec_lo, exec_lo, s3
	s_cbranch_execz .LBB805_308
.LBB805_306:                            ; =>This Inner Loop Header: Depth=1
	s_or_b32 s21, s21, exec_lo
	s_cmp_eq_u64 s[14:15], s[22:23]
	s_cbranch_scc0 .LBB805_304
; %bb.307:                              ;   in Loop: Header=BB805_306 Depth=1
	s_mov_b64 s[22:23], s[8:9]
                                        ; implicit-def: $vgpr59_vgpr60
                                        ; implicit-def: $vgpr61_vgpr62
	s_branch .LBB805_305
.LBB805_308:
	s_set_inst_prefetch_distance 0x2
	s_or_b32 exec_lo, exec_lo, s3
	v_cmp_gt_i64_e32 vcc_lo, s[8:9], v[63:64]
	s_mov_b32 s0, 0
	s_delay_alu instid0(SALU_CYCLE_1)
	v_mov_b32_e32 v164, s0
	v_cndmask_b32_e64 v163, 0, 1, vcc_lo
.LBB805_309:
	s_or_b32 exec_lo, exec_lo, s1
.LBB805_310:
	v_cmp_ne_u32_e32 vcc_lo, 1, v65
	s_cbranch_vccnz .LBB805_317
; %bb.311:
	v_mul_lo_u32 v61, v2, s8
	v_mul_lo_u32 v62, v1, s9
	v_mad_u64_u32 v[59:60], null, v1, s8, 0
	v_mov_b32_e32 v165, 1
	v_mov_b32_e32 v166, 0
	s_mov_b32 s1, exec_lo
	s_delay_alu instid0(VALU_DEP_3) | instskip(NEXT) | instid1(VALU_DEP_1)
	v_add3_u32 v60, v60, v62, v61
	v_lshlrev_b64 v[61:62], 3, v[59:60]
	v_add_co_u32 v59, vcc_lo, s10, v57
	v_add_co_ci_u32_e32 v60, vcc_lo, s11, v58, vcc_lo
	s_delay_alu instid0(VALU_DEP_3) | instskip(NEXT) | instid1(VALU_DEP_4)
	v_add_co_u32 v57, vcc_lo, s10, v61
	v_add_co_ci_u32_e32 v58, vcc_lo, s11, v62, vcc_lo
	s_clause 0x1
	global_load_b64 v[61:62], v[59:60], off
	global_load_b64 v[63:64], v[57:58], off
	s_waitcnt vmcnt(0)
	v_cmpx_eq_f64_e32 v[61:62], v[63:64]
	s_cbranch_execz .LBB805_319
; %bb.312:
	v_add_co_u32 v57, vcc_lo, v57, 8
	v_add_co_ci_u32_e32 v58, vcc_lo, 0, v58, vcc_lo
	v_add_co_u32 v59, vcc_lo, v59, 8
	v_add_co_ci_u32_e32 v60, vcc_lo, 0, v60, vcc_lo
	s_add_u32 s14, s8, -1
	s_addc_u32 s15, s9, -1
	s_mov_b64 s[22:23], 0
	s_mov_b32 s3, 0
                                        ; implicit-def: $sgpr21
	s_set_inst_prefetch_distance 0x1
	s_branch .LBB805_315
	.p2align	6
.LBB805_313:                            ;   in Loop: Header=BB805_315 Depth=1
	global_load_b64 v[61:62], v[59:60], off
	global_load_b64 v[63:64], v[57:58], off
	v_add_co_u32 v57, s0, v57, 8
	s_delay_alu instid0(VALU_DEP_1) | instskip(SKIP_1) | instid1(VALU_DEP_1)
	v_add_co_ci_u32_e64 v58, s0, 0, v58, s0
	v_add_co_u32 v59, s0, v59, 8
	v_add_co_ci_u32_e64 v60, s0, 0, v60, s0
	s_add_u32 s22, s22, 1
	s_addc_u32 s23, s23, 0
	s_and_not1_b32 s0, s21, exec_lo
	s_waitcnt vmcnt(0)
	v_cmp_neq_f64_e32 vcc_lo, v[61:62], v[63:64]
	s_and_b32 s21, vcc_lo, exec_lo
	s_delay_alu instid0(SALU_CYCLE_1)
	s_or_b32 s21, s0, s21
.LBB805_314:                            ;   in Loop: Header=BB805_315 Depth=1
	v_dual_mov_b32 v62, s23 :: v_dual_mov_b32 v61, s22
	s_and_b32 s0, exec_lo, s21
	s_delay_alu instid0(SALU_CYCLE_1) | instskip(NEXT) | instid1(SALU_CYCLE_1)
	s_or_b32 s3, s0, s3
	s_and_not1_b32 exec_lo, exec_lo, s3
	s_cbranch_execz .LBB805_318
.LBB805_315:                            ; =>This Inner Loop Header: Depth=1
	s_or_b32 s21, s21, exec_lo
	s_cmp_eq_u64 s[14:15], s[22:23]
	s_cbranch_scc0 .LBB805_313
; %bb.316:                              ;   in Loop: Header=BB805_315 Depth=1
	s_mov_b64 s[22:23], s[8:9]
                                        ; implicit-def: $vgpr57_vgpr58
                                        ; implicit-def: $vgpr59_vgpr60
	s_branch .LBB805_314
.LBB805_317:
	v_mov_b32_e32 v165, 0
	v_mov_b32_e32 v166, 0
	s_branch .LBB805_320
.LBB805_318:
	s_set_inst_prefetch_distance 0x2
	s_or_b32 exec_lo, exec_lo, s3
	v_cmp_gt_i64_e32 vcc_lo, s[8:9], v[61:62]
	s_mov_b32 s0, 0
	s_delay_alu instid0(SALU_CYCLE_1)
	v_mov_b32_e32 v166, s0
	v_cndmask_b32_e64 v165, 0, 1, vcc_lo
.LBB805_319:
	s_or_b32 exec_lo, exec_lo, s1
.LBB805_320:
	s_waitcnt lgkmcnt(0)
	v_dual_mov_b32 v58, s13 :: v_dual_mov_b32 v57, s12
	s_mov_b32 s0, 0
	s_mov_b32 s1, exec_lo
	s_barrier
	buffer_gl0_inv
	v_cmpx_ne_u32_e32 0, v0
	s_cbranch_execz .LBB805_322
; %bb.321:
	v_add_nc_u32_e32 v57, -8, v195
	ds_load_b64 v[57:58], v57
.LBB805_322:
	s_or_b32 exec_lo, exec_lo, s1
	v_cmp_ne_u32_e32 vcc_lo, 1, v65
	s_cbranch_vccnz .LBB805_331
; %bb.323:
	v_mul_lo_u32 v63, v2, s8
	v_mul_lo_u32 v64, v1, s9
	v_mad_u64_u32 v[59:60], null, v1, s8, 0
	s_waitcnt lgkmcnt(0)
	v_mul_lo_u32 v58, v58, s8
	v_mul_lo_u32 v65, v57, s9
	v_mad_u64_u32 v[61:62], null, v57, s8, 0
	s_mov_b32 s0, -1
	s_mov_b32 s1, exec_lo
	s_delay_alu instid0(VALU_DEP_4) | instskip(NEXT) | instid1(VALU_DEP_2)
	v_add3_u32 v60, v60, v64, v63
	v_add3_u32 v62, v62, v65, v58
	s_delay_alu instid0(VALU_DEP_2) | instskip(NEXT) | instid1(VALU_DEP_2)
	v_lshlrev_b64 v[57:58], 3, v[59:60]
	v_lshlrev_b64 v[61:62], 3, v[61:62]
	s_delay_alu instid0(VALU_DEP_2) | instskip(NEXT) | instid1(VALU_DEP_3)
	v_add_co_u32 v59, vcc_lo, s10, v57
	v_add_co_ci_u32_e32 v60, vcc_lo, s11, v58, vcc_lo
	s_delay_alu instid0(VALU_DEP_3) | instskip(NEXT) | instid1(VALU_DEP_4)
	v_add_co_u32 v57, vcc_lo, s10, v61
	v_add_co_ci_u32_e32 v58, vcc_lo, s11, v62, vcc_lo
	s_clause 0x1
	global_load_b64 v[61:62], v[59:60], off
	global_load_b64 v[63:64], v[57:58], off
	s_waitcnt vmcnt(0)
	v_cmpx_eq_f64_e32 v[61:62], v[63:64]
	s_cbranch_execz .LBB805_330
; %bb.324:
	v_add_co_u32 v57, vcc_lo, v57, 8
	v_add_co_ci_u32_e32 v58, vcc_lo, 0, v58, vcc_lo
	v_add_co_u32 v59, vcc_lo, v59, 8
	v_add_co_ci_u32_e32 v60, vcc_lo, 0, v60, vcc_lo
	s_add_u32 s14, s8, -1
	s_addc_u32 s15, s9, -1
	s_mov_b64 s[22:23], 0
	s_mov_b32 s3, 0
                                        ; implicit-def: $sgpr21
	s_set_inst_prefetch_distance 0x1
	s_branch .LBB805_327
	.p2align	6
.LBB805_325:                            ;   in Loop: Header=BB805_327 Depth=1
	global_load_b64 v[61:62], v[59:60], off
	global_load_b64 v[63:64], v[57:58], off
	v_add_co_u32 v57, s0, v57, 8
	s_delay_alu instid0(VALU_DEP_1) | instskip(SKIP_1) | instid1(VALU_DEP_1)
	v_add_co_ci_u32_e64 v58, s0, 0, v58, s0
	v_add_co_u32 v59, s0, v59, 8
	v_add_co_ci_u32_e64 v60, s0, 0, v60, s0
	s_add_u32 s22, s22, 1
	s_addc_u32 s23, s23, 0
	s_and_not1_b32 s0, s21, exec_lo
	s_waitcnt vmcnt(0)
	v_cmp_neq_f64_e32 vcc_lo, v[61:62], v[63:64]
	s_and_b32 s21, vcc_lo, exec_lo
	s_delay_alu instid0(SALU_CYCLE_1)
	s_or_b32 s21, s0, s21
.LBB805_326:                            ;   in Loop: Header=BB805_327 Depth=1
	v_dual_mov_b32 v62, s23 :: v_dual_mov_b32 v61, s22
	s_and_b32 s0, exec_lo, s21
	s_delay_alu instid0(SALU_CYCLE_1) | instskip(NEXT) | instid1(SALU_CYCLE_1)
	s_or_b32 s3, s0, s3
	s_and_not1_b32 exec_lo, exec_lo, s3
	s_cbranch_execz .LBB805_329
.LBB805_327:                            ; =>This Inner Loop Header: Depth=1
	s_or_b32 s21, s21, exec_lo
	s_cmp_eq_u64 s[14:15], s[22:23]
	s_cbranch_scc0 .LBB805_325
; %bb.328:                              ;   in Loop: Header=BB805_327 Depth=1
	s_mov_b64 s[22:23], s[8:9]
                                        ; implicit-def: $vgpr57_vgpr58
                                        ; implicit-def: $vgpr59_vgpr60
	s_branch .LBB805_326
.LBB805_329:
	s_set_inst_prefetch_distance 0x2
	s_or_b32 exec_lo, exec_lo, s3
	v_cmp_gt_i64_e32 vcc_lo, s[8:9], v[61:62]
	s_or_not1_b32 s0, vcc_lo, exec_lo
.LBB805_330:
	s_or_b32 exec_lo, exec_lo, s1
.LBB805_331:
	s_mov_b32 s1, -1
	s_branch .LBB805_73
.LBB805_332:
	v_cmp_gt_i64_e64 s0, s[8:9], 0
	s_waitcnt lgkmcnt(0)
	v_mad_u32_u24 v57, v0, 29, 28
	v_mul_u32_u24_e32 v64, 29, v0
	v_dual_mov_b32 v112, v110 :: v_dual_mov_b32 v111, v109
	s_mul_i32 s3, s20, 0xfffff180
	v_cndmask_b32_e64 v63, 0, 1, s0
	s_add_i32 s3, s3, s6
	s_mov_b32 s22, exec_lo
	ds_store_b64 v195, v[109:110]
	v_cmpx_gt_u32_e64 s3, v57
	s_cbranch_execz .LBB805_343
; %bb.333:
	s_and_not1_b32 vcc_lo, exec_lo, s0
	s_cbranch_vccnz .LBB805_340
; %bb.334:
	v_mul_lo_u32 v61, v110, s8
	v_mul_lo_u32 v62, v109, s9
	v_mad_u64_u32 v[57:58], null, v109, s8, 0
	v_mul_lo_u32 v65, v8, s8
	v_mul_lo_u32 v66, v7, s9
	v_mad_u64_u32 v[59:60], null, v7, s8, 0
	v_mov_b32_e32 v111, 1
	v_mov_b32_e32 v112, 0
	v_add3_u32 v58, v58, v62, v61
	s_mov_b32 s23, exec_lo
	s_delay_alu instid0(VALU_DEP_4) | instskip(NEXT) | instid1(VALU_DEP_2)
	v_add3_u32 v60, v60, v66, v65
	v_lshlrev_b64 v[57:58], 3, v[57:58]
	s_delay_alu instid0(VALU_DEP_2) | instskip(NEXT) | instid1(VALU_DEP_2)
	v_lshlrev_b64 v[61:62], 3, v[59:60]
	v_add_co_u32 v59, vcc_lo, s10, v57
	s_delay_alu instid0(VALU_DEP_3) | instskip(NEXT) | instid1(VALU_DEP_3)
	v_add_co_ci_u32_e32 v60, vcc_lo, s11, v58, vcc_lo
	v_add_co_u32 v57, vcc_lo, s10, v61
	s_delay_alu instid0(VALU_DEP_4)
	v_add_co_ci_u32_e32 v58, vcc_lo, s11, v62, vcc_lo
	s_clause 0x1
	global_load_b64 v[61:62], v[59:60], off
	global_load_b64 v[65:66], v[57:58], off
	s_waitcnt vmcnt(0)
	v_cmpx_eq_f64_e32 v[61:62], v[65:66]
	s_cbranch_execz .LBB805_342
; %bb.335:
	v_add_co_u32 v57, vcc_lo, v57, 8
	v_add_co_ci_u32_e32 v58, vcc_lo, 0, v58, vcc_lo
	v_add_co_u32 v59, vcc_lo, v59, 8
	v_add_co_ci_u32_e32 v60, vcc_lo, 0, v60, vcc_lo
	s_add_u32 s14, s8, -1
	s_addc_u32 s15, s9, -1
	s_mov_b64 s[20:21], 0
	s_mov_b32 s24, 0
                                        ; implicit-def: $sgpr25
	s_set_inst_prefetch_distance 0x1
	s_branch .LBB805_338
	.p2align	6
.LBB805_336:                            ;   in Loop: Header=BB805_338 Depth=1
	global_load_b64 v[61:62], v[59:60], off
	global_load_b64 v[65:66], v[57:58], off
	v_add_co_u32 v57, s0, v57, 8
	s_delay_alu instid0(VALU_DEP_1) | instskip(SKIP_1) | instid1(VALU_DEP_1)
	v_add_co_ci_u32_e64 v58, s0, 0, v58, s0
	v_add_co_u32 v59, s0, v59, 8
	v_add_co_ci_u32_e64 v60, s0, 0, v60, s0
	s_add_u32 s20, s20, 1
	s_addc_u32 s21, s21, 0
	s_and_not1_b32 s0, s25, exec_lo
	s_waitcnt vmcnt(0)
	v_cmp_neq_f64_e32 vcc_lo, v[61:62], v[65:66]
	s_and_b32 s25, vcc_lo, exec_lo
	s_delay_alu instid0(SALU_CYCLE_1)
	s_or_b32 s25, s0, s25
.LBB805_337:                            ;   in Loop: Header=BB805_338 Depth=1
	v_dual_mov_b32 v62, s21 :: v_dual_mov_b32 v61, s20
	s_and_b32 s0, exec_lo, s25
	s_delay_alu instid0(SALU_CYCLE_1) | instskip(NEXT) | instid1(SALU_CYCLE_1)
	s_or_b32 s24, s0, s24
	s_and_not1_b32 exec_lo, exec_lo, s24
	s_cbranch_execz .LBB805_341
.LBB805_338:                            ; =>This Inner Loop Header: Depth=1
	s_or_b32 s25, s25, exec_lo
	s_cmp_eq_u64 s[14:15], s[20:21]
	s_cbranch_scc0 .LBB805_336
; %bb.339:                              ;   in Loop: Header=BB805_338 Depth=1
	s_mov_b64 s[20:21], s[8:9]
                                        ; implicit-def: $vgpr57_vgpr58
                                        ; implicit-def: $vgpr59_vgpr60
	s_branch .LBB805_337
.LBB805_340:
	v_mov_b32_e32 v111, 0
	v_mov_b32_e32 v112, 0
	s_branch .LBB805_343
.LBB805_341:
	s_set_inst_prefetch_distance 0x2
	s_or_b32 exec_lo, exec_lo, s24
	v_cmp_gt_i64_e32 vcc_lo, s[8:9], v[61:62]
	s_mov_b32 s0, 0
	s_delay_alu instid0(SALU_CYCLE_1)
	v_mov_b32_e32 v112, s0
	v_cndmask_b32_e64 v111, 0, 1, vcc_lo
.LBB805_342:
	s_or_b32 exec_lo, exec_lo, s23
.LBB805_343:
	s_delay_alu instid0(SALU_CYCLE_1) | instskip(SKIP_3) | instid1(VALU_DEP_2)
	s_or_b32 exec_lo, exec_lo, s22
	v_dual_mov_b32 v116, v8 :: v_dual_add_nc_u32 v57, 27, v64
	v_mov_b32_e32 v115, v7
	s_mov_b32 s22, exec_lo
	v_cmpx_gt_u32_e64 s3, v57
	s_cbranch_execz .LBB805_354
; %bb.344:
	v_cmp_ne_u32_e32 vcc_lo, 1, v63
	s_cbranch_vccnz .LBB805_351
; %bb.345:
	v_mul_lo_u32 v61, v8, s8
	v_mul_lo_u32 v62, v7, s9
	v_mad_u64_u32 v[57:58], null, v7, s8, 0
	v_mul_lo_u32 v65, v6, s8
	v_mul_lo_u32 v66, v5, s9
	v_mad_u64_u32 v[59:60], null, v5, s8, 0
	v_mov_b32_e32 v115, 1
	v_mov_b32_e32 v116, 0
	v_add3_u32 v58, v58, v62, v61
	s_mov_b32 s23, exec_lo
	s_delay_alu instid0(VALU_DEP_4) | instskip(NEXT) | instid1(VALU_DEP_2)
	v_add3_u32 v60, v60, v66, v65
	v_lshlrev_b64 v[57:58], 3, v[57:58]
	s_delay_alu instid0(VALU_DEP_2) | instskip(NEXT) | instid1(VALU_DEP_2)
	v_lshlrev_b64 v[61:62], 3, v[59:60]
	v_add_co_u32 v59, vcc_lo, s10, v57
	s_delay_alu instid0(VALU_DEP_3) | instskip(NEXT) | instid1(VALU_DEP_3)
	v_add_co_ci_u32_e32 v60, vcc_lo, s11, v58, vcc_lo
	v_add_co_u32 v57, vcc_lo, s10, v61
	s_delay_alu instid0(VALU_DEP_4)
	v_add_co_ci_u32_e32 v58, vcc_lo, s11, v62, vcc_lo
	s_clause 0x1
	global_load_b64 v[61:62], v[59:60], off
	global_load_b64 v[65:66], v[57:58], off
	s_waitcnt vmcnt(0)
	v_cmpx_eq_f64_e32 v[61:62], v[65:66]
	s_cbranch_execz .LBB805_353
; %bb.346:
	v_add_co_u32 v57, vcc_lo, v57, 8
	v_add_co_ci_u32_e32 v58, vcc_lo, 0, v58, vcc_lo
	v_add_co_u32 v59, vcc_lo, v59, 8
	v_add_co_ci_u32_e32 v60, vcc_lo, 0, v60, vcc_lo
	s_add_u32 s14, s8, -1
	s_addc_u32 s15, s9, -1
	s_mov_b64 s[20:21], 0
	s_mov_b32 s24, 0
                                        ; implicit-def: $sgpr25
	s_set_inst_prefetch_distance 0x1
	s_branch .LBB805_349
	.p2align	6
.LBB805_347:                            ;   in Loop: Header=BB805_349 Depth=1
	global_load_b64 v[61:62], v[59:60], off
	global_load_b64 v[65:66], v[57:58], off
	v_add_co_u32 v57, s0, v57, 8
	s_delay_alu instid0(VALU_DEP_1) | instskip(SKIP_1) | instid1(VALU_DEP_1)
	v_add_co_ci_u32_e64 v58, s0, 0, v58, s0
	v_add_co_u32 v59, s0, v59, 8
	v_add_co_ci_u32_e64 v60, s0, 0, v60, s0
	s_add_u32 s20, s20, 1
	s_addc_u32 s21, s21, 0
	s_and_not1_b32 s0, s25, exec_lo
	s_waitcnt vmcnt(0)
	v_cmp_neq_f64_e32 vcc_lo, v[61:62], v[65:66]
	s_and_b32 s25, vcc_lo, exec_lo
	s_delay_alu instid0(SALU_CYCLE_1)
	s_or_b32 s25, s0, s25
.LBB805_348:                            ;   in Loop: Header=BB805_349 Depth=1
	v_dual_mov_b32 v62, s21 :: v_dual_mov_b32 v61, s20
	s_and_b32 s0, exec_lo, s25
	s_delay_alu instid0(SALU_CYCLE_1) | instskip(NEXT) | instid1(SALU_CYCLE_1)
	s_or_b32 s24, s0, s24
	s_and_not1_b32 exec_lo, exec_lo, s24
	s_cbranch_execz .LBB805_352
.LBB805_349:                            ; =>This Inner Loop Header: Depth=1
	s_or_b32 s25, s25, exec_lo
	s_cmp_eq_u64 s[14:15], s[20:21]
	s_cbranch_scc0 .LBB805_347
; %bb.350:                              ;   in Loop: Header=BB805_349 Depth=1
	s_mov_b64 s[20:21], s[8:9]
                                        ; implicit-def: $vgpr57_vgpr58
                                        ; implicit-def: $vgpr59_vgpr60
	s_branch .LBB805_348
.LBB805_351:
	v_mov_b32_e32 v115, 0
	v_mov_b32_e32 v116, 0
	s_branch .LBB805_354
.LBB805_352:
	s_set_inst_prefetch_distance 0x2
	s_or_b32 exec_lo, exec_lo, s24
	v_cmp_gt_i64_e32 vcc_lo, s[8:9], v[61:62]
	s_mov_b32 s0, 0
	s_delay_alu instid0(SALU_CYCLE_1)
	v_mov_b32_e32 v116, s0
	v_cndmask_b32_e64 v115, 0, 1, vcc_lo
.LBB805_353:
	s_or_b32 exec_lo, exec_lo, s23
.LBB805_354:
	s_delay_alu instid0(SALU_CYCLE_1) | instskip(SKIP_3) | instid1(VALU_DEP_2)
	s_or_b32 exec_lo, exec_lo, s22
	v_dual_mov_b32 v114, v6 :: v_dual_add_nc_u32 v57, 26, v64
	v_mov_b32_e32 v113, v5
	s_mov_b32 s22, exec_lo
	v_cmpx_gt_u32_e64 s3, v57
	s_cbranch_execz .LBB805_365
; %bb.355:
	v_cmp_ne_u32_e32 vcc_lo, 1, v63
	s_cbranch_vccnz .LBB805_362
; %bb.356:
	v_mul_lo_u32 v61, v6, s8
	v_mul_lo_u32 v62, v5, s9
	v_mad_u64_u32 v[57:58], null, v5, s8, 0
	v_mul_lo_u32 v65, v12, s8
	v_mul_lo_u32 v66, v11, s9
	v_mad_u64_u32 v[59:60], null, v11, s8, 0
	v_mov_b32_e32 v113, 1
	v_mov_b32_e32 v114, 0
	v_add3_u32 v58, v58, v62, v61
	s_mov_b32 s23, exec_lo
	s_delay_alu instid0(VALU_DEP_4) | instskip(NEXT) | instid1(VALU_DEP_2)
	v_add3_u32 v60, v60, v66, v65
	v_lshlrev_b64 v[57:58], 3, v[57:58]
	s_delay_alu instid0(VALU_DEP_2) | instskip(NEXT) | instid1(VALU_DEP_2)
	v_lshlrev_b64 v[61:62], 3, v[59:60]
	v_add_co_u32 v59, vcc_lo, s10, v57
	s_delay_alu instid0(VALU_DEP_3) | instskip(NEXT) | instid1(VALU_DEP_3)
	v_add_co_ci_u32_e32 v60, vcc_lo, s11, v58, vcc_lo
	v_add_co_u32 v57, vcc_lo, s10, v61
	s_delay_alu instid0(VALU_DEP_4)
	v_add_co_ci_u32_e32 v58, vcc_lo, s11, v62, vcc_lo
	s_clause 0x1
	global_load_b64 v[61:62], v[59:60], off
	global_load_b64 v[65:66], v[57:58], off
	s_waitcnt vmcnt(0)
	v_cmpx_eq_f64_e32 v[61:62], v[65:66]
	s_cbranch_execz .LBB805_364
; %bb.357:
	v_add_co_u32 v57, vcc_lo, v57, 8
	v_add_co_ci_u32_e32 v58, vcc_lo, 0, v58, vcc_lo
	v_add_co_u32 v59, vcc_lo, v59, 8
	v_add_co_ci_u32_e32 v60, vcc_lo, 0, v60, vcc_lo
	s_add_u32 s14, s8, -1
	s_addc_u32 s15, s9, -1
	s_mov_b64 s[20:21], 0
	s_mov_b32 s24, 0
                                        ; implicit-def: $sgpr25
	s_set_inst_prefetch_distance 0x1
	s_branch .LBB805_360
	.p2align	6
.LBB805_358:                            ;   in Loop: Header=BB805_360 Depth=1
	global_load_b64 v[61:62], v[59:60], off
	global_load_b64 v[65:66], v[57:58], off
	v_add_co_u32 v57, s0, v57, 8
	s_delay_alu instid0(VALU_DEP_1) | instskip(SKIP_1) | instid1(VALU_DEP_1)
	v_add_co_ci_u32_e64 v58, s0, 0, v58, s0
	v_add_co_u32 v59, s0, v59, 8
	v_add_co_ci_u32_e64 v60, s0, 0, v60, s0
	s_add_u32 s20, s20, 1
	s_addc_u32 s21, s21, 0
	s_and_not1_b32 s0, s25, exec_lo
	s_waitcnt vmcnt(0)
	v_cmp_neq_f64_e32 vcc_lo, v[61:62], v[65:66]
	s_and_b32 s25, vcc_lo, exec_lo
	s_delay_alu instid0(SALU_CYCLE_1)
	s_or_b32 s25, s0, s25
.LBB805_359:                            ;   in Loop: Header=BB805_360 Depth=1
	v_dual_mov_b32 v62, s21 :: v_dual_mov_b32 v61, s20
	s_and_b32 s0, exec_lo, s25
	s_delay_alu instid0(SALU_CYCLE_1) | instskip(NEXT) | instid1(SALU_CYCLE_1)
	s_or_b32 s24, s0, s24
	s_and_not1_b32 exec_lo, exec_lo, s24
	s_cbranch_execz .LBB805_363
.LBB805_360:                            ; =>This Inner Loop Header: Depth=1
	s_or_b32 s25, s25, exec_lo
	s_cmp_eq_u64 s[14:15], s[20:21]
	s_cbranch_scc0 .LBB805_358
; %bb.361:                              ;   in Loop: Header=BB805_360 Depth=1
	s_mov_b64 s[20:21], s[8:9]
                                        ; implicit-def: $vgpr57_vgpr58
                                        ; implicit-def: $vgpr59_vgpr60
	s_branch .LBB805_359
.LBB805_362:
	v_mov_b32_e32 v113, 0
	v_mov_b32_e32 v114, 0
	s_branch .LBB805_365
.LBB805_363:
	s_set_inst_prefetch_distance 0x2
	s_or_b32 exec_lo, exec_lo, s24
	v_cmp_gt_i64_e32 vcc_lo, s[8:9], v[61:62]
	s_mov_b32 s0, 0
	s_delay_alu instid0(SALU_CYCLE_1)
	v_mov_b32_e32 v114, s0
	v_cndmask_b32_e64 v113, 0, 1, vcc_lo
.LBB805_364:
	s_or_b32 exec_lo, exec_lo, s23
.LBB805_365:
	s_delay_alu instid0(SALU_CYCLE_1) | instskip(SKIP_3) | instid1(VALU_DEP_2)
	s_or_b32 exec_lo, exec_lo, s22
	v_dual_mov_b32 v118, v12 :: v_dual_add_nc_u32 v57, 25, v64
	v_mov_b32_e32 v117, v11
	s_mov_b32 s22, exec_lo
	v_cmpx_gt_u32_e64 s3, v57
	s_cbranch_execz .LBB805_376
; %bb.366:
	v_cmp_ne_u32_e32 vcc_lo, 1, v63
	s_cbranch_vccnz .LBB805_373
; %bb.367:
	v_mul_lo_u32 v61, v12, s8
	v_mul_lo_u32 v62, v11, s9
	v_mad_u64_u32 v[57:58], null, v11, s8, 0
	v_mul_lo_u32 v65, v10, s8
	v_mul_lo_u32 v66, v9, s9
	v_mad_u64_u32 v[59:60], null, v9, s8, 0
	v_mov_b32_e32 v117, 1
	v_mov_b32_e32 v118, 0
	v_add3_u32 v58, v58, v62, v61
	s_mov_b32 s23, exec_lo
	s_delay_alu instid0(VALU_DEP_4) | instskip(NEXT) | instid1(VALU_DEP_2)
	v_add3_u32 v60, v60, v66, v65
	v_lshlrev_b64 v[57:58], 3, v[57:58]
	s_delay_alu instid0(VALU_DEP_2) | instskip(NEXT) | instid1(VALU_DEP_2)
	v_lshlrev_b64 v[61:62], 3, v[59:60]
	v_add_co_u32 v59, vcc_lo, s10, v57
	s_delay_alu instid0(VALU_DEP_3) | instskip(NEXT) | instid1(VALU_DEP_3)
	v_add_co_ci_u32_e32 v60, vcc_lo, s11, v58, vcc_lo
	v_add_co_u32 v57, vcc_lo, s10, v61
	s_delay_alu instid0(VALU_DEP_4)
	v_add_co_ci_u32_e32 v58, vcc_lo, s11, v62, vcc_lo
	s_clause 0x1
	global_load_b64 v[61:62], v[59:60], off
	global_load_b64 v[65:66], v[57:58], off
	s_waitcnt vmcnt(0)
	v_cmpx_eq_f64_e32 v[61:62], v[65:66]
	s_cbranch_execz .LBB805_375
; %bb.368:
	v_add_co_u32 v57, vcc_lo, v57, 8
	v_add_co_ci_u32_e32 v58, vcc_lo, 0, v58, vcc_lo
	v_add_co_u32 v59, vcc_lo, v59, 8
	v_add_co_ci_u32_e32 v60, vcc_lo, 0, v60, vcc_lo
	s_add_u32 s14, s8, -1
	s_addc_u32 s15, s9, -1
	s_mov_b64 s[20:21], 0
	s_mov_b32 s24, 0
                                        ; implicit-def: $sgpr25
	s_set_inst_prefetch_distance 0x1
	s_branch .LBB805_371
	.p2align	6
.LBB805_369:                            ;   in Loop: Header=BB805_371 Depth=1
	global_load_b64 v[61:62], v[59:60], off
	global_load_b64 v[65:66], v[57:58], off
	v_add_co_u32 v57, s0, v57, 8
	s_delay_alu instid0(VALU_DEP_1) | instskip(SKIP_1) | instid1(VALU_DEP_1)
	v_add_co_ci_u32_e64 v58, s0, 0, v58, s0
	v_add_co_u32 v59, s0, v59, 8
	v_add_co_ci_u32_e64 v60, s0, 0, v60, s0
	s_add_u32 s20, s20, 1
	s_addc_u32 s21, s21, 0
	s_and_not1_b32 s0, s25, exec_lo
	s_waitcnt vmcnt(0)
	v_cmp_neq_f64_e32 vcc_lo, v[61:62], v[65:66]
	s_and_b32 s25, vcc_lo, exec_lo
	s_delay_alu instid0(SALU_CYCLE_1)
	s_or_b32 s25, s0, s25
.LBB805_370:                            ;   in Loop: Header=BB805_371 Depth=1
	v_dual_mov_b32 v62, s21 :: v_dual_mov_b32 v61, s20
	s_and_b32 s0, exec_lo, s25
	s_delay_alu instid0(SALU_CYCLE_1) | instskip(NEXT) | instid1(SALU_CYCLE_1)
	s_or_b32 s24, s0, s24
	s_and_not1_b32 exec_lo, exec_lo, s24
	s_cbranch_execz .LBB805_374
.LBB805_371:                            ; =>This Inner Loop Header: Depth=1
	s_or_b32 s25, s25, exec_lo
	s_cmp_eq_u64 s[14:15], s[20:21]
	s_cbranch_scc0 .LBB805_369
; %bb.372:                              ;   in Loop: Header=BB805_371 Depth=1
	s_mov_b64 s[20:21], s[8:9]
                                        ; implicit-def: $vgpr57_vgpr58
                                        ; implicit-def: $vgpr59_vgpr60
	s_branch .LBB805_370
.LBB805_373:
	v_mov_b32_e32 v117, 0
	v_mov_b32_e32 v118, 0
	s_branch .LBB805_376
.LBB805_374:
	s_set_inst_prefetch_distance 0x2
	s_or_b32 exec_lo, exec_lo, s24
	v_cmp_gt_i64_e32 vcc_lo, s[8:9], v[61:62]
	s_mov_b32 s0, 0
	s_delay_alu instid0(SALU_CYCLE_1)
	v_mov_b32_e32 v118, s0
	v_cndmask_b32_e64 v117, 0, 1, vcc_lo
.LBB805_375:
	s_or_b32 exec_lo, exec_lo, s23
.LBB805_376:
	s_delay_alu instid0(SALU_CYCLE_1) | instskip(SKIP_3) | instid1(VALU_DEP_2)
	s_or_b32 exec_lo, exec_lo, s22
	v_dual_mov_b32 v120, v10 :: v_dual_add_nc_u32 v57, 24, v64
	v_mov_b32_e32 v119, v9
	s_mov_b32 s22, exec_lo
	v_cmpx_gt_u32_e64 s3, v57
	s_cbranch_execz .LBB805_387
; %bb.377:
	v_cmp_ne_u32_e32 vcc_lo, 1, v63
	s_cbranch_vccnz .LBB805_384
; %bb.378:
	v_mul_lo_u32 v61, v10, s8
	v_mul_lo_u32 v62, v9, s9
	v_mad_u64_u32 v[57:58], null, v9, s8, 0
	v_mul_lo_u32 v65, v56, s8
	v_mul_lo_u32 v66, v55, s9
	v_mad_u64_u32 v[59:60], null, v55, s8, 0
	v_mov_b32_e32 v119, 1
	v_mov_b32_e32 v120, 0
	v_add3_u32 v58, v58, v62, v61
	s_mov_b32 s23, exec_lo
	s_delay_alu instid0(VALU_DEP_4) | instskip(NEXT) | instid1(VALU_DEP_2)
	v_add3_u32 v60, v60, v66, v65
	v_lshlrev_b64 v[57:58], 3, v[57:58]
	s_delay_alu instid0(VALU_DEP_2) | instskip(NEXT) | instid1(VALU_DEP_2)
	v_lshlrev_b64 v[61:62], 3, v[59:60]
	v_add_co_u32 v59, vcc_lo, s10, v57
	s_delay_alu instid0(VALU_DEP_3) | instskip(NEXT) | instid1(VALU_DEP_3)
	v_add_co_ci_u32_e32 v60, vcc_lo, s11, v58, vcc_lo
	v_add_co_u32 v57, vcc_lo, s10, v61
	s_delay_alu instid0(VALU_DEP_4)
	v_add_co_ci_u32_e32 v58, vcc_lo, s11, v62, vcc_lo
	s_clause 0x1
	global_load_b64 v[61:62], v[59:60], off
	global_load_b64 v[65:66], v[57:58], off
	s_waitcnt vmcnt(0)
	v_cmpx_eq_f64_e32 v[61:62], v[65:66]
	s_cbranch_execz .LBB805_386
; %bb.379:
	v_add_co_u32 v57, vcc_lo, v57, 8
	v_add_co_ci_u32_e32 v58, vcc_lo, 0, v58, vcc_lo
	v_add_co_u32 v59, vcc_lo, v59, 8
	v_add_co_ci_u32_e32 v60, vcc_lo, 0, v60, vcc_lo
	s_add_u32 s14, s8, -1
	s_addc_u32 s15, s9, -1
	s_mov_b64 s[20:21], 0
	s_mov_b32 s24, 0
                                        ; implicit-def: $sgpr25
	s_set_inst_prefetch_distance 0x1
	s_branch .LBB805_382
	.p2align	6
.LBB805_380:                            ;   in Loop: Header=BB805_382 Depth=1
	global_load_b64 v[61:62], v[59:60], off
	global_load_b64 v[65:66], v[57:58], off
	v_add_co_u32 v57, s0, v57, 8
	s_delay_alu instid0(VALU_DEP_1) | instskip(SKIP_1) | instid1(VALU_DEP_1)
	v_add_co_ci_u32_e64 v58, s0, 0, v58, s0
	v_add_co_u32 v59, s0, v59, 8
	v_add_co_ci_u32_e64 v60, s0, 0, v60, s0
	s_add_u32 s20, s20, 1
	s_addc_u32 s21, s21, 0
	s_and_not1_b32 s0, s25, exec_lo
	s_waitcnt vmcnt(0)
	v_cmp_neq_f64_e32 vcc_lo, v[61:62], v[65:66]
	s_and_b32 s25, vcc_lo, exec_lo
	s_delay_alu instid0(SALU_CYCLE_1)
	s_or_b32 s25, s0, s25
.LBB805_381:                            ;   in Loop: Header=BB805_382 Depth=1
	v_dual_mov_b32 v62, s21 :: v_dual_mov_b32 v61, s20
	s_and_b32 s0, exec_lo, s25
	s_delay_alu instid0(SALU_CYCLE_1) | instskip(NEXT) | instid1(SALU_CYCLE_1)
	s_or_b32 s24, s0, s24
	s_and_not1_b32 exec_lo, exec_lo, s24
	s_cbranch_execz .LBB805_385
.LBB805_382:                            ; =>This Inner Loop Header: Depth=1
	s_or_b32 s25, s25, exec_lo
	s_cmp_eq_u64 s[14:15], s[20:21]
	s_cbranch_scc0 .LBB805_380
; %bb.383:                              ;   in Loop: Header=BB805_382 Depth=1
	s_mov_b64 s[20:21], s[8:9]
                                        ; implicit-def: $vgpr57_vgpr58
                                        ; implicit-def: $vgpr59_vgpr60
	s_branch .LBB805_381
.LBB805_384:
	v_mov_b32_e32 v119, 0
	v_mov_b32_e32 v120, 0
	s_branch .LBB805_387
.LBB805_385:
	s_set_inst_prefetch_distance 0x2
	s_or_b32 exec_lo, exec_lo, s24
	v_cmp_gt_i64_e32 vcc_lo, s[8:9], v[61:62]
	s_mov_b32 s0, 0
	s_delay_alu instid0(SALU_CYCLE_1)
	v_mov_b32_e32 v120, s0
	v_cndmask_b32_e64 v119, 0, 1, vcc_lo
.LBB805_386:
	s_or_b32 exec_lo, exec_lo, s23
.LBB805_387:
	s_delay_alu instid0(SALU_CYCLE_1) | instskip(SKIP_3) | instid1(VALU_DEP_2)
	s_or_b32 exec_lo, exec_lo, s22
	v_dual_mov_b32 v122, v56 :: v_dual_add_nc_u32 v57, 23, v64
	v_mov_b32_e32 v121, v55
	s_mov_b32 s22, exec_lo
	v_cmpx_gt_u32_e64 s3, v57
	s_cbranch_execz .LBB805_398
; %bb.388:
	v_cmp_ne_u32_e32 vcc_lo, 1, v63
	s_cbranch_vccnz .LBB805_395
; %bb.389:
	v_mul_lo_u32 v61, v56, s8
	v_mul_lo_u32 v62, v55, s9
	v_mad_u64_u32 v[57:58], null, v55, s8, 0
	v_mul_lo_u32 v65, v54, s8
	v_mul_lo_u32 v66, v53, s9
	v_mad_u64_u32 v[59:60], null, v53, s8, 0
	v_mov_b32_e32 v121, 1
	v_mov_b32_e32 v122, 0
	v_add3_u32 v58, v58, v62, v61
	s_mov_b32 s23, exec_lo
	s_delay_alu instid0(VALU_DEP_4) | instskip(NEXT) | instid1(VALU_DEP_2)
	v_add3_u32 v60, v60, v66, v65
	v_lshlrev_b64 v[57:58], 3, v[57:58]
	s_delay_alu instid0(VALU_DEP_2) | instskip(NEXT) | instid1(VALU_DEP_2)
	v_lshlrev_b64 v[61:62], 3, v[59:60]
	v_add_co_u32 v59, vcc_lo, s10, v57
	s_delay_alu instid0(VALU_DEP_3) | instskip(NEXT) | instid1(VALU_DEP_3)
	v_add_co_ci_u32_e32 v60, vcc_lo, s11, v58, vcc_lo
	v_add_co_u32 v57, vcc_lo, s10, v61
	s_delay_alu instid0(VALU_DEP_4)
	v_add_co_ci_u32_e32 v58, vcc_lo, s11, v62, vcc_lo
	s_clause 0x1
	global_load_b64 v[61:62], v[59:60], off
	global_load_b64 v[65:66], v[57:58], off
	s_waitcnt vmcnt(0)
	v_cmpx_eq_f64_e32 v[61:62], v[65:66]
	s_cbranch_execz .LBB805_397
; %bb.390:
	v_add_co_u32 v57, vcc_lo, v57, 8
	v_add_co_ci_u32_e32 v58, vcc_lo, 0, v58, vcc_lo
	v_add_co_u32 v59, vcc_lo, v59, 8
	v_add_co_ci_u32_e32 v60, vcc_lo, 0, v60, vcc_lo
	s_add_u32 s14, s8, -1
	s_addc_u32 s15, s9, -1
	s_mov_b64 s[20:21], 0
	s_mov_b32 s24, 0
                                        ; implicit-def: $sgpr25
	s_set_inst_prefetch_distance 0x1
	s_branch .LBB805_393
	.p2align	6
.LBB805_391:                            ;   in Loop: Header=BB805_393 Depth=1
	global_load_b64 v[61:62], v[59:60], off
	global_load_b64 v[65:66], v[57:58], off
	v_add_co_u32 v57, s0, v57, 8
	s_delay_alu instid0(VALU_DEP_1) | instskip(SKIP_1) | instid1(VALU_DEP_1)
	v_add_co_ci_u32_e64 v58, s0, 0, v58, s0
	v_add_co_u32 v59, s0, v59, 8
	v_add_co_ci_u32_e64 v60, s0, 0, v60, s0
	s_add_u32 s20, s20, 1
	s_addc_u32 s21, s21, 0
	s_and_not1_b32 s0, s25, exec_lo
	s_waitcnt vmcnt(0)
	v_cmp_neq_f64_e32 vcc_lo, v[61:62], v[65:66]
	s_and_b32 s25, vcc_lo, exec_lo
	s_delay_alu instid0(SALU_CYCLE_1)
	s_or_b32 s25, s0, s25
.LBB805_392:                            ;   in Loop: Header=BB805_393 Depth=1
	v_dual_mov_b32 v62, s21 :: v_dual_mov_b32 v61, s20
	s_and_b32 s0, exec_lo, s25
	s_delay_alu instid0(SALU_CYCLE_1) | instskip(NEXT) | instid1(SALU_CYCLE_1)
	s_or_b32 s24, s0, s24
	s_and_not1_b32 exec_lo, exec_lo, s24
	s_cbranch_execz .LBB805_396
.LBB805_393:                            ; =>This Inner Loop Header: Depth=1
	s_or_b32 s25, s25, exec_lo
	s_cmp_eq_u64 s[14:15], s[20:21]
	s_cbranch_scc0 .LBB805_391
; %bb.394:                              ;   in Loop: Header=BB805_393 Depth=1
	s_mov_b64 s[20:21], s[8:9]
                                        ; implicit-def: $vgpr57_vgpr58
                                        ; implicit-def: $vgpr59_vgpr60
	s_branch .LBB805_392
.LBB805_395:
	v_mov_b32_e32 v121, 0
	v_mov_b32_e32 v122, 0
	s_branch .LBB805_398
.LBB805_396:
	s_set_inst_prefetch_distance 0x2
	s_or_b32 exec_lo, exec_lo, s24
	v_cmp_gt_i64_e32 vcc_lo, s[8:9], v[61:62]
	s_mov_b32 s0, 0
	s_delay_alu instid0(SALU_CYCLE_1)
	v_mov_b32_e32 v122, s0
	v_cndmask_b32_e64 v121, 0, 1, vcc_lo
.LBB805_397:
	s_or_b32 exec_lo, exec_lo, s23
.LBB805_398:
	s_delay_alu instid0(SALU_CYCLE_1) | instskip(SKIP_3) | instid1(VALU_DEP_2)
	s_or_b32 exec_lo, exec_lo, s22
	v_dual_mov_b32 v124, v54 :: v_dual_add_nc_u32 v57, 22, v64
	v_mov_b32_e32 v123, v53
	s_mov_b32 s22, exec_lo
	v_cmpx_gt_u32_e64 s3, v57
	s_cbranch_execz .LBB805_409
; %bb.399:
	v_cmp_ne_u32_e32 vcc_lo, 1, v63
	s_cbranch_vccnz .LBB805_406
; %bb.400:
	v_mul_lo_u32 v61, v54, s8
	v_mul_lo_u32 v62, v53, s9
	v_mad_u64_u32 v[57:58], null, v53, s8, 0
	v_mul_lo_u32 v65, v52, s8
	v_mul_lo_u32 v66, v51, s9
	v_mad_u64_u32 v[59:60], null, v51, s8, 0
	v_mov_b32_e32 v123, 1
	v_mov_b32_e32 v124, 0
	v_add3_u32 v58, v58, v62, v61
	s_mov_b32 s23, exec_lo
	s_delay_alu instid0(VALU_DEP_4) | instskip(NEXT) | instid1(VALU_DEP_2)
	v_add3_u32 v60, v60, v66, v65
	v_lshlrev_b64 v[57:58], 3, v[57:58]
	s_delay_alu instid0(VALU_DEP_2) | instskip(NEXT) | instid1(VALU_DEP_2)
	v_lshlrev_b64 v[61:62], 3, v[59:60]
	v_add_co_u32 v59, vcc_lo, s10, v57
	s_delay_alu instid0(VALU_DEP_3) | instskip(NEXT) | instid1(VALU_DEP_3)
	v_add_co_ci_u32_e32 v60, vcc_lo, s11, v58, vcc_lo
	v_add_co_u32 v57, vcc_lo, s10, v61
	s_delay_alu instid0(VALU_DEP_4)
	v_add_co_ci_u32_e32 v58, vcc_lo, s11, v62, vcc_lo
	s_clause 0x1
	global_load_b64 v[61:62], v[59:60], off
	global_load_b64 v[65:66], v[57:58], off
	s_waitcnt vmcnt(0)
	v_cmpx_eq_f64_e32 v[61:62], v[65:66]
	s_cbranch_execz .LBB805_408
; %bb.401:
	v_add_co_u32 v57, vcc_lo, v57, 8
	v_add_co_ci_u32_e32 v58, vcc_lo, 0, v58, vcc_lo
	v_add_co_u32 v59, vcc_lo, v59, 8
	v_add_co_ci_u32_e32 v60, vcc_lo, 0, v60, vcc_lo
	s_add_u32 s14, s8, -1
	s_addc_u32 s15, s9, -1
	s_mov_b64 s[20:21], 0
	s_mov_b32 s24, 0
                                        ; implicit-def: $sgpr25
	s_set_inst_prefetch_distance 0x1
	s_branch .LBB805_404
	.p2align	6
.LBB805_402:                            ;   in Loop: Header=BB805_404 Depth=1
	global_load_b64 v[61:62], v[59:60], off
	global_load_b64 v[65:66], v[57:58], off
	v_add_co_u32 v57, s0, v57, 8
	s_delay_alu instid0(VALU_DEP_1) | instskip(SKIP_1) | instid1(VALU_DEP_1)
	v_add_co_ci_u32_e64 v58, s0, 0, v58, s0
	v_add_co_u32 v59, s0, v59, 8
	v_add_co_ci_u32_e64 v60, s0, 0, v60, s0
	s_add_u32 s20, s20, 1
	s_addc_u32 s21, s21, 0
	s_and_not1_b32 s0, s25, exec_lo
	s_waitcnt vmcnt(0)
	v_cmp_neq_f64_e32 vcc_lo, v[61:62], v[65:66]
	s_and_b32 s25, vcc_lo, exec_lo
	s_delay_alu instid0(SALU_CYCLE_1)
	s_or_b32 s25, s0, s25
.LBB805_403:                            ;   in Loop: Header=BB805_404 Depth=1
	v_dual_mov_b32 v62, s21 :: v_dual_mov_b32 v61, s20
	s_and_b32 s0, exec_lo, s25
	s_delay_alu instid0(SALU_CYCLE_1) | instskip(NEXT) | instid1(SALU_CYCLE_1)
	s_or_b32 s24, s0, s24
	s_and_not1_b32 exec_lo, exec_lo, s24
	s_cbranch_execz .LBB805_407
.LBB805_404:                            ; =>This Inner Loop Header: Depth=1
	s_or_b32 s25, s25, exec_lo
	s_cmp_eq_u64 s[14:15], s[20:21]
	s_cbranch_scc0 .LBB805_402
; %bb.405:                              ;   in Loop: Header=BB805_404 Depth=1
	s_mov_b64 s[20:21], s[8:9]
                                        ; implicit-def: $vgpr57_vgpr58
                                        ; implicit-def: $vgpr59_vgpr60
	s_branch .LBB805_403
.LBB805_406:
	v_mov_b32_e32 v123, 0
	v_mov_b32_e32 v124, 0
	s_branch .LBB805_409
.LBB805_407:
	s_set_inst_prefetch_distance 0x2
	s_or_b32 exec_lo, exec_lo, s24
	v_cmp_gt_i64_e32 vcc_lo, s[8:9], v[61:62]
	s_mov_b32 s0, 0
	s_delay_alu instid0(SALU_CYCLE_1)
	v_mov_b32_e32 v124, s0
	v_cndmask_b32_e64 v123, 0, 1, vcc_lo
.LBB805_408:
	s_or_b32 exec_lo, exec_lo, s23
.LBB805_409:
	s_delay_alu instid0(SALU_CYCLE_1) | instskip(SKIP_3) | instid1(VALU_DEP_2)
	s_or_b32 exec_lo, exec_lo, s22
	v_dual_mov_b32 v126, v52 :: v_dual_add_nc_u32 v57, 21, v64
	v_mov_b32_e32 v125, v51
	s_mov_b32 s22, exec_lo
	v_cmpx_gt_u32_e64 s3, v57
	s_cbranch_execz .LBB805_420
; %bb.410:
	v_cmp_ne_u32_e32 vcc_lo, 1, v63
	s_cbranch_vccnz .LBB805_417
; %bb.411:
	v_mul_lo_u32 v61, v52, s8
	v_mul_lo_u32 v62, v51, s9
	v_mad_u64_u32 v[57:58], null, v51, s8, 0
	v_mul_lo_u32 v65, v50, s8
	v_mul_lo_u32 v66, v49, s9
	v_mad_u64_u32 v[59:60], null, v49, s8, 0
	v_mov_b32_e32 v125, 1
	v_mov_b32_e32 v126, 0
	v_add3_u32 v58, v58, v62, v61
	s_mov_b32 s23, exec_lo
	s_delay_alu instid0(VALU_DEP_4) | instskip(NEXT) | instid1(VALU_DEP_2)
	v_add3_u32 v60, v60, v66, v65
	v_lshlrev_b64 v[57:58], 3, v[57:58]
	s_delay_alu instid0(VALU_DEP_2) | instskip(NEXT) | instid1(VALU_DEP_2)
	v_lshlrev_b64 v[61:62], 3, v[59:60]
	v_add_co_u32 v59, vcc_lo, s10, v57
	s_delay_alu instid0(VALU_DEP_3) | instskip(NEXT) | instid1(VALU_DEP_3)
	v_add_co_ci_u32_e32 v60, vcc_lo, s11, v58, vcc_lo
	v_add_co_u32 v57, vcc_lo, s10, v61
	s_delay_alu instid0(VALU_DEP_4)
	v_add_co_ci_u32_e32 v58, vcc_lo, s11, v62, vcc_lo
	s_clause 0x1
	global_load_b64 v[61:62], v[59:60], off
	global_load_b64 v[65:66], v[57:58], off
	s_waitcnt vmcnt(0)
	v_cmpx_eq_f64_e32 v[61:62], v[65:66]
	s_cbranch_execz .LBB805_419
; %bb.412:
	v_add_co_u32 v57, vcc_lo, v57, 8
	v_add_co_ci_u32_e32 v58, vcc_lo, 0, v58, vcc_lo
	v_add_co_u32 v59, vcc_lo, v59, 8
	v_add_co_ci_u32_e32 v60, vcc_lo, 0, v60, vcc_lo
	s_add_u32 s14, s8, -1
	s_addc_u32 s15, s9, -1
	s_mov_b64 s[20:21], 0
	s_mov_b32 s24, 0
                                        ; implicit-def: $sgpr25
	s_set_inst_prefetch_distance 0x1
	s_branch .LBB805_415
	.p2align	6
.LBB805_413:                            ;   in Loop: Header=BB805_415 Depth=1
	global_load_b64 v[61:62], v[59:60], off
	global_load_b64 v[65:66], v[57:58], off
	v_add_co_u32 v57, s0, v57, 8
	s_delay_alu instid0(VALU_DEP_1) | instskip(SKIP_1) | instid1(VALU_DEP_1)
	v_add_co_ci_u32_e64 v58, s0, 0, v58, s0
	v_add_co_u32 v59, s0, v59, 8
	v_add_co_ci_u32_e64 v60, s0, 0, v60, s0
	s_add_u32 s20, s20, 1
	s_addc_u32 s21, s21, 0
	s_and_not1_b32 s0, s25, exec_lo
	s_waitcnt vmcnt(0)
	v_cmp_neq_f64_e32 vcc_lo, v[61:62], v[65:66]
	s_and_b32 s25, vcc_lo, exec_lo
	s_delay_alu instid0(SALU_CYCLE_1)
	s_or_b32 s25, s0, s25
.LBB805_414:                            ;   in Loop: Header=BB805_415 Depth=1
	v_dual_mov_b32 v62, s21 :: v_dual_mov_b32 v61, s20
	s_and_b32 s0, exec_lo, s25
	s_delay_alu instid0(SALU_CYCLE_1) | instskip(NEXT) | instid1(SALU_CYCLE_1)
	s_or_b32 s24, s0, s24
	s_and_not1_b32 exec_lo, exec_lo, s24
	s_cbranch_execz .LBB805_418
.LBB805_415:                            ; =>This Inner Loop Header: Depth=1
	s_or_b32 s25, s25, exec_lo
	s_cmp_eq_u64 s[14:15], s[20:21]
	s_cbranch_scc0 .LBB805_413
; %bb.416:                              ;   in Loop: Header=BB805_415 Depth=1
	s_mov_b64 s[20:21], s[8:9]
                                        ; implicit-def: $vgpr57_vgpr58
                                        ; implicit-def: $vgpr59_vgpr60
	s_branch .LBB805_414
.LBB805_417:
	v_mov_b32_e32 v125, 0
	v_mov_b32_e32 v126, 0
	s_branch .LBB805_420
.LBB805_418:
	s_set_inst_prefetch_distance 0x2
	s_or_b32 exec_lo, exec_lo, s24
	v_cmp_gt_i64_e32 vcc_lo, s[8:9], v[61:62]
	s_mov_b32 s0, 0
	s_delay_alu instid0(SALU_CYCLE_1)
	v_mov_b32_e32 v126, s0
	v_cndmask_b32_e64 v125, 0, 1, vcc_lo
.LBB805_419:
	s_or_b32 exec_lo, exec_lo, s23
.LBB805_420:
	s_delay_alu instid0(SALU_CYCLE_1) | instskip(SKIP_3) | instid1(VALU_DEP_2)
	s_or_b32 exec_lo, exec_lo, s22
	v_dual_mov_b32 v128, v50 :: v_dual_add_nc_u32 v57, 20, v64
	v_mov_b32_e32 v127, v49
	s_mov_b32 s22, exec_lo
	v_cmpx_gt_u32_e64 s3, v57
	s_cbranch_execz .LBB805_431
; %bb.421:
	v_cmp_ne_u32_e32 vcc_lo, 1, v63
	s_cbranch_vccnz .LBB805_428
; %bb.422:
	v_mul_lo_u32 v61, v50, s8
	v_mul_lo_u32 v62, v49, s9
	v_mad_u64_u32 v[57:58], null, v49, s8, 0
	v_mul_lo_u32 v65, v48, s8
	v_mul_lo_u32 v66, v47, s9
	v_mad_u64_u32 v[59:60], null, v47, s8, 0
	v_mov_b32_e32 v127, 1
	v_mov_b32_e32 v128, 0
	v_add3_u32 v58, v58, v62, v61
	s_mov_b32 s23, exec_lo
	s_delay_alu instid0(VALU_DEP_4) | instskip(NEXT) | instid1(VALU_DEP_2)
	v_add3_u32 v60, v60, v66, v65
	v_lshlrev_b64 v[57:58], 3, v[57:58]
	s_delay_alu instid0(VALU_DEP_2) | instskip(NEXT) | instid1(VALU_DEP_2)
	v_lshlrev_b64 v[61:62], 3, v[59:60]
	v_add_co_u32 v59, vcc_lo, s10, v57
	s_delay_alu instid0(VALU_DEP_3) | instskip(NEXT) | instid1(VALU_DEP_3)
	v_add_co_ci_u32_e32 v60, vcc_lo, s11, v58, vcc_lo
	v_add_co_u32 v57, vcc_lo, s10, v61
	s_delay_alu instid0(VALU_DEP_4)
	v_add_co_ci_u32_e32 v58, vcc_lo, s11, v62, vcc_lo
	s_clause 0x1
	global_load_b64 v[61:62], v[59:60], off
	global_load_b64 v[65:66], v[57:58], off
	s_waitcnt vmcnt(0)
	v_cmpx_eq_f64_e32 v[61:62], v[65:66]
	s_cbranch_execz .LBB805_430
; %bb.423:
	v_add_co_u32 v57, vcc_lo, v57, 8
	v_add_co_ci_u32_e32 v58, vcc_lo, 0, v58, vcc_lo
	v_add_co_u32 v59, vcc_lo, v59, 8
	v_add_co_ci_u32_e32 v60, vcc_lo, 0, v60, vcc_lo
	s_add_u32 s14, s8, -1
	s_addc_u32 s15, s9, -1
	s_mov_b64 s[20:21], 0
	s_mov_b32 s24, 0
                                        ; implicit-def: $sgpr25
	s_set_inst_prefetch_distance 0x1
	s_branch .LBB805_426
	.p2align	6
.LBB805_424:                            ;   in Loop: Header=BB805_426 Depth=1
	global_load_b64 v[61:62], v[59:60], off
	global_load_b64 v[65:66], v[57:58], off
	v_add_co_u32 v57, s0, v57, 8
	s_delay_alu instid0(VALU_DEP_1) | instskip(SKIP_1) | instid1(VALU_DEP_1)
	v_add_co_ci_u32_e64 v58, s0, 0, v58, s0
	v_add_co_u32 v59, s0, v59, 8
	v_add_co_ci_u32_e64 v60, s0, 0, v60, s0
	s_add_u32 s20, s20, 1
	s_addc_u32 s21, s21, 0
	s_and_not1_b32 s0, s25, exec_lo
	s_waitcnt vmcnt(0)
	v_cmp_neq_f64_e32 vcc_lo, v[61:62], v[65:66]
	s_and_b32 s25, vcc_lo, exec_lo
	s_delay_alu instid0(SALU_CYCLE_1)
	s_or_b32 s25, s0, s25
.LBB805_425:                            ;   in Loop: Header=BB805_426 Depth=1
	v_dual_mov_b32 v62, s21 :: v_dual_mov_b32 v61, s20
	s_and_b32 s0, exec_lo, s25
	s_delay_alu instid0(SALU_CYCLE_1) | instskip(NEXT) | instid1(SALU_CYCLE_1)
	s_or_b32 s24, s0, s24
	s_and_not1_b32 exec_lo, exec_lo, s24
	s_cbranch_execz .LBB805_429
.LBB805_426:                            ; =>This Inner Loop Header: Depth=1
	s_or_b32 s25, s25, exec_lo
	s_cmp_eq_u64 s[14:15], s[20:21]
	s_cbranch_scc0 .LBB805_424
; %bb.427:                              ;   in Loop: Header=BB805_426 Depth=1
	s_mov_b64 s[20:21], s[8:9]
                                        ; implicit-def: $vgpr57_vgpr58
                                        ; implicit-def: $vgpr59_vgpr60
	s_branch .LBB805_425
.LBB805_428:
	v_mov_b32_e32 v127, 0
	v_mov_b32_e32 v128, 0
	s_branch .LBB805_431
.LBB805_429:
	s_set_inst_prefetch_distance 0x2
	s_or_b32 exec_lo, exec_lo, s24
	v_cmp_gt_i64_e32 vcc_lo, s[8:9], v[61:62]
	s_mov_b32 s0, 0
	s_delay_alu instid0(SALU_CYCLE_1)
	v_mov_b32_e32 v128, s0
	v_cndmask_b32_e64 v127, 0, 1, vcc_lo
.LBB805_430:
	s_or_b32 exec_lo, exec_lo, s23
.LBB805_431:
	s_delay_alu instid0(SALU_CYCLE_1) | instskip(SKIP_3) | instid1(VALU_DEP_2)
	s_or_b32 exec_lo, exec_lo, s22
	v_dual_mov_b32 v130, v48 :: v_dual_add_nc_u32 v57, 19, v64
	v_mov_b32_e32 v129, v47
	s_mov_b32 s22, exec_lo
	v_cmpx_gt_u32_e64 s3, v57
	s_cbranch_execz .LBB805_442
; %bb.432:
	v_cmp_ne_u32_e32 vcc_lo, 1, v63
	s_cbranch_vccnz .LBB805_439
; %bb.433:
	v_mul_lo_u32 v61, v48, s8
	v_mul_lo_u32 v62, v47, s9
	v_mad_u64_u32 v[57:58], null, v47, s8, 0
	v_mul_lo_u32 v65, v46, s8
	v_mul_lo_u32 v66, v45, s9
	v_mad_u64_u32 v[59:60], null, v45, s8, 0
	v_mov_b32_e32 v129, 1
	v_mov_b32_e32 v130, 0
	v_add3_u32 v58, v58, v62, v61
	s_mov_b32 s23, exec_lo
	s_delay_alu instid0(VALU_DEP_4) | instskip(NEXT) | instid1(VALU_DEP_2)
	v_add3_u32 v60, v60, v66, v65
	v_lshlrev_b64 v[57:58], 3, v[57:58]
	s_delay_alu instid0(VALU_DEP_2) | instskip(NEXT) | instid1(VALU_DEP_2)
	v_lshlrev_b64 v[61:62], 3, v[59:60]
	v_add_co_u32 v59, vcc_lo, s10, v57
	s_delay_alu instid0(VALU_DEP_3) | instskip(NEXT) | instid1(VALU_DEP_3)
	v_add_co_ci_u32_e32 v60, vcc_lo, s11, v58, vcc_lo
	v_add_co_u32 v57, vcc_lo, s10, v61
	s_delay_alu instid0(VALU_DEP_4)
	v_add_co_ci_u32_e32 v58, vcc_lo, s11, v62, vcc_lo
	s_clause 0x1
	global_load_b64 v[61:62], v[59:60], off
	global_load_b64 v[65:66], v[57:58], off
	s_waitcnt vmcnt(0)
	v_cmpx_eq_f64_e32 v[61:62], v[65:66]
	s_cbranch_execz .LBB805_441
; %bb.434:
	v_add_co_u32 v57, vcc_lo, v57, 8
	v_add_co_ci_u32_e32 v58, vcc_lo, 0, v58, vcc_lo
	v_add_co_u32 v59, vcc_lo, v59, 8
	v_add_co_ci_u32_e32 v60, vcc_lo, 0, v60, vcc_lo
	s_add_u32 s14, s8, -1
	s_addc_u32 s15, s9, -1
	s_mov_b64 s[20:21], 0
	s_mov_b32 s24, 0
                                        ; implicit-def: $sgpr25
	s_set_inst_prefetch_distance 0x1
	s_branch .LBB805_437
	.p2align	6
.LBB805_435:                            ;   in Loop: Header=BB805_437 Depth=1
	global_load_b64 v[61:62], v[59:60], off
	global_load_b64 v[65:66], v[57:58], off
	v_add_co_u32 v57, s0, v57, 8
	s_delay_alu instid0(VALU_DEP_1) | instskip(SKIP_1) | instid1(VALU_DEP_1)
	v_add_co_ci_u32_e64 v58, s0, 0, v58, s0
	v_add_co_u32 v59, s0, v59, 8
	v_add_co_ci_u32_e64 v60, s0, 0, v60, s0
	s_add_u32 s20, s20, 1
	s_addc_u32 s21, s21, 0
	s_and_not1_b32 s0, s25, exec_lo
	s_waitcnt vmcnt(0)
	v_cmp_neq_f64_e32 vcc_lo, v[61:62], v[65:66]
	s_and_b32 s25, vcc_lo, exec_lo
	s_delay_alu instid0(SALU_CYCLE_1)
	s_or_b32 s25, s0, s25
.LBB805_436:                            ;   in Loop: Header=BB805_437 Depth=1
	v_dual_mov_b32 v62, s21 :: v_dual_mov_b32 v61, s20
	s_and_b32 s0, exec_lo, s25
	s_delay_alu instid0(SALU_CYCLE_1) | instskip(NEXT) | instid1(SALU_CYCLE_1)
	s_or_b32 s24, s0, s24
	s_and_not1_b32 exec_lo, exec_lo, s24
	s_cbranch_execz .LBB805_440
.LBB805_437:                            ; =>This Inner Loop Header: Depth=1
	s_or_b32 s25, s25, exec_lo
	s_cmp_eq_u64 s[14:15], s[20:21]
	s_cbranch_scc0 .LBB805_435
; %bb.438:                              ;   in Loop: Header=BB805_437 Depth=1
	s_mov_b64 s[20:21], s[8:9]
                                        ; implicit-def: $vgpr57_vgpr58
                                        ; implicit-def: $vgpr59_vgpr60
	s_branch .LBB805_436
.LBB805_439:
	v_mov_b32_e32 v129, 0
	v_mov_b32_e32 v130, 0
	s_branch .LBB805_442
.LBB805_440:
	s_set_inst_prefetch_distance 0x2
	s_or_b32 exec_lo, exec_lo, s24
	v_cmp_gt_i64_e32 vcc_lo, s[8:9], v[61:62]
	s_mov_b32 s0, 0
	s_delay_alu instid0(SALU_CYCLE_1)
	v_mov_b32_e32 v130, s0
	v_cndmask_b32_e64 v129, 0, 1, vcc_lo
.LBB805_441:
	s_or_b32 exec_lo, exec_lo, s23
.LBB805_442:
	s_delay_alu instid0(SALU_CYCLE_1) | instskip(SKIP_3) | instid1(VALU_DEP_2)
	s_or_b32 exec_lo, exec_lo, s22
	v_dual_mov_b32 v132, v46 :: v_dual_add_nc_u32 v57, 18, v64
	v_mov_b32_e32 v131, v45
	s_mov_b32 s22, exec_lo
	v_cmpx_gt_u32_e64 s3, v57
	s_cbranch_execz .LBB805_453
; %bb.443:
	v_cmp_ne_u32_e32 vcc_lo, 1, v63
	s_cbranch_vccnz .LBB805_450
; %bb.444:
	v_mul_lo_u32 v61, v46, s8
	v_mul_lo_u32 v62, v45, s9
	v_mad_u64_u32 v[57:58], null, v45, s8, 0
	v_mul_lo_u32 v65, v44, s8
	v_mul_lo_u32 v66, v43, s9
	v_mad_u64_u32 v[59:60], null, v43, s8, 0
	v_mov_b32_e32 v131, 1
	v_mov_b32_e32 v132, 0
	v_add3_u32 v58, v58, v62, v61
	s_mov_b32 s23, exec_lo
	s_delay_alu instid0(VALU_DEP_4) | instskip(NEXT) | instid1(VALU_DEP_2)
	v_add3_u32 v60, v60, v66, v65
	v_lshlrev_b64 v[57:58], 3, v[57:58]
	s_delay_alu instid0(VALU_DEP_2) | instskip(NEXT) | instid1(VALU_DEP_2)
	v_lshlrev_b64 v[61:62], 3, v[59:60]
	v_add_co_u32 v59, vcc_lo, s10, v57
	s_delay_alu instid0(VALU_DEP_3) | instskip(NEXT) | instid1(VALU_DEP_3)
	v_add_co_ci_u32_e32 v60, vcc_lo, s11, v58, vcc_lo
	v_add_co_u32 v57, vcc_lo, s10, v61
	s_delay_alu instid0(VALU_DEP_4)
	v_add_co_ci_u32_e32 v58, vcc_lo, s11, v62, vcc_lo
	s_clause 0x1
	global_load_b64 v[61:62], v[59:60], off
	global_load_b64 v[65:66], v[57:58], off
	s_waitcnt vmcnt(0)
	v_cmpx_eq_f64_e32 v[61:62], v[65:66]
	s_cbranch_execz .LBB805_452
; %bb.445:
	v_add_co_u32 v57, vcc_lo, v57, 8
	v_add_co_ci_u32_e32 v58, vcc_lo, 0, v58, vcc_lo
	v_add_co_u32 v59, vcc_lo, v59, 8
	v_add_co_ci_u32_e32 v60, vcc_lo, 0, v60, vcc_lo
	s_add_u32 s14, s8, -1
	s_addc_u32 s15, s9, -1
	s_mov_b64 s[20:21], 0
	s_mov_b32 s24, 0
                                        ; implicit-def: $sgpr25
	s_set_inst_prefetch_distance 0x1
	s_branch .LBB805_448
	.p2align	6
.LBB805_446:                            ;   in Loop: Header=BB805_448 Depth=1
	global_load_b64 v[61:62], v[59:60], off
	global_load_b64 v[65:66], v[57:58], off
	v_add_co_u32 v57, s0, v57, 8
	s_delay_alu instid0(VALU_DEP_1) | instskip(SKIP_1) | instid1(VALU_DEP_1)
	v_add_co_ci_u32_e64 v58, s0, 0, v58, s0
	v_add_co_u32 v59, s0, v59, 8
	v_add_co_ci_u32_e64 v60, s0, 0, v60, s0
	s_add_u32 s20, s20, 1
	s_addc_u32 s21, s21, 0
	s_and_not1_b32 s0, s25, exec_lo
	s_waitcnt vmcnt(0)
	v_cmp_neq_f64_e32 vcc_lo, v[61:62], v[65:66]
	s_and_b32 s25, vcc_lo, exec_lo
	s_delay_alu instid0(SALU_CYCLE_1)
	s_or_b32 s25, s0, s25
.LBB805_447:                            ;   in Loop: Header=BB805_448 Depth=1
	v_dual_mov_b32 v62, s21 :: v_dual_mov_b32 v61, s20
	s_and_b32 s0, exec_lo, s25
	s_delay_alu instid0(SALU_CYCLE_1) | instskip(NEXT) | instid1(SALU_CYCLE_1)
	s_or_b32 s24, s0, s24
	s_and_not1_b32 exec_lo, exec_lo, s24
	s_cbranch_execz .LBB805_451
.LBB805_448:                            ; =>This Inner Loop Header: Depth=1
	s_or_b32 s25, s25, exec_lo
	s_cmp_eq_u64 s[14:15], s[20:21]
	s_cbranch_scc0 .LBB805_446
; %bb.449:                              ;   in Loop: Header=BB805_448 Depth=1
	s_mov_b64 s[20:21], s[8:9]
                                        ; implicit-def: $vgpr57_vgpr58
                                        ; implicit-def: $vgpr59_vgpr60
	s_branch .LBB805_447
.LBB805_450:
	v_mov_b32_e32 v131, 0
	v_mov_b32_e32 v132, 0
	s_branch .LBB805_453
.LBB805_451:
	s_set_inst_prefetch_distance 0x2
	s_or_b32 exec_lo, exec_lo, s24
	v_cmp_gt_i64_e32 vcc_lo, s[8:9], v[61:62]
	s_mov_b32 s0, 0
	s_delay_alu instid0(SALU_CYCLE_1)
	v_mov_b32_e32 v132, s0
	v_cndmask_b32_e64 v131, 0, 1, vcc_lo
.LBB805_452:
	s_or_b32 exec_lo, exec_lo, s23
.LBB805_453:
	s_delay_alu instid0(SALU_CYCLE_1) | instskip(SKIP_3) | instid1(VALU_DEP_2)
	s_or_b32 exec_lo, exec_lo, s22
	v_dual_mov_b32 v134, v44 :: v_dual_add_nc_u32 v57, 17, v64
	v_mov_b32_e32 v133, v43
	s_mov_b32 s22, exec_lo
	v_cmpx_gt_u32_e64 s3, v57
	s_cbranch_execz .LBB805_464
; %bb.454:
	v_cmp_ne_u32_e32 vcc_lo, 1, v63
	s_cbranch_vccnz .LBB805_461
; %bb.455:
	v_mul_lo_u32 v61, v44, s8
	v_mul_lo_u32 v62, v43, s9
	v_mad_u64_u32 v[57:58], null, v43, s8, 0
	v_mul_lo_u32 v65, v42, s8
	v_mul_lo_u32 v66, v41, s9
	v_mad_u64_u32 v[59:60], null, v41, s8, 0
	v_mov_b32_e32 v133, 1
	v_mov_b32_e32 v134, 0
	v_add3_u32 v58, v58, v62, v61
	s_mov_b32 s23, exec_lo
	s_delay_alu instid0(VALU_DEP_4) | instskip(NEXT) | instid1(VALU_DEP_2)
	v_add3_u32 v60, v60, v66, v65
	v_lshlrev_b64 v[57:58], 3, v[57:58]
	s_delay_alu instid0(VALU_DEP_2) | instskip(NEXT) | instid1(VALU_DEP_2)
	v_lshlrev_b64 v[61:62], 3, v[59:60]
	v_add_co_u32 v59, vcc_lo, s10, v57
	s_delay_alu instid0(VALU_DEP_3) | instskip(NEXT) | instid1(VALU_DEP_3)
	v_add_co_ci_u32_e32 v60, vcc_lo, s11, v58, vcc_lo
	v_add_co_u32 v57, vcc_lo, s10, v61
	s_delay_alu instid0(VALU_DEP_4)
	v_add_co_ci_u32_e32 v58, vcc_lo, s11, v62, vcc_lo
	s_clause 0x1
	global_load_b64 v[61:62], v[59:60], off
	global_load_b64 v[65:66], v[57:58], off
	s_waitcnt vmcnt(0)
	v_cmpx_eq_f64_e32 v[61:62], v[65:66]
	s_cbranch_execz .LBB805_463
; %bb.456:
	v_add_co_u32 v57, vcc_lo, v57, 8
	v_add_co_ci_u32_e32 v58, vcc_lo, 0, v58, vcc_lo
	v_add_co_u32 v59, vcc_lo, v59, 8
	v_add_co_ci_u32_e32 v60, vcc_lo, 0, v60, vcc_lo
	s_add_u32 s14, s8, -1
	s_addc_u32 s15, s9, -1
	s_mov_b64 s[20:21], 0
	s_mov_b32 s24, 0
                                        ; implicit-def: $sgpr25
	s_set_inst_prefetch_distance 0x1
	s_branch .LBB805_459
	.p2align	6
.LBB805_457:                            ;   in Loop: Header=BB805_459 Depth=1
	global_load_b64 v[61:62], v[59:60], off
	global_load_b64 v[65:66], v[57:58], off
	v_add_co_u32 v57, s0, v57, 8
	s_delay_alu instid0(VALU_DEP_1) | instskip(SKIP_1) | instid1(VALU_DEP_1)
	v_add_co_ci_u32_e64 v58, s0, 0, v58, s0
	v_add_co_u32 v59, s0, v59, 8
	v_add_co_ci_u32_e64 v60, s0, 0, v60, s0
	s_add_u32 s20, s20, 1
	s_addc_u32 s21, s21, 0
	s_and_not1_b32 s0, s25, exec_lo
	s_waitcnt vmcnt(0)
	v_cmp_neq_f64_e32 vcc_lo, v[61:62], v[65:66]
	s_and_b32 s25, vcc_lo, exec_lo
	s_delay_alu instid0(SALU_CYCLE_1)
	s_or_b32 s25, s0, s25
.LBB805_458:                            ;   in Loop: Header=BB805_459 Depth=1
	v_dual_mov_b32 v62, s21 :: v_dual_mov_b32 v61, s20
	s_and_b32 s0, exec_lo, s25
	s_delay_alu instid0(SALU_CYCLE_1) | instskip(NEXT) | instid1(SALU_CYCLE_1)
	s_or_b32 s24, s0, s24
	s_and_not1_b32 exec_lo, exec_lo, s24
	s_cbranch_execz .LBB805_462
.LBB805_459:                            ; =>This Inner Loop Header: Depth=1
	s_or_b32 s25, s25, exec_lo
	s_cmp_eq_u64 s[14:15], s[20:21]
	s_cbranch_scc0 .LBB805_457
; %bb.460:                              ;   in Loop: Header=BB805_459 Depth=1
	s_mov_b64 s[20:21], s[8:9]
                                        ; implicit-def: $vgpr57_vgpr58
                                        ; implicit-def: $vgpr59_vgpr60
	s_branch .LBB805_458
.LBB805_461:
	v_mov_b32_e32 v133, 0
	v_mov_b32_e32 v134, 0
	s_branch .LBB805_464
.LBB805_462:
	s_set_inst_prefetch_distance 0x2
	s_or_b32 exec_lo, exec_lo, s24
	v_cmp_gt_i64_e32 vcc_lo, s[8:9], v[61:62]
	s_mov_b32 s0, 0
	s_delay_alu instid0(SALU_CYCLE_1)
	v_mov_b32_e32 v134, s0
	v_cndmask_b32_e64 v133, 0, 1, vcc_lo
.LBB805_463:
	s_or_b32 exec_lo, exec_lo, s23
.LBB805_464:
	s_delay_alu instid0(SALU_CYCLE_1) | instskip(SKIP_3) | instid1(VALU_DEP_2)
	s_or_b32 exec_lo, exec_lo, s22
	v_dual_mov_b32 v136, v42 :: v_dual_add_nc_u32 v57, 16, v64
	v_mov_b32_e32 v135, v41
	s_mov_b32 s22, exec_lo
	v_cmpx_gt_u32_e64 s3, v57
	s_cbranch_execz .LBB805_475
; %bb.465:
	v_cmp_ne_u32_e32 vcc_lo, 1, v63
	s_cbranch_vccnz .LBB805_472
; %bb.466:
	v_mul_lo_u32 v61, v42, s8
	v_mul_lo_u32 v62, v41, s9
	v_mad_u64_u32 v[57:58], null, v41, s8, 0
	v_mul_lo_u32 v65, v40, s8
	v_mul_lo_u32 v66, v39, s9
	v_mad_u64_u32 v[59:60], null, v39, s8, 0
	v_mov_b32_e32 v135, 1
	v_mov_b32_e32 v136, 0
	v_add3_u32 v58, v58, v62, v61
	s_mov_b32 s23, exec_lo
	s_delay_alu instid0(VALU_DEP_4) | instskip(NEXT) | instid1(VALU_DEP_2)
	v_add3_u32 v60, v60, v66, v65
	v_lshlrev_b64 v[57:58], 3, v[57:58]
	s_delay_alu instid0(VALU_DEP_2) | instskip(NEXT) | instid1(VALU_DEP_2)
	v_lshlrev_b64 v[61:62], 3, v[59:60]
	v_add_co_u32 v59, vcc_lo, s10, v57
	s_delay_alu instid0(VALU_DEP_3) | instskip(NEXT) | instid1(VALU_DEP_3)
	v_add_co_ci_u32_e32 v60, vcc_lo, s11, v58, vcc_lo
	v_add_co_u32 v57, vcc_lo, s10, v61
	s_delay_alu instid0(VALU_DEP_4)
	v_add_co_ci_u32_e32 v58, vcc_lo, s11, v62, vcc_lo
	s_clause 0x1
	global_load_b64 v[61:62], v[59:60], off
	global_load_b64 v[65:66], v[57:58], off
	s_waitcnt vmcnt(0)
	v_cmpx_eq_f64_e32 v[61:62], v[65:66]
	s_cbranch_execz .LBB805_474
; %bb.467:
	v_add_co_u32 v57, vcc_lo, v57, 8
	v_add_co_ci_u32_e32 v58, vcc_lo, 0, v58, vcc_lo
	v_add_co_u32 v59, vcc_lo, v59, 8
	v_add_co_ci_u32_e32 v60, vcc_lo, 0, v60, vcc_lo
	s_add_u32 s14, s8, -1
	s_addc_u32 s15, s9, -1
	s_mov_b64 s[20:21], 0
	s_mov_b32 s24, 0
                                        ; implicit-def: $sgpr25
	s_set_inst_prefetch_distance 0x1
	s_branch .LBB805_470
	.p2align	6
.LBB805_468:                            ;   in Loop: Header=BB805_470 Depth=1
	global_load_b64 v[61:62], v[59:60], off
	global_load_b64 v[65:66], v[57:58], off
	v_add_co_u32 v57, s0, v57, 8
	s_delay_alu instid0(VALU_DEP_1) | instskip(SKIP_1) | instid1(VALU_DEP_1)
	v_add_co_ci_u32_e64 v58, s0, 0, v58, s0
	v_add_co_u32 v59, s0, v59, 8
	v_add_co_ci_u32_e64 v60, s0, 0, v60, s0
	s_add_u32 s20, s20, 1
	s_addc_u32 s21, s21, 0
	s_and_not1_b32 s0, s25, exec_lo
	s_waitcnt vmcnt(0)
	v_cmp_neq_f64_e32 vcc_lo, v[61:62], v[65:66]
	s_and_b32 s25, vcc_lo, exec_lo
	s_delay_alu instid0(SALU_CYCLE_1)
	s_or_b32 s25, s0, s25
.LBB805_469:                            ;   in Loop: Header=BB805_470 Depth=1
	v_dual_mov_b32 v62, s21 :: v_dual_mov_b32 v61, s20
	s_and_b32 s0, exec_lo, s25
	s_delay_alu instid0(SALU_CYCLE_1) | instskip(NEXT) | instid1(SALU_CYCLE_1)
	s_or_b32 s24, s0, s24
	s_and_not1_b32 exec_lo, exec_lo, s24
	s_cbranch_execz .LBB805_473
.LBB805_470:                            ; =>This Inner Loop Header: Depth=1
	s_or_b32 s25, s25, exec_lo
	s_cmp_eq_u64 s[14:15], s[20:21]
	s_cbranch_scc0 .LBB805_468
; %bb.471:                              ;   in Loop: Header=BB805_470 Depth=1
	s_mov_b64 s[20:21], s[8:9]
                                        ; implicit-def: $vgpr57_vgpr58
                                        ; implicit-def: $vgpr59_vgpr60
	s_branch .LBB805_469
.LBB805_472:
	v_mov_b32_e32 v135, 0
	v_mov_b32_e32 v136, 0
	s_branch .LBB805_475
.LBB805_473:
	s_set_inst_prefetch_distance 0x2
	s_or_b32 exec_lo, exec_lo, s24
	v_cmp_gt_i64_e32 vcc_lo, s[8:9], v[61:62]
	s_mov_b32 s0, 0
	s_delay_alu instid0(SALU_CYCLE_1)
	v_mov_b32_e32 v136, s0
	v_cndmask_b32_e64 v135, 0, 1, vcc_lo
.LBB805_474:
	s_or_b32 exec_lo, exec_lo, s23
.LBB805_475:
	s_delay_alu instid0(SALU_CYCLE_1) | instskip(SKIP_3) | instid1(VALU_DEP_2)
	s_or_b32 exec_lo, exec_lo, s22
	v_dual_mov_b32 v138, v40 :: v_dual_add_nc_u32 v57, 15, v64
	v_mov_b32_e32 v137, v39
	s_mov_b32 s22, exec_lo
	v_cmpx_gt_u32_e64 s3, v57
	s_cbranch_execz .LBB805_486
; %bb.476:
	v_cmp_ne_u32_e32 vcc_lo, 1, v63
	s_cbranch_vccnz .LBB805_483
; %bb.477:
	v_mul_lo_u32 v61, v40, s8
	v_mul_lo_u32 v62, v39, s9
	v_mad_u64_u32 v[57:58], null, v39, s8, 0
	v_mul_lo_u32 v65, v38, s8
	v_mul_lo_u32 v66, v37, s9
	v_mad_u64_u32 v[59:60], null, v37, s8, 0
	v_mov_b32_e32 v137, 1
	v_mov_b32_e32 v138, 0
	v_add3_u32 v58, v58, v62, v61
	s_mov_b32 s23, exec_lo
	s_delay_alu instid0(VALU_DEP_4) | instskip(NEXT) | instid1(VALU_DEP_2)
	v_add3_u32 v60, v60, v66, v65
	v_lshlrev_b64 v[57:58], 3, v[57:58]
	s_delay_alu instid0(VALU_DEP_2) | instskip(NEXT) | instid1(VALU_DEP_2)
	v_lshlrev_b64 v[61:62], 3, v[59:60]
	v_add_co_u32 v59, vcc_lo, s10, v57
	s_delay_alu instid0(VALU_DEP_3) | instskip(NEXT) | instid1(VALU_DEP_3)
	v_add_co_ci_u32_e32 v60, vcc_lo, s11, v58, vcc_lo
	v_add_co_u32 v57, vcc_lo, s10, v61
	s_delay_alu instid0(VALU_DEP_4)
	v_add_co_ci_u32_e32 v58, vcc_lo, s11, v62, vcc_lo
	s_clause 0x1
	global_load_b64 v[61:62], v[59:60], off
	global_load_b64 v[65:66], v[57:58], off
	s_waitcnt vmcnt(0)
	v_cmpx_eq_f64_e32 v[61:62], v[65:66]
	s_cbranch_execz .LBB805_485
; %bb.478:
	v_add_co_u32 v57, vcc_lo, v57, 8
	v_add_co_ci_u32_e32 v58, vcc_lo, 0, v58, vcc_lo
	v_add_co_u32 v59, vcc_lo, v59, 8
	v_add_co_ci_u32_e32 v60, vcc_lo, 0, v60, vcc_lo
	s_add_u32 s14, s8, -1
	s_addc_u32 s15, s9, -1
	s_mov_b64 s[20:21], 0
	s_mov_b32 s24, 0
                                        ; implicit-def: $sgpr25
	s_set_inst_prefetch_distance 0x1
	s_branch .LBB805_481
	.p2align	6
.LBB805_479:                            ;   in Loop: Header=BB805_481 Depth=1
	global_load_b64 v[61:62], v[59:60], off
	global_load_b64 v[65:66], v[57:58], off
	v_add_co_u32 v57, s0, v57, 8
	s_delay_alu instid0(VALU_DEP_1) | instskip(SKIP_1) | instid1(VALU_DEP_1)
	v_add_co_ci_u32_e64 v58, s0, 0, v58, s0
	v_add_co_u32 v59, s0, v59, 8
	v_add_co_ci_u32_e64 v60, s0, 0, v60, s0
	s_add_u32 s20, s20, 1
	s_addc_u32 s21, s21, 0
	s_and_not1_b32 s0, s25, exec_lo
	s_waitcnt vmcnt(0)
	v_cmp_neq_f64_e32 vcc_lo, v[61:62], v[65:66]
	s_and_b32 s25, vcc_lo, exec_lo
	s_delay_alu instid0(SALU_CYCLE_1)
	s_or_b32 s25, s0, s25
.LBB805_480:                            ;   in Loop: Header=BB805_481 Depth=1
	v_dual_mov_b32 v62, s21 :: v_dual_mov_b32 v61, s20
	s_and_b32 s0, exec_lo, s25
	s_delay_alu instid0(SALU_CYCLE_1) | instskip(NEXT) | instid1(SALU_CYCLE_1)
	s_or_b32 s24, s0, s24
	s_and_not1_b32 exec_lo, exec_lo, s24
	s_cbranch_execz .LBB805_484
.LBB805_481:                            ; =>This Inner Loop Header: Depth=1
	s_or_b32 s25, s25, exec_lo
	s_cmp_eq_u64 s[14:15], s[20:21]
	s_cbranch_scc0 .LBB805_479
; %bb.482:                              ;   in Loop: Header=BB805_481 Depth=1
	s_mov_b64 s[20:21], s[8:9]
                                        ; implicit-def: $vgpr57_vgpr58
                                        ; implicit-def: $vgpr59_vgpr60
	s_branch .LBB805_480
.LBB805_483:
	v_mov_b32_e32 v137, 0
	v_mov_b32_e32 v138, 0
	s_branch .LBB805_486
.LBB805_484:
	s_set_inst_prefetch_distance 0x2
	s_or_b32 exec_lo, exec_lo, s24
	v_cmp_gt_i64_e32 vcc_lo, s[8:9], v[61:62]
	s_mov_b32 s0, 0
	s_delay_alu instid0(SALU_CYCLE_1)
	v_mov_b32_e32 v138, s0
	v_cndmask_b32_e64 v137, 0, 1, vcc_lo
.LBB805_485:
	s_or_b32 exec_lo, exec_lo, s23
.LBB805_486:
	s_delay_alu instid0(SALU_CYCLE_1) | instskip(SKIP_3) | instid1(VALU_DEP_2)
	s_or_b32 exec_lo, exec_lo, s22
	v_dual_mov_b32 v140, v38 :: v_dual_add_nc_u32 v57, 14, v64
	v_mov_b32_e32 v139, v37
	s_mov_b32 s22, exec_lo
	v_cmpx_gt_u32_e64 s3, v57
	s_cbranch_execz .LBB805_497
; %bb.487:
	v_cmp_ne_u32_e32 vcc_lo, 1, v63
	s_cbranch_vccnz .LBB805_494
; %bb.488:
	v_mul_lo_u32 v61, v38, s8
	v_mul_lo_u32 v62, v37, s9
	v_mad_u64_u32 v[57:58], null, v37, s8, 0
	v_mul_lo_u32 v65, v36, s8
	v_mul_lo_u32 v66, v35, s9
	v_mad_u64_u32 v[59:60], null, v35, s8, 0
	v_mov_b32_e32 v139, 1
	v_mov_b32_e32 v140, 0
	v_add3_u32 v58, v58, v62, v61
	s_mov_b32 s23, exec_lo
	s_delay_alu instid0(VALU_DEP_4) | instskip(NEXT) | instid1(VALU_DEP_2)
	v_add3_u32 v60, v60, v66, v65
	v_lshlrev_b64 v[57:58], 3, v[57:58]
	s_delay_alu instid0(VALU_DEP_2) | instskip(NEXT) | instid1(VALU_DEP_2)
	v_lshlrev_b64 v[61:62], 3, v[59:60]
	v_add_co_u32 v59, vcc_lo, s10, v57
	s_delay_alu instid0(VALU_DEP_3) | instskip(NEXT) | instid1(VALU_DEP_3)
	v_add_co_ci_u32_e32 v60, vcc_lo, s11, v58, vcc_lo
	v_add_co_u32 v57, vcc_lo, s10, v61
	s_delay_alu instid0(VALU_DEP_4)
	v_add_co_ci_u32_e32 v58, vcc_lo, s11, v62, vcc_lo
	s_clause 0x1
	global_load_b64 v[61:62], v[59:60], off
	global_load_b64 v[65:66], v[57:58], off
	s_waitcnt vmcnt(0)
	v_cmpx_eq_f64_e32 v[61:62], v[65:66]
	s_cbranch_execz .LBB805_496
; %bb.489:
	v_add_co_u32 v57, vcc_lo, v57, 8
	v_add_co_ci_u32_e32 v58, vcc_lo, 0, v58, vcc_lo
	v_add_co_u32 v59, vcc_lo, v59, 8
	v_add_co_ci_u32_e32 v60, vcc_lo, 0, v60, vcc_lo
	s_add_u32 s14, s8, -1
	s_addc_u32 s15, s9, -1
	s_mov_b64 s[20:21], 0
	s_mov_b32 s24, 0
                                        ; implicit-def: $sgpr25
	s_set_inst_prefetch_distance 0x1
	s_branch .LBB805_492
	.p2align	6
.LBB805_490:                            ;   in Loop: Header=BB805_492 Depth=1
	global_load_b64 v[61:62], v[59:60], off
	global_load_b64 v[65:66], v[57:58], off
	v_add_co_u32 v57, s0, v57, 8
	s_delay_alu instid0(VALU_DEP_1) | instskip(SKIP_1) | instid1(VALU_DEP_1)
	v_add_co_ci_u32_e64 v58, s0, 0, v58, s0
	v_add_co_u32 v59, s0, v59, 8
	v_add_co_ci_u32_e64 v60, s0, 0, v60, s0
	s_add_u32 s20, s20, 1
	s_addc_u32 s21, s21, 0
	s_and_not1_b32 s0, s25, exec_lo
	s_waitcnt vmcnt(0)
	v_cmp_neq_f64_e32 vcc_lo, v[61:62], v[65:66]
	s_and_b32 s25, vcc_lo, exec_lo
	s_delay_alu instid0(SALU_CYCLE_1)
	s_or_b32 s25, s0, s25
.LBB805_491:                            ;   in Loop: Header=BB805_492 Depth=1
	v_dual_mov_b32 v62, s21 :: v_dual_mov_b32 v61, s20
	s_and_b32 s0, exec_lo, s25
	s_delay_alu instid0(SALU_CYCLE_1) | instskip(NEXT) | instid1(SALU_CYCLE_1)
	s_or_b32 s24, s0, s24
	s_and_not1_b32 exec_lo, exec_lo, s24
	s_cbranch_execz .LBB805_495
.LBB805_492:                            ; =>This Inner Loop Header: Depth=1
	s_or_b32 s25, s25, exec_lo
	s_cmp_eq_u64 s[14:15], s[20:21]
	s_cbranch_scc0 .LBB805_490
; %bb.493:                              ;   in Loop: Header=BB805_492 Depth=1
	s_mov_b64 s[20:21], s[8:9]
                                        ; implicit-def: $vgpr57_vgpr58
                                        ; implicit-def: $vgpr59_vgpr60
	s_branch .LBB805_491
.LBB805_494:
	v_mov_b32_e32 v139, 0
	v_mov_b32_e32 v140, 0
	s_branch .LBB805_497
.LBB805_495:
	s_set_inst_prefetch_distance 0x2
	s_or_b32 exec_lo, exec_lo, s24
	v_cmp_gt_i64_e32 vcc_lo, s[8:9], v[61:62]
	s_mov_b32 s0, 0
	s_delay_alu instid0(SALU_CYCLE_1)
	v_mov_b32_e32 v140, s0
	v_cndmask_b32_e64 v139, 0, 1, vcc_lo
.LBB805_496:
	s_or_b32 exec_lo, exec_lo, s23
.LBB805_497:
	s_delay_alu instid0(SALU_CYCLE_1) | instskip(SKIP_3) | instid1(VALU_DEP_2)
	s_or_b32 exec_lo, exec_lo, s22
	v_dual_mov_b32 v142, v36 :: v_dual_add_nc_u32 v57, 13, v64
	v_mov_b32_e32 v141, v35
	s_mov_b32 s22, exec_lo
	v_cmpx_gt_u32_e64 s3, v57
	s_cbranch_execz .LBB805_508
; %bb.498:
	v_cmp_ne_u32_e32 vcc_lo, 1, v63
	s_cbranch_vccnz .LBB805_505
; %bb.499:
	v_mul_lo_u32 v61, v36, s8
	v_mul_lo_u32 v62, v35, s9
	v_mad_u64_u32 v[57:58], null, v35, s8, 0
	v_mul_lo_u32 v65, v34, s8
	v_mul_lo_u32 v66, v33, s9
	v_mad_u64_u32 v[59:60], null, v33, s8, 0
	v_mov_b32_e32 v141, 1
	v_mov_b32_e32 v142, 0
	v_add3_u32 v58, v58, v62, v61
	s_mov_b32 s23, exec_lo
	s_delay_alu instid0(VALU_DEP_4) | instskip(NEXT) | instid1(VALU_DEP_2)
	v_add3_u32 v60, v60, v66, v65
	v_lshlrev_b64 v[57:58], 3, v[57:58]
	s_delay_alu instid0(VALU_DEP_2) | instskip(NEXT) | instid1(VALU_DEP_2)
	v_lshlrev_b64 v[61:62], 3, v[59:60]
	v_add_co_u32 v59, vcc_lo, s10, v57
	s_delay_alu instid0(VALU_DEP_3) | instskip(NEXT) | instid1(VALU_DEP_3)
	v_add_co_ci_u32_e32 v60, vcc_lo, s11, v58, vcc_lo
	v_add_co_u32 v57, vcc_lo, s10, v61
	s_delay_alu instid0(VALU_DEP_4)
	v_add_co_ci_u32_e32 v58, vcc_lo, s11, v62, vcc_lo
	s_clause 0x1
	global_load_b64 v[61:62], v[59:60], off
	global_load_b64 v[65:66], v[57:58], off
	s_waitcnt vmcnt(0)
	v_cmpx_eq_f64_e32 v[61:62], v[65:66]
	s_cbranch_execz .LBB805_507
; %bb.500:
	v_add_co_u32 v57, vcc_lo, v57, 8
	v_add_co_ci_u32_e32 v58, vcc_lo, 0, v58, vcc_lo
	v_add_co_u32 v59, vcc_lo, v59, 8
	v_add_co_ci_u32_e32 v60, vcc_lo, 0, v60, vcc_lo
	s_add_u32 s14, s8, -1
	s_addc_u32 s15, s9, -1
	s_mov_b64 s[20:21], 0
	s_mov_b32 s24, 0
                                        ; implicit-def: $sgpr25
	s_set_inst_prefetch_distance 0x1
	s_branch .LBB805_503
	.p2align	6
.LBB805_501:                            ;   in Loop: Header=BB805_503 Depth=1
	global_load_b64 v[61:62], v[59:60], off
	global_load_b64 v[65:66], v[57:58], off
	v_add_co_u32 v57, s0, v57, 8
	s_delay_alu instid0(VALU_DEP_1) | instskip(SKIP_1) | instid1(VALU_DEP_1)
	v_add_co_ci_u32_e64 v58, s0, 0, v58, s0
	v_add_co_u32 v59, s0, v59, 8
	v_add_co_ci_u32_e64 v60, s0, 0, v60, s0
	s_add_u32 s20, s20, 1
	s_addc_u32 s21, s21, 0
	s_and_not1_b32 s0, s25, exec_lo
	s_waitcnt vmcnt(0)
	v_cmp_neq_f64_e32 vcc_lo, v[61:62], v[65:66]
	s_and_b32 s25, vcc_lo, exec_lo
	s_delay_alu instid0(SALU_CYCLE_1)
	s_or_b32 s25, s0, s25
.LBB805_502:                            ;   in Loop: Header=BB805_503 Depth=1
	v_dual_mov_b32 v62, s21 :: v_dual_mov_b32 v61, s20
	s_and_b32 s0, exec_lo, s25
	s_delay_alu instid0(SALU_CYCLE_1) | instskip(NEXT) | instid1(SALU_CYCLE_1)
	s_or_b32 s24, s0, s24
	s_and_not1_b32 exec_lo, exec_lo, s24
	s_cbranch_execz .LBB805_506
.LBB805_503:                            ; =>This Inner Loop Header: Depth=1
	s_or_b32 s25, s25, exec_lo
	s_cmp_eq_u64 s[14:15], s[20:21]
	s_cbranch_scc0 .LBB805_501
; %bb.504:                              ;   in Loop: Header=BB805_503 Depth=1
	s_mov_b64 s[20:21], s[8:9]
                                        ; implicit-def: $vgpr57_vgpr58
                                        ; implicit-def: $vgpr59_vgpr60
	s_branch .LBB805_502
.LBB805_505:
	v_mov_b32_e32 v141, 0
	v_mov_b32_e32 v142, 0
	s_branch .LBB805_508
.LBB805_506:
	s_set_inst_prefetch_distance 0x2
	s_or_b32 exec_lo, exec_lo, s24
	v_cmp_gt_i64_e32 vcc_lo, s[8:9], v[61:62]
	s_mov_b32 s0, 0
	s_delay_alu instid0(SALU_CYCLE_1)
	v_mov_b32_e32 v142, s0
	v_cndmask_b32_e64 v141, 0, 1, vcc_lo
.LBB805_507:
	s_or_b32 exec_lo, exec_lo, s23
.LBB805_508:
	s_delay_alu instid0(SALU_CYCLE_1) | instskip(SKIP_3) | instid1(VALU_DEP_2)
	s_or_b32 exec_lo, exec_lo, s22
	v_dual_mov_b32 v144, v34 :: v_dual_add_nc_u32 v57, 12, v64
	v_mov_b32_e32 v143, v33
	s_mov_b32 s22, exec_lo
	v_cmpx_gt_u32_e64 s3, v57
	s_cbranch_execz .LBB805_519
; %bb.509:
	v_cmp_ne_u32_e32 vcc_lo, 1, v63
	s_cbranch_vccnz .LBB805_516
; %bb.510:
	v_mul_lo_u32 v61, v34, s8
	v_mul_lo_u32 v62, v33, s9
	v_mad_u64_u32 v[57:58], null, v33, s8, 0
	v_mul_lo_u32 v65, v32, s8
	v_mul_lo_u32 v66, v31, s9
	v_mad_u64_u32 v[59:60], null, v31, s8, 0
	v_mov_b32_e32 v143, 1
	v_mov_b32_e32 v144, 0
	v_add3_u32 v58, v58, v62, v61
	s_mov_b32 s23, exec_lo
	s_delay_alu instid0(VALU_DEP_4) | instskip(NEXT) | instid1(VALU_DEP_2)
	v_add3_u32 v60, v60, v66, v65
	v_lshlrev_b64 v[57:58], 3, v[57:58]
	s_delay_alu instid0(VALU_DEP_2) | instskip(NEXT) | instid1(VALU_DEP_2)
	v_lshlrev_b64 v[61:62], 3, v[59:60]
	v_add_co_u32 v59, vcc_lo, s10, v57
	s_delay_alu instid0(VALU_DEP_3) | instskip(NEXT) | instid1(VALU_DEP_3)
	v_add_co_ci_u32_e32 v60, vcc_lo, s11, v58, vcc_lo
	v_add_co_u32 v57, vcc_lo, s10, v61
	s_delay_alu instid0(VALU_DEP_4)
	v_add_co_ci_u32_e32 v58, vcc_lo, s11, v62, vcc_lo
	s_clause 0x1
	global_load_b64 v[61:62], v[59:60], off
	global_load_b64 v[65:66], v[57:58], off
	s_waitcnt vmcnt(0)
	v_cmpx_eq_f64_e32 v[61:62], v[65:66]
	s_cbranch_execz .LBB805_518
; %bb.511:
	v_add_co_u32 v57, vcc_lo, v57, 8
	v_add_co_ci_u32_e32 v58, vcc_lo, 0, v58, vcc_lo
	v_add_co_u32 v59, vcc_lo, v59, 8
	v_add_co_ci_u32_e32 v60, vcc_lo, 0, v60, vcc_lo
	s_add_u32 s14, s8, -1
	s_addc_u32 s15, s9, -1
	s_mov_b64 s[20:21], 0
	s_mov_b32 s24, 0
                                        ; implicit-def: $sgpr25
	s_set_inst_prefetch_distance 0x1
	s_branch .LBB805_514
	.p2align	6
.LBB805_512:                            ;   in Loop: Header=BB805_514 Depth=1
	global_load_b64 v[61:62], v[59:60], off
	global_load_b64 v[65:66], v[57:58], off
	v_add_co_u32 v57, s0, v57, 8
	s_delay_alu instid0(VALU_DEP_1) | instskip(SKIP_1) | instid1(VALU_DEP_1)
	v_add_co_ci_u32_e64 v58, s0, 0, v58, s0
	v_add_co_u32 v59, s0, v59, 8
	v_add_co_ci_u32_e64 v60, s0, 0, v60, s0
	s_add_u32 s20, s20, 1
	s_addc_u32 s21, s21, 0
	s_and_not1_b32 s0, s25, exec_lo
	s_waitcnt vmcnt(0)
	v_cmp_neq_f64_e32 vcc_lo, v[61:62], v[65:66]
	s_and_b32 s25, vcc_lo, exec_lo
	s_delay_alu instid0(SALU_CYCLE_1)
	s_or_b32 s25, s0, s25
.LBB805_513:                            ;   in Loop: Header=BB805_514 Depth=1
	v_dual_mov_b32 v62, s21 :: v_dual_mov_b32 v61, s20
	s_and_b32 s0, exec_lo, s25
	s_delay_alu instid0(SALU_CYCLE_1) | instskip(NEXT) | instid1(SALU_CYCLE_1)
	s_or_b32 s24, s0, s24
	s_and_not1_b32 exec_lo, exec_lo, s24
	s_cbranch_execz .LBB805_517
.LBB805_514:                            ; =>This Inner Loop Header: Depth=1
	s_or_b32 s25, s25, exec_lo
	s_cmp_eq_u64 s[14:15], s[20:21]
	s_cbranch_scc0 .LBB805_512
; %bb.515:                              ;   in Loop: Header=BB805_514 Depth=1
	s_mov_b64 s[20:21], s[8:9]
                                        ; implicit-def: $vgpr57_vgpr58
                                        ; implicit-def: $vgpr59_vgpr60
	s_branch .LBB805_513
.LBB805_516:
	v_mov_b32_e32 v143, 0
	v_mov_b32_e32 v144, 0
	s_branch .LBB805_519
.LBB805_517:
	s_set_inst_prefetch_distance 0x2
	s_or_b32 exec_lo, exec_lo, s24
	v_cmp_gt_i64_e32 vcc_lo, s[8:9], v[61:62]
	s_mov_b32 s0, 0
	s_delay_alu instid0(SALU_CYCLE_1)
	v_mov_b32_e32 v144, s0
	v_cndmask_b32_e64 v143, 0, 1, vcc_lo
.LBB805_518:
	s_or_b32 exec_lo, exec_lo, s23
.LBB805_519:
	s_delay_alu instid0(SALU_CYCLE_1) | instskip(SKIP_3) | instid1(VALU_DEP_2)
	s_or_b32 exec_lo, exec_lo, s22
	v_dual_mov_b32 v146, v32 :: v_dual_add_nc_u32 v57, 11, v64
	v_mov_b32_e32 v145, v31
	s_mov_b32 s22, exec_lo
	v_cmpx_gt_u32_e64 s3, v57
	s_cbranch_execz .LBB805_530
; %bb.520:
	v_cmp_ne_u32_e32 vcc_lo, 1, v63
	s_cbranch_vccnz .LBB805_527
; %bb.521:
	v_mul_lo_u32 v61, v32, s8
	v_mul_lo_u32 v62, v31, s9
	v_mad_u64_u32 v[57:58], null, v31, s8, 0
	v_mul_lo_u32 v65, v30, s8
	v_mul_lo_u32 v66, v29, s9
	v_mad_u64_u32 v[59:60], null, v29, s8, 0
	v_mov_b32_e32 v145, 1
	v_mov_b32_e32 v146, 0
	v_add3_u32 v58, v58, v62, v61
	s_mov_b32 s23, exec_lo
	s_delay_alu instid0(VALU_DEP_4) | instskip(NEXT) | instid1(VALU_DEP_2)
	v_add3_u32 v60, v60, v66, v65
	v_lshlrev_b64 v[57:58], 3, v[57:58]
	s_delay_alu instid0(VALU_DEP_2) | instskip(NEXT) | instid1(VALU_DEP_2)
	v_lshlrev_b64 v[61:62], 3, v[59:60]
	v_add_co_u32 v59, vcc_lo, s10, v57
	s_delay_alu instid0(VALU_DEP_3) | instskip(NEXT) | instid1(VALU_DEP_3)
	v_add_co_ci_u32_e32 v60, vcc_lo, s11, v58, vcc_lo
	v_add_co_u32 v57, vcc_lo, s10, v61
	s_delay_alu instid0(VALU_DEP_4)
	v_add_co_ci_u32_e32 v58, vcc_lo, s11, v62, vcc_lo
	s_clause 0x1
	global_load_b64 v[61:62], v[59:60], off
	global_load_b64 v[65:66], v[57:58], off
	s_waitcnt vmcnt(0)
	v_cmpx_eq_f64_e32 v[61:62], v[65:66]
	s_cbranch_execz .LBB805_529
; %bb.522:
	v_add_co_u32 v57, vcc_lo, v57, 8
	v_add_co_ci_u32_e32 v58, vcc_lo, 0, v58, vcc_lo
	v_add_co_u32 v59, vcc_lo, v59, 8
	v_add_co_ci_u32_e32 v60, vcc_lo, 0, v60, vcc_lo
	s_add_u32 s14, s8, -1
	s_addc_u32 s15, s9, -1
	s_mov_b64 s[20:21], 0
	s_mov_b32 s24, 0
                                        ; implicit-def: $sgpr25
	s_set_inst_prefetch_distance 0x1
	s_branch .LBB805_525
	.p2align	6
.LBB805_523:                            ;   in Loop: Header=BB805_525 Depth=1
	global_load_b64 v[61:62], v[59:60], off
	global_load_b64 v[65:66], v[57:58], off
	v_add_co_u32 v57, s0, v57, 8
	s_delay_alu instid0(VALU_DEP_1) | instskip(SKIP_1) | instid1(VALU_DEP_1)
	v_add_co_ci_u32_e64 v58, s0, 0, v58, s0
	v_add_co_u32 v59, s0, v59, 8
	v_add_co_ci_u32_e64 v60, s0, 0, v60, s0
	s_add_u32 s20, s20, 1
	s_addc_u32 s21, s21, 0
	s_and_not1_b32 s0, s25, exec_lo
	s_waitcnt vmcnt(0)
	v_cmp_neq_f64_e32 vcc_lo, v[61:62], v[65:66]
	s_and_b32 s25, vcc_lo, exec_lo
	s_delay_alu instid0(SALU_CYCLE_1)
	s_or_b32 s25, s0, s25
.LBB805_524:                            ;   in Loop: Header=BB805_525 Depth=1
	v_dual_mov_b32 v62, s21 :: v_dual_mov_b32 v61, s20
	s_and_b32 s0, exec_lo, s25
	s_delay_alu instid0(SALU_CYCLE_1) | instskip(NEXT) | instid1(SALU_CYCLE_1)
	s_or_b32 s24, s0, s24
	s_and_not1_b32 exec_lo, exec_lo, s24
	s_cbranch_execz .LBB805_528
.LBB805_525:                            ; =>This Inner Loop Header: Depth=1
	s_or_b32 s25, s25, exec_lo
	s_cmp_eq_u64 s[14:15], s[20:21]
	s_cbranch_scc0 .LBB805_523
; %bb.526:                              ;   in Loop: Header=BB805_525 Depth=1
	s_mov_b64 s[20:21], s[8:9]
                                        ; implicit-def: $vgpr57_vgpr58
                                        ; implicit-def: $vgpr59_vgpr60
	s_branch .LBB805_524
.LBB805_527:
	v_mov_b32_e32 v145, 0
	v_mov_b32_e32 v146, 0
	s_branch .LBB805_530
.LBB805_528:
	s_set_inst_prefetch_distance 0x2
	s_or_b32 exec_lo, exec_lo, s24
	v_cmp_gt_i64_e32 vcc_lo, s[8:9], v[61:62]
	s_mov_b32 s0, 0
	s_delay_alu instid0(SALU_CYCLE_1)
	v_mov_b32_e32 v146, s0
	v_cndmask_b32_e64 v145, 0, 1, vcc_lo
.LBB805_529:
	s_or_b32 exec_lo, exec_lo, s23
.LBB805_530:
	s_delay_alu instid0(SALU_CYCLE_1) | instskip(SKIP_3) | instid1(VALU_DEP_2)
	s_or_b32 exec_lo, exec_lo, s22
	v_dual_mov_b32 v148, v30 :: v_dual_add_nc_u32 v57, 10, v64
	v_mov_b32_e32 v147, v29
	s_mov_b32 s22, exec_lo
	v_cmpx_gt_u32_e64 s3, v57
	s_cbranch_execz .LBB805_541
; %bb.531:
	v_cmp_ne_u32_e32 vcc_lo, 1, v63
	s_cbranch_vccnz .LBB805_538
; %bb.532:
	v_mul_lo_u32 v61, v30, s8
	v_mul_lo_u32 v62, v29, s9
	v_mad_u64_u32 v[57:58], null, v29, s8, 0
	v_mul_lo_u32 v65, v28, s8
	v_mul_lo_u32 v66, v27, s9
	v_mad_u64_u32 v[59:60], null, v27, s8, 0
	v_mov_b32_e32 v147, 1
	v_mov_b32_e32 v148, 0
	v_add3_u32 v58, v58, v62, v61
	s_mov_b32 s23, exec_lo
	s_delay_alu instid0(VALU_DEP_4) | instskip(NEXT) | instid1(VALU_DEP_2)
	v_add3_u32 v60, v60, v66, v65
	v_lshlrev_b64 v[57:58], 3, v[57:58]
	s_delay_alu instid0(VALU_DEP_2) | instskip(NEXT) | instid1(VALU_DEP_2)
	v_lshlrev_b64 v[61:62], 3, v[59:60]
	v_add_co_u32 v59, vcc_lo, s10, v57
	s_delay_alu instid0(VALU_DEP_3) | instskip(NEXT) | instid1(VALU_DEP_3)
	v_add_co_ci_u32_e32 v60, vcc_lo, s11, v58, vcc_lo
	v_add_co_u32 v57, vcc_lo, s10, v61
	s_delay_alu instid0(VALU_DEP_4)
	v_add_co_ci_u32_e32 v58, vcc_lo, s11, v62, vcc_lo
	s_clause 0x1
	global_load_b64 v[61:62], v[59:60], off
	global_load_b64 v[65:66], v[57:58], off
	s_waitcnt vmcnt(0)
	v_cmpx_eq_f64_e32 v[61:62], v[65:66]
	s_cbranch_execz .LBB805_540
; %bb.533:
	v_add_co_u32 v57, vcc_lo, v57, 8
	v_add_co_ci_u32_e32 v58, vcc_lo, 0, v58, vcc_lo
	v_add_co_u32 v59, vcc_lo, v59, 8
	v_add_co_ci_u32_e32 v60, vcc_lo, 0, v60, vcc_lo
	s_add_u32 s14, s8, -1
	s_addc_u32 s15, s9, -1
	s_mov_b64 s[20:21], 0
	s_mov_b32 s24, 0
                                        ; implicit-def: $sgpr25
	s_set_inst_prefetch_distance 0x1
	s_branch .LBB805_536
	.p2align	6
.LBB805_534:                            ;   in Loop: Header=BB805_536 Depth=1
	global_load_b64 v[61:62], v[59:60], off
	global_load_b64 v[65:66], v[57:58], off
	v_add_co_u32 v57, s0, v57, 8
	s_delay_alu instid0(VALU_DEP_1) | instskip(SKIP_1) | instid1(VALU_DEP_1)
	v_add_co_ci_u32_e64 v58, s0, 0, v58, s0
	v_add_co_u32 v59, s0, v59, 8
	v_add_co_ci_u32_e64 v60, s0, 0, v60, s0
	s_add_u32 s20, s20, 1
	s_addc_u32 s21, s21, 0
	s_and_not1_b32 s0, s25, exec_lo
	s_waitcnt vmcnt(0)
	v_cmp_neq_f64_e32 vcc_lo, v[61:62], v[65:66]
	s_and_b32 s25, vcc_lo, exec_lo
	s_delay_alu instid0(SALU_CYCLE_1)
	s_or_b32 s25, s0, s25
.LBB805_535:                            ;   in Loop: Header=BB805_536 Depth=1
	v_dual_mov_b32 v62, s21 :: v_dual_mov_b32 v61, s20
	s_and_b32 s0, exec_lo, s25
	s_delay_alu instid0(SALU_CYCLE_1) | instskip(NEXT) | instid1(SALU_CYCLE_1)
	s_or_b32 s24, s0, s24
	s_and_not1_b32 exec_lo, exec_lo, s24
	s_cbranch_execz .LBB805_539
.LBB805_536:                            ; =>This Inner Loop Header: Depth=1
	s_or_b32 s25, s25, exec_lo
	s_cmp_eq_u64 s[14:15], s[20:21]
	s_cbranch_scc0 .LBB805_534
; %bb.537:                              ;   in Loop: Header=BB805_536 Depth=1
	s_mov_b64 s[20:21], s[8:9]
                                        ; implicit-def: $vgpr57_vgpr58
                                        ; implicit-def: $vgpr59_vgpr60
	s_branch .LBB805_535
.LBB805_538:
	v_mov_b32_e32 v147, 0
	v_mov_b32_e32 v148, 0
	s_branch .LBB805_541
.LBB805_539:
	s_set_inst_prefetch_distance 0x2
	s_or_b32 exec_lo, exec_lo, s24
	v_cmp_gt_i64_e32 vcc_lo, s[8:9], v[61:62]
	s_mov_b32 s0, 0
	s_delay_alu instid0(SALU_CYCLE_1)
	v_mov_b32_e32 v148, s0
	v_cndmask_b32_e64 v147, 0, 1, vcc_lo
.LBB805_540:
	s_or_b32 exec_lo, exec_lo, s23
.LBB805_541:
	s_delay_alu instid0(SALU_CYCLE_1) | instskip(SKIP_3) | instid1(VALU_DEP_2)
	s_or_b32 exec_lo, exec_lo, s22
	v_dual_mov_b32 v150, v28 :: v_dual_add_nc_u32 v57, 9, v64
	v_mov_b32_e32 v149, v27
	s_mov_b32 s22, exec_lo
	v_cmpx_gt_u32_e64 s3, v57
	s_cbranch_execz .LBB805_552
; %bb.542:
	v_cmp_ne_u32_e32 vcc_lo, 1, v63
	s_cbranch_vccnz .LBB805_549
; %bb.543:
	v_mul_lo_u32 v61, v28, s8
	v_mul_lo_u32 v62, v27, s9
	v_mad_u64_u32 v[57:58], null, v27, s8, 0
	v_mul_lo_u32 v65, v26, s8
	v_mul_lo_u32 v66, v25, s9
	v_mad_u64_u32 v[59:60], null, v25, s8, 0
	v_mov_b32_e32 v149, 1
	v_mov_b32_e32 v150, 0
	v_add3_u32 v58, v58, v62, v61
	s_mov_b32 s23, exec_lo
	s_delay_alu instid0(VALU_DEP_4) | instskip(NEXT) | instid1(VALU_DEP_2)
	v_add3_u32 v60, v60, v66, v65
	v_lshlrev_b64 v[57:58], 3, v[57:58]
	s_delay_alu instid0(VALU_DEP_2) | instskip(NEXT) | instid1(VALU_DEP_2)
	v_lshlrev_b64 v[61:62], 3, v[59:60]
	v_add_co_u32 v59, vcc_lo, s10, v57
	s_delay_alu instid0(VALU_DEP_3) | instskip(NEXT) | instid1(VALU_DEP_3)
	v_add_co_ci_u32_e32 v60, vcc_lo, s11, v58, vcc_lo
	v_add_co_u32 v57, vcc_lo, s10, v61
	s_delay_alu instid0(VALU_DEP_4)
	v_add_co_ci_u32_e32 v58, vcc_lo, s11, v62, vcc_lo
	s_clause 0x1
	global_load_b64 v[61:62], v[59:60], off
	global_load_b64 v[65:66], v[57:58], off
	s_waitcnt vmcnt(0)
	v_cmpx_eq_f64_e32 v[61:62], v[65:66]
	s_cbranch_execz .LBB805_551
; %bb.544:
	v_add_co_u32 v57, vcc_lo, v57, 8
	v_add_co_ci_u32_e32 v58, vcc_lo, 0, v58, vcc_lo
	v_add_co_u32 v59, vcc_lo, v59, 8
	v_add_co_ci_u32_e32 v60, vcc_lo, 0, v60, vcc_lo
	s_add_u32 s14, s8, -1
	s_addc_u32 s15, s9, -1
	s_mov_b64 s[20:21], 0
	s_mov_b32 s24, 0
                                        ; implicit-def: $sgpr25
	s_set_inst_prefetch_distance 0x1
	s_branch .LBB805_547
	.p2align	6
.LBB805_545:                            ;   in Loop: Header=BB805_547 Depth=1
	global_load_b64 v[61:62], v[59:60], off
	global_load_b64 v[65:66], v[57:58], off
	v_add_co_u32 v57, s0, v57, 8
	s_delay_alu instid0(VALU_DEP_1) | instskip(SKIP_1) | instid1(VALU_DEP_1)
	v_add_co_ci_u32_e64 v58, s0, 0, v58, s0
	v_add_co_u32 v59, s0, v59, 8
	v_add_co_ci_u32_e64 v60, s0, 0, v60, s0
	s_add_u32 s20, s20, 1
	s_addc_u32 s21, s21, 0
	s_and_not1_b32 s0, s25, exec_lo
	s_waitcnt vmcnt(0)
	v_cmp_neq_f64_e32 vcc_lo, v[61:62], v[65:66]
	s_and_b32 s25, vcc_lo, exec_lo
	s_delay_alu instid0(SALU_CYCLE_1)
	s_or_b32 s25, s0, s25
.LBB805_546:                            ;   in Loop: Header=BB805_547 Depth=1
	v_dual_mov_b32 v62, s21 :: v_dual_mov_b32 v61, s20
	s_and_b32 s0, exec_lo, s25
	s_delay_alu instid0(SALU_CYCLE_1) | instskip(NEXT) | instid1(SALU_CYCLE_1)
	s_or_b32 s24, s0, s24
	s_and_not1_b32 exec_lo, exec_lo, s24
	s_cbranch_execz .LBB805_550
.LBB805_547:                            ; =>This Inner Loop Header: Depth=1
	s_or_b32 s25, s25, exec_lo
	s_cmp_eq_u64 s[14:15], s[20:21]
	s_cbranch_scc0 .LBB805_545
; %bb.548:                              ;   in Loop: Header=BB805_547 Depth=1
	s_mov_b64 s[20:21], s[8:9]
                                        ; implicit-def: $vgpr57_vgpr58
                                        ; implicit-def: $vgpr59_vgpr60
	s_branch .LBB805_546
.LBB805_549:
	v_mov_b32_e32 v149, 0
	v_mov_b32_e32 v150, 0
	s_branch .LBB805_552
.LBB805_550:
	s_set_inst_prefetch_distance 0x2
	s_or_b32 exec_lo, exec_lo, s24
	v_cmp_gt_i64_e32 vcc_lo, s[8:9], v[61:62]
	s_mov_b32 s0, 0
	s_delay_alu instid0(SALU_CYCLE_1)
	v_mov_b32_e32 v150, s0
	v_cndmask_b32_e64 v149, 0, 1, vcc_lo
.LBB805_551:
	s_or_b32 exec_lo, exec_lo, s23
.LBB805_552:
	s_delay_alu instid0(SALU_CYCLE_1) | instskip(SKIP_3) | instid1(VALU_DEP_2)
	s_or_b32 exec_lo, exec_lo, s22
	v_dual_mov_b32 v152, v26 :: v_dual_add_nc_u32 v57, 8, v64
	v_mov_b32_e32 v151, v25
	s_mov_b32 s22, exec_lo
	v_cmpx_gt_u32_e64 s3, v57
	s_cbranch_execz .LBB805_563
; %bb.553:
	v_cmp_ne_u32_e32 vcc_lo, 1, v63
	s_cbranch_vccnz .LBB805_560
; %bb.554:
	v_mul_lo_u32 v61, v26, s8
	v_mul_lo_u32 v62, v25, s9
	v_mad_u64_u32 v[57:58], null, v25, s8, 0
	v_mul_lo_u32 v65, v24, s8
	v_mul_lo_u32 v66, v23, s9
	v_mad_u64_u32 v[59:60], null, v23, s8, 0
	v_mov_b32_e32 v151, 1
	v_mov_b32_e32 v152, 0
	v_add3_u32 v58, v58, v62, v61
	s_mov_b32 s23, exec_lo
	s_delay_alu instid0(VALU_DEP_4) | instskip(NEXT) | instid1(VALU_DEP_2)
	v_add3_u32 v60, v60, v66, v65
	v_lshlrev_b64 v[57:58], 3, v[57:58]
	s_delay_alu instid0(VALU_DEP_2) | instskip(NEXT) | instid1(VALU_DEP_2)
	v_lshlrev_b64 v[61:62], 3, v[59:60]
	v_add_co_u32 v59, vcc_lo, s10, v57
	s_delay_alu instid0(VALU_DEP_3) | instskip(NEXT) | instid1(VALU_DEP_3)
	v_add_co_ci_u32_e32 v60, vcc_lo, s11, v58, vcc_lo
	v_add_co_u32 v57, vcc_lo, s10, v61
	s_delay_alu instid0(VALU_DEP_4)
	v_add_co_ci_u32_e32 v58, vcc_lo, s11, v62, vcc_lo
	s_clause 0x1
	global_load_b64 v[61:62], v[59:60], off
	global_load_b64 v[65:66], v[57:58], off
	s_waitcnt vmcnt(0)
	v_cmpx_eq_f64_e32 v[61:62], v[65:66]
	s_cbranch_execz .LBB805_562
; %bb.555:
	v_add_co_u32 v57, vcc_lo, v57, 8
	v_add_co_ci_u32_e32 v58, vcc_lo, 0, v58, vcc_lo
	v_add_co_u32 v59, vcc_lo, v59, 8
	v_add_co_ci_u32_e32 v60, vcc_lo, 0, v60, vcc_lo
	s_add_u32 s14, s8, -1
	s_addc_u32 s15, s9, -1
	s_mov_b64 s[20:21], 0
	s_mov_b32 s24, 0
                                        ; implicit-def: $sgpr25
	s_set_inst_prefetch_distance 0x1
	s_branch .LBB805_558
	.p2align	6
.LBB805_556:                            ;   in Loop: Header=BB805_558 Depth=1
	global_load_b64 v[61:62], v[59:60], off
	global_load_b64 v[65:66], v[57:58], off
	v_add_co_u32 v57, s0, v57, 8
	s_delay_alu instid0(VALU_DEP_1) | instskip(SKIP_1) | instid1(VALU_DEP_1)
	v_add_co_ci_u32_e64 v58, s0, 0, v58, s0
	v_add_co_u32 v59, s0, v59, 8
	v_add_co_ci_u32_e64 v60, s0, 0, v60, s0
	s_add_u32 s20, s20, 1
	s_addc_u32 s21, s21, 0
	s_and_not1_b32 s0, s25, exec_lo
	s_waitcnt vmcnt(0)
	v_cmp_neq_f64_e32 vcc_lo, v[61:62], v[65:66]
	s_and_b32 s25, vcc_lo, exec_lo
	s_delay_alu instid0(SALU_CYCLE_1)
	s_or_b32 s25, s0, s25
.LBB805_557:                            ;   in Loop: Header=BB805_558 Depth=1
	v_dual_mov_b32 v62, s21 :: v_dual_mov_b32 v61, s20
	s_and_b32 s0, exec_lo, s25
	s_delay_alu instid0(SALU_CYCLE_1) | instskip(NEXT) | instid1(SALU_CYCLE_1)
	s_or_b32 s24, s0, s24
	s_and_not1_b32 exec_lo, exec_lo, s24
	s_cbranch_execz .LBB805_561
.LBB805_558:                            ; =>This Inner Loop Header: Depth=1
	s_or_b32 s25, s25, exec_lo
	s_cmp_eq_u64 s[14:15], s[20:21]
	s_cbranch_scc0 .LBB805_556
; %bb.559:                              ;   in Loop: Header=BB805_558 Depth=1
	s_mov_b64 s[20:21], s[8:9]
                                        ; implicit-def: $vgpr57_vgpr58
                                        ; implicit-def: $vgpr59_vgpr60
	s_branch .LBB805_557
.LBB805_560:
	v_mov_b32_e32 v151, 0
	v_mov_b32_e32 v152, 0
	s_branch .LBB805_563
.LBB805_561:
	s_set_inst_prefetch_distance 0x2
	s_or_b32 exec_lo, exec_lo, s24
	v_cmp_gt_i64_e32 vcc_lo, s[8:9], v[61:62]
	s_mov_b32 s0, 0
	s_delay_alu instid0(SALU_CYCLE_1)
	v_mov_b32_e32 v152, s0
	v_cndmask_b32_e64 v151, 0, 1, vcc_lo
.LBB805_562:
	s_or_b32 exec_lo, exec_lo, s23
.LBB805_563:
	s_delay_alu instid0(SALU_CYCLE_1) | instskip(SKIP_3) | instid1(VALU_DEP_2)
	s_or_b32 exec_lo, exec_lo, s22
	v_dual_mov_b32 v154, v24 :: v_dual_add_nc_u32 v57, 7, v64
	v_mov_b32_e32 v153, v23
	s_mov_b32 s22, exec_lo
	v_cmpx_gt_u32_e64 s3, v57
	s_cbranch_execz .LBB805_574
; %bb.564:
	v_cmp_ne_u32_e32 vcc_lo, 1, v63
	s_cbranch_vccnz .LBB805_571
; %bb.565:
	v_mul_lo_u32 v61, v24, s8
	v_mul_lo_u32 v62, v23, s9
	v_mad_u64_u32 v[57:58], null, v23, s8, 0
	v_mul_lo_u32 v65, v22, s8
	v_mul_lo_u32 v66, v21, s9
	v_mad_u64_u32 v[59:60], null, v21, s8, 0
	v_mov_b32_e32 v153, 1
	v_mov_b32_e32 v154, 0
	v_add3_u32 v58, v58, v62, v61
	s_mov_b32 s23, exec_lo
	s_delay_alu instid0(VALU_DEP_4) | instskip(NEXT) | instid1(VALU_DEP_2)
	v_add3_u32 v60, v60, v66, v65
	v_lshlrev_b64 v[57:58], 3, v[57:58]
	s_delay_alu instid0(VALU_DEP_2) | instskip(NEXT) | instid1(VALU_DEP_2)
	v_lshlrev_b64 v[61:62], 3, v[59:60]
	v_add_co_u32 v59, vcc_lo, s10, v57
	s_delay_alu instid0(VALU_DEP_3) | instskip(NEXT) | instid1(VALU_DEP_3)
	v_add_co_ci_u32_e32 v60, vcc_lo, s11, v58, vcc_lo
	v_add_co_u32 v57, vcc_lo, s10, v61
	s_delay_alu instid0(VALU_DEP_4)
	v_add_co_ci_u32_e32 v58, vcc_lo, s11, v62, vcc_lo
	s_clause 0x1
	global_load_b64 v[61:62], v[59:60], off
	global_load_b64 v[65:66], v[57:58], off
	s_waitcnt vmcnt(0)
	v_cmpx_eq_f64_e32 v[61:62], v[65:66]
	s_cbranch_execz .LBB805_573
; %bb.566:
	v_add_co_u32 v57, vcc_lo, v57, 8
	v_add_co_ci_u32_e32 v58, vcc_lo, 0, v58, vcc_lo
	v_add_co_u32 v59, vcc_lo, v59, 8
	v_add_co_ci_u32_e32 v60, vcc_lo, 0, v60, vcc_lo
	s_add_u32 s14, s8, -1
	s_addc_u32 s15, s9, -1
	s_mov_b64 s[20:21], 0
	s_mov_b32 s24, 0
                                        ; implicit-def: $sgpr25
	s_set_inst_prefetch_distance 0x1
	s_branch .LBB805_569
	.p2align	6
.LBB805_567:                            ;   in Loop: Header=BB805_569 Depth=1
	global_load_b64 v[61:62], v[59:60], off
	global_load_b64 v[65:66], v[57:58], off
	v_add_co_u32 v57, s0, v57, 8
	s_delay_alu instid0(VALU_DEP_1) | instskip(SKIP_1) | instid1(VALU_DEP_1)
	v_add_co_ci_u32_e64 v58, s0, 0, v58, s0
	v_add_co_u32 v59, s0, v59, 8
	v_add_co_ci_u32_e64 v60, s0, 0, v60, s0
	s_add_u32 s20, s20, 1
	s_addc_u32 s21, s21, 0
	s_and_not1_b32 s0, s25, exec_lo
	s_waitcnt vmcnt(0)
	v_cmp_neq_f64_e32 vcc_lo, v[61:62], v[65:66]
	s_and_b32 s25, vcc_lo, exec_lo
	s_delay_alu instid0(SALU_CYCLE_1)
	s_or_b32 s25, s0, s25
.LBB805_568:                            ;   in Loop: Header=BB805_569 Depth=1
	v_dual_mov_b32 v62, s21 :: v_dual_mov_b32 v61, s20
	s_and_b32 s0, exec_lo, s25
	s_delay_alu instid0(SALU_CYCLE_1) | instskip(NEXT) | instid1(SALU_CYCLE_1)
	s_or_b32 s24, s0, s24
	s_and_not1_b32 exec_lo, exec_lo, s24
	s_cbranch_execz .LBB805_572
.LBB805_569:                            ; =>This Inner Loop Header: Depth=1
	s_or_b32 s25, s25, exec_lo
	s_cmp_eq_u64 s[14:15], s[20:21]
	s_cbranch_scc0 .LBB805_567
; %bb.570:                              ;   in Loop: Header=BB805_569 Depth=1
	s_mov_b64 s[20:21], s[8:9]
                                        ; implicit-def: $vgpr57_vgpr58
                                        ; implicit-def: $vgpr59_vgpr60
	s_branch .LBB805_568
.LBB805_571:
	v_mov_b32_e32 v153, 0
	v_mov_b32_e32 v154, 0
	s_branch .LBB805_574
.LBB805_572:
	s_set_inst_prefetch_distance 0x2
	s_or_b32 exec_lo, exec_lo, s24
	v_cmp_gt_i64_e32 vcc_lo, s[8:9], v[61:62]
	s_mov_b32 s0, 0
	s_delay_alu instid0(SALU_CYCLE_1)
	v_mov_b32_e32 v154, s0
	v_cndmask_b32_e64 v153, 0, 1, vcc_lo
.LBB805_573:
	s_or_b32 exec_lo, exec_lo, s23
.LBB805_574:
	s_delay_alu instid0(SALU_CYCLE_1) | instskip(SKIP_3) | instid1(VALU_DEP_2)
	s_or_b32 exec_lo, exec_lo, s22
	v_dual_mov_b32 v156, v22 :: v_dual_add_nc_u32 v57, 6, v64
	v_mov_b32_e32 v155, v21
	s_mov_b32 s22, exec_lo
	v_cmpx_gt_u32_e64 s3, v57
	s_cbranch_execz .LBB805_585
; %bb.575:
	v_cmp_ne_u32_e32 vcc_lo, 1, v63
	s_cbranch_vccnz .LBB805_582
; %bb.576:
	v_mul_lo_u32 v61, v22, s8
	v_mul_lo_u32 v62, v21, s9
	v_mad_u64_u32 v[57:58], null, v21, s8, 0
	v_mul_lo_u32 v65, v20, s8
	v_mul_lo_u32 v66, v19, s9
	v_mad_u64_u32 v[59:60], null, v19, s8, 0
	v_mov_b32_e32 v155, 1
	v_mov_b32_e32 v156, 0
	v_add3_u32 v58, v58, v62, v61
	s_mov_b32 s23, exec_lo
	s_delay_alu instid0(VALU_DEP_4) | instskip(NEXT) | instid1(VALU_DEP_2)
	v_add3_u32 v60, v60, v66, v65
	v_lshlrev_b64 v[57:58], 3, v[57:58]
	s_delay_alu instid0(VALU_DEP_2) | instskip(NEXT) | instid1(VALU_DEP_2)
	v_lshlrev_b64 v[61:62], 3, v[59:60]
	v_add_co_u32 v59, vcc_lo, s10, v57
	s_delay_alu instid0(VALU_DEP_3) | instskip(NEXT) | instid1(VALU_DEP_3)
	v_add_co_ci_u32_e32 v60, vcc_lo, s11, v58, vcc_lo
	v_add_co_u32 v57, vcc_lo, s10, v61
	s_delay_alu instid0(VALU_DEP_4)
	v_add_co_ci_u32_e32 v58, vcc_lo, s11, v62, vcc_lo
	s_clause 0x1
	global_load_b64 v[61:62], v[59:60], off
	global_load_b64 v[65:66], v[57:58], off
	s_waitcnt vmcnt(0)
	v_cmpx_eq_f64_e32 v[61:62], v[65:66]
	s_cbranch_execz .LBB805_584
; %bb.577:
	v_add_co_u32 v57, vcc_lo, v57, 8
	v_add_co_ci_u32_e32 v58, vcc_lo, 0, v58, vcc_lo
	v_add_co_u32 v59, vcc_lo, v59, 8
	v_add_co_ci_u32_e32 v60, vcc_lo, 0, v60, vcc_lo
	s_add_u32 s14, s8, -1
	s_addc_u32 s15, s9, -1
	s_mov_b64 s[20:21], 0
	s_mov_b32 s24, 0
                                        ; implicit-def: $sgpr25
	s_set_inst_prefetch_distance 0x1
	s_branch .LBB805_580
	.p2align	6
.LBB805_578:                            ;   in Loop: Header=BB805_580 Depth=1
	global_load_b64 v[61:62], v[59:60], off
	global_load_b64 v[65:66], v[57:58], off
	v_add_co_u32 v57, s0, v57, 8
	s_delay_alu instid0(VALU_DEP_1) | instskip(SKIP_1) | instid1(VALU_DEP_1)
	v_add_co_ci_u32_e64 v58, s0, 0, v58, s0
	v_add_co_u32 v59, s0, v59, 8
	v_add_co_ci_u32_e64 v60, s0, 0, v60, s0
	s_add_u32 s20, s20, 1
	s_addc_u32 s21, s21, 0
	s_and_not1_b32 s0, s25, exec_lo
	s_waitcnt vmcnt(0)
	v_cmp_neq_f64_e32 vcc_lo, v[61:62], v[65:66]
	s_and_b32 s25, vcc_lo, exec_lo
	s_delay_alu instid0(SALU_CYCLE_1)
	s_or_b32 s25, s0, s25
.LBB805_579:                            ;   in Loop: Header=BB805_580 Depth=1
	v_dual_mov_b32 v62, s21 :: v_dual_mov_b32 v61, s20
	s_and_b32 s0, exec_lo, s25
	s_delay_alu instid0(SALU_CYCLE_1) | instskip(NEXT) | instid1(SALU_CYCLE_1)
	s_or_b32 s24, s0, s24
	s_and_not1_b32 exec_lo, exec_lo, s24
	s_cbranch_execz .LBB805_583
.LBB805_580:                            ; =>This Inner Loop Header: Depth=1
	s_or_b32 s25, s25, exec_lo
	s_cmp_eq_u64 s[14:15], s[20:21]
	s_cbranch_scc0 .LBB805_578
; %bb.581:                              ;   in Loop: Header=BB805_580 Depth=1
	s_mov_b64 s[20:21], s[8:9]
                                        ; implicit-def: $vgpr57_vgpr58
                                        ; implicit-def: $vgpr59_vgpr60
	s_branch .LBB805_579
.LBB805_582:
	v_mov_b32_e32 v155, 0
	v_mov_b32_e32 v156, 0
	s_branch .LBB805_585
.LBB805_583:
	s_set_inst_prefetch_distance 0x2
	s_or_b32 exec_lo, exec_lo, s24
	v_cmp_gt_i64_e32 vcc_lo, s[8:9], v[61:62]
	s_mov_b32 s0, 0
	s_delay_alu instid0(SALU_CYCLE_1)
	v_mov_b32_e32 v156, s0
	v_cndmask_b32_e64 v155, 0, 1, vcc_lo
.LBB805_584:
	s_or_b32 exec_lo, exec_lo, s23
.LBB805_585:
	s_delay_alu instid0(SALU_CYCLE_1) | instskip(SKIP_3) | instid1(VALU_DEP_2)
	s_or_b32 exec_lo, exec_lo, s22
	v_dual_mov_b32 v158, v20 :: v_dual_add_nc_u32 v57, 5, v64
	v_mov_b32_e32 v157, v19
	s_mov_b32 s22, exec_lo
	v_cmpx_gt_u32_e64 s3, v57
	s_cbranch_execz .LBB805_596
; %bb.586:
	v_cmp_ne_u32_e32 vcc_lo, 1, v63
	s_cbranch_vccnz .LBB805_593
; %bb.587:
	v_mul_lo_u32 v61, v20, s8
	v_mul_lo_u32 v62, v19, s9
	v_mad_u64_u32 v[57:58], null, v19, s8, 0
	v_mul_lo_u32 v65, v18, s8
	v_mul_lo_u32 v66, v17, s9
	v_mad_u64_u32 v[59:60], null, v17, s8, 0
	v_mov_b32_e32 v157, 1
	v_mov_b32_e32 v158, 0
	v_add3_u32 v58, v58, v62, v61
	s_mov_b32 s23, exec_lo
	s_delay_alu instid0(VALU_DEP_4) | instskip(NEXT) | instid1(VALU_DEP_2)
	v_add3_u32 v60, v60, v66, v65
	v_lshlrev_b64 v[57:58], 3, v[57:58]
	s_delay_alu instid0(VALU_DEP_2) | instskip(NEXT) | instid1(VALU_DEP_2)
	v_lshlrev_b64 v[61:62], 3, v[59:60]
	v_add_co_u32 v59, vcc_lo, s10, v57
	s_delay_alu instid0(VALU_DEP_3) | instskip(NEXT) | instid1(VALU_DEP_3)
	v_add_co_ci_u32_e32 v60, vcc_lo, s11, v58, vcc_lo
	v_add_co_u32 v57, vcc_lo, s10, v61
	s_delay_alu instid0(VALU_DEP_4)
	v_add_co_ci_u32_e32 v58, vcc_lo, s11, v62, vcc_lo
	s_clause 0x1
	global_load_b64 v[61:62], v[59:60], off
	global_load_b64 v[65:66], v[57:58], off
	s_waitcnt vmcnt(0)
	v_cmpx_eq_f64_e32 v[61:62], v[65:66]
	s_cbranch_execz .LBB805_595
; %bb.588:
	v_add_co_u32 v57, vcc_lo, v57, 8
	v_add_co_ci_u32_e32 v58, vcc_lo, 0, v58, vcc_lo
	v_add_co_u32 v59, vcc_lo, v59, 8
	v_add_co_ci_u32_e32 v60, vcc_lo, 0, v60, vcc_lo
	s_add_u32 s14, s8, -1
	s_addc_u32 s15, s9, -1
	s_mov_b64 s[20:21], 0
	s_mov_b32 s24, 0
                                        ; implicit-def: $sgpr25
	s_set_inst_prefetch_distance 0x1
	s_branch .LBB805_591
	.p2align	6
.LBB805_589:                            ;   in Loop: Header=BB805_591 Depth=1
	global_load_b64 v[61:62], v[59:60], off
	global_load_b64 v[65:66], v[57:58], off
	v_add_co_u32 v57, s0, v57, 8
	s_delay_alu instid0(VALU_DEP_1) | instskip(SKIP_1) | instid1(VALU_DEP_1)
	v_add_co_ci_u32_e64 v58, s0, 0, v58, s0
	v_add_co_u32 v59, s0, v59, 8
	v_add_co_ci_u32_e64 v60, s0, 0, v60, s0
	s_add_u32 s20, s20, 1
	s_addc_u32 s21, s21, 0
	s_and_not1_b32 s0, s25, exec_lo
	s_waitcnt vmcnt(0)
	v_cmp_neq_f64_e32 vcc_lo, v[61:62], v[65:66]
	s_and_b32 s25, vcc_lo, exec_lo
	s_delay_alu instid0(SALU_CYCLE_1)
	s_or_b32 s25, s0, s25
.LBB805_590:                            ;   in Loop: Header=BB805_591 Depth=1
	v_dual_mov_b32 v62, s21 :: v_dual_mov_b32 v61, s20
	s_and_b32 s0, exec_lo, s25
	s_delay_alu instid0(SALU_CYCLE_1) | instskip(NEXT) | instid1(SALU_CYCLE_1)
	s_or_b32 s24, s0, s24
	s_and_not1_b32 exec_lo, exec_lo, s24
	s_cbranch_execz .LBB805_594
.LBB805_591:                            ; =>This Inner Loop Header: Depth=1
	s_or_b32 s25, s25, exec_lo
	s_cmp_eq_u64 s[14:15], s[20:21]
	s_cbranch_scc0 .LBB805_589
; %bb.592:                              ;   in Loop: Header=BB805_591 Depth=1
	s_mov_b64 s[20:21], s[8:9]
                                        ; implicit-def: $vgpr57_vgpr58
                                        ; implicit-def: $vgpr59_vgpr60
	s_branch .LBB805_590
.LBB805_593:
	v_mov_b32_e32 v157, 0
	v_mov_b32_e32 v158, 0
	s_branch .LBB805_596
.LBB805_594:
	s_set_inst_prefetch_distance 0x2
	s_or_b32 exec_lo, exec_lo, s24
	v_cmp_gt_i64_e32 vcc_lo, s[8:9], v[61:62]
	s_mov_b32 s0, 0
	s_delay_alu instid0(SALU_CYCLE_1)
	v_mov_b32_e32 v158, s0
	v_cndmask_b32_e64 v157, 0, 1, vcc_lo
.LBB805_595:
	s_or_b32 exec_lo, exec_lo, s23
.LBB805_596:
	s_delay_alu instid0(SALU_CYCLE_1) | instskip(SKIP_3) | instid1(VALU_DEP_2)
	s_or_b32 exec_lo, exec_lo, s22
	v_dual_mov_b32 v160, v18 :: v_dual_add_nc_u32 v57, 4, v64
	v_mov_b32_e32 v159, v17
	s_mov_b32 s22, exec_lo
	v_cmpx_gt_u32_e64 s3, v57
	s_cbranch_execz .LBB805_607
; %bb.597:
	v_cmp_ne_u32_e32 vcc_lo, 1, v63
	s_cbranch_vccnz .LBB805_604
; %bb.598:
	v_mul_lo_u32 v61, v18, s8
	v_mul_lo_u32 v62, v17, s9
	v_mad_u64_u32 v[57:58], null, v17, s8, 0
	v_mul_lo_u32 v65, v16, s8
	v_mul_lo_u32 v66, v15, s9
	v_mad_u64_u32 v[59:60], null, v15, s8, 0
	v_mov_b32_e32 v159, 1
	v_mov_b32_e32 v160, 0
	v_add3_u32 v58, v58, v62, v61
	s_mov_b32 s23, exec_lo
	s_delay_alu instid0(VALU_DEP_4) | instskip(NEXT) | instid1(VALU_DEP_2)
	v_add3_u32 v60, v60, v66, v65
	v_lshlrev_b64 v[57:58], 3, v[57:58]
	s_delay_alu instid0(VALU_DEP_2) | instskip(NEXT) | instid1(VALU_DEP_2)
	v_lshlrev_b64 v[61:62], 3, v[59:60]
	v_add_co_u32 v59, vcc_lo, s10, v57
	s_delay_alu instid0(VALU_DEP_3) | instskip(NEXT) | instid1(VALU_DEP_3)
	v_add_co_ci_u32_e32 v60, vcc_lo, s11, v58, vcc_lo
	v_add_co_u32 v57, vcc_lo, s10, v61
	s_delay_alu instid0(VALU_DEP_4)
	v_add_co_ci_u32_e32 v58, vcc_lo, s11, v62, vcc_lo
	s_clause 0x1
	global_load_b64 v[61:62], v[59:60], off
	global_load_b64 v[65:66], v[57:58], off
	s_waitcnt vmcnt(0)
	v_cmpx_eq_f64_e32 v[61:62], v[65:66]
	s_cbranch_execz .LBB805_606
; %bb.599:
	v_add_co_u32 v57, vcc_lo, v57, 8
	v_add_co_ci_u32_e32 v58, vcc_lo, 0, v58, vcc_lo
	v_add_co_u32 v59, vcc_lo, v59, 8
	v_add_co_ci_u32_e32 v60, vcc_lo, 0, v60, vcc_lo
	s_add_u32 s14, s8, -1
	s_addc_u32 s15, s9, -1
	s_mov_b64 s[20:21], 0
	s_mov_b32 s24, 0
                                        ; implicit-def: $sgpr25
	s_set_inst_prefetch_distance 0x1
	s_branch .LBB805_602
	.p2align	6
.LBB805_600:                            ;   in Loop: Header=BB805_602 Depth=1
	global_load_b64 v[61:62], v[59:60], off
	global_load_b64 v[65:66], v[57:58], off
	v_add_co_u32 v57, s0, v57, 8
	s_delay_alu instid0(VALU_DEP_1) | instskip(SKIP_1) | instid1(VALU_DEP_1)
	v_add_co_ci_u32_e64 v58, s0, 0, v58, s0
	v_add_co_u32 v59, s0, v59, 8
	v_add_co_ci_u32_e64 v60, s0, 0, v60, s0
	s_add_u32 s20, s20, 1
	s_addc_u32 s21, s21, 0
	s_and_not1_b32 s0, s25, exec_lo
	s_waitcnt vmcnt(0)
	v_cmp_neq_f64_e32 vcc_lo, v[61:62], v[65:66]
	s_and_b32 s25, vcc_lo, exec_lo
	s_delay_alu instid0(SALU_CYCLE_1)
	s_or_b32 s25, s0, s25
.LBB805_601:                            ;   in Loop: Header=BB805_602 Depth=1
	v_dual_mov_b32 v62, s21 :: v_dual_mov_b32 v61, s20
	s_and_b32 s0, exec_lo, s25
	s_delay_alu instid0(SALU_CYCLE_1) | instskip(NEXT) | instid1(SALU_CYCLE_1)
	s_or_b32 s24, s0, s24
	s_and_not1_b32 exec_lo, exec_lo, s24
	s_cbranch_execz .LBB805_605
.LBB805_602:                            ; =>This Inner Loop Header: Depth=1
	s_or_b32 s25, s25, exec_lo
	s_cmp_eq_u64 s[14:15], s[20:21]
	s_cbranch_scc0 .LBB805_600
; %bb.603:                              ;   in Loop: Header=BB805_602 Depth=1
	s_mov_b64 s[20:21], s[8:9]
                                        ; implicit-def: $vgpr57_vgpr58
                                        ; implicit-def: $vgpr59_vgpr60
	s_branch .LBB805_601
.LBB805_604:
	v_mov_b32_e32 v159, 0
	v_mov_b32_e32 v160, 0
	s_branch .LBB805_607
.LBB805_605:
	s_set_inst_prefetch_distance 0x2
	s_or_b32 exec_lo, exec_lo, s24
	v_cmp_gt_i64_e32 vcc_lo, s[8:9], v[61:62]
	s_mov_b32 s0, 0
	s_delay_alu instid0(SALU_CYCLE_1)
	v_mov_b32_e32 v160, s0
	v_cndmask_b32_e64 v159, 0, 1, vcc_lo
.LBB805_606:
	s_or_b32 exec_lo, exec_lo, s23
.LBB805_607:
	s_delay_alu instid0(SALU_CYCLE_1) | instskip(SKIP_3) | instid1(VALU_DEP_2)
	s_or_b32 exec_lo, exec_lo, s22
	v_dual_mov_b32 v162, v16 :: v_dual_add_nc_u32 v57, 3, v64
	v_mov_b32_e32 v161, v15
	s_mov_b32 s22, exec_lo
	v_cmpx_gt_u32_e64 s3, v57
	s_cbranch_execz .LBB805_618
; %bb.608:
	v_cmp_ne_u32_e32 vcc_lo, 1, v63
	s_cbranch_vccnz .LBB805_615
; %bb.609:
	v_mul_lo_u32 v61, v16, s8
	v_mul_lo_u32 v62, v15, s9
	v_mad_u64_u32 v[57:58], null, v15, s8, 0
	v_mul_lo_u32 v65, v14, s8
	v_mul_lo_u32 v66, v13, s9
	v_mad_u64_u32 v[59:60], null, v13, s8, 0
	v_mov_b32_e32 v161, 1
	v_mov_b32_e32 v162, 0
	v_add3_u32 v58, v58, v62, v61
	s_mov_b32 s23, exec_lo
	s_delay_alu instid0(VALU_DEP_4) | instskip(NEXT) | instid1(VALU_DEP_2)
	v_add3_u32 v60, v60, v66, v65
	v_lshlrev_b64 v[57:58], 3, v[57:58]
	s_delay_alu instid0(VALU_DEP_2) | instskip(NEXT) | instid1(VALU_DEP_2)
	v_lshlrev_b64 v[61:62], 3, v[59:60]
	v_add_co_u32 v59, vcc_lo, s10, v57
	s_delay_alu instid0(VALU_DEP_3) | instskip(NEXT) | instid1(VALU_DEP_3)
	v_add_co_ci_u32_e32 v60, vcc_lo, s11, v58, vcc_lo
	v_add_co_u32 v57, vcc_lo, s10, v61
	s_delay_alu instid0(VALU_DEP_4)
	v_add_co_ci_u32_e32 v58, vcc_lo, s11, v62, vcc_lo
	s_clause 0x1
	global_load_b64 v[61:62], v[59:60], off
	global_load_b64 v[65:66], v[57:58], off
	s_waitcnt vmcnt(0)
	v_cmpx_eq_f64_e32 v[61:62], v[65:66]
	s_cbranch_execz .LBB805_617
; %bb.610:
	v_add_co_u32 v57, vcc_lo, v57, 8
	v_add_co_ci_u32_e32 v58, vcc_lo, 0, v58, vcc_lo
	v_add_co_u32 v59, vcc_lo, v59, 8
	v_add_co_ci_u32_e32 v60, vcc_lo, 0, v60, vcc_lo
	s_add_u32 s14, s8, -1
	s_addc_u32 s15, s9, -1
	s_mov_b64 s[20:21], 0
	s_mov_b32 s24, 0
                                        ; implicit-def: $sgpr25
	s_set_inst_prefetch_distance 0x1
	s_branch .LBB805_613
	.p2align	6
.LBB805_611:                            ;   in Loop: Header=BB805_613 Depth=1
	global_load_b64 v[61:62], v[59:60], off
	global_load_b64 v[65:66], v[57:58], off
	v_add_co_u32 v57, s0, v57, 8
	s_delay_alu instid0(VALU_DEP_1) | instskip(SKIP_1) | instid1(VALU_DEP_1)
	v_add_co_ci_u32_e64 v58, s0, 0, v58, s0
	v_add_co_u32 v59, s0, v59, 8
	v_add_co_ci_u32_e64 v60, s0, 0, v60, s0
	s_add_u32 s20, s20, 1
	s_addc_u32 s21, s21, 0
	s_and_not1_b32 s0, s25, exec_lo
	s_waitcnt vmcnt(0)
	v_cmp_neq_f64_e32 vcc_lo, v[61:62], v[65:66]
	s_and_b32 s25, vcc_lo, exec_lo
	s_delay_alu instid0(SALU_CYCLE_1)
	s_or_b32 s25, s0, s25
.LBB805_612:                            ;   in Loop: Header=BB805_613 Depth=1
	v_dual_mov_b32 v62, s21 :: v_dual_mov_b32 v61, s20
	s_and_b32 s0, exec_lo, s25
	s_delay_alu instid0(SALU_CYCLE_1) | instskip(NEXT) | instid1(SALU_CYCLE_1)
	s_or_b32 s24, s0, s24
	s_and_not1_b32 exec_lo, exec_lo, s24
	s_cbranch_execz .LBB805_616
.LBB805_613:                            ; =>This Inner Loop Header: Depth=1
	s_or_b32 s25, s25, exec_lo
	s_cmp_eq_u64 s[14:15], s[20:21]
	s_cbranch_scc0 .LBB805_611
; %bb.614:                              ;   in Loop: Header=BB805_613 Depth=1
	s_mov_b64 s[20:21], s[8:9]
                                        ; implicit-def: $vgpr57_vgpr58
                                        ; implicit-def: $vgpr59_vgpr60
	s_branch .LBB805_612
.LBB805_615:
	v_mov_b32_e32 v161, 0
	v_mov_b32_e32 v162, 0
	s_branch .LBB805_618
.LBB805_616:
	s_set_inst_prefetch_distance 0x2
	s_or_b32 exec_lo, exec_lo, s24
	v_cmp_gt_i64_e32 vcc_lo, s[8:9], v[61:62]
	s_mov_b32 s0, 0
	s_delay_alu instid0(SALU_CYCLE_1)
	v_mov_b32_e32 v162, s0
	v_cndmask_b32_e64 v161, 0, 1, vcc_lo
.LBB805_617:
	s_or_b32 exec_lo, exec_lo, s23
.LBB805_618:
	s_delay_alu instid0(SALU_CYCLE_1) | instskip(SKIP_3) | instid1(VALU_DEP_2)
	s_or_b32 exec_lo, exec_lo, s22
	v_dual_mov_b32 v164, v14 :: v_dual_add_nc_u32 v57, 2, v64
	v_mov_b32_e32 v163, v13
	s_mov_b32 s22, exec_lo
	v_cmpx_gt_u32_e64 s3, v57
	s_cbranch_execz .LBB805_629
; %bb.619:
	v_cmp_ne_u32_e32 vcc_lo, 1, v63
	s_cbranch_vccnz .LBB805_626
; %bb.620:
	v_mul_lo_u32 v61, v14, s8
	v_mul_lo_u32 v62, v13, s9
	v_mad_u64_u32 v[57:58], null, v13, s8, 0
	v_mul_lo_u32 v65, v4, s8
	v_mul_lo_u32 v66, v3, s9
	v_mad_u64_u32 v[59:60], null, v3, s8, 0
	v_mov_b32_e32 v163, 1
	v_mov_b32_e32 v164, 0
	v_add3_u32 v58, v58, v62, v61
	s_mov_b32 s23, exec_lo
	s_delay_alu instid0(VALU_DEP_4) | instskip(NEXT) | instid1(VALU_DEP_2)
	v_add3_u32 v60, v60, v66, v65
	v_lshlrev_b64 v[57:58], 3, v[57:58]
	s_delay_alu instid0(VALU_DEP_2) | instskip(NEXT) | instid1(VALU_DEP_2)
	v_lshlrev_b64 v[61:62], 3, v[59:60]
	v_add_co_u32 v59, vcc_lo, s10, v57
	s_delay_alu instid0(VALU_DEP_3) | instskip(NEXT) | instid1(VALU_DEP_3)
	v_add_co_ci_u32_e32 v60, vcc_lo, s11, v58, vcc_lo
	v_add_co_u32 v57, vcc_lo, s10, v61
	s_delay_alu instid0(VALU_DEP_4)
	v_add_co_ci_u32_e32 v58, vcc_lo, s11, v62, vcc_lo
	s_clause 0x1
	global_load_b64 v[61:62], v[59:60], off
	global_load_b64 v[65:66], v[57:58], off
	s_waitcnt vmcnt(0)
	v_cmpx_eq_f64_e32 v[61:62], v[65:66]
	s_cbranch_execz .LBB805_628
; %bb.621:
	v_add_co_u32 v57, vcc_lo, v57, 8
	v_add_co_ci_u32_e32 v58, vcc_lo, 0, v58, vcc_lo
	v_add_co_u32 v59, vcc_lo, v59, 8
	v_add_co_ci_u32_e32 v60, vcc_lo, 0, v60, vcc_lo
	s_add_u32 s14, s8, -1
	s_addc_u32 s15, s9, -1
	s_mov_b64 s[20:21], 0
	s_mov_b32 s24, 0
                                        ; implicit-def: $sgpr25
	s_set_inst_prefetch_distance 0x1
	s_branch .LBB805_624
	.p2align	6
.LBB805_622:                            ;   in Loop: Header=BB805_624 Depth=1
	global_load_b64 v[61:62], v[59:60], off
	global_load_b64 v[65:66], v[57:58], off
	v_add_co_u32 v57, s0, v57, 8
	s_delay_alu instid0(VALU_DEP_1) | instskip(SKIP_1) | instid1(VALU_DEP_1)
	v_add_co_ci_u32_e64 v58, s0, 0, v58, s0
	v_add_co_u32 v59, s0, v59, 8
	v_add_co_ci_u32_e64 v60, s0, 0, v60, s0
	s_add_u32 s20, s20, 1
	s_addc_u32 s21, s21, 0
	s_and_not1_b32 s0, s25, exec_lo
	s_waitcnt vmcnt(0)
	v_cmp_neq_f64_e32 vcc_lo, v[61:62], v[65:66]
	s_and_b32 s25, vcc_lo, exec_lo
	s_delay_alu instid0(SALU_CYCLE_1)
	s_or_b32 s25, s0, s25
.LBB805_623:                            ;   in Loop: Header=BB805_624 Depth=1
	v_dual_mov_b32 v62, s21 :: v_dual_mov_b32 v61, s20
	s_and_b32 s0, exec_lo, s25
	s_delay_alu instid0(SALU_CYCLE_1) | instskip(NEXT) | instid1(SALU_CYCLE_1)
	s_or_b32 s24, s0, s24
	s_and_not1_b32 exec_lo, exec_lo, s24
	s_cbranch_execz .LBB805_627
.LBB805_624:                            ; =>This Inner Loop Header: Depth=1
	s_or_b32 s25, s25, exec_lo
	s_cmp_eq_u64 s[14:15], s[20:21]
	s_cbranch_scc0 .LBB805_622
; %bb.625:                              ;   in Loop: Header=BB805_624 Depth=1
	s_mov_b64 s[20:21], s[8:9]
                                        ; implicit-def: $vgpr57_vgpr58
                                        ; implicit-def: $vgpr59_vgpr60
	s_branch .LBB805_623
.LBB805_626:
	v_mov_b32_e32 v163, 0
	v_mov_b32_e32 v164, 0
	s_branch .LBB805_629
.LBB805_627:
	s_set_inst_prefetch_distance 0x2
	s_or_b32 exec_lo, exec_lo, s24
	v_cmp_gt_i64_e32 vcc_lo, s[8:9], v[61:62]
	s_mov_b32 s0, 0
	s_delay_alu instid0(SALU_CYCLE_1)
	v_mov_b32_e32 v164, s0
	v_cndmask_b32_e64 v163, 0, 1, vcc_lo
.LBB805_628:
	s_or_b32 exec_lo, exec_lo, s23
.LBB805_629:
	s_delay_alu instid0(SALU_CYCLE_1) | instskip(SKIP_3) | instid1(VALU_DEP_2)
	s_or_b32 exec_lo, exec_lo, s22
	v_dual_mov_b32 v166, v4 :: v_dual_add_nc_u32 v57, 1, v64
	v_mov_b32_e32 v165, v3
	s_mov_b32 s22, exec_lo
	v_cmpx_gt_u32_e64 s3, v57
	s_cbranch_execz .LBB805_640
; %bb.630:
	v_cmp_ne_u32_e32 vcc_lo, 1, v63
	s_cbranch_vccnz .LBB805_637
; %bb.631:
	v_mul_lo_u32 v61, v4, s8
	v_mul_lo_u32 v62, v3, s9
	v_mad_u64_u32 v[57:58], null, v3, s8, 0
	v_mul_lo_u32 v65, v2, s8
	v_mul_lo_u32 v66, v1, s9
	v_mad_u64_u32 v[59:60], null, v1, s8, 0
	v_mov_b32_e32 v165, 1
	v_mov_b32_e32 v166, 0
	v_add3_u32 v58, v58, v62, v61
	s_mov_b32 s23, exec_lo
	s_delay_alu instid0(VALU_DEP_4) | instskip(NEXT) | instid1(VALU_DEP_2)
	v_add3_u32 v60, v60, v66, v65
	v_lshlrev_b64 v[57:58], 3, v[57:58]
	s_delay_alu instid0(VALU_DEP_2) | instskip(NEXT) | instid1(VALU_DEP_2)
	v_lshlrev_b64 v[61:62], 3, v[59:60]
	v_add_co_u32 v59, vcc_lo, s10, v57
	s_delay_alu instid0(VALU_DEP_3) | instskip(NEXT) | instid1(VALU_DEP_3)
	v_add_co_ci_u32_e32 v60, vcc_lo, s11, v58, vcc_lo
	v_add_co_u32 v57, vcc_lo, s10, v61
	s_delay_alu instid0(VALU_DEP_4)
	v_add_co_ci_u32_e32 v58, vcc_lo, s11, v62, vcc_lo
	s_clause 0x1
	global_load_b64 v[61:62], v[59:60], off
	global_load_b64 v[65:66], v[57:58], off
	s_waitcnt vmcnt(0)
	v_cmpx_eq_f64_e32 v[61:62], v[65:66]
	s_cbranch_execz .LBB805_639
; %bb.632:
	v_add_co_u32 v57, vcc_lo, v57, 8
	v_add_co_ci_u32_e32 v58, vcc_lo, 0, v58, vcc_lo
	v_add_co_u32 v59, vcc_lo, v59, 8
	v_add_co_ci_u32_e32 v60, vcc_lo, 0, v60, vcc_lo
	s_add_u32 s14, s8, -1
	s_addc_u32 s15, s9, -1
	s_mov_b64 s[20:21], 0
	s_mov_b32 s24, 0
                                        ; implicit-def: $sgpr25
	s_set_inst_prefetch_distance 0x1
	s_branch .LBB805_635
	.p2align	6
.LBB805_633:                            ;   in Loop: Header=BB805_635 Depth=1
	global_load_b64 v[61:62], v[59:60], off
	global_load_b64 v[65:66], v[57:58], off
	v_add_co_u32 v57, s0, v57, 8
	s_delay_alu instid0(VALU_DEP_1) | instskip(SKIP_1) | instid1(VALU_DEP_1)
	v_add_co_ci_u32_e64 v58, s0, 0, v58, s0
	v_add_co_u32 v59, s0, v59, 8
	v_add_co_ci_u32_e64 v60, s0, 0, v60, s0
	s_add_u32 s20, s20, 1
	s_addc_u32 s21, s21, 0
	s_and_not1_b32 s0, s25, exec_lo
	s_waitcnt vmcnt(0)
	v_cmp_neq_f64_e32 vcc_lo, v[61:62], v[65:66]
	s_and_b32 s25, vcc_lo, exec_lo
	s_delay_alu instid0(SALU_CYCLE_1)
	s_or_b32 s25, s0, s25
.LBB805_634:                            ;   in Loop: Header=BB805_635 Depth=1
	v_dual_mov_b32 v62, s21 :: v_dual_mov_b32 v61, s20
	s_and_b32 s0, exec_lo, s25
	s_delay_alu instid0(SALU_CYCLE_1) | instskip(NEXT) | instid1(SALU_CYCLE_1)
	s_or_b32 s24, s0, s24
	s_and_not1_b32 exec_lo, exec_lo, s24
	s_cbranch_execz .LBB805_638
.LBB805_635:                            ; =>This Inner Loop Header: Depth=1
	s_or_b32 s25, s25, exec_lo
	s_cmp_eq_u64 s[14:15], s[20:21]
	s_cbranch_scc0 .LBB805_633
; %bb.636:                              ;   in Loop: Header=BB805_635 Depth=1
	s_mov_b64 s[20:21], s[8:9]
                                        ; implicit-def: $vgpr57_vgpr58
                                        ; implicit-def: $vgpr59_vgpr60
	s_branch .LBB805_634
.LBB805_637:
	v_mov_b32_e32 v165, 0
	v_mov_b32_e32 v166, 0
	s_branch .LBB805_640
.LBB805_638:
	s_set_inst_prefetch_distance 0x2
	s_or_b32 exec_lo, exec_lo, s24
	v_cmp_gt_i64_e32 vcc_lo, s[8:9], v[61:62]
	s_mov_b32 s0, 0
	s_delay_alu instid0(SALU_CYCLE_1)
	v_mov_b32_e32 v166, s0
	v_cndmask_b32_e64 v165, 0, 1, vcc_lo
.LBB805_639:
	s_or_b32 exec_lo, exec_lo, s23
.LBB805_640:
	s_delay_alu instid0(SALU_CYCLE_1)
	s_or_b32 exec_lo, exec_lo, s22
	v_dual_mov_b32 v58, s13 :: v_dual_mov_b32 v57, s12
	s_mov_b32 s0, exec_lo
	s_waitcnt lgkmcnt(0)
	s_barrier
	buffer_gl0_inv
	v_cmpx_ne_u32_e32 0, v0
	s_cbranch_execz .LBB805_642
; %bb.641:
	v_add_nc_u32_e32 v57, -8, v195
	ds_load_b64 v[57:58], v57
.LBB805_642:
	s_or_b32 exec_lo, exec_lo, s0
	v_cmp_gt_u32_e32 vcc_lo, s3, v64
                                        ; implicit-def: $sgpr0
	s_and_saveexec_b32 s3, vcc_lo
	s_cbranch_execz .LBB805_654
; %bb.643:
	v_cmp_ne_u32_e32 vcc_lo, 1, v63
	s_cbranch_vccnz .LBB805_650
; %bb.644:
	v_mul_lo_u32 v63, v2, s8
	v_mul_lo_u32 v64, v1, s9
	v_mad_u64_u32 v[59:60], null, v1, s8, 0
	s_waitcnt lgkmcnt(0)
	v_mul_lo_u32 v58, v58, s8
	v_mul_lo_u32 v65, v57, s9
	v_mad_u64_u32 v[61:62], null, v57, s8, 0
	s_mov_b32 s0, -1
	s_mov_b32 s20, exec_lo
	s_delay_alu instid0(VALU_DEP_4) | instskip(NEXT) | instid1(VALU_DEP_2)
	v_add3_u32 v60, v60, v64, v63
	v_add3_u32 v62, v62, v65, v58
	s_delay_alu instid0(VALU_DEP_2) | instskip(NEXT) | instid1(VALU_DEP_2)
	v_lshlrev_b64 v[57:58], 3, v[59:60]
	v_lshlrev_b64 v[61:62], 3, v[61:62]
	s_delay_alu instid0(VALU_DEP_2) | instskip(NEXT) | instid1(VALU_DEP_3)
	v_add_co_u32 v59, vcc_lo, s10, v57
	v_add_co_ci_u32_e32 v60, vcc_lo, s11, v58, vcc_lo
	s_delay_alu instid0(VALU_DEP_3) | instskip(NEXT) | instid1(VALU_DEP_4)
	v_add_co_u32 v57, vcc_lo, s10, v61
	v_add_co_ci_u32_e32 v58, vcc_lo, s11, v62, vcc_lo
	s_clause 0x1
	global_load_b64 v[61:62], v[59:60], off
	global_load_b64 v[63:64], v[57:58], off
	s_waitcnt vmcnt(0)
	v_cmpx_eq_f64_e32 v[61:62], v[63:64]
	s_cbranch_execz .LBB805_652
; %bb.645:
	v_add_co_u32 v57, vcc_lo, v57, 8
	v_add_co_ci_u32_e32 v58, vcc_lo, 0, v58, vcc_lo
	v_add_co_u32 v59, vcc_lo, v59, 8
	v_add_co_ci_u32_e32 v60, vcc_lo, 0, v60, vcc_lo
	s_add_u32 s12, s8, -1
	s_addc_u32 s13, s9, -1
	s_mov_b64 s[14:15], 0
	s_mov_b32 s21, 0
                                        ; implicit-def: $sgpr22
	s_set_inst_prefetch_distance 0x1
	s_branch .LBB805_648
	.p2align	6
.LBB805_646:                            ;   in Loop: Header=BB805_648 Depth=1
	global_load_b64 v[61:62], v[59:60], off
	global_load_b64 v[63:64], v[57:58], off
	v_add_co_u32 v57, s0, v57, 8
	s_delay_alu instid0(VALU_DEP_1) | instskip(SKIP_1) | instid1(VALU_DEP_1)
	v_add_co_ci_u32_e64 v58, s0, 0, v58, s0
	v_add_co_u32 v59, s0, v59, 8
	v_add_co_ci_u32_e64 v60, s0, 0, v60, s0
	s_add_u32 s14, s14, 1
	s_addc_u32 s15, s15, 0
	s_and_not1_b32 s0, s22, exec_lo
	s_waitcnt vmcnt(0)
	v_cmp_neq_f64_e32 vcc_lo, v[61:62], v[63:64]
	s_and_b32 s22, vcc_lo, exec_lo
	s_delay_alu instid0(SALU_CYCLE_1)
	s_or_b32 s22, s0, s22
.LBB805_647:                            ;   in Loop: Header=BB805_648 Depth=1
	v_dual_mov_b32 v62, s15 :: v_dual_mov_b32 v61, s14
	s_and_b32 s0, exec_lo, s22
	s_delay_alu instid0(SALU_CYCLE_1) | instskip(NEXT) | instid1(SALU_CYCLE_1)
	s_or_b32 s21, s0, s21
	s_and_not1_b32 exec_lo, exec_lo, s21
	s_cbranch_execz .LBB805_651
.LBB805_648:                            ; =>This Inner Loop Header: Depth=1
	s_or_b32 s22, s22, exec_lo
	s_cmp_eq_u64 s[12:13], s[14:15]
	s_cbranch_scc0 .LBB805_646
; %bb.649:                              ;   in Loop: Header=BB805_648 Depth=1
	s_mov_b64 s[14:15], s[8:9]
                                        ; implicit-def: $vgpr57_vgpr58
                                        ; implicit-def: $vgpr59_vgpr60
	s_branch .LBB805_647
.LBB805_650:
	s_mov_b32 s0, 0
	s_branch .LBB805_653
.LBB805_651:
	s_set_inst_prefetch_distance 0x2
	s_or_b32 exec_lo, exec_lo, s21
	v_cmp_gt_i64_e32 vcc_lo, s[8:9], v[61:62]
	s_or_not1_b32 s0, vcc_lo, exec_lo
.LBB805_652:
	s_or_b32 exec_lo, exec_lo, s20
.LBB805_653:
	s_delay_alu instid0(SALU_CYCLE_1)
	s_and_b32 s0, s0, exec_lo
	s_or_b32 s1, s1, exec_lo
.LBB805_654:
	s_or_b32 exec_lo, exec_lo, s3
	v_dual_mov_b32 v182, v166 :: v_dual_mov_b32 v181, v165
	v_dual_mov_b32 v168, v164 :: v_dual_mov_b32 v167, v163
	;; [unrolled: 1-line block ×27, first 2 shown]
	s_branch .LBB805_1243
.LBB805_655:
	s_cmp_lg_u64 s[18:19], 1
	s_cbranch_scc0 .LBB805_663
; %bb.656:
	v_mul_lo_u32 v59, v8, s8
	v_mul_lo_u32 v60, v7, s9
	s_waitcnt lgkmcnt(0)
	v_mad_u64_u32 v[57:58], null, v7, s8, 0
	v_mov_b32_e32 v113, 0
	v_mov_b32_e32 v114, 0
	v_cmp_lt_i64_e64 s0, s[8:9], 1
	v_cmp_gt_i64_e64 s3, s[8:9], 0
	s_delay_alu instid0(VALU_DEP_4) | instskip(SKIP_4) | instid1(VALU_DEP_1)
	v_mov_b32_e32 v111, v113
	ds_store_b64 v195, v[109:110]
	v_mov_b32_e32 v112, v114
	v_add3_u32 v58, v58, v60, v59
	s_and_b32 vcc_lo, exec_lo, s0
	v_lshlrev_b64 v[57:58], 3, v[57:58]
	s_cbranch_vccnz .LBB805_666
; %bb.657:
	v_mul_lo_u32 v61, v110, s8
	v_mul_lo_u32 v62, v109, s9
	v_mad_u64_u32 v[59:60], null, v109, s8, 0
	v_mov_b32_e32 v111, 1
	v_mov_b32_e32 v112, 0
	s_mov_b32 s18, exec_lo
	s_delay_alu instid0(VALU_DEP_3) | instskip(NEXT) | instid1(VALU_DEP_1)
	v_add3_u32 v60, v60, v62, v61
	v_lshlrev_b64 v[59:60], 3, v[59:60]
	s_delay_alu instid0(VALU_DEP_1) | instskip(NEXT) | instid1(VALU_DEP_2)
	v_add_co_u32 v61, vcc_lo, s10, v59
	v_add_co_ci_u32_e32 v62, vcc_lo, s11, v60, vcc_lo
	v_add_co_u32 v59, vcc_lo, s10, v57
	v_add_co_ci_u32_e32 v60, vcc_lo, s11, v58, vcc_lo
	s_clause 0x1
	global_load_b64 v[63:64], v[61:62], off
	global_load_b64 v[65:66], v[59:60], off
	s_waitcnt vmcnt(0)
	v_cmpx_eq_f64_e32 v[63:64], v[65:66]
	s_cbranch_execz .LBB805_665
; %bb.658:
	v_add_co_u32 v59, vcc_lo, v59, 8
	v_add_co_ci_u32_e32 v60, vcc_lo, 0, v60, vcc_lo
	v_add_co_u32 v61, vcc_lo, v61, 8
	v_add_co_ci_u32_e32 v62, vcc_lo, 0, v62, vcc_lo
	s_add_u32 s12, s8, -1
	s_addc_u32 s13, s9, -1
	s_mov_b64 s[14:15], 0
	s_mov_b32 s19, 0
                                        ; implicit-def: $sgpr20
	s_set_inst_prefetch_distance 0x1
	s_branch .LBB805_661
	.p2align	6
.LBB805_659:                            ;   in Loop: Header=BB805_661 Depth=1
	global_load_b64 v[63:64], v[61:62], off
	global_load_b64 v[65:66], v[59:60], off
	v_add_co_u32 v59, s0, v59, 8
	s_delay_alu instid0(VALU_DEP_1) | instskip(SKIP_1) | instid1(VALU_DEP_1)
	v_add_co_ci_u32_e64 v60, s0, 0, v60, s0
	v_add_co_u32 v61, s0, v61, 8
	v_add_co_ci_u32_e64 v62, s0, 0, v62, s0
	s_add_u32 s14, s14, 1
	s_addc_u32 s15, s15, 0
	s_and_not1_b32 s0, s20, exec_lo
	s_waitcnt vmcnt(0)
	v_cmp_neq_f64_e32 vcc_lo, v[63:64], v[65:66]
	s_and_b32 s20, vcc_lo, exec_lo
	s_delay_alu instid0(SALU_CYCLE_1)
	s_or_b32 s20, s0, s20
.LBB805_660:                            ;   in Loop: Header=BB805_661 Depth=1
	v_dual_mov_b32 v64, s15 :: v_dual_mov_b32 v63, s14
	s_and_b32 s0, exec_lo, s20
	s_delay_alu instid0(SALU_CYCLE_1) | instskip(NEXT) | instid1(SALU_CYCLE_1)
	s_or_b32 s19, s0, s19
	s_and_not1_b32 exec_lo, exec_lo, s19
	s_cbranch_execz .LBB805_664
.LBB805_661:                            ; =>This Inner Loop Header: Depth=1
	s_or_b32 s20, s20, exec_lo
	s_cmp_eq_u64 s[12:13], s[14:15]
	s_cbranch_scc0 .LBB805_659
; %bb.662:                              ;   in Loop: Header=BB805_661 Depth=1
	s_mov_b64 s[14:15], s[8:9]
                                        ; implicit-def: $vgpr59_vgpr60
                                        ; implicit-def: $vgpr61_vgpr62
	s_branch .LBB805_660
.LBB805_663:
                                        ; implicit-def: $sgpr0
                                        ; implicit-def: $vgpr165_vgpr166
                                        ; implicit-def: $vgpr163_vgpr164
                                        ; implicit-def: $vgpr161_vgpr162
                                        ; implicit-def: $vgpr159_vgpr160
                                        ; implicit-def: $vgpr157_vgpr158
                                        ; implicit-def: $vgpr155_vgpr156
                                        ; implicit-def: $vgpr153_vgpr154
                                        ; implicit-def: $vgpr151_vgpr152
                                        ; implicit-def: $vgpr149_vgpr150
                                        ; implicit-def: $vgpr147_vgpr148
                                        ; implicit-def: $vgpr145_vgpr146
                                        ; implicit-def: $vgpr143_vgpr144
                                        ; implicit-def: $vgpr141_vgpr142
                                        ; implicit-def: $vgpr139_vgpr140
                                        ; implicit-def: $vgpr137_vgpr138
                                        ; implicit-def: $vgpr135_vgpr136
                                        ; implicit-def: $vgpr133_vgpr134
                                        ; implicit-def: $vgpr131_vgpr132
                                        ; implicit-def: $vgpr129_vgpr130
                                        ; implicit-def: $vgpr127_vgpr128
                                        ; implicit-def: $vgpr125_vgpr126
                                        ; implicit-def: $vgpr123_vgpr124
                                        ; implicit-def: $vgpr121_vgpr122
                                        ; implicit-def: $vgpr119_vgpr120
                                        ; implicit-def: $vgpr117_vgpr118
                                        ; implicit-def: $vgpr113_vgpr114
                                        ; implicit-def: $vgpr115_vgpr116
                                        ; implicit-def: $vgpr111_vgpr112
                                        ; implicit-def: $vgpr181_vgpr182
                                        ; implicit-def: $vgpr167_vgpr168
                                        ; implicit-def: $vgpr169_vgpr170
                                        ; implicit-def: $vgpr171_vgpr172
                                        ; implicit-def: $vgpr173_vgpr174
                                        ; implicit-def: $vgpr175_vgpr176
                                        ; implicit-def: $vgpr177_vgpr178
                                        ; implicit-def: $vgpr179_vgpr180
                                        ; implicit-def: $vgpr183_vgpr184
                                        ; implicit-def: $vgpr185_vgpr186
                                        ; implicit-def: $vgpr187_vgpr188
                                        ; implicit-def: $vgpr189_vgpr190
                                        ; implicit-def: $vgpr191_vgpr192
                                        ; implicit-def: $vgpr193_vgpr194
                                        ; implicit-def: $vgpr57_vgpr58_vgpr59_vgpr60
                                        ; implicit-def: $vgpr61_vgpr62_vgpr63_vgpr64
                                        ; implicit-def: $vgpr65_vgpr66_vgpr67_vgpr68
                                        ; implicit-def: $vgpr69_vgpr70_vgpr71_vgpr72
                                        ; implicit-def: $vgpr73_vgpr74_vgpr75_vgpr76
                                        ; implicit-def: $vgpr77_vgpr78_vgpr79_vgpr80
                                        ; implicit-def: $vgpr81_vgpr82_vgpr83_vgpr84
                                        ; implicit-def: $vgpr85_vgpr86_vgpr87_vgpr88
                                        ; implicit-def: $vgpr89_vgpr90_vgpr91_vgpr92
                                        ; implicit-def: $vgpr93_vgpr94_vgpr95_vgpr96
                                        ; implicit-def: $vgpr97_vgpr98_vgpr99_vgpr100
                                        ; implicit-def: $vgpr101_vgpr102_vgpr103_vgpr104
                                        ; implicit-def: $vgpr105_vgpr106_vgpr107_vgpr108
	s_cbranch_execnz .LBB805_923
	s_branch .LBB805_1243
.LBB805_664:
	s_set_inst_prefetch_distance 0x2
	s_or_b32 exec_lo, exec_lo, s19
	v_cmp_gt_i64_e32 vcc_lo, s[8:9], v[63:64]
	s_mov_b32 s0, 0
	s_delay_alu instid0(SALU_CYCLE_1)
	v_mov_b32_e32 v112, s0
	v_cndmask_b32_e64 v111, 0, 1, vcc_lo
.LBB805_665:
	s_or_b32 exec_lo, exec_lo, s18
.LBB805_666:
	v_mul_lo_u32 v61, v6, s8
	v_mul_lo_u32 v62, v5, s9
	v_mad_u64_u32 v[59:60], null, v5, s8, 0
	v_cndmask_b32_e64 v65, 0, 1, s3
	v_dual_mov_b32 v116, v114 :: v_dual_mov_b32 v115, v113
	s_and_not1_b32 vcc_lo, exec_lo, s3
	s_delay_alu instid0(VALU_DEP_3) | instskip(NEXT) | instid1(VALU_DEP_1)
	v_add3_u32 v60, v60, v62, v61
	v_lshlrev_b64 v[59:60], 3, v[59:60]
	s_cbranch_vccnz .LBB805_675
; %bb.667:
	v_add_co_u32 v61, vcc_lo, s10, v57
	v_add_co_ci_u32_e32 v62, vcc_lo, s11, v58, vcc_lo
	s_delay_alu instid0(VALU_DEP_3) | instskip(NEXT) | instid1(VALU_DEP_4)
	v_add_co_u32 v57, vcc_lo, s10, v59
	v_add_co_ci_u32_e32 v58, vcc_lo, s11, v60, vcc_lo
	v_mov_b32_e32 v115, 1
	s_clause 0x1
	global_load_b64 v[63:64], v[61:62], off
	global_load_b64 v[66:67], v[57:58], off
	v_mov_b32_e32 v116, 0
	s_mov_b32 s3, exec_lo
	s_waitcnt vmcnt(0)
	v_cmpx_eq_f64_e32 v[63:64], v[66:67]
	s_cbranch_execz .LBB805_674
; %bb.668:
	v_add_co_u32 v57, vcc_lo, v57, 8
	v_add_co_ci_u32_e32 v58, vcc_lo, 0, v58, vcc_lo
	v_add_co_u32 v61, vcc_lo, v61, 8
	v_add_co_ci_u32_e32 v62, vcc_lo, 0, v62, vcc_lo
	s_add_u32 s12, s8, -1
	s_addc_u32 s13, s9, -1
	s_mov_b64 s[14:15], 0
	s_mov_b32 s18, 0
                                        ; implicit-def: $sgpr19
	s_set_inst_prefetch_distance 0x1
	s_branch .LBB805_671
	.p2align	6
.LBB805_669:                            ;   in Loop: Header=BB805_671 Depth=1
	global_load_b64 v[63:64], v[61:62], off
	global_load_b64 v[66:67], v[57:58], off
	v_add_co_u32 v57, s0, v57, 8
	s_delay_alu instid0(VALU_DEP_1) | instskip(SKIP_1) | instid1(VALU_DEP_1)
	v_add_co_ci_u32_e64 v58, s0, 0, v58, s0
	v_add_co_u32 v61, s0, v61, 8
	v_add_co_ci_u32_e64 v62, s0, 0, v62, s0
	s_add_u32 s14, s14, 1
	s_addc_u32 s15, s15, 0
	s_and_not1_b32 s0, s19, exec_lo
	s_waitcnt vmcnt(0)
	v_cmp_neq_f64_e32 vcc_lo, v[63:64], v[66:67]
	s_and_b32 s19, vcc_lo, exec_lo
	s_delay_alu instid0(SALU_CYCLE_1)
	s_or_b32 s19, s0, s19
.LBB805_670:                            ;   in Loop: Header=BB805_671 Depth=1
	v_dual_mov_b32 v64, s15 :: v_dual_mov_b32 v63, s14
	s_and_b32 s0, exec_lo, s19
	s_delay_alu instid0(SALU_CYCLE_1) | instskip(NEXT) | instid1(SALU_CYCLE_1)
	s_or_b32 s18, s0, s18
	s_and_not1_b32 exec_lo, exec_lo, s18
	s_cbranch_execz .LBB805_673
.LBB805_671:                            ; =>This Inner Loop Header: Depth=1
	s_or_b32 s19, s19, exec_lo
	s_cmp_eq_u64 s[12:13], s[14:15]
	s_cbranch_scc0 .LBB805_669
; %bb.672:                              ;   in Loop: Header=BB805_671 Depth=1
	s_mov_b64 s[14:15], s[8:9]
                                        ; implicit-def: $vgpr57_vgpr58
                                        ; implicit-def: $vgpr61_vgpr62
	s_branch .LBB805_670
.LBB805_673:
	s_set_inst_prefetch_distance 0x2
	s_or_b32 exec_lo, exec_lo, s18
	v_cmp_gt_i64_e32 vcc_lo, s[8:9], v[63:64]
	s_mov_b32 s0, 0
	s_delay_alu instid0(SALU_CYCLE_1)
	v_mov_b32_e32 v116, s0
	v_cndmask_b32_e64 v115, 0, 1, vcc_lo
.LBB805_674:
	s_or_b32 exec_lo, exec_lo, s3
.LBB805_675:
	v_mul_lo_u32 v61, v12, s8
	v_mul_lo_u32 v62, v11, s9
	v_mad_u64_u32 v[57:58], null, v11, s8, 0
	v_cmp_ne_u32_e32 vcc_lo, 1, v65
	s_delay_alu instid0(VALU_DEP_2) | instskip(NEXT) | instid1(VALU_DEP_1)
	v_add3_u32 v58, v58, v62, v61
	v_lshlrev_b64 v[57:58], 3, v[57:58]
	s_cbranch_vccnz .LBB805_684
; %bb.676:
	v_add_co_u32 v61, vcc_lo, s10, v59
	v_add_co_ci_u32_e32 v62, vcc_lo, s11, v60, vcc_lo
	s_delay_alu instid0(VALU_DEP_3) | instskip(NEXT) | instid1(VALU_DEP_4)
	v_add_co_u32 v59, vcc_lo, s10, v57
	v_add_co_ci_u32_e32 v60, vcc_lo, s11, v58, vcc_lo
	v_mov_b32_e32 v113, 1
	s_clause 0x1
	global_load_b64 v[63:64], v[61:62], off
	global_load_b64 v[66:67], v[59:60], off
	v_mov_b32_e32 v114, 0
	s_mov_b32 s3, exec_lo
	s_waitcnt vmcnt(0)
	v_cmpx_eq_f64_e32 v[63:64], v[66:67]
	s_cbranch_execz .LBB805_683
; %bb.677:
	v_add_co_u32 v59, vcc_lo, v59, 8
	v_add_co_ci_u32_e32 v60, vcc_lo, 0, v60, vcc_lo
	v_add_co_u32 v61, vcc_lo, v61, 8
	v_add_co_ci_u32_e32 v62, vcc_lo, 0, v62, vcc_lo
	s_add_u32 s12, s8, -1
	s_addc_u32 s13, s9, -1
	s_mov_b64 s[14:15], 0
	s_mov_b32 s18, 0
                                        ; implicit-def: $sgpr19
	s_set_inst_prefetch_distance 0x1
	s_branch .LBB805_680
	.p2align	6
.LBB805_678:                            ;   in Loop: Header=BB805_680 Depth=1
	global_load_b64 v[63:64], v[61:62], off
	global_load_b64 v[66:67], v[59:60], off
	v_add_co_u32 v59, s0, v59, 8
	s_delay_alu instid0(VALU_DEP_1) | instskip(SKIP_1) | instid1(VALU_DEP_1)
	v_add_co_ci_u32_e64 v60, s0, 0, v60, s0
	v_add_co_u32 v61, s0, v61, 8
	v_add_co_ci_u32_e64 v62, s0, 0, v62, s0
	s_add_u32 s14, s14, 1
	s_addc_u32 s15, s15, 0
	s_and_not1_b32 s0, s19, exec_lo
	s_waitcnt vmcnt(0)
	v_cmp_neq_f64_e32 vcc_lo, v[63:64], v[66:67]
	s_and_b32 s19, vcc_lo, exec_lo
	s_delay_alu instid0(SALU_CYCLE_1)
	s_or_b32 s19, s0, s19
.LBB805_679:                            ;   in Loop: Header=BB805_680 Depth=1
	v_dual_mov_b32 v64, s15 :: v_dual_mov_b32 v63, s14
	s_and_b32 s0, exec_lo, s19
	s_delay_alu instid0(SALU_CYCLE_1) | instskip(NEXT) | instid1(SALU_CYCLE_1)
	s_or_b32 s18, s0, s18
	s_and_not1_b32 exec_lo, exec_lo, s18
	s_cbranch_execz .LBB805_682
.LBB805_680:                            ; =>This Inner Loop Header: Depth=1
	s_or_b32 s19, s19, exec_lo
	s_cmp_eq_u64 s[12:13], s[14:15]
	s_cbranch_scc0 .LBB805_678
; %bb.681:                              ;   in Loop: Header=BB805_680 Depth=1
	s_mov_b64 s[14:15], s[8:9]
                                        ; implicit-def: $vgpr59_vgpr60
                                        ; implicit-def: $vgpr61_vgpr62
	s_branch .LBB805_679
.LBB805_682:
	s_set_inst_prefetch_distance 0x2
	s_or_b32 exec_lo, exec_lo, s18
	v_cmp_gt_i64_e32 vcc_lo, s[8:9], v[63:64]
	s_mov_b32 s0, 0
	s_delay_alu instid0(SALU_CYCLE_1)
	v_mov_b32_e32 v114, s0
	v_cndmask_b32_e64 v113, 0, 1, vcc_lo
.LBB805_683:
	s_or_b32 exec_lo, exec_lo, s3
.LBB805_684:
	v_mul_lo_u32 v61, v10, s8
	v_mul_lo_u32 v62, v9, s9
	v_mad_u64_u32 v[59:60], null, v9, s8, 0
	v_mov_b32_e32 v119, 0
	v_mov_b32_e32 v120, 0
	v_cmp_ne_u32_e32 vcc_lo, 1, v65
	s_delay_alu instid0(VALU_DEP_2) | instskip(SKIP_1) | instid1(VALU_DEP_1)
	v_dual_mov_b32 v117, v119 :: v_dual_mov_b32 v118, v120
	v_add3_u32 v60, v60, v62, v61
	v_lshlrev_b64 v[59:60], 3, v[59:60]
	s_cbranch_vccnz .LBB805_693
; %bb.685:
	v_add_co_u32 v61, vcc_lo, s10, v57
	v_add_co_ci_u32_e32 v62, vcc_lo, s11, v58, vcc_lo
	s_delay_alu instid0(VALU_DEP_3) | instskip(NEXT) | instid1(VALU_DEP_4)
	v_add_co_u32 v57, vcc_lo, s10, v59
	v_add_co_ci_u32_e32 v58, vcc_lo, s11, v60, vcc_lo
	v_mov_b32_e32 v117, 1
	s_clause 0x1
	global_load_b64 v[63:64], v[61:62], off
	global_load_b64 v[66:67], v[57:58], off
	v_mov_b32_e32 v118, 0
	s_mov_b32 s3, exec_lo
	s_waitcnt vmcnt(0)
	v_cmpx_eq_f64_e32 v[63:64], v[66:67]
	s_cbranch_execz .LBB805_692
; %bb.686:
	v_add_co_u32 v57, vcc_lo, v57, 8
	v_add_co_ci_u32_e32 v58, vcc_lo, 0, v58, vcc_lo
	v_add_co_u32 v61, vcc_lo, v61, 8
	v_add_co_ci_u32_e32 v62, vcc_lo, 0, v62, vcc_lo
	s_add_u32 s12, s8, -1
	s_addc_u32 s13, s9, -1
	s_mov_b64 s[14:15], 0
	s_mov_b32 s18, 0
                                        ; implicit-def: $sgpr19
	s_set_inst_prefetch_distance 0x1
	s_branch .LBB805_689
	.p2align	6
.LBB805_687:                            ;   in Loop: Header=BB805_689 Depth=1
	global_load_b64 v[63:64], v[61:62], off
	global_load_b64 v[66:67], v[57:58], off
	v_add_co_u32 v57, s0, v57, 8
	s_delay_alu instid0(VALU_DEP_1) | instskip(SKIP_1) | instid1(VALU_DEP_1)
	v_add_co_ci_u32_e64 v58, s0, 0, v58, s0
	v_add_co_u32 v61, s0, v61, 8
	v_add_co_ci_u32_e64 v62, s0, 0, v62, s0
	s_add_u32 s14, s14, 1
	s_addc_u32 s15, s15, 0
	s_and_not1_b32 s0, s19, exec_lo
	s_waitcnt vmcnt(0)
	v_cmp_neq_f64_e32 vcc_lo, v[63:64], v[66:67]
	s_and_b32 s19, vcc_lo, exec_lo
	s_delay_alu instid0(SALU_CYCLE_1)
	s_or_b32 s19, s0, s19
.LBB805_688:                            ;   in Loop: Header=BB805_689 Depth=1
	v_dual_mov_b32 v64, s15 :: v_dual_mov_b32 v63, s14
	s_and_b32 s0, exec_lo, s19
	s_delay_alu instid0(SALU_CYCLE_1) | instskip(NEXT) | instid1(SALU_CYCLE_1)
	s_or_b32 s18, s0, s18
	s_and_not1_b32 exec_lo, exec_lo, s18
	s_cbranch_execz .LBB805_691
.LBB805_689:                            ; =>This Inner Loop Header: Depth=1
	s_or_b32 s19, s19, exec_lo
	s_cmp_eq_u64 s[12:13], s[14:15]
	s_cbranch_scc0 .LBB805_687
; %bb.690:                              ;   in Loop: Header=BB805_689 Depth=1
	s_mov_b64 s[14:15], s[8:9]
                                        ; implicit-def: $vgpr57_vgpr58
                                        ; implicit-def: $vgpr61_vgpr62
	s_branch .LBB805_688
.LBB805_691:
	s_set_inst_prefetch_distance 0x2
	s_or_b32 exec_lo, exec_lo, s18
	v_cmp_gt_i64_e32 vcc_lo, s[8:9], v[63:64]
	s_mov_b32 s0, 0
	s_delay_alu instid0(SALU_CYCLE_1)
	v_mov_b32_e32 v118, s0
	v_cndmask_b32_e64 v117, 0, 1, vcc_lo
.LBB805_692:
	s_or_b32 exec_lo, exec_lo, s3
.LBB805_693:
	v_mul_lo_u32 v61, v56, s8
	v_mul_lo_u32 v62, v55, s9
	v_mad_u64_u32 v[57:58], null, v55, s8, 0
	v_cmp_ne_u32_e32 vcc_lo, 1, v65
	s_delay_alu instid0(VALU_DEP_2) | instskip(NEXT) | instid1(VALU_DEP_1)
	v_add3_u32 v58, v58, v62, v61
	v_lshlrev_b64 v[57:58], 3, v[57:58]
	s_cbranch_vccnz .LBB805_702
; %bb.694:
	v_add_co_u32 v61, vcc_lo, s10, v59
	v_add_co_ci_u32_e32 v62, vcc_lo, s11, v60, vcc_lo
	s_delay_alu instid0(VALU_DEP_3) | instskip(NEXT) | instid1(VALU_DEP_4)
	v_add_co_u32 v59, vcc_lo, s10, v57
	v_add_co_ci_u32_e32 v60, vcc_lo, s11, v58, vcc_lo
	v_mov_b32_e32 v119, 1
	s_clause 0x1
	global_load_b64 v[63:64], v[61:62], off
	global_load_b64 v[66:67], v[59:60], off
	v_mov_b32_e32 v120, 0
	s_mov_b32 s3, exec_lo
	s_waitcnt vmcnt(0)
	v_cmpx_eq_f64_e32 v[63:64], v[66:67]
	s_cbranch_execz .LBB805_701
; %bb.695:
	v_add_co_u32 v59, vcc_lo, v59, 8
	v_add_co_ci_u32_e32 v60, vcc_lo, 0, v60, vcc_lo
	v_add_co_u32 v61, vcc_lo, v61, 8
	v_add_co_ci_u32_e32 v62, vcc_lo, 0, v62, vcc_lo
	s_add_u32 s12, s8, -1
	s_addc_u32 s13, s9, -1
	s_mov_b64 s[14:15], 0
	s_mov_b32 s18, 0
                                        ; implicit-def: $sgpr19
	s_set_inst_prefetch_distance 0x1
	s_branch .LBB805_698
	.p2align	6
.LBB805_696:                            ;   in Loop: Header=BB805_698 Depth=1
	global_load_b64 v[63:64], v[61:62], off
	global_load_b64 v[66:67], v[59:60], off
	v_add_co_u32 v59, s0, v59, 8
	s_delay_alu instid0(VALU_DEP_1) | instskip(SKIP_1) | instid1(VALU_DEP_1)
	v_add_co_ci_u32_e64 v60, s0, 0, v60, s0
	v_add_co_u32 v61, s0, v61, 8
	v_add_co_ci_u32_e64 v62, s0, 0, v62, s0
	s_add_u32 s14, s14, 1
	s_addc_u32 s15, s15, 0
	s_and_not1_b32 s0, s19, exec_lo
	s_waitcnt vmcnt(0)
	v_cmp_neq_f64_e32 vcc_lo, v[63:64], v[66:67]
	s_and_b32 s19, vcc_lo, exec_lo
	s_delay_alu instid0(SALU_CYCLE_1)
	s_or_b32 s19, s0, s19
.LBB805_697:                            ;   in Loop: Header=BB805_698 Depth=1
	v_dual_mov_b32 v64, s15 :: v_dual_mov_b32 v63, s14
	s_and_b32 s0, exec_lo, s19
	s_delay_alu instid0(SALU_CYCLE_1) | instskip(NEXT) | instid1(SALU_CYCLE_1)
	s_or_b32 s18, s0, s18
	s_and_not1_b32 exec_lo, exec_lo, s18
	s_cbranch_execz .LBB805_700
.LBB805_698:                            ; =>This Inner Loop Header: Depth=1
	s_or_b32 s19, s19, exec_lo
	s_cmp_eq_u64 s[12:13], s[14:15]
	s_cbranch_scc0 .LBB805_696
; %bb.699:                              ;   in Loop: Header=BB805_698 Depth=1
	s_mov_b64 s[14:15], s[8:9]
                                        ; implicit-def: $vgpr59_vgpr60
                                        ; implicit-def: $vgpr61_vgpr62
	s_branch .LBB805_697
.LBB805_700:
	s_set_inst_prefetch_distance 0x2
	s_or_b32 exec_lo, exec_lo, s18
	v_cmp_gt_i64_e32 vcc_lo, s[8:9], v[63:64]
	s_mov_b32 s0, 0
	s_delay_alu instid0(SALU_CYCLE_1)
	v_mov_b32_e32 v120, s0
	v_cndmask_b32_e64 v119, 0, 1, vcc_lo
.LBB805_701:
	s_or_b32 exec_lo, exec_lo, s3
.LBB805_702:
	v_mul_lo_u32 v61, v54, s8
	v_mul_lo_u32 v62, v53, s9
	v_mad_u64_u32 v[59:60], null, v53, s8, 0
	v_mov_b32_e32 v123, 0
	v_mov_b32_e32 v124, 0
	v_cmp_ne_u32_e32 vcc_lo, 1, v65
	s_delay_alu instid0(VALU_DEP_2) | instskip(SKIP_1) | instid1(VALU_DEP_1)
	v_dual_mov_b32 v121, v123 :: v_dual_mov_b32 v122, v124
	v_add3_u32 v60, v60, v62, v61
	v_lshlrev_b64 v[59:60], 3, v[59:60]
	s_cbranch_vccnz .LBB805_711
; %bb.703:
	v_add_co_u32 v61, vcc_lo, s10, v57
	v_add_co_ci_u32_e32 v62, vcc_lo, s11, v58, vcc_lo
	s_delay_alu instid0(VALU_DEP_3) | instskip(NEXT) | instid1(VALU_DEP_4)
	v_add_co_u32 v57, vcc_lo, s10, v59
	v_add_co_ci_u32_e32 v58, vcc_lo, s11, v60, vcc_lo
	v_mov_b32_e32 v121, 1
	s_clause 0x1
	global_load_b64 v[63:64], v[61:62], off
	global_load_b64 v[66:67], v[57:58], off
	v_mov_b32_e32 v122, 0
	s_mov_b32 s3, exec_lo
	s_waitcnt vmcnt(0)
	v_cmpx_eq_f64_e32 v[63:64], v[66:67]
	s_cbranch_execz .LBB805_710
; %bb.704:
	v_add_co_u32 v57, vcc_lo, v57, 8
	v_add_co_ci_u32_e32 v58, vcc_lo, 0, v58, vcc_lo
	v_add_co_u32 v61, vcc_lo, v61, 8
	v_add_co_ci_u32_e32 v62, vcc_lo, 0, v62, vcc_lo
	s_add_u32 s12, s8, -1
	s_addc_u32 s13, s9, -1
	s_mov_b64 s[14:15], 0
	s_mov_b32 s18, 0
                                        ; implicit-def: $sgpr19
	s_set_inst_prefetch_distance 0x1
	s_branch .LBB805_707
	.p2align	6
.LBB805_705:                            ;   in Loop: Header=BB805_707 Depth=1
	global_load_b64 v[63:64], v[61:62], off
	global_load_b64 v[66:67], v[57:58], off
	v_add_co_u32 v57, s0, v57, 8
	s_delay_alu instid0(VALU_DEP_1) | instskip(SKIP_1) | instid1(VALU_DEP_1)
	v_add_co_ci_u32_e64 v58, s0, 0, v58, s0
	v_add_co_u32 v61, s0, v61, 8
	v_add_co_ci_u32_e64 v62, s0, 0, v62, s0
	s_add_u32 s14, s14, 1
	s_addc_u32 s15, s15, 0
	s_and_not1_b32 s0, s19, exec_lo
	s_waitcnt vmcnt(0)
	v_cmp_neq_f64_e32 vcc_lo, v[63:64], v[66:67]
	s_and_b32 s19, vcc_lo, exec_lo
	s_delay_alu instid0(SALU_CYCLE_1)
	s_or_b32 s19, s0, s19
.LBB805_706:                            ;   in Loop: Header=BB805_707 Depth=1
	v_dual_mov_b32 v64, s15 :: v_dual_mov_b32 v63, s14
	s_and_b32 s0, exec_lo, s19
	s_delay_alu instid0(SALU_CYCLE_1) | instskip(NEXT) | instid1(SALU_CYCLE_1)
	s_or_b32 s18, s0, s18
	s_and_not1_b32 exec_lo, exec_lo, s18
	s_cbranch_execz .LBB805_709
.LBB805_707:                            ; =>This Inner Loop Header: Depth=1
	s_or_b32 s19, s19, exec_lo
	s_cmp_eq_u64 s[12:13], s[14:15]
	s_cbranch_scc0 .LBB805_705
; %bb.708:                              ;   in Loop: Header=BB805_707 Depth=1
	s_mov_b64 s[14:15], s[8:9]
                                        ; implicit-def: $vgpr57_vgpr58
                                        ; implicit-def: $vgpr61_vgpr62
	s_branch .LBB805_706
.LBB805_709:
	s_set_inst_prefetch_distance 0x2
	s_or_b32 exec_lo, exec_lo, s18
	v_cmp_gt_i64_e32 vcc_lo, s[8:9], v[63:64]
	s_mov_b32 s0, 0
	s_delay_alu instid0(SALU_CYCLE_1)
	v_mov_b32_e32 v122, s0
	v_cndmask_b32_e64 v121, 0, 1, vcc_lo
.LBB805_710:
	s_or_b32 exec_lo, exec_lo, s3
.LBB805_711:
	v_mul_lo_u32 v61, v52, s8
	v_mul_lo_u32 v62, v51, s9
	v_mad_u64_u32 v[57:58], null, v51, s8, 0
	v_cmp_ne_u32_e32 vcc_lo, 1, v65
	s_delay_alu instid0(VALU_DEP_2) | instskip(NEXT) | instid1(VALU_DEP_1)
	v_add3_u32 v58, v58, v62, v61
	v_lshlrev_b64 v[57:58], 3, v[57:58]
	s_cbranch_vccnz .LBB805_720
; %bb.712:
	v_add_co_u32 v61, vcc_lo, s10, v59
	v_add_co_ci_u32_e32 v62, vcc_lo, s11, v60, vcc_lo
	s_delay_alu instid0(VALU_DEP_3) | instskip(NEXT) | instid1(VALU_DEP_4)
	v_add_co_u32 v59, vcc_lo, s10, v57
	v_add_co_ci_u32_e32 v60, vcc_lo, s11, v58, vcc_lo
	v_mov_b32_e32 v123, 1
	s_clause 0x1
	global_load_b64 v[63:64], v[61:62], off
	global_load_b64 v[66:67], v[59:60], off
	v_mov_b32_e32 v124, 0
	s_mov_b32 s3, exec_lo
	s_waitcnt vmcnt(0)
	v_cmpx_eq_f64_e32 v[63:64], v[66:67]
	s_cbranch_execz .LBB805_719
; %bb.713:
	v_add_co_u32 v59, vcc_lo, v59, 8
	v_add_co_ci_u32_e32 v60, vcc_lo, 0, v60, vcc_lo
	v_add_co_u32 v61, vcc_lo, v61, 8
	v_add_co_ci_u32_e32 v62, vcc_lo, 0, v62, vcc_lo
	s_add_u32 s12, s8, -1
	s_addc_u32 s13, s9, -1
	s_mov_b64 s[14:15], 0
	s_mov_b32 s18, 0
                                        ; implicit-def: $sgpr19
	s_set_inst_prefetch_distance 0x1
	s_branch .LBB805_716
	.p2align	6
.LBB805_714:                            ;   in Loop: Header=BB805_716 Depth=1
	global_load_b64 v[63:64], v[61:62], off
	global_load_b64 v[66:67], v[59:60], off
	v_add_co_u32 v59, s0, v59, 8
	s_delay_alu instid0(VALU_DEP_1) | instskip(SKIP_1) | instid1(VALU_DEP_1)
	v_add_co_ci_u32_e64 v60, s0, 0, v60, s0
	v_add_co_u32 v61, s0, v61, 8
	v_add_co_ci_u32_e64 v62, s0, 0, v62, s0
	s_add_u32 s14, s14, 1
	s_addc_u32 s15, s15, 0
	s_and_not1_b32 s0, s19, exec_lo
	s_waitcnt vmcnt(0)
	v_cmp_neq_f64_e32 vcc_lo, v[63:64], v[66:67]
	s_and_b32 s19, vcc_lo, exec_lo
	s_delay_alu instid0(SALU_CYCLE_1)
	s_or_b32 s19, s0, s19
.LBB805_715:                            ;   in Loop: Header=BB805_716 Depth=1
	v_dual_mov_b32 v64, s15 :: v_dual_mov_b32 v63, s14
	s_and_b32 s0, exec_lo, s19
	s_delay_alu instid0(SALU_CYCLE_1) | instskip(NEXT) | instid1(SALU_CYCLE_1)
	s_or_b32 s18, s0, s18
	s_and_not1_b32 exec_lo, exec_lo, s18
	s_cbranch_execz .LBB805_718
.LBB805_716:                            ; =>This Inner Loop Header: Depth=1
	s_or_b32 s19, s19, exec_lo
	s_cmp_eq_u64 s[12:13], s[14:15]
	s_cbranch_scc0 .LBB805_714
; %bb.717:                              ;   in Loop: Header=BB805_716 Depth=1
	s_mov_b64 s[14:15], s[8:9]
                                        ; implicit-def: $vgpr59_vgpr60
                                        ; implicit-def: $vgpr61_vgpr62
	s_branch .LBB805_715
.LBB805_718:
	s_set_inst_prefetch_distance 0x2
	s_or_b32 exec_lo, exec_lo, s18
	v_cmp_gt_i64_e32 vcc_lo, s[8:9], v[63:64]
	s_mov_b32 s0, 0
	s_delay_alu instid0(SALU_CYCLE_1)
	v_mov_b32_e32 v124, s0
	v_cndmask_b32_e64 v123, 0, 1, vcc_lo
.LBB805_719:
	s_or_b32 exec_lo, exec_lo, s3
.LBB805_720:
	v_mul_lo_u32 v61, v50, s8
	v_mul_lo_u32 v62, v49, s9
	v_mad_u64_u32 v[59:60], null, v49, s8, 0
	v_mov_b32_e32 v127, 0
	v_mov_b32_e32 v128, 0
	v_cmp_ne_u32_e32 vcc_lo, 1, v65
	s_delay_alu instid0(VALU_DEP_2) | instskip(SKIP_1) | instid1(VALU_DEP_1)
	v_dual_mov_b32 v125, v127 :: v_dual_mov_b32 v126, v128
	v_add3_u32 v60, v60, v62, v61
	v_lshlrev_b64 v[59:60], 3, v[59:60]
	s_cbranch_vccnz .LBB805_729
; %bb.721:
	v_add_co_u32 v61, vcc_lo, s10, v57
	v_add_co_ci_u32_e32 v62, vcc_lo, s11, v58, vcc_lo
	s_delay_alu instid0(VALU_DEP_3) | instskip(NEXT) | instid1(VALU_DEP_4)
	v_add_co_u32 v57, vcc_lo, s10, v59
	v_add_co_ci_u32_e32 v58, vcc_lo, s11, v60, vcc_lo
	v_mov_b32_e32 v125, 1
	s_clause 0x1
	global_load_b64 v[63:64], v[61:62], off
	global_load_b64 v[66:67], v[57:58], off
	v_mov_b32_e32 v126, 0
	s_mov_b32 s3, exec_lo
	s_waitcnt vmcnt(0)
	v_cmpx_eq_f64_e32 v[63:64], v[66:67]
	s_cbranch_execz .LBB805_728
; %bb.722:
	v_add_co_u32 v57, vcc_lo, v57, 8
	v_add_co_ci_u32_e32 v58, vcc_lo, 0, v58, vcc_lo
	v_add_co_u32 v61, vcc_lo, v61, 8
	v_add_co_ci_u32_e32 v62, vcc_lo, 0, v62, vcc_lo
	s_add_u32 s12, s8, -1
	s_addc_u32 s13, s9, -1
	s_mov_b64 s[14:15], 0
	s_mov_b32 s18, 0
                                        ; implicit-def: $sgpr19
	s_set_inst_prefetch_distance 0x1
	s_branch .LBB805_725
	.p2align	6
.LBB805_723:                            ;   in Loop: Header=BB805_725 Depth=1
	global_load_b64 v[63:64], v[61:62], off
	global_load_b64 v[66:67], v[57:58], off
	v_add_co_u32 v57, s0, v57, 8
	s_delay_alu instid0(VALU_DEP_1) | instskip(SKIP_1) | instid1(VALU_DEP_1)
	v_add_co_ci_u32_e64 v58, s0, 0, v58, s0
	v_add_co_u32 v61, s0, v61, 8
	v_add_co_ci_u32_e64 v62, s0, 0, v62, s0
	s_add_u32 s14, s14, 1
	s_addc_u32 s15, s15, 0
	s_and_not1_b32 s0, s19, exec_lo
	s_waitcnt vmcnt(0)
	v_cmp_neq_f64_e32 vcc_lo, v[63:64], v[66:67]
	s_and_b32 s19, vcc_lo, exec_lo
	s_delay_alu instid0(SALU_CYCLE_1)
	s_or_b32 s19, s0, s19
.LBB805_724:                            ;   in Loop: Header=BB805_725 Depth=1
	v_dual_mov_b32 v64, s15 :: v_dual_mov_b32 v63, s14
	s_and_b32 s0, exec_lo, s19
	s_delay_alu instid0(SALU_CYCLE_1) | instskip(NEXT) | instid1(SALU_CYCLE_1)
	s_or_b32 s18, s0, s18
	s_and_not1_b32 exec_lo, exec_lo, s18
	s_cbranch_execz .LBB805_727
.LBB805_725:                            ; =>This Inner Loop Header: Depth=1
	s_or_b32 s19, s19, exec_lo
	s_cmp_eq_u64 s[12:13], s[14:15]
	s_cbranch_scc0 .LBB805_723
; %bb.726:                              ;   in Loop: Header=BB805_725 Depth=1
	s_mov_b64 s[14:15], s[8:9]
                                        ; implicit-def: $vgpr57_vgpr58
                                        ; implicit-def: $vgpr61_vgpr62
	s_branch .LBB805_724
.LBB805_727:
	s_set_inst_prefetch_distance 0x2
	s_or_b32 exec_lo, exec_lo, s18
	v_cmp_gt_i64_e32 vcc_lo, s[8:9], v[63:64]
	s_mov_b32 s0, 0
	s_delay_alu instid0(SALU_CYCLE_1)
	v_mov_b32_e32 v126, s0
	v_cndmask_b32_e64 v125, 0, 1, vcc_lo
.LBB805_728:
	s_or_b32 exec_lo, exec_lo, s3
.LBB805_729:
	v_mul_lo_u32 v61, v48, s8
	v_mul_lo_u32 v62, v47, s9
	v_mad_u64_u32 v[57:58], null, v47, s8, 0
	v_cmp_ne_u32_e32 vcc_lo, 1, v65
	s_delay_alu instid0(VALU_DEP_2) | instskip(NEXT) | instid1(VALU_DEP_1)
	v_add3_u32 v58, v58, v62, v61
	v_lshlrev_b64 v[57:58], 3, v[57:58]
	s_cbranch_vccnz .LBB805_738
; %bb.730:
	v_add_co_u32 v61, vcc_lo, s10, v59
	v_add_co_ci_u32_e32 v62, vcc_lo, s11, v60, vcc_lo
	s_delay_alu instid0(VALU_DEP_3) | instskip(NEXT) | instid1(VALU_DEP_4)
	v_add_co_u32 v59, vcc_lo, s10, v57
	v_add_co_ci_u32_e32 v60, vcc_lo, s11, v58, vcc_lo
	v_mov_b32_e32 v127, 1
	s_clause 0x1
	global_load_b64 v[63:64], v[61:62], off
	global_load_b64 v[66:67], v[59:60], off
	v_mov_b32_e32 v128, 0
	s_mov_b32 s3, exec_lo
	s_waitcnt vmcnt(0)
	v_cmpx_eq_f64_e32 v[63:64], v[66:67]
	s_cbranch_execz .LBB805_737
; %bb.731:
	v_add_co_u32 v59, vcc_lo, v59, 8
	v_add_co_ci_u32_e32 v60, vcc_lo, 0, v60, vcc_lo
	v_add_co_u32 v61, vcc_lo, v61, 8
	v_add_co_ci_u32_e32 v62, vcc_lo, 0, v62, vcc_lo
	s_add_u32 s12, s8, -1
	s_addc_u32 s13, s9, -1
	s_mov_b64 s[14:15], 0
	s_mov_b32 s18, 0
                                        ; implicit-def: $sgpr19
	s_set_inst_prefetch_distance 0x1
	s_branch .LBB805_734
	.p2align	6
.LBB805_732:                            ;   in Loop: Header=BB805_734 Depth=1
	global_load_b64 v[63:64], v[61:62], off
	global_load_b64 v[66:67], v[59:60], off
	v_add_co_u32 v59, s0, v59, 8
	s_delay_alu instid0(VALU_DEP_1) | instskip(SKIP_1) | instid1(VALU_DEP_1)
	v_add_co_ci_u32_e64 v60, s0, 0, v60, s0
	v_add_co_u32 v61, s0, v61, 8
	v_add_co_ci_u32_e64 v62, s0, 0, v62, s0
	s_add_u32 s14, s14, 1
	s_addc_u32 s15, s15, 0
	s_and_not1_b32 s0, s19, exec_lo
	s_waitcnt vmcnt(0)
	v_cmp_neq_f64_e32 vcc_lo, v[63:64], v[66:67]
	s_and_b32 s19, vcc_lo, exec_lo
	s_delay_alu instid0(SALU_CYCLE_1)
	s_or_b32 s19, s0, s19
.LBB805_733:                            ;   in Loop: Header=BB805_734 Depth=1
	v_dual_mov_b32 v64, s15 :: v_dual_mov_b32 v63, s14
	s_and_b32 s0, exec_lo, s19
	s_delay_alu instid0(SALU_CYCLE_1) | instskip(NEXT) | instid1(SALU_CYCLE_1)
	s_or_b32 s18, s0, s18
	s_and_not1_b32 exec_lo, exec_lo, s18
	s_cbranch_execz .LBB805_736
.LBB805_734:                            ; =>This Inner Loop Header: Depth=1
	s_or_b32 s19, s19, exec_lo
	s_cmp_eq_u64 s[12:13], s[14:15]
	s_cbranch_scc0 .LBB805_732
; %bb.735:                              ;   in Loop: Header=BB805_734 Depth=1
	s_mov_b64 s[14:15], s[8:9]
                                        ; implicit-def: $vgpr59_vgpr60
                                        ; implicit-def: $vgpr61_vgpr62
	s_branch .LBB805_733
.LBB805_736:
	s_set_inst_prefetch_distance 0x2
	s_or_b32 exec_lo, exec_lo, s18
	v_cmp_gt_i64_e32 vcc_lo, s[8:9], v[63:64]
	s_mov_b32 s0, 0
	s_delay_alu instid0(SALU_CYCLE_1)
	v_mov_b32_e32 v128, s0
	v_cndmask_b32_e64 v127, 0, 1, vcc_lo
.LBB805_737:
	s_or_b32 exec_lo, exec_lo, s3
.LBB805_738:
	v_mul_lo_u32 v61, v46, s8
	v_mul_lo_u32 v62, v45, s9
	v_mad_u64_u32 v[59:60], null, v45, s8, 0
	v_mov_b32_e32 v131, 0
	v_mov_b32_e32 v132, 0
	v_cmp_ne_u32_e32 vcc_lo, 1, v65
	s_delay_alu instid0(VALU_DEP_2) | instskip(SKIP_1) | instid1(VALU_DEP_1)
	v_dual_mov_b32 v129, v131 :: v_dual_mov_b32 v130, v132
	v_add3_u32 v60, v60, v62, v61
	v_lshlrev_b64 v[59:60], 3, v[59:60]
	s_cbranch_vccnz .LBB805_747
; %bb.739:
	v_add_co_u32 v61, vcc_lo, s10, v57
	v_add_co_ci_u32_e32 v62, vcc_lo, s11, v58, vcc_lo
	s_delay_alu instid0(VALU_DEP_3) | instskip(NEXT) | instid1(VALU_DEP_4)
	v_add_co_u32 v57, vcc_lo, s10, v59
	v_add_co_ci_u32_e32 v58, vcc_lo, s11, v60, vcc_lo
	v_mov_b32_e32 v129, 1
	s_clause 0x1
	global_load_b64 v[63:64], v[61:62], off
	global_load_b64 v[66:67], v[57:58], off
	v_mov_b32_e32 v130, 0
	s_mov_b32 s3, exec_lo
	s_waitcnt vmcnt(0)
	v_cmpx_eq_f64_e32 v[63:64], v[66:67]
	s_cbranch_execz .LBB805_746
; %bb.740:
	v_add_co_u32 v57, vcc_lo, v57, 8
	v_add_co_ci_u32_e32 v58, vcc_lo, 0, v58, vcc_lo
	v_add_co_u32 v61, vcc_lo, v61, 8
	v_add_co_ci_u32_e32 v62, vcc_lo, 0, v62, vcc_lo
	s_add_u32 s12, s8, -1
	s_addc_u32 s13, s9, -1
	s_mov_b64 s[14:15], 0
	s_mov_b32 s18, 0
                                        ; implicit-def: $sgpr19
	s_set_inst_prefetch_distance 0x1
	s_branch .LBB805_743
	.p2align	6
.LBB805_741:                            ;   in Loop: Header=BB805_743 Depth=1
	global_load_b64 v[63:64], v[61:62], off
	global_load_b64 v[66:67], v[57:58], off
	v_add_co_u32 v57, s0, v57, 8
	s_delay_alu instid0(VALU_DEP_1) | instskip(SKIP_1) | instid1(VALU_DEP_1)
	v_add_co_ci_u32_e64 v58, s0, 0, v58, s0
	v_add_co_u32 v61, s0, v61, 8
	v_add_co_ci_u32_e64 v62, s0, 0, v62, s0
	s_add_u32 s14, s14, 1
	s_addc_u32 s15, s15, 0
	s_and_not1_b32 s0, s19, exec_lo
	s_waitcnt vmcnt(0)
	v_cmp_neq_f64_e32 vcc_lo, v[63:64], v[66:67]
	s_and_b32 s19, vcc_lo, exec_lo
	s_delay_alu instid0(SALU_CYCLE_1)
	s_or_b32 s19, s0, s19
.LBB805_742:                            ;   in Loop: Header=BB805_743 Depth=1
	v_dual_mov_b32 v64, s15 :: v_dual_mov_b32 v63, s14
	s_and_b32 s0, exec_lo, s19
	s_delay_alu instid0(SALU_CYCLE_1) | instskip(NEXT) | instid1(SALU_CYCLE_1)
	s_or_b32 s18, s0, s18
	s_and_not1_b32 exec_lo, exec_lo, s18
	s_cbranch_execz .LBB805_745
.LBB805_743:                            ; =>This Inner Loop Header: Depth=1
	s_or_b32 s19, s19, exec_lo
	s_cmp_eq_u64 s[12:13], s[14:15]
	s_cbranch_scc0 .LBB805_741
; %bb.744:                              ;   in Loop: Header=BB805_743 Depth=1
	s_mov_b64 s[14:15], s[8:9]
                                        ; implicit-def: $vgpr57_vgpr58
                                        ; implicit-def: $vgpr61_vgpr62
	s_branch .LBB805_742
.LBB805_745:
	s_set_inst_prefetch_distance 0x2
	s_or_b32 exec_lo, exec_lo, s18
	v_cmp_gt_i64_e32 vcc_lo, s[8:9], v[63:64]
	s_mov_b32 s0, 0
	s_delay_alu instid0(SALU_CYCLE_1)
	v_mov_b32_e32 v130, s0
	v_cndmask_b32_e64 v129, 0, 1, vcc_lo
.LBB805_746:
	s_or_b32 exec_lo, exec_lo, s3
.LBB805_747:
	v_mul_lo_u32 v61, v44, s8
	v_mul_lo_u32 v62, v43, s9
	v_mad_u64_u32 v[57:58], null, v43, s8, 0
	v_cmp_ne_u32_e32 vcc_lo, 1, v65
	s_delay_alu instid0(VALU_DEP_2) | instskip(NEXT) | instid1(VALU_DEP_1)
	v_add3_u32 v58, v58, v62, v61
	v_lshlrev_b64 v[57:58], 3, v[57:58]
	s_cbranch_vccnz .LBB805_756
; %bb.748:
	v_add_co_u32 v61, vcc_lo, s10, v59
	v_add_co_ci_u32_e32 v62, vcc_lo, s11, v60, vcc_lo
	s_delay_alu instid0(VALU_DEP_3) | instskip(NEXT) | instid1(VALU_DEP_4)
	v_add_co_u32 v59, vcc_lo, s10, v57
	v_add_co_ci_u32_e32 v60, vcc_lo, s11, v58, vcc_lo
	v_mov_b32_e32 v131, 1
	s_clause 0x1
	global_load_b64 v[63:64], v[61:62], off
	global_load_b64 v[66:67], v[59:60], off
	v_mov_b32_e32 v132, 0
	s_mov_b32 s3, exec_lo
	s_waitcnt vmcnt(0)
	v_cmpx_eq_f64_e32 v[63:64], v[66:67]
	s_cbranch_execz .LBB805_755
; %bb.749:
	v_add_co_u32 v59, vcc_lo, v59, 8
	v_add_co_ci_u32_e32 v60, vcc_lo, 0, v60, vcc_lo
	v_add_co_u32 v61, vcc_lo, v61, 8
	v_add_co_ci_u32_e32 v62, vcc_lo, 0, v62, vcc_lo
	s_add_u32 s12, s8, -1
	s_addc_u32 s13, s9, -1
	s_mov_b64 s[14:15], 0
	s_mov_b32 s18, 0
                                        ; implicit-def: $sgpr19
	s_set_inst_prefetch_distance 0x1
	s_branch .LBB805_752
	.p2align	6
.LBB805_750:                            ;   in Loop: Header=BB805_752 Depth=1
	global_load_b64 v[63:64], v[61:62], off
	global_load_b64 v[66:67], v[59:60], off
	v_add_co_u32 v59, s0, v59, 8
	s_delay_alu instid0(VALU_DEP_1) | instskip(SKIP_1) | instid1(VALU_DEP_1)
	v_add_co_ci_u32_e64 v60, s0, 0, v60, s0
	v_add_co_u32 v61, s0, v61, 8
	v_add_co_ci_u32_e64 v62, s0, 0, v62, s0
	s_add_u32 s14, s14, 1
	s_addc_u32 s15, s15, 0
	s_and_not1_b32 s0, s19, exec_lo
	s_waitcnt vmcnt(0)
	v_cmp_neq_f64_e32 vcc_lo, v[63:64], v[66:67]
	s_and_b32 s19, vcc_lo, exec_lo
	s_delay_alu instid0(SALU_CYCLE_1)
	s_or_b32 s19, s0, s19
.LBB805_751:                            ;   in Loop: Header=BB805_752 Depth=1
	v_dual_mov_b32 v64, s15 :: v_dual_mov_b32 v63, s14
	s_and_b32 s0, exec_lo, s19
	s_delay_alu instid0(SALU_CYCLE_1) | instskip(NEXT) | instid1(SALU_CYCLE_1)
	s_or_b32 s18, s0, s18
	s_and_not1_b32 exec_lo, exec_lo, s18
	s_cbranch_execz .LBB805_754
.LBB805_752:                            ; =>This Inner Loop Header: Depth=1
	s_or_b32 s19, s19, exec_lo
	s_cmp_eq_u64 s[12:13], s[14:15]
	s_cbranch_scc0 .LBB805_750
; %bb.753:                              ;   in Loop: Header=BB805_752 Depth=1
	s_mov_b64 s[14:15], s[8:9]
                                        ; implicit-def: $vgpr59_vgpr60
                                        ; implicit-def: $vgpr61_vgpr62
	s_branch .LBB805_751
.LBB805_754:
	s_set_inst_prefetch_distance 0x2
	s_or_b32 exec_lo, exec_lo, s18
	v_cmp_gt_i64_e32 vcc_lo, s[8:9], v[63:64]
	s_mov_b32 s0, 0
	s_delay_alu instid0(SALU_CYCLE_1)
	v_mov_b32_e32 v132, s0
	v_cndmask_b32_e64 v131, 0, 1, vcc_lo
.LBB805_755:
	s_or_b32 exec_lo, exec_lo, s3
.LBB805_756:
	v_mul_lo_u32 v61, v42, s8
	v_mul_lo_u32 v62, v41, s9
	v_mad_u64_u32 v[59:60], null, v41, s8, 0
	v_mov_b32_e32 v135, 0
	v_mov_b32_e32 v136, 0
	v_cmp_ne_u32_e32 vcc_lo, 1, v65
	s_delay_alu instid0(VALU_DEP_2) | instskip(SKIP_1) | instid1(VALU_DEP_1)
	v_dual_mov_b32 v133, v135 :: v_dual_mov_b32 v134, v136
	v_add3_u32 v60, v60, v62, v61
	v_lshlrev_b64 v[59:60], 3, v[59:60]
	s_cbranch_vccnz .LBB805_765
; %bb.757:
	v_add_co_u32 v61, vcc_lo, s10, v57
	v_add_co_ci_u32_e32 v62, vcc_lo, s11, v58, vcc_lo
	s_delay_alu instid0(VALU_DEP_3) | instskip(NEXT) | instid1(VALU_DEP_4)
	v_add_co_u32 v57, vcc_lo, s10, v59
	v_add_co_ci_u32_e32 v58, vcc_lo, s11, v60, vcc_lo
	v_mov_b32_e32 v133, 1
	s_clause 0x1
	global_load_b64 v[63:64], v[61:62], off
	global_load_b64 v[66:67], v[57:58], off
	v_mov_b32_e32 v134, 0
	s_mov_b32 s3, exec_lo
	s_waitcnt vmcnt(0)
	v_cmpx_eq_f64_e32 v[63:64], v[66:67]
	s_cbranch_execz .LBB805_764
; %bb.758:
	v_add_co_u32 v57, vcc_lo, v57, 8
	v_add_co_ci_u32_e32 v58, vcc_lo, 0, v58, vcc_lo
	v_add_co_u32 v61, vcc_lo, v61, 8
	v_add_co_ci_u32_e32 v62, vcc_lo, 0, v62, vcc_lo
	s_add_u32 s12, s8, -1
	s_addc_u32 s13, s9, -1
	s_mov_b64 s[14:15], 0
	s_mov_b32 s18, 0
                                        ; implicit-def: $sgpr19
	s_set_inst_prefetch_distance 0x1
	s_branch .LBB805_761
	.p2align	6
.LBB805_759:                            ;   in Loop: Header=BB805_761 Depth=1
	global_load_b64 v[63:64], v[61:62], off
	global_load_b64 v[66:67], v[57:58], off
	v_add_co_u32 v57, s0, v57, 8
	s_delay_alu instid0(VALU_DEP_1) | instskip(SKIP_1) | instid1(VALU_DEP_1)
	v_add_co_ci_u32_e64 v58, s0, 0, v58, s0
	v_add_co_u32 v61, s0, v61, 8
	v_add_co_ci_u32_e64 v62, s0, 0, v62, s0
	s_add_u32 s14, s14, 1
	s_addc_u32 s15, s15, 0
	s_and_not1_b32 s0, s19, exec_lo
	s_waitcnt vmcnt(0)
	v_cmp_neq_f64_e32 vcc_lo, v[63:64], v[66:67]
	s_and_b32 s19, vcc_lo, exec_lo
	s_delay_alu instid0(SALU_CYCLE_1)
	s_or_b32 s19, s0, s19
.LBB805_760:                            ;   in Loop: Header=BB805_761 Depth=1
	v_dual_mov_b32 v64, s15 :: v_dual_mov_b32 v63, s14
	s_and_b32 s0, exec_lo, s19
	s_delay_alu instid0(SALU_CYCLE_1) | instskip(NEXT) | instid1(SALU_CYCLE_1)
	s_or_b32 s18, s0, s18
	s_and_not1_b32 exec_lo, exec_lo, s18
	s_cbranch_execz .LBB805_763
.LBB805_761:                            ; =>This Inner Loop Header: Depth=1
	s_or_b32 s19, s19, exec_lo
	s_cmp_eq_u64 s[12:13], s[14:15]
	s_cbranch_scc0 .LBB805_759
; %bb.762:                              ;   in Loop: Header=BB805_761 Depth=1
	s_mov_b64 s[14:15], s[8:9]
                                        ; implicit-def: $vgpr57_vgpr58
                                        ; implicit-def: $vgpr61_vgpr62
	s_branch .LBB805_760
.LBB805_763:
	s_set_inst_prefetch_distance 0x2
	s_or_b32 exec_lo, exec_lo, s18
	v_cmp_gt_i64_e32 vcc_lo, s[8:9], v[63:64]
	s_mov_b32 s0, 0
	s_delay_alu instid0(SALU_CYCLE_1)
	v_mov_b32_e32 v134, s0
	v_cndmask_b32_e64 v133, 0, 1, vcc_lo
.LBB805_764:
	s_or_b32 exec_lo, exec_lo, s3
.LBB805_765:
	v_mul_lo_u32 v61, v40, s8
	v_mul_lo_u32 v62, v39, s9
	v_mad_u64_u32 v[57:58], null, v39, s8, 0
	v_cmp_ne_u32_e32 vcc_lo, 1, v65
	s_delay_alu instid0(VALU_DEP_2) | instskip(NEXT) | instid1(VALU_DEP_1)
	v_add3_u32 v58, v58, v62, v61
	v_lshlrev_b64 v[57:58], 3, v[57:58]
	s_cbranch_vccnz .LBB805_774
; %bb.766:
	v_add_co_u32 v61, vcc_lo, s10, v59
	v_add_co_ci_u32_e32 v62, vcc_lo, s11, v60, vcc_lo
	s_delay_alu instid0(VALU_DEP_3) | instskip(NEXT) | instid1(VALU_DEP_4)
	v_add_co_u32 v59, vcc_lo, s10, v57
	v_add_co_ci_u32_e32 v60, vcc_lo, s11, v58, vcc_lo
	v_mov_b32_e32 v135, 1
	s_clause 0x1
	global_load_b64 v[63:64], v[61:62], off
	global_load_b64 v[66:67], v[59:60], off
	v_mov_b32_e32 v136, 0
	s_mov_b32 s3, exec_lo
	s_waitcnt vmcnt(0)
	v_cmpx_eq_f64_e32 v[63:64], v[66:67]
	s_cbranch_execz .LBB805_773
; %bb.767:
	v_add_co_u32 v59, vcc_lo, v59, 8
	v_add_co_ci_u32_e32 v60, vcc_lo, 0, v60, vcc_lo
	v_add_co_u32 v61, vcc_lo, v61, 8
	v_add_co_ci_u32_e32 v62, vcc_lo, 0, v62, vcc_lo
	s_add_u32 s12, s8, -1
	s_addc_u32 s13, s9, -1
	s_mov_b64 s[14:15], 0
	s_mov_b32 s18, 0
                                        ; implicit-def: $sgpr19
	s_set_inst_prefetch_distance 0x1
	s_branch .LBB805_770
	.p2align	6
.LBB805_768:                            ;   in Loop: Header=BB805_770 Depth=1
	global_load_b64 v[63:64], v[61:62], off
	global_load_b64 v[66:67], v[59:60], off
	v_add_co_u32 v59, s0, v59, 8
	s_delay_alu instid0(VALU_DEP_1) | instskip(SKIP_1) | instid1(VALU_DEP_1)
	v_add_co_ci_u32_e64 v60, s0, 0, v60, s0
	v_add_co_u32 v61, s0, v61, 8
	v_add_co_ci_u32_e64 v62, s0, 0, v62, s0
	s_add_u32 s14, s14, 1
	s_addc_u32 s15, s15, 0
	s_and_not1_b32 s0, s19, exec_lo
	s_waitcnt vmcnt(0)
	v_cmp_neq_f64_e32 vcc_lo, v[63:64], v[66:67]
	s_and_b32 s19, vcc_lo, exec_lo
	s_delay_alu instid0(SALU_CYCLE_1)
	s_or_b32 s19, s0, s19
.LBB805_769:                            ;   in Loop: Header=BB805_770 Depth=1
	v_dual_mov_b32 v64, s15 :: v_dual_mov_b32 v63, s14
	s_and_b32 s0, exec_lo, s19
	s_delay_alu instid0(SALU_CYCLE_1) | instskip(NEXT) | instid1(SALU_CYCLE_1)
	s_or_b32 s18, s0, s18
	s_and_not1_b32 exec_lo, exec_lo, s18
	s_cbranch_execz .LBB805_772
.LBB805_770:                            ; =>This Inner Loop Header: Depth=1
	s_or_b32 s19, s19, exec_lo
	s_cmp_eq_u64 s[12:13], s[14:15]
	s_cbranch_scc0 .LBB805_768
; %bb.771:                              ;   in Loop: Header=BB805_770 Depth=1
	s_mov_b64 s[14:15], s[8:9]
                                        ; implicit-def: $vgpr59_vgpr60
                                        ; implicit-def: $vgpr61_vgpr62
	s_branch .LBB805_769
.LBB805_772:
	s_set_inst_prefetch_distance 0x2
	s_or_b32 exec_lo, exec_lo, s18
	v_cmp_gt_i64_e32 vcc_lo, s[8:9], v[63:64]
	s_mov_b32 s0, 0
	s_delay_alu instid0(SALU_CYCLE_1)
	v_mov_b32_e32 v136, s0
	v_cndmask_b32_e64 v135, 0, 1, vcc_lo
.LBB805_773:
	s_or_b32 exec_lo, exec_lo, s3
.LBB805_774:
	v_mul_lo_u32 v61, v38, s8
	v_mul_lo_u32 v62, v37, s9
	v_mad_u64_u32 v[59:60], null, v37, s8, 0
	v_mov_b32_e32 v139, 0
	v_mov_b32_e32 v140, 0
	v_cmp_ne_u32_e32 vcc_lo, 1, v65
	s_delay_alu instid0(VALU_DEP_2) | instskip(SKIP_1) | instid1(VALU_DEP_1)
	v_dual_mov_b32 v137, v139 :: v_dual_mov_b32 v138, v140
	v_add3_u32 v60, v60, v62, v61
	v_lshlrev_b64 v[59:60], 3, v[59:60]
	s_cbranch_vccnz .LBB805_783
; %bb.775:
	v_add_co_u32 v61, vcc_lo, s10, v57
	v_add_co_ci_u32_e32 v62, vcc_lo, s11, v58, vcc_lo
	s_delay_alu instid0(VALU_DEP_3) | instskip(NEXT) | instid1(VALU_DEP_4)
	v_add_co_u32 v57, vcc_lo, s10, v59
	v_add_co_ci_u32_e32 v58, vcc_lo, s11, v60, vcc_lo
	v_mov_b32_e32 v137, 1
	s_clause 0x1
	global_load_b64 v[63:64], v[61:62], off
	global_load_b64 v[66:67], v[57:58], off
	v_mov_b32_e32 v138, 0
	s_mov_b32 s3, exec_lo
	s_waitcnt vmcnt(0)
	v_cmpx_eq_f64_e32 v[63:64], v[66:67]
	s_cbranch_execz .LBB805_782
; %bb.776:
	v_add_co_u32 v57, vcc_lo, v57, 8
	v_add_co_ci_u32_e32 v58, vcc_lo, 0, v58, vcc_lo
	v_add_co_u32 v61, vcc_lo, v61, 8
	v_add_co_ci_u32_e32 v62, vcc_lo, 0, v62, vcc_lo
	s_add_u32 s12, s8, -1
	s_addc_u32 s13, s9, -1
	s_mov_b64 s[14:15], 0
	s_mov_b32 s18, 0
                                        ; implicit-def: $sgpr19
	s_set_inst_prefetch_distance 0x1
	s_branch .LBB805_779
	.p2align	6
.LBB805_777:                            ;   in Loop: Header=BB805_779 Depth=1
	global_load_b64 v[63:64], v[61:62], off
	global_load_b64 v[66:67], v[57:58], off
	v_add_co_u32 v57, s0, v57, 8
	s_delay_alu instid0(VALU_DEP_1) | instskip(SKIP_1) | instid1(VALU_DEP_1)
	v_add_co_ci_u32_e64 v58, s0, 0, v58, s0
	v_add_co_u32 v61, s0, v61, 8
	v_add_co_ci_u32_e64 v62, s0, 0, v62, s0
	s_add_u32 s14, s14, 1
	s_addc_u32 s15, s15, 0
	s_and_not1_b32 s0, s19, exec_lo
	s_waitcnt vmcnt(0)
	v_cmp_neq_f64_e32 vcc_lo, v[63:64], v[66:67]
	s_and_b32 s19, vcc_lo, exec_lo
	s_delay_alu instid0(SALU_CYCLE_1)
	s_or_b32 s19, s0, s19
.LBB805_778:                            ;   in Loop: Header=BB805_779 Depth=1
	v_dual_mov_b32 v64, s15 :: v_dual_mov_b32 v63, s14
	s_and_b32 s0, exec_lo, s19
	s_delay_alu instid0(SALU_CYCLE_1) | instskip(NEXT) | instid1(SALU_CYCLE_1)
	s_or_b32 s18, s0, s18
	s_and_not1_b32 exec_lo, exec_lo, s18
	s_cbranch_execz .LBB805_781
.LBB805_779:                            ; =>This Inner Loop Header: Depth=1
	s_or_b32 s19, s19, exec_lo
	s_cmp_eq_u64 s[12:13], s[14:15]
	s_cbranch_scc0 .LBB805_777
; %bb.780:                              ;   in Loop: Header=BB805_779 Depth=1
	s_mov_b64 s[14:15], s[8:9]
                                        ; implicit-def: $vgpr57_vgpr58
                                        ; implicit-def: $vgpr61_vgpr62
	s_branch .LBB805_778
.LBB805_781:
	s_set_inst_prefetch_distance 0x2
	s_or_b32 exec_lo, exec_lo, s18
	v_cmp_gt_i64_e32 vcc_lo, s[8:9], v[63:64]
	s_mov_b32 s0, 0
	s_delay_alu instid0(SALU_CYCLE_1)
	v_mov_b32_e32 v138, s0
	v_cndmask_b32_e64 v137, 0, 1, vcc_lo
.LBB805_782:
	s_or_b32 exec_lo, exec_lo, s3
.LBB805_783:
	v_mul_lo_u32 v61, v36, s8
	v_mul_lo_u32 v62, v35, s9
	v_mad_u64_u32 v[57:58], null, v35, s8, 0
	v_cmp_ne_u32_e32 vcc_lo, 1, v65
	s_delay_alu instid0(VALU_DEP_2) | instskip(NEXT) | instid1(VALU_DEP_1)
	v_add3_u32 v58, v58, v62, v61
	v_lshlrev_b64 v[57:58], 3, v[57:58]
	s_cbranch_vccnz .LBB805_792
; %bb.784:
	v_add_co_u32 v61, vcc_lo, s10, v59
	v_add_co_ci_u32_e32 v62, vcc_lo, s11, v60, vcc_lo
	s_delay_alu instid0(VALU_DEP_3) | instskip(NEXT) | instid1(VALU_DEP_4)
	v_add_co_u32 v59, vcc_lo, s10, v57
	v_add_co_ci_u32_e32 v60, vcc_lo, s11, v58, vcc_lo
	v_mov_b32_e32 v139, 1
	s_clause 0x1
	global_load_b64 v[63:64], v[61:62], off
	global_load_b64 v[66:67], v[59:60], off
	v_mov_b32_e32 v140, 0
	s_mov_b32 s3, exec_lo
	s_waitcnt vmcnt(0)
	v_cmpx_eq_f64_e32 v[63:64], v[66:67]
	s_cbranch_execz .LBB805_791
; %bb.785:
	v_add_co_u32 v59, vcc_lo, v59, 8
	v_add_co_ci_u32_e32 v60, vcc_lo, 0, v60, vcc_lo
	v_add_co_u32 v61, vcc_lo, v61, 8
	v_add_co_ci_u32_e32 v62, vcc_lo, 0, v62, vcc_lo
	s_add_u32 s12, s8, -1
	s_addc_u32 s13, s9, -1
	s_mov_b64 s[14:15], 0
	s_mov_b32 s18, 0
                                        ; implicit-def: $sgpr19
	s_set_inst_prefetch_distance 0x1
	s_branch .LBB805_788
	.p2align	6
.LBB805_786:                            ;   in Loop: Header=BB805_788 Depth=1
	global_load_b64 v[63:64], v[61:62], off
	global_load_b64 v[66:67], v[59:60], off
	v_add_co_u32 v59, s0, v59, 8
	s_delay_alu instid0(VALU_DEP_1) | instskip(SKIP_1) | instid1(VALU_DEP_1)
	v_add_co_ci_u32_e64 v60, s0, 0, v60, s0
	v_add_co_u32 v61, s0, v61, 8
	v_add_co_ci_u32_e64 v62, s0, 0, v62, s0
	s_add_u32 s14, s14, 1
	s_addc_u32 s15, s15, 0
	s_and_not1_b32 s0, s19, exec_lo
	s_waitcnt vmcnt(0)
	v_cmp_neq_f64_e32 vcc_lo, v[63:64], v[66:67]
	s_and_b32 s19, vcc_lo, exec_lo
	s_delay_alu instid0(SALU_CYCLE_1)
	s_or_b32 s19, s0, s19
.LBB805_787:                            ;   in Loop: Header=BB805_788 Depth=1
	v_dual_mov_b32 v64, s15 :: v_dual_mov_b32 v63, s14
	s_and_b32 s0, exec_lo, s19
	s_delay_alu instid0(SALU_CYCLE_1) | instskip(NEXT) | instid1(SALU_CYCLE_1)
	s_or_b32 s18, s0, s18
	s_and_not1_b32 exec_lo, exec_lo, s18
	s_cbranch_execz .LBB805_790
.LBB805_788:                            ; =>This Inner Loop Header: Depth=1
	s_or_b32 s19, s19, exec_lo
	s_cmp_eq_u64 s[12:13], s[14:15]
	s_cbranch_scc0 .LBB805_786
; %bb.789:                              ;   in Loop: Header=BB805_788 Depth=1
	s_mov_b64 s[14:15], s[8:9]
                                        ; implicit-def: $vgpr59_vgpr60
                                        ; implicit-def: $vgpr61_vgpr62
	s_branch .LBB805_787
.LBB805_790:
	s_set_inst_prefetch_distance 0x2
	s_or_b32 exec_lo, exec_lo, s18
	v_cmp_gt_i64_e32 vcc_lo, s[8:9], v[63:64]
	s_mov_b32 s0, 0
	s_delay_alu instid0(SALU_CYCLE_1)
	v_mov_b32_e32 v140, s0
	v_cndmask_b32_e64 v139, 0, 1, vcc_lo
.LBB805_791:
	s_or_b32 exec_lo, exec_lo, s3
.LBB805_792:
	v_mul_lo_u32 v61, v34, s8
	v_mul_lo_u32 v62, v33, s9
	v_mad_u64_u32 v[59:60], null, v33, s8, 0
	v_mov_b32_e32 v143, 0
	v_mov_b32_e32 v144, 0
	v_cmp_ne_u32_e32 vcc_lo, 1, v65
	s_delay_alu instid0(VALU_DEP_2) | instskip(SKIP_1) | instid1(VALU_DEP_1)
	v_dual_mov_b32 v141, v143 :: v_dual_mov_b32 v142, v144
	v_add3_u32 v60, v60, v62, v61
	v_lshlrev_b64 v[59:60], 3, v[59:60]
	s_cbranch_vccnz .LBB805_801
; %bb.793:
	v_add_co_u32 v61, vcc_lo, s10, v57
	v_add_co_ci_u32_e32 v62, vcc_lo, s11, v58, vcc_lo
	s_delay_alu instid0(VALU_DEP_3) | instskip(NEXT) | instid1(VALU_DEP_4)
	v_add_co_u32 v57, vcc_lo, s10, v59
	v_add_co_ci_u32_e32 v58, vcc_lo, s11, v60, vcc_lo
	v_mov_b32_e32 v141, 1
	s_clause 0x1
	global_load_b64 v[63:64], v[61:62], off
	global_load_b64 v[66:67], v[57:58], off
	v_mov_b32_e32 v142, 0
	s_mov_b32 s3, exec_lo
	s_waitcnt vmcnt(0)
	v_cmpx_eq_f64_e32 v[63:64], v[66:67]
	s_cbranch_execz .LBB805_800
; %bb.794:
	v_add_co_u32 v57, vcc_lo, v57, 8
	v_add_co_ci_u32_e32 v58, vcc_lo, 0, v58, vcc_lo
	v_add_co_u32 v61, vcc_lo, v61, 8
	v_add_co_ci_u32_e32 v62, vcc_lo, 0, v62, vcc_lo
	s_add_u32 s12, s8, -1
	s_addc_u32 s13, s9, -1
	s_mov_b64 s[14:15], 0
	s_mov_b32 s18, 0
                                        ; implicit-def: $sgpr19
	s_set_inst_prefetch_distance 0x1
	s_branch .LBB805_797
	.p2align	6
.LBB805_795:                            ;   in Loop: Header=BB805_797 Depth=1
	global_load_b64 v[63:64], v[61:62], off
	global_load_b64 v[66:67], v[57:58], off
	v_add_co_u32 v57, s0, v57, 8
	s_delay_alu instid0(VALU_DEP_1) | instskip(SKIP_1) | instid1(VALU_DEP_1)
	v_add_co_ci_u32_e64 v58, s0, 0, v58, s0
	v_add_co_u32 v61, s0, v61, 8
	v_add_co_ci_u32_e64 v62, s0, 0, v62, s0
	s_add_u32 s14, s14, 1
	s_addc_u32 s15, s15, 0
	s_and_not1_b32 s0, s19, exec_lo
	s_waitcnt vmcnt(0)
	v_cmp_neq_f64_e32 vcc_lo, v[63:64], v[66:67]
	s_and_b32 s19, vcc_lo, exec_lo
	s_delay_alu instid0(SALU_CYCLE_1)
	s_or_b32 s19, s0, s19
.LBB805_796:                            ;   in Loop: Header=BB805_797 Depth=1
	v_dual_mov_b32 v64, s15 :: v_dual_mov_b32 v63, s14
	s_and_b32 s0, exec_lo, s19
	s_delay_alu instid0(SALU_CYCLE_1) | instskip(NEXT) | instid1(SALU_CYCLE_1)
	s_or_b32 s18, s0, s18
	s_and_not1_b32 exec_lo, exec_lo, s18
	s_cbranch_execz .LBB805_799
.LBB805_797:                            ; =>This Inner Loop Header: Depth=1
	s_or_b32 s19, s19, exec_lo
	s_cmp_eq_u64 s[12:13], s[14:15]
	s_cbranch_scc0 .LBB805_795
; %bb.798:                              ;   in Loop: Header=BB805_797 Depth=1
	s_mov_b64 s[14:15], s[8:9]
                                        ; implicit-def: $vgpr57_vgpr58
                                        ; implicit-def: $vgpr61_vgpr62
	s_branch .LBB805_796
.LBB805_799:
	s_set_inst_prefetch_distance 0x2
	s_or_b32 exec_lo, exec_lo, s18
	v_cmp_gt_i64_e32 vcc_lo, s[8:9], v[63:64]
	s_mov_b32 s0, 0
	s_delay_alu instid0(SALU_CYCLE_1)
	v_mov_b32_e32 v142, s0
	v_cndmask_b32_e64 v141, 0, 1, vcc_lo
.LBB805_800:
	s_or_b32 exec_lo, exec_lo, s3
.LBB805_801:
	v_mul_lo_u32 v61, v32, s8
	v_mul_lo_u32 v62, v31, s9
	v_mad_u64_u32 v[57:58], null, v31, s8, 0
	v_cmp_ne_u32_e32 vcc_lo, 1, v65
	s_delay_alu instid0(VALU_DEP_2) | instskip(NEXT) | instid1(VALU_DEP_1)
	v_add3_u32 v58, v58, v62, v61
	v_lshlrev_b64 v[57:58], 3, v[57:58]
	s_cbranch_vccnz .LBB805_810
; %bb.802:
	v_add_co_u32 v61, vcc_lo, s10, v59
	v_add_co_ci_u32_e32 v62, vcc_lo, s11, v60, vcc_lo
	s_delay_alu instid0(VALU_DEP_3) | instskip(NEXT) | instid1(VALU_DEP_4)
	v_add_co_u32 v59, vcc_lo, s10, v57
	v_add_co_ci_u32_e32 v60, vcc_lo, s11, v58, vcc_lo
	v_mov_b32_e32 v143, 1
	s_clause 0x1
	global_load_b64 v[63:64], v[61:62], off
	global_load_b64 v[66:67], v[59:60], off
	v_mov_b32_e32 v144, 0
	s_mov_b32 s3, exec_lo
	s_waitcnt vmcnt(0)
	v_cmpx_eq_f64_e32 v[63:64], v[66:67]
	s_cbranch_execz .LBB805_809
; %bb.803:
	v_add_co_u32 v59, vcc_lo, v59, 8
	v_add_co_ci_u32_e32 v60, vcc_lo, 0, v60, vcc_lo
	v_add_co_u32 v61, vcc_lo, v61, 8
	v_add_co_ci_u32_e32 v62, vcc_lo, 0, v62, vcc_lo
	s_add_u32 s12, s8, -1
	s_addc_u32 s13, s9, -1
	s_mov_b64 s[14:15], 0
	s_mov_b32 s18, 0
                                        ; implicit-def: $sgpr19
	s_set_inst_prefetch_distance 0x1
	s_branch .LBB805_806
	.p2align	6
.LBB805_804:                            ;   in Loop: Header=BB805_806 Depth=1
	global_load_b64 v[63:64], v[61:62], off
	global_load_b64 v[66:67], v[59:60], off
	v_add_co_u32 v59, s0, v59, 8
	s_delay_alu instid0(VALU_DEP_1) | instskip(SKIP_1) | instid1(VALU_DEP_1)
	v_add_co_ci_u32_e64 v60, s0, 0, v60, s0
	v_add_co_u32 v61, s0, v61, 8
	v_add_co_ci_u32_e64 v62, s0, 0, v62, s0
	s_add_u32 s14, s14, 1
	s_addc_u32 s15, s15, 0
	s_and_not1_b32 s0, s19, exec_lo
	s_waitcnt vmcnt(0)
	v_cmp_neq_f64_e32 vcc_lo, v[63:64], v[66:67]
	s_and_b32 s19, vcc_lo, exec_lo
	s_delay_alu instid0(SALU_CYCLE_1)
	s_or_b32 s19, s0, s19
.LBB805_805:                            ;   in Loop: Header=BB805_806 Depth=1
	v_dual_mov_b32 v64, s15 :: v_dual_mov_b32 v63, s14
	s_and_b32 s0, exec_lo, s19
	s_delay_alu instid0(SALU_CYCLE_1) | instskip(NEXT) | instid1(SALU_CYCLE_1)
	s_or_b32 s18, s0, s18
	s_and_not1_b32 exec_lo, exec_lo, s18
	s_cbranch_execz .LBB805_808
.LBB805_806:                            ; =>This Inner Loop Header: Depth=1
	s_or_b32 s19, s19, exec_lo
	s_cmp_eq_u64 s[12:13], s[14:15]
	s_cbranch_scc0 .LBB805_804
; %bb.807:                              ;   in Loop: Header=BB805_806 Depth=1
	s_mov_b64 s[14:15], s[8:9]
                                        ; implicit-def: $vgpr59_vgpr60
                                        ; implicit-def: $vgpr61_vgpr62
	s_branch .LBB805_805
.LBB805_808:
	s_set_inst_prefetch_distance 0x2
	s_or_b32 exec_lo, exec_lo, s18
	v_cmp_gt_i64_e32 vcc_lo, s[8:9], v[63:64]
	s_mov_b32 s0, 0
	s_delay_alu instid0(SALU_CYCLE_1)
	v_mov_b32_e32 v144, s0
	v_cndmask_b32_e64 v143, 0, 1, vcc_lo
.LBB805_809:
	s_or_b32 exec_lo, exec_lo, s3
.LBB805_810:
	v_mul_lo_u32 v61, v30, s8
	v_mul_lo_u32 v62, v29, s9
	v_mad_u64_u32 v[59:60], null, v29, s8, 0
	v_mov_b32_e32 v147, 0
	v_mov_b32_e32 v148, 0
	v_cmp_ne_u32_e32 vcc_lo, 1, v65
	s_delay_alu instid0(VALU_DEP_2) | instskip(SKIP_1) | instid1(VALU_DEP_1)
	v_dual_mov_b32 v145, v147 :: v_dual_mov_b32 v146, v148
	v_add3_u32 v60, v60, v62, v61
	v_lshlrev_b64 v[59:60], 3, v[59:60]
	s_cbranch_vccnz .LBB805_819
; %bb.811:
	v_add_co_u32 v61, vcc_lo, s10, v57
	v_add_co_ci_u32_e32 v62, vcc_lo, s11, v58, vcc_lo
	s_delay_alu instid0(VALU_DEP_3) | instskip(NEXT) | instid1(VALU_DEP_4)
	v_add_co_u32 v57, vcc_lo, s10, v59
	v_add_co_ci_u32_e32 v58, vcc_lo, s11, v60, vcc_lo
	v_mov_b32_e32 v145, 1
	s_clause 0x1
	global_load_b64 v[63:64], v[61:62], off
	global_load_b64 v[66:67], v[57:58], off
	v_mov_b32_e32 v146, 0
	s_mov_b32 s3, exec_lo
	s_waitcnt vmcnt(0)
	v_cmpx_eq_f64_e32 v[63:64], v[66:67]
	s_cbranch_execz .LBB805_818
; %bb.812:
	v_add_co_u32 v57, vcc_lo, v57, 8
	v_add_co_ci_u32_e32 v58, vcc_lo, 0, v58, vcc_lo
	v_add_co_u32 v61, vcc_lo, v61, 8
	v_add_co_ci_u32_e32 v62, vcc_lo, 0, v62, vcc_lo
	s_add_u32 s12, s8, -1
	s_addc_u32 s13, s9, -1
	s_mov_b64 s[14:15], 0
	s_mov_b32 s18, 0
                                        ; implicit-def: $sgpr19
	s_set_inst_prefetch_distance 0x1
	s_branch .LBB805_815
	.p2align	6
.LBB805_813:                            ;   in Loop: Header=BB805_815 Depth=1
	global_load_b64 v[63:64], v[61:62], off
	global_load_b64 v[66:67], v[57:58], off
	v_add_co_u32 v57, s0, v57, 8
	s_delay_alu instid0(VALU_DEP_1) | instskip(SKIP_1) | instid1(VALU_DEP_1)
	v_add_co_ci_u32_e64 v58, s0, 0, v58, s0
	v_add_co_u32 v61, s0, v61, 8
	v_add_co_ci_u32_e64 v62, s0, 0, v62, s0
	s_add_u32 s14, s14, 1
	s_addc_u32 s15, s15, 0
	s_and_not1_b32 s0, s19, exec_lo
	s_waitcnt vmcnt(0)
	v_cmp_neq_f64_e32 vcc_lo, v[63:64], v[66:67]
	s_and_b32 s19, vcc_lo, exec_lo
	s_delay_alu instid0(SALU_CYCLE_1)
	s_or_b32 s19, s0, s19
.LBB805_814:                            ;   in Loop: Header=BB805_815 Depth=1
	v_dual_mov_b32 v64, s15 :: v_dual_mov_b32 v63, s14
	s_and_b32 s0, exec_lo, s19
	s_delay_alu instid0(SALU_CYCLE_1) | instskip(NEXT) | instid1(SALU_CYCLE_1)
	s_or_b32 s18, s0, s18
	s_and_not1_b32 exec_lo, exec_lo, s18
	s_cbranch_execz .LBB805_817
.LBB805_815:                            ; =>This Inner Loop Header: Depth=1
	s_or_b32 s19, s19, exec_lo
	s_cmp_eq_u64 s[12:13], s[14:15]
	s_cbranch_scc0 .LBB805_813
; %bb.816:                              ;   in Loop: Header=BB805_815 Depth=1
	s_mov_b64 s[14:15], s[8:9]
                                        ; implicit-def: $vgpr57_vgpr58
                                        ; implicit-def: $vgpr61_vgpr62
	s_branch .LBB805_814
.LBB805_817:
	s_set_inst_prefetch_distance 0x2
	s_or_b32 exec_lo, exec_lo, s18
	v_cmp_gt_i64_e32 vcc_lo, s[8:9], v[63:64]
	s_mov_b32 s0, 0
	s_delay_alu instid0(SALU_CYCLE_1)
	v_mov_b32_e32 v146, s0
	v_cndmask_b32_e64 v145, 0, 1, vcc_lo
.LBB805_818:
	s_or_b32 exec_lo, exec_lo, s3
.LBB805_819:
	v_mul_lo_u32 v61, v28, s8
	v_mul_lo_u32 v62, v27, s9
	v_mad_u64_u32 v[57:58], null, v27, s8, 0
	v_cmp_ne_u32_e32 vcc_lo, 1, v65
	s_delay_alu instid0(VALU_DEP_2) | instskip(NEXT) | instid1(VALU_DEP_1)
	v_add3_u32 v58, v58, v62, v61
	v_lshlrev_b64 v[57:58], 3, v[57:58]
	s_cbranch_vccnz .LBB805_828
; %bb.820:
	v_add_co_u32 v61, vcc_lo, s10, v59
	v_add_co_ci_u32_e32 v62, vcc_lo, s11, v60, vcc_lo
	s_delay_alu instid0(VALU_DEP_3) | instskip(NEXT) | instid1(VALU_DEP_4)
	v_add_co_u32 v59, vcc_lo, s10, v57
	v_add_co_ci_u32_e32 v60, vcc_lo, s11, v58, vcc_lo
	v_mov_b32_e32 v147, 1
	s_clause 0x1
	global_load_b64 v[63:64], v[61:62], off
	global_load_b64 v[66:67], v[59:60], off
	v_mov_b32_e32 v148, 0
	s_mov_b32 s3, exec_lo
	s_waitcnt vmcnt(0)
	v_cmpx_eq_f64_e32 v[63:64], v[66:67]
	s_cbranch_execz .LBB805_827
; %bb.821:
	v_add_co_u32 v59, vcc_lo, v59, 8
	v_add_co_ci_u32_e32 v60, vcc_lo, 0, v60, vcc_lo
	v_add_co_u32 v61, vcc_lo, v61, 8
	v_add_co_ci_u32_e32 v62, vcc_lo, 0, v62, vcc_lo
	s_add_u32 s12, s8, -1
	s_addc_u32 s13, s9, -1
	s_mov_b64 s[14:15], 0
	s_mov_b32 s18, 0
                                        ; implicit-def: $sgpr19
	s_set_inst_prefetch_distance 0x1
	s_branch .LBB805_824
	.p2align	6
.LBB805_822:                            ;   in Loop: Header=BB805_824 Depth=1
	global_load_b64 v[63:64], v[61:62], off
	global_load_b64 v[66:67], v[59:60], off
	v_add_co_u32 v59, s0, v59, 8
	s_delay_alu instid0(VALU_DEP_1) | instskip(SKIP_1) | instid1(VALU_DEP_1)
	v_add_co_ci_u32_e64 v60, s0, 0, v60, s0
	v_add_co_u32 v61, s0, v61, 8
	v_add_co_ci_u32_e64 v62, s0, 0, v62, s0
	s_add_u32 s14, s14, 1
	s_addc_u32 s15, s15, 0
	s_and_not1_b32 s0, s19, exec_lo
	s_waitcnt vmcnt(0)
	v_cmp_neq_f64_e32 vcc_lo, v[63:64], v[66:67]
	s_and_b32 s19, vcc_lo, exec_lo
	s_delay_alu instid0(SALU_CYCLE_1)
	s_or_b32 s19, s0, s19
.LBB805_823:                            ;   in Loop: Header=BB805_824 Depth=1
	v_dual_mov_b32 v64, s15 :: v_dual_mov_b32 v63, s14
	s_and_b32 s0, exec_lo, s19
	s_delay_alu instid0(SALU_CYCLE_1) | instskip(NEXT) | instid1(SALU_CYCLE_1)
	s_or_b32 s18, s0, s18
	s_and_not1_b32 exec_lo, exec_lo, s18
	s_cbranch_execz .LBB805_826
.LBB805_824:                            ; =>This Inner Loop Header: Depth=1
	s_or_b32 s19, s19, exec_lo
	s_cmp_eq_u64 s[12:13], s[14:15]
	s_cbranch_scc0 .LBB805_822
; %bb.825:                              ;   in Loop: Header=BB805_824 Depth=1
	s_mov_b64 s[14:15], s[8:9]
                                        ; implicit-def: $vgpr59_vgpr60
                                        ; implicit-def: $vgpr61_vgpr62
	s_branch .LBB805_823
.LBB805_826:
	s_set_inst_prefetch_distance 0x2
	s_or_b32 exec_lo, exec_lo, s18
	v_cmp_gt_i64_e32 vcc_lo, s[8:9], v[63:64]
	s_mov_b32 s0, 0
	s_delay_alu instid0(SALU_CYCLE_1)
	v_mov_b32_e32 v148, s0
	v_cndmask_b32_e64 v147, 0, 1, vcc_lo
.LBB805_827:
	s_or_b32 exec_lo, exec_lo, s3
.LBB805_828:
	v_mul_lo_u32 v61, v26, s8
	v_mul_lo_u32 v62, v25, s9
	v_mad_u64_u32 v[59:60], null, v25, s8, 0
	v_mov_b32_e32 v151, 0
	v_mov_b32_e32 v152, 0
	v_cmp_ne_u32_e32 vcc_lo, 1, v65
	s_delay_alu instid0(VALU_DEP_2) | instskip(SKIP_1) | instid1(VALU_DEP_1)
	v_dual_mov_b32 v149, v151 :: v_dual_mov_b32 v150, v152
	v_add3_u32 v60, v60, v62, v61
	v_lshlrev_b64 v[59:60], 3, v[59:60]
	s_cbranch_vccnz .LBB805_837
; %bb.829:
	v_add_co_u32 v61, vcc_lo, s10, v57
	v_add_co_ci_u32_e32 v62, vcc_lo, s11, v58, vcc_lo
	s_delay_alu instid0(VALU_DEP_3) | instskip(NEXT) | instid1(VALU_DEP_4)
	v_add_co_u32 v57, vcc_lo, s10, v59
	v_add_co_ci_u32_e32 v58, vcc_lo, s11, v60, vcc_lo
	v_mov_b32_e32 v149, 1
	s_clause 0x1
	global_load_b64 v[63:64], v[61:62], off
	global_load_b64 v[66:67], v[57:58], off
	v_mov_b32_e32 v150, 0
	s_mov_b32 s3, exec_lo
	s_waitcnt vmcnt(0)
	v_cmpx_eq_f64_e32 v[63:64], v[66:67]
	s_cbranch_execz .LBB805_836
; %bb.830:
	v_add_co_u32 v57, vcc_lo, v57, 8
	v_add_co_ci_u32_e32 v58, vcc_lo, 0, v58, vcc_lo
	v_add_co_u32 v61, vcc_lo, v61, 8
	v_add_co_ci_u32_e32 v62, vcc_lo, 0, v62, vcc_lo
	s_add_u32 s12, s8, -1
	s_addc_u32 s13, s9, -1
	s_mov_b64 s[14:15], 0
	s_mov_b32 s18, 0
                                        ; implicit-def: $sgpr19
	s_set_inst_prefetch_distance 0x1
	s_branch .LBB805_833
	.p2align	6
.LBB805_831:                            ;   in Loop: Header=BB805_833 Depth=1
	global_load_b64 v[63:64], v[61:62], off
	global_load_b64 v[66:67], v[57:58], off
	v_add_co_u32 v57, s0, v57, 8
	s_delay_alu instid0(VALU_DEP_1) | instskip(SKIP_1) | instid1(VALU_DEP_1)
	v_add_co_ci_u32_e64 v58, s0, 0, v58, s0
	v_add_co_u32 v61, s0, v61, 8
	v_add_co_ci_u32_e64 v62, s0, 0, v62, s0
	s_add_u32 s14, s14, 1
	s_addc_u32 s15, s15, 0
	s_and_not1_b32 s0, s19, exec_lo
	s_waitcnt vmcnt(0)
	v_cmp_neq_f64_e32 vcc_lo, v[63:64], v[66:67]
	s_and_b32 s19, vcc_lo, exec_lo
	s_delay_alu instid0(SALU_CYCLE_1)
	s_or_b32 s19, s0, s19
.LBB805_832:                            ;   in Loop: Header=BB805_833 Depth=1
	v_dual_mov_b32 v64, s15 :: v_dual_mov_b32 v63, s14
	s_and_b32 s0, exec_lo, s19
	s_delay_alu instid0(SALU_CYCLE_1) | instskip(NEXT) | instid1(SALU_CYCLE_1)
	s_or_b32 s18, s0, s18
	s_and_not1_b32 exec_lo, exec_lo, s18
	s_cbranch_execz .LBB805_835
.LBB805_833:                            ; =>This Inner Loop Header: Depth=1
	s_or_b32 s19, s19, exec_lo
	s_cmp_eq_u64 s[12:13], s[14:15]
	s_cbranch_scc0 .LBB805_831
; %bb.834:                              ;   in Loop: Header=BB805_833 Depth=1
	s_mov_b64 s[14:15], s[8:9]
                                        ; implicit-def: $vgpr57_vgpr58
                                        ; implicit-def: $vgpr61_vgpr62
	s_branch .LBB805_832
.LBB805_835:
	s_set_inst_prefetch_distance 0x2
	s_or_b32 exec_lo, exec_lo, s18
	v_cmp_gt_i64_e32 vcc_lo, s[8:9], v[63:64]
	s_mov_b32 s0, 0
	s_delay_alu instid0(SALU_CYCLE_1)
	v_mov_b32_e32 v150, s0
	v_cndmask_b32_e64 v149, 0, 1, vcc_lo
.LBB805_836:
	s_or_b32 exec_lo, exec_lo, s3
.LBB805_837:
	v_mul_lo_u32 v61, v24, s8
	v_mul_lo_u32 v62, v23, s9
	v_mad_u64_u32 v[57:58], null, v23, s8, 0
	v_cmp_ne_u32_e32 vcc_lo, 1, v65
	s_delay_alu instid0(VALU_DEP_2) | instskip(NEXT) | instid1(VALU_DEP_1)
	v_add3_u32 v58, v58, v62, v61
	v_lshlrev_b64 v[57:58], 3, v[57:58]
	s_cbranch_vccnz .LBB805_846
; %bb.838:
	v_add_co_u32 v61, vcc_lo, s10, v59
	v_add_co_ci_u32_e32 v62, vcc_lo, s11, v60, vcc_lo
	s_delay_alu instid0(VALU_DEP_3) | instskip(NEXT) | instid1(VALU_DEP_4)
	v_add_co_u32 v59, vcc_lo, s10, v57
	v_add_co_ci_u32_e32 v60, vcc_lo, s11, v58, vcc_lo
	v_mov_b32_e32 v151, 1
	s_clause 0x1
	global_load_b64 v[63:64], v[61:62], off
	global_load_b64 v[66:67], v[59:60], off
	v_mov_b32_e32 v152, 0
	s_mov_b32 s3, exec_lo
	s_waitcnt vmcnt(0)
	v_cmpx_eq_f64_e32 v[63:64], v[66:67]
	s_cbranch_execz .LBB805_845
; %bb.839:
	v_add_co_u32 v59, vcc_lo, v59, 8
	v_add_co_ci_u32_e32 v60, vcc_lo, 0, v60, vcc_lo
	v_add_co_u32 v61, vcc_lo, v61, 8
	v_add_co_ci_u32_e32 v62, vcc_lo, 0, v62, vcc_lo
	s_add_u32 s12, s8, -1
	s_addc_u32 s13, s9, -1
	s_mov_b64 s[14:15], 0
	s_mov_b32 s18, 0
                                        ; implicit-def: $sgpr19
	s_set_inst_prefetch_distance 0x1
	s_branch .LBB805_842
	.p2align	6
.LBB805_840:                            ;   in Loop: Header=BB805_842 Depth=1
	global_load_b64 v[63:64], v[61:62], off
	global_load_b64 v[66:67], v[59:60], off
	v_add_co_u32 v59, s0, v59, 8
	s_delay_alu instid0(VALU_DEP_1) | instskip(SKIP_1) | instid1(VALU_DEP_1)
	v_add_co_ci_u32_e64 v60, s0, 0, v60, s0
	v_add_co_u32 v61, s0, v61, 8
	v_add_co_ci_u32_e64 v62, s0, 0, v62, s0
	s_add_u32 s14, s14, 1
	s_addc_u32 s15, s15, 0
	s_and_not1_b32 s0, s19, exec_lo
	s_waitcnt vmcnt(0)
	v_cmp_neq_f64_e32 vcc_lo, v[63:64], v[66:67]
	s_and_b32 s19, vcc_lo, exec_lo
	s_delay_alu instid0(SALU_CYCLE_1)
	s_or_b32 s19, s0, s19
.LBB805_841:                            ;   in Loop: Header=BB805_842 Depth=1
	v_dual_mov_b32 v64, s15 :: v_dual_mov_b32 v63, s14
	s_and_b32 s0, exec_lo, s19
	s_delay_alu instid0(SALU_CYCLE_1) | instskip(NEXT) | instid1(SALU_CYCLE_1)
	s_or_b32 s18, s0, s18
	s_and_not1_b32 exec_lo, exec_lo, s18
	s_cbranch_execz .LBB805_844
.LBB805_842:                            ; =>This Inner Loop Header: Depth=1
	s_or_b32 s19, s19, exec_lo
	s_cmp_eq_u64 s[12:13], s[14:15]
	s_cbranch_scc0 .LBB805_840
; %bb.843:                              ;   in Loop: Header=BB805_842 Depth=1
	s_mov_b64 s[14:15], s[8:9]
                                        ; implicit-def: $vgpr59_vgpr60
                                        ; implicit-def: $vgpr61_vgpr62
	s_branch .LBB805_841
.LBB805_844:
	s_set_inst_prefetch_distance 0x2
	s_or_b32 exec_lo, exec_lo, s18
	v_cmp_gt_i64_e32 vcc_lo, s[8:9], v[63:64]
	s_mov_b32 s0, 0
	s_delay_alu instid0(SALU_CYCLE_1)
	v_mov_b32_e32 v152, s0
	v_cndmask_b32_e64 v151, 0, 1, vcc_lo
.LBB805_845:
	s_or_b32 exec_lo, exec_lo, s3
.LBB805_846:
	v_mul_lo_u32 v61, v22, s8
	v_mul_lo_u32 v62, v21, s9
	v_mad_u64_u32 v[59:60], null, v21, s8, 0
	v_mov_b32_e32 v155, 0
	v_mov_b32_e32 v156, 0
	v_cmp_ne_u32_e32 vcc_lo, 1, v65
	s_delay_alu instid0(VALU_DEP_2) | instskip(SKIP_1) | instid1(VALU_DEP_1)
	v_dual_mov_b32 v153, v155 :: v_dual_mov_b32 v154, v156
	v_add3_u32 v60, v60, v62, v61
	v_lshlrev_b64 v[59:60], 3, v[59:60]
	s_cbranch_vccnz .LBB805_855
; %bb.847:
	v_add_co_u32 v61, vcc_lo, s10, v57
	v_add_co_ci_u32_e32 v62, vcc_lo, s11, v58, vcc_lo
	s_delay_alu instid0(VALU_DEP_3) | instskip(NEXT) | instid1(VALU_DEP_4)
	v_add_co_u32 v57, vcc_lo, s10, v59
	v_add_co_ci_u32_e32 v58, vcc_lo, s11, v60, vcc_lo
	v_mov_b32_e32 v153, 1
	s_clause 0x1
	global_load_b64 v[63:64], v[61:62], off
	global_load_b64 v[66:67], v[57:58], off
	v_mov_b32_e32 v154, 0
	s_mov_b32 s3, exec_lo
	s_waitcnt vmcnt(0)
	v_cmpx_eq_f64_e32 v[63:64], v[66:67]
	s_cbranch_execz .LBB805_854
; %bb.848:
	v_add_co_u32 v57, vcc_lo, v57, 8
	v_add_co_ci_u32_e32 v58, vcc_lo, 0, v58, vcc_lo
	v_add_co_u32 v61, vcc_lo, v61, 8
	v_add_co_ci_u32_e32 v62, vcc_lo, 0, v62, vcc_lo
	s_add_u32 s12, s8, -1
	s_addc_u32 s13, s9, -1
	s_mov_b64 s[14:15], 0
	s_mov_b32 s18, 0
                                        ; implicit-def: $sgpr19
	s_set_inst_prefetch_distance 0x1
	s_branch .LBB805_851
	.p2align	6
.LBB805_849:                            ;   in Loop: Header=BB805_851 Depth=1
	global_load_b64 v[63:64], v[61:62], off
	global_load_b64 v[66:67], v[57:58], off
	v_add_co_u32 v57, s0, v57, 8
	s_delay_alu instid0(VALU_DEP_1) | instskip(SKIP_1) | instid1(VALU_DEP_1)
	v_add_co_ci_u32_e64 v58, s0, 0, v58, s0
	v_add_co_u32 v61, s0, v61, 8
	v_add_co_ci_u32_e64 v62, s0, 0, v62, s0
	s_add_u32 s14, s14, 1
	s_addc_u32 s15, s15, 0
	s_and_not1_b32 s0, s19, exec_lo
	s_waitcnt vmcnt(0)
	v_cmp_neq_f64_e32 vcc_lo, v[63:64], v[66:67]
	s_and_b32 s19, vcc_lo, exec_lo
	s_delay_alu instid0(SALU_CYCLE_1)
	s_or_b32 s19, s0, s19
.LBB805_850:                            ;   in Loop: Header=BB805_851 Depth=1
	v_dual_mov_b32 v64, s15 :: v_dual_mov_b32 v63, s14
	s_and_b32 s0, exec_lo, s19
	s_delay_alu instid0(SALU_CYCLE_1) | instskip(NEXT) | instid1(SALU_CYCLE_1)
	s_or_b32 s18, s0, s18
	s_and_not1_b32 exec_lo, exec_lo, s18
	s_cbranch_execz .LBB805_853
.LBB805_851:                            ; =>This Inner Loop Header: Depth=1
	s_or_b32 s19, s19, exec_lo
	s_cmp_eq_u64 s[12:13], s[14:15]
	s_cbranch_scc0 .LBB805_849
; %bb.852:                              ;   in Loop: Header=BB805_851 Depth=1
	s_mov_b64 s[14:15], s[8:9]
                                        ; implicit-def: $vgpr57_vgpr58
                                        ; implicit-def: $vgpr61_vgpr62
	s_branch .LBB805_850
.LBB805_853:
	s_set_inst_prefetch_distance 0x2
	s_or_b32 exec_lo, exec_lo, s18
	v_cmp_gt_i64_e32 vcc_lo, s[8:9], v[63:64]
	s_mov_b32 s0, 0
	s_delay_alu instid0(SALU_CYCLE_1)
	v_mov_b32_e32 v154, s0
	v_cndmask_b32_e64 v153, 0, 1, vcc_lo
.LBB805_854:
	s_or_b32 exec_lo, exec_lo, s3
.LBB805_855:
	v_mul_lo_u32 v61, v20, s8
	v_mul_lo_u32 v62, v19, s9
	v_mad_u64_u32 v[57:58], null, v19, s8, 0
	v_cmp_ne_u32_e32 vcc_lo, 1, v65
	s_delay_alu instid0(VALU_DEP_2) | instskip(NEXT) | instid1(VALU_DEP_1)
	v_add3_u32 v58, v58, v62, v61
	v_lshlrev_b64 v[57:58], 3, v[57:58]
	s_cbranch_vccnz .LBB805_864
; %bb.856:
	v_add_co_u32 v61, vcc_lo, s10, v59
	v_add_co_ci_u32_e32 v62, vcc_lo, s11, v60, vcc_lo
	s_delay_alu instid0(VALU_DEP_3) | instskip(NEXT) | instid1(VALU_DEP_4)
	v_add_co_u32 v59, vcc_lo, s10, v57
	v_add_co_ci_u32_e32 v60, vcc_lo, s11, v58, vcc_lo
	v_mov_b32_e32 v155, 1
	s_clause 0x1
	global_load_b64 v[63:64], v[61:62], off
	global_load_b64 v[66:67], v[59:60], off
	v_mov_b32_e32 v156, 0
	s_mov_b32 s3, exec_lo
	s_waitcnt vmcnt(0)
	v_cmpx_eq_f64_e32 v[63:64], v[66:67]
	s_cbranch_execz .LBB805_863
; %bb.857:
	v_add_co_u32 v59, vcc_lo, v59, 8
	v_add_co_ci_u32_e32 v60, vcc_lo, 0, v60, vcc_lo
	v_add_co_u32 v61, vcc_lo, v61, 8
	v_add_co_ci_u32_e32 v62, vcc_lo, 0, v62, vcc_lo
	s_add_u32 s12, s8, -1
	s_addc_u32 s13, s9, -1
	s_mov_b64 s[14:15], 0
	s_mov_b32 s18, 0
                                        ; implicit-def: $sgpr19
	s_set_inst_prefetch_distance 0x1
	s_branch .LBB805_860
	.p2align	6
.LBB805_858:                            ;   in Loop: Header=BB805_860 Depth=1
	global_load_b64 v[63:64], v[61:62], off
	global_load_b64 v[66:67], v[59:60], off
	v_add_co_u32 v59, s0, v59, 8
	s_delay_alu instid0(VALU_DEP_1) | instskip(SKIP_1) | instid1(VALU_DEP_1)
	v_add_co_ci_u32_e64 v60, s0, 0, v60, s0
	v_add_co_u32 v61, s0, v61, 8
	v_add_co_ci_u32_e64 v62, s0, 0, v62, s0
	s_add_u32 s14, s14, 1
	s_addc_u32 s15, s15, 0
	s_and_not1_b32 s0, s19, exec_lo
	s_waitcnt vmcnt(0)
	v_cmp_neq_f64_e32 vcc_lo, v[63:64], v[66:67]
	s_and_b32 s19, vcc_lo, exec_lo
	s_delay_alu instid0(SALU_CYCLE_1)
	s_or_b32 s19, s0, s19
.LBB805_859:                            ;   in Loop: Header=BB805_860 Depth=1
	v_dual_mov_b32 v64, s15 :: v_dual_mov_b32 v63, s14
	s_and_b32 s0, exec_lo, s19
	s_delay_alu instid0(SALU_CYCLE_1) | instskip(NEXT) | instid1(SALU_CYCLE_1)
	s_or_b32 s18, s0, s18
	s_and_not1_b32 exec_lo, exec_lo, s18
	s_cbranch_execz .LBB805_862
.LBB805_860:                            ; =>This Inner Loop Header: Depth=1
	s_or_b32 s19, s19, exec_lo
	s_cmp_eq_u64 s[12:13], s[14:15]
	s_cbranch_scc0 .LBB805_858
; %bb.861:                              ;   in Loop: Header=BB805_860 Depth=1
	s_mov_b64 s[14:15], s[8:9]
                                        ; implicit-def: $vgpr59_vgpr60
                                        ; implicit-def: $vgpr61_vgpr62
	s_branch .LBB805_859
.LBB805_862:
	s_set_inst_prefetch_distance 0x2
	s_or_b32 exec_lo, exec_lo, s18
	v_cmp_gt_i64_e32 vcc_lo, s[8:9], v[63:64]
	s_mov_b32 s0, 0
	s_delay_alu instid0(SALU_CYCLE_1)
	v_mov_b32_e32 v156, s0
	v_cndmask_b32_e64 v155, 0, 1, vcc_lo
.LBB805_863:
	s_or_b32 exec_lo, exec_lo, s3
.LBB805_864:
	v_mul_lo_u32 v61, v18, s8
	v_mul_lo_u32 v62, v17, s9
	v_mad_u64_u32 v[59:60], null, v17, s8, 0
	v_mov_b32_e32 v159, 0
	v_mov_b32_e32 v160, 0
	v_cmp_ne_u32_e32 vcc_lo, 1, v65
	s_delay_alu instid0(VALU_DEP_2) | instskip(SKIP_1) | instid1(VALU_DEP_1)
	v_dual_mov_b32 v157, v159 :: v_dual_mov_b32 v158, v160
	v_add3_u32 v60, v60, v62, v61
	v_lshlrev_b64 v[59:60], 3, v[59:60]
	s_cbranch_vccnz .LBB805_873
; %bb.865:
	v_add_co_u32 v61, vcc_lo, s10, v57
	v_add_co_ci_u32_e32 v62, vcc_lo, s11, v58, vcc_lo
	s_delay_alu instid0(VALU_DEP_3) | instskip(NEXT) | instid1(VALU_DEP_4)
	v_add_co_u32 v57, vcc_lo, s10, v59
	v_add_co_ci_u32_e32 v58, vcc_lo, s11, v60, vcc_lo
	v_mov_b32_e32 v157, 1
	s_clause 0x1
	global_load_b64 v[63:64], v[61:62], off
	global_load_b64 v[66:67], v[57:58], off
	v_mov_b32_e32 v158, 0
	s_mov_b32 s3, exec_lo
	s_waitcnt vmcnt(0)
	v_cmpx_eq_f64_e32 v[63:64], v[66:67]
	s_cbranch_execz .LBB805_872
; %bb.866:
	v_add_co_u32 v57, vcc_lo, v57, 8
	v_add_co_ci_u32_e32 v58, vcc_lo, 0, v58, vcc_lo
	v_add_co_u32 v61, vcc_lo, v61, 8
	v_add_co_ci_u32_e32 v62, vcc_lo, 0, v62, vcc_lo
	s_add_u32 s12, s8, -1
	s_addc_u32 s13, s9, -1
	s_mov_b64 s[14:15], 0
	s_mov_b32 s18, 0
                                        ; implicit-def: $sgpr19
	s_set_inst_prefetch_distance 0x1
	s_branch .LBB805_869
	.p2align	6
.LBB805_867:                            ;   in Loop: Header=BB805_869 Depth=1
	global_load_b64 v[63:64], v[61:62], off
	global_load_b64 v[66:67], v[57:58], off
	v_add_co_u32 v57, s0, v57, 8
	s_delay_alu instid0(VALU_DEP_1) | instskip(SKIP_1) | instid1(VALU_DEP_1)
	v_add_co_ci_u32_e64 v58, s0, 0, v58, s0
	v_add_co_u32 v61, s0, v61, 8
	v_add_co_ci_u32_e64 v62, s0, 0, v62, s0
	s_add_u32 s14, s14, 1
	s_addc_u32 s15, s15, 0
	s_and_not1_b32 s0, s19, exec_lo
	s_waitcnt vmcnt(0)
	v_cmp_neq_f64_e32 vcc_lo, v[63:64], v[66:67]
	s_and_b32 s19, vcc_lo, exec_lo
	s_delay_alu instid0(SALU_CYCLE_1)
	s_or_b32 s19, s0, s19
.LBB805_868:                            ;   in Loop: Header=BB805_869 Depth=1
	v_dual_mov_b32 v64, s15 :: v_dual_mov_b32 v63, s14
	s_and_b32 s0, exec_lo, s19
	s_delay_alu instid0(SALU_CYCLE_1) | instskip(NEXT) | instid1(SALU_CYCLE_1)
	s_or_b32 s18, s0, s18
	s_and_not1_b32 exec_lo, exec_lo, s18
	s_cbranch_execz .LBB805_871
.LBB805_869:                            ; =>This Inner Loop Header: Depth=1
	s_or_b32 s19, s19, exec_lo
	s_cmp_eq_u64 s[12:13], s[14:15]
	s_cbranch_scc0 .LBB805_867
; %bb.870:                              ;   in Loop: Header=BB805_869 Depth=1
	s_mov_b64 s[14:15], s[8:9]
                                        ; implicit-def: $vgpr57_vgpr58
                                        ; implicit-def: $vgpr61_vgpr62
	s_branch .LBB805_868
.LBB805_871:
	s_set_inst_prefetch_distance 0x2
	s_or_b32 exec_lo, exec_lo, s18
	v_cmp_gt_i64_e32 vcc_lo, s[8:9], v[63:64]
	s_mov_b32 s0, 0
	s_delay_alu instid0(SALU_CYCLE_1)
	v_mov_b32_e32 v158, s0
	v_cndmask_b32_e64 v157, 0, 1, vcc_lo
.LBB805_872:
	s_or_b32 exec_lo, exec_lo, s3
.LBB805_873:
	v_mul_lo_u32 v61, v16, s8
	v_mul_lo_u32 v62, v15, s9
	v_mad_u64_u32 v[57:58], null, v15, s8, 0
	v_cmp_ne_u32_e32 vcc_lo, 1, v65
	s_delay_alu instid0(VALU_DEP_2) | instskip(NEXT) | instid1(VALU_DEP_1)
	v_add3_u32 v58, v58, v62, v61
	v_lshlrev_b64 v[57:58], 3, v[57:58]
	s_cbranch_vccnz .LBB805_882
; %bb.874:
	v_add_co_u32 v61, vcc_lo, s10, v59
	v_add_co_ci_u32_e32 v62, vcc_lo, s11, v60, vcc_lo
	s_delay_alu instid0(VALU_DEP_3) | instskip(NEXT) | instid1(VALU_DEP_4)
	v_add_co_u32 v59, vcc_lo, s10, v57
	v_add_co_ci_u32_e32 v60, vcc_lo, s11, v58, vcc_lo
	v_mov_b32_e32 v159, 1
	s_clause 0x1
	global_load_b64 v[63:64], v[61:62], off
	global_load_b64 v[66:67], v[59:60], off
	v_mov_b32_e32 v160, 0
	s_mov_b32 s3, exec_lo
	s_waitcnt vmcnt(0)
	v_cmpx_eq_f64_e32 v[63:64], v[66:67]
	s_cbranch_execz .LBB805_881
; %bb.875:
	v_add_co_u32 v59, vcc_lo, v59, 8
	v_add_co_ci_u32_e32 v60, vcc_lo, 0, v60, vcc_lo
	v_add_co_u32 v61, vcc_lo, v61, 8
	v_add_co_ci_u32_e32 v62, vcc_lo, 0, v62, vcc_lo
	s_add_u32 s12, s8, -1
	s_addc_u32 s13, s9, -1
	s_mov_b64 s[14:15], 0
	s_mov_b32 s18, 0
                                        ; implicit-def: $sgpr19
	s_set_inst_prefetch_distance 0x1
	s_branch .LBB805_878
	.p2align	6
.LBB805_876:                            ;   in Loop: Header=BB805_878 Depth=1
	global_load_b64 v[63:64], v[61:62], off
	global_load_b64 v[66:67], v[59:60], off
	v_add_co_u32 v59, s0, v59, 8
	s_delay_alu instid0(VALU_DEP_1) | instskip(SKIP_1) | instid1(VALU_DEP_1)
	v_add_co_ci_u32_e64 v60, s0, 0, v60, s0
	v_add_co_u32 v61, s0, v61, 8
	v_add_co_ci_u32_e64 v62, s0, 0, v62, s0
	s_add_u32 s14, s14, 1
	s_addc_u32 s15, s15, 0
	s_and_not1_b32 s0, s19, exec_lo
	s_waitcnt vmcnt(0)
	v_cmp_neq_f64_e32 vcc_lo, v[63:64], v[66:67]
	s_and_b32 s19, vcc_lo, exec_lo
	s_delay_alu instid0(SALU_CYCLE_1)
	s_or_b32 s19, s0, s19
.LBB805_877:                            ;   in Loop: Header=BB805_878 Depth=1
	v_dual_mov_b32 v64, s15 :: v_dual_mov_b32 v63, s14
	s_and_b32 s0, exec_lo, s19
	s_delay_alu instid0(SALU_CYCLE_1) | instskip(NEXT) | instid1(SALU_CYCLE_1)
	s_or_b32 s18, s0, s18
	s_and_not1_b32 exec_lo, exec_lo, s18
	s_cbranch_execz .LBB805_880
.LBB805_878:                            ; =>This Inner Loop Header: Depth=1
	s_or_b32 s19, s19, exec_lo
	s_cmp_eq_u64 s[12:13], s[14:15]
	s_cbranch_scc0 .LBB805_876
; %bb.879:                              ;   in Loop: Header=BB805_878 Depth=1
	s_mov_b64 s[14:15], s[8:9]
                                        ; implicit-def: $vgpr59_vgpr60
                                        ; implicit-def: $vgpr61_vgpr62
	s_branch .LBB805_877
.LBB805_880:
	s_set_inst_prefetch_distance 0x2
	s_or_b32 exec_lo, exec_lo, s18
	v_cmp_gt_i64_e32 vcc_lo, s[8:9], v[63:64]
	s_mov_b32 s0, 0
	s_delay_alu instid0(SALU_CYCLE_1)
	v_mov_b32_e32 v160, s0
	v_cndmask_b32_e64 v159, 0, 1, vcc_lo
.LBB805_881:
	s_or_b32 exec_lo, exec_lo, s3
.LBB805_882:
	v_mul_lo_u32 v61, v14, s8
	v_mul_lo_u32 v62, v13, s9
	v_mad_u64_u32 v[59:60], null, v13, s8, 0
	v_mov_b32_e32 v163, 0
	v_mov_b32_e32 v164, 0
	v_cmp_ne_u32_e32 vcc_lo, 1, v65
	s_delay_alu instid0(VALU_DEP_2) | instskip(SKIP_1) | instid1(VALU_DEP_1)
	v_dual_mov_b32 v161, v163 :: v_dual_mov_b32 v162, v164
	v_add3_u32 v60, v60, v62, v61
	v_lshlrev_b64 v[59:60], 3, v[59:60]
	s_cbranch_vccnz .LBB805_891
; %bb.883:
	v_add_co_u32 v61, vcc_lo, s10, v57
	v_add_co_ci_u32_e32 v62, vcc_lo, s11, v58, vcc_lo
	s_delay_alu instid0(VALU_DEP_3) | instskip(NEXT) | instid1(VALU_DEP_4)
	v_add_co_u32 v57, vcc_lo, s10, v59
	v_add_co_ci_u32_e32 v58, vcc_lo, s11, v60, vcc_lo
	v_mov_b32_e32 v161, 1
	s_clause 0x1
	global_load_b64 v[63:64], v[61:62], off
	global_load_b64 v[66:67], v[57:58], off
	v_mov_b32_e32 v162, 0
	s_mov_b32 s3, exec_lo
	s_waitcnt vmcnt(0)
	v_cmpx_eq_f64_e32 v[63:64], v[66:67]
	s_cbranch_execz .LBB805_890
; %bb.884:
	v_add_co_u32 v57, vcc_lo, v57, 8
	v_add_co_ci_u32_e32 v58, vcc_lo, 0, v58, vcc_lo
	v_add_co_u32 v61, vcc_lo, v61, 8
	v_add_co_ci_u32_e32 v62, vcc_lo, 0, v62, vcc_lo
	s_add_u32 s12, s8, -1
	s_addc_u32 s13, s9, -1
	s_mov_b64 s[14:15], 0
	s_mov_b32 s18, 0
                                        ; implicit-def: $sgpr19
	s_set_inst_prefetch_distance 0x1
	s_branch .LBB805_887
	.p2align	6
.LBB805_885:                            ;   in Loop: Header=BB805_887 Depth=1
	global_load_b64 v[63:64], v[61:62], off
	global_load_b64 v[66:67], v[57:58], off
	v_add_co_u32 v57, s0, v57, 8
	s_delay_alu instid0(VALU_DEP_1) | instskip(SKIP_1) | instid1(VALU_DEP_1)
	v_add_co_ci_u32_e64 v58, s0, 0, v58, s0
	v_add_co_u32 v61, s0, v61, 8
	v_add_co_ci_u32_e64 v62, s0, 0, v62, s0
	s_add_u32 s14, s14, 1
	s_addc_u32 s15, s15, 0
	s_and_not1_b32 s0, s19, exec_lo
	s_waitcnt vmcnt(0)
	v_cmp_neq_f64_e32 vcc_lo, v[63:64], v[66:67]
	s_and_b32 s19, vcc_lo, exec_lo
	s_delay_alu instid0(SALU_CYCLE_1)
	s_or_b32 s19, s0, s19
.LBB805_886:                            ;   in Loop: Header=BB805_887 Depth=1
	v_dual_mov_b32 v64, s15 :: v_dual_mov_b32 v63, s14
	s_and_b32 s0, exec_lo, s19
	s_delay_alu instid0(SALU_CYCLE_1) | instskip(NEXT) | instid1(SALU_CYCLE_1)
	s_or_b32 s18, s0, s18
	s_and_not1_b32 exec_lo, exec_lo, s18
	s_cbranch_execz .LBB805_889
.LBB805_887:                            ; =>This Inner Loop Header: Depth=1
	s_or_b32 s19, s19, exec_lo
	s_cmp_eq_u64 s[12:13], s[14:15]
	s_cbranch_scc0 .LBB805_885
; %bb.888:                              ;   in Loop: Header=BB805_887 Depth=1
	s_mov_b64 s[14:15], s[8:9]
                                        ; implicit-def: $vgpr57_vgpr58
                                        ; implicit-def: $vgpr61_vgpr62
	s_branch .LBB805_886
.LBB805_889:
	s_set_inst_prefetch_distance 0x2
	s_or_b32 exec_lo, exec_lo, s18
	v_cmp_gt_i64_e32 vcc_lo, s[8:9], v[63:64]
	s_mov_b32 s0, 0
	s_delay_alu instid0(SALU_CYCLE_1)
	v_mov_b32_e32 v162, s0
	v_cndmask_b32_e64 v161, 0, 1, vcc_lo
.LBB805_890:
	s_or_b32 exec_lo, exec_lo, s3
.LBB805_891:
	v_mul_lo_u32 v61, v4, s8
	v_mul_lo_u32 v62, v3, s9
	v_mad_u64_u32 v[57:58], null, v3, s8, 0
	v_cmp_ne_u32_e32 vcc_lo, 1, v65
	s_delay_alu instid0(VALU_DEP_2) | instskip(NEXT) | instid1(VALU_DEP_1)
	v_add3_u32 v58, v58, v62, v61
	v_lshlrev_b64 v[57:58], 3, v[57:58]
	s_cbranch_vccnz .LBB805_900
; %bb.892:
	v_add_co_u32 v61, vcc_lo, s10, v59
	v_add_co_ci_u32_e32 v62, vcc_lo, s11, v60, vcc_lo
	s_delay_alu instid0(VALU_DEP_3) | instskip(NEXT) | instid1(VALU_DEP_4)
	v_add_co_u32 v59, vcc_lo, s10, v57
	v_add_co_ci_u32_e32 v60, vcc_lo, s11, v58, vcc_lo
	v_mov_b32_e32 v163, 1
	s_clause 0x1
	global_load_b64 v[63:64], v[61:62], off
	global_load_b64 v[66:67], v[59:60], off
	v_mov_b32_e32 v164, 0
	s_mov_b32 s3, exec_lo
	s_waitcnt vmcnt(0)
	v_cmpx_eq_f64_e32 v[63:64], v[66:67]
	s_cbranch_execz .LBB805_899
; %bb.893:
	v_add_co_u32 v59, vcc_lo, v59, 8
	v_add_co_ci_u32_e32 v60, vcc_lo, 0, v60, vcc_lo
	v_add_co_u32 v61, vcc_lo, v61, 8
	v_add_co_ci_u32_e32 v62, vcc_lo, 0, v62, vcc_lo
	s_add_u32 s12, s8, -1
	s_addc_u32 s13, s9, -1
	s_mov_b64 s[14:15], 0
	s_mov_b32 s18, 0
                                        ; implicit-def: $sgpr19
	s_set_inst_prefetch_distance 0x1
	s_branch .LBB805_896
	.p2align	6
.LBB805_894:                            ;   in Loop: Header=BB805_896 Depth=1
	global_load_b64 v[63:64], v[61:62], off
	global_load_b64 v[66:67], v[59:60], off
	v_add_co_u32 v59, s0, v59, 8
	s_delay_alu instid0(VALU_DEP_1) | instskip(SKIP_1) | instid1(VALU_DEP_1)
	v_add_co_ci_u32_e64 v60, s0, 0, v60, s0
	v_add_co_u32 v61, s0, v61, 8
	v_add_co_ci_u32_e64 v62, s0, 0, v62, s0
	s_add_u32 s14, s14, 1
	s_addc_u32 s15, s15, 0
	s_and_not1_b32 s0, s19, exec_lo
	s_waitcnt vmcnt(0)
	v_cmp_neq_f64_e32 vcc_lo, v[63:64], v[66:67]
	s_and_b32 s19, vcc_lo, exec_lo
	s_delay_alu instid0(SALU_CYCLE_1)
	s_or_b32 s19, s0, s19
.LBB805_895:                            ;   in Loop: Header=BB805_896 Depth=1
	v_dual_mov_b32 v64, s15 :: v_dual_mov_b32 v63, s14
	s_and_b32 s0, exec_lo, s19
	s_delay_alu instid0(SALU_CYCLE_1) | instskip(NEXT) | instid1(SALU_CYCLE_1)
	s_or_b32 s18, s0, s18
	s_and_not1_b32 exec_lo, exec_lo, s18
	s_cbranch_execz .LBB805_898
.LBB805_896:                            ; =>This Inner Loop Header: Depth=1
	s_or_b32 s19, s19, exec_lo
	s_cmp_eq_u64 s[12:13], s[14:15]
	s_cbranch_scc0 .LBB805_894
; %bb.897:                              ;   in Loop: Header=BB805_896 Depth=1
	s_mov_b64 s[14:15], s[8:9]
                                        ; implicit-def: $vgpr59_vgpr60
                                        ; implicit-def: $vgpr61_vgpr62
	s_branch .LBB805_895
.LBB805_898:
	s_set_inst_prefetch_distance 0x2
	s_or_b32 exec_lo, exec_lo, s18
	v_cmp_gt_i64_e32 vcc_lo, s[8:9], v[63:64]
	s_mov_b32 s0, 0
	s_delay_alu instid0(SALU_CYCLE_1)
	v_mov_b32_e32 v164, s0
	v_cndmask_b32_e64 v163, 0, 1, vcc_lo
.LBB805_899:
	s_or_b32 exec_lo, exec_lo, s3
.LBB805_900:
	v_cmp_ne_u32_e32 vcc_lo, 1, v65
	s_cbranch_vccnz .LBB805_907
; %bb.901:
	v_mul_lo_u32 v61, v2, s8
	v_mul_lo_u32 v62, v1, s9
	v_mad_u64_u32 v[59:60], null, v1, s8, 0
	v_mov_b32_e32 v165, 1
	v_mov_b32_e32 v166, 0
	s_mov_b32 s3, exec_lo
	s_delay_alu instid0(VALU_DEP_3) | instskip(NEXT) | instid1(VALU_DEP_1)
	v_add3_u32 v60, v60, v62, v61
	v_lshlrev_b64 v[61:62], 3, v[59:60]
	v_add_co_u32 v59, vcc_lo, s10, v57
	v_add_co_ci_u32_e32 v60, vcc_lo, s11, v58, vcc_lo
	s_delay_alu instid0(VALU_DEP_3) | instskip(NEXT) | instid1(VALU_DEP_4)
	v_add_co_u32 v57, vcc_lo, s10, v61
	v_add_co_ci_u32_e32 v58, vcc_lo, s11, v62, vcc_lo
	s_clause 0x1
	global_load_b64 v[61:62], v[59:60], off
	global_load_b64 v[63:64], v[57:58], off
	s_waitcnt vmcnt(0)
	v_cmpx_eq_f64_e32 v[61:62], v[63:64]
	s_cbranch_execz .LBB805_909
; %bb.902:
	v_add_co_u32 v57, vcc_lo, v57, 8
	v_add_co_ci_u32_e32 v58, vcc_lo, 0, v58, vcc_lo
	v_add_co_u32 v59, vcc_lo, v59, 8
	v_add_co_ci_u32_e32 v60, vcc_lo, 0, v60, vcc_lo
	s_add_u32 s12, s8, -1
	s_addc_u32 s13, s9, -1
	s_mov_b64 s[14:15], 0
	s_mov_b32 s18, 0
                                        ; implicit-def: $sgpr19
	s_set_inst_prefetch_distance 0x1
	s_branch .LBB805_905
	.p2align	6
.LBB805_903:                            ;   in Loop: Header=BB805_905 Depth=1
	global_load_b64 v[61:62], v[59:60], off
	global_load_b64 v[63:64], v[57:58], off
	v_add_co_u32 v57, s0, v57, 8
	s_delay_alu instid0(VALU_DEP_1) | instskip(SKIP_1) | instid1(VALU_DEP_1)
	v_add_co_ci_u32_e64 v58, s0, 0, v58, s0
	v_add_co_u32 v59, s0, v59, 8
	v_add_co_ci_u32_e64 v60, s0, 0, v60, s0
	s_add_u32 s14, s14, 1
	s_addc_u32 s15, s15, 0
	s_and_not1_b32 s0, s19, exec_lo
	s_waitcnt vmcnt(0)
	v_cmp_neq_f64_e32 vcc_lo, v[61:62], v[63:64]
	s_and_b32 s19, vcc_lo, exec_lo
	s_delay_alu instid0(SALU_CYCLE_1)
	s_or_b32 s19, s0, s19
.LBB805_904:                            ;   in Loop: Header=BB805_905 Depth=1
	v_dual_mov_b32 v62, s15 :: v_dual_mov_b32 v61, s14
	s_and_b32 s0, exec_lo, s19
	s_delay_alu instid0(SALU_CYCLE_1) | instskip(NEXT) | instid1(SALU_CYCLE_1)
	s_or_b32 s18, s0, s18
	s_and_not1_b32 exec_lo, exec_lo, s18
	s_cbranch_execz .LBB805_908
.LBB805_905:                            ; =>This Inner Loop Header: Depth=1
	s_or_b32 s19, s19, exec_lo
	s_cmp_eq_u64 s[12:13], s[14:15]
	s_cbranch_scc0 .LBB805_903
; %bb.906:                              ;   in Loop: Header=BB805_905 Depth=1
	s_mov_b64 s[14:15], s[8:9]
                                        ; implicit-def: $vgpr57_vgpr58
                                        ; implicit-def: $vgpr59_vgpr60
	s_branch .LBB805_904
.LBB805_907:
	v_mov_b32_e32 v165, 0
	v_mov_b32_e32 v166, 0
	s_branch .LBB805_910
.LBB805_908:
	s_set_inst_prefetch_distance 0x2
	s_or_b32 exec_lo, exec_lo, s18
	v_cmp_gt_i64_e32 vcc_lo, s[8:9], v[61:62]
	s_mov_b32 s0, 0
	s_delay_alu instid0(SALU_CYCLE_1)
	v_mov_b32_e32 v166, s0
	v_cndmask_b32_e64 v165, 0, 1, vcc_lo
.LBB805_909:
	s_or_b32 exec_lo, exec_lo, s3
.LBB805_910:
	s_mov_b32 s3, 0
	s_mov_b32 s18, exec_lo
	s_waitcnt lgkmcnt(0)
	s_barrier
	buffer_gl0_inv
                                        ; implicit-def: $sgpr0
	v_cmpx_ne_u32_e32 0, v0
	s_cbranch_execz .LBB805_922
; %bb.911:
	v_cmp_ne_u32_e32 vcc_lo, 1, v65
	s_cbranch_vccnz .LBB805_918
; %bb.912:
	v_add_nc_u32_e32 v57, -8, v195
	v_mul_lo_u32 v63, v2, s8
	v_mul_lo_u32 v64, v1, s9
	v_mad_u64_u32 v[59:60], null, v1, s8, 0
	ds_load_b64 v[57:58], v57
	s_mov_b32 s0, -1
	s_mov_b32 s19, exec_lo
	v_add3_u32 v60, v60, v64, v63
	s_waitcnt lgkmcnt(0)
	v_mul_lo_u32 v58, v58, s8
	v_mul_lo_u32 v65, v57, s9
	v_mad_u64_u32 v[61:62], null, v57, s8, 0
	s_delay_alu instid0(VALU_DEP_1) | instskip(SKIP_1) | instid1(VALU_DEP_2)
	v_add3_u32 v62, v62, v65, v58
	v_lshlrev_b64 v[57:58], 3, v[59:60]
	v_lshlrev_b64 v[61:62], 3, v[61:62]
	s_delay_alu instid0(VALU_DEP_2) | instskip(NEXT) | instid1(VALU_DEP_3)
	v_add_co_u32 v59, vcc_lo, s10, v57
	v_add_co_ci_u32_e32 v60, vcc_lo, s11, v58, vcc_lo
	s_delay_alu instid0(VALU_DEP_3) | instskip(NEXT) | instid1(VALU_DEP_4)
	v_add_co_u32 v57, vcc_lo, s10, v61
	v_add_co_ci_u32_e32 v58, vcc_lo, s11, v62, vcc_lo
	s_clause 0x1
	global_load_b64 v[61:62], v[59:60], off
	global_load_b64 v[63:64], v[57:58], off
	s_waitcnt vmcnt(0)
	v_cmpx_eq_f64_e32 v[61:62], v[63:64]
	s_cbranch_execz .LBB805_920
; %bb.913:
	v_add_co_u32 v57, vcc_lo, v57, 8
	v_add_co_ci_u32_e32 v58, vcc_lo, 0, v58, vcc_lo
	v_add_co_u32 v59, vcc_lo, v59, 8
	v_add_co_ci_u32_e32 v60, vcc_lo, 0, v60, vcc_lo
	s_add_u32 s12, s8, -1
	s_addc_u32 s13, s9, -1
	s_mov_b64 s[14:15], 0
	s_mov_b32 s20, 0
                                        ; implicit-def: $sgpr21
	s_set_inst_prefetch_distance 0x1
	s_branch .LBB805_916
	.p2align	6
.LBB805_914:                            ;   in Loop: Header=BB805_916 Depth=1
	global_load_b64 v[61:62], v[59:60], off
	global_load_b64 v[63:64], v[57:58], off
	v_add_co_u32 v57, s0, v57, 8
	s_delay_alu instid0(VALU_DEP_1) | instskip(SKIP_1) | instid1(VALU_DEP_1)
	v_add_co_ci_u32_e64 v58, s0, 0, v58, s0
	v_add_co_u32 v59, s0, v59, 8
	v_add_co_ci_u32_e64 v60, s0, 0, v60, s0
	s_add_u32 s14, s14, 1
	s_addc_u32 s15, s15, 0
	s_and_not1_b32 s0, s21, exec_lo
	s_waitcnt vmcnt(0)
	v_cmp_neq_f64_e32 vcc_lo, v[61:62], v[63:64]
	s_and_b32 s21, vcc_lo, exec_lo
	s_delay_alu instid0(SALU_CYCLE_1)
	s_or_b32 s21, s0, s21
.LBB805_915:                            ;   in Loop: Header=BB805_916 Depth=1
	v_dual_mov_b32 v62, s15 :: v_dual_mov_b32 v61, s14
	s_and_b32 s0, exec_lo, s21
	s_delay_alu instid0(SALU_CYCLE_1) | instskip(NEXT) | instid1(SALU_CYCLE_1)
	s_or_b32 s20, s0, s20
	s_and_not1_b32 exec_lo, exec_lo, s20
	s_cbranch_execz .LBB805_919
.LBB805_916:                            ; =>This Inner Loop Header: Depth=1
	s_or_b32 s21, s21, exec_lo
	s_cmp_eq_u64 s[12:13], s[14:15]
	s_cbranch_scc0 .LBB805_914
; %bb.917:                              ;   in Loop: Header=BB805_916 Depth=1
	s_mov_b64 s[14:15], s[8:9]
                                        ; implicit-def: $vgpr57_vgpr58
                                        ; implicit-def: $vgpr59_vgpr60
	s_branch .LBB805_915
.LBB805_918:
	s_mov_b32 s0, 0
	s_branch .LBB805_921
.LBB805_919:
	s_set_inst_prefetch_distance 0x2
	s_or_b32 exec_lo, exec_lo, s20
	v_cmp_gt_i64_e32 vcc_lo, s[8:9], v[61:62]
	s_or_not1_b32 s0, vcc_lo, exec_lo
.LBB805_920:
	s_or_b32 exec_lo, exec_lo, s19
.LBB805_921:
	s_delay_alu instid0(SALU_CYCLE_1)
	s_and_b32 s0, s0, exec_lo
	s_or_b32 s1, s1, exec_lo
.LBB805_922:
	s_or_b32 exec_lo, exec_lo, s18
	v_dual_mov_b32 v182, v166 :: v_dual_mov_b32 v181, v165
	v_dual_mov_b32 v168, v164 :: v_dual_mov_b32 v167, v163
	;; [unrolled: 1-line block ×27, first 2 shown]
	s_and_b32 vcc_lo, exec_lo, s3
	s_cbranch_vccz .LBB805_1243
.LBB805_923:
	v_cmp_gt_i64_e64 s0, s[8:9], 0
	s_waitcnt lgkmcnt(0)
	v_mad_u32_u24 v57, v0, 29, 28
	v_mul_u32_u24_e32 v64, 29, v0
	s_mov_b32 s3, exec_lo
	ds_store_b64 v195, v[109:110]
	v_cndmask_b32_e64 v63, 0, 1, s0
	v_cmpx_gt_u32_e64 s6, v57
	s_cbranch_execz .LBB805_934
; %bb.924:
	s_and_not1_b32 vcc_lo, exec_lo, s0
	s_cbranch_vccnz .LBB805_931
; %bb.925:
	v_mul_lo_u32 v61, v110, s8
	v_mul_lo_u32 v62, v109, s9
	v_mad_u64_u32 v[57:58], null, v109, s8, 0
	v_mul_lo_u32 v65, v8, s8
	v_mul_lo_u32 v66, v7, s9
	v_mad_u64_u32 v[59:60], null, v7, s8, 0
	v_mov_b32_e32 v109, 1
	v_mov_b32_e32 v110, 0
	v_add3_u32 v58, v58, v62, v61
	s_mov_b32 s18, exec_lo
	s_delay_alu instid0(VALU_DEP_4) | instskip(NEXT) | instid1(VALU_DEP_2)
	v_add3_u32 v60, v60, v66, v65
	v_lshlrev_b64 v[57:58], 3, v[57:58]
	s_delay_alu instid0(VALU_DEP_2) | instskip(NEXT) | instid1(VALU_DEP_2)
	v_lshlrev_b64 v[61:62], 3, v[59:60]
	v_add_co_u32 v59, vcc_lo, s10, v57
	s_delay_alu instid0(VALU_DEP_3) | instskip(NEXT) | instid1(VALU_DEP_3)
	v_add_co_ci_u32_e32 v60, vcc_lo, s11, v58, vcc_lo
	v_add_co_u32 v57, vcc_lo, s10, v61
	s_delay_alu instid0(VALU_DEP_4)
	v_add_co_ci_u32_e32 v58, vcc_lo, s11, v62, vcc_lo
	s_clause 0x1
	global_load_b64 v[61:62], v[59:60], off
	global_load_b64 v[65:66], v[57:58], off
	s_waitcnt vmcnt(0)
	v_cmpx_eq_f64_e32 v[61:62], v[65:66]
	s_cbranch_execz .LBB805_933
; %bb.926:
	v_add_co_u32 v57, vcc_lo, v57, 8
	v_add_co_ci_u32_e32 v58, vcc_lo, 0, v58, vcc_lo
	v_add_co_u32 v59, vcc_lo, v59, 8
	v_add_co_ci_u32_e32 v60, vcc_lo, 0, v60, vcc_lo
	s_add_u32 s12, s8, -1
	s_addc_u32 s13, s9, -1
	s_mov_b64 s[14:15], 0
	s_mov_b32 s19, 0
                                        ; implicit-def: $sgpr20
	s_set_inst_prefetch_distance 0x1
	s_branch .LBB805_929
	.p2align	6
.LBB805_927:                            ;   in Loop: Header=BB805_929 Depth=1
	global_load_b64 v[61:62], v[59:60], off
	global_load_b64 v[65:66], v[57:58], off
	v_add_co_u32 v57, s0, v57, 8
	s_delay_alu instid0(VALU_DEP_1) | instskip(SKIP_1) | instid1(VALU_DEP_1)
	v_add_co_ci_u32_e64 v58, s0, 0, v58, s0
	v_add_co_u32 v59, s0, v59, 8
	v_add_co_ci_u32_e64 v60, s0, 0, v60, s0
	s_add_u32 s14, s14, 1
	s_addc_u32 s15, s15, 0
	s_and_not1_b32 s0, s20, exec_lo
	s_waitcnt vmcnt(0)
	v_cmp_neq_f64_e32 vcc_lo, v[61:62], v[65:66]
	s_and_b32 s20, vcc_lo, exec_lo
	s_delay_alu instid0(SALU_CYCLE_1)
	s_or_b32 s20, s0, s20
.LBB805_928:                            ;   in Loop: Header=BB805_929 Depth=1
	v_dual_mov_b32 v62, s15 :: v_dual_mov_b32 v61, s14
	s_and_b32 s0, exec_lo, s20
	s_delay_alu instid0(SALU_CYCLE_1) | instskip(NEXT) | instid1(SALU_CYCLE_1)
	s_or_b32 s19, s0, s19
	s_and_not1_b32 exec_lo, exec_lo, s19
	s_cbranch_execz .LBB805_932
.LBB805_929:                            ; =>This Inner Loop Header: Depth=1
	s_or_b32 s20, s20, exec_lo
	s_cmp_eq_u64 s[12:13], s[14:15]
	s_cbranch_scc0 .LBB805_927
; %bb.930:                              ;   in Loop: Header=BB805_929 Depth=1
	s_mov_b64 s[14:15], s[8:9]
                                        ; implicit-def: $vgpr57_vgpr58
                                        ; implicit-def: $vgpr59_vgpr60
	s_branch .LBB805_928
.LBB805_931:
	v_mov_b32_e32 v109, 0
	v_mov_b32_e32 v110, 0
	s_branch .LBB805_934
.LBB805_932:
	s_set_inst_prefetch_distance 0x2
	s_or_b32 exec_lo, exec_lo, s19
	v_cmp_gt_i64_e32 vcc_lo, s[8:9], v[61:62]
	s_mov_b32 s0, 0
	s_delay_alu instid0(SALU_CYCLE_1)
	v_mov_b32_e32 v110, s0
	v_cndmask_b32_e64 v109, 0, 1, vcc_lo
.LBB805_933:
	s_or_b32 exec_lo, exec_lo, s18
.LBB805_934:
	s_delay_alu instid0(SALU_CYCLE_1) | instskip(SKIP_2) | instid1(VALU_DEP_1)
	s_or_b32 exec_lo, exec_lo, s3
	v_add_nc_u32_e32 v57, 27, v64
	s_mov_b32 s3, exec_lo
	v_cmpx_gt_u32_e64 s6, v57
	s_cbranch_execz .LBB805_945
; %bb.935:
	v_cmp_ne_u32_e32 vcc_lo, 1, v63
	s_cbranch_vccnz .LBB805_942
; %bb.936:
	v_mul_lo_u32 v59, v8, s8
	v_mul_lo_u32 v60, v7, s9
	v_mad_u64_u32 v[57:58], null, v7, s8, 0
	v_mul_lo_u32 v61, v6, s8
	v_mul_lo_u32 v62, v5, s9
	v_mad_u64_u32 v[7:8], null, v5, s8, 0
	s_delay_alu instid0(VALU_DEP_4) | instskip(NEXT) | instid1(VALU_DEP_2)
	v_add3_u32 v58, v58, v60, v59
	v_add3_u32 v8, v8, v62, v61
	s_delay_alu instid0(VALU_DEP_2) | instskip(NEXT) | instid1(VALU_DEP_2)
	v_lshlrev_b64 v[57:58], 3, v[57:58]
	v_lshlrev_b64 v[7:8], 3, v[7:8]
	s_delay_alu instid0(VALU_DEP_2) | instskip(NEXT) | instid1(VALU_DEP_3)
	v_add_co_u32 v57, vcc_lo, s10, v57
	v_add_co_ci_u32_e32 v58, vcc_lo, s11, v58, vcc_lo
	s_delay_alu instid0(VALU_DEP_3) | instskip(NEXT) | instid1(VALU_DEP_4)
	v_add_co_u32 v59, vcc_lo, s10, v7
	v_add_co_ci_u32_e32 v60, vcc_lo, s11, v8, vcc_lo
	s_clause 0x1
	global_load_b64 v[7:8], v[57:58], off
	global_load_b64 v[61:62], v[59:60], off
	s_waitcnt vmcnt(0)
	v_cmp_eq_f64_e32 vcc_lo, v[7:8], v[61:62]
	v_mov_b32_e32 v7, 1
	v_mov_b32_e32 v8, 0
	s_and_saveexec_b32 s18, vcc_lo
	s_cbranch_execz .LBB805_944
; %bb.937:
	v_add_co_u32 v7, vcc_lo, v59, 8
	v_add_co_ci_u32_e32 v8, vcc_lo, 0, v60, vcc_lo
	v_add_co_u32 v57, vcc_lo, v57, 8
	v_add_co_ci_u32_e32 v58, vcc_lo, 0, v58, vcc_lo
	s_add_u32 s12, s8, -1
	s_addc_u32 s13, s9, -1
	s_mov_b64 s[14:15], 0
	s_mov_b32 s19, 0
                                        ; implicit-def: $sgpr20
	s_set_inst_prefetch_distance 0x1
	s_branch .LBB805_940
	.p2align	6
.LBB805_938:                            ;   in Loop: Header=BB805_940 Depth=1
	global_load_b64 v[59:60], v[57:58], off
	global_load_b64 v[61:62], v[7:8], off
	v_add_co_u32 v7, s0, v7, 8
	s_delay_alu instid0(VALU_DEP_1) | instskip(SKIP_1) | instid1(VALU_DEP_1)
	v_add_co_ci_u32_e64 v8, s0, 0, v8, s0
	v_add_co_u32 v57, s0, v57, 8
	v_add_co_ci_u32_e64 v58, s0, 0, v58, s0
	s_add_u32 s14, s14, 1
	s_addc_u32 s15, s15, 0
	s_and_not1_b32 s0, s20, exec_lo
	s_waitcnt vmcnt(0)
	v_cmp_neq_f64_e32 vcc_lo, v[59:60], v[61:62]
	s_and_b32 s20, vcc_lo, exec_lo
	s_delay_alu instid0(SALU_CYCLE_1)
	s_or_b32 s20, s0, s20
.LBB805_939:                            ;   in Loop: Header=BB805_940 Depth=1
	v_dual_mov_b32 v60, s15 :: v_dual_mov_b32 v59, s14
	s_and_b32 s0, exec_lo, s20
	s_delay_alu instid0(SALU_CYCLE_1) | instskip(NEXT) | instid1(SALU_CYCLE_1)
	s_or_b32 s19, s0, s19
	s_and_not1_b32 exec_lo, exec_lo, s19
	s_cbranch_execz .LBB805_943
.LBB805_940:                            ; =>This Inner Loop Header: Depth=1
	s_or_b32 s20, s20, exec_lo
	s_cmp_eq_u64 s[12:13], s[14:15]
	s_cbranch_scc0 .LBB805_938
; %bb.941:                              ;   in Loop: Header=BB805_940 Depth=1
	s_mov_b64 s[14:15], s[8:9]
                                        ; implicit-def: $vgpr7_vgpr8
                                        ; implicit-def: $vgpr57_vgpr58
	s_branch .LBB805_939
.LBB805_942:
	v_mov_b32_e32 v7, 0
	v_mov_b32_e32 v8, 0
	s_branch .LBB805_945
.LBB805_943:
	s_set_inst_prefetch_distance 0x2
	s_or_b32 exec_lo, exec_lo, s19
	v_cmp_gt_i64_e32 vcc_lo, s[8:9], v[59:60]
	s_mov_b32 s0, 0
	s_delay_alu instid0(SALU_CYCLE_1)
	v_mov_b32_e32 v8, s0
	v_cndmask_b32_e64 v7, 0, 1, vcc_lo
.LBB805_944:
	s_or_b32 exec_lo, exec_lo, s18
.LBB805_945:
	s_delay_alu instid0(SALU_CYCLE_1) | instskip(SKIP_2) | instid1(VALU_DEP_1)
	s_or_b32 exec_lo, exec_lo, s3
	v_add_nc_u32_e32 v57, 26, v64
	s_mov_b32 s3, exec_lo
	v_cmpx_gt_u32_e64 s6, v57
	s_cbranch_execz .LBB805_956
; %bb.946:
	v_cmp_ne_u32_e32 vcc_lo, 1, v63
	s_cbranch_vccnz .LBB805_953
; %bb.947:
	v_mul_lo_u32 v59, v6, s8
	v_mul_lo_u32 v60, v5, s9
	v_mad_u64_u32 v[57:58], null, v5, s8, 0
	v_mul_lo_u32 v61, v12, s8
	v_mul_lo_u32 v62, v11, s9
	v_mad_u64_u32 v[5:6], null, v11, s8, 0
	s_delay_alu instid0(VALU_DEP_4) | instskip(NEXT) | instid1(VALU_DEP_2)
	v_add3_u32 v58, v58, v60, v59
	v_add3_u32 v6, v6, v62, v61
	s_delay_alu instid0(VALU_DEP_2) | instskip(NEXT) | instid1(VALU_DEP_2)
	v_lshlrev_b64 v[57:58], 3, v[57:58]
	v_lshlrev_b64 v[5:6], 3, v[5:6]
	s_delay_alu instid0(VALU_DEP_2) | instskip(NEXT) | instid1(VALU_DEP_3)
	v_add_co_u32 v57, vcc_lo, s10, v57
	v_add_co_ci_u32_e32 v58, vcc_lo, s11, v58, vcc_lo
	s_delay_alu instid0(VALU_DEP_3) | instskip(NEXT) | instid1(VALU_DEP_4)
	v_add_co_u32 v59, vcc_lo, s10, v5
	v_add_co_ci_u32_e32 v60, vcc_lo, s11, v6, vcc_lo
	s_clause 0x1
	global_load_b64 v[5:6], v[57:58], off
	global_load_b64 v[61:62], v[59:60], off
	s_waitcnt vmcnt(0)
	v_cmp_eq_f64_e32 vcc_lo, v[5:6], v[61:62]
	v_mov_b32_e32 v5, 1
	v_mov_b32_e32 v6, 0
	s_and_saveexec_b32 s18, vcc_lo
	s_cbranch_execz .LBB805_955
; %bb.948:
	v_add_co_u32 v5, vcc_lo, v59, 8
	v_add_co_ci_u32_e32 v6, vcc_lo, 0, v60, vcc_lo
	v_add_co_u32 v57, vcc_lo, v57, 8
	v_add_co_ci_u32_e32 v58, vcc_lo, 0, v58, vcc_lo
	s_add_u32 s12, s8, -1
	s_addc_u32 s13, s9, -1
	s_mov_b64 s[14:15], 0
	s_mov_b32 s19, 0
                                        ; implicit-def: $sgpr20
	s_set_inst_prefetch_distance 0x1
	s_branch .LBB805_951
	.p2align	6
.LBB805_949:                            ;   in Loop: Header=BB805_951 Depth=1
	global_load_b64 v[59:60], v[57:58], off
	global_load_b64 v[61:62], v[5:6], off
	v_add_co_u32 v5, s0, v5, 8
	s_delay_alu instid0(VALU_DEP_1) | instskip(SKIP_1) | instid1(VALU_DEP_1)
	v_add_co_ci_u32_e64 v6, s0, 0, v6, s0
	v_add_co_u32 v57, s0, v57, 8
	v_add_co_ci_u32_e64 v58, s0, 0, v58, s0
	s_add_u32 s14, s14, 1
	s_addc_u32 s15, s15, 0
	s_and_not1_b32 s0, s20, exec_lo
	s_waitcnt vmcnt(0)
	v_cmp_neq_f64_e32 vcc_lo, v[59:60], v[61:62]
	s_and_b32 s20, vcc_lo, exec_lo
	s_delay_alu instid0(SALU_CYCLE_1)
	s_or_b32 s20, s0, s20
.LBB805_950:                            ;   in Loop: Header=BB805_951 Depth=1
	v_dual_mov_b32 v60, s15 :: v_dual_mov_b32 v59, s14
	s_and_b32 s0, exec_lo, s20
	s_delay_alu instid0(SALU_CYCLE_1) | instskip(NEXT) | instid1(SALU_CYCLE_1)
	s_or_b32 s19, s0, s19
	s_and_not1_b32 exec_lo, exec_lo, s19
	s_cbranch_execz .LBB805_954
.LBB805_951:                            ; =>This Inner Loop Header: Depth=1
	s_or_b32 s20, s20, exec_lo
	s_cmp_eq_u64 s[12:13], s[14:15]
	s_cbranch_scc0 .LBB805_949
; %bb.952:                              ;   in Loop: Header=BB805_951 Depth=1
	s_mov_b64 s[14:15], s[8:9]
                                        ; implicit-def: $vgpr5_vgpr6
                                        ; implicit-def: $vgpr57_vgpr58
	s_branch .LBB805_950
.LBB805_953:
	v_mov_b32_e32 v5, 0
	v_mov_b32_e32 v6, 0
	s_branch .LBB805_956
.LBB805_954:
	s_set_inst_prefetch_distance 0x2
	s_or_b32 exec_lo, exec_lo, s19
	v_cmp_gt_i64_e32 vcc_lo, s[8:9], v[59:60]
	s_mov_b32 s0, 0
	s_delay_alu instid0(SALU_CYCLE_1)
	v_mov_b32_e32 v6, s0
	v_cndmask_b32_e64 v5, 0, 1, vcc_lo
.LBB805_955:
	s_or_b32 exec_lo, exec_lo, s18
.LBB805_956:
	s_delay_alu instid0(SALU_CYCLE_1) | instskip(SKIP_2) | instid1(VALU_DEP_1)
	s_or_b32 exec_lo, exec_lo, s3
	v_add_nc_u32_e32 v57, 25, v64
	s_mov_b32 s3, exec_lo
	v_cmpx_gt_u32_e64 s6, v57
	s_cbranch_execz .LBB805_967
; %bb.957:
	v_cmp_ne_u32_e32 vcc_lo, 1, v63
	s_cbranch_vccnz .LBB805_964
; %bb.958:
	v_mul_lo_u32 v59, v12, s8
	v_mul_lo_u32 v60, v11, s9
	v_mad_u64_u32 v[57:58], null, v11, s8, 0
	v_mul_lo_u32 v61, v10, s8
	v_mul_lo_u32 v62, v9, s9
	v_mad_u64_u32 v[11:12], null, v9, s8, 0
	s_delay_alu instid0(VALU_DEP_4) | instskip(NEXT) | instid1(VALU_DEP_2)
	v_add3_u32 v58, v58, v60, v59
	v_add3_u32 v12, v12, v62, v61
	s_delay_alu instid0(VALU_DEP_2) | instskip(NEXT) | instid1(VALU_DEP_2)
	v_lshlrev_b64 v[57:58], 3, v[57:58]
	v_lshlrev_b64 v[11:12], 3, v[11:12]
	s_delay_alu instid0(VALU_DEP_2) | instskip(NEXT) | instid1(VALU_DEP_3)
	v_add_co_u32 v57, vcc_lo, s10, v57
	v_add_co_ci_u32_e32 v58, vcc_lo, s11, v58, vcc_lo
	s_delay_alu instid0(VALU_DEP_3) | instskip(NEXT) | instid1(VALU_DEP_4)
	v_add_co_u32 v59, vcc_lo, s10, v11
	v_add_co_ci_u32_e32 v60, vcc_lo, s11, v12, vcc_lo
	s_clause 0x1
	global_load_b64 v[11:12], v[57:58], off
	global_load_b64 v[61:62], v[59:60], off
	s_waitcnt vmcnt(0)
	v_cmp_eq_f64_e32 vcc_lo, v[11:12], v[61:62]
	v_mov_b32_e32 v11, 1
	v_mov_b32_e32 v12, 0
	s_and_saveexec_b32 s18, vcc_lo
	s_cbranch_execz .LBB805_966
; %bb.959:
	v_add_co_u32 v11, vcc_lo, v59, 8
	v_add_co_ci_u32_e32 v12, vcc_lo, 0, v60, vcc_lo
	v_add_co_u32 v57, vcc_lo, v57, 8
	v_add_co_ci_u32_e32 v58, vcc_lo, 0, v58, vcc_lo
	s_add_u32 s12, s8, -1
	s_addc_u32 s13, s9, -1
	s_mov_b64 s[14:15], 0
	s_mov_b32 s19, 0
                                        ; implicit-def: $sgpr20
	s_set_inst_prefetch_distance 0x1
	s_branch .LBB805_962
	.p2align	6
.LBB805_960:                            ;   in Loop: Header=BB805_962 Depth=1
	global_load_b64 v[59:60], v[57:58], off
	global_load_b64 v[61:62], v[11:12], off
	v_add_co_u32 v11, s0, v11, 8
	s_delay_alu instid0(VALU_DEP_1) | instskip(SKIP_1) | instid1(VALU_DEP_1)
	v_add_co_ci_u32_e64 v12, s0, 0, v12, s0
	v_add_co_u32 v57, s0, v57, 8
	v_add_co_ci_u32_e64 v58, s0, 0, v58, s0
	s_add_u32 s14, s14, 1
	s_addc_u32 s15, s15, 0
	s_and_not1_b32 s0, s20, exec_lo
	s_waitcnt vmcnt(0)
	v_cmp_neq_f64_e32 vcc_lo, v[59:60], v[61:62]
	s_and_b32 s20, vcc_lo, exec_lo
	s_delay_alu instid0(SALU_CYCLE_1)
	s_or_b32 s20, s0, s20
.LBB805_961:                            ;   in Loop: Header=BB805_962 Depth=1
	v_dual_mov_b32 v60, s15 :: v_dual_mov_b32 v59, s14
	s_and_b32 s0, exec_lo, s20
	s_delay_alu instid0(SALU_CYCLE_1) | instskip(NEXT) | instid1(SALU_CYCLE_1)
	s_or_b32 s19, s0, s19
	s_and_not1_b32 exec_lo, exec_lo, s19
	s_cbranch_execz .LBB805_965
.LBB805_962:                            ; =>This Inner Loop Header: Depth=1
	s_or_b32 s20, s20, exec_lo
	s_cmp_eq_u64 s[12:13], s[14:15]
	s_cbranch_scc0 .LBB805_960
; %bb.963:                              ;   in Loop: Header=BB805_962 Depth=1
	s_mov_b64 s[14:15], s[8:9]
                                        ; implicit-def: $vgpr11_vgpr12
                                        ; implicit-def: $vgpr57_vgpr58
	s_branch .LBB805_961
.LBB805_964:
	v_mov_b32_e32 v11, 0
	v_mov_b32_e32 v12, 0
	s_branch .LBB805_967
.LBB805_965:
	s_set_inst_prefetch_distance 0x2
	s_or_b32 exec_lo, exec_lo, s19
	v_cmp_gt_i64_e32 vcc_lo, s[8:9], v[59:60]
	s_mov_b32 s0, 0
	s_delay_alu instid0(SALU_CYCLE_1)
	v_mov_b32_e32 v12, s0
	v_cndmask_b32_e64 v11, 0, 1, vcc_lo
.LBB805_966:
	s_or_b32 exec_lo, exec_lo, s18
.LBB805_967:
	s_delay_alu instid0(SALU_CYCLE_1) | instskip(SKIP_2) | instid1(VALU_DEP_1)
	s_or_b32 exec_lo, exec_lo, s3
	v_add_nc_u32_e32 v57, 24, v64
	s_mov_b32 s3, exec_lo
	v_cmpx_gt_u32_e64 s6, v57
	s_cbranch_execz .LBB805_978
; %bb.968:
	v_cmp_ne_u32_e32 vcc_lo, 1, v63
	s_cbranch_vccnz .LBB805_975
; %bb.969:
	v_mul_lo_u32 v59, v10, s8
	v_mul_lo_u32 v60, v9, s9
	v_mad_u64_u32 v[57:58], null, v9, s8, 0
	v_mul_lo_u32 v61, v56, s8
	v_mul_lo_u32 v62, v55, s9
	v_mad_u64_u32 v[9:10], null, v55, s8, 0
	s_delay_alu instid0(VALU_DEP_4) | instskip(NEXT) | instid1(VALU_DEP_2)
	v_add3_u32 v58, v58, v60, v59
	v_add3_u32 v10, v10, v62, v61
	s_delay_alu instid0(VALU_DEP_2) | instskip(NEXT) | instid1(VALU_DEP_2)
	v_lshlrev_b64 v[57:58], 3, v[57:58]
	v_lshlrev_b64 v[9:10], 3, v[9:10]
	s_delay_alu instid0(VALU_DEP_2) | instskip(NEXT) | instid1(VALU_DEP_3)
	v_add_co_u32 v57, vcc_lo, s10, v57
	v_add_co_ci_u32_e32 v58, vcc_lo, s11, v58, vcc_lo
	s_delay_alu instid0(VALU_DEP_3) | instskip(NEXT) | instid1(VALU_DEP_4)
	v_add_co_u32 v59, vcc_lo, s10, v9
	v_add_co_ci_u32_e32 v60, vcc_lo, s11, v10, vcc_lo
	s_clause 0x1
	global_load_b64 v[9:10], v[57:58], off
	global_load_b64 v[61:62], v[59:60], off
	s_waitcnt vmcnt(0)
	v_cmp_eq_f64_e32 vcc_lo, v[9:10], v[61:62]
	v_mov_b32_e32 v9, 1
	v_mov_b32_e32 v10, 0
	s_and_saveexec_b32 s18, vcc_lo
	s_cbranch_execz .LBB805_977
; %bb.970:
	v_add_co_u32 v9, vcc_lo, v59, 8
	v_add_co_ci_u32_e32 v10, vcc_lo, 0, v60, vcc_lo
	v_add_co_u32 v57, vcc_lo, v57, 8
	v_add_co_ci_u32_e32 v58, vcc_lo, 0, v58, vcc_lo
	s_add_u32 s12, s8, -1
	s_addc_u32 s13, s9, -1
	s_mov_b64 s[14:15], 0
	s_mov_b32 s19, 0
                                        ; implicit-def: $sgpr20
	s_set_inst_prefetch_distance 0x1
	s_branch .LBB805_973
	.p2align	6
.LBB805_971:                            ;   in Loop: Header=BB805_973 Depth=1
	global_load_b64 v[59:60], v[57:58], off
	global_load_b64 v[61:62], v[9:10], off
	v_add_co_u32 v9, s0, v9, 8
	s_delay_alu instid0(VALU_DEP_1) | instskip(SKIP_1) | instid1(VALU_DEP_1)
	v_add_co_ci_u32_e64 v10, s0, 0, v10, s0
	v_add_co_u32 v57, s0, v57, 8
	v_add_co_ci_u32_e64 v58, s0, 0, v58, s0
	s_add_u32 s14, s14, 1
	s_addc_u32 s15, s15, 0
	s_and_not1_b32 s0, s20, exec_lo
	s_waitcnt vmcnt(0)
	v_cmp_neq_f64_e32 vcc_lo, v[59:60], v[61:62]
	s_and_b32 s20, vcc_lo, exec_lo
	s_delay_alu instid0(SALU_CYCLE_1)
	s_or_b32 s20, s0, s20
.LBB805_972:                            ;   in Loop: Header=BB805_973 Depth=1
	v_dual_mov_b32 v60, s15 :: v_dual_mov_b32 v59, s14
	s_and_b32 s0, exec_lo, s20
	s_delay_alu instid0(SALU_CYCLE_1) | instskip(NEXT) | instid1(SALU_CYCLE_1)
	s_or_b32 s19, s0, s19
	s_and_not1_b32 exec_lo, exec_lo, s19
	s_cbranch_execz .LBB805_976
.LBB805_973:                            ; =>This Inner Loop Header: Depth=1
	s_or_b32 s20, s20, exec_lo
	s_cmp_eq_u64 s[12:13], s[14:15]
	s_cbranch_scc0 .LBB805_971
; %bb.974:                              ;   in Loop: Header=BB805_973 Depth=1
	s_mov_b64 s[14:15], s[8:9]
                                        ; implicit-def: $vgpr9_vgpr10
                                        ; implicit-def: $vgpr57_vgpr58
	s_branch .LBB805_972
.LBB805_975:
	v_mov_b32_e32 v9, 0
	v_mov_b32_e32 v10, 0
	s_branch .LBB805_978
.LBB805_976:
	s_set_inst_prefetch_distance 0x2
	s_or_b32 exec_lo, exec_lo, s19
	v_cmp_gt_i64_e32 vcc_lo, s[8:9], v[59:60]
	s_mov_b32 s0, 0
	s_delay_alu instid0(SALU_CYCLE_1)
	v_mov_b32_e32 v10, s0
	v_cndmask_b32_e64 v9, 0, 1, vcc_lo
.LBB805_977:
	s_or_b32 exec_lo, exec_lo, s18
.LBB805_978:
	s_delay_alu instid0(SALU_CYCLE_1) | instskip(SKIP_2) | instid1(VALU_DEP_1)
	s_or_b32 exec_lo, exec_lo, s3
	v_add_nc_u32_e32 v57, 23, v64
	s_mov_b32 s3, exec_lo
	v_cmpx_gt_u32_e64 s6, v57
	s_cbranch_execz .LBB805_989
; %bb.979:
	v_cmp_ne_u32_e32 vcc_lo, 1, v63
	s_cbranch_vccnz .LBB805_986
; %bb.980:
	v_mul_lo_u32 v60, v56, s8
	v_mul_lo_u32 v61, v55, s9
	v_mad_u64_u32 v[56:57], null, v55, s8, 0
	v_mul_lo_u32 v55, v54, s8
	v_mul_lo_u32 v62, v53, s9
	v_mad_u64_u32 v[58:59], null, v53, s8, 0
	s_delay_alu instid0(VALU_DEP_4) | instskip(NEXT) | instid1(VALU_DEP_2)
	v_add3_u32 v57, v57, v61, v60
	v_add3_u32 v59, v59, v62, v55
	s_delay_alu instid0(VALU_DEP_2) | instskip(NEXT) | instid1(VALU_DEP_2)
	v_lshlrev_b64 v[55:56], 3, v[56:57]
	v_lshlrev_b64 v[59:60], 3, v[58:59]
	s_delay_alu instid0(VALU_DEP_2) | instskip(NEXT) | instid1(VALU_DEP_3)
	v_add_co_u32 v57, vcc_lo, s10, v55
	v_add_co_ci_u32_e32 v58, vcc_lo, s11, v56, vcc_lo
	s_delay_alu instid0(VALU_DEP_3) | instskip(NEXT) | instid1(VALU_DEP_4)
	v_add_co_u32 v59, vcc_lo, s10, v59
	v_add_co_ci_u32_e32 v60, vcc_lo, s11, v60, vcc_lo
	s_clause 0x1
	global_load_b64 v[55:56], v[57:58], off
	global_load_b64 v[61:62], v[59:60], off
	s_waitcnt vmcnt(0)
	v_cmp_eq_f64_e32 vcc_lo, v[55:56], v[61:62]
	v_mov_b32_e32 v55, 1
	v_mov_b32_e32 v56, 0
	s_and_saveexec_b32 s18, vcc_lo
	s_cbranch_execz .LBB805_988
; %bb.981:
	v_add_co_u32 v55, vcc_lo, v59, 8
	v_add_co_ci_u32_e32 v56, vcc_lo, 0, v60, vcc_lo
	v_add_co_u32 v57, vcc_lo, v57, 8
	v_add_co_ci_u32_e32 v58, vcc_lo, 0, v58, vcc_lo
	s_add_u32 s12, s8, -1
	s_addc_u32 s13, s9, -1
	s_mov_b64 s[14:15], 0
	s_mov_b32 s19, 0
                                        ; implicit-def: $sgpr20
	s_set_inst_prefetch_distance 0x1
	s_branch .LBB805_984
	.p2align	6
.LBB805_982:                            ;   in Loop: Header=BB805_984 Depth=1
	global_load_b64 v[59:60], v[57:58], off
	global_load_b64 v[61:62], v[55:56], off
	v_add_co_u32 v55, s0, v55, 8
	s_delay_alu instid0(VALU_DEP_1) | instskip(SKIP_1) | instid1(VALU_DEP_1)
	v_add_co_ci_u32_e64 v56, s0, 0, v56, s0
	v_add_co_u32 v57, s0, v57, 8
	v_add_co_ci_u32_e64 v58, s0, 0, v58, s0
	s_add_u32 s14, s14, 1
	s_addc_u32 s15, s15, 0
	s_and_not1_b32 s0, s20, exec_lo
	s_waitcnt vmcnt(0)
	v_cmp_neq_f64_e32 vcc_lo, v[59:60], v[61:62]
	s_and_b32 s20, vcc_lo, exec_lo
	s_delay_alu instid0(SALU_CYCLE_1)
	s_or_b32 s20, s0, s20
.LBB805_983:                            ;   in Loop: Header=BB805_984 Depth=1
	v_dual_mov_b32 v60, s15 :: v_dual_mov_b32 v59, s14
	s_and_b32 s0, exec_lo, s20
	s_delay_alu instid0(SALU_CYCLE_1) | instskip(NEXT) | instid1(SALU_CYCLE_1)
	s_or_b32 s19, s0, s19
	s_and_not1_b32 exec_lo, exec_lo, s19
	s_cbranch_execz .LBB805_987
.LBB805_984:                            ; =>This Inner Loop Header: Depth=1
	s_or_b32 s20, s20, exec_lo
	s_cmp_eq_u64 s[12:13], s[14:15]
	s_cbranch_scc0 .LBB805_982
; %bb.985:                              ;   in Loop: Header=BB805_984 Depth=1
	s_mov_b64 s[14:15], s[8:9]
                                        ; implicit-def: $vgpr55_vgpr56
                                        ; implicit-def: $vgpr57_vgpr58
	s_branch .LBB805_983
.LBB805_986:
	v_mov_b32_e32 v55, 0
	v_mov_b32_e32 v56, 0
	s_branch .LBB805_989
.LBB805_987:
	s_set_inst_prefetch_distance 0x2
	s_or_b32 exec_lo, exec_lo, s19
	v_cmp_gt_i64_e32 vcc_lo, s[8:9], v[59:60]
	s_mov_b32 s0, 0
	s_delay_alu instid0(SALU_CYCLE_1)
	v_mov_b32_e32 v56, s0
	v_cndmask_b32_e64 v55, 0, 1, vcc_lo
.LBB805_988:
	s_or_b32 exec_lo, exec_lo, s18
.LBB805_989:
	s_delay_alu instid0(SALU_CYCLE_1) | instskip(SKIP_2) | instid1(VALU_DEP_1)
	s_or_b32 exec_lo, exec_lo, s3
	v_add_nc_u32_e32 v57, 22, v64
	s_mov_b32 s3, exec_lo
	v_cmpx_gt_u32_e64 s6, v57
	s_cbranch_execz .LBB805_1000
; %bb.990:
	v_cmp_ne_u32_e32 vcc_lo, 1, v63
	s_cbranch_vccnz .LBB805_997
; %bb.991:
	v_mul_lo_u32 v59, v54, s8
	v_mul_lo_u32 v60, v53, s9
	v_mad_u64_u32 v[57:58], null, v53, s8, 0
	v_mul_lo_u32 v61, v52, s8
	v_mul_lo_u32 v62, v51, s9
	v_mad_u64_u32 v[53:54], null, v51, s8, 0
	s_delay_alu instid0(VALU_DEP_4) | instskip(NEXT) | instid1(VALU_DEP_2)
	v_add3_u32 v58, v58, v60, v59
	v_add3_u32 v54, v54, v62, v61
	s_delay_alu instid0(VALU_DEP_2) | instskip(NEXT) | instid1(VALU_DEP_2)
	v_lshlrev_b64 v[57:58], 3, v[57:58]
	v_lshlrev_b64 v[53:54], 3, v[53:54]
	s_delay_alu instid0(VALU_DEP_2) | instskip(NEXT) | instid1(VALU_DEP_3)
	v_add_co_u32 v57, vcc_lo, s10, v57
	v_add_co_ci_u32_e32 v58, vcc_lo, s11, v58, vcc_lo
	s_delay_alu instid0(VALU_DEP_3) | instskip(NEXT) | instid1(VALU_DEP_4)
	v_add_co_u32 v59, vcc_lo, s10, v53
	v_add_co_ci_u32_e32 v60, vcc_lo, s11, v54, vcc_lo
	s_clause 0x1
	global_load_b64 v[53:54], v[57:58], off
	global_load_b64 v[61:62], v[59:60], off
	s_waitcnt vmcnt(0)
	v_cmp_eq_f64_e32 vcc_lo, v[53:54], v[61:62]
	v_mov_b32_e32 v53, 1
	v_mov_b32_e32 v54, 0
	s_and_saveexec_b32 s18, vcc_lo
	s_cbranch_execz .LBB805_999
; %bb.992:
	v_add_co_u32 v53, vcc_lo, v59, 8
	v_add_co_ci_u32_e32 v54, vcc_lo, 0, v60, vcc_lo
	v_add_co_u32 v57, vcc_lo, v57, 8
	v_add_co_ci_u32_e32 v58, vcc_lo, 0, v58, vcc_lo
	s_add_u32 s12, s8, -1
	s_addc_u32 s13, s9, -1
	s_mov_b64 s[14:15], 0
	s_mov_b32 s19, 0
                                        ; implicit-def: $sgpr20
	s_set_inst_prefetch_distance 0x1
	s_branch .LBB805_995
	.p2align	6
.LBB805_993:                            ;   in Loop: Header=BB805_995 Depth=1
	global_load_b64 v[59:60], v[57:58], off
	global_load_b64 v[61:62], v[53:54], off
	v_add_co_u32 v53, s0, v53, 8
	s_delay_alu instid0(VALU_DEP_1) | instskip(SKIP_1) | instid1(VALU_DEP_1)
	v_add_co_ci_u32_e64 v54, s0, 0, v54, s0
	v_add_co_u32 v57, s0, v57, 8
	v_add_co_ci_u32_e64 v58, s0, 0, v58, s0
	s_add_u32 s14, s14, 1
	s_addc_u32 s15, s15, 0
	s_and_not1_b32 s0, s20, exec_lo
	s_waitcnt vmcnt(0)
	v_cmp_neq_f64_e32 vcc_lo, v[59:60], v[61:62]
	s_and_b32 s20, vcc_lo, exec_lo
	s_delay_alu instid0(SALU_CYCLE_1)
	s_or_b32 s20, s0, s20
.LBB805_994:                            ;   in Loop: Header=BB805_995 Depth=1
	v_dual_mov_b32 v60, s15 :: v_dual_mov_b32 v59, s14
	s_and_b32 s0, exec_lo, s20
	s_delay_alu instid0(SALU_CYCLE_1) | instskip(NEXT) | instid1(SALU_CYCLE_1)
	s_or_b32 s19, s0, s19
	s_and_not1_b32 exec_lo, exec_lo, s19
	s_cbranch_execz .LBB805_998
.LBB805_995:                            ; =>This Inner Loop Header: Depth=1
	s_or_b32 s20, s20, exec_lo
	s_cmp_eq_u64 s[12:13], s[14:15]
	s_cbranch_scc0 .LBB805_993
; %bb.996:                              ;   in Loop: Header=BB805_995 Depth=1
	s_mov_b64 s[14:15], s[8:9]
                                        ; implicit-def: $vgpr53_vgpr54
                                        ; implicit-def: $vgpr57_vgpr58
	s_branch .LBB805_994
.LBB805_997:
	v_mov_b32_e32 v53, 0
	v_mov_b32_e32 v54, 0
	s_branch .LBB805_1000
.LBB805_998:
	s_set_inst_prefetch_distance 0x2
	s_or_b32 exec_lo, exec_lo, s19
	v_cmp_gt_i64_e32 vcc_lo, s[8:9], v[59:60]
	s_mov_b32 s0, 0
	s_delay_alu instid0(SALU_CYCLE_1)
	v_mov_b32_e32 v54, s0
	v_cndmask_b32_e64 v53, 0, 1, vcc_lo
.LBB805_999:
	s_or_b32 exec_lo, exec_lo, s18
.LBB805_1000:
	s_delay_alu instid0(SALU_CYCLE_1) | instskip(SKIP_2) | instid1(VALU_DEP_1)
	s_or_b32 exec_lo, exec_lo, s3
	v_add_nc_u32_e32 v57, 21, v64
	s_mov_b32 s3, exec_lo
	v_cmpx_gt_u32_e64 s6, v57
	s_cbranch_execz .LBB805_1011
; %bb.1001:
	v_cmp_ne_u32_e32 vcc_lo, 1, v63
	s_cbranch_vccnz .LBB805_1008
; %bb.1002:
	v_mul_lo_u32 v59, v52, s8
	v_mul_lo_u32 v60, v51, s9
	v_mad_u64_u32 v[57:58], null, v51, s8, 0
	v_mul_lo_u32 v61, v50, s8
	v_mul_lo_u32 v62, v49, s9
	v_mad_u64_u32 v[51:52], null, v49, s8, 0
	s_delay_alu instid0(VALU_DEP_4) | instskip(NEXT) | instid1(VALU_DEP_2)
	v_add3_u32 v58, v58, v60, v59
	v_add3_u32 v52, v52, v62, v61
	s_delay_alu instid0(VALU_DEP_2) | instskip(NEXT) | instid1(VALU_DEP_2)
	v_lshlrev_b64 v[57:58], 3, v[57:58]
	v_lshlrev_b64 v[51:52], 3, v[51:52]
	s_delay_alu instid0(VALU_DEP_2) | instskip(NEXT) | instid1(VALU_DEP_3)
	v_add_co_u32 v57, vcc_lo, s10, v57
	v_add_co_ci_u32_e32 v58, vcc_lo, s11, v58, vcc_lo
	s_delay_alu instid0(VALU_DEP_3) | instskip(NEXT) | instid1(VALU_DEP_4)
	v_add_co_u32 v59, vcc_lo, s10, v51
	v_add_co_ci_u32_e32 v60, vcc_lo, s11, v52, vcc_lo
	s_clause 0x1
	global_load_b64 v[51:52], v[57:58], off
	global_load_b64 v[61:62], v[59:60], off
	s_waitcnt vmcnt(0)
	v_cmp_eq_f64_e32 vcc_lo, v[51:52], v[61:62]
	v_mov_b32_e32 v51, 1
	v_mov_b32_e32 v52, 0
	s_and_saveexec_b32 s18, vcc_lo
	s_cbranch_execz .LBB805_1010
; %bb.1003:
	v_add_co_u32 v51, vcc_lo, v59, 8
	v_add_co_ci_u32_e32 v52, vcc_lo, 0, v60, vcc_lo
	v_add_co_u32 v57, vcc_lo, v57, 8
	v_add_co_ci_u32_e32 v58, vcc_lo, 0, v58, vcc_lo
	s_add_u32 s12, s8, -1
	s_addc_u32 s13, s9, -1
	s_mov_b64 s[14:15], 0
	s_mov_b32 s19, 0
                                        ; implicit-def: $sgpr20
	s_set_inst_prefetch_distance 0x1
	s_branch .LBB805_1006
	.p2align	6
.LBB805_1004:                           ;   in Loop: Header=BB805_1006 Depth=1
	global_load_b64 v[59:60], v[57:58], off
	global_load_b64 v[61:62], v[51:52], off
	v_add_co_u32 v51, s0, v51, 8
	s_delay_alu instid0(VALU_DEP_1) | instskip(SKIP_1) | instid1(VALU_DEP_1)
	v_add_co_ci_u32_e64 v52, s0, 0, v52, s0
	v_add_co_u32 v57, s0, v57, 8
	v_add_co_ci_u32_e64 v58, s0, 0, v58, s0
	s_add_u32 s14, s14, 1
	s_addc_u32 s15, s15, 0
	s_and_not1_b32 s0, s20, exec_lo
	s_waitcnt vmcnt(0)
	v_cmp_neq_f64_e32 vcc_lo, v[59:60], v[61:62]
	s_and_b32 s20, vcc_lo, exec_lo
	s_delay_alu instid0(SALU_CYCLE_1)
	s_or_b32 s20, s0, s20
.LBB805_1005:                           ;   in Loop: Header=BB805_1006 Depth=1
	v_dual_mov_b32 v60, s15 :: v_dual_mov_b32 v59, s14
	s_and_b32 s0, exec_lo, s20
	s_delay_alu instid0(SALU_CYCLE_1) | instskip(NEXT) | instid1(SALU_CYCLE_1)
	s_or_b32 s19, s0, s19
	s_and_not1_b32 exec_lo, exec_lo, s19
	s_cbranch_execz .LBB805_1009
.LBB805_1006:                           ; =>This Inner Loop Header: Depth=1
	s_or_b32 s20, s20, exec_lo
	s_cmp_eq_u64 s[12:13], s[14:15]
	s_cbranch_scc0 .LBB805_1004
; %bb.1007:                             ;   in Loop: Header=BB805_1006 Depth=1
	s_mov_b64 s[14:15], s[8:9]
                                        ; implicit-def: $vgpr51_vgpr52
                                        ; implicit-def: $vgpr57_vgpr58
	s_branch .LBB805_1005
.LBB805_1008:
	v_mov_b32_e32 v51, 0
	v_mov_b32_e32 v52, 0
	s_branch .LBB805_1011
.LBB805_1009:
	s_set_inst_prefetch_distance 0x2
	s_or_b32 exec_lo, exec_lo, s19
	v_cmp_gt_i64_e32 vcc_lo, s[8:9], v[59:60]
	s_mov_b32 s0, 0
	s_delay_alu instid0(SALU_CYCLE_1)
	v_mov_b32_e32 v52, s0
	v_cndmask_b32_e64 v51, 0, 1, vcc_lo
.LBB805_1010:
	s_or_b32 exec_lo, exec_lo, s18
.LBB805_1011:
	s_delay_alu instid0(SALU_CYCLE_1) | instskip(SKIP_2) | instid1(VALU_DEP_1)
	s_or_b32 exec_lo, exec_lo, s3
	v_add_nc_u32_e32 v57, 20, v64
	s_mov_b32 s3, exec_lo
	v_cmpx_gt_u32_e64 s6, v57
	s_cbranch_execz .LBB805_1022
; %bb.1012:
	v_cmp_ne_u32_e32 vcc_lo, 1, v63
	s_cbranch_vccnz .LBB805_1019
; %bb.1013:
	v_mul_lo_u32 v59, v50, s8
	v_mul_lo_u32 v60, v49, s9
	v_mad_u64_u32 v[57:58], null, v49, s8, 0
	v_mul_lo_u32 v61, v48, s8
	v_mul_lo_u32 v62, v47, s9
	v_mad_u64_u32 v[49:50], null, v47, s8, 0
	s_delay_alu instid0(VALU_DEP_4) | instskip(NEXT) | instid1(VALU_DEP_2)
	v_add3_u32 v58, v58, v60, v59
	v_add3_u32 v50, v50, v62, v61
	s_delay_alu instid0(VALU_DEP_2) | instskip(NEXT) | instid1(VALU_DEP_2)
	v_lshlrev_b64 v[57:58], 3, v[57:58]
	v_lshlrev_b64 v[49:50], 3, v[49:50]
	s_delay_alu instid0(VALU_DEP_2) | instskip(NEXT) | instid1(VALU_DEP_3)
	v_add_co_u32 v57, vcc_lo, s10, v57
	v_add_co_ci_u32_e32 v58, vcc_lo, s11, v58, vcc_lo
	s_delay_alu instid0(VALU_DEP_3) | instskip(NEXT) | instid1(VALU_DEP_4)
	v_add_co_u32 v59, vcc_lo, s10, v49
	v_add_co_ci_u32_e32 v60, vcc_lo, s11, v50, vcc_lo
	s_clause 0x1
	global_load_b64 v[49:50], v[57:58], off
	global_load_b64 v[61:62], v[59:60], off
	s_waitcnt vmcnt(0)
	v_cmp_eq_f64_e32 vcc_lo, v[49:50], v[61:62]
	v_mov_b32_e32 v49, 1
	v_mov_b32_e32 v50, 0
	s_and_saveexec_b32 s18, vcc_lo
	s_cbranch_execz .LBB805_1021
; %bb.1014:
	v_add_co_u32 v49, vcc_lo, v59, 8
	v_add_co_ci_u32_e32 v50, vcc_lo, 0, v60, vcc_lo
	v_add_co_u32 v57, vcc_lo, v57, 8
	v_add_co_ci_u32_e32 v58, vcc_lo, 0, v58, vcc_lo
	s_add_u32 s12, s8, -1
	s_addc_u32 s13, s9, -1
	s_mov_b64 s[14:15], 0
	s_mov_b32 s19, 0
                                        ; implicit-def: $sgpr20
	s_set_inst_prefetch_distance 0x1
	s_branch .LBB805_1017
	.p2align	6
.LBB805_1015:                           ;   in Loop: Header=BB805_1017 Depth=1
	global_load_b64 v[59:60], v[57:58], off
	global_load_b64 v[61:62], v[49:50], off
	v_add_co_u32 v49, s0, v49, 8
	s_delay_alu instid0(VALU_DEP_1) | instskip(SKIP_1) | instid1(VALU_DEP_1)
	v_add_co_ci_u32_e64 v50, s0, 0, v50, s0
	v_add_co_u32 v57, s0, v57, 8
	v_add_co_ci_u32_e64 v58, s0, 0, v58, s0
	s_add_u32 s14, s14, 1
	s_addc_u32 s15, s15, 0
	s_and_not1_b32 s0, s20, exec_lo
	s_waitcnt vmcnt(0)
	v_cmp_neq_f64_e32 vcc_lo, v[59:60], v[61:62]
	s_and_b32 s20, vcc_lo, exec_lo
	s_delay_alu instid0(SALU_CYCLE_1)
	s_or_b32 s20, s0, s20
.LBB805_1016:                           ;   in Loop: Header=BB805_1017 Depth=1
	v_dual_mov_b32 v60, s15 :: v_dual_mov_b32 v59, s14
	s_and_b32 s0, exec_lo, s20
	s_delay_alu instid0(SALU_CYCLE_1) | instskip(NEXT) | instid1(SALU_CYCLE_1)
	s_or_b32 s19, s0, s19
	s_and_not1_b32 exec_lo, exec_lo, s19
	s_cbranch_execz .LBB805_1020
.LBB805_1017:                           ; =>This Inner Loop Header: Depth=1
	s_or_b32 s20, s20, exec_lo
	s_cmp_eq_u64 s[12:13], s[14:15]
	s_cbranch_scc0 .LBB805_1015
; %bb.1018:                             ;   in Loop: Header=BB805_1017 Depth=1
	s_mov_b64 s[14:15], s[8:9]
                                        ; implicit-def: $vgpr49_vgpr50
                                        ; implicit-def: $vgpr57_vgpr58
	s_branch .LBB805_1016
.LBB805_1019:
	v_mov_b32_e32 v49, 0
	v_mov_b32_e32 v50, 0
	s_branch .LBB805_1022
.LBB805_1020:
	s_set_inst_prefetch_distance 0x2
	s_or_b32 exec_lo, exec_lo, s19
	v_cmp_gt_i64_e32 vcc_lo, s[8:9], v[59:60]
	s_mov_b32 s0, 0
	s_delay_alu instid0(SALU_CYCLE_1)
	v_mov_b32_e32 v50, s0
	v_cndmask_b32_e64 v49, 0, 1, vcc_lo
.LBB805_1021:
	s_or_b32 exec_lo, exec_lo, s18
.LBB805_1022:
	s_delay_alu instid0(SALU_CYCLE_1) | instskip(SKIP_2) | instid1(VALU_DEP_1)
	s_or_b32 exec_lo, exec_lo, s3
	v_add_nc_u32_e32 v57, 19, v64
	s_mov_b32 s3, exec_lo
	v_cmpx_gt_u32_e64 s6, v57
	s_cbranch_execz .LBB805_1033
; %bb.1023:
	v_cmp_ne_u32_e32 vcc_lo, 1, v63
	s_cbranch_vccnz .LBB805_1030
; %bb.1024:
	v_mul_lo_u32 v59, v48, s8
	v_mul_lo_u32 v60, v47, s9
	v_mad_u64_u32 v[57:58], null, v47, s8, 0
	v_mul_lo_u32 v61, v46, s8
	v_mul_lo_u32 v62, v45, s9
	v_mad_u64_u32 v[47:48], null, v45, s8, 0
	s_delay_alu instid0(VALU_DEP_4) | instskip(NEXT) | instid1(VALU_DEP_2)
	v_add3_u32 v58, v58, v60, v59
	v_add3_u32 v48, v48, v62, v61
	s_delay_alu instid0(VALU_DEP_2) | instskip(NEXT) | instid1(VALU_DEP_2)
	v_lshlrev_b64 v[57:58], 3, v[57:58]
	v_lshlrev_b64 v[47:48], 3, v[47:48]
	s_delay_alu instid0(VALU_DEP_2) | instskip(NEXT) | instid1(VALU_DEP_3)
	v_add_co_u32 v57, vcc_lo, s10, v57
	v_add_co_ci_u32_e32 v58, vcc_lo, s11, v58, vcc_lo
	s_delay_alu instid0(VALU_DEP_3) | instskip(NEXT) | instid1(VALU_DEP_4)
	v_add_co_u32 v59, vcc_lo, s10, v47
	v_add_co_ci_u32_e32 v60, vcc_lo, s11, v48, vcc_lo
	s_clause 0x1
	global_load_b64 v[47:48], v[57:58], off
	global_load_b64 v[61:62], v[59:60], off
	s_waitcnt vmcnt(0)
	v_cmp_eq_f64_e32 vcc_lo, v[47:48], v[61:62]
	v_mov_b32_e32 v47, 1
	v_mov_b32_e32 v48, 0
	s_and_saveexec_b32 s18, vcc_lo
	s_cbranch_execz .LBB805_1032
; %bb.1025:
	v_add_co_u32 v47, vcc_lo, v59, 8
	v_add_co_ci_u32_e32 v48, vcc_lo, 0, v60, vcc_lo
	v_add_co_u32 v57, vcc_lo, v57, 8
	v_add_co_ci_u32_e32 v58, vcc_lo, 0, v58, vcc_lo
	s_add_u32 s12, s8, -1
	s_addc_u32 s13, s9, -1
	s_mov_b64 s[14:15], 0
	s_mov_b32 s19, 0
                                        ; implicit-def: $sgpr20
	s_set_inst_prefetch_distance 0x1
	s_branch .LBB805_1028
	.p2align	6
.LBB805_1026:                           ;   in Loop: Header=BB805_1028 Depth=1
	global_load_b64 v[59:60], v[57:58], off
	global_load_b64 v[61:62], v[47:48], off
	v_add_co_u32 v47, s0, v47, 8
	s_delay_alu instid0(VALU_DEP_1) | instskip(SKIP_1) | instid1(VALU_DEP_1)
	v_add_co_ci_u32_e64 v48, s0, 0, v48, s0
	v_add_co_u32 v57, s0, v57, 8
	v_add_co_ci_u32_e64 v58, s0, 0, v58, s0
	s_add_u32 s14, s14, 1
	s_addc_u32 s15, s15, 0
	s_and_not1_b32 s0, s20, exec_lo
	s_waitcnt vmcnt(0)
	v_cmp_neq_f64_e32 vcc_lo, v[59:60], v[61:62]
	s_and_b32 s20, vcc_lo, exec_lo
	s_delay_alu instid0(SALU_CYCLE_1)
	s_or_b32 s20, s0, s20
.LBB805_1027:                           ;   in Loop: Header=BB805_1028 Depth=1
	v_dual_mov_b32 v60, s15 :: v_dual_mov_b32 v59, s14
	s_and_b32 s0, exec_lo, s20
	s_delay_alu instid0(SALU_CYCLE_1) | instskip(NEXT) | instid1(SALU_CYCLE_1)
	s_or_b32 s19, s0, s19
	s_and_not1_b32 exec_lo, exec_lo, s19
	s_cbranch_execz .LBB805_1031
.LBB805_1028:                           ; =>This Inner Loop Header: Depth=1
	s_or_b32 s20, s20, exec_lo
	s_cmp_eq_u64 s[12:13], s[14:15]
	s_cbranch_scc0 .LBB805_1026
; %bb.1029:                             ;   in Loop: Header=BB805_1028 Depth=1
	s_mov_b64 s[14:15], s[8:9]
                                        ; implicit-def: $vgpr47_vgpr48
                                        ; implicit-def: $vgpr57_vgpr58
	s_branch .LBB805_1027
.LBB805_1030:
	v_mov_b32_e32 v47, 0
	v_mov_b32_e32 v48, 0
	s_branch .LBB805_1033
.LBB805_1031:
	s_set_inst_prefetch_distance 0x2
	s_or_b32 exec_lo, exec_lo, s19
	v_cmp_gt_i64_e32 vcc_lo, s[8:9], v[59:60]
	s_mov_b32 s0, 0
	s_delay_alu instid0(SALU_CYCLE_1)
	v_mov_b32_e32 v48, s0
	v_cndmask_b32_e64 v47, 0, 1, vcc_lo
.LBB805_1032:
	s_or_b32 exec_lo, exec_lo, s18
.LBB805_1033:
	s_delay_alu instid0(SALU_CYCLE_1) | instskip(SKIP_2) | instid1(VALU_DEP_1)
	s_or_b32 exec_lo, exec_lo, s3
	v_add_nc_u32_e32 v57, 18, v64
	s_mov_b32 s3, exec_lo
	v_cmpx_gt_u32_e64 s6, v57
	s_cbranch_execz .LBB805_1044
; %bb.1034:
	v_cmp_ne_u32_e32 vcc_lo, 1, v63
	s_cbranch_vccnz .LBB805_1041
; %bb.1035:
	v_mul_lo_u32 v59, v46, s8
	v_mul_lo_u32 v60, v45, s9
	v_mad_u64_u32 v[57:58], null, v45, s8, 0
	v_mul_lo_u32 v61, v44, s8
	v_mul_lo_u32 v62, v43, s9
	v_mad_u64_u32 v[45:46], null, v43, s8, 0
	s_delay_alu instid0(VALU_DEP_4) | instskip(NEXT) | instid1(VALU_DEP_2)
	v_add3_u32 v58, v58, v60, v59
	v_add3_u32 v46, v46, v62, v61
	s_delay_alu instid0(VALU_DEP_2) | instskip(NEXT) | instid1(VALU_DEP_2)
	v_lshlrev_b64 v[57:58], 3, v[57:58]
	v_lshlrev_b64 v[45:46], 3, v[45:46]
	s_delay_alu instid0(VALU_DEP_2) | instskip(NEXT) | instid1(VALU_DEP_3)
	v_add_co_u32 v57, vcc_lo, s10, v57
	v_add_co_ci_u32_e32 v58, vcc_lo, s11, v58, vcc_lo
	s_delay_alu instid0(VALU_DEP_3) | instskip(NEXT) | instid1(VALU_DEP_4)
	v_add_co_u32 v59, vcc_lo, s10, v45
	v_add_co_ci_u32_e32 v60, vcc_lo, s11, v46, vcc_lo
	s_clause 0x1
	global_load_b64 v[45:46], v[57:58], off
	global_load_b64 v[61:62], v[59:60], off
	s_waitcnt vmcnt(0)
	v_cmp_eq_f64_e32 vcc_lo, v[45:46], v[61:62]
	v_mov_b32_e32 v45, 1
	v_mov_b32_e32 v46, 0
	s_and_saveexec_b32 s18, vcc_lo
	s_cbranch_execz .LBB805_1043
; %bb.1036:
	v_add_co_u32 v45, vcc_lo, v59, 8
	v_add_co_ci_u32_e32 v46, vcc_lo, 0, v60, vcc_lo
	v_add_co_u32 v57, vcc_lo, v57, 8
	v_add_co_ci_u32_e32 v58, vcc_lo, 0, v58, vcc_lo
	s_add_u32 s12, s8, -1
	s_addc_u32 s13, s9, -1
	s_mov_b64 s[14:15], 0
	s_mov_b32 s19, 0
                                        ; implicit-def: $sgpr20
	s_set_inst_prefetch_distance 0x1
	s_branch .LBB805_1039
	.p2align	6
.LBB805_1037:                           ;   in Loop: Header=BB805_1039 Depth=1
	global_load_b64 v[59:60], v[57:58], off
	global_load_b64 v[61:62], v[45:46], off
	v_add_co_u32 v45, s0, v45, 8
	s_delay_alu instid0(VALU_DEP_1) | instskip(SKIP_1) | instid1(VALU_DEP_1)
	v_add_co_ci_u32_e64 v46, s0, 0, v46, s0
	v_add_co_u32 v57, s0, v57, 8
	v_add_co_ci_u32_e64 v58, s0, 0, v58, s0
	s_add_u32 s14, s14, 1
	s_addc_u32 s15, s15, 0
	s_and_not1_b32 s0, s20, exec_lo
	s_waitcnt vmcnt(0)
	v_cmp_neq_f64_e32 vcc_lo, v[59:60], v[61:62]
	s_and_b32 s20, vcc_lo, exec_lo
	s_delay_alu instid0(SALU_CYCLE_1)
	s_or_b32 s20, s0, s20
.LBB805_1038:                           ;   in Loop: Header=BB805_1039 Depth=1
	v_dual_mov_b32 v60, s15 :: v_dual_mov_b32 v59, s14
	s_and_b32 s0, exec_lo, s20
	s_delay_alu instid0(SALU_CYCLE_1) | instskip(NEXT) | instid1(SALU_CYCLE_1)
	s_or_b32 s19, s0, s19
	s_and_not1_b32 exec_lo, exec_lo, s19
	s_cbranch_execz .LBB805_1042
.LBB805_1039:                           ; =>This Inner Loop Header: Depth=1
	s_or_b32 s20, s20, exec_lo
	s_cmp_eq_u64 s[12:13], s[14:15]
	s_cbranch_scc0 .LBB805_1037
; %bb.1040:                             ;   in Loop: Header=BB805_1039 Depth=1
	s_mov_b64 s[14:15], s[8:9]
                                        ; implicit-def: $vgpr45_vgpr46
                                        ; implicit-def: $vgpr57_vgpr58
	s_branch .LBB805_1038
.LBB805_1041:
	v_mov_b32_e32 v45, 0
	v_mov_b32_e32 v46, 0
	s_branch .LBB805_1044
.LBB805_1042:
	s_set_inst_prefetch_distance 0x2
	s_or_b32 exec_lo, exec_lo, s19
	v_cmp_gt_i64_e32 vcc_lo, s[8:9], v[59:60]
	s_mov_b32 s0, 0
	s_delay_alu instid0(SALU_CYCLE_1)
	v_mov_b32_e32 v46, s0
	v_cndmask_b32_e64 v45, 0, 1, vcc_lo
.LBB805_1043:
	s_or_b32 exec_lo, exec_lo, s18
.LBB805_1044:
	s_delay_alu instid0(SALU_CYCLE_1) | instskip(SKIP_2) | instid1(VALU_DEP_1)
	s_or_b32 exec_lo, exec_lo, s3
	v_add_nc_u32_e32 v57, 17, v64
	s_mov_b32 s3, exec_lo
	v_cmpx_gt_u32_e64 s6, v57
	s_cbranch_execz .LBB805_1055
; %bb.1045:
	v_cmp_ne_u32_e32 vcc_lo, 1, v63
	s_cbranch_vccnz .LBB805_1052
; %bb.1046:
	v_mul_lo_u32 v59, v44, s8
	v_mul_lo_u32 v60, v43, s9
	v_mad_u64_u32 v[57:58], null, v43, s8, 0
	v_mul_lo_u32 v61, v42, s8
	v_mul_lo_u32 v62, v41, s9
	v_mad_u64_u32 v[43:44], null, v41, s8, 0
	s_delay_alu instid0(VALU_DEP_4) | instskip(NEXT) | instid1(VALU_DEP_2)
	v_add3_u32 v58, v58, v60, v59
	v_add3_u32 v44, v44, v62, v61
	s_delay_alu instid0(VALU_DEP_2) | instskip(NEXT) | instid1(VALU_DEP_2)
	v_lshlrev_b64 v[57:58], 3, v[57:58]
	v_lshlrev_b64 v[43:44], 3, v[43:44]
	s_delay_alu instid0(VALU_DEP_2) | instskip(NEXT) | instid1(VALU_DEP_3)
	v_add_co_u32 v57, vcc_lo, s10, v57
	v_add_co_ci_u32_e32 v58, vcc_lo, s11, v58, vcc_lo
	s_delay_alu instid0(VALU_DEP_3) | instskip(NEXT) | instid1(VALU_DEP_4)
	v_add_co_u32 v59, vcc_lo, s10, v43
	v_add_co_ci_u32_e32 v60, vcc_lo, s11, v44, vcc_lo
	s_clause 0x1
	global_load_b64 v[43:44], v[57:58], off
	global_load_b64 v[61:62], v[59:60], off
	s_waitcnt vmcnt(0)
	v_cmp_eq_f64_e32 vcc_lo, v[43:44], v[61:62]
	v_mov_b32_e32 v43, 1
	v_mov_b32_e32 v44, 0
	s_and_saveexec_b32 s18, vcc_lo
	s_cbranch_execz .LBB805_1054
; %bb.1047:
	v_add_co_u32 v43, vcc_lo, v59, 8
	v_add_co_ci_u32_e32 v44, vcc_lo, 0, v60, vcc_lo
	v_add_co_u32 v57, vcc_lo, v57, 8
	v_add_co_ci_u32_e32 v58, vcc_lo, 0, v58, vcc_lo
	s_add_u32 s12, s8, -1
	s_addc_u32 s13, s9, -1
	s_mov_b64 s[14:15], 0
	s_mov_b32 s19, 0
                                        ; implicit-def: $sgpr20
	s_set_inst_prefetch_distance 0x1
	s_branch .LBB805_1050
	.p2align	6
.LBB805_1048:                           ;   in Loop: Header=BB805_1050 Depth=1
	global_load_b64 v[59:60], v[57:58], off
	global_load_b64 v[61:62], v[43:44], off
	v_add_co_u32 v43, s0, v43, 8
	s_delay_alu instid0(VALU_DEP_1) | instskip(SKIP_1) | instid1(VALU_DEP_1)
	v_add_co_ci_u32_e64 v44, s0, 0, v44, s0
	v_add_co_u32 v57, s0, v57, 8
	v_add_co_ci_u32_e64 v58, s0, 0, v58, s0
	s_add_u32 s14, s14, 1
	s_addc_u32 s15, s15, 0
	s_and_not1_b32 s0, s20, exec_lo
	s_waitcnt vmcnt(0)
	v_cmp_neq_f64_e32 vcc_lo, v[59:60], v[61:62]
	s_and_b32 s20, vcc_lo, exec_lo
	s_delay_alu instid0(SALU_CYCLE_1)
	s_or_b32 s20, s0, s20
.LBB805_1049:                           ;   in Loop: Header=BB805_1050 Depth=1
	v_dual_mov_b32 v60, s15 :: v_dual_mov_b32 v59, s14
	s_and_b32 s0, exec_lo, s20
	s_delay_alu instid0(SALU_CYCLE_1) | instskip(NEXT) | instid1(SALU_CYCLE_1)
	s_or_b32 s19, s0, s19
	s_and_not1_b32 exec_lo, exec_lo, s19
	s_cbranch_execz .LBB805_1053
.LBB805_1050:                           ; =>This Inner Loop Header: Depth=1
	s_or_b32 s20, s20, exec_lo
	s_cmp_eq_u64 s[12:13], s[14:15]
	s_cbranch_scc0 .LBB805_1048
; %bb.1051:                             ;   in Loop: Header=BB805_1050 Depth=1
	s_mov_b64 s[14:15], s[8:9]
                                        ; implicit-def: $vgpr43_vgpr44
                                        ; implicit-def: $vgpr57_vgpr58
	s_branch .LBB805_1049
.LBB805_1052:
	v_mov_b32_e32 v43, 0
	v_mov_b32_e32 v44, 0
	s_branch .LBB805_1055
.LBB805_1053:
	s_set_inst_prefetch_distance 0x2
	s_or_b32 exec_lo, exec_lo, s19
	v_cmp_gt_i64_e32 vcc_lo, s[8:9], v[59:60]
	s_mov_b32 s0, 0
	s_delay_alu instid0(SALU_CYCLE_1)
	v_mov_b32_e32 v44, s0
	v_cndmask_b32_e64 v43, 0, 1, vcc_lo
.LBB805_1054:
	s_or_b32 exec_lo, exec_lo, s18
.LBB805_1055:
	s_delay_alu instid0(SALU_CYCLE_1) | instskip(SKIP_2) | instid1(VALU_DEP_1)
	s_or_b32 exec_lo, exec_lo, s3
	v_add_nc_u32_e32 v57, 16, v64
	s_mov_b32 s3, exec_lo
	v_cmpx_gt_u32_e64 s6, v57
	s_cbranch_execz .LBB805_1066
; %bb.1056:
	v_cmp_ne_u32_e32 vcc_lo, 1, v63
	s_cbranch_vccnz .LBB805_1063
; %bb.1057:
	v_mul_lo_u32 v59, v42, s8
	v_mul_lo_u32 v60, v41, s9
	v_mad_u64_u32 v[57:58], null, v41, s8, 0
	v_mul_lo_u32 v61, v40, s8
	v_mul_lo_u32 v62, v39, s9
	v_mad_u64_u32 v[41:42], null, v39, s8, 0
	s_delay_alu instid0(VALU_DEP_4) | instskip(NEXT) | instid1(VALU_DEP_2)
	v_add3_u32 v58, v58, v60, v59
	v_add3_u32 v42, v42, v62, v61
	s_delay_alu instid0(VALU_DEP_2) | instskip(NEXT) | instid1(VALU_DEP_2)
	v_lshlrev_b64 v[57:58], 3, v[57:58]
	v_lshlrev_b64 v[41:42], 3, v[41:42]
	s_delay_alu instid0(VALU_DEP_2) | instskip(NEXT) | instid1(VALU_DEP_3)
	v_add_co_u32 v57, vcc_lo, s10, v57
	v_add_co_ci_u32_e32 v58, vcc_lo, s11, v58, vcc_lo
	s_delay_alu instid0(VALU_DEP_3) | instskip(NEXT) | instid1(VALU_DEP_4)
	v_add_co_u32 v59, vcc_lo, s10, v41
	v_add_co_ci_u32_e32 v60, vcc_lo, s11, v42, vcc_lo
	s_clause 0x1
	global_load_b64 v[41:42], v[57:58], off
	global_load_b64 v[61:62], v[59:60], off
	s_waitcnt vmcnt(0)
	v_cmp_eq_f64_e32 vcc_lo, v[41:42], v[61:62]
	v_mov_b32_e32 v41, 1
	v_mov_b32_e32 v42, 0
	s_and_saveexec_b32 s18, vcc_lo
	s_cbranch_execz .LBB805_1065
; %bb.1058:
	v_add_co_u32 v41, vcc_lo, v59, 8
	v_add_co_ci_u32_e32 v42, vcc_lo, 0, v60, vcc_lo
	v_add_co_u32 v57, vcc_lo, v57, 8
	v_add_co_ci_u32_e32 v58, vcc_lo, 0, v58, vcc_lo
	s_add_u32 s12, s8, -1
	s_addc_u32 s13, s9, -1
	s_mov_b64 s[14:15], 0
	s_mov_b32 s19, 0
                                        ; implicit-def: $sgpr20
	s_set_inst_prefetch_distance 0x1
	s_branch .LBB805_1061
	.p2align	6
.LBB805_1059:                           ;   in Loop: Header=BB805_1061 Depth=1
	global_load_b64 v[59:60], v[57:58], off
	global_load_b64 v[61:62], v[41:42], off
	v_add_co_u32 v41, s0, v41, 8
	s_delay_alu instid0(VALU_DEP_1) | instskip(SKIP_1) | instid1(VALU_DEP_1)
	v_add_co_ci_u32_e64 v42, s0, 0, v42, s0
	v_add_co_u32 v57, s0, v57, 8
	v_add_co_ci_u32_e64 v58, s0, 0, v58, s0
	s_add_u32 s14, s14, 1
	s_addc_u32 s15, s15, 0
	s_and_not1_b32 s0, s20, exec_lo
	s_waitcnt vmcnt(0)
	v_cmp_neq_f64_e32 vcc_lo, v[59:60], v[61:62]
	s_and_b32 s20, vcc_lo, exec_lo
	s_delay_alu instid0(SALU_CYCLE_1)
	s_or_b32 s20, s0, s20
.LBB805_1060:                           ;   in Loop: Header=BB805_1061 Depth=1
	v_dual_mov_b32 v60, s15 :: v_dual_mov_b32 v59, s14
	s_and_b32 s0, exec_lo, s20
	s_delay_alu instid0(SALU_CYCLE_1) | instskip(NEXT) | instid1(SALU_CYCLE_1)
	s_or_b32 s19, s0, s19
	s_and_not1_b32 exec_lo, exec_lo, s19
	s_cbranch_execz .LBB805_1064
.LBB805_1061:                           ; =>This Inner Loop Header: Depth=1
	s_or_b32 s20, s20, exec_lo
	s_cmp_eq_u64 s[12:13], s[14:15]
	s_cbranch_scc0 .LBB805_1059
; %bb.1062:                             ;   in Loop: Header=BB805_1061 Depth=1
	s_mov_b64 s[14:15], s[8:9]
                                        ; implicit-def: $vgpr41_vgpr42
                                        ; implicit-def: $vgpr57_vgpr58
	s_branch .LBB805_1060
.LBB805_1063:
	v_mov_b32_e32 v41, 0
	v_mov_b32_e32 v42, 0
	s_branch .LBB805_1066
.LBB805_1064:
	s_set_inst_prefetch_distance 0x2
	s_or_b32 exec_lo, exec_lo, s19
	v_cmp_gt_i64_e32 vcc_lo, s[8:9], v[59:60]
	s_mov_b32 s0, 0
	s_delay_alu instid0(SALU_CYCLE_1)
	v_mov_b32_e32 v42, s0
	v_cndmask_b32_e64 v41, 0, 1, vcc_lo
.LBB805_1065:
	s_or_b32 exec_lo, exec_lo, s18
.LBB805_1066:
	s_delay_alu instid0(SALU_CYCLE_1) | instskip(SKIP_2) | instid1(VALU_DEP_1)
	s_or_b32 exec_lo, exec_lo, s3
	v_add_nc_u32_e32 v57, 15, v64
	s_mov_b32 s3, exec_lo
	v_cmpx_gt_u32_e64 s6, v57
	s_cbranch_execz .LBB805_1077
; %bb.1067:
	v_cmp_ne_u32_e32 vcc_lo, 1, v63
	s_cbranch_vccnz .LBB805_1074
; %bb.1068:
	v_mul_lo_u32 v59, v40, s8
	v_mul_lo_u32 v60, v39, s9
	v_mad_u64_u32 v[57:58], null, v39, s8, 0
	v_mul_lo_u32 v61, v38, s8
	v_mul_lo_u32 v62, v37, s9
	v_mad_u64_u32 v[39:40], null, v37, s8, 0
	s_delay_alu instid0(VALU_DEP_4) | instskip(NEXT) | instid1(VALU_DEP_2)
	v_add3_u32 v58, v58, v60, v59
	v_add3_u32 v40, v40, v62, v61
	s_delay_alu instid0(VALU_DEP_2) | instskip(NEXT) | instid1(VALU_DEP_2)
	v_lshlrev_b64 v[57:58], 3, v[57:58]
	v_lshlrev_b64 v[39:40], 3, v[39:40]
	s_delay_alu instid0(VALU_DEP_2) | instskip(NEXT) | instid1(VALU_DEP_3)
	v_add_co_u32 v57, vcc_lo, s10, v57
	v_add_co_ci_u32_e32 v58, vcc_lo, s11, v58, vcc_lo
	s_delay_alu instid0(VALU_DEP_3) | instskip(NEXT) | instid1(VALU_DEP_4)
	v_add_co_u32 v59, vcc_lo, s10, v39
	v_add_co_ci_u32_e32 v60, vcc_lo, s11, v40, vcc_lo
	s_clause 0x1
	global_load_b64 v[39:40], v[57:58], off
	global_load_b64 v[61:62], v[59:60], off
	s_waitcnt vmcnt(0)
	v_cmp_eq_f64_e32 vcc_lo, v[39:40], v[61:62]
	v_mov_b32_e32 v39, 1
	v_mov_b32_e32 v40, 0
	s_and_saveexec_b32 s18, vcc_lo
	s_cbranch_execz .LBB805_1076
; %bb.1069:
	v_add_co_u32 v39, vcc_lo, v59, 8
	v_add_co_ci_u32_e32 v40, vcc_lo, 0, v60, vcc_lo
	v_add_co_u32 v57, vcc_lo, v57, 8
	v_add_co_ci_u32_e32 v58, vcc_lo, 0, v58, vcc_lo
	s_add_u32 s12, s8, -1
	s_addc_u32 s13, s9, -1
	s_mov_b64 s[14:15], 0
	s_mov_b32 s19, 0
                                        ; implicit-def: $sgpr20
	s_set_inst_prefetch_distance 0x1
	s_branch .LBB805_1072
	.p2align	6
.LBB805_1070:                           ;   in Loop: Header=BB805_1072 Depth=1
	global_load_b64 v[59:60], v[57:58], off
	global_load_b64 v[61:62], v[39:40], off
	v_add_co_u32 v39, s0, v39, 8
	s_delay_alu instid0(VALU_DEP_1) | instskip(SKIP_1) | instid1(VALU_DEP_1)
	v_add_co_ci_u32_e64 v40, s0, 0, v40, s0
	v_add_co_u32 v57, s0, v57, 8
	v_add_co_ci_u32_e64 v58, s0, 0, v58, s0
	s_add_u32 s14, s14, 1
	s_addc_u32 s15, s15, 0
	s_and_not1_b32 s0, s20, exec_lo
	s_waitcnt vmcnt(0)
	v_cmp_neq_f64_e32 vcc_lo, v[59:60], v[61:62]
	s_and_b32 s20, vcc_lo, exec_lo
	s_delay_alu instid0(SALU_CYCLE_1)
	s_or_b32 s20, s0, s20
.LBB805_1071:                           ;   in Loop: Header=BB805_1072 Depth=1
	v_dual_mov_b32 v60, s15 :: v_dual_mov_b32 v59, s14
	s_and_b32 s0, exec_lo, s20
	s_delay_alu instid0(SALU_CYCLE_1) | instskip(NEXT) | instid1(SALU_CYCLE_1)
	s_or_b32 s19, s0, s19
	s_and_not1_b32 exec_lo, exec_lo, s19
	s_cbranch_execz .LBB805_1075
.LBB805_1072:                           ; =>This Inner Loop Header: Depth=1
	s_or_b32 s20, s20, exec_lo
	s_cmp_eq_u64 s[12:13], s[14:15]
	s_cbranch_scc0 .LBB805_1070
; %bb.1073:                             ;   in Loop: Header=BB805_1072 Depth=1
	s_mov_b64 s[14:15], s[8:9]
                                        ; implicit-def: $vgpr39_vgpr40
                                        ; implicit-def: $vgpr57_vgpr58
	s_branch .LBB805_1071
.LBB805_1074:
	v_mov_b32_e32 v39, 0
	v_mov_b32_e32 v40, 0
	s_branch .LBB805_1077
.LBB805_1075:
	s_set_inst_prefetch_distance 0x2
	s_or_b32 exec_lo, exec_lo, s19
	v_cmp_gt_i64_e32 vcc_lo, s[8:9], v[59:60]
	s_mov_b32 s0, 0
	s_delay_alu instid0(SALU_CYCLE_1)
	v_mov_b32_e32 v40, s0
	v_cndmask_b32_e64 v39, 0, 1, vcc_lo
.LBB805_1076:
	s_or_b32 exec_lo, exec_lo, s18
.LBB805_1077:
	s_delay_alu instid0(SALU_CYCLE_1) | instskip(SKIP_2) | instid1(VALU_DEP_1)
	s_or_b32 exec_lo, exec_lo, s3
	v_add_nc_u32_e32 v57, 14, v64
	s_mov_b32 s3, exec_lo
	v_cmpx_gt_u32_e64 s6, v57
	s_cbranch_execz .LBB805_1088
; %bb.1078:
	v_cmp_ne_u32_e32 vcc_lo, 1, v63
	s_cbranch_vccnz .LBB805_1085
; %bb.1079:
	v_mul_lo_u32 v59, v38, s8
	v_mul_lo_u32 v60, v37, s9
	v_mad_u64_u32 v[57:58], null, v37, s8, 0
	v_mul_lo_u32 v61, v36, s8
	v_mul_lo_u32 v62, v35, s9
	v_mad_u64_u32 v[37:38], null, v35, s8, 0
	s_delay_alu instid0(VALU_DEP_4) | instskip(NEXT) | instid1(VALU_DEP_2)
	v_add3_u32 v58, v58, v60, v59
	v_add3_u32 v38, v38, v62, v61
	s_delay_alu instid0(VALU_DEP_2) | instskip(NEXT) | instid1(VALU_DEP_2)
	v_lshlrev_b64 v[57:58], 3, v[57:58]
	v_lshlrev_b64 v[37:38], 3, v[37:38]
	s_delay_alu instid0(VALU_DEP_2) | instskip(NEXT) | instid1(VALU_DEP_3)
	v_add_co_u32 v57, vcc_lo, s10, v57
	v_add_co_ci_u32_e32 v58, vcc_lo, s11, v58, vcc_lo
	s_delay_alu instid0(VALU_DEP_3) | instskip(NEXT) | instid1(VALU_DEP_4)
	v_add_co_u32 v59, vcc_lo, s10, v37
	v_add_co_ci_u32_e32 v60, vcc_lo, s11, v38, vcc_lo
	s_clause 0x1
	global_load_b64 v[37:38], v[57:58], off
	global_load_b64 v[61:62], v[59:60], off
	s_waitcnt vmcnt(0)
	v_cmp_eq_f64_e32 vcc_lo, v[37:38], v[61:62]
	v_mov_b32_e32 v37, 1
	v_mov_b32_e32 v38, 0
	s_and_saveexec_b32 s18, vcc_lo
	s_cbranch_execz .LBB805_1087
; %bb.1080:
	v_add_co_u32 v37, vcc_lo, v59, 8
	v_add_co_ci_u32_e32 v38, vcc_lo, 0, v60, vcc_lo
	v_add_co_u32 v57, vcc_lo, v57, 8
	v_add_co_ci_u32_e32 v58, vcc_lo, 0, v58, vcc_lo
	s_add_u32 s12, s8, -1
	s_addc_u32 s13, s9, -1
	s_mov_b64 s[14:15], 0
	s_mov_b32 s19, 0
                                        ; implicit-def: $sgpr20
	s_set_inst_prefetch_distance 0x1
	s_branch .LBB805_1083
	.p2align	6
.LBB805_1081:                           ;   in Loop: Header=BB805_1083 Depth=1
	global_load_b64 v[59:60], v[57:58], off
	global_load_b64 v[61:62], v[37:38], off
	v_add_co_u32 v37, s0, v37, 8
	s_delay_alu instid0(VALU_DEP_1) | instskip(SKIP_1) | instid1(VALU_DEP_1)
	v_add_co_ci_u32_e64 v38, s0, 0, v38, s0
	v_add_co_u32 v57, s0, v57, 8
	v_add_co_ci_u32_e64 v58, s0, 0, v58, s0
	s_add_u32 s14, s14, 1
	s_addc_u32 s15, s15, 0
	s_and_not1_b32 s0, s20, exec_lo
	s_waitcnt vmcnt(0)
	v_cmp_neq_f64_e32 vcc_lo, v[59:60], v[61:62]
	s_and_b32 s20, vcc_lo, exec_lo
	s_delay_alu instid0(SALU_CYCLE_1)
	s_or_b32 s20, s0, s20
.LBB805_1082:                           ;   in Loop: Header=BB805_1083 Depth=1
	v_dual_mov_b32 v60, s15 :: v_dual_mov_b32 v59, s14
	s_and_b32 s0, exec_lo, s20
	s_delay_alu instid0(SALU_CYCLE_1) | instskip(NEXT) | instid1(SALU_CYCLE_1)
	s_or_b32 s19, s0, s19
	s_and_not1_b32 exec_lo, exec_lo, s19
	s_cbranch_execz .LBB805_1086
.LBB805_1083:                           ; =>This Inner Loop Header: Depth=1
	s_or_b32 s20, s20, exec_lo
	s_cmp_eq_u64 s[12:13], s[14:15]
	s_cbranch_scc0 .LBB805_1081
; %bb.1084:                             ;   in Loop: Header=BB805_1083 Depth=1
	s_mov_b64 s[14:15], s[8:9]
                                        ; implicit-def: $vgpr37_vgpr38
                                        ; implicit-def: $vgpr57_vgpr58
	s_branch .LBB805_1082
.LBB805_1085:
	v_mov_b32_e32 v37, 0
	v_mov_b32_e32 v38, 0
	s_branch .LBB805_1088
.LBB805_1086:
	s_set_inst_prefetch_distance 0x2
	s_or_b32 exec_lo, exec_lo, s19
	v_cmp_gt_i64_e32 vcc_lo, s[8:9], v[59:60]
	s_mov_b32 s0, 0
	s_delay_alu instid0(SALU_CYCLE_1)
	v_mov_b32_e32 v38, s0
	v_cndmask_b32_e64 v37, 0, 1, vcc_lo
.LBB805_1087:
	s_or_b32 exec_lo, exec_lo, s18
.LBB805_1088:
	s_delay_alu instid0(SALU_CYCLE_1) | instskip(SKIP_2) | instid1(VALU_DEP_1)
	s_or_b32 exec_lo, exec_lo, s3
	v_add_nc_u32_e32 v57, 13, v64
	s_mov_b32 s3, exec_lo
	v_cmpx_gt_u32_e64 s6, v57
	s_cbranch_execz .LBB805_1099
; %bb.1089:
	v_cmp_ne_u32_e32 vcc_lo, 1, v63
	s_cbranch_vccnz .LBB805_1096
; %bb.1090:
	v_mul_lo_u32 v59, v36, s8
	v_mul_lo_u32 v60, v35, s9
	v_mad_u64_u32 v[57:58], null, v35, s8, 0
	v_mul_lo_u32 v61, v34, s8
	v_mul_lo_u32 v62, v33, s9
	v_mad_u64_u32 v[35:36], null, v33, s8, 0
	s_delay_alu instid0(VALU_DEP_4) | instskip(NEXT) | instid1(VALU_DEP_2)
	v_add3_u32 v58, v58, v60, v59
	v_add3_u32 v36, v36, v62, v61
	s_delay_alu instid0(VALU_DEP_2) | instskip(NEXT) | instid1(VALU_DEP_2)
	v_lshlrev_b64 v[57:58], 3, v[57:58]
	v_lshlrev_b64 v[35:36], 3, v[35:36]
	s_delay_alu instid0(VALU_DEP_2) | instskip(NEXT) | instid1(VALU_DEP_3)
	v_add_co_u32 v57, vcc_lo, s10, v57
	v_add_co_ci_u32_e32 v58, vcc_lo, s11, v58, vcc_lo
	s_delay_alu instid0(VALU_DEP_3) | instskip(NEXT) | instid1(VALU_DEP_4)
	v_add_co_u32 v59, vcc_lo, s10, v35
	v_add_co_ci_u32_e32 v60, vcc_lo, s11, v36, vcc_lo
	s_clause 0x1
	global_load_b64 v[35:36], v[57:58], off
	global_load_b64 v[61:62], v[59:60], off
	s_waitcnt vmcnt(0)
	v_cmp_eq_f64_e32 vcc_lo, v[35:36], v[61:62]
	v_mov_b32_e32 v35, 1
	v_mov_b32_e32 v36, 0
	s_and_saveexec_b32 s18, vcc_lo
	s_cbranch_execz .LBB805_1098
; %bb.1091:
	v_add_co_u32 v35, vcc_lo, v59, 8
	v_add_co_ci_u32_e32 v36, vcc_lo, 0, v60, vcc_lo
	v_add_co_u32 v57, vcc_lo, v57, 8
	v_add_co_ci_u32_e32 v58, vcc_lo, 0, v58, vcc_lo
	s_add_u32 s12, s8, -1
	s_addc_u32 s13, s9, -1
	s_mov_b64 s[14:15], 0
	s_mov_b32 s19, 0
                                        ; implicit-def: $sgpr20
	s_set_inst_prefetch_distance 0x1
	s_branch .LBB805_1094
	.p2align	6
.LBB805_1092:                           ;   in Loop: Header=BB805_1094 Depth=1
	global_load_b64 v[59:60], v[57:58], off
	global_load_b64 v[61:62], v[35:36], off
	v_add_co_u32 v35, s0, v35, 8
	s_delay_alu instid0(VALU_DEP_1) | instskip(SKIP_1) | instid1(VALU_DEP_1)
	v_add_co_ci_u32_e64 v36, s0, 0, v36, s0
	v_add_co_u32 v57, s0, v57, 8
	v_add_co_ci_u32_e64 v58, s0, 0, v58, s0
	s_add_u32 s14, s14, 1
	s_addc_u32 s15, s15, 0
	s_and_not1_b32 s0, s20, exec_lo
	s_waitcnt vmcnt(0)
	v_cmp_neq_f64_e32 vcc_lo, v[59:60], v[61:62]
	s_and_b32 s20, vcc_lo, exec_lo
	s_delay_alu instid0(SALU_CYCLE_1)
	s_or_b32 s20, s0, s20
.LBB805_1093:                           ;   in Loop: Header=BB805_1094 Depth=1
	v_dual_mov_b32 v60, s15 :: v_dual_mov_b32 v59, s14
	s_and_b32 s0, exec_lo, s20
	s_delay_alu instid0(SALU_CYCLE_1) | instskip(NEXT) | instid1(SALU_CYCLE_1)
	s_or_b32 s19, s0, s19
	s_and_not1_b32 exec_lo, exec_lo, s19
	s_cbranch_execz .LBB805_1097
.LBB805_1094:                           ; =>This Inner Loop Header: Depth=1
	s_or_b32 s20, s20, exec_lo
	s_cmp_eq_u64 s[12:13], s[14:15]
	s_cbranch_scc0 .LBB805_1092
; %bb.1095:                             ;   in Loop: Header=BB805_1094 Depth=1
	s_mov_b64 s[14:15], s[8:9]
                                        ; implicit-def: $vgpr35_vgpr36
                                        ; implicit-def: $vgpr57_vgpr58
	s_branch .LBB805_1093
.LBB805_1096:
	v_mov_b32_e32 v35, 0
	v_mov_b32_e32 v36, 0
	s_branch .LBB805_1099
.LBB805_1097:
	s_set_inst_prefetch_distance 0x2
	s_or_b32 exec_lo, exec_lo, s19
	v_cmp_gt_i64_e32 vcc_lo, s[8:9], v[59:60]
	s_mov_b32 s0, 0
	s_delay_alu instid0(SALU_CYCLE_1)
	v_mov_b32_e32 v36, s0
	v_cndmask_b32_e64 v35, 0, 1, vcc_lo
.LBB805_1098:
	s_or_b32 exec_lo, exec_lo, s18
.LBB805_1099:
	s_delay_alu instid0(SALU_CYCLE_1) | instskip(SKIP_2) | instid1(VALU_DEP_1)
	s_or_b32 exec_lo, exec_lo, s3
	v_add_nc_u32_e32 v57, 12, v64
	s_mov_b32 s3, exec_lo
	v_cmpx_gt_u32_e64 s6, v57
	s_cbranch_execz .LBB805_1110
; %bb.1100:
	v_cmp_ne_u32_e32 vcc_lo, 1, v63
	s_cbranch_vccnz .LBB805_1107
; %bb.1101:
	v_mul_lo_u32 v59, v34, s8
	v_mul_lo_u32 v60, v33, s9
	v_mad_u64_u32 v[57:58], null, v33, s8, 0
	v_mul_lo_u32 v61, v32, s8
	v_mul_lo_u32 v62, v31, s9
	v_mad_u64_u32 v[33:34], null, v31, s8, 0
	s_delay_alu instid0(VALU_DEP_4) | instskip(NEXT) | instid1(VALU_DEP_2)
	v_add3_u32 v58, v58, v60, v59
	v_add3_u32 v34, v34, v62, v61
	s_delay_alu instid0(VALU_DEP_2) | instskip(NEXT) | instid1(VALU_DEP_2)
	v_lshlrev_b64 v[57:58], 3, v[57:58]
	v_lshlrev_b64 v[33:34], 3, v[33:34]
	s_delay_alu instid0(VALU_DEP_2) | instskip(NEXT) | instid1(VALU_DEP_3)
	v_add_co_u32 v57, vcc_lo, s10, v57
	v_add_co_ci_u32_e32 v58, vcc_lo, s11, v58, vcc_lo
	s_delay_alu instid0(VALU_DEP_3) | instskip(NEXT) | instid1(VALU_DEP_4)
	v_add_co_u32 v59, vcc_lo, s10, v33
	v_add_co_ci_u32_e32 v60, vcc_lo, s11, v34, vcc_lo
	s_clause 0x1
	global_load_b64 v[33:34], v[57:58], off
	global_load_b64 v[61:62], v[59:60], off
	s_waitcnt vmcnt(0)
	v_cmp_eq_f64_e32 vcc_lo, v[33:34], v[61:62]
	v_mov_b32_e32 v33, 1
	v_mov_b32_e32 v34, 0
	s_and_saveexec_b32 s18, vcc_lo
	s_cbranch_execz .LBB805_1109
; %bb.1102:
	v_add_co_u32 v33, vcc_lo, v59, 8
	v_add_co_ci_u32_e32 v34, vcc_lo, 0, v60, vcc_lo
	v_add_co_u32 v57, vcc_lo, v57, 8
	v_add_co_ci_u32_e32 v58, vcc_lo, 0, v58, vcc_lo
	s_add_u32 s12, s8, -1
	s_addc_u32 s13, s9, -1
	s_mov_b64 s[14:15], 0
	s_mov_b32 s19, 0
                                        ; implicit-def: $sgpr20
	s_set_inst_prefetch_distance 0x1
	s_branch .LBB805_1105
	.p2align	6
.LBB805_1103:                           ;   in Loop: Header=BB805_1105 Depth=1
	global_load_b64 v[59:60], v[57:58], off
	global_load_b64 v[61:62], v[33:34], off
	v_add_co_u32 v33, s0, v33, 8
	s_delay_alu instid0(VALU_DEP_1) | instskip(SKIP_1) | instid1(VALU_DEP_1)
	v_add_co_ci_u32_e64 v34, s0, 0, v34, s0
	v_add_co_u32 v57, s0, v57, 8
	v_add_co_ci_u32_e64 v58, s0, 0, v58, s0
	s_add_u32 s14, s14, 1
	s_addc_u32 s15, s15, 0
	s_and_not1_b32 s0, s20, exec_lo
	s_waitcnt vmcnt(0)
	v_cmp_neq_f64_e32 vcc_lo, v[59:60], v[61:62]
	s_and_b32 s20, vcc_lo, exec_lo
	s_delay_alu instid0(SALU_CYCLE_1)
	s_or_b32 s20, s0, s20
.LBB805_1104:                           ;   in Loop: Header=BB805_1105 Depth=1
	v_dual_mov_b32 v60, s15 :: v_dual_mov_b32 v59, s14
	s_and_b32 s0, exec_lo, s20
	s_delay_alu instid0(SALU_CYCLE_1) | instskip(NEXT) | instid1(SALU_CYCLE_1)
	s_or_b32 s19, s0, s19
	s_and_not1_b32 exec_lo, exec_lo, s19
	s_cbranch_execz .LBB805_1108
.LBB805_1105:                           ; =>This Inner Loop Header: Depth=1
	s_or_b32 s20, s20, exec_lo
	s_cmp_eq_u64 s[12:13], s[14:15]
	s_cbranch_scc0 .LBB805_1103
; %bb.1106:                             ;   in Loop: Header=BB805_1105 Depth=1
	s_mov_b64 s[14:15], s[8:9]
                                        ; implicit-def: $vgpr33_vgpr34
                                        ; implicit-def: $vgpr57_vgpr58
	s_branch .LBB805_1104
.LBB805_1107:
	v_mov_b32_e32 v33, 0
	v_mov_b32_e32 v34, 0
	s_branch .LBB805_1110
.LBB805_1108:
	s_set_inst_prefetch_distance 0x2
	s_or_b32 exec_lo, exec_lo, s19
	v_cmp_gt_i64_e32 vcc_lo, s[8:9], v[59:60]
	s_mov_b32 s0, 0
	s_delay_alu instid0(SALU_CYCLE_1)
	v_mov_b32_e32 v34, s0
	v_cndmask_b32_e64 v33, 0, 1, vcc_lo
.LBB805_1109:
	s_or_b32 exec_lo, exec_lo, s18
.LBB805_1110:
	s_delay_alu instid0(SALU_CYCLE_1) | instskip(SKIP_2) | instid1(VALU_DEP_1)
	s_or_b32 exec_lo, exec_lo, s3
	v_add_nc_u32_e32 v57, 11, v64
	s_mov_b32 s3, exec_lo
	v_cmpx_gt_u32_e64 s6, v57
	s_cbranch_execz .LBB805_1121
; %bb.1111:
	v_cmp_ne_u32_e32 vcc_lo, 1, v63
	s_cbranch_vccnz .LBB805_1118
; %bb.1112:
	v_mul_lo_u32 v59, v32, s8
	v_mul_lo_u32 v60, v31, s9
	v_mad_u64_u32 v[57:58], null, v31, s8, 0
	v_mul_lo_u32 v61, v30, s8
	v_mul_lo_u32 v62, v29, s9
	v_mad_u64_u32 v[31:32], null, v29, s8, 0
	s_delay_alu instid0(VALU_DEP_4) | instskip(NEXT) | instid1(VALU_DEP_2)
	v_add3_u32 v58, v58, v60, v59
	v_add3_u32 v32, v32, v62, v61
	s_delay_alu instid0(VALU_DEP_2) | instskip(NEXT) | instid1(VALU_DEP_2)
	v_lshlrev_b64 v[57:58], 3, v[57:58]
	v_lshlrev_b64 v[31:32], 3, v[31:32]
	s_delay_alu instid0(VALU_DEP_2) | instskip(NEXT) | instid1(VALU_DEP_3)
	v_add_co_u32 v57, vcc_lo, s10, v57
	v_add_co_ci_u32_e32 v58, vcc_lo, s11, v58, vcc_lo
	s_delay_alu instid0(VALU_DEP_3) | instskip(NEXT) | instid1(VALU_DEP_4)
	v_add_co_u32 v59, vcc_lo, s10, v31
	v_add_co_ci_u32_e32 v60, vcc_lo, s11, v32, vcc_lo
	s_clause 0x1
	global_load_b64 v[31:32], v[57:58], off
	global_load_b64 v[61:62], v[59:60], off
	s_waitcnt vmcnt(0)
	v_cmp_eq_f64_e32 vcc_lo, v[31:32], v[61:62]
	v_mov_b32_e32 v31, 1
	v_mov_b32_e32 v32, 0
	s_and_saveexec_b32 s18, vcc_lo
	s_cbranch_execz .LBB805_1120
; %bb.1113:
	v_add_co_u32 v31, vcc_lo, v59, 8
	v_add_co_ci_u32_e32 v32, vcc_lo, 0, v60, vcc_lo
	v_add_co_u32 v57, vcc_lo, v57, 8
	v_add_co_ci_u32_e32 v58, vcc_lo, 0, v58, vcc_lo
	s_add_u32 s12, s8, -1
	s_addc_u32 s13, s9, -1
	s_mov_b64 s[14:15], 0
	s_mov_b32 s19, 0
                                        ; implicit-def: $sgpr20
	s_set_inst_prefetch_distance 0x1
	s_branch .LBB805_1116
	.p2align	6
.LBB805_1114:                           ;   in Loop: Header=BB805_1116 Depth=1
	global_load_b64 v[59:60], v[57:58], off
	global_load_b64 v[61:62], v[31:32], off
	v_add_co_u32 v31, s0, v31, 8
	s_delay_alu instid0(VALU_DEP_1) | instskip(SKIP_1) | instid1(VALU_DEP_1)
	v_add_co_ci_u32_e64 v32, s0, 0, v32, s0
	v_add_co_u32 v57, s0, v57, 8
	v_add_co_ci_u32_e64 v58, s0, 0, v58, s0
	s_add_u32 s14, s14, 1
	s_addc_u32 s15, s15, 0
	s_and_not1_b32 s0, s20, exec_lo
	s_waitcnt vmcnt(0)
	v_cmp_neq_f64_e32 vcc_lo, v[59:60], v[61:62]
	s_and_b32 s20, vcc_lo, exec_lo
	s_delay_alu instid0(SALU_CYCLE_1)
	s_or_b32 s20, s0, s20
.LBB805_1115:                           ;   in Loop: Header=BB805_1116 Depth=1
	v_dual_mov_b32 v60, s15 :: v_dual_mov_b32 v59, s14
	s_and_b32 s0, exec_lo, s20
	s_delay_alu instid0(SALU_CYCLE_1) | instskip(NEXT) | instid1(SALU_CYCLE_1)
	s_or_b32 s19, s0, s19
	s_and_not1_b32 exec_lo, exec_lo, s19
	s_cbranch_execz .LBB805_1119
.LBB805_1116:                           ; =>This Inner Loop Header: Depth=1
	s_or_b32 s20, s20, exec_lo
	s_cmp_eq_u64 s[12:13], s[14:15]
	s_cbranch_scc0 .LBB805_1114
; %bb.1117:                             ;   in Loop: Header=BB805_1116 Depth=1
	s_mov_b64 s[14:15], s[8:9]
                                        ; implicit-def: $vgpr31_vgpr32
                                        ; implicit-def: $vgpr57_vgpr58
	s_branch .LBB805_1115
.LBB805_1118:
	v_mov_b32_e32 v31, 0
	v_mov_b32_e32 v32, 0
	s_branch .LBB805_1121
.LBB805_1119:
	s_set_inst_prefetch_distance 0x2
	s_or_b32 exec_lo, exec_lo, s19
	v_cmp_gt_i64_e32 vcc_lo, s[8:9], v[59:60]
	s_mov_b32 s0, 0
	s_delay_alu instid0(SALU_CYCLE_1)
	v_mov_b32_e32 v32, s0
	v_cndmask_b32_e64 v31, 0, 1, vcc_lo
.LBB805_1120:
	s_or_b32 exec_lo, exec_lo, s18
.LBB805_1121:
	s_delay_alu instid0(SALU_CYCLE_1) | instskip(SKIP_2) | instid1(VALU_DEP_1)
	s_or_b32 exec_lo, exec_lo, s3
	v_add_nc_u32_e32 v57, 10, v64
	s_mov_b32 s3, exec_lo
	v_cmpx_gt_u32_e64 s6, v57
	s_cbranch_execz .LBB805_1132
; %bb.1122:
	v_cmp_ne_u32_e32 vcc_lo, 1, v63
	s_cbranch_vccnz .LBB805_1129
; %bb.1123:
	v_mul_lo_u32 v59, v30, s8
	v_mul_lo_u32 v60, v29, s9
	v_mad_u64_u32 v[57:58], null, v29, s8, 0
	v_mul_lo_u32 v61, v28, s8
	v_mul_lo_u32 v62, v27, s9
	v_mad_u64_u32 v[29:30], null, v27, s8, 0
	s_delay_alu instid0(VALU_DEP_4) | instskip(NEXT) | instid1(VALU_DEP_2)
	v_add3_u32 v58, v58, v60, v59
	v_add3_u32 v30, v30, v62, v61
	s_delay_alu instid0(VALU_DEP_2) | instskip(NEXT) | instid1(VALU_DEP_2)
	v_lshlrev_b64 v[57:58], 3, v[57:58]
	v_lshlrev_b64 v[29:30], 3, v[29:30]
	s_delay_alu instid0(VALU_DEP_2) | instskip(NEXT) | instid1(VALU_DEP_3)
	v_add_co_u32 v57, vcc_lo, s10, v57
	v_add_co_ci_u32_e32 v58, vcc_lo, s11, v58, vcc_lo
	s_delay_alu instid0(VALU_DEP_3) | instskip(NEXT) | instid1(VALU_DEP_4)
	v_add_co_u32 v59, vcc_lo, s10, v29
	v_add_co_ci_u32_e32 v60, vcc_lo, s11, v30, vcc_lo
	s_clause 0x1
	global_load_b64 v[29:30], v[57:58], off
	global_load_b64 v[61:62], v[59:60], off
	s_waitcnt vmcnt(0)
	v_cmp_eq_f64_e32 vcc_lo, v[29:30], v[61:62]
	v_mov_b32_e32 v29, 1
	v_mov_b32_e32 v30, 0
	s_and_saveexec_b32 s18, vcc_lo
	s_cbranch_execz .LBB805_1131
; %bb.1124:
	v_add_co_u32 v29, vcc_lo, v59, 8
	v_add_co_ci_u32_e32 v30, vcc_lo, 0, v60, vcc_lo
	v_add_co_u32 v57, vcc_lo, v57, 8
	v_add_co_ci_u32_e32 v58, vcc_lo, 0, v58, vcc_lo
	s_add_u32 s12, s8, -1
	s_addc_u32 s13, s9, -1
	s_mov_b64 s[14:15], 0
	s_mov_b32 s19, 0
                                        ; implicit-def: $sgpr20
	s_set_inst_prefetch_distance 0x1
	s_branch .LBB805_1127
	.p2align	6
.LBB805_1125:                           ;   in Loop: Header=BB805_1127 Depth=1
	global_load_b64 v[59:60], v[57:58], off
	global_load_b64 v[61:62], v[29:30], off
	v_add_co_u32 v29, s0, v29, 8
	s_delay_alu instid0(VALU_DEP_1) | instskip(SKIP_1) | instid1(VALU_DEP_1)
	v_add_co_ci_u32_e64 v30, s0, 0, v30, s0
	v_add_co_u32 v57, s0, v57, 8
	v_add_co_ci_u32_e64 v58, s0, 0, v58, s0
	s_add_u32 s14, s14, 1
	s_addc_u32 s15, s15, 0
	s_and_not1_b32 s0, s20, exec_lo
	s_waitcnt vmcnt(0)
	v_cmp_neq_f64_e32 vcc_lo, v[59:60], v[61:62]
	s_and_b32 s20, vcc_lo, exec_lo
	s_delay_alu instid0(SALU_CYCLE_1)
	s_or_b32 s20, s0, s20
.LBB805_1126:                           ;   in Loop: Header=BB805_1127 Depth=1
	v_dual_mov_b32 v60, s15 :: v_dual_mov_b32 v59, s14
	s_and_b32 s0, exec_lo, s20
	s_delay_alu instid0(SALU_CYCLE_1) | instskip(NEXT) | instid1(SALU_CYCLE_1)
	s_or_b32 s19, s0, s19
	s_and_not1_b32 exec_lo, exec_lo, s19
	s_cbranch_execz .LBB805_1130
.LBB805_1127:                           ; =>This Inner Loop Header: Depth=1
	s_or_b32 s20, s20, exec_lo
	s_cmp_eq_u64 s[12:13], s[14:15]
	s_cbranch_scc0 .LBB805_1125
; %bb.1128:                             ;   in Loop: Header=BB805_1127 Depth=1
	s_mov_b64 s[14:15], s[8:9]
                                        ; implicit-def: $vgpr29_vgpr30
                                        ; implicit-def: $vgpr57_vgpr58
	s_branch .LBB805_1126
.LBB805_1129:
	v_mov_b32_e32 v29, 0
	v_mov_b32_e32 v30, 0
	s_branch .LBB805_1132
.LBB805_1130:
	s_set_inst_prefetch_distance 0x2
	s_or_b32 exec_lo, exec_lo, s19
	v_cmp_gt_i64_e32 vcc_lo, s[8:9], v[59:60]
	s_mov_b32 s0, 0
	s_delay_alu instid0(SALU_CYCLE_1)
	v_mov_b32_e32 v30, s0
	v_cndmask_b32_e64 v29, 0, 1, vcc_lo
.LBB805_1131:
	s_or_b32 exec_lo, exec_lo, s18
.LBB805_1132:
	s_delay_alu instid0(SALU_CYCLE_1) | instskip(SKIP_2) | instid1(VALU_DEP_1)
	s_or_b32 exec_lo, exec_lo, s3
	v_add_nc_u32_e32 v57, 9, v64
	s_mov_b32 s3, exec_lo
	v_cmpx_gt_u32_e64 s6, v57
	s_cbranch_execz .LBB805_1143
; %bb.1133:
	v_cmp_ne_u32_e32 vcc_lo, 1, v63
	s_cbranch_vccnz .LBB805_1140
; %bb.1134:
	v_mul_lo_u32 v59, v28, s8
	v_mul_lo_u32 v60, v27, s9
	v_mad_u64_u32 v[57:58], null, v27, s8, 0
	v_mul_lo_u32 v61, v26, s8
	v_mul_lo_u32 v62, v25, s9
	v_mad_u64_u32 v[27:28], null, v25, s8, 0
	s_delay_alu instid0(VALU_DEP_4) | instskip(NEXT) | instid1(VALU_DEP_2)
	v_add3_u32 v58, v58, v60, v59
	v_add3_u32 v28, v28, v62, v61
	s_delay_alu instid0(VALU_DEP_2) | instskip(NEXT) | instid1(VALU_DEP_2)
	v_lshlrev_b64 v[57:58], 3, v[57:58]
	v_lshlrev_b64 v[27:28], 3, v[27:28]
	s_delay_alu instid0(VALU_DEP_2) | instskip(NEXT) | instid1(VALU_DEP_3)
	v_add_co_u32 v57, vcc_lo, s10, v57
	v_add_co_ci_u32_e32 v58, vcc_lo, s11, v58, vcc_lo
	s_delay_alu instid0(VALU_DEP_3) | instskip(NEXT) | instid1(VALU_DEP_4)
	v_add_co_u32 v59, vcc_lo, s10, v27
	v_add_co_ci_u32_e32 v60, vcc_lo, s11, v28, vcc_lo
	s_clause 0x1
	global_load_b64 v[27:28], v[57:58], off
	global_load_b64 v[61:62], v[59:60], off
	s_waitcnt vmcnt(0)
	v_cmp_eq_f64_e32 vcc_lo, v[27:28], v[61:62]
	v_mov_b32_e32 v27, 1
	v_mov_b32_e32 v28, 0
	s_and_saveexec_b32 s18, vcc_lo
	s_cbranch_execz .LBB805_1142
; %bb.1135:
	v_add_co_u32 v27, vcc_lo, v59, 8
	v_add_co_ci_u32_e32 v28, vcc_lo, 0, v60, vcc_lo
	v_add_co_u32 v57, vcc_lo, v57, 8
	v_add_co_ci_u32_e32 v58, vcc_lo, 0, v58, vcc_lo
	s_add_u32 s12, s8, -1
	s_addc_u32 s13, s9, -1
	s_mov_b64 s[14:15], 0
	s_mov_b32 s19, 0
                                        ; implicit-def: $sgpr20
	s_set_inst_prefetch_distance 0x1
	s_branch .LBB805_1138
	.p2align	6
.LBB805_1136:                           ;   in Loop: Header=BB805_1138 Depth=1
	global_load_b64 v[59:60], v[57:58], off
	global_load_b64 v[61:62], v[27:28], off
	v_add_co_u32 v27, s0, v27, 8
	s_delay_alu instid0(VALU_DEP_1) | instskip(SKIP_1) | instid1(VALU_DEP_1)
	v_add_co_ci_u32_e64 v28, s0, 0, v28, s0
	v_add_co_u32 v57, s0, v57, 8
	v_add_co_ci_u32_e64 v58, s0, 0, v58, s0
	s_add_u32 s14, s14, 1
	s_addc_u32 s15, s15, 0
	s_and_not1_b32 s0, s20, exec_lo
	s_waitcnt vmcnt(0)
	v_cmp_neq_f64_e32 vcc_lo, v[59:60], v[61:62]
	s_and_b32 s20, vcc_lo, exec_lo
	s_delay_alu instid0(SALU_CYCLE_1)
	s_or_b32 s20, s0, s20
.LBB805_1137:                           ;   in Loop: Header=BB805_1138 Depth=1
	v_dual_mov_b32 v60, s15 :: v_dual_mov_b32 v59, s14
	s_and_b32 s0, exec_lo, s20
	s_delay_alu instid0(SALU_CYCLE_1) | instskip(NEXT) | instid1(SALU_CYCLE_1)
	s_or_b32 s19, s0, s19
	s_and_not1_b32 exec_lo, exec_lo, s19
	s_cbranch_execz .LBB805_1141
.LBB805_1138:                           ; =>This Inner Loop Header: Depth=1
	s_or_b32 s20, s20, exec_lo
	s_cmp_eq_u64 s[12:13], s[14:15]
	s_cbranch_scc0 .LBB805_1136
; %bb.1139:                             ;   in Loop: Header=BB805_1138 Depth=1
	s_mov_b64 s[14:15], s[8:9]
                                        ; implicit-def: $vgpr27_vgpr28
                                        ; implicit-def: $vgpr57_vgpr58
	s_branch .LBB805_1137
.LBB805_1140:
	v_mov_b32_e32 v27, 0
	v_mov_b32_e32 v28, 0
	s_branch .LBB805_1143
.LBB805_1141:
	s_set_inst_prefetch_distance 0x2
	s_or_b32 exec_lo, exec_lo, s19
	v_cmp_gt_i64_e32 vcc_lo, s[8:9], v[59:60]
	s_mov_b32 s0, 0
	s_delay_alu instid0(SALU_CYCLE_1)
	v_mov_b32_e32 v28, s0
	v_cndmask_b32_e64 v27, 0, 1, vcc_lo
.LBB805_1142:
	s_or_b32 exec_lo, exec_lo, s18
.LBB805_1143:
	s_delay_alu instid0(SALU_CYCLE_1) | instskip(SKIP_2) | instid1(VALU_DEP_1)
	s_or_b32 exec_lo, exec_lo, s3
	v_add_nc_u32_e32 v57, 8, v64
	s_mov_b32 s3, exec_lo
	v_cmpx_gt_u32_e64 s6, v57
	s_cbranch_execz .LBB805_1154
; %bb.1144:
	v_cmp_ne_u32_e32 vcc_lo, 1, v63
	s_cbranch_vccnz .LBB805_1151
; %bb.1145:
	v_mul_lo_u32 v59, v26, s8
	v_mul_lo_u32 v60, v25, s9
	v_mad_u64_u32 v[57:58], null, v25, s8, 0
	v_mul_lo_u32 v61, v24, s8
	v_mul_lo_u32 v62, v23, s9
	v_mad_u64_u32 v[25:26], null, v23, s8, 0
	s_delay_alu instid0(VALU_DEP_4) | instskip(NEXT) | instid1(VALU_DEP_2)
	v_add3_u32 v58, v58, v60, v59
	v_add3_u32 v26, v26, v62, v61
	s_delay_alu instid0(VALU_DEP_2) | instskip(NEXT) | instid1(VALU_DEP_2)
	v_lshlrev_b64 v[57:58], 3, v[57:58]
	v_lshlrev_b64 v[25:26], 3, v[25:26]
	s_delay_alu instid0(VALU_DEP_2) | instskip(NEXT) | instid1(VALU_DEP_3)
	v_add_co_u32 v57, vcc_lo, s10, v57
	v_add_co_ci_u32_e32 v58, vcc_lo, s11, v58, vcc_lo
	s_delay_alu instid0(VALU_DEP_3) | instskip(NEXT) | instid1(VALU_DEP_4)
	v_add_co_u32 v59, vcc_lo, s10, v25
	v_add_co_ci_u32_e32 v60, vcc_lo, s11, v26, vcc_lo
	s_clause 0x1
	global_load_b64 v[25:26], v[57:58], off
	global_load_b64 v[61:62], v[59:60], off
	s_waitcnt vmcnt(0)
	v_cmp_eq_f64_e32 vcc_lo, v[25:26], v[61:62]
	v_mov_b32_e32 v25, 1
	v_mov_b32_e32 v26, 0
	s_and_saveexec_b32 s18, vcc_lo
	s_cbranch_execz .LBB805_1153
; %bb.1146:
	v_add_co_u32 v25, vcc_lo, v59, 8
	v_add_co_ci_u32_e32 v26, vcc_lo, 0, v60, vcc_lo
	v_add_co_u32 v57, vcc_lo, v57, 8
	v_add_co_ci_u32_e32 v58, vcc_lo, 0, v58, vcc_lo
	s_add_u32 s12, s8, -1
	s_addc_u32 s13, s9, -1
	s_mov_b64 s[14:15], 0
	s_mov_b32 s19, 0
                                        ; implicit-def: $sgpr20
	s_set_inst_prefetch_distance 0x1
	s_branch .LBB805_1149
	.p2align	6
.LBB805_1147:                           ;   in Loop: Header=BB805_1149 Depth=1
	global_load_b64 v[59:60], v[57:58], off
	global_load_b64 v[61:62], v[25:26], off
	v_add_co_u32 v25, s0, v25, 8
	s_delay_alu instid0(VALU_DEP_1) | instskip(SKIP_1) | instid1(VALU_DEP_1)
	v_add_co_ci_u32_e64 v26, s0, 0, v26, s0
	v_add_co_u32 v57, s0, v57, 8
	v_add_co_ci_u32_e64 v58, s0, 0, v58, s0
	s_add_u32 s14, s14, 1
	s_addc_u32 s15, s15, 0
	s_and_not1_b32 s0, s20, exec_lo
	s_waitcnt vmcnt(0)
	v_cmp_neq_f64_e32 vcc_lo, v[59:60], v[61:62]
	s_and_b32 s20, vcc_lo, exec_lo
	s_delay_alu instid0(SALU_CYCLE_1)
	s_or_b32 s20, s0, s20
.LBB805_1148:                           ;   in Loop: Header=BB805_1149 Depth=1
	v_dual_mov_b32 v60, s15 :: v_dual_mov_b32 v59, s14
	s_and_b32 s0, exec_lo, s20
	s_delay_alu instid0(SALU_CYCLE_1) | instskip(NEXT) | instid1(SALU_CYCLE_1)
	s_or_b32 s19, s0, s19
	s_and_not1_b32 exec_lo, exec_lo, s19
	s_cbranch_execz .LBB805_1152
.LBB805_1149:                           ; =>This Inner Loop Header: Depth=1
	s_or_b32 s20, s20, exec_lo
	s_cmp_eq_u64 s[12:13], s[14:15]
	s_cbranch_scc0 .LBB805_1147
; %bb.1150:                             ;   in Loop: Header=BB805_1149 Depth=1
	s_mov_b64 s[14:15], s[8:9]
                                        ; implicit-def: $vgpr25_vgpr26
                                        ; implicit-def: $vgpr57_vgpr58
	s_branch .LBB805_1148
.LBB805_1151:
	v_mov_b32_e32 v25, 0
	v_mov_b32_e32 v26, 0
	s_branch .LBB805_1154
.LBB805_1152:
	s_set_inst_prefetch_distance 0x2
	s_or_b32 exec_lo, exec_lo, s19
	v_cmp_gt_i64_e32 vcc_lo, s[8:9], v[59:60]
	s_mov_b32 s0, 0
	s_delay_alu instid0(SALU_CYCLE_1)
	v_mov_b32_e32 v26, s0
	v_cndmask_b32_e64 v25, 0, 1, vcc_lo
.LBB805_1153:
	s_or_b32 exec_lo, exec_lo, s18
.LBB805_1154:
	s_delay_alu instid0(SALU_CYCLE_1) | instskip(SKIP_2) | instid1(VALU_DEP_1)
	s_or_b32 exec_lo, exec_lo, s3
	v_add_nc_u32_e32 v57, 7, v64
	s_mov_b32 s3, exec_lo
	v_cmpx_gt_u32_e64 s6, v57
	s_cbranch_execz .LBB805_1165
; %bb.1155:
	v_cmp_ne_u32_e32 vcc_lo, 1, v63
	s_cbranch_vccnz .LBB805_1162
; %bb.1156:
	v_mul_lo_u32 v59, v24, s8
	v_mul_lo_u32 v60, v23, s9
	v_mad_u64_u32 v[57:58], null, v23, s8, 0
	v_mul_lo_u32 v61, v22, s8
	v_mul_lo_u32 v62, v21, s9
	v_mad_u64_u32 v[23:24], null, v21, s8, 0
	s_delay_alu instid0(VALU_DEP_4) | instskip(NEXT) | instid1(VALU_DEP_2)
	v_add3_u32 v58, v58, v60, v59
	v_add3_u32 v24, v24, v62, v61
	s_delay_alu instid0(VALU_DEP_2) | instskip(NEXT) | instid1(VALU_DEP_2)
	v_lshlrev_b64 v[57:58], 3, v[57:58]
	v_lshlrev_b64 v[23:24], 3, v[23:24]
	s_delay_alu instid0(VALU_DEP_2) | instskip(NEXT) | instid1(VALU_DEP_3)
	v_add_co_u32 v57, vcc_lo, s10, v57
	v_add_co_ci_u32_e32 v58, vcc_lo, s11, v58, vcc_lo
	s_delay_alu instid0(VALU_DEP_3) | instskip(NEXT) | instid1(VALU_DEP_4)
	v_add_co_u32 v59, vcc_lo, s10, v23
	v_add_co_ci_u32_e32 v60, vcc_lo, s11, v24, vcc_lo
	s_clause 0x1
	global_load_b64 v[23:24], v[57:58], off
	global_load_b64 v[61:62], v[59:60], off
	s_waitcnt vmcnt(0)
	v_cmp_eq_f64_e32 vcc_lo, v[23:24], v[61:62]
	v_mov_b32_e32 v23, 1
	v_mov_b32_e32 v24, 0
	s_and_saveexec_b32 s18, vcc_lo
	s_cbranch_execz .LBB805_1164
; %bb.1157:
	v_add_co_u32 v23, vcc_lo, v59, 8
	v_add_co_ci_u32_e32 v24, vcc_lo, 0, v60, vcc_lo
	v_add_co_u32 v57, vcc_lo, v57, 8
	v_add_co_ci_u32_e32 v58, vcc_lo, 0, v58, vcc_lo
	s_add_u32 s12, s8, -1
	s_addc_u32 s13, s9, -1
	s_mov_b64 s[14:15], 0
	s_mov_b32 s19, 0
                                        ; implicit-def: $sgpr20
	s_set_inst_prefetch_distance 0x1
	s_branch .LBB805_1160
	.p2align	6
.LBB805_1158:                           ;   in Loop: Header=BB805_1160 Depth=1
	global_load_b64 v[59:60], v[57:58], off
	global_load_b64 v[61:62], v[23:24], off
	v_add_co_u32 v23, s0, v23, 8
	s_delay_alu instid0(VALU_DEP_1) | instskip(SKIP_1) | instid1(VALU_DEP_1)
	v_add_co_ci_u32_e64 v24, s0, 0, v24, s0
	v_add_co_u32 v57, s0, v57, 8
	v_add_co_ci_u32_e64 v58, s0, 0, v58, s0
	s_add_u32 s14, s14, 1
	s_addc_u32 s15, s15, 0
	s_and_not1_b32 s0, s20, exec_lo
	s_waitcnt vmcnt(0)
	v_cmp_neq_f64_e32 vcc_lo, v[59:60], v[61:62]
	s_and_b32 s20, vcc_lo, exec_lo
	s_delay_alu instid0(SALU_CYCLE_1)
	s_or_b32 s20, s0, s20
.LBB805_1159:                           ;   in Loop: Header=BB805_1160 Depth=1
	v_dual_mov_b32 v60, s15 :: v_dual_mov_b32 v59, s14
	s_and_b32 s0, exec_lo, s20
	s_delay_alu instid0(SALU_CYCLE_1) | instskip(NEXT) | instid1(SALU_CYCLE_1)
	s_or_b32 s19, s0, s19
	s_and_not1_b32 exec_lo, exec_lo, s19
	s_cbranch_execz .LBB805_1163
.LBB805_1160:                           ; =>This Inner Loop Header: Depth=1
	s_or_b32 s20, s20, exec_lo
	s_cmp_eq_u64 s[12:13], s[14:15]
	s_cbranch_scc0 .LBB805_1158
; %bb.1161:                             ;   in Loop: Header=BB805_1160 Depth=1
	s_mov_b64 s[14:15], s[8:9]
                                        ; implicit-def: $vgpr23_vgpr24
                                        ; implicit-def: $vgpr57_vgpr58
	s_branch .LBB805_1159
.LBB805_1162:
	v_mov_b32_e32 v23, 0
	v_mov_b32_e32 v24, 0
	s_branch .LBB805_1165
.LBB805_1163:
	s_set_inst_prefetch_distance 0x2
	s_or_b32 exec_lo, exec_lo, s19
	v_cmp_gt_i64_e32 vcc_lo, s[8:9], v[59:60]
	s_mov_b32 s0, 0
	s_delay_alu instid0(SALU_CYCLE_1)
	v_mov_b32_e32 v24, s0
	v_cndmask_b32_e64 v23, 0, 1, vcc_lo
.LBB805_1164:
	s_or_b32 exec_lo, exec_lo, s18
.LBB805_1165:
	s_delay_alu instid0(SALU_CYCLE_1) | instskip(SKIP_2) | instid1(VALU_DEP_1)
	s_or_b32 exec_lo, exec_lo, s3
	v_add_nc_u32_e32 v57, 6, v64
	s_mov_b32 s3, exec_lo
	v_cmpx_gt_u32_e64 s6, v57
	s_cbranch_execz .LBB805_1176
; %bb.1166:
	v_cmp_ne_u32_e32 vcc_lo, 1, v63
	s_cbranch_vccnz .LBB805_1173
; %bb.1167:
	v_mul_lo_u32 v59, v22, s8
	v_mul_lo_u32 v60, v21, s9
	v_mad_u64_u32 v[57:58], null, v21, s8, 0
	v_mul_lo_u32 v61, v20, s8
	v_mul_lo_u32 v62, v19, s9
	v_mad_u64_u32 v[21:22], null, v19, s8, 0
	s_delay_alu instid0(VALU_DEP_4) | instskip(NEXT) | instid1(VALU_DEP_2)
	v_add3_u32 v58, v58, v60, v59
	v_add3_u32 v22, v22, v62, v61
	s_delay_alu instid0(VALU_DEP_2) | instskip(NEXT) | instid1(VALU_DEP_2)
	v_lshlrev_b64 v[57:58], 3, v[57:58]
	v_lshlrev_b64 v[21:22], 3, v[21:22]
	s_delay_alu instid0(VALU_DEP_2) | instskip(NEXT) | instid1(VALU_DEP_3)
	v_add_co_u32 v57, vcc_lo, s10, v57
	v_add_co_ci_u32_e32 v58, vcc_lo, s11, v58, vcc_lo
	s_delay_alu instid0(VALU_DEP_3) | instskip(NEXT) | instid1(VALU_DEP_4)
	v_add_co_u32 v59, vcc_lo, s10, v21
	v_add_co_ci_u32_e32 v60, vcc_lo, s11, v22, vcc_lo
	s_clause 0x1
	global_load_b64 v[21:22], v[57:58], off
	global_load_b64 v[61:62], v[59:60], off
	s_waitcnt vmcnt(0)
	v_cmp_eq_f64_e32 vcc_lo, v[21:22], v[61:62]
	v_mov_b32_e32 v21, 1
	v_mov_b32_e32 v22, 0
	s_and_saveexec_b32 s18, vcc_lo
	s_cbranch_execz .LBB805_1175
; %bb.1168:
	v_add_co_u32 v21, vcc_lo, v59, 8
	v_add_co_ci_u32_e32 v22, vcc_lo, 0, v60, vcc_lo
	v_add_co_u32 v57, vcc_lo, v57, 8
	v_add_co_ci_u32_e32 v58, vcc_lo, 0, v58, vcc_lo
	s_add_u32 s12, s8, -1
	s_addc_u32 s13, s9, -1
	s_mov_b64 s[14:15], 0
	s_mov_b32 s19, 0
                                        ; implicit-def: $sgpr20
	s_set_inst_prefetch_distance 0x1
	s_branch .LBB805_1171
	.p2align	6
.LBB805_1169:                           ;   in Loop: Header=BB805_1171 Depth=1
	global_load_b64 v[59:60], v[57:58], off
	global_load_b64 v[61:62], v[21:22], off
	v_add_co_u32 v21, s0, v21, 8
	s_delay_alu instid0(VALU_DEP_1) | instskip(SKIP_1) | instid1(VALU_DEP_1)
	v_add_co_ci_u32_e64 v22, s0, 0, v22, s0
	v_add_co_u32 v57, s0, v57, 8
	v_add_co_ci_u32_e64 v58, s0, 0, v58, s0
	s_add_u32 s14, s14, 1
	s_addc_u32 s15, s15, 0
	s_and_not1_b32 s0, s20, exec_lo
	s_waitcnt vmcnt(0)
	v_cmp_neq_f64_e32 vcc_lo, v[59:60], v[61:62]
	s_and_b32 s20, vcc_lo, exec_lo
	s_delay_alu instid0(SALU_CYCLE_1)
	s_or_b32 s20, s0, s20
.LBB805_1170:                           ;   in Loop: Header=BB805_1171 Depth=1
	v_dual_mov_b32 v60, s15 :: v_dual_mov_b32 v59, s14
	s_and_b32 s0, exec_lo, s20
	s_delay_alu instid0(SALU_CYCLE_1) | instskip(NEXT) | instid1(SALU_CYCLE_1)
	s_or_b32 s19, s0, s19
	s_and_not1_b32 exec_lo, exec_lo, s19
	s_cbranch_execz .LBB805_1174
.LBB805_1171:                           ; =>This Inner Loop Header: Depth=1
	s_or_b32 s20, s20, exec_lo
	s_cmp_eq_u64 s[12:13], s[14:15]
	s_cbranch_scc0 .LBB805_1169
; %bb.1172:                             ;   in Loop: Header=BB805_1171 Depth=1
	s_mov_b64 s[14:15], s[8:9]
                                        ; implicit-def: $vgpr21_vgpr22
                                        ; implicit-def: $vgpr57_vgpr58
	s_branch .LBB805_1170
.LBB805_1173:
	v_mov_b32_e32 v21, 0
	v_mov_b32_e32 v22, 0
	s_branch .LBB805_1176
.LBB805_1174:
	s_set_inst_prefetch_distance 0x2
	s_or_b32 exec_lo, exec_lo, s19
	v_cmp_gt_i64_e32 vcc_lo, s[8:9], v[59:60]
	s_mov_b32 s0, 0
	s_delay_alu instid0(SALU_CYCLE_1)
	v_mov_b32_e32 v22, s0
	v_cndmask_b32_e64 v21, 0, 1, vcc_lo
.LBB805_1175:
	s_or_b32 exec_lo, exec_lo, s18
.LBB805_1176:
	s_delay_alu instid0(SALU_CYCLE_1) | instskip(SKIP_2) | instid1(VALU_DEP_1)
	s_or_b32 exec_lo, exec_lo, s3
	v_add_nc_u32_e32 v57, 5, v64
	s_mov_b32 s3, exec_lo
	v_cmpx_gt_u32_e64 s6, v57
	s_cbranch_execz .LBB805_1187
; %bb.1177:
	v_cmp_ne_u32_e32 vcc_lo, 1, v63
	s_cbranch_vccnz .LBB805_1184
; %bb.1178:
	v_mul_lo_u32 v59, v20, s8
	v_mul_lo_u32 v60, v19, s9
	v_mad_u64_u32 v[57:58], null, v19, s8, 0
	v_mul_lo_u32 v61, v18, s8
	v_mul_lo_u32 v62, v17, s9
	v_mad_u64_u32 v[19:20], null, v17, s8, 0
	s_delay_alu instid0(VALU_DEP_4) | instskip(NEXT) | instid1(VALU_DEP_2)
	v_add3_u32 v58, v58, v60, v59
	v_add3_u32 v20, v20, v62, v61
	s_delay_alu instid0(VALU_DEP_2) | instskip(NEXT) | instid1(VALU_DEP_2)
	v_lshlrev_b64 v[57:58], 3, v[57:58]
	v_lshlrev_b64 v[19:20], 3, v[19:20]
	s_delay_alu instid0(VALU_DEP_2) | instskip(NEXT) | instid1(VALU_DEP_3)
	v_add_co_u32 v57, vcc_lo, s10, v57
	v_add_co_ci_u32_e32 v58, vcc_lo, s11, v58, vcc_lo
	s_delay_alu instid0(VALU_DEP_3) | instskip(NEXT) | instid1(VALU_DEP_4)
	v_add_co_u32 v59, vcc_lo, s10, v19
	v_add_co_ci_u32_e32 v60, vcc_lo, s11, v20, vcc_lo
	s_clause 0x1
	global_load_b64 v[19:20], v[57:58], off
	global_load_b64 v[61:62], v[59:60], off
	s_waitcnt vmcnt(0)
	v_cmp_eq_f64_e32 vcc_lo, v[19:20], v[61:62]
	v_mov_b32_e32 v19, 1
	v_mov_b32_e32 v20, 0
	s_and_saveexec_b32 s18, vcc_lo
	s_cbranch_execz .LBB805_1186
; %bb.1179:
	v_add_co_u32 v19, vcc_lo, v59, 8
	v_add_co_ci_u32_e32 v20, vcc_lo, 0, v60, vcc_lo
	v_add_co_u32 v57, vcc_lo, v57, 8
	v_add_co_ci_u32_e32 v58, vcc_lo, 0, v58, vcc_lo
	s_add_u32 s12, s8, -1
	s_addc_u32 s13, s9, -1
	s_mov_b64 s[14:15], 0
	s_mov_b32 s19, 0
                                        ; implicit-def: $sgpr20
	s_set_inst_prefetch_distance 0x1
	s_branch .LBB805_1182
	.p2align	6
.LBB805_1180:                           ;   in Loop: Header=BB805_1182 Depth=1
	global_load_b64 v[59:60], v[57:58], off
	global_load_b64 v[61:62], v[19:20], off
	v_add_co_u32 v19, s0, v19, 8
	s_delay_alu instid0(VALU_DEP_1) | instskip(SKIP_1) | instid1(VALU_DEP_1)
	v_add_co_ci_u32_e64 v20, s0, 0, v20, s0
	v_add_co_u32 v57, s0, v57, 8
	v_add_co_ci_u32_e64 v58, s0, 0, v58, s0
	s_add_u32 s14, s14, 1
	s_addc_u32 s15, s15, 0
	s_and_not1_b32 s0, s20, exec_lo
	s_waitcnt vmcnt(0)
	v_cmp_neq_f64_e32 vcc_lo, v[59:60], v[61:62]
	s_and_b32 s20, vcc_lo, exec_lo
	s_delay_alu instid0(SALU_CYCLE_1)
	s_or_b32 s20, s0, s20
.LBB805_1181:                           ;   in Loop: Header=BB805_1182 Depth=1
	v_dual_mov_b32 v60, s15 :: v_dual_mov_b32 v59, s14
	s_and_b32 s0, exec_lo, s20
	s_delay_alu instid0(SALU_CYCLE_1) | instskip(NEXT) | instid1(SALU_CYCLE_1)
	s_or_b32 s19, s0, s19
	s_and_not1_b32 exec_lo, exec_lo, s19
	s_cbranch_execz .LBB805_1185
.LBB805_1182:                           ; =>This Inner Loop Header: Depth=1
	s_or_b32 s20, s20, exec_lo
	s_cmp_eq_u64 s[12:13], s[14:15]
	s_cbranch_scc0 .LBB805_1180
; %bb.1183:                             ;   in Loop: Header=BB805_1182 Depth=1
	s_mov_b64 s[14:15], s[8:9]
                                        ; implicit-def: $vgpr19_vgpr20
                                        ; implicit-def: $vgpr57_vgpr58
	s_branch .LBB805_1181
.LBB805_1184:
	v_mov_b32_e32 v19, 0
	v_mov_b32_e32 v20, 0
	s_branch .LBB805_1187
.LBB805_1185:
	s_set_inst_prefetch_distance 0x2
	s_or_b32 exec_lo, exec_lo, s19
	v_cmp_gt_i64_e32 vcc_lo, s[8:9], v[59:60]
	s_mov_b32 s0, 0
	s_delay_alu instid0(SALU_CYCLE_1)
	v_mov_b32_e32 v20, s0
	v_cndmask_b32_e64 v19, 0, 1, vcc_lo
.LBB805_1186:
	s_or_b32 exec_lo, exec_lo, s18
.LBB805_1187:
	s_delay_alu instid0(SALU_CYCLE_1) | instskip(SKIP_2) | instid1(VALU_DEP_1)
	s_or_b32 exec_lo, exec_lo, s3
	v_add_nc_u32_e32 v57, 4, v64
	s_mov_b32 s3, exec_lo
	v_cmpx_gt_u32_e64 s6, v57
	s_cbranch_execz .LBB805_1198
; %bb.1188:
	v_cmp_ne_u32_e32 vcc_lo, 1, v63
	s_cbranch_vccnz .LBB805_1195
; %bb.1189:
	v_mul_lo_u32 v59, v18, s8
	v_mul_lo_u32 v60, v17, s9
	v_mad_u64_u32 v[57:58], null, v17, s8, 0
	v_mul_lo_u32 v61, v16, s8
	v_mul_lo_u32 v62, v15, s9
	v_mad_u64_u32 v[17:18], null, v15, s8, 0
	s_delay_alu instid0(VALU_DEP_4) | instskip(NEXT) | instid1(VALU_DEP_2)
	v_add3_u32 v58, v58, v60, v59
	v_add3_u32 v18, v18, v62, v61
	s_delay_alu instid0(VALU_DEP_2) | instskip(NEXT) | instid1(VALU_DEP_2)
	v_lshlrev_b64 v[57:58], 3, v[57:58]
	v_lshlrev_b64 v[17:18], 3, v[17:18]
	s_delay_alu instid0(VALU_DEP_2) | instskip(NEXT) | instid1(VALU_DEP_3)
	v_add_co_u32 v57, vcc_lo, s10, v57
	v_add_co_ci_u32_e32 v58, vcc_lo, s11, v58, vcc_lo
	s_delay_alu instid0(VALU_DEP_3) | instskip(NEXT) | instid1(VALU_DEP_4)
	v_add_co_u32 v59, vcc_lo, s10, v17
	v_add_co_ci_u32_e32 v60, vcc_lo, s11, v18, vcc_lo
	s_clause 0x1
	global_load_b64 v[17:18], v[57:58], off
	global_load_b64 v[61:62], v[59:60], off
	s_waitcnt vmcnt(0)
	v_cmp_eq_f64_e32 vcc_lo, v[17:18], v[61:62]
	v_mov_b32_e32 v17, 1
	v_mov_b32_e32 v18, 0
	s_and_saveexec_b32 s18, vcc_lo
	s_cbranch_execz .LBB805_1197
; %bb.1190:
	v_add_co_u32 v17, vcc_lo, v59, 8
	v_add_co_ci_u32_e32 v18, vcc_lo, 0, v60, vcc_lo
	v_add_co_u32 v57, vcc_lo, v57, 8
	v_add_co_ci_u32_e32 v58, vcc_lo, 0, v58, vcc_lo
	s_add_u32 s12, s8, -1
	s_addc_u32 s13, s9, -1
	s_mov_b64 s[14:15], 0
	s_mov_b32 s19, 0
                                        ; implicit-def: $sgpr20
	s_set_inst_prefetch_distance 0x1
	s_branch .LBB805_1193
	.p2align	6
.LBB805_1191:                           ;   in Loop: Header=BB805_1193 Depth=1
	global_load_b64 v[59:60], v[57:58], off
	global_load_b64 v[61:62], v[17:18], off
	v_add_co_u32 v17, s0, v17, 8
	s_delay_alu instid0(VALU_DEP_1) | instskip(SKIP_1) | instid1(VALU_DEP_1)
	v_add_co_ci_u32_e64 v18, s0, 0, v18, s0
	v_add_co_u32 v57, s0, v57, 8
	v_add_co_ci_u32_e64 v58, s0, 0, v58, s0
	s_add_u32 s14, s14, 1
	s_addc_u32 s15, s15, 0
	s_and_not1_b32 s0, s20, exec_lo
	s_waitcnt vmcnt(0)
	v_cmp_neq_f64_e32 vcc_lo, v[59:60], v[61:62]
	s_and_b32 s20, vcc_lo, exec_lo
	s_delay_alu instid0(SALU_CYCLE_1)
	s_or_b32 s20, s0, s20
.LBB805_1192:                           ;   in Loop: Header=BB805_1193 Depth=1
	v_dual_mov_b32 v60, s15 :: v_dual_mov_b32 v59, s14
	s_and_b32 s0, exec_lo, s20
	s_delay_alu instid0(SALU_CYCLE_1) | instskip(NEXT) | instid1(SALU_CYCLE_1)
	s_or_b32 s19, s0, s19
	s_and_not1_b32 exec_lo, exec_lo, s19
	s_cbranch_execz .LBB805_1196
.LBB805_1193:                           ; =>This Inner Loop Header: Depth=1
	s_or_b32 s20, s20, exec_lo
	s_cmp_eq_u64 s[12:13], s[14:15]
	s_cbranch_scc0 .LBB805_1191
; %bb.1194:                             ;   in Loop: Header=BB805_1193 Depth=1
	s_mov_b64 s[14:15], s[8:9]
                                        ; implicit-def: $vgpr17_vgpr18
                                        ; implicit-def: $vgpr57_vgpr58
	s_branch .LBB805_1192
.LBB805_1195:
	v_mov_b32_e32 v17, 0
	v_mov_b32_e32 v18, 0
	s_branch .LBB805_1198
.LBB805_1196:
	s_set_inst_prefetch_distance 0x2
	s_or_b32 exec_lo, exec_lo, s19
	v_cmp_gt_i64_e32 vcc_lo, s[8:9], v[59:60]
	s_mov_b32 s0, 0
	s_delay_alu instid0(SALU_CYCLE_1)
	v_mov_b32_e32 v18, s0
	v_cndmask_b32_e64 v17, 0, 1, vcc_lo
.LBB805_1197:
	s_or_b32 exec_lo, exec_lo, s18
.LBB805_1198:
	s_delay_alu instid0(SALU_CYCLE_1) | instskip(SKIP_2) | instid1(VALU_DEP_1)
	s_or_b32 exec_lo, exec_lo, s3
	v_add_nc_u32_e32 v57, 3, v64
	s_mov_b32 s3, exec_lo
	v_cmpx_gt_u32_e64 s6, v57
	s_cbranch_execz .LBB805_1209
; %bb.1199:
	v_cmp_ne_u32_e32 vcc_lo, 1, v63
	s_cbranch_vccnz .LBB805_1206
; %bb.1200:
	v_mul_lo_u32 v59, v16, s8
	v_mul_lo_u32 v60, v15, s9
	v_mad_u64_u32 v[57:58], null, v15, s8, 0
	v_mul_lo_u32 v61, v14, s8
	v_mul_lo_u32 v62, v13, s9
	v_mad_u64_u32 v[15:16], null, v13, s8, 0
	s_delay_alu instid0(VALU_DEP_4) | instskip(NEXT) | instid1(VALU_DEP_2)
	v_add3_u32 v58, v58, v60, v59
	v_add3_u32 v16, v16, v62, v61
	s_delay_alu instid0(VALU_DEP_2) | instskip(NEXT) | instid1(VALU_DEP_2)
	v_lshlrev_b64 v[57:58], 3, v[57:58]
	v_lshlrev_b64 v[15:16], 3, v[15:16]
	s_delay_alu instid0(VALU_DEP_2) | instskip(NEXT) | instid1(VALU_DEP_3)
	v_add_co_u32 v57, vcc_lo, s10, v57
	v_add_co_ci_u32_e32 v58, vcc_lo, s11, v58, vcc_lo
	s_delay_alu instid0(VALU_DEP_3) | instskip(NEXT) | instid1(VALU_DEP_4)
	v_add_co_u32 v59, vcc_lo, s10, v15
	v_add_co_ci_u32_e32 v60, vcc_lo, s11, v16, vcc_lo
	s_clause 0x1
	global_load_b64 v[15:16], v[57:58], off
	global_load_b64 v[61:62], v[59:60], off
	s_waitcnt vmcnt(0)
	v_cmp_eq_f64_e32 vcc_lo, v[15:16], v[61:62]
	v_mov_b32_e32 v15, 1
	v_mov_b32_e32 v16, 0
	s_and_saveexec_b32 s18, vcc_lo
	s_cbranch_execz .LBB805_1208
; %bb.1201:
	v_add_co_u32 v15, vcc_lo, v59, 8
	v_add_co_ci_u32_e32 v16, vcc_lo, 0, v60, vcc_lo
	v_add_co_u32 v57, vcc_lo, v57, 8
	v_add_co_ci_u32_e32 v58, vcc_lo, 0, v58, vcc_lo
	s_add_u32 s12, s8, -1
	s_addc_u32 s13, s9, -1
	s_mov_b64 s[14:15], 0
	s_mov_b32 s19, 0
                                        ; implicit-def: $sgpr20
	s_set_inst_prefetch_distance 0x1
	s_branch .LBB805_1204
	.p2align	6
.LBB805_1202:                           ;   in Loop: Header=BB805_1204 Depth=1
	global_load_b64 v[59:60], v[57:58], off
	global_load_b64 v[61:62], v[15:16], off
	v_add_co_u32 v15, s0, v15, 8
	s_delay_alu instid0(VALU_DEP_1) | instskip(SKIP_1) | instid1(VALU_DEP_1)
	v_add_co_ci_u32_e64 v16, s0, 0, v16, s0
	v_add_co_u32 v57, s0, v57, 8
	v_add_co_ci_u32_e64 v58, s0, 0, v58, s0
	s_add_u32 s14, s14, 1
	s_addc_u32 s15, s15, 0
	s_and_not1_b32 s0, s20, exec_lo
	s_waitcnt vmcnt(0)
	v_cmp_neq_f64_e32 vcc_lo, v[59:60], v[61:62]
	s_and_b32 s20, vcc_lo, exec_lo
	s_delay_alu instid0(SALU_CYCLE_1)
	s_or_b32 s20, s0, s20
.LBB805_1203:                           ;   in Loop: Header=BB805_1204 Depth=1
	v_dual_mov_b32 v60, s15 :: v_dual_mov_b32 v59, s14
	s_and_b32 s0, exec_lo, s20
	s_delay_alu instid0(SALU_CYCLE_1) | instskip(NEXT) | instid1(SALU_CYCLE_1)
	s_or_b32 s19, s0, s19
	s_and_not1_b32 exec_lo, exec_lo, s19
	s_cbranch_execz .LBB805_1207
.LBB805_1204:                           ; =>This Inner Loop Header: Depth=1
	s_or_b32 s20, s20, exec_lo
	s_cmp_eq_u64 s[12:13], s[14:15]
	s_cbranch_scc0 .LBB805_1202
; %bb.1205:                             ;   in Loop: Header=BB805_1204 Depth=1
	s_mov_b64 s[14:15], s[8:9]
                                        ; implicit-def: $vgpr15_vgpr16
                                        ; implicit-def: $vgpr57_vgpr58
	s_branch .LBB805_1203
.LBB805_1206:
	v_mov_b32_e32 v15, 0
	v_mov_b32_e32 v16, 0
	s_branch .LBB805_1209
.LBB805_1207:
	s_set_inst_prefetch_distance 0x2
	s_or_b32 exec_lo, exec_lo, s19
	v_cmp_gt_i64_e32 vcc_lo, s[8:9], v[59:60]
	s_mov_b32 s0, 0
	s_delay_alu instid0(SALU_CYCLE_1)
	v_mov_b32_e32 v16, s0
	v_cndmask_b32_e64 v15, 0, 1, vcc_lo
.LBB805_1208:
	s_or_b32 exec_lo, exec_lo, s18
.LBB805_1209:
	s_delay_alu instid0(SALU_CYCLE_1) | instskip(SKIP_2) | instid1(VALU_DEP_1)
	s_or_b32 exec_lo, exec_lo, s3
	v_add_nc_u32_e32 v57, 2, v64
	s_mov_b32 s3, exec_lo
	v_cmpx_gt_u32_e64 s6, v57
	s_cbranch_execz .LBB805_1220
; %bb.1210:
	v_cmp_ne_u32_e32 vcc_lo, 1, v63
	s_cbranch_vccnz .LBB805_1217
; %bb.1211:
	v_mul_lo_u32 v59, v14, s8
	v_mul_lo_u32 v60, v13, s9
	v_mad_u64_u32 v[57:58], null, v13, s8, 0
	v_mul_lo_u32 v61, v4, s8
	v_mul_lo_u32 v62, v3, s9
	v_mad_u64_u32 v[13:14], null, v3, s8, 0
	s_delay_alu instid0(VALU_DEP_4) | instskip(NEXT) | instid1(VALU_DEP_2)
	v_add3_u32 v58, v58, v60, v59
	v_add3_u32 v14, v14, v62, v61
	s_delay_alu instid0(VALU_DEP_2) | instskip(NEXT) | instid1(VALU_DEP_2)
	v_lshlrev_b64 v[57:58], 3, v[57:58]
	v_lshlrev_b64 v[13:14], 3, v[13:14]
	s_delay_alu instid0(VALU_DEP_2) | instskip(NEXT) | instid1(VALU_DEP_3)
	v_add_co_u32 v57, vcc_lo, s10, v57
	v_add_co_ci_u32_e32 v58, vcc_lo, s11, v58, vcc_lo
	s_delay_alu instid0(VALU_DEP_3) | instskip(NEXT) | instid1(VALU_DEP_4)
	v_add_co_u32 v59, vcc_lo, s10, v13
	v_add_co_ci_u32_e32 v60, vcc_lo, s11, v14, vcc_lo
	s_clause 0x1
	global_load_b64 v[13:14], v[57:58], off
	global_load_b64 v[61:62], v[59:60], off
	s_waitcnt vmcnt(0)
	v_cmp_eq_f64_e32 vcc_lo, v[13:14], v[61:62]
	v_mov_b32_e32 v13, 1
	v_mov_b32_e32 v14, 0
	s_and_saveexec_b32 s18, vcc_lo
	s_cbranch_execz .LBB805_1219
; %bb.1212:
	v_add_co_u32 v13, vcc_lo, v59, 8
	v_add_co_ci_u32_e32 v14, vcc_lo, 0, v60, vcc_lo
	v_add_co_u32 v57, vcc_lo, v57, 8
	v_add_co_ci_u32_e32 v58, vcc_lo, 0, v58, vcc_lo
	s_add_u32 s12, s8, -1
	s_addc_u32 s13, s9, -1
	s_mov_b64 s[14:15], 0
	s_mov_b32 s19, 0
                                        ; implicit-def: $sgpr20
	s_set_inst_prefetch_distance 0x1
	s_branch .LBB805_1215
	.p2align	6
.LBB805_1213:                           ;   in Loop: Header=BB805_1215 Depth=1
	global_load_b64 v[59:60], v[57:58], off
	global_load_b64 v[61:62], v[13:14], off
	v_add_co_u32 v13, s0, v13, 8
	s_delay_alu instid0(VALU_DEP_1) | instskip(SKIP_1) | instid1(VALU_DEP_1)
	v_add_co_ci_u32_e64 v14, s0, 0, v14, s0
	v_add_co_u32 v57, s0, v57, 8
	v_add_co_ci_u32_e64 v58, s0, 0, v58, s0
	s_add_u32 s14, s14, 1
	s_addc_u32 s15, s15, 0
	s_and_not1_b32 s0, s20, exec_lo
	s_waitcnt vmcnt(0)
	v_cmp_neq_f64_e32 vcc_lo, v[59:60], v[61:62]
	s_and_b32 s20, vcc_lo, exec_lo
	s_delay_alu instid0(SALU_CYCLE_1)
	s_or_b32 s20, s0, s20
.LBB805_1214:                           ;   in Loop: Header=BB805_1215 Depth=1
	v_dual_mov_b32 v60, s15 :: v_dual_mov_b32 v59, s14
	s_and_b32 s0, exec_lo, s20
	s_delay_alu instid0(SALU_CYCLE_1) | instskip(NEXT) | instid1(SALU_CYCLE_1)
	s_or_b32 s19, s0, s19
	s_and_not1_b32 exec_lo, exec_lo, s19
	s_cbranch_execz .LBB805_1218
.LBB805_1215:                           ; =>This Inner Loop Header: Depth=1
	s_or_b32 s20, s20, exec_lo
	s_cmp_eq_u64 s[12:13], s[14:15]
	s_cbranch_scc0 .LBB805_1213
; %bb.1216:                             ;   in Loop: Header=BB805_1215 Depth=1
	s_mov_b64 s[14:15], s[8:9]
                                        ; implicit-def: $vgpr13_vgpr14
                                        ; implicit-def: $vgpr57_vgpr58
	s_branch .LBB805_1214
.LBB805_1217:
	v_mov_b32_e32 v13, 0
	v_mov_b32_e32 v14, 0
	s_branch .LBB805_1220
.LBB805_1218:
	s_set_inst_prefetch_distance 0x2
	s_or_b32 exec_lo, exec_lo, s19
	v_cmp_gt_i64_e32 vcc_lo, s[8:9], v[59:60]
	s_mov_b32 s0, 0
	s_delay_alu instid0(SALU_CYCLE_1)
	v_mov_b32_e32 v14, s0
	v_cndmask_b32_e64 v13, 0, 1, vcc_lo
.LBB805_1219:
	s_or_b32 exec_lo, exec_lo, s18
.LBB805_1220:
	s_delay_alu instid0(SALU_CYCLE_1) | instskip(SKIP_2) | instid1(VALU_DEP_1)
	s_or_b32 exec_lo, exec_lo, s3
	v_add_nc_u32_e32 v57, 1, v64
	s_mov_b32 s3, exec_lo
	v_cmpx_gt_u32_e64 s6, v57
	s_cbranch_execz .LBB805_1231
; %bb.1221:
	v_cmp_ne_u32_e32 vcc_lo, 1, v63
	s_cbranch_vccnz .LBB805_1228
; %bb.1222:
	v_mul_lo_u32 v59, v4, s8
	v_mul_lo_u32 v60, v3, s9
	v_mad_u64_u32 v[57:58], null, v3, s8, 0
	v_mul_lo_u32 v61, v2, s8
	v_mul_lo_u32 v62, v1, s9
	v_mad_u64_u32 v[3:4], null, v1, s8, 0
	s_delay_alu instid0(VALU_DEP_4) | instskip(NEXT) | instid1(VALU_DEP_2)
	v_add3_u32 v58, v58, v60, v59
	v_add3_u32 v4, v4, v62, v61
	s_delay_alu instid0(VALU_DEP_2) | instskip(NEXT) | instid1(VALU_DEP_2)
	v_lshlrev_b64 v[57:58], 3, v[57:58]
	v_lshlrev_b64 v[3:4], 3, v[3:4]
	s_delay_alu instid0(VALU_DEP_2) | instskip(NEXT) | instid1(VALU_DEP_3)
	v_add_co_u32 v57, vcc_lo, s10, v57
	v_add_co_ci_u32_e32 v58, vcc_lo, s11, v58, vcc_lo
	s_delay_alu instid0(VALU_DEP_3) | instskip(NEXT) | instid1(VALU_DEP_4)
	v_add_co_u32 v59, vcc_lo, s10, v3
	v_add_co_ci_u32_e32 v60, vcc_lo, s11, v4, vcc_lo
	s_clause 0x1
	global_load_b64 v[3:4], v[57:58], off
	global_load_b64 v[61:62], v[59:60], off
	s_waitcnt vmcnt(0)
	v_cmp_eq_f64_e32 vcc_lo, v[3:4], v[61:62]
	v_mov_b32_e32 v3, 1
	v_mov_b32_e32 v4, 0
	s_and_saveexec_b32 s18, vcc_lo
	s_cbranch_execz .LBB805_1230
; %bb.1223:
	v_add_co_u32 v3, vcc_lo, v59, 8
	v_add_co_ci_u32_e32 v4, vcc_lo, 0, v60, vcc_lo
	v_add_co_u32 v57, vcc_lo, v57, 8
	v_add_co_ci_u32_e32 v58, vcc_lo, 0, v58, vcc_lo
	s_add_u32 s12, s8, -1
	s_addc_u32 s13, s9, -1
	s_mov_b64 s[14:15], 0
	s_mov_b32 s19, 0
                                        ; implicit-def: $sgpr20
	s_set_inst_prefetch_distance 0x1
	s_branch .LBB805_1226
	.p2align	6
.LBB805_1224:                           ;   in Loop: Header=BB805_1226 Depth=1
	global_load_b64 v[59:60], v[57:58], off
	global_load_b64 v[61:62], v[3:4], off
	v_add_co_u32 v3, s0, v3, 8
	s_delay_alu instid0(VALU_DEP_1) | instskip(SKIP_1) | instid1(VALU_DEP_1)
	v_add_co_ci_u32_e64 v4, s0, 0, v4, s0
	v_add_co_u32 v57, s0, v57, 8
	v_add_co_ci_u32_e64 v58, s0, 0, v58, s0
	s_add_u32 s14, s14, 1
	s_addc_u32 s15, s15, 0
	s_and_not1_b32 s0, s20, exec_lo
	s_waitcnt vmcnt(0)
	v_cmp_neq_f64_e32 vcc_lo, v[59:60], v[61:62]
	s_and_b32 s20, vcc_lo, exec_lo
	s_delay_alu instid0(SALU_CYCLE_1)
	s_or_b32 s20, s0, s20
.LBB805_1225:                           ;   in Loop: Header=BB805_1226 Depth=1
	v_dual_mov_b32 v60, s15 :: v_dual_mov_b32 v59, s14
	s_and_b32 s0, exec_lo, s20
	s_delay_alu instid0(SALU_CYCLE_1) | instskip(NEXT) | instid1(SALU_CYCLE_1)
	s_or_b32 s19, s0, s19
	s_and_not1_b32 exec_lo, exec_lo, s19
	s_cbranch_execz .LBB805_1229
.LBB805_1226:                           ; =>This Inner Loop Header: Depth=1
	s_or_b32 s20, s20, exec_lo
	s_cmp_eq_u64 s[12:13], s[14:15]
	s_cbranch_scc0 .LBB805_1224
; %bb.1227:                             ;   in Loop: Header=BB805_1226 Depth=1
	s_mov_b64 s[14:15], s[8:9]
                                        ; implicit-def: $vgpr3_vgpr4
                                        ; implicit-def: $vgpr57_vgpr58
	s_branch .LBB805_1225
.LBB805_1228:
	v_mov_b32_e32 v3, 0
	v_mov_b32_e32 v4, 0
	s_branch .LBB805_1231
.LBB805_1229:
	s_set_inst_prefetch_distance 0x2
	s_or_b32 exec_lo, exec_lo, s19
	v_cmp_gt_i64_e32 vcc_lo, s[8:9], v[59:60]
	s_mov_b32 s0, 0
	s_delay_alu instid0(SALU_CYCLE_1)
	v_mov_b32_e32 v4, s0
	v_cndmask_b32_e64 v3, 0, 1, vcc_lo
.LBB805_1230:
	s_or_b32 exec_lo, exec_lo, s18
.LBB805_1231:
	s_delay_alu instid0(SALU_CYCLE_1)
	s_or_b32 exec_lo, exec_lo, s3
	v_cmp_ne_u32_e32 vcc_lo, 0, v0
	v_cmp_gt_u32_e64 s0, s6, v64
	s_mov_b32 s12, 0
	s_waitcnt lgkmcnt(0)
	s_barrier
	buffer_gl0_inv
	s_and_b32 s13, vcc_lo, s0
                                        ; implicit-def: $sgpr0
	s_delay_alu instid0(SALU_CYCLE_1)
	s_and_saveexec_b32 s3, s13
	s_cbranch_execz .LBB805_1242
; %bb.1232:
	v_cmp_ne_u32_e32 vcc_lo, 1, v63
	s_cbranch_vccnz .LBB805_1241
; %bb.1233:
	v_add_nc_u32_e32 v57, -8, v195
	v_mul_lo_u32 v61, v2, s8
	v_mul_lo_u32 v62, v1, s9
	v_mad_u64_u32 v[59:60], null, v1, s8, 0
	ds_load_b64 v[57:58], v57
	s_mov_b32 s12, -1
	s_mov_b32 s14, exec_lo
	v_add3_u32 v60, v60, v62, v61
	s_waitcnt lgkmcnt(0)
	v_mul_lo_u32 v58, v58, s8
	v_mul_lo_u32 v63, v57, s9
	v_mad_u64_u32 v[1:2], null, v57, s8, 0
	s_delay_alu instid0(VALU_DEP_1) | instskip(SKIP_1) | instid1(VALU_DEP_2)
	v_add3_u32 v2, v2, v63, v58
	v_lshlrev_b64 v[57:58], 3, v[59:60]
	v_lshlrev_b64 v[1:2], 3, v[1:2]
	s_delay_alu instid0(VALU_DEP_2) | instskip(NEXT) | instid1(VALU_DEP_3)
	v_add_co_u32 v57, vcc_lo, s10, v57
	v_add_co_ci_u32_e32 v58, vcc_lo, s11, v58, vcc_lo
	s_delay_alu instid0(VALU_DEP_3) | instskip(NEXT) | instid1(VALU_DEP_4)
	v_add_co_u32 v1, vcc_lo, s10, v1
	v_add_co_ci_u32_e32 v2, vcc_lo, s11, v2, vcc_lo
	s_clause 0x1
	global_load_b64 v[59:60], v[57:58], off
	global_load_b64 v[61:62], v[1:2], off
	s_waitcnt vmcnt(0)
	v_cmpx_eq_f64_e32 v[59:60], v[61:62]
	s_cbranch_execz .LBB805_1240
; %bb.1234:
	v_add_co_u32 v1, vcc_lo, v1, 8
	v_add_co_ci_u32_e32 v2, vcc_lo, 0, v2, vcc_lo
	v_add_co_u32 v57, vcc_lo, v57, 8
	v_add_co_ci_u32_e32 v58, vcc_lo, 0, v58, vcc_lo
	s_add_u32 s10, s8, -1
	s_addc_u32 s11, s9, -1
	s_mov_b64 s[12:13], 0
	s_mov_b32 s15, 0
                                        ; implicit-def: $sgpr18
	s_set_inst_prefetch_distance 0x1
	s_branch .LBB805_1237
	.p2align	6
.LBB805_1235:                           ;   in Loop: Header=BB805_1237 Depth=1
	global_load_b64 v[59:60], v[57:58], off
	global_load_b64 v[61:62], v[1:2], off
	v_add_co_u32 v1, s0, v1, 8
	s_delay_alu instid0(VALU_DEP_1) | instskip(SKIP_1) | instid1(VALU_DEP_1)
	v_add_co_ci_u32_e64 v2, s0, 0, v2, s0
	v_add_co_u32 v57, s0, v57, 8
	v_add_co_ci_u32_e64 v58, s0, 0, v58, s0
	s_add_u32 s12, s12, 1
	s_addc_u32 s13, s13, 0
	s_and_not1_b32 s0, s18, exec_lo
	s_waitcnt vmcnt(0)
	v_cmp_neq_f64_e32 vcc_lo, v[59:60], v[61:62]
	s_and_b32 s18, vcc_lo, exec_lo
	s_delay_alu instid0(SALU_CYCLE_1)
	s_or_b32 s18, s0, s18
.LBB805_1236:                           ;   in Loop: Header=BB805_1237 Depth=1
	v_dual_mov_b32 v60, s13 :: v_dual_mov_b32 v59, s12
	s_and_b32 s0, exec_lo, s18
	s_delay_alu instid0(SALU_CYCLE_1) | instskip(NEXT) | instid1(SALU_CYCLE_1)
	s_or_b32 s15, s0, s15
	s_and_not1_b32 exec_lo, exec_lo, s15
	s_cbranch_execz .LBB805_1239
.LBB805_1237:                           ; =>This Inner Loop Header: Depth=1
	s_or_b32 s18, s18, exec_lo
	s_cmp_eq_u64 s[10:11], s[12:13]
	s_cbranch_scc0 .LBB805_1235
; %bb.1238:                             ;   in Loop: Header=BB805_1237 Depth=1
	s_mov_b64 s[12:13], s[8:9]
                                        ; implicit-def: $vgpr1_vgpr2
                                        ; implicit-def: $vgpr57_vgpr58
	s_branch .LBB805_1236
.LBB805_1239:
	s_set_inst_prefetch_distance 0x2
	s_or_b32 exec_lo, exec_lo, s15
	v_cmp_gt_i64_e32 vcc_lo, s[8:9], v[59:60]
	s_or_not1_b32 s12, vcc_lo, exec_lo
.LBB805_1240:
	s_or_b32 exec_lo, exec_lo, s14
.LBB805_1241:
	s_delay_alu instid0(SALU_CYCLE_1)
	s_and_b32 s0, s12, exec_lo
	s_or_b32 s1, s1, exec_lo
.LBB805_1242:
	s_or_b32 exec_lo, exec_lo, s3
	v_dual_mov_b32 v166, v4 :: v_dual_mov_b32 v165, v3
	v_dual_mov_b32 v164, v14 :: v_dual_mov_b32 v163, v13
	;; [unrolled: 1-line block ×55, first 2 shown]
.LBB805_1243:
	s_and_saveexec_b32 s3, s1
	s_cbranch_execz .LBB805_1245
; %bb.1244:
	s_mov_b32 s1, 0
	v_dual_mov_b32 v194, v114 :: v_dual_mov_b32 v63, v117
	v_dual_mov_b32 v2, s1 :: v_dual_mov_b32 v59, v115
	;; [unrolled: 1-line block ×13, first 2 shown]
	v_mov_b32_e32 v168, v164
	v_dual_mov_b32 v182, v166 :: v_dual_mov_b32 v181, v165
	v_cndmask_b32_e64 v1, 0, 1, s0
	v_dual_mov_b32 v60, v116 :: v_dual_mov_b32 v193, v113
	v_dual_mov_b32 v64, v118 :: v_dual_mov_b32 v191, v119
	;; [unrolled: 1-line block ×13, first 2 shown]
.LBB805_1245:
	s_or_b32 exec_lo, exec_lo, s3
	v_mul_u32_u24_e32 v65, 0xe8, v0
	v_mul_i32_i24_e32 v66, 0xffffff20, v0
	s_add_u32 s8, s4, s16
	s_addc_u32 s4, s5, s17
	s_and_b32 vcc_lo, exec_lo, s26
	s_waitcnt lgkmcnt(0)
	s_barrier
	buffer_gl0_inv
	s_cbranch_vccz .LBB805_1303
; %bb.1246:
	v_dual_mov_b32 v3, v181 :: v_dual_mov_b32 v4, v182
	s_mov_b32 s3, 0
	ds_store_2addr_b64 v65, v[169:170], v[103:104] offset0:4 offset1:5
	ds_store_2addr_b64 v65, v[171:172], v[99:100] offset0:6 offset1:7
	ds_store_2addr_b64 v65, v[1:2], v[3:4] offset1:1
	ds_store_2addr_b64 v65, v[167:168], v[107:108] offset0:2 offset1:3
	ds_store_2addr_b64 v65, v[173:174], v[95:96] offset0:8 offset1:9
	;; [unrolled: 1-line block ×11, first 2 shown]
	v_mad_u32_u24 v3, 0xe8, v0, v66
	ds_store_b64 v65, v[111:112] offset:224
	s_waitcnt lgkmcnt(0)
	s_barrier
	buffer_gl0_inv
	ds_load_2addr_stride64_b64 v[55:58], v3 offset0:2 offset1:4
	ds_load_2addr_stride64_b64 v[51:54], v3 offset0:6 offset1:8
	;; [unrolled: 1-line block ×14, first 2 shown]
	s_lshl_b64 s[0:1], s[2:3], 3
	s_add_i32 s7, s7, s6
	s_add_u32 s0, s8, s0
	s_addc_u32 s1, s4, s1
	v_add_co_u32 v61, s0, s0, v195
	s_delay_alu instid0(VALU_DEP_1)
	v_add_co_ci_u32_e64 v62, null, s1, 0, s0
	s_mov_b32 s0, exec_lo
	v_cmpx_gt_u32_e64 s7, v0
	s_cbranch_execz .LBB805_1248
; %bb.1247:
	v_add_nc_u32_e32 v69, v65, v66
	ds_load_b64 v[69:70], v69
	s_waitcnt lgkmcnt(0)
	global_store_b64 v[61:62], v[69:70], off
.LBB805_1248:
	s_or_b32 exec_lo, exec_lo, s0
	v_or_b32_e32 v69, 0x80, v0
	s_mov_b32 s0, exec_lo
	s_delay_alu instid0(VALU_DEP_1)
	v_cmpx_gt_u32_e64 s7, v69
	s_cbranch_execz .LBB805_1250
; %bb.1249:
	s_waitcnt lgkmcnt(13)
	global_store_b64 v[61:62], v[55:56], off offset:1024
.LBB805_1250:
	s_or_b32 exec_lo, exec_lo, s0
	s_waitcnt lgkmcnt(13)
	v_or_b32_e32 v55, 0x100, v0
	s_mov_b32 s0, exec_lo
	s_delay_alu instid0(VALU_DEP_1)
	v_cmpx_gt_u32_e64 s7, v55
	s_cbranch_execz .LBB805_1252
; %bb.1251:
	global_store_b64 v[61:62], v[57:58], off offset:2048
.LBB805_1252:
	s_or_b32 exec_lo, exec_lo, s0
	v_or_b32_e32 v55, 0x180, v0
	s_mov_b32 s0, exec_lo
	s_delay_alu instid0(VALU_DEP_1)
	v_cmpx_gt_u32_e64 s7, v55
	s_cbranch_execz .LBB805_1254
; %bb.1253:
	s_waitcnt lgkmcnt(12)
	global_store_b64 v[61:62], v[51:52], off offset:3072
.LBB805_1254:
	s_or_b32 exec_lo, exec_lo, s0
	s_waitcnt lgkmcnt(12)
	v_or_b32_e32 v51, 0x200, v0
	s_mov_b32 s0, exec_lo
	s_delay_alu instid0(VALU_DEP_1)
	v_cmpx_gt_u32_e64 s7, v51
	s_cbranch_execz .LBB805_1256
; %bb.1255:
	v_add_co_u32 v51, vcc_lo, 0x1000, v61
	v_add_co_ci_u32_e32 v52, vcc_lo, 0, v62, vcc_lo
	global_store_b64 v[51:52], v[53:54], off
.LBB805_1256:
	s_or_b32 exec_lo, exec_lo, s0
	v_or_b32_e32 v51, 0x280, v0
	s_mov_b32 s0, exec_lo
	s_delay_alu instid0(VALU_DEP_1)
	v_cmpx_gt_u32_e64 s7, v51
	s_cbranch_execz .LBB805_1258
; %bb.1257:
	v_add_co_u32 v51, vcc_lo, 0x1000, v61
	v_add_co_ci_u32_e32 v52, vcc_lo, 0, v62, vcc_lo
	s_waitcnt lgkmcnt(11)
	global_store_b64 v[51:52], v[47:48], off offset:1024
.LBB805_1258:
	s_or_b32 exec_lo, exec_lo, s0
	s_waitcnt lgkmcnt(11)
	v_or_b32_e32 v47, 0x300, v0
	s_mov_b32 s0, exec_lo
	s_delay_alu instid0(VALU_DEP_1)
	v_cmpx_gt_u32_e64 s7, v47
	s_cbranch_execz .LBB805_1260
; %bb.1259:
	v_add_co_u32 v47, vcc_lo, 0x1000, v61
	v_add_co_ci_u32_e32 v48, vcc_lo, 0, v62, vcc_lo
	global_store_b64 v[47:48], v[49:50], off offset:2048
.LBB805_1260:
	s_or_b32 exec_lo, exec_lo, s0
	v_or_b32_e32 v47, 0x380, v0
	s_mov_b32 s0, exec_lo
	s_delay_alu instid0(VALU_DEP_1)
	v_cmpx_gt_u32_e64 s7, v47
	s_cbranch_execz .LBB805_1262
; %bb.1261:
	v_add_co_u32 v47, vcc_lo, 0x1000, v61
	v_add_co_ci_u32_e32 v48, vcc_lo, 0, v62, vcc_lo
	s_waitcnt lgkmcnt(10)
	global_store_b64 v[47:48], v[43:44], off offset:3072
.LBB805_1262:
	s_or_b32 exec_lo, exec_lo, s0
	s_waitcnt lgkmcnt(10)
	v_or_b32_e32 v43, 0x400, v0
	s_mov_b32 s0, exec_lo
	s_delay_alu instid0(VALU_DEP_1)
	v_cmpx_gt_u32_e64 s7, v43
	s_cbranch_execz .LBB805_1264
; %bb.1263:
	v_add_co_u32 v43, vcc_lo, 0x2000, v61
	v_add_co_ci_u32_e32 v44, vcc_lo, 0, v62, vcc_lo
	global_store_b64 v[43:44], v[45:46], off
.LBB805_1264:
	s_or_b32 exec_lo, exec_lo, s0
	v_or_b32_e32 v43, 0x480, v0
	s_mov_b32 s0, exec_lo
	s_delay_alu instid0(VALU_DEP_1)
	v_cmpx_gt_u32_e64 s7, v43
	s_cbranch_execz .LBB805_1266
; %bb.1265:
	v_add_co_u32 v43, vcc_lo, 0x2000, v61
	v_add_co_ci_u32_e32 v44, vcc_lo, 0, v62, vcc_lo
	s_waitcnt lgkmcnt(9)
	global_store_b64 v[43:44], v[39:40], off offset:1024
.LBB805_1266:
	s_or_b32 exec_lo, exec_lo, s0
	s_waitcnt lgkmcnt(9)
	v_or_b32_e32 v39, 0x500, v0
	s_mov_b32 s0, exec_lo
	s_delay_alu instid0(VALU_DEP_1)
	v_cmpx_gt_u32_e64 s7, v39
	s_cbranch_execz .LBB805_1268
; %bb.1267:
	v_add_co_u32 v39, vcc_lo, 0x2000, v61
	v_add_co_ci_u32_e32 v40, vcc_lo, 0, v62, vcc_lo
	global_store_b64 v[39:40], v[41:42], off offset:2048
.LBB805_1268:
	s_or_b32 exec_lo, exec_lo, s0
	v_or_b32_e32 v39, 0x580, v0
	s_mov_b32 s0, exec_lo
	s_delay_alu instid0(VALU_DEP_1)
	v_cmpx_gt_u32_e64 s7, v39
	s_cbranch_execz .LBB805_1270
; %bb.1269:
	v_add_co_u32 v39, vcc_lo, 0x2000, v61
	v_add_co_ci_u32_e32 v40, vcc_lo, 0, v62, vcc_lo
	s_waitcnt lgkmcnt(8)
	global_store_b64 v[39:40], v[35:36], off offset:3072
.LBB805_1270:
	;; [unrolled: 48-line block ×6, first 2 shown]
	s_or_b32 exec_lo, exec_lo, s0
	s_waitcnt lgkmcnt(0)
	v_or_b32_e32 v3, 0xe00, v0
	s_delay_alu instid0(VALU_DEP_1)
	v_cmp_gt_u32_e64 s5, s7, v3
	s_branch .LBB805_1305
.LBB805_1303:
	s_mov_b32 s5, 0
                                        ; implicit-def: $vgpr5_vgpr6
                                        ; implicit-def: $vgpr61_vgpr62
	s_cbranch_execz .LBB805_1305
; %bb.1304:
	v_mad_u32_u24 v4, 0xe8, v0, v66
	ds_store_2addr_b64 v65, v[1:2], v[181:182] offset1:1
	ds_store_2addr_b64 v65, v[167:168], v[107:108] offset0:2 offset1:3
	ds_store_2addr_b64 v65, v[169:170], v[103:104] offset0:4 offset1:5
	;; [unrolled: 1-line block ×13, first 2 shown]
	ds_store_b64 v65, v[111:112] offset:224
	s_waitcnt lgkmcnt(0)
	s_waitcnt_vscnt null, 0x0
	s_barrier
	buffer_gl0_inv
	ds_load_2addr_stride64_b64 v[0:3], v4 offset1:2
	s_mov_b32 s3, 0
	ds_load_2addr_stride64_b64 v[7:10], v4 offset0:4 offset1:6
	ds_load_2addr_stride64_b64 v[11:14], v4 offset0:8 offset1:10
	;; [unrolled: 1-line block ×13, first 2 shown]
	ds_load_b64 v[5:6], v4 offset:28672
	s_lshl_b64 s[0:1], s[2:3], 3
	s_delay_alu instid0(SALU_CYCLE_1) | instskip(SKIP_2) | instid1(VALU_DEP_1)
	s_add_u32 s0, s8, s0
	s_addc_u32 s1, s4, s1
	v_add_co_u32 v61, s2, s0, v195
	v_add_co_ci_u32_e64 v62, null, s1, 0, s2
	s_or_b32 s5, s5, exec_lo
	s_waitcnt lgkmcnt(14)
	s_clause 0x1
	global_store_b64 v195, v[0:1], s[0:1]
	global_store_b64 v195, v[2:3], s[0:1] offset:1024
	s_waitcnt lgkmcnt(13)
	s_clause 0x1
	global_store_b64 v195, v[7:8], s[0:1] offset:2048
	global_store_b64 v195, v[9:10], s[0:1] offset:3072
	v_add_co_u32 v0, vcc_lo, 0x1000, v61
	v_add_co_ci_u32_e32 v1, vcc_lo, 0, v62, vcc_lo
	v_add_co_u32 v2, vcc_lo, v61, 0x2000
	v_add_co_ci_u32_e32 v3, vcc_lo, 0, v62, vcc_lo
	;; [unrolled: 2-line block ×3, first 2 shown]
	s_waitcnt lgkmcnt(10)
	s_clause 0x4
	global_store_b64 v[2:3], v[19:20], off
	global_store_b64 v[0:1], v[13:14], off offset:1024
	global_store_b64 v[0:1], v[15:16], off offset:2048
	;; [unrolled: 1-line block ×4, first 2 shown]
	v_add_co_u32 v0, vcc_lo, 0x3000, v61
	v_add_co_ci_u32_e32 v1, vcc_lo, 0, v62, vcc_lo
	v_add_co_u32 v9, vcc_lo, v61, 0x4000
	v_add_co_ci_u32_e32 v10, vcc_lo, 0, v62, vcc_lo
	;; [unrolled: 2-line block ×3, first 2 shown]
	s_waitcnt lgkmcnt(9)
	s_clause 0x1
	global_store_b64 v[7:8], v[23:24], off offset:2048
	global_store_b64 v[7:8], v[25:26], off offset:3072
	s_waitcnt lgkmcnt(8)
	global_store_b64 v[0:1], v[29:30], off offset:1024
	s_waitcnt lgkmcnt(7)
	s_clause 0x1
	global_store_b64 v[0:1], v[31:32], off offset:2048
	global_store_b64 v[0:1], v[33:34], off offset:3072
	s_waitcnt lgkmcnt(6)
	global_store_b64 v[13:14], v[37:38], off offset:1024
	s_waitcnt lgkmcnt(5)
	s_clause 0x1
	global_store_b64 v[13:14], v[39:40], off offset:2048
	global_store_b64 v[13:14], v[41:42], off offset:3072
	v_add_co_u32 v0, vcc_lo, 0x5000, v61
	v_add_co_ci_u32_e32 v1, vcc_lo, 0, v62, vcc_lo
	v_add_co_u32 v7, vcc_lo, v61, 0x6000
	v_add_co_ci_u32_e32 v8, vcc_lo, 0, v62, vcc_lo
	;; [unrolled: 2-line block ×3, first 2 shown]
	s_clause 0x1
	global_store_b64 v[9:10], v[27:28], off offset:-4096
	global_store_b64 v[9:10], v[35:36], off
	s_waitcnt lgkmcnt(4)
	global_store_b64 v[7:8], v[43:44], off offset:-4096
	s_waitcnt lgkmcnt(2)
	s_clause 0x4
	global_store_b64 v[7:8], v[51:52], off
	global_store_b64 v[0:1], v[45:46], off offset:1024
	global_store_b64 v[0:1], v[47:48], off offset:2048
	;; [unrolled: 1-line block ×4, first 2 shown]
	s_waitcnt lgkmcnt(1)
	s_clause 0x2
	global_store_b64 v[13:14], v[55:56], off offset:2048
	global_store_b64 v[2:3], v[11:12], off offset:-4096
	global_store_b64 v[13:14], v[57:58], off offset:3072
.LBB805_1305:
	s_delay_alu instid0(VALU_DEP_1)
	s_and_saveexec_b32 s0, s5
	s_cbranch_execnz .LBB805_1307
; %bb.1306:
	s_nop 0
	s_sendmsg sendmsg(MSG_DEALLOC_VGPRS)
	s_endpgm
.LBB805_1307:
	v_add_co_u32 v0, vcc_lo, 0x7000, v61
	v_add_co_ci_u32_e32 v1, vcc_lo, 0, v62, vcc_lo
	s_waitcnt lgkmcnt(0)
	global_store_b64 v[0:1], v[5:6], off
	s_nop 0
	s_sendmsg sendmsg(MSG_DEALLOC_VGPRS)
	s_endpgm
	.section	.rodata,"a",@progbits
	.p2align	6, 0x0
	.amdhsa_kernel _ZN7rocprim17ROCPRIM_400000_NS6detail17trampoline_kernelINS0_14default_configENS1_35adjacent_difference_config_selectorILb1ElEEZNS1_24adjacent_difference_implIS3_Lb1ELb0EPlS7_ZN2at6native12_GLOBAL__N_124unique_dim_cuda_templateIdEESt5tupleIJNS8_6TensorESD_SD_EERKSD_lbbbEUlllE1_EE10hipError_tPvRmT2_T3_mT4_P12ihipStream_tbEUlT_E_NS1_11comp_targetILNS1_3genE9ELNS1_11target_archE1100ELNS1_3gpuE3ELNS1_3repE0EEENS1_30default_config_static_selectorELNS0_4arch9wavefront6targetE0EEEvT1_
		.amdhsa_group_segment_fixed_size 29696
		.amdhsa_private_segment_fixed_size 0
		.amdhsa_kernarg_size 64
		.amdhsa_user_sgpr_count 15
		.amdhsa_user_sgpr_dispatch_ptr 0
		.amdhsa_user_sgpr_queue_ptr 0
		.amdhsa_user_sgpr_kernarg_segment_ptr 1
		.amdhsa_user_sgpr_dispatch_id 0
		.amdhsa_user_sgpr_private_segment_size 0
		.amdhsa_wavefront_size32 1
		.amdhsa_uses_dynamic_stack 0
		.amdhsa_enable_private_segment 0
		.amdhsa_system_sgpr_workgroup_id_x 1
		.amdhsa_system_sgpr_workgroup_id_y 0
		.amdhsa_system_sgpr_workgroup_id_z 0
		.amdhsa_system_sgpr_workgroup_info 0
		.amdhsa_system_vgpr_workitem_id 0
		.amdhsa_next_free_vgpr 196
		.amdhsa_next_free_sgpr 30
		.amdhsa_reserve_vcc 1
		.amdhsa_float_round_mode_32 0
		.amdhsa_float_round_mode_16_64 0
		.amdhsa_float_denorm_mode_32 3
		.amdhsa_float_denorm_mode_16_64 3
		.amdhsa_dx10_clamp 1
		.amdhsa_ieee_mode 1
		.amdhsa_fp16_overflow 0
		.amdhsa_workgroup_processor_mode 1
		.amdhsa_memory_ordered 1
		.amdhsa_forward_progress 0
		.amdhsa_shared_vgpr_count 0
		.amdhsa_exception_fp_ieee_invalid_op 0
		.amdhsa_exception_fp_denorm_src 0
		.amdhsa_exception_fp_ieee_div_zero 0
		.amdhsa_exception_fp_ieee_overflow 0
		.amdhsa_exception_fp_ieee_underflow 0
		.amdhsa_exception_fp_ieee_inexact 0
		.amdhsa_exception_int_div_zero 0
	.end_amdhsa_kernel
	.section	.text._ZN7rocprim17ROCPRIM_400000_NS6detail17trampoline_kernelINS0_14default_configENS1_35adjacent_difference_config_selectorILb1ElEEZNS1_24adjacent_difference_implIS3_Lb1ELb0EPlS7_ZN2at6native12_GLOBAL__N_124unique_dim_cuda_templateIdEESt5tupleIJNS8_6TensorESD_SD_EERKSD_lbbbEUlllE1_EE10hipError_tPvRmT2_T3_mT4_P12ihipStream_tbEUlT_E_NS1_11comp_targetILNS1_3genE9ELNS1_11target_archE1100ELNS1_3gpuE3ELNS1_3repE0EEENS1_30default_config_static_selectorELNS0_4arch9wavefront6targetE0EEEvT1_,"axG",@progbits,_ZN7rocprim17ROCPRIM_400000_NS6detail17trampoline_kernelINS0_14default_configENS1_35adjacent_difference_config_selectorILb1ElEEZNS1_24adjacent_difference_implIS3_Lb1ELb0EPlS7_ZN2at6native12_GLOBAL__N_124unique_dim_cuda_templateIdEESt5tupleIJNS8_6TensorESD_SD_EERKSD_lbbbEUlllE1_EE10hipError_tPvRmT2_T3_mT4_P12ihipStream_tbEUlT_E_NS1_11comp_targetILNS1_3genE9ELNS1_11target_archE1100ELNS1_3gpuE3ELNS1_3repE0EEENS1_30default_config_static_selectorELNS0_4arch9wavefront6targetE0EEEvT1_,comdat
.Lfunc_end805:
	.size	_ZN7rocprim17ROCPRIM_400000_NS6detail17trampoline_kernelINS0_14default_configENS1_35adjacent_difference_config_selectorILb1ElEEZNS1_24adjacent_difference_implIS3_Lb1ELb0EPlS7_ZN2at6native12_GLOBAL__N_124unique_dim_cuda_templateIdEESt5tupleIJNS8_6TensorESD_SD_EERKSD_lbbbEUlllE1_EE10hipError_tPvRmT2_T3_mT4_P12ihipStream_tbEUlT_E_NS1_11comp_targetILNS1_3genE9ELNS1_11target_archE1100ELNS1_3gpuE3ELNS1_3repE0EEENS1_30default_config_static_selectorELNS0_4arch9wavefront6targetE0EEEvT1_, .Lfunc_end805-_ZN7rocprim17ROCPRIM_400000_NS6detail17trampoline_kernelINS0_14default_configENS1_35adjacent_difference_config_selectorILb1ElEEZNS1_24adjacent_difference_implIS3_Lb1ELb0EPlS7_ZN2at6native12_GLOBAL__N_124unique_dim_cuda_templateIdEESt5tupleIJNS8_6TensorESD_SD_EERKSD_lbbbEUlllE1_EE10hipError_tPvRmT2_T3_mT4_P12ihipStream_tbEUlT_E_NS1_11comp_targetILNS1_3genE9ELNS1_11target_archE1100ELNS1_3gpuE3ELNS1_3repE0EEENS1_30default_config_static_selectorELNS0_4arch9wavefront6targetE0EEEvT1_
                                        ; -- End function
	.section	.AMDGPU.csdata,"",@progbits
; Kernel info:
; codeLenInByte = 52496
; NumSgprs: 32
; NumVgprs: 196
; ScratchSize: 0
; MemoryBound: 1
; FloatMode: 240
; IeeeMode: 1
; LDSByteSize: 29696 bytes/workgroup (compile time only)
; SGPRBlocks: 3
; VGPRBlocks: 24
; NumSGPRsForWavesPerEU: 32
; NumVGPRsForWavesPerEU: 196
; Occupancy: 4
; WaveLimiterHint : 1
; COMPUTE_PGM_RSRC2:SCRATCH_EN: 0
; COMPUTE_PGM_RSRC2:USER_SGPR: 15
; COMPUTE_PGM_RSRC2:TRAP_HANDLER: 0
; COMPUTE_PGM_RSRC2:TGID_X_EN: 1
; COMPUTE_PGM_RSRC2:TGID_Y_EN: 0
; COMPUTE_PGM_RSRC2:TGID_Z_EN: 0
; COMPUTE_PGM_RSRC2:TIDIG_COMP_CNT: 0
	.section	.text._ZN7rocprim17ROCPRIM_400000_NS6detail17trampoline_kernelINS0_14default_configENS1_35adjacent_difference_config_selectorILb1ElEEZNS1_24adjacent_difference_implIS3_Lb1ELb0EPlS7_ZN2at6native12_GLOBAL__N_124unique_dim_cuda_templateIdEESt5tupleIJNS8_6TensorESD_SD_EERKSD_lbbbEUlllE1_EE10hipError_tPvRmT2_T3_mT4_P12ihipStream_tbEUlT_E_NS1_11comp_targetILNS1_3genE8ELNS1_11target_archE1030ELNS1_3gpuE2ELNS1_3repE0EEENS1_30default_config_static_selectorELNS0_4arch9wavefront6targetE0EEEvT1_,"axG",@progbits,_ZN7rocprim17ROCPRIM_400000_NS6detail17trampoline_kernelINS0_14default_configENS1_35adjacent_difference_config_selectorILb1ElEEZNS1_24adjacent_difference_implIS3_Lb1ELb0EPlS7_ZN2at6native12_GLOBAL__N_124unique_dim_cuda_templateIdEESt5tupleIJNS8_6TensorESD_SD_EERKSD_lbbbEUlllE1_EE10hipError_tPvRmT2_T3_mT4_P12ihipStream_tbEUlT_E_NS1_11comp_targetILNS1_3genE8ELNS1_11target_archE1030ELNS1_3gpuE2ELNS1_3repE0EEENS1_30default_config_static_selectorELNS0_4arch9wavefront6targetE0EEEvT1_,comdat
	.globl	_ZN7rocprim17ROCPRIM_400000_NS6detail17trampoline_kernelINS0_14default_configENS1_35adjacent_difference_config_selectorILb1ElEEZNS1_24adjacent_difference_implIS3_Lb1ELb0EPlS7_ZN2at6native12_GLOBAL__N_124unique_dim_cuda_templateIdEESt5tupleIJNS8_6TensorESD_SD_EERKSD_lbbbEUlllE1_EE10hipError_tPvRmT2_T3_mT4_P12ihipStream_tbEUlT_E_NS1_11comp_targetILNS1_3genE8ELNS1_11target_archE1030ELNS1_3gpuE2ELNS1_3repE0EEENS1_30default_config_static_selectorELNS0_4arch9wavefront6targetE0EEEvT1_ ; -- Begin function _ZN7rocprim17ROCPRIM_400000_NS6detail17trampoline_kernelINS0_14default_configENS1_35adjacent_difference_config_selectorILb1ElEEZNS1_24adjacent_difference_implIS3_Lb1ELb0EPlS7_ZN2at6native12_GLOBAL__N_124unique_dim_cuda_templateIdEESt5tupleIJNS8_6TensorESD_SD_EERKSD_lbbbEUlllE1_EE10hipError_tPvRmT2_T3_mT4_P12ihipStream_tbEUlT_E_NS1_11comp_targetILNS1_3genE8ELNS1_11target_archE1030ELNS1_3gpuE2ELNS1_3repE0EEENS1_30default_config_static_selectorELNS0_4arch9wavefront6targetE0EEEvT1_
	.p2align	8
	.type	_ZN7rocprim17ROCPRIM_400000_NS6detail17trampoline_kernelINS0_14default_configENS1_35adjacent_difference_config_selectorILb1ElEEZNS1_24adjacent_difference_implIS3_Lb1ELb0EPlS7_ZN2at6native12_GLOBAL__N_124unique_dim_cuda_templateIdEESt5tupleIJNS8_6TensorESD_SD_EERKSD_lbbbEUlllE1_EE10hipError_tPvRmT2_T3_mT4_P12ihipStream_tbEUlT_E_NS1_11comp_targetILNS1_3genE8ELNS1_11target_archE1030ELNS1_3gpuE2ELNS1_3repE0EEENS1_30default_config_static_selectorELNS0_4arch9wavefront6targetE0EEEvT1_,@function
_ZN7rocprim17ROCPRIM_400000_NS6detail17trampoline_kernelINS0_14default_configENS1_35adjacent_difference_config_selectorILb1ElEEZNS1_24adjacent_difference_implIS3_Lb1ELb0EPlS7_ZN2at6native12_GLOBAL__N_124unique_dim_cuda_templateIdEESt5tupleIJNS8_6TensorESD_SD_EERKSD_lbbbEUlllE1_EE10hipError_tPvRmT2_T3_mT4_P12ihipStream_tbEUlT_E_NS1_11comp_targetILNS1_3genE8ELNS1_11target_archE1030ELNS1_3gpuE2ELNS1_3repE0EEENS1_30default_config_static_selectorELNS0_4arch9wavefront6targetE0EEEvT1_: ; @_ZN7rocprim17ROCPRIM_400000_NS6detail17trampoline_kernelINS0_14default_configENS1_35adjacent_difference_config_selectorILb1ElEEZNS1_24adjacent_difference_implIS3_Lb1ELb0EPlS7_ZN2at6native12_GLOBAL__N_124unique_dim_cuda_templateIdEESt5tupleIJNS8_6TensorESD_SD_EERKSD_lbbbEUlllE1_EE10hipError_tPvRmT2_T3_mT4_P12ihipStream_tbEUlT_E_NS1_11comp_targetILNS1_3genE8ELNS1_11target_archE1030ELNS1_3gpuE2ELNS1_3repE0EEENS1_30default_config_static_selectorELNS0_4arch9wavefront6targetE0EEEvT1_
; %bb.0:
	.section	.rodata,"a",@progbits
	.p2align	6, 0x0
	.amdhsa_kernel _ZN7rocprim17ROCPRIM_400000_NS6detail17trampoline_kernelINS0_14default_configENS1_35adjacent_difference_config_selectorILb1ElEEZNS1_24adjacent_difference_implIS3_Lb1ELb0EPlS7_ZN2at6native12_GLOBAL__N_124unique_dim_cuda_templateIdEESt5tupleIJNS8_6TensorESD_SD_EERKSD_lbbbEUlllE1_EE10hipError_tPvRmT2_T3_mT4_P12ihipStream_tbEUlT_E_NS1_11comp_targetILNS1_3genE8ELNS1_11target_archE1030ELNS1_3gpuE2ELNS1_3repE0EEENS1_30default_config_static_selectorELNS0_4arch9wavefront6targetE0EEEvT1_
		.amdhsa_group_segment_fixed_size 0
		.amdhsa_private_segment_fixed_size 0
		.amdhsa_kernarg_size 64
		.amdhsa_user_sgpr_count 15
		.amdhsa_user_sgpr_dispatch_ptr 0
		.amdhsa_user_sgpr_queue_ptr 0
		.amdhsa_user_sgpr_kernarg_segment_ptr 1
		.amdhsa_user_sgpr_dispatch_id 0
		.amdhsa_user_sgpr_private_segment_size 0
		.amdhsa_wavefront_size32 1
		.amdhsa_uses_dynamic_stack 0
		.amdhsa_enable_private_segment 0
		.amdhsa_system_sgpr_workgroup_id_x 1
		.amdhsa_system_sgpr_workgroup_id_y 0
		.amdhsa_system_sgpr_workgroup_id_z 0
		.amdhsa_system_sgpr_workgroup_info 0
		.amdhsa_system_vgpr_workitem_id 0
		.amdhsa_next_free_vgpr 1
		.amdhsa_next_free_sgpr 1
		.amdhsa_reserve_vcc 0
		.amdhsa_float_round_mode_32 0
		.amdhsa_float_round_mode_16_64 0
		.amdhsa_float_denorm_mode_32 3
		.amdhsa_float_denorm_mode_16_64 3
		.amdhsa_dx10_clamp 1
		.amdhsa_ieee_mode 1
		.amdhsa_fp16_overflow 0
		.amdhsa_workgroup_processor_mode 1
		.amdhsa_memory_ordered 1
		.amdhsa_forward_progress 0
		.amdhsa_shared_vgpr_count 0
		.amdhsa_exception_fp_ieee_invalid_op 0
		.amdhsa_exception_fp_denorm_src 0
		.amdhsa_exception_fp_ieee_div_zero 0
		.amdhsa_exception_fp_ieee_overflow 0
		.amdhsa_exception_fp_ieee_underflow 0
		.amdhsa_exception_fp_ieee_inexact 0
		.amdhsa_exception_int_div_zero 0
	.end_amdhsa_kernel
	.section	.text._ZN7rocprim17ROCPRIM_400000_NS6detail17trampoline_kernelINS0_14default_configENS1_35adjacent_difference_config_selectorILb1ElEEZNS1_24adjacent_difference_implIS3_Lb1ELb0EPlS7_ZN2at6native12_GLOBAL__N_124unique_dim_cuda_templateIdEESt5tupleIJNS8_6TensorESD_SD_EERKSD_lbbbEUlllE1_EE10hipError_tPvRmT2_T3_mT4_P12ihipStream_tbEUlT_E_NS1_11comp_targetILNS1_3genE8ELNS1_11target_archE1030ELNS1_3gpuE2ELNS1_3repE0EEENS1_30default_config_static_selectorELNS0_4arch9wavefront6targetE0EEEvT1_,"axG",@progbits,_ZN7rocprim17ROCPRIM_400000_NS6detail17trampoline_kernelINS0_14default_configENS1_35adjacent_difference_config_selectorILb1ElEEZNS1_24adjacent_difference_implIS3_Lb1ELb0EPlS7_ZN2at6native12_GLOBAL__N_124unique_dim_cuda_templateIdEESt5tupleIJNS8_6TensorESD_SD_EERKSD_lbbbEUlllE1_EE10hipError_tPvRmT2_T3_mT4_P12ihipStream_tbEUlT_E_NS1_11comp_targetILNS1_3genE8ELNS1_11target_archE1030ELNS1_3gpuE2ELNS1_3repE0EEENS1_30default_config_static_selectorELNS0_4arch9wavefront6targetE0EEEvT1_,comdat
.Lfunc_end806:
	.size	_ZN7rocprim17ROCPRIM_400000_NS6detail17trampoline_kernelINS0_14default_configENS1_35adjacent_difference_config_selectorILb1ElEEZNS1_24adjacent_difference_implIS3_Lb1ELb0EPlS7_ZN2at6native12_GLOBAL__N_124unique_dim_cuda_templateIdEESt5tupleIJNS8_6TensorESD_SD_EERKSD_lbbbEUlllE1_EE10hipError_tPvRmT2_T3_mT4_P12ihipStream_tbEUlT_E_NS1_11comp_targetILNS1_3genE8ELNS1_11target_archE1030ELNS1_3gpuE2ELNS1_3repE0EEENS1_30default_config_static_selectorELNS0_4arch9wavefront6targetE0EEEvT1_, .Lfunc_end806-_ZN7rocprim17ROCPRIM_400000_NS6detail17trampoline_kernelINS0_14default_configENS1_35adjacent_difference_config_selectorILb1ElEEZNS1_24adjacent_difference_implIS3_Lb1ELb0EPlS7_ZN2at6native12_GLOBAL__N_124unique_dim_cuda_templateIdEESt5tupleIJNS8_6TensorESD_SD_EERKSD_lbbbEUlllE1_EE10hipError_tPvRmT2_T3_mT4_P12ihipStream_tbEUlT_E_NS1_11comp_targetILNS1_3genE8ELNS1_11target_archE1030ELNS1_3gpuE2ELNS1_3repE0EEENS1_30default_config_static_selectorELNS0_4arch9wavefront6targetE0EEEvT1_
                                        ; -- End function
	.section	.AMDGPU.csdata,"",@progbits
; Kernel info:
; codeLenInByte = 0
; NumSgprs: 0
; NumVgprs: 0
; ScratchSize: 0
; MemoryBound: 0
; FloatMode: 240
; IeeeMode: 1
; LDSByteSize: 0 bytes/workgroup (compile time only)
; SGPRBlocks: 0
; VGPRBlocks: 0
; NumSGPRsForWavesPerEU: 1
; NumVGPRsForWavesPerEU: 1
; Occupancy: 16
; WaveLimiterHint : 0
; COMPUTE_PGM_RSRC2:SCRATCH_EN: 0
; COMPUTE_PGM_RSRC2:USER_SGPR: 15
; COMPUTE_PGM_RSRC2:TRAP_HANDLER: 0
; COMPUTE_PGM_RSRC2:TGID_X_EN: 1
; COMPUTE_PGM_RSRC2:TGID_Y_EN: 0
; COMPUTE_PGM_RSRC2:TGID_Z_EN: 0
; COMPUTE_PGM_RSRC2:TIDIG_COMP_CNT: 0
	.section	.text._ZN7rocprim17ROCPRIM_400000_NS6detail17trampoline_kernelINS0_14default_configENS1_25partition_config_selectorILNS1_17partition_subalgoE8ElNS0_10empty_typeEbEEZZNS1_14partition_implILS5_8ELb0ES3_jPlPS6_PKS6_NS0_5tupleIJS9_S6_EEENSD_IJSA_SA_EEENS0_18inequality_wrapperIZN2at6native12_GLOBAL__N_124unique_dim_cuda_templateIdEESt5tupleIJNSH_6TensorESM_SM_EERKSM_lbbbEUlllE0_EEPmJS6_EEE10hipError_tPvRmT3_T4_T5_T6_T7_T9_mT8_P12ihipStream_tbDpT10_ENKUlT_T0_E_clISt17integral_constantIbLb0EES1C_EEDaS17_S18_EUlS17_E_NS1_11comp_targetILNS1_3genE0ELNS1_11target_archE4294967295ELNS1_3gpuE0ELNS1_3repE0EEENS1_30default_config_static_selectorELNS0_4arch9wavefront6targetE0EEEvT1_,"axG",@progbits,_ZN7rocprim17ROCPRIM_400000_NS6detail17trampoline_kernelINS0_14default_configENS1_25partition_config_selectorILNS1_17partition_subalgoE8ElNS0_10empty_typeEbEEZZNS1_14partition_implILS5_8ELb0ES3_jPlPS6_PKS6_NS0_5tupleIJS9_S6_EEENSD_IJSA_SA_EEENS0_18inequality_wrapperIZN2at6native12_GLOBAL__N_124unique_dim_cuda_templateIdEESt5tupleIJNSH_6TensorESM_SM_EERKSM_lbbbEUlllE0_EEPmJS6_EEE10hipError_tPvRmT3_T4_T5_T6_T7_T9_mT8_P12ihipStream_tbDpT10_ENKUlT_T0_E_clISt17integral_constantIbLb0EES1C_EEDaS17_S18_EUlS17_E_NS1_11comp_targetILNS1_3genE0ELNS1_11target_archE4294967295ELNS1_3gpuE0ELNS1_3repE0EEENS1_30default_config_static_selectorELNS0_4arch9wavefront6targetE0EEEvT1_,comdat
	.globl	_ZN7rocprim17ROCPRIM_400000_NS6detail17trampoline_kernelINS0_14default_configENS1_25partition_config_selectorILNS1_17partition_subalgoE8ElNS0_10empty_typeEbEEZZNS1_14partition_implILS5_8ELb0ES3_jPlPS6_PKS6_NS0_5tupleIJS9_S6_EEENSD_IJSA_SA_EEENS0_18inequality_wrapperIZN2at6native12_GLOBAL__N_124unique_dim_cuda_templateIdEESt5tupleIJNSH_6TensorESM_SM_EERKSM_lbbbEUlllE0_EEPmJS6_EEE10hipError_tPvRmT3_T4_T5_T6_T7_T9_mT8_P12ihipStream_tbDpT10_ENKUlT_T0_E_clISt17integral_constantIbLb0EES1C_EEDaS17_S18_EUlS17_E_NS1_11comp_targetILNS1_3genE0ELNS1_11target_archE4294967295ELNS1_3gpuE0ELNS1_3repE0EEENS1_30default_config_static_selectorELNS0_4arch9wavefront6targetE0EEEvT1_ ; -- Begin function _ZN7rocprim17ROCPRIM_400000_NS6detail17trampoline_kernelINS0_14default_configENS1_25partition_config_selectorILNS1_17partition_subalgoE8ElNS0_10empty_typeEbEEZZNS1_14partition_implILS5_8ELb0ES3_jPlPS6_PKS6_NS0_5tupleIJS9_S6_EEENSD_IJSA_SA_EEENS0_18inequality_wrapperIZN2at6native12_GLOBAL__N_124unique_dim_cuda_templateIdEESt5tupleIJNSH_6TensorESM_SM_EERKSM_lbbbEUlllE0_EEPmJS6_EEE10hipError_tPvRmT3_T4_T5_T6_T7_T9_mT8_P12ihipStream_tbDpT10_ENKUlT_T0_E_clISt17integral_constantIbLb0EES1C_EEDaS17_S18_EUlS17_E_NS1_11comp_targetILNS1_3genE0ELNS1_11target_archE4294967295ELNS1_3gpuE0ELNS1_3repE0EEENS1_30default_config_static_selectorELNS0_4arch9wavefront6targetE0EEEvT1_
	.p2align	8
	.type	_ZN7rocprim17ROCPRIM_400000_NS6detail17trampoline_kernelINS0_14default_configENS1_25partition_config_selectorILNS1_17partition_subalgoE8ElNS0_10empty_typeEbEEZZNS1_14partition_implILS5_8ELb0ES3_jPlPS6_PKS6_NS0_5tupleIJS9_S6_EEENSD_IJSA_SA_EEENS0_18inequality_wrapperIZN2at6native12_GLOBAL__N_124unique_dim_cuda_templateIdEESt5tupleIJNSH_6TensorESM_SM_EERKSM_lbbbEUlllE0_EEPmJS6_EEE10hipError_tPvRmT3_T4_T5_T6_T7_T9_mT8_P12ihipStream_tbDpT10_ENKUlT_T0_E_clISt17integral_constantIbLb0EES1C_EEDaS17_S18_EUlS17_E_NS1_11comp_targetILNS1_3genE0ELNS1_11target_archE4294967295ELNS1_3gpuE0ELNS1_3repE0EEENS1_30default_config_static_selectorELNS0_4arch9wavefront6targetE0EEEvT1_,@function
_ZN7rocprim17ROCPRIM_400000_NS6detail17trampoline_kernelINS0_14default_configENS1_25partition_config_selectorILNS1_17partition_subalgoE8ElNS0_10empty_typeEbEEZZNS1_14partition_implILS5_8ELb0ES3_jPlPS6_PKS6_NS0_5tupleIJS9_S6_EEENSD_IJSA_SA_EEENS0_18inequality_wrapperIZN2at6native12_GLOBAL__N_124unique_dim_cuda_templateIdEESt5tupleIJNSH_6TensorESM_SM_EERKSM_lbbbEUlllE0_EEPmJS6_EEE10hipError_tPvRmT3_T4_T5_T6_T7_T9_mT8_P12ihipStream_tbDpT10_ENKUlT_T0_E_clISt17integral_constantIbLb0EES1C_EEDaS17_S18_EUlS17_E_NS1_11comp_targetILNS1_3genE0ELNS1_11target_archE4294967295ELNS1_3gpuE0ELNS1_3repE0EEENS1_30default_config_static_selectorELNS0_4arch9wavefront6targetE0EEEvT1_: ; @_ZN7rocprim17ROCPRIM_400000_NS6detail17trampoline_kernelINS0_14default_configENS1_25partition_config_selectorILNS1_17partition_subalgoE8ElNS0_10empty_typeEbEEZZNS1_14partition_implILS5_8ELb0ES3_jPlPS6_PKS6_NS0_5tupleIJS9_S6_EEENSD_IJSA_SA_EEENS0_18inequality_wrapperIZN2at6native12_GLOBAL__N_124unique_dim_cuda_templateIdEESt5tupleIJNSH_6TensorESM_SM_EERKSM_lbbbEUlllE0_EEPmJS6_EEE10hipError_tPvRmT3_T4_T5_T6_T7_T9_mT8_P12ihipStream_tbDpT10_ENKUlT_T0_E_clISt17integral_constantIbLb0EES1C_EEDaS17_S18_EUlS17_E_NS1_11comp_targetILNS1_3genE0ELNS1_11target_archE4294967295ELNS1_3gpuE0ELNS1_3repE0EEENS1_30default_config_static_selectorELNS0_4arch9wavefront6targetE0EEEvT1_
; %bb.0:
	.section	.rodata,"a",@progbits
	.p2align	6, 0x0
	.amdhsa_kernel _ZN7rocprim17ROCPRIM_400000_NS6detail17trampoline_kernelINS0_14default_configENS1_25partition_config_selectorILNS1_17partition_subalgoE8ElNS0_10empty_typeEbEEZZNS1_14partition_implILS5_8ELb0ES3_jPlPS6_PKS6_NS0_5tupleIJS9_S6_EEENSD_IJSA_SA_EEENS0_18inequality_wrapperIZN2at6native12_GLOBAL__N_124unique_dim_cuda_templateIdEESt5tupleIJNSH_6TensorESM_SM_EERKSM_lbbbEUlllE0_EEPmJS6_EEE10hipError_tPvRmT3_T4_T5_T6_T7_T9_mT8_P12ihipStream_tbDpT10_ENKUlT_T0_E_clISt17integral_constantIbLb0EES1C_EEDaS17_S18_EUlS17_E_NS1_11comp_targetILNS1_3genE0ELNS1_11target_archE4294967295ELNS1_3gpuE0ELNS1_3repE0EEENS1_30default_config_static_selectorELNS0_4arch9wavefront6targetE0EEEvT1_
		.amdhsa_group_segment_fixed_size 0
		.amdhsa_private_segment_fixed_size 0
		.amdhsa_kernarg_size 120
		.amdhsa_user_sgpr_count 15
		.amdhsa_user_sgpr_dispatch_ptr 0
		.amdhsa_user_sgpr_queue_ptr 0
		.amdhsa_user_sgpr_kernarg_segment_ptr 1
		.amdhsa_user_sgpr_dispatch_id 0
		.amdhsa_user_sgpr_private_segment_size 0
		.amdhsa_wavefront_size32 1
		.amdhsa_uses_dynamic_stack 0
		.amdhsa_enable_private_segment 0
		.amdhsa_system_sgpr_workgroup_id_x 1
		.amdhsa_system_sgpr_workgroup_id_y 0
		.amdhsa_system_sgpr_workgroup_id_z 0
		.amdhsa_system_sgpr_workgroup_info 0
		.amdhsa_system_vgpr_workitem_id 0
		.amdhsa_next_free_vgpr 1
		.amdhsa_next_free_sgpr 1
		.amdhsa_reserve_vcc 0
		.amdhsa_float_round_mode_32 0
		.amdhsa_float_round_mode_16_64 0
		.amdhsa_float_denorm_mode_32 3
		.amdhsa_float_denorm_mode_16_64 3
		.amdhsa_dx10_clamp 1
		.amdhsa_ieee_mode 1
		.amdhsa_fp16_overflow 0
		.amdhsa_workgroup_processor_mode 1
		.amdhsa_memory_ordered 1
		.amdhsa_forward_progress 0
		.amdhsa_shared_vgpr_count 0
		.amdhsa_exception_fp_ieee_invalid_op 0
		.amdhsa_exception_fp_denorm_src 0
		.amdhsa_exception_fp_ieee_div_zero 0
		.amdhsa_exception_fp_ieee_overflow 0
		.amdhsa_exception_fp_ieee_underflow 0
		.amdhsa_exception_fp_ieee_inexact 0
		.amdhsa_exception_int_div_zero 0
	.end_amdhsa_kernel
	.section	.text._ZN7rocprim17ROCPRIM_400000_NS6detail17trampoline_kernelINS0_14default_configENS1_25partition_config_selectorILNS1_17partition_subalgoE8ElNS0_10empty_typeEbEEZZNS1_14partition_implILS5_8ELb0ES3_jPlPS6_PKS6_NS0_5tupleIJS9_S6_EEENSD_IJSA_SA_EEENS0_18inequality_wrapperIZN2at6native12_GLOBAL__N_124unique_dim_cuda_templateIdEESt5tupleIJNSH_6TensorESM_SM_EERKSM_lbbbEUlllE0_EEPmJS6_EEE10hipError_tPvRmT3_T4_T5_T6_T7_T9_mT8_P12ihipStream_tbDpT10_ENKUlT_T0_E_clISt17integral_constantIbLb0EES1C_EEDaS17_S18_EUlS17_E_NS1_11comp_targetILNS1_3genE0ELNS1_11target_archE4294967295ELNS1_3gpuE0ELNS1_3repE0EEENS1_30default_config_static_selectorELNS0_4arch9wavefront6targetE0EEEvT1_,"axG",@progbits,_ZN7rocprim17ROCPRIM_400000_NS6detail17trampoline_kernelINS0_14default_configENS1_25partition_config_selectorILNS1_17partition_subalgoE8ElNS0_10empty_typeEbEEZZNS1_14partition_implILS5_8ELb0ES3_jPlPS6_PKS6_NS0_5tupleIJS9_S6_EEENSD_IJSA_SA_EEENS0_18inequality_wrapperIZN2at6native12_GLOBAL__N_124unique_dim_cuda_templateIdEESt5tupleIJNSH_6TensorESM_SM_EERKSM_lbbbEUlllE0_EEPmJS6_EEE10hipError_tPvRmT3_T4_T5_T6_T7_T9_mT8_P12ihipStream_tbDpT10_ENKUlT_T0_E_clISt17integral_constantIbLb0EES1C_EEDaS17_S18_EUlS17_E_NS1_11comp_targetILNS1_3genE0ELNS1_11target_archE4294967295ELNS1_3gpuE0ELNS1_3repE0EEENS1_30default_config_static_selectorELNS0_4arch9wavefront6targetE0EEEvT1_,comdat
.Lfunc_end807:
	.size	_ZN7rocprim17ROCPRIM_400000_NS6detail17trampoline_kernelINS0_14default_configENS1_25partition_config_selectorILNS1_17partition_subalgoE8ElNS0_10empty_typeEbEEZZNS1_14partition_implILS5_8ELb0ES3_jPlPS6_PKS6_NS0_5tupleIJS9_S6_EEENSD_IJSA_SA_EEENS0_18inequality_wrapperIZN2at6native12_GLOBAL__N_124unique_dim_cuda_templateIdEESt5tupleIJNSH_6TensorESM_SM_EERKSM_lbbbEUlllE0_EEPmJS6_EEE10hipError_tPvRmT3_T4_T5_T6_T7_T9_mT8_P12ihipStream_tbDpT10_ENKUlT_T0_E_clISt17integral_constantIbLb0EES1C_EEDaS17_S18_EUlS17_E_NS1_11comp_targetILNS1_3genE0ELNS1_11target_archE4294967295ELNS1_3gpuE0ELNS1_3repE0EEENS1_30default_config_static_selectorELNS0_4arch9wavefront6targetE0EEEvT1_, .Lfunc_end807-_ZN7rocprim17ROCPRIM_400000_NS6detail17trampoline_kernelINS0_14default_configENS1_25partition_config_selectorILNS1_17partition_subalgoE8ElNS0_10empty_typeEbEEZZNS1_14partition_implILS5_8ELb0ES3_jPlPS6_PKS6_NS0_5tupleIJS9_S6_EEENSD_IJSA_SA_EEENS0_18inequality_wrapperIZN2at6native12_GLOBAL__N_124unique_dim_cuda_templateIdEESt5tupleIJNSH_6TensorESM_SM_EERKSM_lbbbEUlllE0_EEPmJS6_EEE10hipError_tPvRmT3_T4_T5_T6_T7_T9_mT8_P12ihipStream_tbDpT10_ENKUlT_T0_E_clISt17integral_constantIbLb0EES1C_EEDaS17_S18_EUlS17_E_NS1_11comp_targetILNS1_3genE0ELNS1_11target_archE4294967295ELNS1_3gpuE0ELNS1_3repE0EEENS1_30default_config_static_selectorELNS0_4arch9wavefront6targetE0EEEvT1_
                                        ; -- End function
	.section	.AMDGPU.csdata,"",@progbits
; Kernel info:
; codeLenInByte = 0
; NumSgprs: 0
; NumVgprs: 0
; ScratchSize: 0
; MemoryBound: 0
; FloatMode: 240
; IeeeMode: 1
; LDSByteSize: 0 bytes/workgroup (compile time only)
; SGPRBlocks: 0
; VGPRBlocks: 0
; NumSGPRsForWavesPerEU: 1
; NumVGPRsForWavesPerEU: 1
; Occupancy: 16
; WaveLimiterHint : 0
; COMPUTE_PGM_RSRC2:SCRATCH_EN: 0
; COMPUTE_PGM_RSRC2:USER_SGPR: 15
; COMPUTE_PGM_RSRC2:TRAP_HANDLER: 0
; COMPUTE_PGM_RSRC2:TGID_X_EN: 1
; COMPUTE_PGM_RSRC2:TGID_Y_EN: 0
; COMPUTE_PGM_RSRC2:TGID_Z_EN: 0
; COMPUTE_PGM_RSRC2:TIDIG_COMP_CNT: 0
	.section	.text._ZN7rocprim17ROCPRIM_400000_NS6detail17trampoline_kernelINS0_14default_configENS1_25partition_config_selectorILNS1_17partition_subalgoE8ElNS0_10empty_typeEbEEZZNS1_14partition_implILS5_8ELb0ES3_jPlPS6_PKS6_NS0_5tupleIJS9_S6_EEENSD_IJSA_SA_EEENS0_18inequality_wrapperIZN2at6native12_GLOBAL__N_124unique_dim_cuda_templateIdEESt5tupleIJNSH_6TensorESM_SM_EERKSM_lbbbEUlllE0_EEPmJS6_EEE10hipError_tPvRmT3_T4_T5_T6_T7_T9_mT8_P12ihipStream_tbDpT10_ENKUlT_T0_E_clISt17integral_constantIbLb0EES1C_EEDaS17_S18_EUlS17_E_NS1_11comp_targetILNS1_3genE5ELNS1_11target_archE942ELNS1_3gpuE9ELNS1_3repE0EEENS1_30default_config_static_selectorELNS0_4arch9wavefront6targetE0EEEvT1_,"axG",@progbits,_ZN7rocprim17ROCPRIM_400000_NS6detail17trampoline_kernelINS0_14default_configENS1_25partition_config_selectorILNS1_17partition_subalgoE8ElNS0_10empty_typeEbEEZZNS1_14partition_implILS5_8ELb0ES3_jPlPS6_PKS6_NS0_5tupleIJS9_S6_EEENSD_IJSA_SA_EEENS0_18inequality_wrapperIZN2at6native12_GLOBAL__N_124unique_dim_cuda_templateIdEESt5tupleIJNSH_6TensorESM_SM_EERKSM_lbbbEUlllE0_EEPmJS6_EEE10hipError_tPvRmT3_T4_T5_T6_T7_T9_mT8_P12ihipStream_tbDpT10_ENKUlT_T0_E_clISt17integral_constantIbLb0EES1C_EEDaS17_S18_EUlS17_E_NS1_11comp_targetILNS1_3genE5ELNS1_11target_archE942ELNS1_3gpuE9ELNS1_3repE0EEENS1_30default_config_static_selectorELNS0_4arch9wavefront6targetE0EEEvT1_,comdat
	.globl	_ZN7rocprim17ROCPRIM_400000_NS6detail17trampoline_kernelINS0_14default_configENS1_25partition_config_selectorILNS1_17partition_subalgoE8ElNS0_10empty_typeEbEEZZNS1_14partition_implILS5_8ELb0ES3_jPlPS6_PKS6_NS0_5tupleIJS9_S6_EEENSD_IJSA_SA_EEENS0_18inequality_wrapperIZN2at6native12_GLOBAL__N_124unique_dim_cuda_templateIdEESt5tupleIJNSH_6TensorESM_SM_EERKSM_lbbbEUlllE0_EEPmJS6_EEE10hipError_tPvRmT3_T4_T5_T6_T7_T9_mT8_P12ihipStream_tbDpT10_ENKUlT_T0_E_clISt17integral_constantIbLb0EES1C_EEDaS17_S18_EUlS17_E_NS1_11comp_targetILNS1_3genE5ELNS1_11target_archE942ELNS1_3gpuE9ELNS1_3repE0EEENS1_30default_config_static_selectorELNS0_4arch9wavefront6targetE0EEEvT1_ ; -- Begin function _ZN7rocprim17ROCPRIM_400000_NS6detail17trampoline_kernelINS0_14default_configENS1_25partition_config_selectorILNS1_17partition_subalgoE8ElNS0_10empty_typeEbEEZZNS1_14partition_implILS5_8ELb0ES3_jPlPS6_PKS6_NS0_5tupleIJS9_S6_EEENSD_IJSA_SA_EEENS0_18inequality_wrapperIZN2at6native12_GLOBAL__N_124unique_dim_cuda_templateIdEESt5tupleIJNSH_6TensorESM_SM_EERKSM_lbbbEUlllE0_EEPmJS6_EEE10hipError_tPvRmT3_T4_T5_T6_T7_T9_mT8_P12ihipStream_tbDpT10_ENKUlT_T0_E_clISt17integral_constantIbLb0EES1C_EEDaS17_S18_EUlS17_E_NS1_11comp_targetILNS1_3genE5ELNS1_11target_archE942ELNS1_3gpuE9ELNS1_3repE0EEENS1_30default_config_static_selectorELNS0_4arch9wavefront6targetE0EEEvT1_
	.p2align	8
	.type	_ZN7rocprim17ROCPRIM_400000_NS6detail17trampoline_kernelINS0_14default_configENS1_25partition_config_selectorILNS1_17partition_subalgoE8ElNS0_10empty_typeEbEEZZNS1_14partition_implILS5_8ELb0ES3_jPlPS6_PKS6_NS0_5tupleIJS9_S6_EEENSD_IJSA_SA_EEENS0_18inequality_wrapperIZN2at6native12_GLOBAL__N_124unique_dim_cuda_templateIdEESt5tupleIJNSH_6TensorESM_SM_EERKSM_lbbbEUlllE0_EEPmJS6_EEE10hipError_tPvRmT3_T4_T5_T6_T7_T9_mT8_P12ihipStream_tbDpT10_ENKUlT_T0_E_clISt17integral_constantIbLb0EES1C_EEDaS17_S18_EUlS17_E_NS1_11comp_targetILNS1_3genE5ELNS1_11target_archE942ELNS1_3gpuE9ELNS1_3repE0EEENS1_30default_config_static_selectorELNS0_4arch9wavefront6targetE0EEEvT1_,@function
_ZN7rocprim17ROCPRIM_400000_NS6detail17trampoline_kernelINS0_14default_configENS1_25partition_config_selectorILNS1_17partition_subalgoE8ElNS0_10empty_typeEbEEZZNS1_14partition_implILS5_8ELb0ES3_jPlPS6_PKS6_NS0_5tupleIJS9_S6_EEENSD_IJSA_SA_EEENS0_18inequality_wrapperIZN2at6native12_GLOBAL__N_124unique_dim_cuda_templateIdEESt5tupleIJNSH_6TensorESM_SM_EERKSM_lbbbEUlllE0_EEPmJS6_EEE10hipError_tPvRmT3_T4_T5_T6_T7_T9_mT8_P12ihipStream_tbDpT10_ENKUlT_T0_E_clISt17integral_constantIbLb0EES1C_EEDaS17_S18_EUlS17_E_NS1_11comp_targetILNS1_3genE5ELNS1_11target_archE942ELNS1_3gpuE9ELNS1_3repE0EEENS1_30default_config_static_selectorELNS0_4arch9wavefront6targetE0EEEvT1_: ; @_ZN7rocprim17ROCPRIM_400000_NS6detail17trampoline_kernelINS0_14default_configENS1_25partition_config_selectorILNS1_17partition_subalgoE8ElNS0_10empty_typeEbEEZZNS1_14partition_implILS5_8ELb0ES3_jPlPS6_PKS6_NS0_5tupleIJS9_S6_EEENSD_IJSA_SA_EEENS0_18inequality_wrapperIZN2at6native12_GLOBAL__N_124unique_dim_cuda_templateIdEESt5tupleIJNSH_6TensorESM_SM_EERKSM_lbbbEUlllE0_EEPmJS6_EEE10hipError_tPvRmT3_T4_T5_T6_T7_T9_mT8_P12ihipStream_tbDpT10_ENKUlT_T0_E_clISt17integral_constantIbLb0EES1C_EEDaS17_S18_EUlS17_E_NS1_11comp_targetILNS1_3genE5ELNS1_11target_archE942ELNS1_3gpuE9ELNS1_3repE0EEENS1_30default_config_static_selectorELNS0_4arch9wavefront6targetE0EEEvT1_
; %bb.0:
	.section	.rodata,"a",@progbits
	.p2align	6, 0x0
	.amdhsa_kernel _ZN7rocprim17ROCPRIM_400000_NS6detail17trampoline_kernelINS0_14default_configENS1_25partition_config_selectorILNS1_17partition_subalgoE8ElNS0_10empty_typeEbEEZZNS1_14partition_implILS5_8ELb0ES3_jPlPS6_PKS6_NS0_5tupleIJS9_S6_EEENSD_IJSA_SA_EEENS0_18inequality_wrapperIZN2at6native12_GLOBAL__N_124unique_dim_cuda_templateIdEESt5tupleIJNSH_6TensorESM_SM_EERKSM_lbbbEUlllE0_EEPmJS6_EEE10hipError_tPvRmT3_T4_T5_T6_T7_T9_mT8_P12ihipStream_tbDpT10_ENKUlT_T0_E_clISt17integral_constantIbLb0EES1C_EEDaS17_S18_EUlS17_E_NS1_11comp_targetILNS1_3genE5ELNS1_11target_archE942ELNS1_3gpuE9ELNS1_3repE0EEENS1_30default_config_static_selectorELNS0_4arch9wavefront6targetE0EEEvT1_
		.amdhsa_group_segment_fixed_size 0
		.amdhsa_private_segment_fixed_size 0
		.amdhsa_kernarg_size 120
		.amdhsa_user_sgpr_count 15
		.amdhsa_user_sgpr_dispatch_ptr 0
		.amdhsa_user_sgpr_queue_ptr 0
		.amdhsa_user_sgpr_kernarg_segment_ptr 1
		.amdhsa_user_sgpr_dispatch_id 0
		.amdhsa_user_sgpr_private_segment_size 0
		.amdhsa_wavefront_size32 1
		.amdhsa_uses_dynamic_stack 0
		.amdhsa_enable_private_segment 0
		.amdhsa_system_sgpr_workgroup_id_x 1
		.amdhsa_system_sgpr_workgroup_id_y 0
		.amdhsa_system_sgpr_workgroup_id_z 0
		.amdhsa_system_sgpr_workgroup_info 0
		.amdhsa_system_vgpr_workitem_id 0
		.amdhsa_next_free_vgpr 1
		.amdhsa_next_free_sgpr 1
		.amdhsa_reserve_vcc 0
		.amdhsa_float_round_mode_32 0
		.amdhsa_float_round_mode_16_64 0
		.amdhsa_float_denorm_mode_32 3
		.amdhsa_float_denorm_mode_16_64 3
		.amdhsa_dx10_clamp 1
		.amdhsa_ieee_mode 1
		.amdhsa_fp16_overflow 0
		.amdhsa_workgroup_processor_mode 1
		.amdhsa_memory_ordered 1
		.amdhsa_forward_progress 0
		.amdhsa_shared_vgpr_count 0
		.amdhsa_exception_fp_ieee_invalid_op 0
		.amdhsa_exception_fp_denorm_src 0
		.amdhsa_exception_fp_ieee_div_zero 0
		.amdhsa_exception_fp_ieee_overflow 0
		.amdhsa_exception_fp_ieee_underflow 0
		.amdhsa_exception_fp_ieee_inexact 0
		.amdhsa_exception_int_div_zero 0
	.end_amdhsa_kernel
	.section	.text._ZN7rocprim17ROCPRIM_400000_NS6detail17trampoline_kernelINS0_14default_configENS1_25partition_config_selectorILNS1_17partition_subalgoE8ElNS0_10empty_typeEbEEZZNS1_14partition_implILS5_8ELb0ES3_jPlPS6_PKS6_NS0_5tupleIJS9_S6_EEENSD_IJSA_SA_EEENS0_18inequality_wrapperIZN2at6native12_GLOBAL__N_124unique_dim_cuda_templateIdEESt5tupleIJNSH_6TensorESM_SM_EERKSM_lbbbEUlllE0_EEPmJS6_EEE10hipError_tPvRmT3_T4_T5_T6_T7_T9_mT8_P12ihipStream_tbDpT10_ENKUlT_T0_E_clISt17integral_constantIbLb0EES1C_EEDaS17_S18_EUlS17_E_NS1_11comp_targetILNS1_3genE5ELNS1_11target_archE942ELNS1_3gpuE9ELNS1_3repE0EEENS1_30default_config_static_selectorELNS0_4arch9wavefront6targetE0EEEvT1_,"axG",@progbits,_ZN7rocprim17ROCPRIM_400000_NS6detail17trampoline_kernelINS0_14default_configENS1_25partition_config_selectorILNS1_17partition_subalgoE8ElNS0_10empty_typeEbEEZZNS1_14partition_implILS5_8ELb0ES3_jPlPS6_PKS6_NS0_5tupleIJS9_S6_EEENSD_IJSA_SA_EEENS0_18inequality_wrapperIZN2at6native12_GLOBAL__N_124unique_dim_cuda_templateIdEESt5tupleIJNSH_6TensorESM_SM_EERKSM_lbbbEUlllE0_EEPmJS6_EEE10hipError_tPvRmT3_T4_T5_T6_T7_T9_mT8_P12ihipStream_tbDpT10_ENKUlT_T0_E_clISt17integral_constantIbLb0EES1C_EEDaS17_S18_EUlS17_E_NS1_11comp_targetILNS1_3genE5ELNS1_11target_archE942ELNS1_3gpuE9ELNS1_3repE0EEENS1_30default_config_static_selectorELNS0_4arch9wavefront6targetE0EEEvT1_,comdat
.Lfunc_end808:
	.size	_ZN7rocprim17ROCPRIM_400000_NS6detail17trampoline_kernelINS0_14default_configENS1_25partition_config_selectorILNS1_17partition_subalgoE8ElNS0_10empty_typeEbEEZZNS1_14partition_implILS5_8ELb0ES3_jPlPS6_PKS6_NS0_5tupleIJS9_S6_EEENSD_IJSA_SA_EEENS0_18inequality_wrapperIZN2at6native12_GLOBAL__N_124unique_dim_cuda_templateIdEESt5tupleIJNSH_6TensorESM_SM_EERKSM_lbbbEUlllE0_EEPmJS6_EEE10hipError_tPvRmT3_T4_T5_T6_T7_T9_mT8_P12ihipStream_tbDpT10_ENKUlT_T0_E_clISt17integral_constantIbLb0EES1C_EEDaS17_S18_EUlS17_E_NS1_11comp_targetILNS1_3genE5ELNS1_11target_archE942ELNS1_3gpuE9ELNS1_3repE0EEENS1_30default_config_static_selectorELNS0_4arch9wavefront6targetE0EEEvT1_, .Lfunc_end808-_ZN7rocprim17ROCPRIM_400000_NS6detail17trampoline_kernelINS0_14default_configENS1_25partition_config_selectorILNS1_17partition_subalgoE8ElNS0_10empty_typeEbEEZZNS1_14partition_implILS5_8ELb0ES3_jPlPS6_PKS6_NS0_5tupleIJS9_S6_EEENSD_IJSA_SA_EEENS0_18inequality_wrapperIZN2at6native12_GLOBAL__N_124unique_dim_cuda_templateIdEESt5tupleIJNSH_6TensorESM_SM_EERKSM_lbbbEUlllE0_EEPmJS6_EEE10hipError_tPvRmT3_T4_T5_T6_T7_T9_mT8_P12ihipStream_tbDpT10_ENKUlT_T0_E_clISt17integral_constantIbLb0EES1C_EEDaS17_S18_EUlS17_E_NS1_11comp_targetILNS1_3genE5ELNS1_11target_archE942ELNS1_3gpuE9ELNS1_3repE0EEENS1_30default_config_static_selectorELNS0_4arch9wavefront6targetE0EEEvT1_
                                        ; -- End function
	.section	.AMDGPU.csdata,"",@progbits
; Kernel info:
; codeLenInByte = 0
; NumSgprs: 0
; NumVgprs: 0
; ScratchSize: 0
; MemoryBound: 0
; FloatMode: 240
; IeeeMode: 1
; LDSByteSize: 0 bytes/workgroup (compile time only)
; SGPRBlocks: 0
; VGPRBlocks: 0
; NumSGPRsForWavesPerEU: 1
; NumVGPRsForWavesPerEU: 1
; Occupancy: 16
; WaveLimiterHint : 0
; COMPUTE_PGM_RSRC2:SCRATCH_EN: 0
; COMPUTE_PGM_RSRC2:USER_SGPR: 15
; COMPUTE_PGM_RSRC2:TRAP_HANDLER: 0
; COMPUTE_PGM_RSRC2:TGID_X_EN: 1
; COMPUTE_PGM_RSRC2:TGID_Y_EN: 0
; COMPUTE_PGM_RSRC2:TGID_Z_EN: 0
; COMPUTE_PGM_RSRC2:TIDIG_COMP_CNT: 0
	.section	.text._ZN7rocprim17ROCPRIM_400000_NS6detail17trampoline_kernelINS0_14default_configENS1_25partition_config_selectorILNS1_17partition_subalgoE8ElNS0_10empty_typeEbEEZZNS1_14partition_implILS5_8ELb0ES3_jPlPS6_PKS6_NS0_5tupleIJS9_S6_EEENSD_IJSA_SA_EEENS0_18inequality_wrapperIZN2at6native12_GLOBAL__N_124unique_dim_cuda_templateIdEESt5tupleIJNSH_6TensorESM_SM_EERKSM_lbbbEUlllE0_EEPmJS6_EEE10hipError_tPvRmT3_T4_T5_T6_T7_T9_mT8_P12ihipStream_tbDpT10_ENKUlT_T0_E_clISt17integral_constantIbLb0EES1C_EEDaS17_S18_EUlS17_E_NS1_11comp_targetILNS1_3genE4ELNS1_11target_archE910ELNS1_3gpuE8ELNS1_3repE0EEENS1_30default_config_static_selectorELNS0_4arch9wavefront6targetE0EEEvT1_,"axG",@progbits,_ZN7rocprim17ROCPRIM_400000_NS6detail17trampoline_kernelINS0_14default_configENS1_25partition_config_selectorILNS1_17partition_subalgoE8ElNS0_10empty_typeEbEEZZNS1_14partition_implILS5_8ELb0ES3_jPlPS6_PKS6_NS0_5tupleIJS9_S6_EEENSD_IJSA_SA_EEENS0_18inequality_wrapperIZN2at6native12_GLOBAL__N_124unique_dim_cuda_templateIdEESt5tupleIJNSH_6TensorESM_SM_EERKSM_lbbbEUlllE0_EEPmJS6_EEE10hipError_tPvRmT3_T4_T5_T6_T7_T9_mT8_P12ihipStream_tbDpT10_ENKUlT_T0_E_clISt17integral_constantIbLb0EES1C_EEDaS17_S18_EUlS17_E_NS1_11comp_targetILNS1_3genE4ELNS1_11target_archE910ELNS1_3gpuE8ELNS1_3repE0EEENS1_30default_config_static_selectorELNS0_4arch9wavefront6targetE0EEEvT1_,comdat
	.globl	_ZN7rocprim17ROCPRIM_400000_NS6detail17trampoline_kernelINS0_14default_configENS1_25partition_config_selectorILNS1_17partition_subalgoE8ElNS0_10empty_typeEbEEZZNS1_14partition_implILS5_8ELb0ES3_jPlPS6_PKS6_NS0_5tupleIJS9_S6_EEENSD_IJSA_SA_EEENS0_18inequality_wrapperIZN2at6native12_GLOBAL__N_124unique_dim_cuda_templateIdEESt5tupleIJNSH_6TensorESM_SM_EERKSM_lbbbEUlllE0_EEPmJS6_EEE10hipError_tPvRmT3_T4_T5_T6_T7_T9_mT8_P12ihipStream_tbDpT10_ENKUlT_T0_E_clISt17integral_constantIbLb0EES1C_EEDaS17_S18_EUlS17_E_NS1_11comp_targetILNS1_3genE4ELNS1_11target_archE910ELNS1_3gpuE8ELNS1_3repE0EEENS1_30default_config_static_selectorELNS0_4arch9wavefront6targetE0EEEvT1_ ; -- Begin function _ZN7rocprim17ROCPRIM_400000_NS6detail17trampoline_kernelINS0_14default_configENS1_25partition_config_selectorILNS1_17partition_subalgoE8ElNS0_10empty_typeEbEEZZNS1_14partition_implILS5_8ELb0ES3_jPlPS6_PKS6_NS0_5tupleIJS9_S6_EEENSD_IJSA_SA_EEENS0_18inequality_wrapperIZN2at6native12_GLOBAL__N_124unique_dim_cuda_templateIdEESt5tupleIJNSH_6TensorESM_SM_EERKSM_lbbbEUlllE0_EEPmJS6_EEE10hipError_tPvRmT3_T4_T5_T6_T7_T9_mT8_P12ihipStream_tbDpT10_ENKUlT_T0_E_clISt17integral_constantIbLb0EES1C_EEDaS17_S18_EUlS17_E_NS1_11comp_targetILNS1_3genE4ELNS1_11target_archE910ELNS1_3gpuE8ELNS1_3repE0EEENS1_30default_config_static_selectorELNS0_4arch9wavefront6targetE0EEEvT1_
	.p2align	8
	.type	_ZN7rocprim17ROCPRIM_400000_NS6detail17trampoline_kernelINS0_14default_configENS1_25partition_config_selectorILNS1_17partition_subalgoE8ElNS0_10empty_typeEbEEZZNS1_14partition_implILS5_8ELb0ES3_jPlPS6_PKS6_NS0_5tupleIJS9_S6_EEENSD_IJSA_SA_EEENS0_18inequality_wrapperIZN2at6native12_GLOBAL__N_124unique_dim_cuda_templateIdEESt5tupleIJNSH_6TensorESM_SM_EERKSM_lbbbEUlllE0_EEPmJS6_EEE10hipError_tPvRmT3_T4_T5_T6_T7_T9_mT8_P12ihipStream_tbDpT10_ENKUlT_T0_E_clISt17integral_constantIbLb0EES1C_EEDaS17_S18_EUlS17_E_NS1_11comp_targetILNS1_3genE4ELNS1_11target_archE910ELNS1_3gpuE8ELNS1_3repE0EEENS1_30default_config_static_selectorELNS0_4arch9wavefront6targetE0EEEvT1_,@function
_ZN7rocprim17ROCPRIM_400000_NS6detail17trampoline_kernelINS0_14default_configENS1_25partition_config_selectorILNS1_17partition_subalgoE8ElNS0_10empty_typeEbEEZZNS1_14partition_implILS5_8ELb0ES3_jPlPS6_PKS6_NS0_5tupleIJS9_S6_EEENSD_IJSA_SA_EEENS0_18inequality_wrapperIZN2at6native12_GLOBAL__N_124unique_dim_cuda_templateIdEESt5tupleIJNSH_6TensorESM_SM_EERKSM_lbbbEUlllE0_EEPmJS6_EEE10hipError_tPvRmT3_T4_T5_T6_T7_T9_mT8_P12ihipStream_tbDpT10_ENKUlT_T0_E_clISt17integral_constantIbLb0EES1C_EEDaS17_S18_EUlS17_E_NS1_11comp_targetILNS1_3genE4ELNS1_11target_archE910ELNS1_3gpuE8ELNS1_3repE0EEENS1_30default_config_static_selectorELNS0_4arch9wavefront6targetE0EEEvT1_: ; @_ZN7rocprim17ROCPRIM_400000_NS6detail17trampoline_kernelINS0_14default_configENS1_25partition_config_selectorILNS1_17partition_subalgoE8ElNS0_10empty_typeEbEEZZNS1_14partition_implILS5_8ELb0ES3_jPlPS6_PKS6_NS0_5tupleIJS9_S6_EEENSD_IJSA_SA_EEENS0_18inequality_wrapperIZN2at6native12_GLOBAL__N_124unique_dim_cuda_templateIdEESt5tupleIJNSH_6TensorESM_SM_EERKSM_lbbbEUlllE0_EEPmJS6_EEE10hipError_tPvRmT3_T4_T5_T6_T7_T9_mT8_P12ihipStream_tbDpT10_ENKUlT_T0_E_clISt17integral_constantIbLb0EES1C_EEDaS17_S18_EUlS17_E_NS1_11comp_targetILNS1_3genE4ELNS1_11target_archE910ELNS1_3gpuE8ELNS1_3repE0EEENS1_30default_config_static_selectorELNS0_4arch9wavefront6targetE0EEEvT1_
; %bb.0:
	.section	.rodata,"a",@progbits
	.p2align	6, 0x0
	.amdhsa_kernel _ZN7rocprim17ROCPRIM_400000_NS6detail17trampoline_kernelINS0_14default_configENS1_25partition_config_selectorILNS1_17partition_subalgoE8ElNS0_10empty_typeEbEEZZNS1_14partition_implILS5_8ELb0ES3_jPlPS6_PKS6_NS0_5tupleIJS9_S6_EEENSD_IJSA_SA_EEENS0_18inequality_wrapperIZN2at6native12_GLOBAL__N_124unique_dim_cuda_templateIdEESt5tupleIJNSH_6TensorESM_SM_EERKSM_lbbbEUlllE0_EEPmJS6_EEE10hipError_tPvRmT3_T4_T5_T6_T7_T9_mT8_P12ihipStream_tbDpT10_ENKUlT_T0_E_clISt17integral_constantIbLb0EES1C_EEDaS17_S18_EUlS17_E_NS1_11comp_targetILNS1_3genE4ELNS1_11target_archE910ELNS1_3gpuE8ELNS1_3repE0EEENS1_30default_config_static_selectorELNS0_4arch9wavefront6targetE0EEEvT1_
		.amdhsa_group_segment_fixed_size 0
		.amdhsa_private_segment_fixed_size 0
		.amdhsa_kernarg_size 120
		.amdhsa_user_sgpr_count 15
		.amdhsa_user_sgpr_dispatch_ptr 0
		.amdhsa_user_sgpr_queue_ptr 0
		.amdhsa_user_sgpr_kernarg_segment_ptr 1
		.amdhsa_user_sgpr_dispatch_id 0
		.amdhsa_user_sgpr_private_segment_size 0
		.amdhsa_wavefront_size32 1
		.amdhsa_uses_dynamic_stack 0
		.amdhsa_enable_private_segment 0
		.amdhsa_system_sgpr_workgroup_id_x 1
		.amdhsa_system_sgpr_workgroup_id_y 0
		.amdhsa_system_sgpr_workgroup_id_z 0
		.amdhsa_system_sgpr_workgroup_info 0
		.amdhsa_system_vgpr_workitem_id 0
		.amdhsa_next_free_vgpr 1
		.amdhsa_next_free_sgpr 1
		.amdhsa_reserve_vcc 0
		.amdhsa_float_round_mode_32 0
		.amdhsa_float_round_mode_16_64 0
		.amdhsa_float_denorm_mode_32 3
		.amdhsa_float_denorm_mode_16_64 3
		.amdhsa_dx10_clamp 1
		.amdhsa_ieee_mode 1
		.amdhsa_fp16_overflow 0
		.amdhsa_workgroup_processor_mode 1
		.amdhsa_memory_ordered 1
		.amdhsa_forward_progress 0
		.amdhsa_shared_vgpr_count 0
		.amdhsa_exception_fp_ieee_invalid_op 0
		.amdhsa_exception_fp_denorm_src 0
		.amdhsa_exception_fp_ieee_div_zero 0
		.amdhsa_exception_fp_ieee_overflow 0
		.amdhsa_exception_fp_ieee_underflow 0
		.amdhsa_exception_fp_ieee_inexact 0
		.amdhsa_exception_int_div_zero 0
	.end_amdhsa_kernel
	.section	.text._ZN7rocprim17ROCPRIM_400000_NS6detail17trampoline_kernelINS0_14default_configENS1_25partition_config_selectorILNS1_17partition_subalgoE8ElNS0_10empty_typeEbEEZZNS1_14partition_implILS5_8ELb0ES3_jPlPS6_PKS6_NS0_5tupleIJS9_S6_EEENSD_IJSA_SA_EEENS0_18inequality_wrapperIZN2at6native12_GLOBAL__N_124unique_dim_cuda_templateIdEESt5tupleIJNSH_6TensorESM_SM_EERKSM_lbbbEUlllE0_EEPmJS6_EEE10hipError_tPvRmT3_T4_T5_T6_T7_T9_mT8_P12ihipStream_tbDpT10_ENKUlT_T0_E_clISt17integral_constantIbLb0EES1C_EEDaS17_S18_EUlS17_E_NS1_11comp_targetILNS1_3genE4ELNS1_11target_archE910ELNS1_3gpuE8ELNS1_3repE0EEENS1_30default_config_static_selectorELNS0_4arch9wavefront6targetE0EEEvT1_,"axG",@progbits,_ZN7rocprim17ROCPRIM_400000_NS6detail17trampoline_kernelINS0_14default_configENS1_25partition_config_selectorILNS1_17partition_subalgoE8ElNS0_10empty_typeEbEEZZNS1_14partition_implILS5_8ELb0ES3_jPlPS6_PKS6_NS0_5tupleIJS9_S6_EEENSD_IJSA_SA_EEENS0_18inequality_wrapperIZN2at6native12_GLOBAL__N_124unique_dim_cuda_templateIdEESt5tupleIJNSH_6TensorESM_SM_EERKSM_lbbbEUlllE0_EEPmJS6_EEE10hipError_tPvRmT3_T4_T5_T6_T7_T9_mT8_P12ihipStream_tbDpT10_ENKUlT_T0_E_clISt17integral_constantIbLb0EES1C_EEDaS17_S18_EUlS17_E_NS1_11comp_targetILNS1_3genE4ELNS1_11target_archE910ELNS1_3gpuE8ELNS1_3repE0EEENS1_30default_config_static_selectorELNS0_4arch9wavefront6targetE0EEEvT1_,comdat
.Lfunc_end809:
	.size	_ZN7rocprim17ROCPRIM_400000_NS6detail17trampoline_kernelINS0_14default_configENS1_25partition_config_selectorILNS1_17partition_subalgoE8ElNS0_10empty_typeEbEEZZNS1_14partition_implILS5_8ELb0ES3_jPlPS6_PKS6_NS0_5tupleIJS9_S6_EEENSD_IJSA_SA_EEENS0_18inequality_wrapperIZN2at6native12_GLOBAL__N_124unique_dim_cuda_templateIdEESt5tupleIJNSH_6TensorESM_SM_EERKSM_lbbbEUlllE0_EEPmJS6_EEE10hipError_tPvRmT3_T4_T5_T6_T7_T9_mT8_P12ihipStream_tbDpT10_ENKUlT_T0_E_clISt17integral_constantIbLb0EES1C_EEDaS17_S18_EUlS17_E_NS1_11comp_targetILNS1_3genE4ELNS1_11target_archE910ELNS1_3gpuE8ELNS1_3repE0EEENS1_30default_config_static_selectorELNS0_4arch9wavefront6targetE0EEEvT1_, .Lfunc_end809-_ZN7rocprim17ROCPRIM_400000_NS6detail17trampoline_kernelINS0_14default_configENS1_25partition_config_selectorILNS1_17partition_subalgoE8ElNS0_10empty_typeEbEEZZNS1_14partition_implILS5_8ELb0ES3_jPlPS6_PKS6_NS0_5tupleIJS9_S6_EEENSD_IJSA_SA_EEENS0_18inequality_wrapperIZN2at6native12_GLOBAL__N_124unique_dim_cuda_templateIdEESt5tupleIJNSH_6TensorESM_SM_EERKSM_lbbbEUlllE0_EEPmJS6_EEE10hipError_tPvRmT3_T4_T5_T6_T7_T9_mT8_P12ihipStream_tbDpT10_ENKUlT_T0_E_clISt17integral_constantIbLb0EES1C_EEDaS17_S18_EUlS17_E_NS1_11comp_targetILNS1_3genE4ELNS1_11target_archE910ELNS1_3gpuE8ELNS1_3repE0EEENS1_30default_config_static_selectorELNS0_4arch9wavefront6targetE0EEEvT1_
                                        ; -- End function
	.section	.AMDGPU.csdata,"",@progbits
; Kernel info:
; codeLenInByte = 0
; NumSgprs: 0
; NumVgprs: 0
; ScratchSize: 0
; MemoryBound: 0
; FloatMode: 240
; IeeeMode: 1
; LDSByteSize: 0 bytes/workgroup (compile time only)
; SGPRBlocks: 0
; VGPRBlocks: 0
; NumSGPRsForWavesPerEU: 1
; NumVGPRsForWavesPerEU: 1
; Occupancy: 16
; WaveLimiterHint : 0
; COMPUTE_PGM_RSRC2:SCRATCH_EN: 0
; COMPUTE_PGM_RSRC2:USER_SGPR: 15
; COMPUTE_PGM_RSRC2:TRAP_HANDLER: 0
; COMPUTE_PGM_RSRC2:TGID_X_EN: 1
; COMPUTE_PGM_RSRC2:TGID_Y_EN: 0
; COMPUTE_PGM_RSRC2:TGID_Z_EN: 0
; COMPUTE_PGM_RSRC2:TIDIG_COMP_CNT: 0
	.section	.text._ZN7rocprim17ROCPRIM_400000_NS6detail17trampoline_kernelINS0_14default_configENS1_25partition_config_selectorILNS1_17partition_subalgoE8ElNS0_10empty_typeEbEEZZNS1_14partition_implILS5_8ELb0ES3_jPlPS6_PKS6_NS0_5tupleIJS9_S6_EEENSD_IJSA_SA_EEENS0_18inequality_wrapperIZN2at6native12_GLOBAL__N_124unique_dim_cuda_templateIdEESt5tupleIJNSH_6TensorESM_SM_EERKSM_lbbbEUlllE0_EEPmJS6_EEE10hipError_tPvRmT3_T4_T5_T6_T7_T9_mT8_P12ihipStream_tbDpT10_ENKUlT_T0_E_clISt17integral_constantIbLb0EES1C_EEDaS17_S18_EUlS17_E_NS1_11comp_targetILNS1_3genE3ELNS1_11target_archE908ELNS1_3gpuE7ELNS1_3repE0EEENS1_30default_config_static_selectorELNS0_4arch9wavefront6targetE0EEEvT1_,"axG",@progbits,_ZN7rocprim17ROCPRIM_400000_NS6detail17trampoline_kernelINS0_14default_configENS1_25partition_config_selectorILNS1_17partition_subalgoE8ElNS0_10empty_typeEbEEZZNS1_14partition_implILS5_8ELb0ES3_jPlPS6_PKS6_NS0_5tupleIJS9_S6_EEENSD_IJSA_SA_EEENS0_18inequality_wrapperIZN2at6native12_GLOBAL__N_124unique_dim_cuda_templateIdEESt5tupleIJNSH_6TensorESM_SM_EERKSM_lbbbEUlllE0_EEPmJS6_EEE10hipError_tPvRmT3_T4_T5_T6_T7_T9_mT8_P12ihipStream_tbDpT10_ENKUlT_T0_E_clISt17integral_constantIbLb0EES1C_EEDaS17_S18_EUlS17_E_NS1_11comp_targetILNS1_3genE3ELNS1_11target_archE908ELNS1_3gpuE7ELNS1_3repE0EEENS1_30default_config_static_selectorELNS0_4arch9wavefront6targetE0EEEvT1_,comdat
	.globl	_ZN7rocprim17ROCPRIM_400000_NS6detail17trampoline_kernelINS0_14default_configENS1_25partition_config_selectorILNS1_17partition_subalgoE8ElNS0_10empty_typeEbEEZZNS1_14partition_implILS5_8ELb0ES3_jPlPS6_PKS6_NS0_5tupleIJS9_S6_EEENSD_IJSA_SA_EEENS0_18inequality_wrapperIZN2at6native12_GLOBAL__N_124unique_dim_cuda_templateIdEESt5tupleIJNSH_6TensorESM_SM_EERKSM_lbbbEUlllE0_EEPmJS6_EEE10hipError_tPvRmT3_T4_T5_T6_T7_T9_mT8_P12ihipStream_tbDpT10_ENKUlT_T0_E_clISt17integral_constantIbLb0EES1C_EEDaS17_S18_EUlS17_E_NS1_11comp_targetILNS1_3genE3ELNS1_11target_archE908ELNS1_3gpuE7ELNS1_3repE0EEENS1_30default_config_static_selectorELNS0_4arch9wavefront6targetE0EEEvT1_ ; -- Begin function _ZN7rocprim17ROCPRIM_400000_NS6detail17trampoline_kernelINS0_14default_configENS1_25partition_config_selectorILNS1_17partition_subalgoE8ElNS0_10empty_typeEbEEZZNS1_14partition_implILS5_8ELb0ES3_jPlPS6_PKS6_NS0_5tupleIJS9_S6_EEENSD_IJSA_SA_EEENS0_18inequality_wrapperIZN2at6native12_GLOBAL__N_124unique_dim_cuda_templateIdEESt5tupleIJNSH_6TensorESM_SM_EERKSM_lbbbEUlllE0_EEPmJS6_EEE10hipError_tPvRmT3_T4_T5_T6_T7_T9_mT8_P12ihipStream_tbDpT10_ENKUlT_T0_E_clISt17integral_constantIbLb0EES1C_EEDaS17_S18_EUlS17_E_NS1_11comp_targetILNS1_3genE3ELNS1_11target_archE908ELNS1_3gpuE7ELNS1_3repE0EEENS1_30default_config_static_selectorELNS0_4arch9wavefront6targetE0EEEvT1_
	.p2align	8
	.type	_ZN7rocprim17ROCPRIM_400000_NS6detail17trampoline_kernelINS0_14default_configENS1_25partition_config_selectorILNS1_17partition_subalgoE8ElNS0_10empty_typeEbEEZZNS1_14partition_implILS5_8ELb0ES3_jPlPS6_PKS6_NS0_5tupleIJS9_S6_EEENSD_IJSA_SA_EEENS0_18inequality_wrapperIZN2at6native12_GLOBAL__N_124unique_dim_cuda_templateIdEESt5tupleIJNSH_6TensorESM_SM_EERKSM_lbbbEUlllE0_EEPmJS6_EEE10hipError_tPvRmT3_T4_T5_T6_T7_T9_mT8_P12ihipStream_tbDpT10_ENKUlT_T0_E_clISt17integral_constantIbLb0EES1C_EEDaS17_S18_EUlS17_E_NS1_11comp_targetILNS1_3genE3ELNS1_11target_archE908ELNS1_3gpuE7ELNS1_3repE0EEENS1_30default_config_static_selectorELNS0_4arch9wavefront6targetE0EEEvT1_,@function
_ZN7rocprim17ROCPRIM_400000_NS6detail17trampoline_kernelINS0_14default_configENS1_25partition_config_selectorILNS1_17partition_subalgoE8ElNS0_10empty_typeEbEEZZNS1_14partition_implILS5_8ELb0ES3_jPlPS6_PKS6_NS0_5tupleIJS9_S6_EEENSD_IJSA_SA_EEENS0_18inequality_wrapperIZN2at6native12_GLOBAL__N_124unique_dim_cuda_templateIdEESt5tupleIJNSH_6TensorESM_SM_EERKSM_lbbbEUlllE0_EEPmJS6_EEE10hipError_tPvRmT3_T4_T5_T6_T7_T9_mT8_P12ihipStream_tbDpT10_ENKUlT_T0_E_clISt17integral_constantIbLb0EES1C_EEDaS17_S18_EUlS17_E_NS1_11comp_targetILNS1_3genE3ELNS1_11target_archE908ELNS1_3gpuE7ELNS1_3repE0EEENS1_30default_config_static_selectorELNS0_4arch9wavefront6targetE0EEEvT1_: ; @_ZN7rocprim17ROCPRIM_400000_NS6detail17trampoline_kernelINS0_14default_configENS1_25partition_config_selectorILNS1_17partition_subalgoE8ElNS0_10empty_typeEbEEZZNS1_14partition_implILS5_8ELb0ES3_jPlPS6_PKS6_NS0_5tupleIJS9_S6_EEENSD_IJSA_SA_EEENS0_18inequality_wrapperIZN2at6native12_GLOBAL__N_124unique_dim_cuda_templateIdEESt5tupleIJNSH_6TensorESM_SM_EERKSM_lbbbEUlllE0_EEPmJS6_EEE10hipError_tPvRmT3_T4_T5_T6_T7_T9_mT8_P12ihipStream_tbDpT10_ENKUlT_T0_E_clISt17integral_constantIbLb0EES1C_EEDaS17_S18_EUlS17_E_NS1_11comp_targetILNS1_3genE3ELNS1_11target_archE908ELNS1_3gpuE7ELNS1_3repE0EEENS1_30default_config_static_selectorELNS0_4arch9wavefront6targetE0EEEvT1_
; %bb.0:
	.section	.rodata,"a",@progbits
	.p2align	6, 0x0
	.amdhsa_kernel _ZN7rocprim17ROCPRIM_400000_NS6detail17trampoline_kernelINS0_14default_configENS1_25partition_config_selectorILNS1_17partition_subalgoE8ElNS0_10empty_typeEbEEZZNS1_14partition_implILS5_8ELb0ES3_jPlPS6_PKS6_NS0_5tupleIJS9_S6_EEENSD_IJSA_SA_EEENS0_18inequality_wrapperIZN2at6native12_GLOBAL__N_124unique_dim_cuda_templateIdEESt5tupleIJNSH_6TensorESM_SM_EERKSM_lbbbEUlllE0_EEPmJS6_EEE10hipError_tPvRmT3_T4_T5_T6_T7_T9_mT8_P12ihipStream_tbDpT10_ENKUlT_T0_E_clISt17integral_constantIbLb0EES1C_EEDaS17_S18_EUlS17_E_NS1_11comp_targetILNS1_3genE3ELNS1_11target_archE908ELNS1_3gpuE7ELNS1_3repE0EEENS1_30default_config_static_selectorELNS0_4arch9wavefront6targetE0EEEvT1_
		.amdhsa_group_segment_fixed_size 0
		.amdhsa_private_segment_fixed_size 0
		.amdhsa_kernarg_size 120
		.amdhsa_user_sgpr_count 15
		.amdhsa_user_sgpr_dispatch_ptr 0
		.amdhsa_user_sgpr_queue_ptr 0
		.amdhsa_user_sgpr_kernarg_segment_ptr 1
		.amdhsa_user_sgpr_dispatch_id 0
		.amdhsa_user_sgpr_private_segment_size 0
		.amdhsa_wavefront_size32 1
		.amdhsa_uses_dynamic_stack 0
		.amdhsa_enable_private_segment 0
		.amdhsa_system_sgpr_workgroup_id_x 1
		.amdhsa_system_sgpr_workgroup_id_y 0
		.amdhsa_system_sgpr_workgroup_id_z 0
		.amdhsa_system_sgpr_workgroup_info 0
		.amdhsa_system_vgpr_workitem_id 0
		.amdhsa_next_free_vgpr 1
		.amdhsa_next_free_sgpr 1
		.amdhsa_reserve_vcc 0
		.amdhsa_float_round_mode_32 0
		.amdhsa_float_round_mode_16_64 0
		.amdhsa_float_denorm_mode_32 3
		.amdhsa_float_denorm_mode_16_64 3
		.amdhsa_dx10_clamp 1
		.amdhsa_ieee_mode 1
		.amdhsa_fp16_overflow 0
		.amdhsa_workgroup_processor_mode 1
		.amdhsa_memory_ordered 1
		.amdhsa_forward_progress 0
		.amdhsa_shared_vgpr_count 0
		.amdhsa_exception_fp_ieee_invalid_op 0
		.amdhsa_exception_fp_denorm_src 0
		.amdhsa_exception_fp_ieee_div_zero 0
		.amdhsa_exception_fp_ieee_overflow 0
		.amdhsa_exception_fp_ieee_underflow 0
		.amdhsa_exception_fp_ieee_inexact 0
		.amdhsa_exception_int_div_zero 0
	.end_amdhsa_kernel
	.section	.text._ZN7rocprim17ROCPRIM_400000_NS6detail17trampoline_kernelINS0_14default_configENS1_25partition_config_selectorILNS1_17partition_subalgoE8ElNS0_10empty_typeEbEEZZNS1_14partition_implILS5_8ELb0ES3_jPlPS6_PKS6_NS0_5tupleIJS9_S6_EEENSD_IJSA_SA_EEENS0_18inequality_wrapperIZN2at6native12_GLOBAL__N_124unique_dim_cuda_templateIdEESt5tupleIJNSH_6TensorESM_SM_EERKSM_lbbbEUlllE0_EEPmJS6_EEE10hipError_tPvRmT3_T4_T5_T6_T7_T9_mT8_P12ihipStream_tbDpT10_ENKUlT_T0_E_clISt17integral_constantIbLb0EES1C_EEDaS17_S18_EUlS17_E_NS1_11comp_targetILNS1_3genE3ELNS1_11target_archE908ELNS1_3gpuE7ELNS1_3repE0EEENS1_30default_config_static_selectorELNS0_4arch9wavefront6targetE0EEEvT1_,"axG",@progbits,_ZN7rocprim17ROCPRIM_400000_NS6detail17trampoline_kernelINS0_14default_configENS1_25partition_config_selectorILNS1_17partition_subalgoE8ElNS0_10empty_typeEbEEZZNS1_14partition_implILS5_8ELb0ES3_jPlPS6_PKS6_NS0_5tupleIJS9_S6_EEENSD_IJSA_SA_EEENS0_18inequality_wrapperIZN2at6native12_GLOBAL__N_124unique_dim_cuda_templateIdEESt5tupleIJNSH_6TensorESM_SM_EERKSM_lbbbEUlllE0_EEPmJS6_EEE10hipError_tPvRmT3_T4_T5_T6_T7_T9_mT8_P12ihipStream_tbDpT10_ENKUlT_T0_E_clISt17integral_constantIbLb0EES1C_EEDaS17_S18_EUlS17_E_NS1_11comp_targetILNS1_3genE3ELNS1_11target_archE908ELNS1_3gpuE7ELNS1_3repE0EEENS1_30default_config_static_selectorELNS0_4arch9wavefront6targetE0EEEvT1_,comdat
.Lfunc_end810:
	.size	_ZN7rocprim17ROCPRIM_400000_NS6detail17trampoline_kernelINS0_14default_configENS1_25partition_config_selectorILNS1_17partition_subalgoE8ElNS0_10empty_typeEbEEZZNS1_14partition_implILS5_8ELb0ES3_jPlPS6_PKS6_NS0_5tupleIJS9_S6_EEENSD_IJSA_SA_EEENS0_18inequality_wrapperIZN2at6native12_GLOBAL__N_124unique_dim_cuda_templateIdEESt5tupleIJNSH_6TensorESM_SM_EERKSM_lbbbEUlllE0_EEPmJS6_EEE10hipError_tPvRmT3_T4_T5_T6_T7_T9_mT8_P12ihipStream_tbDpT10_ENKUlT_T0_E_clISt17integral_constantIbLb0EES1C_EEDaS17_S18_EUlS17_E_NS1_11comp_targetILNS1_3genE3ELNS1_11target_archE908ELNS1_3gpuE7ELNS1_3repE0EEENS1_30default_config_static_selectorELNS0_4arch9wavefront6targetE0EEEvT1_, .Lfunc_end810-_ZN7rocprim17ROCPRIM_400000_NS6detail17trampoline_kernelINS0_14default_configENS1_25partition_config_selectorILNS1_17partition_subalgoE8ElNS0_10empty_typeEbEEZZNS1_14partition_implILS5_8ELb0ES3_jPlPS6_PKS6_NS0_5tupleIJS9_S6_EEENSD_IJSA_SA_EEENS0_18inequality_wrapperIZN2at6native12_GLOBAL__N_124unique_dim_cuda_templateIdEESt5tupleIJNSH_6TensorESM_SM_EERKSM_lbbbEUlllE0_EEPmJS6_EEE10hipError_tPvRmT3_T4_T5_T6_T7_T9_mT8_P12ihipStream_tbDpT10_ENKUlT_T0_E_clISt17integral_constantIbLb0EES1C_EEDaS17_S18_EUlS17_E_NS1_11comp_targetILNS1_3genE3ELNS1_11target_archE908ELNS1_3gpuE7ELNS1_3repE0EEENS1_30default_config_static_selectorELNS0_4arch9wavefront6targetE0EEEvT1_
                                        ; -- End function
	.section	.AMDGPU.csdata,"",@progbits
; Kernel info:
; codeLenInByte = 0
; NumSgprs: 0
; NumVgprs: 0
; ScratchSize: 0
; MemoryBound: 0
; FloatMode: 240
; IeeeMode: 1
; LDSByteSize: 0 bytes/workgroup (compile time only)
; SGPRBlocks: 0
; VGPRBlocks: 0
; NumSGPRsForWavesPerEU: 1
; NumVGPRsForWavesPerEU: 1
; Occupancy: 16
; WaveLimiterHint : 0
; COMPUTE_PGM_RSRC2:SCRATCH_EN: 0
; COMPUTE_PGM_RSRC2:USER_SGPR: 15
; COMPUTE_PGM_RSRC2:TRAP_HANDLER: 0
; COMPUTE_PGM_RSRC2:TGID_X_EN: 1
; COMPUTE_PGM_RSRC2:TGID_Y_EN: 0
; COMPUTE_PGM_RSRC2:TGID_Z_EN: 0
; COMPUTE_PGM_RSRC2:TIDIG_COMP_CNT: 0
	.section	.text._ZN7rocprim17ROCPRIM_400000_NS6detail17trampoline_kernelINS0_14default_configENS1_25partition_config_selectorILNS1_17partition_subalgoE8ElNS0_10empty_typeEbEEZZNS1_14partition_implILS5_8ELb0ES3_jPlPS6_PKS6_NS0_5tupleIJS9_S6_EEENSD_IJSA_SA_EEENS0_18inequality_wrapperIZN2at6native12_GLOBAL__N_124unique_dim_cuda_templateIdEESt5tupleIJNSH_6TensorESM_SM_EERKSM_lbbbEUlllE0_EEPmJS6_EEE10hipError_tPvRmT3_T4_T5_T6_T7_T9_mT8_P12ihipStream_tbDpT10_ENKUlT_T0_E_clISt17integral_constantIbLb0EES1C_EEDaS17_S18_EUlS17_E_NS1_11comp_targetILNS1_3genE2ELNS1_11target_archE906ELNS1_3gpuE6ELNS1_3repE0EEENS1_30default_config_static_selectorELNS0_4arch9wavefront6targetE0EEEvT1_,"axG",@progbits,_ZN7rocprim17ROCPRIM_400000_NS6detail17trampoline_kernelINS0_14default_configENS1_25partition_config_selectorILNS1_17partition_subalgoE8ElNS0_10empty_typeEbEEZZNS1_14partition_implILS5_8ELb0ES3_jPlPS6_PKS6_NS0_5tupleIJS9_S6_EEENSD_IJSA_SA_EEENS0_18inequality_wrapperIZN2at6native12_GLOBAL__N_124unique_dim_cuda_templateIdEESt5tupleIJNSH_6TensorESM_SM_EERKSM_lbbbEUlllE0_EEPmJS6_EEE10hipError_tPvRmT3_T4_T5_T6_T7_T9_mT8_P12ihipStream_tbDpT10_ENKUlT_T0_E_clISt17integral_constantIbLb0EES1C_EEDaS17_S18_EUlS17_E_NS1_11comp_targetILNS1_3genE2ELNS1_11target_archE906ELNS1_3gpuE6ELNS1_3repE0EEENS1_30default_config_static_selectorELNS0_4arch9wavefront6targetE0EEEvT1_,comdat
	.globl	_ZN7rocprim17ROCPRIM_400000_NS6detail17trampoline_kernelINS0_14default_configENS1_25partition_config_selectorILNS1_17partition_subalgoE8ElNS0_10empty_typeEbEEZZNS1_14partition_implILS5_8ELb0ES3_jPlPS6_PKS6_NS0_5tupleIJS9_S6_EEENSD_IJSA_SA_EEENS0_18inequality_wrapperIZN2at6native12_GLOBAL__N_124unique_dim_cuda_templateIdEESt5tupleIJNSH_6TensorESM_SM_EERKSM_lbbbEUlllE0_EEPmJS6_EEE10hipError_tPvRmT3_T4_T5_T6_T7_T9_mT8_P12ihipStream_tbDpT10_ENKUlT_T0_E_clISt17integral_constantIbLb0EES1C_EEDaS17_S18_EUlS17_E_NS1_11comp_targetILNS1_3genE2ELNS1_11target_archE906ELNS1_3gpuE6ELNS1_3repE0EEENS1_30default_config_static_selectorELNS0_4arch9wavefront6targetE0EEEvT1_ ; -- Begin function _ZN7rocprim17ROCPRIM_400000_NS6detail17trampoline_kernelINS0_14default_configENS1_25partition_config_selectorILNS1_17partition_subalgoE8ElNS0_10empty_typeEbEEZZNS1_14partition_implILS5_8ELb0ES3_jPlPS6_PKS6_NS0_5tupleIJS9_S6_EEENSD_IJSA_SA_EEENS0_18inequality_wrapperIZN2at6native12_GLOBAL__N_124unique_dim_cuda_templateIdEESt5tupleIJNSH_6TensorESM_SM_EERKSM_lbbbEUlllE0_EEPmJS6_EEE10hipError_tPvRmT3_T4_T5_T6_T7_T9_mT8_P12ihipStream_tbDpT10_ENKUlT_T0_E_clISt17integral_constantIbLb0EES1C_EEDaS17_S18_EUlS17_E_NS1_11comp_targetILNS1_3genE2ELNS1_11target_archE906ELNS1_3gpuE6ELNS1_3repE0EEENS1_30default_config_static_selectorELNS0_4arch9wavefront6targetE0EEEvT1_
	.p2align	8
	.type	_ZN7rocprim17ROCPRIM_400000_NS6detail17trampoline_kernelINS0_14default_configENS1_25partition_config_selectorILNS1_17partition_subalgoE8ElNS0_10empty_typeEbEEZZNS1_14partition_implILS5_8ELb0ES3_jPlPS6_PKS6_NS0_5tupleIJS9_S6_EEENSD_IJSA_SA_EEENS0_18inequality_wrapperIZN2at6native12_GLOBAL__N_124unique_dim_cuda_templateIdEESt5tupleIJNSH_6TensorESM_SM_EERKSM_lbbbEUlllE0_EEPmJS6_EEE10hipError_tPvRmT3_T4_T5_T6_T7_T9_mT8_P12ihipStream_tbDpT10_ENKUlT_T0_E_clISt17integral_constantIbLb0EES1C_EEDaS17_S18_EUlS17_E_NS1_11comp_targetILNS1_3genE2ELNS1_11target_archE906ELNS1_3gpuE6ELNS1_3repE0EEENS1_30default_config_static_selectorELNS0_4arch9wavefront6targetE0EEEvT1_,@function
_ZN7rocprim17ROCPRIM_400000_NS6detail17trampoline_kernelINS0_14default_configENS1_25partition_config_selectorILNS1_17partition_subalgoE8ElNS0_10empty_typeEbEEZZNS1_14partition_implILS5_8ELb0ES3_jPlPS6_PKS6_NS0_5tupleIJS9_S6_EEENSD_IJSA_SA_EEENS0_18inequality_wrapperIZN2at6native12_GLOBAL__N_124unique_dim_cuda_templateIdEESt5tupleIJNSH_6TensorESM_SM_EERKSM_lbbbEUlllE0_EEPmJS6_EEE10hipError_tPvRmT3_T4_T5_T6_T7_T9_mT8_P12ihipStream_tbDpT10_ENKUlT_T0_E_clISt17integral_constantIbLb0EES1C_EEDaS17_S18_EUlS17_E_NS1_11comp_targetILNS1_3genE2ELNS1_11target_archE906ELNS1_3gpuE6ELNS1_3repE0EEENS1_30default_config_static_selectorELNS0_4arch9wavefront6targetE0EEEvT1_: ; @_ZN7rocprim17ROCPRIM_400000_NS6detail17trampoline_kernelINS0_14default_configENS1_25partition_config_selectorILNS1_17partition_subalgoE8ElNS0_10empty_typeEbEEZZNS1_14partition_implILS5_8ELb0ES3_jPlPS6_PKS6_NS0_5tupleIJS9_S6_EEENSD_IJSA_SA_EEENS0_18inequality_wrapperIZN2at6native12_GLOBAL__N_124unique_dim_cuda_templateIdEESt5tupleIJNSH_6TensorESM_SM_EERKSM_lbbbEUlllE0_EEPmJS6_EEE10hipError_tPvRmT3_T4_T5_T6_T7_T9_mT8_P12ihipStream_tbDpT10_ENKUlT_T0_E_clISt17integral_constantIbLb0EES1C_EEDaS17_S18_EUlS17_E_NS1_11comp_targetILNS1_3genE2ELNS1_11target_archE906ELNS1_3gpuE6ELNS1_3repE0EEENS1_30default_config_static_selectorELNS0_4arch9wavefront6targetE0EEEvT1_
; %bb.0:
	.section	.rodata,"a",@progbits
	.p2align	6, 0x0
	.amdhsa_kernel _ZN7rocprim17ROCPRIM_400000_NS6detail17trampoline_kernelINS0_14default_configENS1_25partition_config_selectorILNS1_17partition_subalgoE8ElNS0_10empty_typeEbEEZZNS1_14partition_implILS5_8ELb0ES3_jPlPS6_PKS6_NS0_5tupleIJS9_S6_EEENSD_IJSA_SA_EEENS0_18inequality_wrapperIZN2at6native12_GLOBAL__N_124unique_dim_cuda_templateIdEESt5tupleIJNSH_6TensorESM_SM_EERKSM_lbbbEUlllE0_EEPmJS6_EEE10hipError_tPvRmT3_T4_T5_T6_T7_T9_mT8_P12ihipStream_tbDpT10_ENKUlT_T0_E_clISt17integral_constantIbLb0EES1C_EEDaS17_S18_EUlS17_E_NS1_11comp_targetILNS1_3genE2ELNS1_11target_archE906ELNS1_3gpuE6ELNS1_3repE0EEENS1_30default_config_static_selectorELNS0_4arch9wavefront6targetE0EEEvT1_
		.amdhsa_group_segment_fixed_size 0
		.amdhsa_private_segment_fixed_size 0
		.amdhsa_kernarg_size 120
		.amdhsa_user_sgpr_count 15
		.amdhsa_user_sgpr_dispatch_ptr 0
		.amdhsa_user_sgpr_queue_ptr 0
		.amdhsa_user_sgpr_kernarg_segment_ptr 1
		.amdhsa_user_sgpr_dispatch_id 0
		.amdhsa_user_sgpr_private_segment_size 0
		.amdhsa_wavefront_size32 1
		.amdhsa_uses_dynamic_stack 0
		.amdhsa_enable_private_segment 0
		.amdhsa_system_sgpr_workgroup_id_x 1
		.amdhsa_system_sgpr_workgroup_id_y 0
		.amdhsa_system_sgpr_workgroup_id_z 0
		.amdhsa_system_sgpr_workgroup_info 0
		.amdhsa_system_vgpr_workitem_id 0
		.amdhsa_next_free_vgpr 1
		.amdhsa_next_free_sgpr 1
		.amdhsa_reserve_vcc 0
		.amdhsa_float_round_mode_32 0
		.amdhsa_float_round_mode_16_64 0
		.amdhsa_float_denorm_mode_32 3
		.amdhsa_float_denorm_mode_16_64 3
		.amdhsa_dx10_clamp 1
		.amdhsa_ieee_mode 1
		.amdhsa_fp16_overflow 0
		.amdhsa_workgroup_processor_mode 1
		.amdhsa_memory_ordered 1
		.amdhsa_forward_progress 0
		.amdhsa_shared_vgpr_count 0
		.amdhsa_exception_fp_ieee_invalid_op 0
		.amdhsa_exception_fp_denorm_src 0
		.amdhsa_exception_fp_ieee_div_zero 0
		.amdhsa_exception_fp_ieee_overflow 0
		.amdhsa_exception_fp_ieee_underflow 0
		.amdhsa_exception_fp_ieee_inexact 0
		.amdhsa_exception_int_div_zero 0
	.end_amdhsa_kernel
	.section	.text._ZN7rocprim17ROCPRIM_400000_NS6detail17trampoline_kernelINS0_14default_configENS1_25partition_config_selectorILNS1_17partition_subalgoE8ElNS0_10empty_typeEbEEZZNS1_14partition_implILS5_8ELb0ES3_jPlPS6_PKS6_NS0_5tupleIJS9_S6_EEENSD_IJSA_SA_EEENS0_18inequality_wrapperIZN2at6native12_GLOBAL__N_124unique_dim_cuda_templateIdEESt5tupleIJNSH_6TensorESM_SM_EERKSM_lbbbEUlllE0_EEPmJS6_EEE10hipError_tPvRmT3_T4_T5_T6_T7_T9_mT8_P12ihipStream_tbDpT10_ENKUlT_T0_E_clISt17integral_constantIbLb0EES1C_EEDaS17_S18_EUlS17_E_NS1_11comp_targetILNS1_3genE2ELNS1_11target_archE906ELNS1_3gpuE6ELNS1_3repE0EEENS1_30default_config_static_selectorELNS0_4arch9wavefront6targetE0EEEvT1_,"axG",@progbits,_ZN7rocprim17ROCPRIM_400000_NS6detail17trampoline_kernelINS0_14default_configENS1_25partition_config_selectorILNS1_17partition_subalgoE8ElNS0_10empty_typeEbEEZZNS1_14partition_implILS5_8ELb0ES3_jPlPS6_PKS6_NS0_5tupleIJS9_S6_EEENSD_IJSA_SA_EEENS0_18inequality_wrapperIZN2at6native12_GLOBAL__N_124unique_dim_cuda_templateIdEESt5tupleIJNSH_6TensorESM_SM_EERKSM_lbbbEUlllE0_EEPmJS6_EEE10hipError_tPvRmT3_T4_T5_T6_T7_T9_mT8_P12ihipStream_tbDpT10_ENKUlT_T0_E_clISt17integral_constantIbLb0EES1C_EEDaS17_S18_EUlS17_E_NS1_11comp_targetILNS1_3genE2ELNS1_11target_archE906ELNS1_3gpuE6ELNS1_3repE0EEENS1_30default_config_static_selectorELNS0_4arch9wavefront6targetE0EEEvT1_,comdat
.Lfunc_end811:
	.size	_ZN7rocprim17ROCPRIM_400000_NS6detail17trampoline_kernelINS0_14default_configENS1_25partition_config_selectorILNS1_17partition_subalgoE8ElNS0_10empty_typeEbEEZZNS1_14partition_implILS5_8ELb0ES3_jPlPS6_PKS6_NS0_5tupleIJS9_S6_EEENSD_IJSA_SA_EEENS0_18inequality_wrapperIZN2at6native12_GLOBAL__N_124unique_dim_cuda_templateIdEESt5tupleIJNSH_6TensorESM_SM_EERKSM_lbbbEUlllE0_EEPmJS6_EEE10hipError_tPvRmT3_T4_T5_T6_T7_T9_mT8_P12ihipStream_tbDpT10_ENKUlT_T0_E_clISt17integral_constantIbLb0EES1C_EEDaS17_S18_EUlS17_E_NS1_11comp_targetILNS1_3genE2ELNS1_11target_archE906ELNS1_3gpuE6ELNS1_3repE0EEENS1_30default_config_static_selectorELNS0_4arch9wavefront6targetE0EEEvT1_, .Lfunc_end811-_ZN7rocprim17ROCPRIM_400000_NS6detail17trampoline_kernelINS0_14default_configENS1_25partition_config_selectorILNS1_17partition_subalgoE8ElNS0_10empty_typeEbEEZZNS1_14partition_implILS5_8ELb0ES3_jPlPS6_PKS6_NS0_5tupleIJS9_S6_EEENSD_IJSA_SA_EEENS0_18inequality_wrapperIZN2at6native12_GLOBAL__N_124unique_dim_cuda_templateIdEESt5tupleIJNSH_6TensorESM_SM_EERKSM_lbbbEUlllE0_EEPmJS6_EEE10hipError_tPvRmT3_T4_T5_T6_T7_T9_mT8_P12ihipStream_tbDpT10_ENKUlT_T0_E_clISt17integral_constantIbLb0EES1C_EEDaS17_S18_EUlS17_E_NS1_11comp_targetILNS1_3genE2ELNS1_11target_archE906ELNS1_3gpuE6ELNS1_3repE0EEENS1_30default_config_static_selectorELNS0_4arch9wavefront6targetE0EEEvT1_
                                        ; -- End function
	.section	.AMDGPU.csdata,"",@progbits
; Kernel info:
; codeLenInByte = 0
; NumSgprs: 0
; NumVgprs: 0
; ScratchSize: 0
; MemoryBound: 0
; FloatMode: 240
; IeeeMode: 1
; LDSByteSize: 0 bytes/workgroup (compile time only)
; SGPRBlocks: 0
; VGPRBlocks: 0
; NumSGPRsForWavesPerEU: 1
; NumVGPRsForWavesPerEU: 1
; Occupancy: 16
; WaveLimiterHint : 0
; COMPUTE_PGM_RSRC2:SCRATCH_EN: 0
; COMPUTE_PGM_RSRC2:USER_SGPR: 15
; COMPUTE_PGM_RSRC2:TRAP_HANDLER: 0
; COMPUTE_PGM_RSRC2:TGID_X_EN: 1
; COMPUTE_PGM_RSRC2:TGID_Y_EN: 0
; COMPUTE_PGM_RSRC2:TGID_Z_EN: 0
; COMPUTE_PGM_RSRC2:TIDIG_COMP_CNT: 0
	.section	.text._ZN7rocprim17ROCPRIM_400000_NS6detail17trampoline_kernelINS0_14default_configENS1_25partition_config_selectorILNS1_17partition_subalgoE8ElNS0_10empty_typeEbEEZZNS1_14partition_implILS5_8ELb0ES3_jPlPS6_PKS6_NS0_5tupleIJS9_S6_EEENSD_IJSA_SA_EEENS0_18inequality_wrapperIZN2at6native12_GLOBAL__N_124unique_dim_cuda_templateIdEESt5tupleIJNSH_6TensorESM_SM_EERKSM_lbbbEUlllE0_EEPmJS6_EEE10hipError_tPvRmT3_T4_T5_T6_T7_T9_mT8_P12ihipStream_tbDpT10_ENKUlT_T0_E_clISt17integral_constantIbLb0EES1C_EEDaS17_S18_EUlS17_E_NS1_11comp_targetILNS1_3genE10ELNS1_11target_archE1200ELNS1_3gpuE4ELNS1_3repE0EEENS1_30default_config_static_selectorELNS0_4arch9wavefront6targetE0EEEvT1_,"axG",@progbits,_ZN7rocprim17ROCPRIM_400000_NS6detail17trampoline_kernelINS0_14default_configENS1_25partition_config_selectorILNS1_17partition_subalgoE8ElNS0_10empty_typeEbEEZZNS1_14partition_implILS5_8ELb0ES3_jPlPS6_PKS6_NS0_5tupleIJS9_S6_EEENSD_IJSA_SA_EEENS0_18inequality_wrapperIZN2at6native12_GLOBAL__N_124unique_dim_cuda_templateIdEESt5tupleIJNSH_6TensorESM_SM_EERKSM_lbbbEUlllE0_EEPmJS6_EEE10hipError_tPvRmT3_T4_T5_T6_T7_T9_mT8_P12ihipStream_tbDpT10_ENKUlT_T0_E_clISt17integral_constantIbLb0EES1C_EEDaS17_S18_EUlS17_E_NS1_11comp_targetILNS1_3genE10ELNS1_11target_archE1200ELNS1_3gpuE4ELNS1_3repE0EEENS1_30default_config_static_selectorELNS0_4arch9wavefront6targetE0EEEvT1_,comdat
	.globl	_ZN7rocprim17ROCPRIM_400000_NS6detail17trampoline_kernelINS0_14default_configENS1_25partition_config_selectorILNS1_17partition_subalgoE8ElNS0_10empty_typeEbEEZZNS1_14partition_implILS5_8ELb0ES3_jPlPS6_PKS6_NS0_5tupleIJS9_S6_EEENSD_IJSA_SA_EEENS0_18inequality_wrapperIZN2at6native12_GLOBAL__N_124unique_dim_cuda_templateIdEESt5tupleIJNSH_6TensorESM_SM_EERKSM_lbbbEUlllE0_EEPmJS6_EEE10hipError_tPvRmT3_T4_T5_T6_T7_T9_mT8_P12ihipStream_tbDpT10_ENKUlT_T0_E_clISt17integral_constantIbLb0EES1C_EEDaS17_S18_EUlS17_E_NS1_11comp_targetILNS1_3genE10ELNS1_11target_archE1200ELNS1_3gpuE4ELNS1_3repE0EEENS1_30default_config_static_selectorELNS0_4arch9wavefront6targetE0EEEvT1_ ; -- Begin function _ZN7rocprim17ROCPRIM_400000_NS6detail17trampoline_kernelINS0_14default_configENS1_25partition_config_selectorILNS1_17partition_subalgoE8ElNS0_10empty_typeEbEEZZNS1_14partition_implILS5_8ELb0ES3_jPlPS6_PKS6_NS0_5tupleIJS9_S6_EEENSD_IJSA_SA_EEENS0_18inequality_wrapperIZN2at6native12_GLOBAL__N_124unique_dim_cuda_templateIdEESt5tupleIJNSH_6TensorESM_SM_EERKSM_lbbbEUlllE0_EEPmJS6_EEE10hipError_tPvRmT3_T4_T5_T6_T7_T9_mT8_P12ihipStream_tbDpT10_ENKUlT_T0_E_clISt17integral_constantIbLb0EES1C_EEDaS17_S18_EUlS17_E_NS1_11comp_targetILNS1_3genE10ELNS1_11target_archE1200ELNS1_3gpuE4ELNS1_3repE0EEENS1_30default_config_static_selectorELNS0_4arch9wavefront6targetE0EEEvT1_
	.p2align	8
	.type	_ZN7rocprim17ROCPRIM_400000_NS6detail17trampoline_kernelINS0_14default_configENS1_25partition_config_selectorILNS1_17partition_subalgoE8ElNS0_10empty_typeEbEEZZNS1_14partition_implILS5_8ELb0ES3_jPlPS6_PKS6_NS0_5tupleIJS9_S6_EEENSD_IJSA_SA_EEENS0_18inequality_wrapperIZN2at6native12_GLOBAL__N_124unique_dim_cuda_templateIdEESt5tupleIJNSH_6TensorESM_SM_EERKSM_lbbbEUlllE0_EEPmJS6_EEE10hipError_tPvRmT3_T4_T5_T6_T7_T9_mT8_P12ihipStream_tbDpT10_ENKUlT_T0_E_clISt17integral_constantIbLb0EES1C_EEDaS17_S18_EUlS17_E_NS1_11comp_targetILNS1_3genE10ELNS1_11target_archE1200ELNS1_3gpuE4ELNS1_3repE0EEENS1_30default_config_static_selectorELNS0_4arch9wavefront6targetE0EEEvT1_,@function
_ZN7rocprim17ROCPRIM_400000_NS6detail17trampoline_kernelINS0_14default_configENS1_25partition_config_selectorILNS1_17partition_subalgoE8ElNS0_10empty_typeEbEEZZNS1_14partition_implILS5_8ELb0ES3_jPlPS6_PKS6_NS0_5tupleIJS9_S6_EEENSD_IJSA_SA_EEENS0_18inequality_wrapperIZN2at6native12_GLOBAL__N_124unique_dim_cuda_templateIdEESt5tupleIJNSH_6TensorESM_SM_EERKSM_lbbbEUlllE0_EEPmJS6_EEE10hipError_tPvRmT3_T4_T5_T6_T7_T9_mT8_P12ihipStream_tbDpT10_ENKUlT_T0_E_clISt17integral_constantIbLb0EES1C_EEDaS17_S18_EUlS17_E_NS1_11comp_targetILNS1_3genE10ELNS1_11target_archE1200ELNS1_3gpuE4ELNS1_3repE0EEENS1_30default_config_static_selectorELNS0_4arch9wavefront6targetE0EEEvT1_: ; @_ZN7rocprim17ROCPRIM_400000_NS6detail17trampoline_kernelINS0_14default_configENS1_25partition_config_selectorILNS1_17partition_subalgoE8ElNS0_10empty_typeEbEEZZNS1_14partition_implILS5_8ELb0ES3_jPlPS6_PKS6_NS0_5tupleIJS9_S6_EEENSD_IJSA_SA_EEENS0_18inequality_wrapperIZN2at6native12_GLOBAL__N_124unique_dim_cuda_templateIdEESt5tupleIJNSH_6TensorESM_SM_EERKSM_lbbbEUlllE0_EEPmJS6_EEE10hipError_tPvRmT3_T4_T5_T6_T7_T9_mT8_P12ihipStream_tbDpT10_ENKUlT_T0_E_clISt17integral_constantIbLb0EES1C_EEDaS17_S18_EUlS17_E_NS1_11comp_targetILNS1_3genE10ELNS1_11target_archE1200ELNS1_3gpuE4ELNS1_3repE0EEENS1_30default_config_static_selectorELNS0_4arch9wavefront6targetE0EEEvT1_
; %bb.0:
	.section	.rodata,"a",@progbits
	.p2align	6, 0x0
	.amdhsa_kernel _ZN7rocprim17ROCPRIM_400000_NS6detail17trampoline_kernelINS0_14default_configENS1_25partition_config_selectorILNS1_17partition_subalgoE8ElNS0_10empty_typeEbEEZZNS1_14partition_implILS5_8ELb0ES3_jPlPS6_PKS6_NS0_5tupleIJS9_S6_EEENSD_IJSA_SA_EEENS0_18inequality_wrapperIZN2at6native12_GLOBAL__N_124unique_dim_cuda_templateIdEESt5tupleIJNSH_6TensorESM_SM_EERKSM_lbbbEUlllE0_EEPmJS6_EEE10hipError_tPvRmT3_T4_T5_T6_T7_T9_mT8_P12ihipStream_tbDpT10_ENKUlT_T0_E_clISt17integral_constantIbLb0EES1C_EEDaS17_S18_EUlS17_E_NS1_11comp_targetILNS1_3genE10ELNS1_11target_archE1200ELNS1_3gpuE4ELNS1_3repE0EEENS1_30default_config_static_selectorELNS0_4arch9wavefront6targetE0EEEvT1_
		.amdhsa_group_segment_fixed_size 0
		.amdhsa_private_segment_fixed_size 0
		.amdhsa_kernarg_size 120
		.amdhsa_user_sgpr_count 15
		.amdhsa_user_sgpr_dispatch_ptr 0
		.amdhsa_user_sgpr_queue_ptr 0
		.amdhsa_user_sgpr_kernarg_segment_ptr 1
		.amdhsa_user_sgpr_dispatch_id 0
		.amdhsa_user_sgpr_private_segment_size 0
		.amdhsa_wavefront_size32 1
		.amdhsa_uses_dynamic_stack 0
		.amdhsa_enable_private_segment 0
		.amdhsa_system_sgpr_workgroup_id_x 1
		.amdhsa_system_sgpr_workgroup_id_y 0
		.amdhsa_system_sgpr_workgroup_id_z 0
		.amdhsa_system_sgpr_workgroup_info 0
		.amdhsa_system_vgpr_workitem_id 0
		.amdhsa_next_free_vgpr 1
		.amdhsa_next_free_sgpr 1
		.amdhsa_reserve_vcc 0
		.amdhsa_float_round_mode_32 0
		.amdhsa_float_round_mode_16_64 0
		.amdhsa_float_denorm_mode_32 3
		.amdhsa_float_denorm_mode_16_64 3
		.amdhsa_dx10_clamp 1
		.amdhsa_ieee_mode 1
		.amdhsa_fp16_overflow 0
		.amdhsa_workgroup_processor_mode 1
		.amdhsa_memory_ordered 1
		.amdhsa_forward_progress 0
		.amdhsa_shared_vgpr_count 0
		.amdhsa_exception_fp_ieee_invalid_op 0
		.amdhsa_exception_fp_denorm_src 0
		.amdhsa_exception_fp_ieee_div_zero 0
		.amdhsa_exception_fp_ieee_overflow 0
		.amdhsa_exception_fp_ieee_underflow 0
		.amdhsa_exception_fp_ieee_inexact 0
		.amdhsa_exception_int_div_zero 0
	.end_amdhsa_kernel
	.section	.text._ZN7rocprim17ROCPRIM_400000_NS6detail17trampoline_kernelINS0_14default_configENS1_25partition_config_selectorILNS1_17partition_subalgoE8ElNS0_10empty_typeEbEEZZNS1_14partition_implILS5_8ELb0ES3_jPlPS6_PKS6_NS0_5tupleIJS9_S6_EEENSD_IJSA_SA_EEENS0_18inequality_wrapperIZN2at6native12_GLOBAL__N_124unique_dim_cuda_templateIdEESt5tupleIJNSH_6TensorESM_SM_EERKSM_lbbbEUlllE0_EEPmJS6_EEE10hipError_tPvRmT3_T4_T5_T6_T7_T9_mT8_P12ihipStream_tbDpT10_ENKUlT_T0_E_clISt17integral_constantIbLb0EES1C_EEDaS17_S18_EUlS17_E_NS1_11comp_targetILNS1_3genE10ELNS1_11target_archE1200ELNS1_3gpuE4ELNS1_3repE0EEENS1_30default_config_static_selectorELNS0_4arch9wavefront6targetE0EEEvT1_,"axG",@progbits,_ZN7rocprim17ROCPRIM_400000_NS6detail17trampoline_kernelINS0_14default_configENS1_25partition_config_selectorILNS1_17partition_subalgoE8ElNS0_10empty_typeEbEEZZNS1_14partition_implILS5_8ELb0ES3_jPlPS6_PKS6_NS0_5tupleIJS9_S6_EEENSD_IJSA_SA_EEENS0_18inequality_wrapperIZN2at6native12_GLOBAL__N_124unique_dim_cuda_templateIdEESt5tupleIJNSH_6TensorESM_SM_EERKSM_lbbbEUlllE0_EEPmJS6_EEE10hipError_tPvRmT3_T4_T5_T6_T7_T9_mT8_P12ihipStream_tbDpT10_ENKUlT_T0_E_clISt17integral_constantIbLb0EES1C_EEDaS17_S18_EUlS17_E_NS1_11comp_targetILNS1_3genE10ELNS1_11target_archE1200ELNS1_3gpuE4ELNS1_3repE0EEENS1_30default_config_static_selectorELNS0_4arch9wavefront6targetE0EEEvT1_,comdat
.Lfunc_end812:
	.size	_ZN7rocprim17ROCPRIM_400000_NS6detail17trampoline_kernelINS0_14default_configENS1_25partition_config_selectorILNS1_17partition_subalgoE8ElNS0_10empty_typeEbEEZZNS1_14partition_implILS5_8ELb0ES3_jPlPS6_PKS6_NS0_5tupleIJS9_S6_EEENSD_IJSA_SA_EEENS0_18inequality_wrapperIZN2at6native12_GLOBAL__N_124unique_dim_cuda_templateIdEESt5tupleIJNSH_6TensorESM_SM_EERKSM_lbbbEUlllE0_EEPmJS6_EEE10hipError_tPvRmT3_T4_T5_T6_T7_T9_mT8_P12ihipStream_tbDpT10_ENKUlT_T0_E_clISt17integral_constantIbLb0EES1C_EEDaS17_S18_EUlS17_E_NS1_11comp_targetILNS1_3genE10ELNS1_11target_archE1200ELNS1_3gpuE4ELNS1_3repE0EEENS1_30default_config_static_selectorELNS0_4arch9wavefront6targetE0EEEvT1_, .Lfunc_end812-_ZN7rocprim17ROCPRIM_400000_NS6detail17trampoline_kernelINS0_14default_configENS1_25partition_config_selectorILNS1_17partition_subalgoE8ElNS0_10empty_typeEbEEZZNS1_14partition_implILS5_8ELb0ES3_jPlPS6_PKS6_NS0_5tupleIJS9_S6_EEENSD_IJSA_SA_EEENS0_18inequality_wrapperIZN2at6native12_GLOBAL__N_124unique_dim_cuda_templateIdEESt5tupleIJNSH_6TensorESM_SM_EERKSM_lbbbEUlllE0_EEPmJS6_EEE10hipError_tPvRmT3_T4_T5_T6_T7_T9_mT8_P12ihipStream_tbDpT10_ENKUlT_T0_E_clISt17integral_constantIbLb0EES1C_EEDaS17_S18_EUlS17_E_NS1_11comp_targetILNS1_3genE10ELNS1_11target_archE1200ELNS1_3gpuE4ELNS1_3repE0EEENS1_30default_config_static_selectorELNS0_4arch9wavefront6targetE0EEEvT1_
                                        ; -- End function
	.section	.AMDGPU.csdata,"",@progbits
; Kernel info:
; codeLenInByte = 0
; NumSgprs: 0
; NumVgprs: 0
; ScratchSize: 0
; MemoryBound: 0
; FloatMode: 240
; IeeeMode: 1
; LDSByteSize: 0 bytes/workgroup (compile time only)
; SGPRBlocks: 0
; VGPRBlocks: 0
; NumSGPRsForWavesPerEU: 1
; NumVGPRsForWavesPerEU: 1
; Occupancy: 15
; WaveLimiterHint : 0
; COMPUTE_PGM_RSRC2:SCRATCH_EN: 0
; COMPUTE_PGM_RSRC2:USER_SGPR: 15
; COMPUTE_PGM_RSRC2:TRAP_HANDLER: 0
; COMPUTE_PGM_RSRC2:TGID_X_EN: 1
; COMPUTE_PGM_RSRC2:TGID_Y_EN: 0
; COMPUTE_PGM_RSRC2:TGID_Z_EN: 0
; COMPUTE_PGM_RSRC2:TIDIG_COMP_CNT: 0
	.section	.text._ZN7rocprim17ROCPRIM_400000_NS6detail17trampoline_kernelINS0_14default_configENS1_25partition_config_selectorILNS1_17partition_subalgoE8ElNS0_10empty_typeEbEEZZNS1_14partition_implILS5_8ELb0ES3_jPlPS6_PKS6_NS0_5tupleIJS9_S6_EEENSD_IJSA_SA_EEENS0_18inequality_wrapperIZN2at6native12_GLOBAL__N_124unique_dim_cuda_templateIdEESt5tupleIJNSH_6TensorESM_SM_EERKSM_lbbbEUlllE0_EEPmJS6_EEE10hipError_tPvRmT3_T4_T5_T6_T7_T9_mT8_P12ihipStream_tbDpT10_ENKUlT_T0_E_clISt17integral_constantIbLb0EES1C_EEDaS17_S18_EUlS17_E_NS1_11comp_targetILNS1_3genE9ELNS1_11target_archE1100ELNS1_3gpuE3ELNS1_3repE0EEENS1_30default_config_static_selectorELNS0_4arch9wavefront6targetE0EEEvT1_,"axG",@progbits,_ZN7rocprim17ROCPRIM_400000_NS6detail17trampoline_kernelINS0_14default_configENS1_25partition_config_selectorILNS1_17partition_subalgoE8ElNS0_10empty_typeEbEEZZNS1_14partition_implILS5_8ELb0ES3_jPlPS6_PKS6_NS0_5tupleIJS9_S6_EEENSD_IJSA_SA_EEENS0_18inequality_wrapperIZN2at6native12_GLOBAL__N_124unique_dim_cuda_templateIdEESt5tupleIJNSH_6TensorESM_SM_EERKSM_lbbbEUlllE0_EEPmJS6_EEE10hipError_tPvRmT3_T4_T5_T6_T7_T9_mT8_P12ihipStream_tbDpT10_ENKUlT_T0_E_clISt17integral_constantIbLb0EES1C_EEDaS17_S18_EUlS17_E_NS1_11comp_targetILNS1_3genE9ELNS1_11target_archE1100ELNS1_3gpuE3ELNS1_3repE0EEENS1_30default_config_static_selectorELNS0_4arch9wavefront6targetE0EEEvT1_,comdat
	.globl	_ZN7rocprim17ROCPRIM_400000_NS6detail17trampoline_kernelINS0_14default_configENS1_25partition_config_selectorILNS1_17partition_subalgoE8ElNS0_10empty_typeEbEEZZNS1_14partition_implILS5_8ELb0ES3_jPlPS6_PKS6_NS0_5tupleIJS9_S6_EEENSD_IJSA_SA_EEENS0_18inequality_wrapperIZN2at6native12_GLOBAL__N_124unique_dim_cuda_templateIdEESt5tupleIJNSH_6TensorESM_SM_EERKSM_lbbbEUlllE0_EEPmJS6_EEE10hipError_tPvRmT3_T4_T5_T6_T7_T9_mT8_P12ihipStream_tbDpT10_ENKUlT_T0_E_clISt17integral_constantIbLb0EES1C_EEDaS17_S18_EUlS17_E_NS1_11comp_targetILNS1_3genE9ELNS1_11target_archE1100ELNS1_3gpuE3ELNS1_3repE0EEENS1_30default_config_static_selectorELNS0_4arch9wavefront6targetE0EEEvT1_ ; -- Begin function _ZN7rocprim17ROCPRIM_400000_NS6detail17trampoline_kernelINS0_14default_configENS1_25partition_config_selectorILNS1_17partition_subalgoE8ElNS0_10empty_typeEbEEZZNS1_14partition_implILS5_8ELb0ES3_jPlPS6_PKS6_NS0_5tupleIJS9_S6_EEENSD_IJSA_SA_EEENS0_18inequality_wrapperIZN2at6native12_GLOBAL__N_124unique_dim_cuda_templateIdEESt5tupleIJNSH_6TensorESM_SM_EERKSM_lbbbEUlllE0_EEPmJS6_EEE10hipError_tPvRmT3_T4_T5_T6_T7_T9_mT8_P12ihipStream_tbDpT10_ENKUlT_T0_E_clISt17integral_constantIbLb0EES1C_EEDaS17_S18_EUlS17_E_NS1_11comp_targetILNS1_3genE9ELNS1_11target_archE1100ELNS1_3gpuE3ELNS1_3repE0EEENS1_30default_config_static_selectorELNS0_4arch9wavefront6targetE0EEEvT1_
	.p2align	8
	.type	_ZN7rocprim17ROCPRIM_400000_NS6detail17trampoline_kernelINS0_14default_configENS1_25partition_config_selectorILNS1_17partition_subalgoE8ElNS0_10empty_typeEbEEZZNS1_14partition_implILS5_8ELb0ES3_jPlPS6_PKS6_NS0_5tupleIJS9_S6_EEENSD_IJSA_SA_EEENS0_18inequality_wrapperIZN2at6native12_GLOBAL__N_124unique_dim_cuda_templateIdEESt5tupleIJNSH_6TensorESM_SM_EERKSM_lbbbEUlllE0_EEPmJS6_EEE10hipError_tPvRmT3_T4_T5_T6_T7_T9_mT8_P12ihipStream_tbDpT10_ENKUlT_T0_E_clISt17integral_constantIbLb0EES1C_EEDaS17_S18_EUlS17_E_NS1_11comp_targetILNS1_3genE9ELNS1_11target_archE1100ELNS1_3gpuE3ELNS1_3repE0EEENS1_30default_config_static_selectorELNS0_4arch9wavefront6targetE0EEEvT1_,@function
_ZN7rocprim17ROCPRIM_400000_NS6detail17trampoline_kernelINS0_14default_configENS1_25partition_config_selectorILNS1_17partition_subalgoE8ElNS0_10empty_typeEbEEZZNS1_14partition_implILS5_8ELb0ES3_jPlPS6_PKS6_NS0_5tupleIJS9_S6_EEENSD_IJSA_SA_EEENS0_18inequality_wrapperIZN2at6native12_GLOBAL__N_124unique_dim_cuda_templateIdEESt5tupleIJNSH_6TensorESM_SM_EERKSM_lbbbEUlllE0_EEPmJS6_EEE10hipError_tPvRmT3_T4_T5_T6_T7_T9_mT8_P12ihipStream_tbDpT10_ENKUlT_T0_E_clISt17integral_constantIbLb0EES1C_EEDaS17_S18_EUlS17_E_NS1_11comp_targetILNS1_3genE9ELNS1_11target_archE1100ELNS1_3gpuE3ELNS1_3repE0EEENS1_30default_config_static_selectorELNS0_4arch9wavefront6targetE0EEEvT1_: ; @_ZN7rocprim17ROCPRIM_400000_NS6detail17trampoline_kernelINS0_14default_configENS1_25partition_config_selectorILNS1_17partition_subalgoE8ElNS0_10empty_typeEbEEZZNS1_14partition_implILS5_8ELb0ES3_jPlPS6_PKS6_NS0_5tupleIJS9_S6_EEENSD_IJSA_SA_EEENS0_18inequality_wrapperIZN2at6native12_GLOBAL__N_124unique_dim_cuda_templateIdEESt5tupleIJNSH_6TensorESM_SM_EERKSM_lbbbEUlllE0_EEPmJS6_EEE10hipError_tPvRmT3_T4_T5_T6_T7_T9_mT8_P12ihipStream_tbDpT10_ENKUlT_T0_E_clISt17integral_constantIbLb0EES1C_EEDaS17_S18_EUlS17_E_NS1_11comp_targetILNS1_3genE9ELNS1_11target_archE1100ELNS1_3gpuE3ELNS1_3repE0EEENS1_30default_config_static_selectorELNS0_4arch9wavefront6targetE0EEEvT1_
; %bb.0:
	s_clause 0x3
	s_load_b128 s[4:7], s[0:1], 0x8
	s_load_b256 s[16:23], s[0:1], 0x40
	s_load_b32 s14, s[0:1], 0x70
	s_load_b128 s[8:11], s[0:1], 0x60
	s_mov_b32 s3, 0
	v_lshlrev_b32_e32 v39, 3, v0
	v_lshrrev_b32_e32 v17, 2, v0
	v_or_b32_e32 v24, 0x200, v0
	v_or_b32_e32 v22, 0x400, v0
	;; [unrolled: 1-line block ×7, first 2 shown]
	s_waitcnt lgkmcnt(0)
	s_lshl_b64 s[24:25], s[6:7], 3
	s_load_b64 s[12:13], s[18:19], 0x0
	s_add_u32 s26, s4, s24
	s_addc_u32 s5, s5, s25
	s_add_i32 s24, s14, -1
	s_lshl_b32 s14, s14, 12
	s_lshl_b32 s4, s24, 12
	;; [unrolled: 1-line block ×3, first 2 shown]
	s_add_i32 s4, s6, s4
	s_add_u32 s18, s6, s14
	s_addc_u32 s19, s7, 0
	s_cmp_eq_u32 s15, s24
	v_cmp_ge_u64_e64 s18, s[18:19], s[20:21]
	s_cselect_b32 s14, -1, 0
	s_lshl_b64 s[2:3], s[2:3], 3
	s_delay_alu instid0(VALU_DEP_1) | instskip(NEXT) | instid1(SALU_CYCLE_1)
	s_and_b32 s24, s14, s18
	s_xor_b32 s21, s24, -1
	s_add_u32 s2, s26, s2
	s_addc_u32 s3, s5, s3
	s_and_b32 vcc_lo, exec_lo, s21
	s_mov_b32 s5, -1
	s_cbranch_vccz .LBB813_2
; %bb.1:
	v_add_co_u32 v9, s5, s2, v39
	s_delay_alu instid0(VALU_DEP_1)
	v_add_co_ci_u32_e64 v10, null, s3, 0, s5
	global_load_b64 v[1:2], v39, s[2:3]
	v_add_co_u32 v3, vcc_lo, v9, 0x2000
	v_add_co_ci_u32_e32 v4, vcc_lo, 0, v10, vcc_lo
	v_add_co_u32 v5, vcc_lo, v9, 0x4000
	v_add_co_ci_u32_e32 v6, vcc_lo, 0, v10, vcc_lo
	;; [unrolled: 2-line block ×4, first 2 shown]
	s_clause 0x6
	global_load_b64 v[11:12], v[3:4], off offset:-4096
	global_load_b64 v[3:4], v[3:4], off
	global_load_b64 v[13:14], v[5:6], off offset:-4096
	global_load_b64 v[5:6], v[5:6], off
	;; [unrolled: 2-line block ×3, first 2 shown]
	global_load_b64 v[9:10], v[9:10], off
	v_lshrrev_b32_e32 v26, 2, v24
	v_lshrrev_b32_e32 v27, 2, v22
	;; [unrolled: 1-line block ×4, first 2 shown]
	v_and_b32_e32 v25, 0x78, v17
	v_lshrrev_b32_e32 v30, 2, v20
	v_lshrrev_b32_e32 v31, 2, v19
	;; [unrolled: 1-line block ×3, first 2 shown]
	v_and_b32_e32 v26, 0xf8, v26
	v_and_b32_e32 v27, 0x178, v27
	;; [unrolled: 1-line block ×4, first 2 shown]
	v_add_nc_u32_e32 v25, v25, v39
	v_and_b32_e32 v30, 0x2f8, v30
	v_and_b32_e32 v31, 0x378, v31
	;; [unrolled: 1-line block ×3, first 2 shown]
	v_add_nc_u32_e32 v26, v26, v39
	v_add_nc_u32_e32 v27, v27, v39
	;; [unrolled: 1-line block ×4, first 2 shown]
	s_mov_b32 s5, 0
	v_add_nc_u32_e32 v30, v30, v39
	v_add_nc_u32_e32 v31, v31, v39
	;; [unrolled: 1-line block ×3, first 2 shown]
	s_waitcnt vmcnt(7)
	ds_store_b64 v25, v[1:2]
	s_waitcnt vmcnt(6)
	ds_store_b64 v26, v[11:12] offset:4096
	s_waitcnt vmcnt(5)
	ds_store_b64 v27, v[3:4] offset:8192
	;; [unrolled: 2-line block ×7, first 2 shown]
	s_waitcnt lgkmcnt(0)
	s_barrier
.LBB813_2:
	s_and_not1_b32 vcc_lo, exec_lo, s5
	s_sub_i32 s20, s20, s4
	s_cbranch_vccnz .LBB813_13
; %bb.3:
	s_mov_b32 s4, exec_lo
                                        ; implicit-def: $vgpr1_vgpr2_vgpr3_vgpr4_vgpr5_vgpr6_vgpr7_vgpr8_vgpr9_vgpr10_vgpr11_vgpr12_vgpr13_vgpr14_vgpr15_vgpr16
	v_cmpx_gt_u32_e64 s20, v0
	s_cbranch_execnz .LBB813_23
; %bb.4:
	s_or_b32 exec_lo, exec_lo, s4
	s_delay_alu instid0(SALU_CYCLE_1)
	s_mov_b32 s4, exec_lo
	v_cmpx_gt_u32_e64 s20, v24
	s_cbranch_execnz .LBB813_24
.LBB813_5:
	s_or_b32 exec_lo, exec_lo, s4
	s_delay_alu instid0(SALU_CYCLE_1)
	s_mov_b32 s4, exec_lo
	v_cmpx_gt_u32_e64 s20, v22
	s_cbranch_execnz .LBB813_25
.LBB813_6:
	s_or_b32 exec_lo, exec_lo, s4
	s_delay_alu instid0(SALU_CYCLE_1)
	s_mov_b32 s4, exec_lo
	v_cmpx_gt_u32_e64 s20, v23
	s_cbranch_execnz .LBB813_26
.LBB813_7:
	s_or_b32 exec_lo, exec_lo, s4
	s_delay_alu instid0(SALU_CYCLE_1)
	s_mov_b32 s4, exec_lo
	v_cmpx_gt_u32_e64 s20, v21
	s_cbranch_execnz .LBB813_27
.LBB813_8:
	s_or_b32 exec_lo, exec_lo, s4
	s_delay_alu instid0(SALU_CYCLE_1)
	s_mov_b32 s4, exec_lo
	v_cmpx_gt_u32_e64 s20, v20
	s_cbranch_execnz .LBB813_28
.LBB813_9:
	s_or_b32 exec_lo, exec_lo, s4
	s_delay_alu instid0(SALU_CYCLE_1)
	s_mov_b32 s4, exec_lo
	v_cmpx_gt_u32_e64 s20, v19
	s_cbranch_execnz .LBB813_29
.LBB813_10:
	s_or_b32 exec_lo, exec_lo, s4
	s_delay_alu instid0(SALU_CYCLE_1)
	s_mov_b32 s4, exec_lo
	v_cmpx_gt_u32_e64 s20, v18
	s_cbranch_execz .LBB813_12
.LBB813_11:
	v_lshlrev_b32_e32 v15, 3, v18
	global_load_b64 v[15:16], v15, s[2:3]
.LBB813_12:
	s_or_b32 exec_lo, exec_lo, s4
	v_lshrrev_b32_e32 v24, 2, v24
	v_lshrrev_b32_e32 v22, 2, v22
	;; [unrolled: 1-line block ×4, first 2 shown]
	v_and_b32_e32 v25, 0x78, v17
	v_lshrrev_b32_e32 v20, 2, v20
	v_lshrrev_b32_e32 v19, 2, v19
	;; [unrolled: 1-line block ×3, first 2 shown]
	v_and_b32_e32 v24, 0xf8, v24
	v_and_b32_e32 v22, 0x1f8, v22
	;; [unrolled: 1-line block ×4, first 2 shown]
	v_add_nc_u32_e32 v25, v25, v39
	v_and_b32_e32 v20, 0x3f8, v20
	v_and_b32_e32 v19, 0x3f8, v19
	v_and_b32_e32 v18, 0x3f8, v18
	v_add_nc_u32_e32 v24, v24, v39
	v_add_nc_u32_e32 v22, v22, v39
	;; [unrolled: 1-line block ×7, first 2 shown]
	s_waitcnt vmcnt(0)
	ds_store_b64 v25, v[1:2]
	ds_store_b64 v24, v[3:4] offset:4096
	ds_store_b64 v22, v[5:6] offset:8192
	ds_store_b64 v23, v[7:8] offset:12288
	ds_store_b64 v21, v[9:10] offset:16384
	ds_store_b64 v20, v[11:12] offset:20480
	ds_store_b64 v19, v[13:14] offset:24576
	ds_store_b64 v18, v[15:16] offset:28672
	s_waitcnt lgkmcnt(0)
	s_barrier
.LBB813_13:
	v_add_lshl_u32 v1, v17, v39, 3
	s_waitcnt lgkmcnt(0)
	buffer_gl0_inv
	s_cmp_lg_u32 s15, 0
	v_cmp_gt_i64_e64 s26, s[22:23], 0
	s_cselect_b32 s25, -1, 0
	ds_load_2addr_b64 v[13:16], v1 offset1:1
	ds_load_2addr_b64 v[9:12], v1 offset0:2 offset1:3
	ds_load_2addr_b64 v[5:8], v1 offset0:4 offset1:5
	;; [unrolled: 1-line block ×3, first 2 shown]
	s_cmp_lg_u64 s[6:7], 0
	s_mov_b32 s18, 0
	s_cselect_b32 s4, -1, 0
	s_waitcnt lgkmcnt(0)
	s_or_b32 s4, s25, s4
	s_barrier
	s_and_b32 vcc_lo, exec_lo, s4
	buffer_gl0_inv
	s_cbranch_vccz .LBB813_22
; %bb.14:
	s_add_u32 s2, s2, -8
	s_addc_u32 s3, s3, -1
	v_cndmask_b32_e64 v25, 0, 1, s26
	s_load_b64 s[4:5], s[2:3], 0x0
	s_and_b32 vcc_lo, exec_lo, s21
	ds_store_b64 v39, v[3:4]
	v_cmp_ne_u32_e64 s2, 1, v25
	s_cbranch_vccz .LBB813_30
; %bb.15:
	v_mul_lo_u32 v19, v2, s22
	v_mul_lo_u32 v20, v1, s23
	v_mad_u64_u32 v[17:18], null, v1, s22, 0
	s_mov_b32 s3, 0
	s_and_b32 vcc_lo, exec_lo, s2
	s_mov_b32 s27, 0
	s_delay_alu instid0(VALU_DEP_1) | instskip(NEXT) | instid1(VALU_DEP_1)
	v_add3_u32 v18, v18, v20, v19
	v_lshlrev_b64 v[17:18], 3, v[17:18]
	s_cbranch_vccnz .LBB813_33
; %bb.16:
	v_mul_lo_u32 v21, v4, s22
	v_mul_lo_u32 v22, v3, s23
	v_mad_u64_u32 v[19:20], null, v3, s22, 0
	s_mov_b32 s27, -1
	s_mov_b32 s28, exec_lo
	s_delay_alu instid0(VALU_DEP_1) | instskip(SKIP_2) | instid1(VALU_DEP_3)
	v_add3_u32 v20, v20, v22, v21
	v_add_co_u32 v21, vcc_lo, s8, v17
	v_add_co_ci_u32_e32 v22, vcc_lo, s9, v18, vcc_lo
	v_lshlrev_b64 v[19:20], 3, v[19:20]
	s_delay_alu instid0(VALU_DEP_1) | instskip(NEXT) | instid1(VALU_DEP_2)
	v_add_co_u32 v19, vcc_lo, s8, v19
	v_add_co_ci_u32_e32 v20, vcc_lo, s9, v20, vcc_lo
	s_clause 0x1
	global_load_b64 v[23:24], v[21:22], off
	global_load_b64 v[26:27], v[19:20], off
	s_waitcnt vmcnt(0)
	v_cmpx_eq_f64_e32 v[23:24], v[26:27]
	s_cbranch_execz .LBB813_32
; %bb.17:
	v_add_co_u32 v19, vcc_lo, v19, 8
	v_add_co_ci_u32_e32 v20, vcc_lo, 0, v20, vcc_lo
	v_add_co_u32 v21, vcc_lo, v21, 8
	v_add_co_ci_u32_e32 v22, vcc_lo, 0, v22, vcc_lo
	s_add_u32 s6, s22, -1
	s_addc_u32 s7, s23, -1
	s_mov_b64 s[18:19], 0
	s_mov_b32 s27, 0
                                        ; implicit-def: $sgpr29
	s_set_inst_prefetch_distance 0x1
	s_branch .LBB813_20
	.p2align	6
.LBB813_18:                             ;   in Loop: Header=BB813_20 Depth=1
	global_load_b64 v[23:24], v[21:22], off
	global_load_b64 v[26:27], v[19:20], off
	v_add_co_u32 v19, s2, v19, 8
	s_delay_alu instid0(VALU_DEP_1) | instskip(SKIP_1) | instid1(VALU_DEP_1)
	v_add_co_ci_u32_e64 v20, s2, 0, v20, s2
	v_add_co_u32 v21, s2, v21, 8
	v_add_co_ci_u32_e64 v22, s2, 0, v22, s2
	s_add_u32 s18, s18, 1
	s_addc_u32 s19, s19, 0
	s_and_not1_b32 s2, s29, exec_lo
	s_waitcnt vmcnt(0)
	v_cmp_neq_f64_e32 vcc_lo, v[23:24], v[26:27]
	s_and_b32 s29, vcc_lo, exec_lo
	s_delay_alu instid0(SALU_CYCLE_1)
	s_or_b32 s29, s2, s29
.LBB813_19:                             ;   in Loop: Header=BB813_20 Depth=1
	v_dual_mov_b32 v24, s19 :: v_dual_mov_b32 v23, s18
	s_and_b32 s2, exec_lo, s29
	s_delay_alu instid0(SALU_CYCLE_1) | instskip(NEXT) | instid1(SALU_CYCLE_1)
	s_or_b32 s27, s2, s27
	s_and_not1_b32 exec_lo, exec_lo, s27
	s_cbranch_execz .LBB813_31
.LBB813_20:                             ; =>This Inner Loop Header: Depth=1
	s_or_b32 s29, s29, exec_lo
	s_cmp_eq_u64 s[6:7], s[18:19]
	s_cbranch_scc0 .LBB813_18
; %bb.21:                               ;   in Loop: Header=BB813_20 Depth=1
	s_mov_b64 s[18:19], s[22:23]
                                        ; implicit-def: $vgpr19_vgpr20
                                        ; implicit-def: $vgpr21_vgpr22
	s_branch .LBB813_19
.LBB813_22:
                                        ; implicit-def: $sgpr2
                                        ; implicit-def: $vgpr18
	s_branch .LBB813_191
.LBB813_23:
	global_load_b64 v[1:2], v39, s[2:3]
	s_or_b32 exec_lo, exec_lo, s4
	s_delay_alu instid0(SALU_CYCLE_1)
	s_mov_b32 s4, exec_lo
	v_cmpx_gt_u32_e64 s20, v24
	s_cbranch_execz .LBB813_5
.LBB813_24:
	v_lshlrev_b32_e32 v3, 3, v24
	global_load_b64 v[3:4], v3, s[2:3]
	s_or_b32 exec_lo, exec_lo, s4
	s_delay_alu instid0(SALU_CYCLE_1)
	s_mov_b32 s4, exec_lo
	v_cmpx_gt_u32_e64 s20, v22
	s_cbranch_execz .LBB813_6
.LBB813_25:
	v_lshlrev_b32_e32 v5, 3, v22
	global_load_b64 v[5:6], v5, s[2:3]
	s_or_b32 exec_lo, exec_lo, s4
	s_delay_alu instid0(SALU_CYCLE_1)
	s_mov_b32 s4, exec_lo
	v_cmpx_gt_u32_e64 s20, v23
	s_cbranch_execz .LBB813_7
.LBB813_26:
	v_lshlrev_b32_e32 v7, 3, v23
	global_load_b64 v[7:8], v7, s[2:3]
	s_or_b32 exec_lo, exec_lo, s4
	s_delay_alu instid0(SALU_CYCLE_1)
	s_mov_b32 s4, exec_lo
	v_cmpx_gt_u32_e64 s20, v21
	s_cbranch_execz .LBB813_8
.LBB813_27:
	v_lshlrev_b32_e32 v9, 3, v21
	global_load_b64 v[9:10], v9, s[2:3]
	s_or_b32 exec_lo, exec_lo, s4
	s_delay_alu instid0(SALU_CYCLE_1)
	s_mov_b32 s4, exec_lo
	v_cmpx_gt_u32_e64 s20, v20
	s_cbranch_execz .LBB813_9
.LBB813_28:
	v_lshlrev_b32_e32 v11, 3, v20
	global_load_b64 v[11:12], v11, s[2:3]
	s_or_b32 exec_lo, exec_lo, s4
	s_delay_alu instid0(SALU_CYCLE_1)
	s_mov_b32 s4, exec_lo
	v_cmpx_gt_u32_e64 s20, v19
	s_cbranch_execz .LBB813_10
.LBB813_29:
	v_lshlrev_b32_e32 v13, 3, v19
	global_load_b64 v[13:14], v13, s[2:3]
	s_or_b32 exec_lo, exec_lo, s4
	s_delay_alu instid0(SALU_CYCLE_1)
	s_mov_b32 s4, exec_lo
	v_cmpx_gt_u32_e64 s20, v18
	s_cbranch_execnz .LBB813_11
	s_branch .LBB813_12
.LBB813_30:
                                        ; implicit-def: $sgpr2
                                        ; implicit-def: $vgpr18
	s_cbranch_execnz .LBB813_99
	s_branch .LBB813_190
.LBB813_31:
	s_set_inst_prefetch_distance 0x2
	s_or_b32 exec_lo, exec_lo, s27
	v_cmp_gt_i64_e32 vcc_lo, s[22:23], v[23:24]
	s_or_not1_b32 s27, vcc_lo, exec_lo
.LBB813_32:
	s_or_b32 exec_lo, exec_lo, s28
.LBB813_33:
	v_mul_lo_u32 v21, v8, s22
	v_mul_lo_u32 v22, v7, s23
	v_mad_u64_u32 v[19:20], null, v7, s22, 0
	s_and_not1_b32 vcc_lo, exec_lo, s26
	s_delay_alu instid0(VALU_DEP_1) | instskip(NEXT) | instid1(VALU_DEP_1)
	v_add3_u32 v20, v20, v22, v21
	v_lshlrev_b64 v[19:20], 3, v[19:20]
	s_cbranch_vccnz .LBB813_42
; %bb.34:
	s_delay_alu instid0(VALU_DEP_1) | instskip(NEXT) | instid1(VALU_DEP_2)
	v_add_co_u32 v21, vcc_lo, s8, v19
	v_add_co_ci_u32_e32 v22, vcc_lo, s9, v20, vcc_lo
	v_add_co_u32 v17, vcc_lo, s8, v17
	v_add_co_ci_u32_e32 v18, vcc_lo, s9, v18, vcc_lo
	s_mov_b32 s3, -1
	s_clause 0x1
	global_load_b64 v[23:24], v[21:22], off
	global_load_b64 v[26:27], v[17:18], off
	s_mov_b32 s28, exec_lo
	s_waitcnt vmcnt(0)
	v_cmpx_eq_f64_e32 v[23:24], v[26:27]
	s_cbranch_execz .LBB813_41
; %bb.35:
	v_add_co_u32 v17, vcc_lo, v17, 8
	v_add_co_ci_u32_e32 v18, vcc_lo, 0, v18, vcc_lo
	v_add_co_u32 v21, vcc_lo, v21, 8
	v_add_co_ci_u32_e32 v22, vcc_lo, 0, v22, vcc_lo
	s_add_u32 s6, s22, -1
	s_addc_u32 s7, s23, -1
	s_mov_b64 s[18:19], 0
	s_mov_b32 s3, 0
                                        ; implicit-def: $sgpr29
	s_set_inst_prefetch_distance 0x1
	s_branch .LBB813_38
	.p2align	6
.LBB813_36:                             ;   in Loop: Header=BB813_38 Depth=1
	global_load_b64 v[23:24], v[21:22], off
	global_load_b64 v[26:27], v[17:18], off
	v_add_co_u32 v17, s2, v17, 8
	s_delay_alu instid0(VALU_DEP_1) | instskip(SKIP_1) | instid1(VALU_DEP_1)
	v_add_co_ci_u32_e64 v18, s2, 0, v18, s2
	v_add_co_u32 v21, s2, v21, 8
	v_add_co_ci_u32_e64 v22, s2, 0, v22, s2
	s_add_u32 s18, s18, 1
	s_addc_u32 s19, s19, 0
	s_and_not1_b32 s2, s29, exec_lo
	s_waitcnt vmcnt(0)
	v_cmp_neq_f64_e32 vcc_lo, v[23:24], v[26:27]
	s_and_b32 s29, vcc_lo, exec_lo
	s_delay_alu instid0(SALU_CYCLE_1)
	s_or_b32 s29, s2, s29
.LBB813_37:                             ;   in Loop: Header=BB813_38 Depth=1
	v_dual_mov_b32 v24, s19 :: v_dual_mov_b32 v23, s18
	s_and_b32 s2, exec_lo, s29
	s_delay_alu instid0(SALU_CYCLE_1) | instskip(NEXT) | instid1(SALU_CYCLE_1)
	s_or_b32 s3, s2, s3
	s_and_not1_b32 exec_lo, exec_lo, s3
	s_cbranch_execz .LBB813_40
.LBB813_38:                             ; =>This Inner Loop Header: Depth=1
	s_or_b32 s29, s29, exec_lo
	s_cmp_eq_u64 s[6:7], s[18:19]
	s_cbranch_scc0 .LBB813_36
; %bb.39:                               ;   in Loop: Header=BB813_38 Depth=1
	s_mov_b64 s[18:19], s[22:23]
                                        ; implicit-def: $vgpr17_vgpr18
                                        ; implicit-def: $vgpr21_vgpr22
	s_branch .LBB813_37
.LBB813_40:
	s_set_inst_prefetch_distance 0x2
	s_or_b32 exec_lo, exec_lo, s3
	v_cmp_gt_i64_e32 vcc_lo, s[22:23], v[23:24]
	s_or_not1_b32 s3, vcc_lo, exec_lo
.LBB813_41:
	s_or_b32 exec_lo, exec_lo, s28
.LBB813_42:
	v_mul_lo_u32 v21, v6, s22
	v_mul_lo_u32 v22, v5, s23
	v_mad_u64_u32 v[17:18], null, v5, s22, 0
	s_mov_b32 s28, 0
	s_and_not1_b32 vcc_lo, exec_lo, s26
	s_mov_b32 s29, 0
	s_delay_alu instid0(VALU_DEP_1) | instskip(NEXT) | instid1(VALU_DEP_1)
	v_add3_u32 v18, v18, v22, v21
	v_lshlrev_b64 v[21:22], 3, v[17:18]
	s_cbranch_vccnz .LBB813_51
; %bb.43:
	s_delay_alu instid0(VALU_DEP_1) | instskip(NEXT) | instid1(VALU_DEP_2)
	v_add_co_u32 v23, vcc_lo, s8, v21
	v_add_co_ci_u32_e32 v24, vcc_lo, s9, v22, vcc_lo
	v_add_co_u32 v17, vcc_lo, s8, v19
	v_add_co_ci_u32_e32 v18, vcc_lo, s9, v20, vcc_lo
	s_mov_b32 s29, -1
	s_clause 0x1
	global_load_b64 v[19:20], v[23:24], off
	global_load_b64 v[26:27], v[17:18], off
	s_mov_b32 s30, exec_lo
	s_waitcnt vmcnt(0)
	v_cmpx_eq_f64_e32 v[19:20], v[26:27]
	s_cbranch_execz .LBB813_50
; %bb.44:
	v_add_co_u32 v17, vcc_lo, v17, 8
	v_add_co_ci_u32_e32 v18, vcc_lo, 0, v18, vcc_lo
	v_add_co_u32 v19, vcc_lo, v23, 8
	v_add_co_ci_u32_e32 v20, vcc_lo, 0, v24, vcc_lo
	s_add_u32 s6, s22, -1
	s_addc_u32 s7, s23, -1
	s_mov_b64 s[18:19], 0
	s_mov_b32 s29, 0
                                        ; implicit-def: $sgpr31
	s_set_inst_prefetch_distance 0x1
	s_branch .LBB813_47
	.p2align	6
.LBB813_45:                             ;   in Loop: Header=BB813_47 Depth=1
	global_load_b64 v[23:24], v[19:20], off
	global_load_b64 v[26:27], v[17:18], off
	v_add_co_u32 v17, s2, v17, 8
	s_delay_alu instid0(VALU_DEP_1) | instskip(SKIP_1) | instid1(VALU_DEP_1)
	v_add_co_ci_u32_e64 v18, s2, 0, v18, s2
	v_add_co_u32 v19, s2, v19, 8
	v_add_co_ci_u32_e64 v20, s2, 0, v20, s2
	s_add_u32 s18, s18, 1
	s_addc_u32 s19, s19, 0
	s_and_not1_b32 s2, s31, exec_lo
	s_waitcnt vmcnt(0)
	v_cmp_neq_f64_e32 vcc_lo, v[23:24], v[26:27]
	s_and_b32 s31, vcc_lo, exec_lo
	s_delay_alu instid0(SALU_CYCLE_1)
	s_or_b32 s31, s2, s31
.LBB813_46:                             ;   in Loop: Header=BB813_47 Depth=1
	v_dual_mov_b32 v24, s19 :: v_dual_mov_b32 v23, s18
	s_and_b32 s2, exec_lo, s31
	s_delay_alu instid0(SALU_CYCLE_1) | instskip(NEXT) | instid1(SALU_CYCLE_1)
	s_or_b32 s29, s2, s29
	s_and_not1_b32 exec_lo, exec_lo, s29
	s_cbranch_execz .LBB813_49
.LBB813_47:                             ; =>This Inner Loop Header: Depth=1
	s_or_b32 s31, s31, exec_lo
	s_cmp_eq_u64 s[6:7], s[18:19]
	s_cbranch_scc0 .LBB813_45
; %bb.48:                               ;   in Loop: Header=BB813_47 Depth=1
	s_mov_b64 s[18:19], s[22:23]
                                        ; implicit-def: $vgpr17_vgpr18
                                        ; implicit-def: $vgpr19_vgpr20
	s_branch .LBB813_46
.LBB813_49:
	s_set_inst_prefetch_distance 0x2
	s_or_b32 exec_lo, exec_lo, s29
	v_cmp_gt_i64_e32 vcc_lo, s[22:23], v[23:24]
	s_or_not1_b32 s29, vcc_lo, exec_lo
.LBB813_50:
	s_or_b32 exec_lo, exec_lo, s30
.LBB813_51:
	v_mul_lo_u32 v19, v12, s22
	v_mul_lo_u32 v20, v11, s23
	v_mad_u64_u32 v[17:18], null, v11, s22, 0
	s_and_not1_b32 vcc_lo, exec_lo, s26
	s_delay_alu instid0(VALU_DEP_1) | instskip(NEXT) | instid1(VALU_DEP_1)
	v_add3_u32 v18, v18, v20, v19
	v_lshlrev_b64 v[17:18], 3, v[17:18]
	s_cbranch_vccnz .LBB813_60
; %bb.52:
	s_delay_alu instid0(VALU_DEP_1) | instskip(NEXT) | instid1(VALU_DEP_2)
	v_add_co_u32 v23, vcc_lo, s8, v17
	v_add_co_ci_u32_e32 v24, vcc_lo, s9, v18, vcc_lo
	v_add_co_u32 v19, vcc_lo, s8, v21
	v_add_co_ci_u32_e32 v20, vcc_lo, s9, v22, vcc_lo
	s_mov_b32 s28, -1
	s_clause 0x1
	global_load_b64 v[21:22], v[23:24], off
	global_load_b64 v[26:27], v[19:20], off
	s_mov_b32 s30, exec_lo
	s_waitcnt vmcnt(0)
	v_cmpx_eq_f64_e32 v[21:22], v[26:27]
	s_cbranch_execz .LBB813_59
; %bb.53:
	v_add_co_u32 v19, vcc_lo, v19, 8
	v_add_co_ci_u32_e32 v20, vcc_lo, 0, v20, vcc_lo
	v_add_co_u32 v21, vcc_lo, v23, 8
	v_add_co_ci_u32_e32 v22, vcc_lo, 0, v24, vcc_lo
	s_add_u32 s6, s22, -1
	s_addc_u32 s7, s23, -1
	s_mov_b64 s[18:19], 0
	s_mov_b32 s28, 0
                                        ; implicit-def: $sgpr31
	s_set_inst_prefetch_distance 0x1
	s_branch .LBB813_56
	.p2align	6
.LBB813_54:                             ;   in Loop: Header=BB813_56 Depth=1
	global_load_b64 v[23:24], v[21:22], off
	global_load_b64 v[26:27], v[19:20], off
	v_add_co_u32 v19, s2, v19, 8
	s_delay_alu instid0(VALU_DEP_1) | instskip(SKIP_1) | instid1(VALU_DEP_1)
	v_add_co_ci_u32_e64 v20, s2, 0, v20, s2
	v_add_co_u32 v21, s2, v21, 8
	v_add_co_ci_u32_e64 v22, s2, 0, v22, s2
	s_add_u32 s18, s18, 1
	s_addc_u32 s19, s19, 0
	s_and_not1_b32 s2, s31, exec_lo
	s_waitcnt vmcnt(0)
	v_cmp_neq_f64_e32 vcc_lo, v[23:24], v[26:27]
	s_and_b32 s31, vcc_lo, exec_lo
	s_delay_alu instid0(SALU_CYCLE_1)
	s_or_b32 s31, s2, s31
.LBB813_55:                             ;   in Loop: Header=BB813_56 Depth=1
	v_dual_mov_b32 v24, s19 :: v_dual_mov_b32 v23, s18
	s_and_b32 s2, exec_lo, s31
	s_delay_alu instid0(SALU_CYCLE_1) | instskip(NEXT) | instid1(SALU_CYCLE_1)
	s_or_b32 s28, s2, s28
	s_and_not1_b32 exec_lo, exec_lo, s28
	s_cbranch_execz .LBB813_58
.LBB813_56:                             ; =>This Inner Loop Header: Depth=1
	s_or_b32 s31, s31, exec_lo
	s_cmp_eq_u64 s[6:7], s[18:19]
	s_cbranch_scc0 .LBB813_54
; %bb.57:                               ;   in Loop: Header=BB813_56 Depth=1
	s_mov_b64 s[18:19], s[22:23]
                                        ; implicit-def: $vgpr19_vgpr20
                                        ; implicit-def: $vgpr21_vgpr22
	s_branch .LBB813_55
.LBB813_58:
	s_set_inst_prefetch_distance 0x2
	s_or_b32 exec_lo, exec_lo, s28
	v_cmp_gt_i64_e32 vcc_lo, s[22:23], v[23:24]
	s_or_not1_b32 s28, vcc_lo, exec_lo
.LBB813_59:
	s_or_b32 exec_lo, exec_lo, s30
.LBB813_60:
	v_mul_lo_u32 v21, v10, s22
	v_mul_lo_u32 v22, v9, s23
	v_mad_u64_u32 v[19:20], null, v9, s22, 0
	s_mov_b32 s30, 0
	s_and_not1_b32 vcc_lo, exec_lo, s26
	s_mov_b32 s31, 0
	s_delay_alu instid0(VALU_DEP_1) | instskip(NEXT) | instid1(VALU_DEP_1)
	v_add3_u32 v20, v20, v22, v21
	v_lshlrev_b64 v[21:22], 3, v[19:20]
	s_cbranch_vccnz .LBB813_69
; %bb.61:
	s_delay_alu instid0(VALU_DEP_1) | instskip(NEXT) | instid1(VALU_DEP_2)
	v_add_co_u32 v19, vcc_lo, s8, v21
	v_add_co_ci_u32_e32 v20, vcc_lo, s9, v22, vcc_lo
	v_add_co_u32 v17, vcc_lo, s8, v17
	v_add_co_ci_u32_e32 v18, vcc_lo, s9, v18, vcc_lo
	s_mov_b32 s31, -1
	s_clause 0x1
	global_load_b64 v[23:24], v[19:20], off
	global_load_b64 v[26:27], v[17:18], off
	s_mov_b32 s33, exec_lo
	s_waitcnt vmcnt(0)
	v_cmpx_eq_f64_e32 v[23:24], v[26:27]
	s_cbranch_execz .LBB813_68
; %bb.62:
	v_add_co_u32 v17, vcc_lo, v17, 8
	v_add_co_ci_u32_e32 v18, vcc_lo, 0, v18, vcc_lo
	v_add_co_u32 v19, vcc_lo, v19, 8
	v_add_co_ci_u32_e32 v20, vcc_lo, 0, v20, vcc_lo
	s_add_u32 s6, s22, -1
	s_addc_u32 s7, s23, -1
	s_mov_b64 s[18:19], 0
	s_mov_b32 s31, 0
                                        ; implicit-def: $sgpr34
	s_set_inst_prefetch_distance 0x1
	s_branch .LBB813_65
	.p2align	6
.LBB813_63:                             ;   in Loop: Header=BB813_65 Depth=1
	global_load_b64 v[23:24], v[19:20], off
	global_load_b64 v[26:27], v[17:18], off
	v_add_co_u32 v17, s2, v17, 8
	s_delay_alu instid0(VALU_DEP_1) | instskip(SKIP_1) | instid1(VALU_DEP_1)
	v_add_co_ci_u32_e64 v18, s2, 0, v18, s2
	v_add_co_u32 v19, s2, v19, 8
	v_add_co_ci_u32_e64 v20, s2, 0, v20, s2
	s_add_u32 s18, s18, 1
	s_addc_u32 s19, s19, 0
	s_and_not1_b32 s2, s34, exec_lo
	s_waitcnt vmcnt(0)
	v_cmp_neq_f64_e32 vcc_lo, v[23:24], v[26:27]
	s_and_b32 s34, vcc_lo, exec_lo
	s_delay_alu instid0(SALU_CYCLE_1)
	s_or_b32 s34, s2, s34
.LBB813_64:                             ;   in Loop: Header=BB813_65 Depth=1
	v_dual_mov_b32 v24, s19 :: v_dual_mov_b32 v23, s18
	s_and_b32 s2, exec_lo, s34
	s_delay_alu instid0(SALU_CYCLE_1) | instskip(NEXT) | instid1(SALU_CYCLE_1)
	s_or_b32 s31, s2, s31
	s_and_not1_b32 exec_lo, exec_lo, s31
	s_cbranch_execz .LBB813_67
.LBB813_65:                             ; =>This Inner Loop Header: Depth=1
	s_or_b32 s34, s34, exec_lo
	s_cmp_eq_u64 s[6:7], s[18:19]
	s_cbranch_scc0 .LBB813_63
; %bb.66:                               ;   in Loop: Header=BB813_65 Depth=1
	s_mov_b64 s[18:19], s[22:23]
                                        ; implicit-def: $vgpr17_vgpr18
                                        ; implicit-def: $vgpr19_vgpr20
	s_branch .LBB813_64
.LBB813_67:
	s_set_inst_prefetch_distance 0x2
	s_or_b32 exec_lo, exec_lo, s31
	v_cmp_gt_i64_e32 vcc_lo, s[22:23], v[23:24]
	s_or_not1_b32 s31, vcc_lo, exec_lo
.LBB813_68:
	s_or_b32 exec_lo, exec_lo, s33
.LBB813_69:
	v_mul_lo_u32 v19, v16, s22
	v_mul_lo_u32 v20, v15, s23
	v_mad_u64_u32 v[17:18], null, v15, s22, 0
	s_and_not1_b32 vcc_lo, exec_lo, s26
	s_delay_alu instid0(VALU_DEP_1) | instskip(NEXT) | instid1(VALU_DEP_1)
	v_add3_u32 v18, v18, v20, v19
	v_lshlrev_b64 v[19:20], 3, v[17:18]
	s_cbranch_vccnz .LBB813_78
; %bb.70:
	s_delay_alu instid0(VALU_DEP_1) | instskip(NEXT) | instid1(VALU_DEP_2)
	v_add_co_u32 v23, vcc_lo, s8, v19
	v_add_co_ci_u32_e32 v24, vcc_lo, s9, v20, vcc_lo
	v_add_co_u32 v17, vcc_lo, s8, v21
	v_add_co_ci_u32_e32 v18, vcc_lo, s9, v22, vcc_lo
	s_mov_b32 s30, -1
	s_clause 0x1
	global_load_b64 v[21:22], v[23:24], off
	global_load_b64 v[26:27], v[17:18], off
	s_mov_b32 s33, exec_lo
	s_waitcnt vmcnt(0)
	v_cmpx_eq_f64_e32 v[21:22], v[26:27]
	s_cbranch_execz .LBB813_77
; %bb.71:
	v_add_co_u32 v17, vcc_lo, v17, 8
	v_add_co_ci_u32_e32 v18, vcc_lo, 0, v18, vcc_lo
	v_add_co_u32 v21, vcc_lo, v23, 8
	v_add_co_ci_u32_e32 v22, vcc_lo, 0, v24, vcc_lo
	s_add_u32 s6, s22, -1
	s_addc_u32 s7, s23, -1
	s_mov_b64 s[18:19], 0
	s_mov_b32 s30, 0
                                        ; implicit-def: $sgpr34
	s_set_inst_prefetch_distance 0x1
	s_branch .LBB813_74
	.p2align	6
.LBB813_72:                             ;   in Loop: Header=BB813_74 Depth=1
	global_load_b64 v[23:24], v[21:22], off
	global_load_b64 v[26:27], v[17:18], off
	v_add_co_u32 v17, s2, v17, 8
	s_delay_alu instid0(VALU_DEP_1) | instskip(SKIP_1) | instid1(VALU_DEP_1)
	v_add_co_ci_u32_e64 v18, s2, 0, v18, s2
	v_add_co_u32 v21, s2, v21, 8
	v_add_co_ci_u32_e64 v22, s2, 0, v22, s2
	s_add_u32 s18, s18, 1
	s_addc_u32 s19, s19, 0
	s_and_not1_b32 s2, s34, exec_lo
	s_waitcnt vmcnt(0)
	v_cmp_neq_f64_e32 vcc_lo, v[23:24], v[26:27]
	s_and_b32 s34, vcc_lo, exec_lo
	s_delay_alu instid0(SALU_CYCLE_1)
	s_or_b32 s34, s2, s34
.LBB813_73:                             ;   in Loop: Header=BB813_74 Depth=1
	v_dual_mov_b32 v24, s19 :: v_dual_mov_b32 v23, s18
	s_and_b32 s2, exec_lo, s34
	s_delay_alu instid0(SALU_CYCLE_1) | instskip(NEXT) | instid1(SALU_CYCLE_1)
	s_or_b32 s30, s2, s30
	s_and_not1_b32 exec_lo, exec_lo, s30
	s_cbranch_execz .LBB813_76
.LBB813_74:                             ; =>This Inner Loop Header: Depth=1
	s_or_b32 s34, s34, exec_lo
	s_cmp_eq_u64 s[6:7], s[18:19]
	s_cbranch_scc0 .LBB813_72
; %bb.75:                               ;   in Loop: Header=BB813_74 Depth=1
	s_mov_b64 s[18:19], s[22:23]
                                        ; implicit-def: $vgpr17_vgpr18
                                        ; implicit-def: $vgpr21_vgpr22
	s_branch .LBB813_73
.LBB813_76:
	s_set_inst_prefetch_distance 0x2
	s_or_b32 exec_lo, exec_lo, s30
	v_cmp_gt_i64_e32 vcc_lo, s[22:23], v[23:24]
	s_or_not1_b32 s30, vcc_lo, exec_lo
.LBB813_77:
	s_or_b32 exec_lo, exec_lo, s33
.LBB813_78:
	v_mul_lo_u32 v21, v14, s22
	v_mul_lo_u32 v22, v13, s23
	v_mad_u64_u32 v[17:18], null, v13, s22, 0
	s_and_not1_b32 vcc_lo, exec_lo, s26
	s_mov_b32 s2, 0
	s_delay_alu instid0(VALU_DEP_1) | instskip(NEXT) | instid1(VALU_DEP_1)
	v_add3_u32 v18, v18, v22, v21
	v_lshlrev_b64 v[17:18], 3, v[17:18]
	s_cbranch_vccnz .LBB813_87
; %bb.79:
	s_delay_alu instid0(VALU_DEP_1) | instskip(NEXT) | instid1(VALU_DEP_2)
	v_add_co_u32 v21, vcc_lo, s8, v17
	v_add_co_ci_u32_e32 v22, vcc_lo, s9, v18, vcc_lo
	v_add_co_u32 v19, vcc_lo, s8, v19
	v_add_co_ci_u32_e32 v20, vcc_lo, s9, v20, vcc_lo
	s_mov_b32 s2, -1
	s_clause 0x1
	global_load_b64 v[23:24], v[21:22], off
	global_load_b64 v[26:27], v[19:20], off
	s_mov_b32 s33, exec_lo
	s_waitcnt vmcnt(0)
	v_cmpx_eq_f64_e32 v[23:24], v[26:27]
	s_cbranch_execz .LBB813_86
; %bb.80:
	v_add_co_u32 v19, vcc_lo, v19, 8
	v_add_co_ci_u32_e32 v20, vcc_lo, 0, v20, vcc_lo
	v_add_co_u32 v21, vcc_lo, v21, 8
	v_add_co_ci_u32_e32 v22, vcc_lo, 0, v22, vcc_lo
	s_add_u32 s6, s22, -1
	s_addc_u32 s7, s23, -1
	s_mov_b64 s[18:19], 0
	s_mov_b32 s34, 0
                                        ; implicit-def: $sgpr35
	s_set_inst_prefetch_distance 0x1
	s_branch .LBB813_83
	.p2align	6
.LBB813_81:                             ;   in Loop: Header=BB813_83 Depth=1
	global_load_b64 v[23:24], v[21:22], off
	global_load_b64 v[26:27], v[19:20], off
	v_add_co_u32 v19, s2, v19, 8
	s_delay_alu instid0(VALU_DEP_1) | instskip(SKIP_1) | instid1(VALU_DEP_1)
	v_add_co_ci_u32_e64 v20, s2, 0, v20, s2
	v_add_co_u32 v21, s2, v21, 8
	v_add_co_ci_u32_e64 v22, s2, 0, v22, s2
	s_add_u32 s18, s18, 1
	s_addc_u32 s19, s19, 0
	s_and_not1_b32 s2, s35, exec_lo
	s_waitcnt vmcnt(0)
	v_cmp_neq_f64_e32 vcc_lo, v[23:24], v[26:27]
	s_and_b32 s35, vcc_lo, exec_lo
	s_delay_alu instid0(SALU_CYCLE_1)
	s_or_b32 s35, s2, s35
.LBB813_82:                             ;   in Loop: Header=BB813_83 Depth=1
	v_dual_mov_b32 v24, s19 :: v_dual_mov_b32 v23, s18
	s_and_b32 s2, exec_lo, s35
	s_delay_alu instid0(SALU_CYCLE_1) | instskip(NEXT) | instid1(SALU_CYCLE_1)
	s_or_b32 s34, s2, s34
	s_and_not1_b32 exec_lo, exec_lo, s34
	s_cbranch_execz .LBB813_85
.LBB813_83:                             ; =>This Inner Loop Header: Depth=1
	s_or_b32 s35, s35, exec_lo
	s_cmp_eq_u64 s[6:7], s[18:19]
	s_cbranch_scc0 .LBB813_81
; %bb.84:                               ;   in Loop: Header=BB813_83 Depth=1
	s_mov_b64 s[18:19], s[22:23]
                                        ; implicit-def: $vgpr19_vgpr20
                                        ; implicit-def: $vgpr21_vgpr22
	s_branch .LBB813_82
.LBB813_85:
	s_set_inst_prefetch_distance 0x2
	s_or_b32 exec_lo, exec_lo, s34
	v_cmp_gt_i64_e32 vcc_lo, s[22:23], v[23:24]
	s_or_not1_b32 s2, vcc_lo, exec_lo
.LBB813_86:
	s_or_b32 exec_lo, exec_lo, s33
.LBB813_87:
	s_waitcnt lgkmcnt(0)
	v_dual_mov_b32 v20, s5 :: v_dual_mov_b32 v19, s4
	s_mov_b32 s6, exec_lo
	s_barrier
	buffer_gl0_inv
	v_cmpx_ne_u32_e32 0, v0
	s_cbranch_execz .LBB813_89
; %bb.88:
	v_add_nc_u32_e32 v19, -8, v39
	ds_load_b64 v[19:20], v19
.LBB813_89:
	s_or_b32 exec_lo, exec_lo, s6
	v_cndmask_b32_e64 v22, 0, 1, s31
	v_cndmask_b32_e64 v24, 0, 1, s29
	;; [unrolled: 1-line block ×7, first 2 shown]
	v_lshlrev_b16 v22, 8, v22
	v_lshlrev_b16 v24, 8, v24
	v_lshlrev_b16 v26, 8, v26
	v_lshlrev_b16 v27, 8, v27
	s_mov_b32 s3, 0
	v_or_b32_e32 v21, v21, v22
	v_or_b32_e32 v22, v23, v24
	v_or_b32_e32 v28, v28, v26
	v_and_b32_e32 v23, 0xffff, v27
	s_and_not1_b32 vcc_lo, exec_lo, s26
	v_lshlrev_b32_e32 v24, 16, v21
	v_and_b32_e32 v26, 0xffff, v22
	v_lshlrev_b32_e32 v27, 16, v28
	s_mov_b32 s2, 0
	s_cbranch_vccnz .LBB813_98
; %bb.90:
	s_waitcnt lgkmcnt(0)
	v_mul_lo_u32 v22, v20, s22
	v_mul_lo_u32 v28, v19, s23
	v_mad_u64_u32 v[20:21], null, v19, s22, 0
	s_mov_b32 s2, -1
	s_mov_b32 s27, exec_lo
	s_delay_alu instid0(VALU_DEP_1) | instskip(NEXT) | instid1(VALU_DEP_1)
	v_add3_u32 v21, v21, v28, v22
	v_lshlrev_b64 v[19:20], 3, v[20:21]
	s_delay_alu instid0(VALU_DEP_1) | instskip(NEXT) | instid1(VALU_DEP_2)
	v_add_co_u32 v19, vcc_lo, s8, v19
	v_add_co_ci_u32_e32 v20, vcc_lo, s9, v20, vcc_lo
	v_add_co_u32 v17, vcc_lo, s8, v17
	v_add_co_ci_u32_e32 v18, vcc_lo, s9, v18, vcc_lo
	s_clause 0x1
	global_load_b64 v[21:22], v[19:20], off
	global_load_b64 v[28:29], v[17:18], off
	s_waitcnt vmcnt(0)
	v_cmpx_eq_f64_e32 v[21:22], v[28:29]
	s_cbranch_execz .LBB813_97
; %bb.91:
	v_add_co_u32 v17, vcc_lo, v17, 8
	v_add_co_ci_u32_e32 v18, vcc_lo, 0, v18, vcc_lo
	v_add_co_u32 v19, vcc_lo, v19, 8
	v_add_co_ci_u32_e32 v20, vcc_lo, 0, v20, vcc_lo
	s_add_u32 s6, s22, -1
	s_addc_u32 s7, s23, -1
	s_mov_b64 s[18:19], 0
	s_mov_b32 s28, 0
                                        ; implicit-def: $sgpr29
	s_set_inst_prefetch_distance 0x1
	s_branch .LBB813_94
	.p2align	6
.LBB813_92:                             ;   in Loop: Header=BB813_94 Depth=1
	global_load_b64 v[21:22], v[19:20], off
	global_load_b64 v[28:29], v[17:18], off
	v_add_co_u32 v17, s2, v17, 8
	s_delay_alu instid0(VALU_DEP_1) | instskip(SKIP_1) | instid1(VALU_DEP_1)
	v_add_co_ci_u32_e64 v18, s2, 0, v18, s2
	v_add_co_u32 v19, s2, v19, 8
	v_add_co_ci_u32_e64 v20, s2, 0, v20, s2
	s_add_u32 s18, s18, 1
	s_addc_u32 s19, s19, 0
	s_and_not1_b32 s2, s29, exec_lo
	s_waitcnt vmcnt(0)
	v_cmp_neq_f64_e32 vcc_lo, v[21:22], v[28:29]
	s_and_b32 s29, vcc_lo, exec_lo
	s_delay_alu instid0(SALU_CYCLE_1)
	s_or_b32 s29, s2, s29
.LBB813_93:                             ;   in Loop: Header=BB813_94 Depth=1
	v_dual_mov_b32 v22, s19 :: v_dual_mov_b32 v21, s18
	s_and_b32 s2, exec_lo, s29
	s_delay_alu instid0(SALU_CYCLE_1) | instskip(NEXT) | instid1(SALU_CYCLE_1)
	s_or_b32 s28, s2, s28
	s_and_not1_b32 exec_lo, exec_lo, s28
	s_cbranch_execz .LBB813_96
.LBB813_94:                             ; =>This Inner Loop Header: Depth=1
	s_or_b32 s29, s29, exec_lo
	s_cmp_eq_u64 s[6:7], s[18:19]
	s_cbranch_scc0 .LBB813_92
; %bb.95:                               ;   in Loop: Header=BB813_94 Depth=1
	s_mov_b64 s[18:19], s[22:23]
                                        ; implicit-def: $vgpr17_vgpr18
                                        ; implicit-def: $vgpr19_vgpr20
	s_branch .LBB813_93
.LBB813_96:
	s_set_inst_prefetch_distance 0x2
	s_or_b32 exec_lo, exec_lo, s28
	v_cmp_gt_i64_e32 vcc_lo, s[22:23], v[21:22]
	s_or_not1_b32 s2, vcc_lo, exec_lo
.LBB813_97:
	s_or_b32 exec_lo, exec_lo, s27
.LBB813_98:
	v_or_b32_e32 v17, v23, v24
	s_delay_alu instid0(VALU_DEP_2)
	v_or_b32_e32 v18, v26, v27
	s_and_b32 vcc_lo, exec_lo, s3
	s_cbranch_vccz .LBB813_190
.LBB813_99:
	v_or_b32_e32 v17, 7, v39
	s_mov_b32 s3, 0
	s_mov_b32 s27, 0
	s_mov_b32 s28, exec_lo
	s_delay_alu instid0(VALU_DEP_1)
	v_cmpx_gt_u32_e64 s20, v17
	s_cbranch_execz .LBB813_110
; %bb.100:
	s_and_not1_b32 vcc_lo, exec_lo, s26
	s_mov_b32 s2, 0
	s_cbranch_vccnz .LBB813_109
; %bb.101:
	v_mul_lo_u32 v21, v2, s22
	v_mul_lo_u32 v22, v1, s23
	v_mad_u64_u32 v[17:18], null, v1, s22, 0
	v_mul_lo_u32 v23, v4, s22
	v_mul_lo_u32 v24, v3, s23
	s_waitcnt lgkmcnt(0)
	v_mad_u64_u32 v[19:20], null, v3, s22, 0
	s_mov_b32 s2, -1
	s_mov_b32 s26, exec_lo
	s_delay_alu instid0(VALU_DEP_4) | instskip(NEXT) | instid1(VALU_DEP_2)
	v_add3_u32 v18, v18, v22, v21
	v_add3_u32 v20, v20, v24, v23
	s_delay_alu instid0(VALU_DEP_2) | instskip(NEXT) | instid1(VALU_DEP_2)
	v_lshlrev_b64 v[17:18], 3, v[17:18]
	v_lshlrev_b64 v[21:22], 3, v[19:20]
	s_delay_alu instid0(VALU_DEP_2) | instskip(NEXT) | instid1(VALU_DEP_3)
	v_add_co_u32 v19, vcc_lo, s8, v17
	v_add_co_ci_u32_e32 v20, vcc_lo, s9, v18, vcc_lo
	s_delay_alu instid0(VALU_DEP_3) | instskip(NEXT) | instid1(VALU_DEP_4)
	v_add_co_u32 v17, vcc_lo, s8, v21
	v_add_co_ci_u32_e32 v18, vcc_lo, s9, v22, vcc_lo
	s_clause 0x1
	global_load_b64 v[21:22], v[19:20], off
	global_load_b64 v[23:24], v[17:18], off
	s_waitcnt vmcnt(0)
	v_cmpx_eq_f64_e32 v[21:22], v[23:24]
	s_cbranch_execz .LBB813_108
; %bb.102:
	v_add_co_u32 v17, vcc_lo, v17, 8
	v_add_co_ci_u32_e32 v18, vcc_lo, 0, v18, vcc_lo
	v_add_co_u32 v19, vcc_lo, v19, 8
	v_add_co_ci_u32_e32 v20, vcc_lo, 0, v20, vcc_lo
	s_add_u32 s6, s22, -1
	s_addc_u32 s7, s23, -1
	s_mov_b64 s[18:19], 0
                                        ; implicit-def: $sgpr29
	s_set_inst_prefetch_distance 0x1
	s_branch .LBB813_105
	.p2align	6
.LBB813_103:                            ;   in Loop: Header=BB813_105 Depth=1
	global_load_b64 v[21:22], v[19:20], off
	global_load_b64 v[23:24], v[17:18], off
	v_add_co_u32 v17, s2, v17, 8
	s_delay_alu instid0(VALU_DEP_1) | instskip(SKIP_1) | instid1(VALU_DEP_1)
	v_add_co_ci_u32_e64 v18, s2, 0, v18, s2
	v_add_co_u32 v19, s2, v19, 8
	v_add_co_ci_u32_e64 v20, s2, 0, v20, s2
	s_add_u32 s18, s18, 1
	s_addc_u32 s19, s19, 0
	s_and_not1_b32 s2, s29, exec_lo
	s_waitcnt vmcnt(0)
	v_cmp_neq_f64_e32 vcc_lo, v[21:22], v[23:24]
	s_and_b32 s29, vcc_lo, exec_lo
	s_delay_alu instid0(SALU_CYCLE_1)
	s_or_b32 s29, s2, s29
.LBB813_104:                            ;   in Loop: Header=BB813_105 Depth=1
	v_dual_mov_b32 v22, s19 :: v_dual_mov_b32 v21, s18
	s_and_b32 s2, exec_lo, s29
	s_delay_alu instid0(SALU_CYCLE_1) | instskip(NEXT) | instid1(SALU_CYCLE_1)
	s_or_b32 s27, s2, s27
	s_and_not1_b32 exec_lo, exec_lo, s27
	s_cbranch_execz .LBB813_107
.LBB813_105:                            ; =>This Inner Loop Header: Depth=1
	s_or_b32 s29, s29, exec_lo
	s_cmp_eq_u64 s[6:7], s[18:19]
	s_cbranch_scc0 .LBB813_103
; %bb.106:                              ;   in Loop: Header=BB813_105 Depth=1
	s_mov_b64 s[18:19], s[22:23]
                                        ; implicit-def: $vgpr17_vgpr18
                                        ; implicit-def: $vgpr19_vgpr20
	s_branch .LBB813_104
.LBB813_107:
	s_set_inst_prefetch_distance 0x2
	s_or_b32 exec_lo, exec_lo, s27
	v_cmp_gt_i64_e32 vcc_lo, s[22:23], v[21:22]
	s_or_not1_b32 s2, vcc_lo, exec_lo
.LBB813_108:
	s_or_b32 exec_lo, exec_lo, s26
.LBB813_109:
	s_delay_alu instid0(SALU_CYCLE_1)
	s_and_b32 s27, s2, exec_lo
.LBB813_110:
	s_or_b32 exec_lo, exec_lo, s28
	v_or_b32_e32 v17, 6, v39
	s_mov_b32 s26, exec_lo
	s_delay_alu instid0(VALU_DEP_1)
	v_cmpx_gt_u32_e64 s20, v17
	s_cbranch_execz .LBB813_121
; %bb.111:
	v_cmp_ne_u32_e32 vcc_lo, 1, v25
	s_mov_b32 s2, 0
	s_cbranch_vccnz .LBB813_120
; %bb.112:
	v_mul_lo_u32 v21, v8, s22
	v_mul_lo_u32 v22, v7, s23
	v_mad_u64_u32 v[17:18], null, v7, s22, 0
	v_mul_lo_u32 v23, v2, s22
	v_mul_lo_u32 v24, v1, s23
	s_waitcnt lgkmcnt(0)
	v_mad_u64_u32 v[19:20], null, v1, s22, 0
	s_mov_b32 s2, -1
	s_mov_b32 s3, exec_lo
	s_delay_alu instid0(VALU_DEP_4) | instskip(NEXT) | instid1(VALU_DEP_2)
	v_add3_u32 v18, v18, v22, v21
	v_add3_u32 v20, v20, v24, v23
	s_delay_alu instid0(VALU_DEP_2) | instskip(NEXT) | instid1(VALU_DEP_2)
	v_lshlrev_b64 v[17:18], 3, v[17:18]
	v_lshlrev_b64 v[21:22], 3, v[19:20]
	s_delay_alu instid0(VALU_DEP_2) | instskip(NEXT) | instid1(VALU_DEP_3)
	v_add_co_u32 v19, vcc_lo, s8, v17
	v_add_co_ci_u32_e32 v20, vcc_lo, s9, v18, vcc_lo
	s_delay_alu instid0(VALU_DEP_3) | instskip(NEXT) | instid1(VALU_DEP_4)
	v_add_co_u32 v17, vcc_lo, s8, v21
	v_add_co_ci_u32_e32 v18, vcc_lo, s9, v22, vcc_lo
	s_clause 0x1
	global_load_b64 v[21:22], v[19:20], off
	global_load_b64 v[23:24], v[17:18], off
	s_waitcnt vmcnt(0)
	v_cmpx_eq_f64_e32 v[21:22], v[23:24]
	s_cbranch_execz .LBB813_119
; %bb.113:
	v_add_co_u32 v17, vcc_lo, v17, 8
	v_add_co_ci_u32_e32 v18, vcc_lo, 0, v18, vcc_lo
	v_add_co_u32 v19, vcc_lo, v19, 8
	v_add_co_ci_u32_e32 v20, vcc_lo, 0, v20, vcc_lo
	s_add_u32 s6, s22, -1
	s_addc_u32 s7, s23, -1
	s_mov_b64 s[18:19], 0
	s_mov_b32 s28, 0
                                        ; implicit-def: $sgpr29
	s_set_inst_prefetch_distance 0x1
	s_branch .LBB813_116
	.p2align	6
.LBB813_114:                            ;   in Loop: Header=BB813_116 Depth=1
	global_load_b64 v[21:22], v[19:20], off
	global_load_b64 v[23:24], v[17:18], off
	v_add_co_u32 v17, s2, v17, 8
	s_delay_alu instid0(VALU_DEP_1) | instskip(SKIP_1) | instid1(VALU_DEP_1)
	v_add_co_ci_u32_e64 v18, s2, 0, v18, s2
	v_add_co_u32 v19, s2, v19, 8
	v_add_co_ci_u32_e64 v20, s2, 0, v20, s2
	s_add_u32 s18, s18, 1
	s_addc_u32 s19, s19, 0
	s_and_not1_b32 s2, s29, exec_lo
	s_waitcnt vmcnt(0)
	v_cmp_neq_f64_e32 vcc_lo, v[21:22], v[23:24]
	s_and_b32 s29, vcc_lo, exec_lo
	s_delay_alu instid0(SALU_CYCLE_1)
	s_or_b32 s29, s2, s29
.LBB813_115:                            ;   in Loop: Header=BB813_116 Depth=1
	v_dual_mov_b32 v22, s19 :: v_dual_mov_b32 v21, s18
	s_and_b32 s2, exec_lo, s29
	s_delay_alu instid0(SALU_CYCLE_1) | instskip(NEXT) | instid1(SALU_CYCLE_1)
	s_or_b32 s28, s2, s28
	s_and_not1_b32 exec_lo, exec_lo, s28
	s_cbranch_execz .LBB813_118
.LBB813_116:                            ; =>This Inner Loop Header: Depth=1
	s_or_b32 s29, s29, exec_lo
	s_cmp_eq_u64 s[6:7], s[18:19]
	s_cbranch_scc0 .LBB813_114
; %bb.117:                              ;   in Loop: Header=BB813_116 Depth=1
	s_mov_b64 s[18:19], s[22:23]
                                        ; implicit-def: $vgpr17_vgpr18
                                        ; implicit-def: $vgpr19_vgpr20
	s_branch .LBB813_115
.LBB813_118:
	s_set_inst_prefetch_distance 0x2
	s_or_b32 exec_lo, exec_lo, s28
	v_cmp_gt_i64_e32 vcc_lo, s[22:23], v[21:22]
	s_or_not1_b32 s2, vcc_lo, exec_lo
.LBB813_119:
	s_or_b32 exec_lo, exec_lo, s3
.LBB813_120:
	s_delay_alu instid0(SALU_CYCLE_1)
	s_and_b32 s3, s2, exec_lo
.LBB813_121:
	s_or_b32 exec_lo, exec_lo, s26
	v_or_b32_e32 v17, 5, v39
	s_mov_b32 s28, 0
	s_mov_b32 s26, 0
	s_mov_b32 s29, exec_lo
	s_delay_alu instid0(VALU_DEP_1)
	v_cmpx_gt_u32_e64 s20, v17
	s_cbranch_execz .LBB813_132
; %bb.122:
	v_cmp_ne_u32_e32 vcc_lo, 1, v25
	s_mov_b32 s2, 0
	s_cbranch_vccnz .LBB813_131
; %bb.123:
	v_mul_lo_u32 v21, v6, s22
	v_mul_lo_u32 v22, v5, s23
	v_mad_u64_u32 v[17:18], null, v5, s22, 0
	v_mul_lo_u32 v23, v8, s22
	v_mul_lo_u32 v24, v7, s23
	s_waitcnt lgkmcnt(0)
	v_mad_u64_u32 v[19:20], null, v7, s22, 0
	s_mov_b32 s2, -1
	s_mov_b32 s26, exec_lo
	s_delay_alu instid0(VALU_DEP_4) | instskip(NEXT) | instid1(VALU_DEP_2)
	v_add3_u32 v18, v18, v22, v21
	v_add3_u32 v20, v20, v24, v23
	s_delay_alu instid0(VALU_DEP_2) | instskip(NEXT) | instid1(VALU_DEP_2)
	v_lshlrev_b64 v[17:18], 3, v[17:18]
	v_lshlrev_b64 v[21:22], 3, v[19:20]
	s_delay_alu instid0(VALU_DEP_2) | instskip(NEXT) | instid1(VALU_DEP_3)
	v_add_co_u32 v19, vcc_lo, s8, v17
	v_add_co_ci_u32_e32 v20, vcc_lo, s9, v18, vcc_lo
	s_delay_alu instid0(VALU_DEP_3) | instskip(NEXT) | instid1(VALU_DEP_4)
	v_add_co_u32 v17, vcc_lo, s8, v21
	v_add_co_ci_u32_e32 v18, vcc_lo, s9, v22, vcc_lo
	s_clause 0x1
	global_load_b64 v[21:22], v[19:20], off
	global_load_b64 v[23:24], v[17:18], off
	s_waitcnt vmcnt(0)
	v_cmpx_eq_f64_e32 v[21:22], v[23:24]
	s_cbranch_execz .LBB813_130
; %bb.124:
	v_add_co_u32 v17, vcc_lo, v17, 8
	v_add_co_ci_u32_e32 v18, vcc_lo, 0, v18, vcc_lo
	v_add_co_u32 v19, vcc_lo, v19, 8
	v_add_co_ci_u32_e32 v20, vcc_lo, 0, v20, vcc_lo
	s_add_u32 s6, s22, -1
	s_addc_u32 s7, s23, -1
	s_mov_b64 s[18:19], 0
	s_mov_b32 s30, 0
                                        ; implicit-def: $sgpr31
	s_set_inst_prefetch_distance 0x1
	s_branch .LBB813_127
	.p2align	6
.LBB813_125:                            ;   in Loop: Header=BB813_127 Depth=1
	global_load_b64 v[21:22], v[19:20], off
	global_load_b64 v[23:24], v[17:18], off
	v_add_co_u32 v17, s2, v17, 8
	s_delay_alu instid0(VALU_DEP_1) | instskip(SKIP_1) | instid1(VALU_DEP_1)
	v_add_co_ci_u32_e64 v18, s2, 0, v18, s2
	v_add_co_u32 v19, s2, v19, 8
	v_add_co_ci_u32_e64 v20, s2, 0, v20, s2
	s_add_u32 s18, s18, 1
	s_addc_u32 s19, s19, 0
	s_and_not1_b32 s2, s31, exec_lo
	s_waitcnt vmcnt(0)
	v_cmp_neq_f64_e32 vcc_lo, v[21:22], v[23:24]
	s_and_b32 s31, vcc_lo, exec_lo
	s_delay_alu instid0(SALU_CYCLE_1)
	s_or_b32 s31, s2, s31
.LBB813_126:                            ;   in Loop: Header=BB813_127 Depth=1
	v_dual_mov_b32 v22, s19 :: v_dual_mov_b32 v21, s18
	s_and_b32 s2, exec_lo, s31
	s_delay_alu instid0(SALU_CYCLE_1) | instskip(NEXT) | instid1(SALU_CYCLE_1)
	s_or_b32 s30, s2, s30
	s_and_not1_b32 exec_lo, exec_lo, s30
	s_cbranch_execz .LBB813_129
.LBB813_127:                            ; =>This Inner Loop Header: Depth=1
	s_or_b32 s31, s31, exec_lo
	s_cmp_eq_u64 s[6:7], s[18:19]
	s_cbranch_scc0 .LBB813_125
; %bb.128:                              ;   in Loop: Header=BB813_127 Depth=1
	s_mov_b64 s[18:19], s[22:23]
                                        ; implicit-def: $vgpr17_vgpr18
                                        ; implicit-def: $vgpr19_vgpr20
	s_branch .LBB813_126
.LBB813_129:
	s_set_inst_prefetch_distance 0x2
	s_or_b32 exec_lo, exec_lo, s30
	v_cmp_gt_i64_e32 vcc_lo, s[22:23], v[21:22]
	s_or_not1_b32 s2, vcc_lo, exec_lo
.LBB813_130:
	s_or_b32 exec_lo, exec_lo, s26
.LBB813_131:
	s_delay_alu instid0(SALU_CYCLE_1)
	s_and_b32 s26, s2, exec_lo
.LBB813_132:
	s_or_b32 exec_lo, exec_lo, s29
	v_or_b32_e32 v17, 4, v39
	s_mov_b32 s29, exec_lo
	s_delay_alu instid0(VALU_DEP_1)
	v_cmpx_gt_u32_e64 s20, v17
	s_cbranch_execz .LBB813_143
; %bb.133:
	v_cmp_ne_u32_e32 vcc_lo, 1, v25
	s_mov_b32 s2, 0
	s_cbranch_vccnz .LBB813_142
; %bb.134:
	v_mul_lo_u32 v21, v12, s22
	v_mul_lo_u32 v22, v11, s23
	v_mad_u64_u32 v[17:18], null, v11, s22, 0
	v_mul_lo_u32 v23, v6, s22
	v_mul_lo_u32 v24, v5, s23
	s_waitcnt lgkmcnt(0)
	v_mad_u64_u32 v[19:20], null, v5, s22, 0
	s_mov_b32 s2, -1
	s_mov_b32 s28, exec_lo
	s_delay_alu instid0(VALU_DEP_4) | instskip(NEXT) | instid1(VALU_DEP_2)
	v_add3_u32 v18, v18, v22, v21
	v_add3_u32 v20, v20, v24, v23
	s_delay_alu instid0(VALU_DEP_2) | instskip(NEXT) | instid1(VALU_DEP_2)
	v_lshlrev_b64 v[17:18], 3, v[17:18]
	v_lshlrev_b64 v[21:22], 3, v[19:20]
	s_delay_alu instid0(VALU_DEP_2) | instskip(NEXT) | instid1(VALU_DEP_3)
	v_add_co_u32 v19, vcc_lo, s8, v17
	v_add_co_ci_u32_e32 v20, vcc_lo, s9, v18, vcc_lo
	s_delay_alu instid0(VALU_DEP_3) | instskip(NEXT) | instid1(VALU_DEP_4)
	v_add_co_u32 v17, vcc_lo, s8, v21
	v_add_co_ci_u32_e32 v18, vcc_lo, s9, v22, vcc_lo
	s_clause 0x1
	global_load_b64 v[21:22], v[19:20], off
	global_load_b64 v[23:24], v[17:18], off
	s_waitcnt vmcnt(0)
	v_cmpx_eq_f64_e32 v[21:22], v[23:24]
	s_cbranch_execz .LBB813_141
; %bb.135:
	v_add_co_u32 v17, vcc_lo, v17, 8
	v_add_co_ci_u32_e32 v18, vcc_lo, 0, v18, vcc_lo
	v_add_co_u32 v19, vcc_lo, v19, 8
	v_add_co_ci_u32_e32 v20, vcc_lo, 0, v20, vcc_lo
	s_add_u32 s6, s22, -1
	s_addc_u32 s7, s23, -1
	s_mov_b64 s[18:19], 0
	s_mov_b32 s30, 0
                                        ; implicit-def: $sgpr31
	s_set_inst_prefetch_distance 0x1
	s_branch .LBB813_138
	.p2align	6
.LBB813_136:                            ;   in Loop: Header=BB813_138 Depth=1
	global_load_b64 v[21:22], v[19:20], off
	global_load_b64 v[23:24], v[17:18], off
	v_add_co_u32 v17, s2, v17, 8
	s_delay_alu instid0(VALU_DEP_1) | instskip(SKIP_1) | instid1(VALU_DEP_1)
	v_add_co_ci_u32_e64 v18, s2, 0, v18, s2
	v_add_co_u32 v19, s2, v19, 8
	v_add_co_ci_u32_e64 v20, s2, 0, v20, s2
	s_add_u32 s18, s18, 1
	s_addc_u32 s19, s19, 0
	s_and_not1_b32 s2, s31, exec_lo
	s_waitcnt vmcnt(0)
	v_cmp_neq_f64_e32 vcc_lo, v[21:22], v[23:24]
	s_and_b32 s31, vcc_lo, exec_lo
	s_delay_alu instid0(SALU_CYCLE_1)
	s_or_b32 s31, s2, s31
.LBB813_137:                            ;   in Loop: Header=BB813_138 Depth=1
	v_dual_mov_b32 v22, s19 :: v_dual_mov_b32 v21, s18
	s_and_b32 s2, exec_lo, s31
	s_delay_alu instid0(SALU_CYCLE_1) | instskip(NEXT) | instid1(SALU_CYCLE_1)
	s_or_b32 s30, s2, s30
	s_and_not1_b32 exec_lo, exec_lo, s30
	s_cbranch_execz .LBB813_140
.LBB813_138:                            ; =>This Inner Loop Header: Depth=1
	s_or_b32 s31, s31, exec_lo
	s_cmp_eq_u64 s[6:7], s[18:19]
	s_cbranch_scc0 .LBB813_136
; %bb.139:                              ;   in Loop: Header=BB813_138 Depth=1
	s_mov_b64 s[18:19], s[22:23]
                                        ; implicit-def: $vgpr17_vgpr18
                                        ; implicit-def: $vgpr19_vgpr20
	s_branch .LBB813_137
.LBB813_140:
	s_set_inst_prefetch_distance 0x2
	s_or_b32 exec_lo, exec_lo, s30
	v_cmp_gt_i64_e32 vcc_lo, s[22:23], v[21:22]
	s_or_not1_b32 s2, vcc_lo, exec_lo
.LBB813_141:
	s_or_b32 exec_lo, exec_lo, s28
.LBB813_142:
	s_delay_alu instid0(SALU_CYCLE_1)
	s_and_b32 s28, s2, exec_lo
.LBB813_143:
	s_or_b32 exec_lo, exec_lo, s29
	v_or_b32_e32 v17, 3, v39
	s_mov_b32 s30, 0
	s_mov_b32 s29, 0
	s_mov_b32 s31, exec_lo
	s_delay_alu instid0(VALU_DEP_1)
	v_cmpx_gt_u32_e64 s20, v17
	s_cbranch_execz .LBB813_154
; %bb.144:
	v_cmp_ne_u32_e32 vcc_lo, 1, v25
	s_mov_b32 s2, 0
	s_cbranch_vccnz .LBB813_153
; %bb.145:
	v_mul_lo_u32 v21, v10, s22
	v_mul_lo_u32 v22, v9, s23
	v_mad_u64_u32 v[17:18], null, v9, s22, 0
	v_mul_lo_u32 v23, v12, s22
	v_mul_lo_u32 v24, v11, s23
	s_waitcnt lgkmcnt(0)
	v_mad_u64_u32 v[19:20], null, v11, s22, 0
	s_mov_b32 s2, -1
	s_mov_b32 s29, exec_lo
	s_delay_alu instid0(VALU_DEP_4) | instskip(NEXT) | instid1(VALU_DEP_2)
	v_add3_u32 v18, v18, v22, v21
	v_add3_u32 v20, v20, v24, v23
	s_delay_alu instid0(VALU_DEP_2) | instskip(NEXT) | instid1(VALU_DEP_2)
	v_lshlrev_b64 v[17:18], 3, v[17:18]
	v_lshlrev_b64 v[21:22], 3, v[19:20]
	s_delay_alu instid0(VALU_DEP_2) | instskip(NEXT) | instid1(VALU_DEP_3)
	v_add_co_u32 v19, vcc_lo, s8, v17
	v_add_co_ci_u32_e32 v20, vcc_lo, s9, v18, vcc_lo
	s_delay_alu instid0(VALU_DEP_3) | instskip(NEXT) | instid1(VALU_DEP_4)
	v_add_co_u32 v17, vcc_lo, s8, v21
	v_add_co_ci_u32_e32 v18, vcc_lo, s9, v22, vcc_lo
	s_clause 0x1
	global_load_b64 v[21:22], v[19:20], off
	global_load_b64 v[23:24], v[17:18], off
	s_waitcnt vmcnt(0)
	v_cmpx_eq_f64_e32 v[21:22], v[23:24]
	s_cbranch_execz .LBB813_152
; %bb.146:
	v_add_co_u32 v17, vcc_lo, v17, 8
	v_add_co_ci_u32_e32 v18, vcc_lo, 0, v18, vcc_lo
	v_add_co_u32 v19, vcc_lo, v19, 8
	v_add_co_ci_u32_e32 v20, vcc_lo, 0, v20, vcc_lo
	s_add_u32 s6, s22, -1
	s_addc_u32 s7, s23, -1
	s_mov_b64 s[18:19], 0
	s_mov_b32 s33, 0
                                        ; implicit-def: $sgpr34
	s_set_inst_prefetch_distance 0x1
	s_branch .LBB813_149
	.p2align	6
.LBB813_147:                            ;   in Loop: Header=BB813_149 Depth=1
	global_load_b64 v[21:22], v[19:20], off
	global_load_b64 v[23:24], v[17:18], off
	v_add_co_u32 v17, s2, v17, 8
	s_delay_alu instid0(VALU_DEP_1) | instskip(SKIP_1) | instid1(VALU_DEP_1)
	v_add_co_ci_u32_e64 v18, s2, 0, v18, s2
	v_add_co_u32 v19, s2, v19, 8
	v_add_co_ci_u32_e64 v20, s2, 0, v20, s2
	s_add_u32 s18, s18, 1
	s_addc_u32 s19, s19, 0
	s_and_not1_b32 s2, s34, exec_lo
	s_waitcnt vmcnt(0)
	v_cmp_neq_f64_e32 vcc_lo, v[21:22], v[23:24]
	s_and_b32 s34, vcc_lo, exec_lo
	s_delay_alu instid0(SALU_CYCLE_1)
	s_or_b32 s34, s2, s34
.LBB813_148:                            ;   in Loop: Header=BB813_149 Depth=1
	v_dual_mov_b32 v22, s19 :: v_dual_mov_b32 v21, s18
	s_and_b32 s2, exec_lo, s34
	s_delay_alu instid0(SALU_CYCLE_1) | instskip(NEXT) | instid1(SALU_CYCLE_1)
	s_or_b32 s33, s2, s33
	s_and_not1_b32 exec_lo, exec_lo, s33
	s_cbranch_execz .LBB813_151
.LBB813_149:                            ; =>This Inner Loop Header: Depth=1
	s_or_b32 s34, s34, exec_lo
	s_cmp_eq_u64 s[6:7], s[18:19]
	s_cbranch_scc0 .LBB813_147
; %bb.150:                              ;   in Loop: Header=BB813_149 Depth=1
	s_mov_b64 s[18:19], s[22:23]
                                        ; implicit-def: $vgpr17_vgpr18
                                        ; implicit-def: $vgpr19_vgpr20
	s_branch .LBB813_148
.LBB813_151:
	s_set_inst_prefetch_distance 0x2
	s_or_b32 exec_lo, exec_lo, s33
	v_cmp_gt_i64_e32 vcc_lo, s[22:23], v[21:22]
	s_or_not1_b32 s2, vcc_lo, exec_lo
.LBB813_152:
	s_or_b32 exec_lo, exec_lo, s29
.LBB813_153:
	s_delay_alu instid0(SALU_CYCLE_1)
	s_and_b32 s29, s2, exec_lo
.LBB813_154:
	s_or_b32 exec_lo, exec_lo, s31
	v_or_b32_e32 v17, 2, v39
	s_mov_b32 s31, exec_lo
	s_delay_alu instid0(VALU_DEP_1)
	v_cmpx_gt_u32_e64 s20, v17
	s_cbranch_execz .LBB813_165
; %bb.155:
	v_cmp_ne_u32_e32 vcc_lo, 1, v25
	s_mov_b32 s2, 0
	s_cbranch_vccnz .LBB813_164
; %bb.156:
	v_mul_lo_u32 v21, v16, s22
	v_mul_lo_u32 v22, v15, s23
	v_mad_u64_u32 v[17:18], null, v15, s22, 0
	v_mul_lo_u32 v23, v10, s22
	v_mul_lo_u32 v24, v9, s23
	s_waitcnt lgkmcnt(0)
	v_mad_u64_u32 v[19:20], null, v9, s22, 0
	s_mov_b32 s2, -1
	s_mov_b32 s30, exec_lo
	s_delay_alu instid0(VALU_DEP_4) | instskip(NEXT) | instid1(VALU_DEP_2)
	v_add3_u32 v18, v18, v22, v21
	v_add3_u32 v20, v20, v24, v23
	s_delay_alu instid0(VALU_DEP_2) | instskip(NEXT) | instid1(VALU_DEP_2)
	v_lshlrev_b64 v[17:18], 3, v[17:18]
	v_lshlrev_b64 v[21:22], 3, v[19:20]
	s_delay_alu instid0(VALU_DEP_2) | instskip(NEXT) | instid1(VALU_DEP_3)
	v_add_co_u32 v19, vcc_lo, s8, v17
	v_add_co_ci_u32_e32 v20, vcc_lo, s9, v18, vcc_lo
	s_delay_alu instid0(VALU_DEP_3) | instskip(NEXT) | instid1(VALU_DEP_4)
	v_add_co_u32 v17, vcc_lo, s8, v21
	v_add_co_ci_u32_e32 v18, vcc_lo, s9, v22, vcc_lo
	s_clause 0x1
	global_load_b64 v[21:22], v[19:20], off
	global_load_b64 v[23:24], v[17:18], off
	s_waitcnt vmcnt(0)
	v_cmpx_eq_f64_e32 v[21:22], v[23:24]
	s_cbranch_execz .LBB813_163
; %bb.157:
	v_add_co_u32 v17, vcc_lo, v17, 8
	v_add_co_ci_u32_e32 v18, vcc_lo, 0, v18, vcc_lo
	v_add_co_u32 v19, vcc_lo, v19, 8
	v_add_co_ci_u32_e32 v20, vcc_lo, 0, v20, vcc_lo
	s_add_u32 s6, s22, -1
	s_addc_u32 s7, s23, -1
	s_mov_b64 s[18:19], 0
	s_mov_b32 s33, 0
                                        ; implicit-def: $sgpr34
	s_set_inst_prefetch_distance 0x1
	s_branch .LBB813_160
	.p2align	6
.LBB813_158:                            ;   in Loop: Header=BB813_160 Depth=1
	global_load_b64 v[21:22], v[19:20], off
	global_load_b64 v[23:24], v[17:18], off
	v_add_co_u32 v17, s2, v17, 8
	s_delay_alu instid0(VALU_DEP_1) | instskip(SKIP_1) | instid1(VALU_DEP_1)
	v_add_co_ci_u32_e64 v18, s2, 0, v18, s2
	v_add_co_u32 v19, s2, v19, 8
	v_add_co_ci_u32_e64 v20, s2, 0, v20, s2
	s_add_u32 s18, s18, 1
	s_addc_u32 s19, s19, 0
	s_and_not1_b32 s2, s34, exec_lo
	s_waitcnt vmcnt(0)
	v_cmp_neq_f64_e32 vcc_lo, v[21:22], v[23:24]
	s_and_b32 s34, vcc_lo, exec_lo
	s_delay_alu instid0(SALU_CYCLE_1)
	s_or_b32 s34, s2, s34
.LBB813_159:                            ;   in Loop: Header=BB813_160 Depth=1
	v_dual_mov_b32 v22, s19 :: v_dual_mov_b32 v21, s18
	s_and_b32 s2, exec_lo, s34
	s_delay_alu instid0(SALU_CYCLE_1) | instskip(NEXT) | instid1(SALU_CYCLE_1)
	s_or_b32 s33, s2, s33
	s_and_not1_b32 exec_lo, exec_lo, s33
	s_cbranch_execz .LBB813_162
.LBB813_160:                            ; =>This Inner Loop Header: Depth=1
	s_or_b32 s34, s34, exec_lo
	s_cmp_eq_u64 s[6:7], s[18:19]
	s_cbranch_scc0 .LBB813_158
; %bb.161:                              ;   in Loop: Header=BB813_160 Depth=1
	s_mov_b64 s[18:19], s[22:23]
                                        ; implicit-def: $vgpr17_vgpr18
                                        ; implicit-def: $vgpr19_vgpr20
	s_branch .LBB813_159
.LBB813_162:
	s_set_inst_prefetch_distance 0x2
	s_or_b32 exec_lo, exec_lo, s33
	v_cmp_gt_i64_e32 vcc_lo, s[22:23], v[21:22]
	s_or_not1_b32 s2, vcc_lo, exec_lo
.LBB813_163:
	s_or_b32 exec_lo, exec_lo, s30
.LBB813_164:
	s_delay_alu instid0(SALU_CYCLE_1)
	s_and_b32 s30, s2, exec_lo
.LBB813_165:
	s_or_b32 exec_lo, exec_lo, s31
	v_or_b32_e32 v17, 1, v39
	s_mov_b32 s2, 0
	s_mov_b32 s31, exec_lo
	s_delay_alu instid0(VALU_DEP_1)
	v_cmpx_gt_u32_e64 s20, v17
	s_cbranch_execz .LBB813_176
; %bb.166:
	v_cmp_ne_u32_e32 vcc_lo, 1, v25
	s_cbranch_vccnz .LBB813_175
; %bb.167:
	v_mul_lo_u32 v21, v14, s22
	v_mul_lo_u32 v22, v13, s23
	v_mad_u64_u32 v[17:18], null, v13, s22, 0
	v_mul_lo_u32 v23, v16, s22
	v_mul_lo_u32 v24, v15, s23
	s_waitcnt lgkmcnt(0)
	v_mad_u64_u32 v[19:20], null, v15, s22, 0
	s_mov_b32 s2, -1
	s_mov_b32 s33, exec_lo
	s_delay_alu instid0(VALU_DEP_4) | instskip(NEXT) | instid1(VALU_DEP_2)
	v_add3_u32 v18, v18, v22, v21
	v_add3_u32 v20, v20, v24, v23
	s_delay_alu instid0(VALU_DEP_2) | instskip(NEXT) | instid1(VALU_DEP_2)
	v_lshlrev_b64 v[17:18], 3, v[17:18]
	v_lshlrev_b64 v[21:22], 3, v[19:20]
	s_delay_alu instid0(VALU_DEP_2) | instskip(NEXT) | instid1(VALU_DEP_3)
	v_add_co_u32 v19, vcc_lo, s8, v17
	v_add_co_ci_u32_e32 v20, vcc_lo, s9, v18, vcc_lo
	s_delay_alu instid0(VALU_DEP_3) | instskip(NEXT) | instid1(VALU_DEP_4)
	v_add_co_u32 v17, vcc_lo, s8, v21
	v_add_co_ci_u32_e32 v18, vcc_lo, s9, v22, vcc_lo
	s_clause 0x1
	global_load_b64 v[21:22], v[19:20], off
	global_load_b64 v[23:24], v[17:18], off
	s_waitcnt vmcnt(0)
	v_cmpx_eq_f64_e32 v[21:22], v[23:24]
	s_cbranch_execz .LBB813_174
; %bb.168:
	v_add_co_u32 v17, vcc_lo, v17, 8
	v_add_co_ci_u32_e32 v18, vcc_lo, 0, v18, vcc_lo
	v_add_co_u32 v19, vcc_lo, v19, 8
	v_add_co_ci_u32_e32 v20, vcc_lo, 0, v20, vcc_lo
	s_add_u32 s6, s22, -1
	s_addc_u32 s7, s23, -1
	s_mov_b64 s[18:19], 0
	s_mov_b32 s34, 0
                                        ; implicit-def: $sgpr35
	s_set_inst_prefetch_distance 0x1
	s_branch .LBB813_171
	.p2align	6
.LBB813_169:                            ;   in Loop: Header=BB813_171 Depth=1
	global_load_b64 v[21:22], v[19:20], off
	global_load_b64 v[23:24], v[17:18], off
	v_add_co_u32 v17, s2, v17, 8
	s_delay_alu instid0(VALU_DEP_1) | instskip(SKIP_1) | instid1(VALU_DEP_1)
	v_add_co_ci_u32_e64 v18, s2, 0, v18, s2
	v_add_co_u32 v19, s2, v19, 8
	v_add_co_ci_u32_e64 v20, s2, 0, v20, s2
	s_add_u32 s18, s18, 1
	s_addc_u32 s19, s19, 0
	s_and_not1_b32 s2, s35, exec_lo
	s_waitcnt vmcnt(0)
	v_cmp_neq_f64_e32 vcc_lo, v[21:22], v[23:24]
	s_and_b32 s35, vcc_lo, exec_lo
	s_delay_alu instid0(SALU_CYCLE_1)
	s_or_b32 s35, s2, s35
.LBB813_170:                            ;   in Loop: Header=BB813_171 Depth=1
	v_dual_mov_b32 v22, s19 :: v_dual_mov_b32 v21, s18
	s_and_b32 s2, exec_lo, s35
	s_delay_alu instid0(SALU_CYCLE_1) | instskip(NEXT) | instid1(SALU_CYCLE_1)
	s_or_b32 s34, s2, s34
	s_and_not1_b32 exec_lo, exec_lo, s34
	s_cbranch_execz .LBB813_173
.LBB813_171:                            ; =>This Inner Loop Header: Depth=1
	s_or_b32 s35, s35, exec_lo
	s_cmp_eq_u64 s[6:7], s[18:19]
	s_cbranch_scc0 .LBB813_169
; %bb.172:                              ;   in Loop: Header=BB813_171 Depth=1
	s_mov_b64 s[18:19], s[22:23]
                                        ; implicit-def: $vgpr17_vgpr18
                                        ; implicit-def: $vgpr19_vgpr20
	s_branch .LBB813_170
.LBB813_173:
	s_set_inst_prefetch_distance 0x2
	s_or_b32 exec_lo, exec_lo, s34
	v_cmp_gt_i64_e32 vcc_lo, s[22:23], v[21:22]
	s_or_not1_b32 s2, vcc_lo, exec_lo
.LBB813_174:
	s_or_b32 exec_lo, exec_lo, s33
.LBB813_175:
	s_delay_alu instid0(SALU_CYCLE_1)
	s_and_b32 s2, s2, exec_lo
.LBB813_176:
	s_or_b32 exec_lo, exec_lo, s31
	s_waitcnt lgkmcnt(0)
	v_dual_mov_b32 v18, s5 :: v_dual_mov_b32 v17, s4
	s_mov_b32 s4, exec_lo
	s_barrier
	buffer_gl0_inv
	v_cmpx_ne_u32_e32 0, v0
	s_cbranch_execz .LBB813_178
; %bb.177:
	v_add_nc_u32_e32 v17, -8, v39
	ds_load_b64 v[17:18], v17
.LBB813_178:
	s_or_b32 exec_lo, exec_lo, s4
	v_cndmask_b32_e64 v20, 0, 1, s29
	v_cndmask_b32_e64 v22, 0, 1, s26
	;; [unrolled: 1-line block ×7, first 2 shown]
	v_lshlrev_b16 v20, 8, v20
	v_lshlrev_b16 v22, 8, v22
	;; [unrolled: 1-line block ×3, first 2 shown]
	s_mov_b32 s2, 0
	v_lshlrev_b16 v26, 8, v26
	v_or_b32_e32 v19, v19, v20
	v_or_b32_e32 v20, v21, v22
	;; [unrolled: 1-line block ×3, first 2 shown]
	s_mov_b32 s3, exec_lo
	v_and_b32_e32 v23, 0xffff, v26
	v_lshlrev_b32_e32 v24, 16, v19
	v_and_b32_e32 v26, 0xffff, v20
	v_lshlrev_b32_e32 v27, 16, v21
	v_cmpx_gt_u32_e64 s20, v39
	s_cbranch_execz .LBB813_189
; %bb.179:
	v_cmp_ne_u32_e32 vcc_lo, 1, v25
	s_cbranch_vccnz .LBB813_188
; %bb.180:
	s_waitcnt lgkmcnt(0)
	v_mul_lo_u32 v22, v18, s22
	v_mul_lo_u32 v25, v17, s23
	v_mad_u64_u32 v[18:19], null, v17, s22, 0
	v_mul_lo_u32 v17, v14, s22
	v_mul_lo_u32 v28, v13, s23
	v_mad_u64_u32 v[20:21], null, v13, s22, 0
	s_mov_b32 s2, -1
	s_mov_b32 s18, exec_lo
	s_delay_alu instid0(VALU_DEP_4) | instskip(NEXT) | instid1(VALU_DEP_2)
	v_add3_u32 v19, v19, v25, v22
	v_add3_u32 v21, v21, v28, v17
	s_delay_alu instid0(VALU_DEP_2) | instskip(NEXT) | instid1(VALU_DEP_2)
	v_lshlrev_b64 v[17:18], 3, v[18:19]
	v_lshlrev_b64 v[21:22], 3, v[20:21]
	s_delay_alu instid0(VALU_DEP_2) | instskip(NEXT) | instid1(VALU_DEP_3)
	v_add_co_u32 v19, vcc_lo, s8, v17
	v_add_co_ci_u32_e32 v20, vcc_lo, s9, v18, vcc_lo
	s_delay_alu instid0(VALU_DEP_3) | instskip(NEXT) | instid1(VALU_DEP_4)
	v_add_co_u32 v17, vcc_lo, s8, v21
	v_add_co_ci_u32_e32 v18, vcc_lo, s9, v22, vcc_lo
	s_clause 0x1
	global_load_b64 v[21:22], v[19:20], off
	global_load_b64 v[28:29], v[17:18], off
	s_waitcnt vmcnt(0)
	v_cmpx_eq_f64_e32 v[21:22], v[28:29]
	s_cbranch_execz .LBB813_187
; %bb.181:
	v_add_co_u32 v17, vcc_lo, v17, 8
	v_add_co_ci_u32_e32 v18, vcc_lo, 0, v18, vcc_lo
	v_add_co_u32 v19, vcc_lo, v19, 8
	v_add_co_ci_u32_e32 v20, vcc_lo, 0, v20, vcc_lo
	s_add_u32 s4, s22, -1
	s_addc_u32 s5, s23, -1
	s_mov_b64 s[6:7], 0
	s_mov_b32 s19, 0
                                        ; implicit-def: $sgpr26
	s_set_inst_prefetch_distance 0x1
	s_branch .LBB813_184
	.p2align	6
.LBB813_182:                            ;   in Loop: Header=BB813_184 Depth=1
	global_load_b64 v[21:22], v[19:20], off
	global_load_b64 v[28:29], v[17:18], off
	v_add_co_u32 v17, s2, v17, 8
	s_delay_alu instid0(VALU_DEP_1) | instskip(SKIP_1) | instid1(VALU_DEP_1)
	v_add_co_ci_u32_e64 v18, s2, 0, v18, s2
	v_add_co_u32 v19, s2, v19, 8
	v_add_co_ci_u32_e64 v20, s2, 0, v20, s2
	s_add_u32 s6, s6, 1
	s_addc_u32 s7, s7, 0
	s_and_not1_b32 s2, s26, exec_lo
	s_waitcnt vmcnt(0)
	v_cmp_neq_f64_e32 vcc_lo, v[21:22], v[28:29]
	s_and_b32 s26, vcc_lo, exec_lo
	s_delay_alu instid0(SALU_CYCLE_1)
	s_or_b32 s26, s2, s26
.LBB813_183:                            ;   in Loop: Header=BB813_184 Depth=1
	v_dual_mov_b32 v22, s7 :: v_dual_mov_b32 v21, s6
	s_and_b32 s2, exec_lo, s26
	s_delay_alu instid0(SALU_CYCLE_1) | instskip(NEXT) | instid1(SALU_CYCLE_1)
	s_or_b32 s19, s2, s19
	s_and_not1_b32 exec_lo, exec_lo, s19
	s_cbranch_execz .LBB813_186
.LBB813_184:                            ; =>This Inner Loop Header: Depth=1
	s_or_b32 s26, s26, exec_lo
	s_cmp_eq_u64 s[4:5], s[6:7]
	s_cbranch_scc0 .LBB813_182
; %bb.185:                              ;   in Loop: Header=BB813_184 Depth=1
	s_mov_b64 s[6:7], s[22:23]
                                        ; implicit-def: $vgpr17_vgpr18
                                        ; implicit-def: $vgpr19_vgpr20
	s_branch .LBB813_183
.LBB813_186:
	s_set_inst_prefetch_distance 0x2
	s_or_b32 exec_lo, exec_lo, s19
	v_cmp_gt_i64_e32 vcc_lo, s[22:23], v[21:22]
	s_or_not1_b32 s2, vcc_lo, exec_lo
.LBB813_187:
	s_or_b32 exec_lo, exec_lo, s18
.LBB813_188:
	s_delay_alu instid0(SALU_CYCLE_1)
	s_and_b32 s2, s2, exec_lo
.LBB813_189:
	s_or_b32 exec_lo, exec_lo, s3
	s_waitcnt lgkmcnt(0)
	v_or_b32_e32 v17, v23, v24
	v_or_b32_e32 v18, v26, v27
.LBB813_190:
	s_mov_b32 s18, -1
	s_cbranch_execnz .LBB813_359
.LBB813_191:
	v_cmp_gt_i64_e64 s3, s[22:23], 0
	s_and_b32 vcc_lo, exec_lo, s21
	ds_store_b64 v39, v[3:4]
	s_cbranch_vccz .LBB813_199
; %bb.192:
	s_waitcnt lgkmcnt(0)
	v_mul_lo_u32 v19, v2, s22
	v_mul_lo_u32 v20, v1, s23
	v_mad_u64_u32 v[17:18], null, v1, s22, 0
	s_mov_b32 s19, 0
	s_and_not1_b32 vcc_lo, exec_lo, s3
	s_mov_b32 s26, 0
	s_delay_alu instid0(VALU_DEP_1) | instskip(NEXT) | instid1(VALU_DEP_1)
	v_add3_u32 v18, v18, v20, v19
	v_lshlrev_b64 v[17:18], 3, v[17:18]
	s_cbranch_vccnz .LBB813_202
; %bb.193:
	v_mul_lo_u32 v21, v4, s22
	v_mul_lo_u32 v22, v3, s23
	v_mad_u64_u32 v[19:20], null, v3, s22, 0
	s_mov_b32 s26, -1
	s_mov_b32 s27, exec_lo
	s_delay_alu instid0(VALU_DEP_1) | instskip(SKIP_2) | instid1(VALU_DEP_3)
	v_add3_u32 v20, v20, v22, v21
	v_add_co_u32 v21, vcc_lo, s8, v17
	v_add_co_ci_u32_e32 v22, vcc_lo, s9, v18, vcc_lo
	v_lshlrev_b64 v[19:20], 3, v[19:20]
	s_delay_alu instid0(VALU_DEP_1) | instskip(NEXT) | instid1(VALU_DEP_2)
	v_add_co_u32 v19, vcc_lo, s8, v19
	v_add_co_ci_u32_e32 v20, vcc_lo, s9, v20, vcc_lo
	s_clause 0x1
	global_load_b64 v[23:24], v[21:22], off
	global_load_b64 v[25:26], v[19:20], off
	s_waitcnt vmcnt(0)
	v_cmpx_eq_f64_e32 v[23:24], v[25:26]
	s_cbranch_execz .LBB813_201
; %bb.194:
	v_add_co_u32 v19, vcc_lo, v19, 8
	v_add_co_ci_u32_e32 v20, vcc_lo, 0, v20, vcc_lo
	v_add_co_u32 v21, vcc_lo, v21, 8
	v_add_co_ci_u32_e32 v22, vcc_lo, 0, v22, vcc_lo
	s_add_u32 s4, s22, -1
	s_addc_u32 s5, s23, -1
	s_mov_b64 s[6:7], 0
	s_mov_b32 s26, 0
                                        ; implicit-def: $sgpr28
	s_set_inst_prefetch_distance 0x1
	s_branch .LBB813_197
	.p2align	6
.LBB813_195:                            ;   in Loop: Header=BB813_197 Depth=1
	global_load_b64 v[23:24], v[21:22], off
	global_load_b64 v[25:26], v[19:20], off
	v_add_co_u32 v19, s2, v19, 8
	s_delay_alu instid0(VALU_DEP_1) | instskip(SKIP_1) | instid1(VALU_DEP_1)
	v_add_co_ci_u32_e64 v20, s2, 0, v20, s2
	v_add_co_u32 v21, s2, v21, 8
	v_add_co_ci_u32_e64 v22, s2, 0, v22, s2
	s_add_u32 s6, s6, 1
	s_addc_u32 s7, s7, 0
	s_and_not1_b32 s2, s28, exec_lo
	s_waitcnt vmcnt(0)
	v_cmp_neq_f64_e32 vcc_lo, v[23:24], v[25:26]
	s_and_b32 s28, vcc_lo, exec_lo
	s_delay_alu instid0(SALU_CYCLE_1)
	s_or_b32 s28, s2, s28
.LBB813_196:                            ;   in Loop: Header=BB813_197 Depth=1
	v_dual_mov_b32 v24, s7 :: v_dual_mov_b32 v23, s6
	s_and_b32 s2, exec_lo, s28
	s_delay_alu instid0(SALU_CYCLE_1) | instskip(NEXT) | instid1(SALU_CYCLE_1)
	s_or_b32 s26, s2, s26
	s_and_not1_b32 exec_lo, exec_lo, s26
	s_cbranch_execz .LBB813_200
.LBB813_197:                            ; =>This Inner Loop Header: Depth=1
	s_or_b32 s28, s28, exec_lo
	s_cmp_eq_u64 s[4:5], s[6:7]
	s_cbranch_scc0 .LBB813_195
; %bb.198:                              ;   in Loop: Header=BB813_197 Depth=1
	s_mov_b64 s[6:7], s[22:23]
                                        ; implicit-def: $vgpr19_vgpr20
                                        ; implicit-def: $vgpr21_vgpr22
	s_branch .LBB813_196
.LBB813_199:
	s_waitcnt lgkmcnt(0)
                                        ; implicit-def: $sgpr2
                                        ; implicit-def: $vgpr18
	s_cbranch_execnz .LBB813_268
	s_branch .LBB813_359
.LBB813_200:
	s_set_inst_prefetch_distance 0x2
	s_or_b32 exec_lo, exec_lo, s26
	v_cmp_gt_i64_e32 vcc_lo, s[22:23], v[23:24]
	s_or_not1_b32 s26, vcc_lo, exec_lo
.LBB813_201:
	s_or_b32 exec_lo, exec_lo, s27
.LBB813_202:
	v_mul_lo_u32 v21, v8, s22
	v_mul_lo_u32 v22, v7, s23
	v_mad_u64_u32 v[19:20], null, v7, s22, 0
	s_and_not1_b32 vcc_lo, exec_lo, s3
	s_delay_alu instid0(VALU_DEP_1) | instskip(NEXT) | instid1(VALU_DEP_1)
	v_add3_u32 v20, v20, v22, v21
	v_lshlrev_b64 v[19:20], 3, v[19:20]
	s_cbranch_vccnz .LBB813_211
; %bb.203:
	s_delay_alu instid0(VALU_DEP_1) | instskip(NEXT) | instid1(VALU_DEP_2)
	v_add_co_u32 v21, vcc_lo, s8, v19
	v_add_co_ci_u32_e32 v22, vcc_lo, s9, v20, vcc_lo
	v_add_co_u32 v17, vcc_lo, s8, v17
	v_add_co_ci_u32_e32 v18, vcc_lo, s9, v18, vcc_lo
	s_mov_b32 s19, -1
	s_clause 0x1
	global_load_b64 v[23:24], v[21:22], off
	global_load_b64 v[25:26], v[17:18], off
	s_mov_b32 s27, exec_lo
	s_waitcnt vmcnt(0)
	v_cmpx_eq_f64_e32 v[23:24], v[25:26]
	s_cbranch_execz .LBB813_210
; %bb.204:
	v_add_co_u32 v17, vcc_lo, v17, 8
	v_add_co_ci_u32_e32 v18, vcc_lo, 0, v18, vcc_lo
	v_add_co_u32 v21, vcc_lo, v21, 8
	v_add_co_ci_u32_e32 v22, vcc_lo, 0, v22, vcc_lo
	s_add_u32 s4, s22, -1
	s_addc_u32 s5, s23, -1
	s_mov_b64 s[6:7], 0
	s_mov_b32 s19, 0
                                        ; implicit-def: $sgpr28
	s_set_inst_prefetch_distance 0x1
	s_branch .LBB813_207
	.p2align	6
.LBB813_205:                            ;   in Loop: Header=BB813_207 Depth=1
	global_load_b64 v[23:24], v[21:22], off
	global_load_b64 v[25:26], v[17:18], off
	v_add_co_u32 v17, s2, v17, 8
	s_delay_alu instid0(VALU_DEP_1) | instskip(SKIP_1) | instid1(VALU_DEP_1)
	v_add_co_ci_u32_e64 v18, s2, 0, v18, s2
	v_add_co_u32 v21, s2, v21, 8
	v_add_co_ci_u32_e64 v22, s2, 0, v22, s2
	s_add_u32 s6, s6, 1
	s_addc_u32 s7, s7, 0
	s_and_not1_b32 s2, s28, exec_lo
	s_waitcnt vmcnt(0)
	v_cmp_neq_f64_e32 vcc_lo, v[23:24], v[25:26]
	s_and_b32 s28, vcc_lo, exec_lo
	s_delay_alu instid0(SALU_CYCLE_1)
	s_or_b32 s28, s2, s28
.LBB813_206:                            ;   in Loop: Header=BB813_207 Depth=1
	v_dual_mov_b32 v24, s7 :: v_dual_mov_b32 v23, s6
	s_and_b32 s2, exec_lo, s28
	s_delay_alu instid0(SALU_CYCLE_1) | instskip(NEXT) | instid1(SALU_CYCLE_1)
	s_or_b32 s19, s2, s19
	s_and_not1_b32 exec_lo, exec_lo, s19
	s_cbranch_execz .LBB813_209
.LBB813_207:                            ; =>This Inner Loop Header: Depth=1
	s_or_b32 s28, s28, exec_lo
	s_cmp_eq_u64 s[4:5], s[6:7]
	s_cbranch_scc0 .LBB813_205
; %bb.208:                              ;   in Loop: Header=BB813_207 Depth=1
	s_mov_b64 s[6:7], s[22:23]
                                        ; implicit-def: $vgpr17_vgpr18
                                        ; implicit-def: $vgpr21_vgpr22
	s_branch .LBB813_206
.LBB813_209:
	s_set_inst_prefetch_distance 0x2
	s_or_b32 exec_lo, exec_lo, s19
	v_cmp_gt_i64_e32 vcc_lo, s[22:23], v[23:24]
	s_or_not1_b32 s19, vcc_lo, exec_lo
.LBB813_210:
	s_or_b32 exec_lo, exec_lo, s27
.LBB813_211:
	v_mul_lo_u32 v21, v6, s22
	v_mul_lo_u32 v22, v5, s23
	v_mad_u64_u32 v[17:18], null, v5, s22, 0
	s_mov_b32 s27, 0
	s_and_not1_b32 vcc_lo, exec_lo, s3
	s_mov_b32 s28, 0
	s_delay_alu instid0(VALU_DEP_1) | instskip(NEXT) | instid1(VALU_DEP_1)
	v_add3_u32 v18, v18, v22, v21
	v_lshlrev_b64 v[21:22], 3, v[17:18]
	s_cbranch_vccnz .LBB813_220
; %bb.212:
	s_delay_alu instid0(VALU_DEP_1) | instskip(NEXT) | instid1(VALU_DEP_2)
	v_add_co_u32 v23, vcc_lo, s8, v21
	v_add_co_ci_u32_e32 v24, vcc_lo, s9, v22, vcc_lo
	v_add_co_u32 v17, vcc_lo, s8, v19
	v_add_co_ci_u32_e32 v18, vcc_lo, s9, v20, vcc_lo
	s_mov_b32 s28, -1
	s_clause 0x1
	global_load_b64 v[19:20], v[23:24], off
	global_load_b64 v[25:26], v[17:18], off
	s_mov_b32 s29, exec_lo
	s_waitcnt vmcnt(0)
	v_cmpx_eq_f64_e32 v[19:20], v[25:26]
	s_cbranch_execz .LBB813_219
; %bb.213:
	v_add_co_u32 v17, vcc_lo, v17, 8
	v_add_co_ci_u32_e32 v18, vcc_lo, 0, v18, vcc_lo
	v_add_co_u32 v19, vcc_lo, v23, 8
	v_add_co_ci_u32_e32 v20, vcc_lo, 0, v24, vcc_lo
	s_add_u32 s4, s22, -1
	s_addc_u32 s5, s23, -1
	s_mov_b64 s[6:7], 0
	s_mov_b32 s28, 0
                                        ; implicit-def: $sgpr30
	s_set_inst_prefetch_distance 0x1
	s_branch .LBB813_216
	.p2align	6
.LBB813_214:                            ;   in Loop: Header=BB813_216 Depth=1
	global_load_b64 v[23:24], v[19:20], off
	global_load_b64 v[25:26], v[17:18], off
	v_add_co_u32 v17, s2, v17, 8
	s_delay_alu instid0(VALU_DEP_1) | instskip(SKIP_1) | instid1(VALU_DEP_1)
	v_add_co_ci_u32_e64 v18, s2, 0, v18, s2
	v_add_co_u32 v19, s2, v19, 8
	v_add_co_ci_u32_e64 v20, s2, 0, v20, s2
	s_add_u32 s6, s6, 1
	s_addc_u32 s7, s7, 0
	s_and_not1_b32 s2, s30, exec_lo
	s_waitcnt vmcnt(0)
	v_cmp_neq_f64_e32 vcc_lo, v[23:24], v[25:26]
	s_and_b32 s30, vcc_lo, exec_lo
	s_delay_alu instid0(SALU_CYCLE_1)
	s_or_b32 s30, s2, s30
.LBB813_215:                            ;   in Loop: Header=BB813_216 Depth=1
	v_dual_mov_b32 v24, s7 :: v_dual_mov_b32 v23, s6
	s_and_b32 s2, exec_lo, s30
	s_delay_alu instid0(SALU_CYCLE_1) | instskip(NEXT) | instid1(SALU_CYCLE_1)
	s_or_b32 s28, s2, s28
	s_and_not1_b32 exec_lo, exec_lo, s28
	s_cbranch_execz .LBB813_218
.LBB813_216:                            ; =>This Inner Loop Header: Depth=1
	s_or_b32 s30, s30, exec_lo
	s_cmp_eq_u64 s[4:5], s[6:7]
	s_cbranch_scc0 .LBB813_214
; %bb.217:                              ;   in Loop: Header=BB813_216 Depth=1
	s_mov_b64 s[6:7], s[22:23]
                                        ; implicit-def: $vgpr17_vgpr18
                                        ; implicit-def: $vgpr19_vgpr20
	s_branch .LBB813_215
.LBB813_218:
	s_set_inst_prefetch_distance 0x2
	s_or_b32 exec_lo, exec_lo, s28
	v_cmp_gt_i64_e32 vcc_lo, s[22:23], v[23:24]
	s_or_not1_b32 s28, vcc_lo, exec_lo
.LBB813_219:
	s_or_b32 exec_lo, exec_lo, s29
.LBB813_220:
	v_mul_lo_u32 v19, v12, s22
	v_mul_lo_u32 v20, v11, s23
	v_mad_u64_u32 v[17:18], null, v11, s22, 0
	s_and_not1_b32 vcc_lo, exec_lo, s3
	s_delay_alu instid0(VALU_DEP_1) | instskip(NEXT) | instid1(VALU_DEP_1)
	v_add3_u32 v18, v18, v20, v19
	v_lshlrev_b64 v[17:18], 3, v[17:18]
	s_cbranch_vccnz .LBB813_229
; %bb.221:
	s_delay_alu instid0(VALU_DEP_1) | instskip(NEXT) | instid1(VALU_DEP_2)
	v_add_co_u32 v23, vcc_lo, s8, v17
	v_add_co_ci_u32_e32 v24, vcc_lo, s9, v18, vcc_lo
	v_add_co_u32 v19, vcc_lo, s8, v21
	v_add_co_ci_u32_e32 v20, vcc_lo, s9, v22, vcc_lo
	s_mov_b32 s27, -1
	s_clause 0x1
	global_load_b64 v[21:22], v[23:24], off
	global_load_b64 v[25:26], v[19:20], off
	s_mov_b32 s29, exec_lo
	s_waitcnt vmcnt(0)
	v_cmpx_eq_f64_e32 v[21:22], v[25:26]
	s_cbranch_execz .LBB813_228
; %bb.222:
	v_add_co_u32 v19, vcc_lo, v19, 8
	v_add_co_ci_u32_e32 v20, vcc_lo, 0, v20, vcc_lo
	v_add_co_u32 v21, vcc_lo, v23, 8
	v_add_co_ci_u32_e32 v22, vcc_lo, 0, v24, vcc_lo
	s_add_u32 s4, s22, -1
	s_addc_u32 s5, s23, -1
	s_mov_b64 s[6:7], 0
	s_mov_b32 s27, 0
                                        ; implicit-def: $sgpr30
	s_set_inst_prefetch_distance 0x1
	s_branch .LBB813_225
	.p2align	6
.LBB813_223:                            ;   in Loop: Header=BB813_225 Depth=1
	global_load_b64 v[23:24], v[21:22], off
	global_load_b64 v[25:26], v[19:20], off
	v_add_co_u32 v19, s2, v19, 8
	s_delay_alu instid0(VALU_DEP_1) | instskip(SKIP_1) | instid1(VALU_DEP_1)
	v_add_co_ci_u32_e64 v20, s2, 0, v20, s2
	v_add_co_u32 v21, s2, v21, 8
	v_add_co_ci_u32_e64 v22, s2, 0, v22, s2
	s_add_u32 s6, s6, 1
	s_addc_u32 s7, s7, 0
	s_and_not1_b32 s2, s30, exec_lo
	s_waitcnt vmcnt(0)
	v_cmp_neq_f64_e32 vcc_lo, v[23:24], v[25:26]
	s_and_b32 s30, vcc_lo, exec_lo
	s_delay_alu instid0(SALU_CYCLE_1)
	s_or_b32 s30, s2, s30
.LBB813_224:                            ;   in Loop: Header=BB813_225 Depth=1
	v_dual_mov_b32 v24, s7 :: v_dual_mov_b32 v23, s6
	s_and_b32 s2, exec_lo, s30
	s_delay_alu instid0(SALU_CYCLE_1) | instskip(NEXT) | instid1(SALU_CYCLE_1)
	s_or_b32 s27, s2, s27
	s_and_not1_b32 exec_lo, exec_lo, s27
	s_cbranch_execz .LBB813_227
.LBB813_225:                            ; =>This Inner Loop Header: Depth=1
	s_or_b32 s30, s30, exec_lo
	s_cmp_eq_u64 s[4:5], s[6:7]
	s_cbranch_scc0 .LBB813_223
; %bb.226:                              ;   in Loop: Header=BB813_225 Depth=1
	s_mov_b64 s[6:7], s[22:23]
                                        ; implicit-def: $vgpr19_vgpr20
                                        ; implicit-def: $vgpr21_vgpr22
	s_branch .LBB813_224
.LBB813_227:
	s_set_inst_prefetch_distance 0x2
	s_or_b32 exec_lo, exec_lo, s27
	v_cmp_gt_i64_e32 vcc_lo, s[22:23], v[23:24]
	s_or_not1_b32 s27, vcc_lo, exec_lo
.LBB813_228:
	s_or_b32 exec_lo, exec_lo, s29
.LBB813_229:
	v_mul_lo_u32 v21, v10, s22
	v_mul_lo_u32 v22, v9, s23
	v_mad_u64_u32 v[19:20], null, v9, s22, 0
	s_mov_b32 s29, 0
	s_and_not1_b32 vcc_lo, exec_lo, s3
	s_mov_b32 s30, 0
	s_delay_alu instid0(VALU_DEP_1) | instskip(NEXT) | instid1(VALU_DEP_1)
	v_add3_u32 v20, v20, v22, v21
	v_lshlrev_b64 v[19:20], 3, v[19:20]
	s_cbranch_vccnz .LBB813_238
; %bb.230:
	s_delay_alu instid0(VALU_DEP_1) | instskip(NEXT) | instid1(VALU_DEP_2)
	v_add_co_u32 v21, vcc_lo, s8, v19
	v_add_co_ci_u32_e32 v22, vcc_lo, s9, v20, vcc_lo
	v_add_co_u32 v17, vcc_lo, s8, v17
	v_add_co_ci_u32_e32 v18, vcc_lo, s9, v18, vcc_lo
	s_mov_b32 s30, -1
	s_clause 0x1
	global_load_b64 v[23:24], v[21:22], off
	global_load_b64 v[25:26], v[17:18], off
	s_mov_b32 s31, exec_lo
	s_waitcnt vmcnt(0)
	v_cmpx_eq_f64_e32 v[23:24], v[25:26]
	s_cbranch_execz .LBB813_237
; %bb.231:
	v_add_co_u32 v17, vcc_lo, v17, 8
	v_add_co_ci_u32_e32 v18, vcc_lo, 0, v18, vcc_lo
	v_add_co_u32 v21, vcc_lo, v21, 8
	v_add_co_ci_u32_e32 v22, vcc_lo, 0, v22, vcc_lo
	s_add_u32 s4, s22, -1
	s_addc_u32 s5, s23, -1
	s_mov_b64 s[6:7], 0
	s_mov_b32 s30, 0
                                        ; implicit-def: $sgpr33
	s_set_inst_prefetch_distance 0x1
	s_branch .LBB813_234
	.p2align	6
.LBB813_232:                            ;   in Loop: Header=BB813_234 Depth=1
	global_load_b64 v[23:24], v[21:22], off
	global_load_b64 v[25:26], v[17:18], off
	v_add_co_u32 v17, s2, v17, 8
	s_delay_alu instid0(VALU_DEP_1) | instskip(SKIP_1) | instid1(VALU_DEP_1)
	v_add_co_ci_u32_e64 v18, s2, 0, v18, s2
	v_add_co_u32 v21, s2, v21, 8
	v_add_co_ci_u32_e64 v22, s2, 0, v22, s2
	s_add_u32 s6, s6, 1
	s_addc_u32 s7, s7, 0
	s_and_not1_b32 s2, s33, exec_lo
	s_waitcnt vmcnt(0)
	v_cmp_neq_f64_e32 vcc_lo, v[23:24], v[25:26]
	s_and_b32 s33, vcc_lo, exec_lo
	s_delay_alu instid0(SALU_CYCLE_1)
	s_or_b32 s33, s2, s33
.LBB813_233:                            ;   in Loop: Header=BB813_234 Depth=1
	v_dual_mov_b32 v24, s7 :: v_dual_mov_b32 v23, s6
	s_and_b32 s2, exec_lo, s33
	s_delay_alu instid0(SALU_CYCLE_1) | instskip(NEXT) | instid1(SALU_CYCLE_1)
	s_or_b32 s30, s2, s30
	s_and_not1_b32 exec_lo, exec_lo, s30
	s_cbranch_execz .LBB813_236
.LBB813_234:                            ; =>This Inner Loop Header: Depth=1
	s_or_b32 s33, s33, exec_lo
	s_cmp_eq_u64 s[4:5], s[6:7]
	s_cbranch_scc0 .LBB813_232
; %bb.235:                              ;   in Loop: Header=BB813_234 Depth=1
	s_mov_b64 s[6:7], s[22:23]
                                        ; implicit-def: $vgpr17_vgpr18
                                        ; implicit-def: $vgpr21_vgpr22
	s_branch .LBB813_233
.LBB813_236:
	s_set_inst_prefetch_distance 0x2
	s_or_b32 exec_lo, exec_lo, s30
	v_cmp_gt_i64_e32 vcc_lo, s[22:23], v[23:24]
	s_or_not1_b32 s30, vcc_lo, exec_lo
.LBB813_237:
	s_or_b32 exec_lo, exec_lo, s31
.LBB813_238:
	v_mul_lo_u32 v21, v16, s22
	v_mul_lo_u32 v22, v15, s23
	v_mad_u64_u32 v[17:18], null, v15, s22, 0
	s_and_not1_b32 vcc_lo, exec_lo, s3
	s_delay_alu instid0(VALU_DEP_1) | instskip(NEXT) | instid1(VALU_DEP_1)
	v_add3_u32 v18, v18, v22, v21
	v_lshlrev_b64 v[17:18], 3, v[17:18]
	s_cbranch_vccnz .LBB813_247
; %bb.239:
	s_delay_alu instid0(VALU_DEP_1) | instskip(NEXT) | instid1(VALU_DEP_2)
	v_add_co_u32 v21, vcc_lo, s8, v17
	v_add_co_ci_u32_e32 v22, vcc_lo, s9, v18, vcc_lo
	v_add_co_u32 v19, vcc_lo, s8, v19
	v_add_co_ci_u32_e32 v20, vcc_lo, s9, v20, vcc_lo
	s_mov_b32 s29, -1
	s_clause 0x1
	global_load_b64 v[23:24], v[21:22], off
	global_load_b64 v[25:26], v[19:20], off
	s_mov_b32 s31, exec_lo
	s_waitcnt vmcnt(0)
	v_cmpx_eq_f64_e32 v[23:24], v[25:26]
	s_cbranch_execz .LBB813_246
; %bb.240:
	v_add_co_u32 v19, vcc_lo, v19, 8
	v_add_co_ci_u32_e32 v20, vcc_lo, 0, v20, vcc_lo
	v_add_co_u32 v21, vcc_lo, v21, 8
	v_add_co_ci_u32_e32 v22, vcc_lo, 0, v22, vcc_lo
	s_add_u32 s4, s22, -1
	s_addc_u32 s5, s23, -1
	s_mov_b64 s[6:7], 0
	s_mov_b32 s29, 0
                                        ; implicit-def: $sgpr33
	s_set_inst_prefetch_distance 0x1
	s_branch .LBB813_243
	.p2align	6
.LBB813_241:                            ;   in Loop: Header=BB813_243 Depth=1
	global_load_b64 v[23:24], v[21:22], off
	global_load_b64 v[25:26], v[19:20], off
	v_add_co_u32 v19, s2, v19, 8
	s_delay_alu instid0(VALU_DEP_1) | instskip(SKIP_1) | instid1(VALU_DEP_1)
	v_add_co_ci_u32_e64 v20, s2, 0, v20, s2
	v_add_co_u32 v21, s2, v21, 8
	v_add_co_ci_u32_e64 v22, s2, 0, v22, s2
	s_add_u32 s6, s6, 1
	s_addc_u32 s7, s7, 0
	s_and_not1_b32 s2, s33, exec_lo
	s_waitcnt vmcnt(0)
	v_cmp_neq_f64_e32 vcc_lo, v[23:24], v[25:26]
	s_and_b32 s33, vcc_lo, exec_lo
	s_delay_alu instid0(SALU_CYCLE_1)
	s_or_b32 s33, s2, s33
.LBB813_242:                            ;   in Loop: Header=BB813_243 Depth=1
	v_dual_mov_b32 v24, s7 :: v_dual_mov_b32 v23, s6
	s_and_b32 s2, exec_lo, s33
	s_delay_alu instid0(SALU_CYCLE_1) | instskip(NEXT) | instid1(SALU_CYCLE_1)
	s_or_b32 s29, s2, s29
	s_and_not1_b32 exec_lo, exec_lo, s29
	s_cbranch_execz .LBB813_245
.LBB813_243:                            ; =>This Inner Loop Header: Depth=1
	s_or_b32 s33, s33, exec_lo
	s_cmp_eq_u64 s[4:5], s[6:7]
	s_cbranch_scc0 .LBB813_241
; %bb.244:                              ;   in Loop: Header=BB813_243 Depth=1
	s_mov_b64 s[6:7], s[22:23]
                                        ; implicit-def: $vgpr19_vgpr20
                                        ; implicit-def: $vgpr21_vgpr22
	s_branch .LBB813_242
.LBB813_245:
	s_set_inst_prefetch_distance 0x2
	s_or_b32 exec_lo, exec_lo, s29
	v_cmp_gt_i64_e32 vcc_lo, s[22:23], v[23:24]
	s_or_not1_b32 s29, vcc_lo, exec_lo
.LBB813_246:
	s_or_b32 exec_lo, exec_lo, s31
.LBB813_247:
	v_mul_lo_u32 v21, v14, s22
	v_mul_lo_u32 v22, v13, s23
	v_mad_u64_u32 v[19:20], null, v13, s22, 0
	s_and_not1_b32 vcc_lo, exec_lo, s3
	s_mov_b32 s2, 0
	s_delay_alu instid0(VALU_DEP_1)
	v_add3_u32 v20, v20, v22, v21
	s_cbranch_vccnz .LBB813_256
; %bb.248:
	s_delay_alu instid0(VALU_DEP_1) | instskip(SKIP_2) | instid1(VALU_DEP_1)
	v_lshlrev_b64 v[21:22], 3, v[19:20]
	s_mov_b32 s2, -1
	s_mov_b32 s31, exec_lo
	v_add_co_u32 v21, vcc_lo, s8, v21
	s_delay_alu instid0(VALU_DEP_2)
	v_add_co_ci_u32_e32 v22, vcc_lo, s9, v22, vcc_lo
	v_add_co_u32 v17, vcc_lo, s8, v17
	v_add_co_ci_u32_e32 v18, vcc_lo, s9, v18, vcc_lo
	s_clause 0x1
	global_load_b64 v[23:24], v[21:22], off
	global_load_b64 v[25:26], v[17:18], off
	s_waitcnt vmcnt(0)
	v_cmpx_eq_f64_e32 v[23:24], v[25:26]
	s_cbranch_execz .LBB813_255
; %bb.249:
	v_add_co_u32 v17, vcc_lo, v17, 8
	v_add_co_ci_u32_e32 v18, vcc_lo, 0, v18, vcc_lo
	v_add_co_u32 v21, vcc_lo, v21, 8
	v_add_co_ci_u32_e32 v22, vcc_lo, 0, v22, vcc_lo
	s_add_u32 s4, s22, -1
	s_addc_u32 s5, s23, -1
	s_mov_b64 s[6:7], 0
	s_mov_b32 s33, 0
                                        ; implicit-def: $sgpr34
	s_set_inst_prefetch_distance 0x1
	s_branch .LBB813_252
	.p2align	6
.LBB813_250:                            ;   in Loop: Header=BB813_252 Depth=1
	global_load_b64 v[23:24], v[21:22], off
	global_load_b64 v[25:26], v[17:18], off
	v_add_co_u32 v17, s2, v17, 8
	s_delay_alu instid0(VALU_DEP_1) | instskip(SKIP_1) | instid1(VALU_DEP_1)
	v_add_co_ci_u32_e64 v18, s2, 0, v18, s2
	v_add_co_u32 v21, s2, v21, 8
	v_add_co_ci_u32_e64 v22, s2, 0, v22, s2
	s_add_u32 s6, s6, 1
	s_addc_u32 s7, s7, 0
	s_and_not1_b32 s2, s34, exec_lo
	s_waitcnt vmcnt(0)
	v_cmp_neq_f64_e32 vcc_lo, v[23:24], v[25:26]
	s_and_b32 s34, vcc_lo, exec_lo
	s_delay_alu instid0(SALU_CYCLE_1)
	s_or_b32 s34, s2, s34
.LBB813_251:                            ;   in Loop: Header=BB813_252 Depth=1
	v_dual_mov_b32 v24, s7 :: v_dual_mov_b32 v23, s6
	s_and_b32 s2, exec_lo, s34
	s_delay_alu instid0(SALU_CYCLE_1) | instskip(NEXT) | instid1(SALU_CYCLE_1)
	s_or_b32 s33, s2, s33
	s_and_not1_b32 exec_lo, exec_lo, s33
	s_cbranch_execz .LBB813_254
.LBB813_252:                            ; =>This Inner Loop Header: Depth=1
	s_or_b32 s34, s34, exec_lo
	s_cmp_eq_u64 s[4:5], s[6:7]
	s_cbranch_scc0 .LBB813_250
; %bb.253:                              ;   in Loop: Header=BB813_252 Depth=1
	s_mov_b64 s[6:7], s[22:23]
                                        ; implicit-def: $vgpr17_vgpr18
                                        ; implicit-def: $vgpr21_vgpr22
	s_branch .LBB813_251
.LBB813_254:
	s_set_inst_prefetch_distance 0x2
	s_or_b32 exec_lo, exec_lo, s33
	v_cmp_gt_i64_e32 vcc_lo, s[22:23], v[23:24]
	s_or_not1_b32 s2, vcc_lo, exec_lo
.LBB813_255:
	s_or_b32 exec_lo, exec_lo, s31
.LBB813_256:
	v_cndmask_b32_e64 v18, 0, 1, s30
	v_cndmask_b32_e64 v21, 0, 1, s28
	;; [unrolled: 1-line block ×7, first 2 shown]
	v_lshlrev_b16 v21, 8, v21
	v_lshlrev_b16 v22, 8, v22
	;; [unrolled: 1-line block ×4, first 2 shown]
	s_delay_alu instid0(VALU_DEP_4) | instskip(NEXT) | instid1(VALU_DEP_4)
	v_or_b32_e32 v21, v24, v21
	v_or_b32_e32 v22, v25, v22
	s_delay_alu instid0(VALU_DEP_4) | instskip(NEXT) | instid1(VALU_DEP_4)
	v_or_b32_e32 v23, 1, v23
	v_or_b32_e32 v17, v17, v18
	s_barrier
	v_and_b32_e32 v18, 0xffff, v21
	v_lshlrev_b32_e32 v21, 16, v22
	v_and_b32_e32 v22, 0xffff, v23
	v_lshlrev_b32_e32 v17, 16, v17
	buffer_gl0_inv
                                        ; implicit-def: $sgpr2
	s_mov_b32 s4, exec_lo
	v_or_b32_e32 v18, v18, v21
	v_or_b32_e32 v17, v22, v17
	v_cmpx_ne_u32_e32 0, v0
	s_xor_b32 s19, exec_lo, s4
	s_cbranch_execz .LBB813_267
; %bb.257:
	s_and_not1_b32 vcc_lo, exec_lo, s3
	s_mov_b32 s2, 0
	s_cbranch_vccnz .LBB813_266
; %bb.258:
	v_add_nc_u32_e32 v21, -8, v39
	v_lshlrev_b64 v[19:20], 3, v[19:20]
	s_mov_b32 s2, -1
	s_mov_b32 s26, exec_lo
	ds_load_b64 v[21:22], v21
	s_waitcnt lgkmcnt(0)
	v_mul_lo_u32 v24, v22, s22
	v_mul_lo_u32 v25, v21, s23
	v_mad_u64_u32 v[22:23], null, v21, s22, 0
	s_delay_alu instid0(VALU_DEP_1) | instskip(NEXT) | instid1(VALU_DEP_1)
	v_add3_u32 v23, v23, v25, v24
	v_lshlrev_b64 v[21:22], 3, v[22:23]
	s_delay_alu instid0(VALU_DEP_1) | instskip(NEXT) | instid1(VALU_DEP_2)
	v_add_co_u32 v21, vcc_lo, s8, v21
	v_add_co_ci_u32_e32 v22, vcc_lo, s9, v22, vcc_lo
	v_add_co_u32 v19, vcc_lo, s8, v19
	v_add_co_ci_u32_e32 v20, vcc_lo, s9, v20, vcc_lo
	s_clause 0x1
	global_load_b64 v[23:24], v[21:22], off
	global_load_b64 v[25:26], v[19:20], off
	s_waitcnt vmcnt(0)
	v_cmpx_eq_f64_e32 v[23:24], v[25:26]
	s_cbranch_execz .LBB813_265
; %bb.259:
	v_add_co_u32 v19, vcc_lo, v19, 8
	v_add_co_ci_u32_e32 v20, vcc_lo, 0, v20, vcc_lo
	v_add_co_u32 v21, vcc_lo, v21, 8
	v_add_co_ci_u32_e32 v22, vcc_lo, 0, v22, vcc_lo
	s_add_u32 s4, s22, -1
	s_addc_u32 s5, s23, -1
	s_mov_b64 s[6:7], 0
	s_mov_b32 s27, 0
                                        ; implicit-def: $sgpr28
	s_set_inst_prefetch_distance 0x1
	s_branch .LBB813_262
	.p2align	6
.LBB813_260:                            ;   in Loop: Header=BB813_262 Depth=1
	global_load_b64 v[23:24], v[21:22], off
	global_load_b64 v[25:26], v[19:20], off
	v_add_co_u32 v19, s2, v19, 8
	s_delay_alu instid0(VALU_DEP_1) | instskip(SKIP_1) | instid1(VALU_DEP_1)
	v_add_co_ci_u32_e64 v20, s2, 0, v20, s2
	v_add_co_u32 v21, s2, v21, 8
	v_add_co_ci_u32_e64 v22, s2, 0, v22, s2
	s_add_u32 s6, s6, 1
	s_addc_u32 s7, s7, 0
	s_and_not1_b32 s2, s28, exec_lo
	s_waitcnt vmcnt(0)
	v_cmp_neq_f64_e32 vcc_lo, v[23:24], v[25:26]
	s_and_b32 s28, vcc_lo, exec_lo
	s_delay_alu instid0(SALU_CYCLE_1)
	s_or_b32 s28, s2, s28
.LBB813_261:                            ;   in Loop: Header=BB813_262 Depth=1
	v_dual_mov_b32 v24, s7 :: v_dual_mov_b32 v23, s6
	s_and_b32 s2, exec_lo, s28
	s_delay_alu instid0(SALU_CYCLE_1) | instskip(NEXT) | instid1(SALU_CYCLE_1)
	s_or_b32 s27, s2, s27
	s_and_not1_b32 exec_lo, exec_lo, s27
	s_cbranch_execz .LBB813_264
.LBB813_262:                            ; =>This Inner Loop Header: Depth=1
	s_or_b32 s28, s28, exec_lo
	s_cmp_eq_u64 s[4:5], s[6:7]
	s_cbranch_scc0 .LBB813_260
; %bb.263:                              ;   in Loop: Header=BB813_262 Depth=1
	s_mov_b64 s[6:7], s[22:23]
                                        ; implicit-def: $vgpr19_vgpr20
                                        ; implicit-def: $vgpr21_vgpr22
	s_branch .LBB813_261
.LBB813_264:
	s_set_inst_prefetch_distance 0x2
	s_or_b32 exec_lo, exec_lo, s27
	v_cmp_gt_i64_e32 vcc_lo, s[22:23], v[23:24]
	s_or_not1_b32 s2, vcc_lo, exec_lo
.LBB813_265:
	s_or_b32 exec_lo, exec_lo, s26
.LBB813_266:
	s_delay_alu instid0(SALU_CYCLE_1)
	s_and_b32 s2, s2, exec_lo
	s_or_b32 s18, s18, exec_lo
.LBB813_267:
	s_or_b32 exec_lo, exec_lo, s19
	s_branch .LBB813_359
.LBB813_268:
	v_or_b32_e32 v17, 7, v39
	s_mov_b32 s19, 0
	s_mov_b32 s26, 0
	s_mov_b32 s27, exec_lo
	s_delay_alu instid0(VALU_DEP_1)
	v_cmpx_gt_u32_e64 s20, v17
	s_cbranch_execz .LBB813_279
; %bb.269:
	s_and_not1_b32 vcc_lo, exec_lo, s3
	s_mov_b32 s2, 0
	s_cbranch_vccnz .LBB813_278
; %bb.270:
	v_mul_lo_u32 v21, v2, s22
	v_mul_lo_u32 v22, v1, s23
	v_mad_u64_u32 v[17:18], null, v1, s22, 0
	v_mul_lo_u32 v23, v4, s22
	v_mul_lo_u32 v24, v3, s23
	v_mad_u64_u32 v[19:20], null, v3, s22, 0
	s_mov_b32 s2, -1
	s_mov_b32 s26, exec_lo
	s_delay_alu instid0(VALU_DEP_4) | instskip(NEXT) | instid1(VALU_DEP_2)
	v_add3_u32 v18, v18, v22, v21
	v_add3_u32 v20, v20, v24, v23
	s_delay_alu instid0(VALU_DEP_2) | instskip(NEXT) | instid1(VALU_DEP_2)
	v_lshlrev_b64 v[17:18], 3, v[17:18]
	v_lshlrev_b64 v[21:22], 3, v[19:20]
	s_delay_alu instid0(VALU_DEP_2) | instskip(NEXT) | instid1(VALU_DEP_3)
	v_add_co_u32 v19, vcc_lo, s8, v17
	v_add_co_ci_u32_e32 v20, vcc_lo, s9, v18, vcc_lo
	s_delay_alu instid0(VALU_DEP_3) | instskip(NEXT) | instid1(VALU_DEP_4)
	v_add_co_u32 v17, vcc_lo, s8, v21
	v_add_co_ci_u32_e32 v18, vcc_lo, s9, v22, vcc_lo
	s_clause 0x1
	global_load_b64 v[21:22], v[19:20], off
	global_load_b64 v[23:24], v[17:18], off
	s_waitcnt vmcnt(0)
	v_cmpx_eq_f64_e32 v[21:22], v[23:24]
	s_cbranch_execz .LBB813_277
; %bb.271:
	v_add_co_u32 v17, vcc_lo, v17, 8
	v_add_co_ci_u32_e32 v18, vcc_lo, 0, v18, vcc_lo
	v_add_co_u32 v19, vcc_lo, v19, 8
	v_add_co_ci_u32_e32 v20, vcc_lo, 0, v20, vcc_lo
	s_add_u32 s4, s22, -1
	s_addc_u32 s5, s23, -1
	s_mov_b64 s[6:7], 0
	s_mov_b32 s28, 0
                                        ; implicit-def: $sgpr29
	s_set_inst_prefetch_distance 0x1
	s_branch .LBB813_274
	.p2align	6
.LBB813_272:                            ;   in Loop: Header=BB813_274 Depth=1
	global_load_b64 v[21:22], v[19:20], off
	global_load_b64 v[23:24], v[17:18], off
	v_add_co_u32 v17, s2, v17, 8
	s_delay_alu instid0(VALU_DEP_1) | instskip(SKIP_1) | instid1(VALU_DEP_1)
	v_add_co_ci_u32_e64 v18, s2, 0, v18, s2
	v_add_co_u32 v19, s2, v19, 8
	v_add_co_ci_u32_e64 v20, s2, 0, v20, s2
	s_add_u32 s6, s6, 1
	s_addc_u32 s7, s7, 0
	s_and_not1_b32 s2, s29, exec_lo
	s_waitcnt vmcnt(0)
	v_cmp_neq_f64_e32 vcc_lo, v[21:22], v[23:24]
	s_and_b32 s29, vcc_lo, exec_lo
	s_delay_alu instid0(SALU_CYCLE_1)
	s_or_b32 s29, s2, s29
.LBB813_273:                            ;   in Loop: Header=BB813_274 Depth=1
	v_dual_mov_b32 v22, s7 :: v_dual_mov_b32 v21, s6
	s_and_b32 s2, exec_lo, s29
	s_delay_alu instid0(SALU_CYCLE_1) | instskip(NEXT) | instid1(SALU_CYCLE_1)
	s_or_b32 s28, s2, s28
	s_and_not1_b32 exec_lo, exec_lo, s28
	s_cbranch_execz .LBB813_276
.LBB813_274:                            ; =>This Inner Loop Header: Depth=1
	s_or_b32 s29, s29, exec_lo
	s_cmp_eq_u64 s[4:5], s[6:7]
	s_cbranch_scc0 .LBB813_272
; %bb.275:                              ;   in Loop: Header=BB813_274 Depth=1
	s_mov_b64 s[6:7], s[22:23]
                                        ; implicit-def: $vgpr17_vgpr18
                                        ; implicit-def: $vgpr19_vgpr20
	s_branch .LBB813_273
.LBB813_276:
	s_set_inst_prefetch_distance 0x2
	s_or_b32 exec_lo, exec_lo, s28
	v_cmp_gt_i64_e32 vcc_lo, s[22:23], v[21:22]
	s_or_not1_b32 s2, vcc_lo, exec_lo
.LBB813_277:
	s_or_b32 exec_lo, exec_lo, s26
.LBB813_278:
	s_delay_alu instid0(SALU_CYCLE_1)
	s_and_b32 s26, s2, exec_lo
.LBB813_279:
	s_or_b32 exec_lo, exec_lo, s27
	v_or_b32_e32 v17, 6, v39
	s_mov_b32 s27, exec_lo
	s_delay_alu instid0(VALU_DEP_1)
	v_cmpx_gt_u32_e64 s20, v17
	s_cbranch_execz .LBB813_290
; %bb.280:
	s_and_not1_b32 vcc_lo, exec_lo, s3
	s_mov_b32 s2, 0
	s_cbranch_vccnz .LBB813_289
; %bb.281:
	v_mul_lo_u32 v21, v8, s22
	v_mul_lo_u32 v22, v7, s23
	v_mad_u64_u32 v[17:18], null, v7, s22, 0
	v_mul_lo_u32 v23, v2, s22
	v_mul_lo_u32 v24, v1, s23
	v_mad_u64_u32 v[19:20], null, v1, s22, 0
	s_mov_b32 s2, -1
	s_mov_b32 s19, exec_lo
	s_delay_alu instid0(VALU_DEP_4) | instskip(NEXT) | instid1(VALU_DEP_2)
	v_add3_u32 v18, v18, v22, v21
	v_add3_u32 v20, v20, v24, v23
	s_delay_alu instid0(VALU_DEP_2) | instskip(NEXT) | instid1(VALU_DEP_2)
	v_lshlrev_b64 v[17:18], 3, v[17:18]
	v_lshlrev_b64 v[21:22], 3, v[19:20]
	s_delay_alu instid0(VALU_DEP_2) | instskip(NEXT) | instid1(VALU_DEP_3)
	v_add_co_u32 v19, vcc_lo, s8, v17
	v_add_co_ci_u32_e32 v20, vcc_lo, s9, v18, vcc_lo
	s_delay_alu instid0(VALU_DEP_3) | instskip(NEXT) | instid1(VALU_DEP_4)
	v_add_co_u32 v17, vcc_lo, s8, v21
	v_add_co_ci_u32_e32 v18, vcc_lo, s9, v22, vcc_lo
	s_clause 0x1
	global_load_b64 v[21:22], v[19:20], off
	global_load_b64 v[23:24], v[17:18], off
	s_waitcnt vmcnt(0)
	v_cmpx_eq_f64_e32 v[21:22], v[23:24]
	s_cbranch_execz .LBB813_288
; %bb.282:
	v_add_co_u32 v17, vcc_lo, v17, 8
	v_add_co_ci_u32_e32 v18, vcc_lo, 0, v18, vcc_lo
	v_add_co_u32 v19, vcc_lo, v19, 8
	v_add_co_ci_u32_e32 v20, vcc_lo, 0, v20, vcc_lo
	s_add_u32 s4, s22, -1
	s_addc_u32 s5, s23, -1
	s_mov_b64 s[6:7], 0
	s_mov_b32 s28, 0
                                        ; implicit-def: $sgpr29
	s_set_inst_prefetch_distance 0x1
	s_branch .LBB813_285
	.p2align	6
.LBB813_283:                            ;   in Loop: Header=BB813_285 Depth=1
	global_load_b64 v[21:22], v[19:20], off
	global_load_b64 v[23:24], v[17:18], off
	v_add_co_u32 v17, s2, v17, 8
	s_delay_alu instid0(VALU_DEP_1) | instskip(SKIP_1) | instid1(VALU_DEP_1)
	v_add_co_ci_u32_e64 v18, s2, 0, v18, s2
	v_add_co_u32 v19, s2, v19, 8
	v_add_co_ci_u32_e64 v20, s2, 0, v20, s2
	s_add_u32 s6, s6, 1
	s_addc_u32 s7, s7, 0
	s_and_not1_b32 s2, s29, exec_lo
	s_waitcnt vmcnt(0)
	v_cmp_neq_f64_e32 vcc_lo, v[21:22], v[23:24]
	s_and_b32 s29, vcc_lo, exec_lo
	s_delay_alu instid0(SALU_CYCLE_1)
	s_or_b32 s29, s2, s29
.LBB813_284:                            ;   in Loop: Header=BB813_285 Depth=1
	v_dual_mov_b32 v22, s7 :: v_dual_mov_b32 v21, s6
	s_and_b32 s2, exec_lo, s29
	s_delay_alu instid0(SALU_CYCLE_1) | instskip(NEXT) | instid1(SALU_CYCLE_1)
	s_or_b32 s28, s2, s28
	s_and_not1_b32 exec_lo, exec_lo, s28
	s_cbranch_execz .LBB813_287
.LBB813_285:                            ; =>This Inner Loop Header: Depth=1
	s_or_b32 s29, s29, exec_lo
	s_cmp_eq_u64 s[4:5], s[6:7]
	s_cbranch_scc0 .LBB813_283
; %bb.286:                              ;   in Loop: Header=BB813_285 Depth=1
	s_mov_b64 s[6:7], s[22:23]
                                        ; implicit-def: $vgpr17_vgpr18
                                        ; implicit-def: $vgpr19_vgpr20
	s_branch .LBB813_284
.LBB813_287:
	s_set_inst_prefetch_distance 0x2
	s_or_b32 exec_lo, exec_lo, s28
	v_cmp_gt_i64_e32 vcc_lo, s[22:23], v[21:22]
	s_or_not1_b32 s2, vcc_lo, exec_lo
.LBB813_288:
	s_or_b32 exec_lo, exec_lo, s19
.LBB813_289:
	s_delay_alu instid0(SALU_CYCLE_1)
	s_and_b32 s19, s2, exec_lo
.LBB813_290:
	s_or_b32 exec_lo, exec_lo, s27
	v_or_b32_e32 v17, 5, v39
	s_mov_b32 s27, 0
	s_mov_b32 s28, 0
	s_mov_b32 s29, exec_lo
	s_delay_alu instid0(VALU_DEP_1)
	v_cmpx_gt_u32_e64 s20, v17
	s_cbranch_execz .LBB813_301
; %bb.291:
	s_and_not1_b32 vcc_lo, exec_lo, s3
	s_mov_b32 s2, 0
	s_cbranch_vccnz .LBB813_300
; %bb.292:
	v_mul_lo_u32 v21, v6, s22
	v_mul_lo_u32 v22, v5, s23
	v_mad_u64_u32 v[17:18], null, v5, s22, 0
	v_mul_lo_u32 v23, v8, s22
	v_mul_lo_u32 v24, v7, s23
	v_mad_u64_u32 v[19:20], null, v7, s22, 0
	s_mov_b32 s2, -1
	s_mov_b32 s28, exec_lo
	s_delay_alu instid0(VALU_DEP_4) | instskip(NEXT) | instid1(VALU_DEP_2)
	v_add3_u32 v18, v18, v22, v21
	v_add3_u32 v20, v20, v24, v23
	s_delay_alu instid0(VALU_DEP_2) | instskip(NEXT) | instid1(VALU_DEP_2)
	v_lshlrev_b64 v[17:18], 3, v[17:18]
	v_lshlrev_b64 v[21:22], 3, v[19:20]
	s_delay_alu instid0(VALU_DEP_2) | instskip(NEXT) | instid1(VALU_DEP_3)
	v_add_co_u32 v19, vcc_lo, s8, v17
	v_add_co_ci_u32_e32 v20, vcc_lo, s9, v18, vcc_lo
	s_delay_alu instid0(VALU_DEP_3) | instskip(NEXT) | instid1(VALU_DEP_4)
	v_add_co_u32 v17, vcc_lo, s8, v21
	v_add_co_ci_u32_e32 v18, vcc_lo, s9, v22, vcc_lo
	s_clause 0x1
	global_load_b64 v[21:22], v[19:20], off
	global_load_b64 v[23:24], v[17:18], off
	s_waitcnt vmcnt(0)
	v_cmpx_eq_f64_e32 v[21:22], v[23:24]
	s_cbranch_execz .LBB813_299
; %bb.293:
	v_add_co_u32 v17, vcc_lo, v17, 8
	v_add_co_ci_u32_e32 v18, vcc_lo, 0, v18, vcc_lo
	v_add_co_u32 v19, vcc_lo, v19, 8
	v_add_co_ci_u32_e32 v20, vcc_lo, 0, v20, vcc_lo
	s_add_u32 s4, s22, -1
	s_addc_u32 s5, s23, -1
	s_mov_b64 s[6:7], 0
	s_mov_b32 s30, 0
                                        ; implicit-def: $sgpr31
	s_set_inst_prefetch_distance 0x1
	s_branch .LBB813_296
	.p2align	6
.LBB813_294:                            ;   in Loop: Header=BB813_296 Depth=1
	global_load_b64 v[21:22], v[19:20], off
	global_load_b64 v[23:24], v[17:18], off
	v_add_co_u32 v17, s2, v17, 8
	s_delay_alu instid0(VALU_DEP_1) | instskip(SKIP_1) | instid1(VALU_DEP_1)
	v_add_co_ci_u32_e64 v18, s2, 0, v18, s2
	v_add_co_u32 v19, s2, v19, 8
	v_add_co_ci_u32_e64 v20, s2, 0, v20, s2
	s_add_u32 s6, s6, 1
	s_addc_u32 s7, s7, 0
	s_and_not1_b32 s2, s31, exec_lo
	s_waitcnt vmcnt(0)
	v_cmp_neq_f64_e32 vcc_lo, v[21:22], v[23:24]
	s_and_b32 s31, vcc_lo, exec_lo
	s_delay_alu instid0(SALU_CYCLE_1)
	s_or_b32 s31, s2, s31
.LBB813_295:                            ;   in Loop: Header=BB813_296 Depth=1
	v_dual_mov_b32 v22, s7 :: v_dual_mov_b32 v21, s6
	s_and_b32 s2, exec_lo, s31
	s_delay_alu instid0(SALU_CYCLE_1) | instskip(NEXT) | instid1(SALU_CYCLE_1)
	s_or_b32 s30, s2, s30
	s_and_not1_b32 exec_lo, exec_lo, s30
	s_cbranch_execz .LBB813_298
.LBB813_296:                            ; =>This Inner Loop Header: Depth=1
	s_or_b32 s31, s31, exec_lo
	s_cmp_eq_u64 s[4:5], s[6:7]
	s_cbranch_scc0 .LBB813_294
; %bb.297:                              ;   in Loop: Header=BB813_296 Depth=1
	s_mov_b64 s[6:7], s[22:23]
                                        ; implicit-def: $vgpr17_vgpr18
                                        ; implicit-def: $vgpr19_vgpr20
	s_branch .LBB813_295
.LBB813_298:
	s_set_inst_prefetch_distance 0x2
	s_or_b32 exec_lo, exec_lo, s30
	v_cmp_gt_i64_e32 vcc_lo, s[22:23], v[21:22]
	s_or_not1_b32 s2, vcc_lo, exec_lo
.LBB813_299:
	s_or_b32 exec_lo, exec_lo, s28
.LBB813_300:
	s_delay_alu instid0(SALU_CYCLE_1)
	s_and_b32 s28, s2, exec_lo
.LBB813_301:
	s_or_b32 exec_lo, exec_lo, s29
	v_or_b32_e32 v17, 4, v39
	s_mov_b32 s29, exec_lo
	s_delay_alu instid0(VALU_DEP_1)
	v_cmpx_gt_u32_e64 s20, v17
	s_cbranch_execz .LBB813_312
; %bb.302:
	s_and_not1_b32 vcc_lo, exec_lo, s3
	s_mov_b32 s2, 0
	s_cbranch_vccnz .LBB813_311
; %bb.303:
	v_mul_lo_u32 v21, v12, s22
	v_mul_lo_u32 v22, v11, s23
	v_mad_u64_u32 v[17:18], null, v11, s22, 0
	v_mul_lo_u32 v23, v6, s22
	v_mul_lo_u32 v24, v5, s23
	v_mad_u64_u32 v[19:20], null, v5, s22, 0
	s_mov_b32 s2, -1
	s_mov_b32 s27, exec_lo
	s_delay_alu instid0(VALU_DEP_4) | instskip(NEXT) | instid1(VALU_DEP_2)
	v_add3_u32 v18, v18, v22, v21
	v_add3_u32 v20, v20, v24, v23
	s_delay_alu instid0(VALU_DEP_2) | instskip(NEXT) | instid1(VALU_DEP_2)
	v_lshlrev_b64 v[17:18], 3, v[17:18]
	v_lshlrev_b64 v[21:22], 3, v[19:20]
	s_delay_alu instid0(VALU_DEP_2) | instskip(NEXT) | instid1(VALU_DEP_3)
	v_add_co_u32 v19, vcc_lo, s8, v17
	v_add_co_ci_u32_e32 v20, vcc_lo, s9, v18, vcc_lo
	s_delay_alu instid0(VALU_DEP_3) | instskip(NEXT) | instid1(VALU_DEP_4)
	v_add_co_u32 v17, vcc_lo, s8, v21
	v_add_co_ci_u32_e32 v18, vcc_lo, s9, v22, vcc_lo
	s_clause 0x1
	global_load_b64 v[21:22], v[19:20], off
	global_load_b64 v[23:24], v[17:18], off
	s_waitcnt vmcnt(0)
	v_cmpx_eq_f64_e32 v[21:22], v[23:24]
	s_cbranch_execz .LBB813_310
; %bb.304:
	v_add_co_u32 v17, vcc_lo, v17, 8
	v_add_co_ci_u32_e32 v18, vcc_lo, 0, v18, vcc_lo
	v_add_co_u32 v19, vcc_lo, v19, 8
	v_add_co_ci_u32_e32 v20, vcc_lo, 0, v20, vcc_lo
	s_add_u32 s4, s22, -1
	s_addc_u32 s5, s23, -1
	s_mov_b64 s[6:7], 0
	s_mov_b32 s30, 0
                                        ; implicit-def: $sgpr31
	s_set_inst_prefetch_distance 0x1
	s_branch .LBB813_307
	.p2align	6
.LBB813_305:                            ;   in Loop: Header=BB813_307 Depth=1
	global_load_b64 v[21:22], v[19:20], off
	global_load_b64 v[23:24], v[17:18], off
	v_add_co_u32 v17, s2, v17, 8
	s_delay_alu instid0(VALU_DEP_1) | instskip(SKIP_1) | instid1(VALU_DEP_1)
	v_add_co_ci_u32_e64 v18, s2, 0, v18, s2
	v_add_co_u32 v19, s2, v19, 8
	v_add_co_ci_u32_e64 v20, s2, 0, v20, s2
	s_add_u32 s6, s6, 1
	s_addc_u32 s7, s7, 0
	s_and_not1_b32 s2, s31, exec_lo
	s_waitcnt vmcnt(0)
	v_cmp_neq_f64_e32 vcc_lo, v[21:22], v[23:24]
	s_and_b32 s31, vcc_lo, exec_lo
	s_delay_alu instid0(SALU_CYCLE_1)
	s_or_b32 s31, s2, s31
.LBB813_306:                            ;   in Loop: Header=BB813_307 Depth=1
	v_dual_mov_b32 v22, s7 :: v_dual_mov_b32 v21, s6
	s_and_b32 s2, exec_lo, s31
	s_delay_alu instid0(SALU_CYCLE_1) | instskip(NEXT) | instid1(SALU_CYCLE_1)
	s_or_b32 s30, s2, s30
	s_and_not1_b32 exec_lo, exec_lo, s30
	s_cbranch_execz .LBB813_309
.LBB813_307:                            ; =>This Inner Loop Header: Depth=1
	s_or_b32 s31, s31, exec_lo
	s_cmp_eq_u64 s[4:5], s[6:7]
	s_cbranch_scc0 .LBB813_305
; %bb.308:                              ;   in Loop: Header=BB813_307 Depth=1
	s_mov_b64 s[6:7], s[22:23]
                                        ; implicit-def: $vgpr17_vgpr18
                                        ; implicit-def: $vgpr19_vgpr20
	s_branch .LBB813_306
.LBB813_309:
	s_set_inst_prefetch_distance 0x2
	s_or_b32 exec_lo, exec_lo, s30
	v_cmp_gt_i64_e32 vcc_lo, s[22:23], v[21:22]
	s_or_not1_b32 s2, vcc_lo, exec_lo
.LBB813_310:
	s_or_b32 exec_lo, exec_lo, s27
.LBB813_311:
	s_delay_alu instid0(SALU_CYCLE_1)
	s_and_b32 s27, s2, exec_lo
.LBB813_312:
	s_or_b32 exec_lo, exec_lo, s29
	v_or_b32_e32 v17, 3, v39
	s_mov_b32 s30, 0
	s_mov_b32 s29, 0
	s_mov_b32 s31, exec_lo
	s_delay_alu instid0(VALU_DEP_1)
	v_cmpx_gt_u32_e64 s20, v17
	s_cbranch_execz .LBB813_323
; %bb.313:
	s_and_not1_b32 vcc_lo, exec_lo, s3
	s_mov_b32 s2, 0
	s_cbranch_vccnz .LBB813_322
; %bb.314:
	v_mul_lo_u32 v21, v10, s22
	v_mul_lo_u32 v22, v9, s23
	v_mad_u64_u32 v[17:18], null, v9, s22, 0
	v_mul_lo_u32 v23, v12, s22
	v_mul_lo_u32 v24, v11, s23
	v_mad_u64_u32 v[19:20], null, v11, s22, 0
	s_mov_b32 s2, -1
	s_mov_b32 s29, exec_lo
	s_delay_alu instid0(VALU_DEP_4) | instskip(NEXT) | instid1(VALU_DEP_2)
	v_add3_u32 v18, v18, v22, v21
	v_add3_u32 v20, v20, v24, v23
	s_delay_alu instid0(VALU_DEP_2) | instskip(NEXT) | instid1(VALU_DEP_2)
	v_lshlrev_b64 v[17:18], 3, v[17:18]
	v_lshlrev_b64 v[21:22], 3, v[19:20]
	s_delay_alu instid0(VALU_DEP_2) | instskip(NEXT) | instid1(VALU_DEP_3)
	v_add_co_u32 v19, vcc_lo, s8, v17
	v_add_co_ci_u32_e32 v20, vcc_lo, s9, v18, vcc_lo
	s_delay_alu instid0(VALU_DEP_3) | instskip(NEXT) | instid1(VALU_DEP_4)
	v_add_co_u32 v17, vcc_lo, s8, v21
	v_add_co_ci_u32_e32 v18, vcc_lo, s9, v22, vcc_lo
	s_clause 0x1
	global_load_b64 v[21:22], v[19:20], off
	global_load_b64 v[23:24], v[17:18], off
	s_waitcnt vmcnt(0)
	v_cmpx_eq_f64_e32 v[21:22], v[23:24]
	s_cbranch_execz .LBB813_321
; %bb.315:
	v_add_co_u32 v17, vcc_lo, v17, 8
	v_add_co_ci_u32_e32 v18, vcc_lo, 0, v18, vcc_lo
	v_add_co_u32 v19, vcc_lo, v19, 8
	v_add_co_ci_u32_e32 v20, vcc_lo, 0, v20, vcc_lo
	s_add_u32 s4, s22, -1
	s_addc_u32 s5, s23, -1
	s_mov_b64 s[6:7], 0
	s_mov_b32 s33, 0
                                        ; implicit-def: $sgpr34
	s_set_inst_prefetch_distance 0x1
	s_branch .LBB813_318
	.p2align	6
.LBB813_316:                            ;   in Loop: Header=BB813_318 Depth=1
	global_load_b64 v[21:22], v[19:20], off
	global_load_b64 v[23:24], v[17:18], off
	v_add_co_u32 v17, s2, v17, 8
	s_delay_alu instid0(VALU_DEP_1) | instskip(SKIP_1) | instid1(VALU_DEP_1)
	v_add_co_ci_u32_e64 v18, s2, 0, v18, s2
	v_add_co_u32 v19, s2, v19, 8
	v_add_co_ci_u32_e64 v20, s2, 0, v20, s2
	s_add_u32 s6, s6, 1
	s_addc_u32 s7, s7, 0
	s_and_not1_b32 s2, s34, exec_lo
	s_waitcnt vmcnt(0)
	v_cmp_neq_f64_e32 vcc_lo, v[21:22], v[23:24]
	s_and_b32 s34, vcc_lo, exec_lo
	s_delay_alu instid0(SALU_CYCLE_1)
	s_or_b32 s34, s2, s34
.LBB813_317:                            ;   in Loop: Header=BB813_318 Depth=1
	v_dual_mov_b32 v22, s7 :: v_dual_mov_b32 v21, s6
	s_and_b32 s2, exec_lo, s34
	s_delay_alu instid0(SALU_CYCLE_1) | instskip(NEXT) | instid1(SALU_CYCLE_1)
	s_or_b32 s33, s2, s33
	s_and_not1_b32 exec_lo, exec_lo, s33
	s_cbranch_execz .LBB813_320
.LBB813_318:                            ; =>This Inner Loop Header: Depth=1
	s_or_b32 s34, s34, exec_lo
	s_cmp_eq_u64 s[4:5], s[6:7]
	s_cbranch_scc0 .LBB813_316
; %bb.319:                              ;   in Loop: Header=BB813_318 Depth=1
	s_mov_b64 s[6:7], s[22:23]
                                        ; implicit-def: $vgpr17_vgpr18
                                        ; implicit-def: $vgpr19_vgpr20
	s_branch .LBB813_317
.LBB813_320:
	s_set_inst_prefetch_distance 0x2
	s_or_b32 exec_lo, exec_lo, s33
	v_cmp_gt_i64_e32 vcc_lo, s[22:23], v[21:22]
	s_or_not1_b32 s2, vcc_lo, exec_lo
.LBB813_321:
	s_or_b32 exec_lo, exec_lo, s29
.LBB813_322:
	s_delay_alu instid0(SALU_CYCLE_1)
	s_and_b32 s29, s2, exec_lo
.LBB813_323:
	s_or_b32 exec_lo, exec_lo, s31
	v_or_b32_e32 v17, 2, v39
	s_mov_b32 s31, exec_lo
	s_delay_alu instid0(VALU_DEP_1)
	v_cmpx_gt_u32_e64 s20, v17
	s_cbranch_execz .LBB813_334
; %bb.324:
	s_and_not1_b32 vcc_lo, exec_lo, s3
	s_mov_b32 s2, 0
	s_cbranch_vccnz .LBB813_333
; %bb.325:
	v_mul_lo_u32 v21, v16, s22
	v_mul_lo_u32 v22, v15, s23
	v_mad_u64_u32 v[17:18], null, v15, s22, 0
	v_mul_lo_u32 v23, v10, s22
	v_mul_lo_u32 v24, v9, s23
	v_mad_u64_u32 v[19:20], null, v9, s22, 0
	s_mov_b32 s2, -1
	s_mov_b32 s30, exec_lo
	s_delay_alu instid0(VALU_DEP_4) | instskip(NEXT) | instid1(VALU_DEP_2)
	v_add3_u32 v18, v18, v22, v21
	v_add3_u32 v20, v20, v24, v23
	s_delay_alu instid0(VALU_DEP_2) | instskip(NEXT) | instid1(VALU_DEP_2)
	v_lshlrev_b64 v[17:18], 3, v[17:18]
	v_lshlrev_b64 v[21:22], 3, v[19:20]
	s_delay_alu instid0(VALU_DEP_2) | instskip(NEXT) | instid1(VALU_DEP_3)
	v_add_co_u32 v19, vcc_lo, s8, v17
	v_add_co_ci_u32_e32 v20, vcc_lo, s9, v18, vcc_lo
	s_delay_alu instid0(VALU_DEP_3) | instskip(NEXT) | instid1(VALU_DEP_4)
	v_add_co_u32 v17, vcc_lo, s8, v21
	v_add_co_ci_u32_e32 v18, vcc_lo, s9, v22, vcc_lo
	s_clause 0x1
	global_load_b64 v[21:22], v[19:20], off
	global_load_b64 v[23:24], v[17:18], off
	s_waitcnt vmcnt(0)
	v_cmpx_eq_f64_e32 v[21:22], v[23:24]
	s_cbranch_execz .LBB813_332
; %bb.326:
	v_add_co_u32 v17, vcc_lo, v17, 8
	v_add_co_ci_u32_e32 v18, vcc_lo, 0, v18, vcc_lo
	v_add_co_u32 v19, vcc_lo, v19, 8
	v_add_co_ci_u32_e32 v20, vcc_lo, 0, v20, vcc_lo
	s_add_u32 s4, s22, -1
	s_addc_u32 s5, s23, -1
	s_mov_b64 s[6:7], 0
	s_mov_b32 s33, 0
                                        ; implicit-def: $sgpr34
	s_set_inst_prefetch_distance 0x1
	s_branch .LBB813_329
	.p2align	6
.LBB813_327:                            ;   in Loop: Header=BB813_329 Depth=1
	global_load_b64 v[21:22], v[19:20], off
	global_load_b64 v[23:24], v[17:18], off
	v_add_co_u32 v17, s2, v17, 8
	s_delay_alu instid0(VALU_DEP_1) | instskip(SKIP_1) | instid1(VALU_DEP_1)
	v_add_co_ci_u32_e64 v18, s2, 0, v18, s2
	v_add_co_u32 v19, s2, v19, 8
	v_add_co_ci_u32_e64 v20, s2, 0, v20, s2
	s_add_u32 s6, s6, 1
	s_addc_u32 s7, s7, 0
	s_and_not1_b32 s2, s34, exec_lo
	s_waitcnt vmcnt(0)
	v_cmp_neq_f64_e32 vcc_lo, v[21:22], v[23:24]
	s_and_b32 s34, vcc_lo, exec_lo
	s_delay_alu instid0(SALU_CYCLE_1)
	s_or_b32 s34, s2, s34
.LBB813_328:                            ;   in Loop: Header=BB813_329 Depth=1
	v_dual_mov_b32 v22, s7 :: v_dual_mov_b32 v21, s6
	s_and_b32 s2, exec_lo, s34
	s_delay_alu instid0(SALU_CYCLE_1) | instskip(NEXT) | instid1(SALU_CYCLE_1)
	s_or_b32 s33, s2, s33
	s_and_not1_b32 exec_lo, exec_lo, s33
	s_cbranch_execz .LBB813_331
.LBB813_329:                            ; =>This Inner Loop Header: Depth=1
	s_or_b32 s34, s34, exec_lo
	s_cmp_eq_u64 s[4:5], s[6:7]
	s_cbranch_scc0 .LBB813_327
; %bb.330:                              ;   in Loop: Header=BB813_329 Depth=1
	s_mov_b64 s[6:7], s[22:23]
                                        ; implicit-def: $vgpr17_vgpr18
                                        ; implicit-def: $vgpr19_vgpr20
	s_branch .LBB813_328
.LBB813_331:
	s_set_inst_prefetch_distance 0x2
	s_or_b32 exec_lo, exec_lo, s33
	v_cmp_gt_i64_e32 vcc_lo, s[22:23], v[21:22]
	s_or_not1_b32 s2, vcc_lo, exec_lo
.LBB813_332:
	s_or_b32 exec_lo, exec_lo, s30
.LBB813_333:
	s_delay_alu instid0(SALU_CYCLE_1)
	s_and_b32 s30, s2, exec_lo
.LBB813_334:
	s_or_b32 exec_lo, exec_lo, s31
	v_or_b32_e32 v17, 1, v39
	s_mov_b32 s2, 0
	s_mov_b32 s31, exec_lo
	s_delay_alu instid0(VALU_DEP_1)
	v_cmpx_gt_u32_e64 s20, v17
	s_cbranch_execz .LBB813_345
; %bb.335:
	s_and_not1_b32 vcc_lo, exec_lo, s3
	s_cbranch_vccnz .LBB813_344
; %bb.336:
	v_mul_lo_u32 v21, v14, s22
	v_mul_lo_u32 v22, v13, s23
	v_mad_u64_u32 v[17:18], null, v13, s22, 0
	v_mul_lo_u32 v23, v16, s22
	v_mul_lo_u32 v24, v15, s23
	v_mad_u64_u32 v[19:20], null, v15, s22, 0
	s_mov_b32 s2, -1
	s_mov_b32 s33, exec_lo
	s_delay_alu instid0(VALU_DEP_4) | instskip(NEXT) | instid1(VALU_DEP_2)
	v_add3_u32 v18, v18, v22, v21
	v_add3_u32 v20, v20, v24, v23
	s_delay_alu instid0(VALU_DEP_2) | instskip(NEXT) | instid1(VALU_DEP_2)
	v_lshlrev_b64 v[17:18], 3, v[17:18]
	v_lshlrev_b64 v[21:22], 3, v[19:20]
	s_delay_alu instid0(VALU_DEP_2) | instskip(NEXT) | instid1(VALU_DEP_3)
	v_add_co_u32 v19, vcc_lo, s8, v17
	v_add_co_ci_u32_e32 v20, vcc_lo, s9, v18, vcc_lo
	s_delay_alu instid0(VALU_DEP_3) | instskip(NEXT) | instid1(VALU_DEP_4)
	v_add_co_u32 v17, vcc_lo, s8, v21
	v_add_co_ci_u32_e32 v18, vcc_lo, s9, v22, vcc_lo
	s_clause 0x1
	global_load_b64 v[21:22], v[19:20], off
	global_load_b64 v[23:24], v[17:18], off
	s_waitcnt vmcnt(0)
	v_cmpx_eq_f64_e32 v[21:22], v[23:24]
	s_cbranch_execz .LBB813_343
; %bb.337:
	v_add_co_u32 v17, vcc_lo, v17, 8
	v_add_co_ci_u32_e32 v18, vcc_lo, 0, v18, vcc_lo
	v_add_co_u32 v19, vcc_lo, v19, 8
	v_add_co_ci_u32_e32 v20, vcc_lo, 0, v20, vcc_lo
	s_add_u32 s4, s22, -1
	s_addc_u32 s5, s23, -1
	s_mov_b64 s[6:7], 0
	s_mov_b32 s34, 0
                                        ; implicit-def: $sgpr35
	s_set_inst_prefetch_distance 0x1
	s_branch .LBB813_340
	.p2align	6
.LBB813_338:                            ;   in Loop: Header=BB813_340 Depth=1
	global_load_b64 v[21:22], v[19:20], off
	global_load_b64 v[23:24], v[17:18], off
	v_add_co_u32 v17, s2, v17, 8
	s_delay_alu instid0(VALU_DEP_1) | instskip(SKIP_1) | instid1(VALU_DEP_1)
	v_add_co_ci_u32_e64 v18, s2, 0, v18, s2
	v_add_co_u32 v19, s2, v19, 8
	v_add_co_ci_u32_e64 v20, s2, 0, v20, s2
	s_add_u32 s6, s6, 1
	s_addc_u32 s7, s7, 0
	s_and_not1_b32 s2, s35, exec_lo
	s_waitcnt vmcnt(0)
	v_cmp_neq_f64_e32 vcc_lo, v[21:22], v[23:24]
	s_and_b32 s35, vcc_lo, exec_lo
	s_delay_alu instid0(SALU_CYCLE_1)
	s_or_b32 s35, s2, s35
.LBB813_339:                            ;   in Loop: Header=BB813_340 Depth=1
	v_dual_mov_b32 v22, s7 :: v_dual_mov_b32 v21, s6
	s_and_b32 s2, exec_lo, s35
	s_delay_alu instid0(SALU_CYCLE_1) | instskip(NEXT) | instid1(SALU_CYCLE_1)
	s_or_b32 s34, s2, s34
	s_and_not1_b32 exec_lo, exec_lo, s34
	s_cbranch_execz .LBB813_342
.LBB813_340:                            ; =>This Inner Loop Header: Depth=1
	s_or_b32 s35, s35, exec_lo
	s_cmp_eq_u64 s[4:5], s[6:7]
	s_cbranch_scc0 .LBB813_338
; %bb.341:                              ;   in Loop: Header=BB813_340 Depth=1
	s_mov_b64 s[6:7], s[22:23]
                                        ; implicit-def: $vgpr17_vgpr18
                                        ; implicit-def: $vgpr19_vgpr20
	s_branch .LBB813_339
.LBB813_342:
	s_set_inst_prefetch_distance 0x2
	s_or_b32 exec_lo, exec_lo, s34
	v_cmp_gt_i64_e32 vcc_lo, s[22:23], v[21:22]
	s_or_not1_b32 s2, vcc_lo, exec_lo
.LBB813_343:
	s_or_b32 exec_lo, exec_lo, s33
.LBB813_344:
	s_delay_alu instid0(SALU_CYCLE_1)
	s_and_b32 s2, s2, exec_lo
.LBB813_345:
	s_or_b32 exec_lo, exec_lo, s31
	v_cndmask_b32_e64 v18, 0, 1, s29
	v_cndmask_b32_e64 v19, 0, 1, s28
	;; [unrolled: 1-line block ×7, first 2 shown]
	v_lshlrev_b16 v19, 8, v19
	v_lshlrev_b16 v20, 8, v20
	;; [unrolled: 1-line block ×4, first 2 shown]
	s_mov_b32 s19, exec_lo
	v_or_b32_e32 v19, v22, v19
	v_or_b32_e32 v20, v23, v20
	v_or_b32_e32 v21, 1, v21
	v_or_b32_e32 v17, v17, v18
	s_delay_alu instid0(VALU_DEP_4) | instskip(NEXT) | instid1(VALU_DEP_4)
	v_and_b32_e32 v18, 0xffff, v19
	v_lshlrev_b32_e32 v19, 16, v20
	s_delay_alu instid0(VALU_DEP_4) | instskip(NEXT) | instid1(VALU_DEP_4)
	v_and_b32_e32 v20, 0xffff, v21
	v_lshlrev_b32_e32 v17, 16, v17
	s_barrier
	buffer_gl0_inv
	v_or_b32_e32 v18, v18, v19
                                        ; implicit-def: $sgpr2
	v_or_b32_e32 v17, v20, v17
	v_cmpx_ne_u32_e32 0, v0
	s_cbranch_execz .LBB813_358
; %bb.346:
	s_mov_b32 s2, 0
	s_mov_b32 s26, exec_lo
	v_cmpx_gt_u32_e64 s20, v39
	s_cbranch_execz .LBB813_357
; %bb.347:
	s_and_not1_b32 vcc_lo, exec_lo, s3
	s_cbranch_vccnz .LBB813_356
; %bb.348:
	v_add_nc_u32_e32 v19, -8, v39
	v_mul_lo_u32 v26, v13, s23
	v_mad_u64_u32 v[22:23], null, v13, s22, 0
	s_mov_b32 s2, -1
	ds_load_b64 v[19:20], v19
	s_mov_b32 s3, exec_lo
	s_waitcnt lgkmcnt(0)
	v_mul_lo_u32 v24, v20, s22
	v_mul_lo_u32 v25, v19, s23
	v_mad_u64_u32 v[20:21], null, v19, s22, 0
	v_mul_lo_u32 v19, v14, s22
	s_delay_alu instid0(VALU_DEP_2) | instskip(NEXT) | instid1(VALU_DEP_2)
	v_add3_u32 v21, v21, v25, v24
	v_add3_u32 v23, v23, v26, v19
	s_delay_alu instid0(VALU_DEP_2) | instskip(NEXT) | instid1(VALU_DEP_2)
	v_lshlrev_b64 v[19:20], 3, v[20:21]
	v_lshlrev_b64 v[23:24], 3, v[22:23]
	s_delay_alu instid0(VALU_DEP_2) | instskip(NEXT) | instid1(VALU_DEP_3)
	v_add_co_u32 v21, vcc_lo, s8, v19
	v_add_co_ci_u32_e32 v22, vcc_lo, s9, v20, vcc_lo
	s_delay_alu instid0(VALU_DEP_3) | instskip(NEXT) | instid1(VALU_DEP_4)
	v_add_co_u32 v19, vcc_lo, s8, v23
	v_add_co_ci_u32_e32 v20, vcc_lo, s9, v24, vcc_lo
	s_clause 0x1
	global_load_b64 v[23:24], v[21:22], off
	global_load_b64 v[25:26], v[19:20], off
	s_waitcnt vmcnt(0)
	v_cmpx_eq_f64_e32 v[23:24], v[25:26]
	s_cbranch_execz .LBB813_355
; %bb.349:
	v_add_co_u32 v19, vcc_lo, v19, 8
	v_add_co_ci_u32_e32 v20, vcc_lo, 0, v20, vcc_lo
	v_add_co_u32 v21, vcc_lo, v21, 8
	v_add_co_ci_u32_e32 v22, vcc_lo, 0, v22, vcc_lo
	s_add_u32 s4, s22, -1
	s_addc_u32 s5, s23, -1
	s_mov_b64 s[6:7], 0
	s_mov_b32 s8, 0
                                        ; implicit-def: $sgpr9
	s_set_inst_prefetch_distance 0x1
	s_branch .LBB813_352
	.p2align	6
.LBB813_350:                            ;   in Loop: Header=BB813_352 Depth=1
	global_load_b64 v[23:24], v[21:22], off
	global_load_b64 v[25:26], v[19:20], off
	v_add_co_u32 v19, s2, v19, 8
	s_delay_alu instid0(VALU_DEP_1) | instskip(SKIP_1) | instid1(VALU_DEP_1)
	v_add_co_ci_u32_e64 v20, s2, 0, v20, s2
	v_add_co_u32 v21, s2, v21, 8
	v_add_co_ci_u32_e64 v22, s2, 0, v22, s2
	s_add_u32 s6, s6, 1
	s_addc_u32 s7, s7, 0
	s_and_not1_b32 s2, s9, exec_lo
	s_waitcnt vmcnt(0)
	v_cmp_neq_f64_e32 vcc_lo, v[23:24], v[25:26]
	s_and_b32 s9, vcc_lo, exec_lo
	s_delay_alu instid0(SALU_CYCLE_1)
	s_or_b32 s9, s2, s9
.LBB813_351:                            ;   in Loop: Header=BB813_352 Depth=1
	v_dual_mov_b32 v24, s7 :: v_dual_mov_b32 v23, s6
	s_and_b32 s2, exec_lo, s9
	s_delay_alu instid0(SALU_CYCLE_1) | instskip(NEXT) | instid1(SALU_CYCLE_1)
	s_or_b32 s8, s2, s8
	s_and_not1_b32 exec_lo, exec_lo, s8
	s_cbranch_execz .LBB813_354
.LBB813_352:                            ; =>This Inner Loop Header: Depth=1
	s_or_b32 s9, s9, exec_lo
	s_cmp_eq_u64 s[4:5], s[6:7]
	s_cbranch_scc0 .LBB813_350
; %bb.353:                              ;   in Loop: Header=BB813_352 Depth=1
	s_mov_b64 s[6:7], s[22:23]
                                        ; implicit-def: $vgpr19_vgpr20
                                        ; implicit-def: $vgpr21_vgpr22
	s_branch .LBB813_351
.LBB813_354:
	s_set_inst_prefetch_distance 0x2
	s_or_b32 exec_lo, exec_lo, s8
	v_cmp_gt_i64_e32 vcc_lo, s[22:23], v[23:24]
	s_or_not1_b32 s2, vcc_lo, exec_lo
.LBB813_355:
	s_or_b32 exec_lo, exec_lo, s3
.LBB813_356:
	s_delay_alu instid0(SALU_CYCLE_1)
	s_and_b32 s2, s2, exec_lo
.LBB813_357:
	s_or_b32 exec_lo, exec_lo, s26
	s_delay_alu instid0(SALU_CYCLE_1)
	s_and_b32 s2, s2, exec_lo
	s_or_b32 s18, s18, exec_lo
.LBB813_358:
	s_or_b32 exec_lo, exec_lo, s19
.LBB813_359:
	s_and_saveexec_b32 s3, s18
	s_cbranch_execz .LBB813_361
; %bb.360:
	s_waitcnt lgkmcnt(0)
	v_and_b32_e32 v19, 0xffffff00, v17
	v_cndmask_b32_e64 v20, 0, 1, s2
	s_delay_alu instid0(VALU_DEP_1) | instskip(NEXT) | instid1(VALU_DEP_1)
	v_or_b32_e32 v19, v20, v19
	v_and_b32_e32 v19, 0xffff, v19
	s_delay_alu instid0(VALU_DEP_1)
	v_and_or_b32 v17, 0xffff0000, v17, v19
.LBB813_361:
	s_or_b32 exec_lo, exec_lo, s3
	s_delay_alu instid0(SALU_CYCLE_1)
	s_and_not1_b32 vcc_lo, exec_lo, s24
	s_cbranch_vccnz .LBB813_363
; %bb.362:
	v_cmp_gt_u32_e32 vcc_lo, s20, v39
	s_waitcnt lgkmcnt(0)
	v_or_b32_e32 v20, 1, v39
	v_and_b32_e32 v21, 0xffffff00, v18
	v_or_b32_e32 v22, 2, v39
	v_cndmask_b32_e32 v19, 0, v17, vcc_lo
	s_delay_alu instid0(VALU_DEP_4) | instskip(SKIP_1) | instid1(VALU_DEP_4)
	v_cmp_gt_u32_e32 vcc_lo, s20, v20
	v_or_b32_e32 v20, 4, v39
	v_cmp_gt_u32_e64 s2, s20, v22
	v_or_b32_e32 v22, 3, v39
	v_and_b32_e32 v19, 0xff, v19
	s_delay_alu instid0(VALU_DEP_2) | instskip(NEXT) | instid1(VALU_DEP_2)
	v_cmp_gt_u32_e64 s3, s20, v22
	v_cndmask_b32_e32 v19, v19, v17, vcc_lo
	v_cmp_gt_u32_e32 vcc_lo, s20, v20
	v_cndmask_b32_e32 v20, v21, v18, vcc_lo
	v_or_b32_e32 v21, 5, v39
	s_delay_alu instid0(VALU_DEP_2) | instskip(SKIP_1) | instid1(VALU_DEP_1)
	v_and_b32_e32 v20, 0xffff00ff, v20
	v_and_b32_e32 v19, 0xffff, v19
	v_cndmask_b32_e64 v19, v19, v17, s2
	s_delay_alu instid0(VALU_DEP_4) | instskip(SKIP_1) | instid1(VALU_DEP_3)
	v_cmp_gt_u32_e64 s2, s20, v21
	v_or_b32_e32 v21, 6, v39
	v_and_b32_e32 v19, 0xffffff, v19
	s_delay_alu instid0(VALU_DEP_3) | instskip(NEXT) | instid1(VALU_DEP_2)
	v_cndmask_b32_e64 v20, v20, v18, s2
	v_cndmask_b32_e64 v19, v19, v17, s3
	s_delay_alu instid0(VALU_DEP_1) | instskip(SKIP_2) | instid1(VALU_DEP_3)
	v_dual_cndmask_b32 v19, v19, v17 :: v_dual_and_b32 v20, 0xff00ffff, v20
	v_cmp_gt_u32_e32 vcc_lo, s20, v21
	v_or_b32_e32 v21, 7, v39
	v_cndmask_b32_e64 v19, v19, v17, s2
	s_delay_alu instid0(VALU_DEP_1) | instskip(NEXT) | instid1(VALU_DEP_1)
	v_dual_cndmask_b32 v20, v20, v18 :: v_dual_cndmask_b32 v19, v19, v17
	v_and_b32_e32 v20, 0xffffff, v20
	s_delay_alu instid0(VALU_DEP_4) | instskip(NEXT) | instid1(VALU_DEP_2)
	v_cmp_gt_u32_e32 vcc_lo, s20, v21
	v_dual_cndmask_b32 v18, v20, v18 :: v_dual_cndmask_b32 v17, v19, v17
.LBB813_363:
	s_delay_alu instid0(VALU_DEP_1) | instskip(SKIP_1) | instid1(VALU_DEP_2)
	v_and_b32_e32 v26, 0xff, v17
	s_waitcnt lgkmcnt(0)
	v_alignbit_b32 v19, v18, v17, 24
	v_bfe_u32 v28, v17, 8, 8
	v_bfe_u32 v30, v17, 16, 8
	v_and_b32_e32 v34, 0xff, v18
	v_bfe_u32 v36, v18, 8, 8
	v_and_b32_e32 v32, 0xff, v19
	v_add_nc_u32_e32 v19, v28, v26
	v_mbcnt_lo_u32_b32 v41, -1, 0
	v_bfe_u32 v38, v18, 16, 8
	v_lshrrev_b32_e32 v40, 24, v18
	v_lshrrev_b32_e32 v42, 5, v0
	v_add3_u32 v19, v19, v30, v32
	v_and_b32_e32 v20, 15, v41
	v_and_b32_e32 v21, 16, v41
	s_and_b32 vcc_lo, exec_lo, s25
	s_mov_b32 s18, -1
	v_add3_u32 v19, v19, v34, v36
	v_cmp_eq_u32_e64 s4, 0, v20
	v_cmp_lt_u32_e64 s2, 1, v20
	v_cmp_lt_u32_e64 s5, 3, v20
	;; [unrolled: 1-line block ×3, first 2 shown]
	v_add3_u32 v43, v19, v38, v40
	v_or_b32_e32 v19, 31, v0
	v_cmp_eq_u32_e64 s7, 0, v21
	s_barrier
	buffer_gl0_inv
	v_cmp_eq_u32_e64 s6, v19, v0
	s_cbranch_vccz .LBB813_389
; %bb.364:
	v_mov_b32_dpp v19, v43 row_shr:1 row_mask:0xf bank_mask:0xf
	s_delay_alu instid0(VALU_DEP_1) | instskip(NEXT) | instid1(VALU_DEP_1)
	v_cndmask_b32_e64 v19, v19, 0, s4
	v_add_nc_u32_e32 v19, v19, v43
	s_delay_alu instid0(VALU_DEP_1) | instskip(NEXT) | instid1(VALU_DEP_1)
	v_mov_b32_dpp v20, v19 row_shr:2 row_mask:0xf bank_mask:0xf
	v_cndmask_b32_e64 v20, 0, v20, s2
	s_delay_alu instid0(VALU_DEP_1) | instskip(NEXT) | instid1(VALU_DEP_1)
	v_add_nc_u32_e32 v19, v19, v20
	v_mov_b32_dpp v20, v19 row_shr:4 row_mask:0xf bank_mask:0xf
	s_delay_alu instid0(VALU_DEP_1) | instskip(NEXT) | instid1(VALU_DEP_1)
	v_cndmask_b32_e64 v20, 0, v20, s5
	v_add_nc_u32_e32 v19, v19, v20
	s_delay_alu instid0(VALU_DEP_1) | instskip(NEXT) | instid1(VALU_DEP_1)
	v_mov_b32_dpp v20, v19 row_shr:8 row_mask:0xf bank_mask:0xf
	v_cndmask_b32_e64 v20, 0, v20, s3
	s_delay_alu instid0(VALU_DEP_1) | instskip(SKIP_3) | instid1(VALU_DEP_1)
	v_add_nc_u32_e32 v19, v19, v20
	ds_swizzle_b32 v20, v19 offset:swizzle(BROADCAST,32,15)
	s_waitcnt lgkmcnt(0)
	v_cndmask_b32_e64 v20, v20, 0, s7
	v_add_nc_u32_e32 v19, v19, v20
	s_and_saveexec_b32 s8, s6
	s_cbranch_execz .LBB813_366
; %bb.365:
	v_lshlrev_b32_e32 v20, 2, v42
	ds_store_b32 v20, v19
.LBB813_366:
	s_or_b32 exec_lo, exec_lo, s8
	s_delay_alu instid0(SALU_CYCLE_1)
	s_mov_b32 s8, exec_lo
	s_waitcnt lgkmcnt(0)
	s_barrier
	buffer_gl0_inv
	v_cmpx_gt_u32_e32 16, v0
	s_cbranch_execz .LBB813_368
; %bb.367:
	v_lshlrev_b32_e32 v20, 2, v0
	ds_load_b32 v21, v20
	s_waitcnt lgkmcnt(0)
	v_mov_b32_dpp v22, v21 row_shr:1 row_mask:0xf bank_mask:0xf
	s_delay_alu instid0(VALU_DEP_1) | instskip(NEXT) | instid1(VALU_DEP_1)
	v_cndmask_b32_e64 v22, v22, 0, s4
	v_add_nc_u32_e32 v21, v22, v21
	s_delay_alu instid0(VALU_DEP_1) | instskip(NEXT) | instid1(VALU_DEP_1)
	v_mov_b32_dpp v22, v21 row_shr:2 row_mask:0xf bank_mask:0xf
	v_cndmask_b32_e64 v22, 0, v22, s2
	s_delay_alu instid0(VALU_DEP_1) | instskip(NEXT) | instid1(VALU_DEP_1)
	v_add_nc_u32_e32 v21, v21, v22
	v_mov_b32_dpp v22, v21 row_shr:4 row_mask:0xf bank_mask:0xf
	s_delay_alu instid0(VALU_DEP_1) | instskip(NEXT) | instid1(VALU_DEP_1)
	v_cndmask_b32_e64 v22, 0, v22, s5
	v_add_nc_u32_e32 v21, v21, v22
	s_delay_alu instid0(VALU_DEP_1) | instskip(NEXT) | instid1(VALU_DEP_1)
	v_mov_b32_dpp v22, v21 row_shr:8 row_mask:0xf bank_mask:0xf
	v_cndmask_b32_e64 v22, 0, v22, s3
	s_delay_alu instid0(VALU_DEP_1)
	v_add_nc_u32_e32 v21, v21, v22
	ds_store_b32 v20, v21
.LBB813_368:
	s_or_b32 exec_lo, exec_lo, s8
	v_cmp_gt_u32_e32 vcc_lo, 32, v0
	s_mov_b32 s9, exec_lo
	s_waitcnt lgkmcnt(0)
	s_barrier
	buffer_gl0_inv
                                        ; implicit-def: $vgpr27
	v_cmpx_lt_u32_e32 31, v0
	s_cbranch_execz .LBB813_370
; %bb.369:
	v_lshl_add_u32 v20, v42, 2, -4
	ds_load_b32 v27, v20
	s_waitcnt lgkmcnt(0)
	v_add_nc_u32_e32 v19, v27, v19
.LBB813_370:
	s_or_b32 exec_lo, exec_lo, s9
	v_add_nc_u32_e32 v20, -1, v41
	s_delay_alu instid0(VALU_DEP_1) | instskip(NEXT) | instid1(VALU_DEP_1)
	v_cmp_gt_i32_e64 s8, 0, v20
	v_cndmask_b32_e64 v20, v20, v41, s8
	v_cmp_eq_u32_e64 s8, 0, v41
	s_delay_alu instid0(VALU_DEP_2)
	v_lshlrev_b32_e32 v20, 2, v20
	ds_bpermute_b32 v29, v20, v19
	s_and_saveexec_b32 s9, vcc_lo
	s_cbranch_execz .LBB813_388
; %bb.371:
	v_mov_b32_e32 v22, 0
	ds_load_b32 v19, v22 offset:60
	s_and_saveexec_b32 s18, s8
	s_cbranch_execz .LBB813_373
; %bb.372:
	s_add_i32 s22, s15, 32
	s_mov_b32 s23, 0
	v_mov_b32_e32 v20, 1
	s_lshl_b64 s[22:23], s[22:23], 3
	s_delay_alu instid0(SALU_CYCLE_1)
	s_add_u32 s22, s10, s22
	s_addc_u32 s23, s11, s23
	s_waitcnt lgkmcnt(0)
	global_store_b64 v22, v[19:20], s[22:23]
.LBB813_373:
	s_or_b32 exec_lo, exec_lo, s18
	v_xad_u32 v20, v41, -1, s15
	s_mov_b32 s19, 0
	s_mov_b32 s18, exec_lo
	s_delay_alu instid0(VALU_DEP_1) | instskip(NEXT) | instid1(VALU_DEP_1)
	v_add_nc_u32_e32 v21, 32, v20
	v_lshlrev_b64 v[21:22], 3, v[21:22]
	s_delay_alu instid0(VALU_DEP_1) | instskip(NEXT) | instid1(VALU_DEP_2)
	v_add_co_u32 v24, vcc_lo, s10, v21
	v_add_co_ci_u32_e32 v25, vcc_lo, s11, v22, vcc_lo
	global_load_b64 v[22:23], v[24:25], off glc
	s_waitcnt vmcnt(0)
	v_and_b32_e32 v21, 0xff, v23
	s_delay_alu instid0(VALU_DEP_1)
	v_cmpx_eq_u16_e32 0, v21
	s_cbranch_execz .LBB813_376
.LBB813_374:                            ; =>This Inner Loop Header: Depth=1
	global_load_b64 v[22:23], v[24:25], off glc
	s_waitcnt vmcnt(0)
	v_and_b32_e32 v21, 0xff, v23
	s_delay_alu instid0(VALU_DEP_1) | instskip(SKIP_1) | instid1(SALU_CYCLE_1)
	v_cmp_ne_u16_e32 vcc_lo, 0, v21
	s_or_b32 s19, vcc_lo, s19
	s_and_not1_b32 exec_lo, exec_lo, s19
	s_cbranch_execnz .LBB813_374
; %bb.375:
	s_or_b32 exec_lo, exec_lo, s19
.LBB813_376:
	s_delay_alu instid0(SALU_CYCLE_1)
	s_or_b32 exec_lo, exec_lo, s18
	v_cmp_ne_u32_e32 vcc_lo, 31, v41
	v_lshlrev_b32_e64 v33, v41, -1
	v_add_nc_u32_e32 v37, 2, v41
	v_add_nc_u32_e32 v46, 4, v41
	;; [unrolled: 1-line block ×3, first 2 shown]
	v_add_co_ci_u32_e32 v21, vcc_lo, 0, v41, vcc_lo
	v_add_nc_u32_e32 v50, 16, v41
	s_delay_alu instid0(VALU_DEP_2)
	v_lshlrev_b32_e32 v31, 2, v21
	v_and_b32_e32 v21, 0xff, v23
	ds_bpermute_b32 v24, v31, v22
	v_cmp_eq_u16_e32 vcc_lo, 2, v21
	v_and_or_b32 v21, vcc_lo, v33, 0x80000000
	v_cmp_gt_u32_e32 vcc_lo, 30, v41
	s_delay_alu instid0(VALU_DEP_2) | instskip(SKIP_1) | instid1(VALU_DEP_2)
	v_ctz_i32_b32_e32 v21, v21
	v_cndmask_b32_e64 v25, 0, 1, vcc_lo
	v_cmp_lt_u32_e32 vcc_lo, v41, v21
	s_waitcnt lgkmcnt(0)
	s_delay_alu instid0(VALU_DEP_2) | instskip(NEXT) | instid1(VALU_DEP_1)
	v_dual_cndmask_b32 v24, 0, v24 :: v_dual_lshlrev_b32 v25, 1, v25
	v_add_lshl_u32 v35, v25, v41, 2
	v_cmp_gt_u32_e32 vcc_lo, 28, v41
	s_delay_alu instid0(VALU_DEP_3) | instskip(SKIP_4) | instid1(VALU_DEP_1)
	v_add_nc_u32_e32 v22, v24, v22
	v_cndmask_b32_e64 v25, 0, 1, vcc_lo
	v_cmp_le_u32_e32 vcc_lo, v37, v21
	ds_bpermute_b32 v24, v35, v22
	v_lshlrev_b32_e32 v25, 2, v25
	v_add_lshl_u32 v44, v25, v41, 2
	s_waitcnt lgkmcnt(0)
	v_cndmask_b32_e32 v24, 0, v24, vcc_lo
	v_cmp_gt_u32_e32 vcc_lo, 24, v41
	s_delay_alu instid0(VALU_DEP_2) | instskip(SKIP_4) | instid1(VALU_DEP_1)
	v_add_nc_u32_e32 v22, v22, v24
	v_cndmask_b32_e64 v25, 0, 1, vcc_lo
	v_cmp_le_u32_e32 vcc_lo, v46, v21
	ds_bpermute_b32 v24, v44, v22
	v_lshlrev_b32_e32 v25, 3, v25
	v_add_lshl_u32 v47, v25, v41, 2
	s_waitcnt lgkmcnt(0)
	v_cndmask_b32_e32 v24, 0, v24, vcc_lo
	v_cmp_gt_u32_e32 vcc_lo, 16, v41
	s_delay_alu instid0(VALU_DEP_2) | instskip(SKIP_4) | instid1(VALU_DEP_1)
	v_add_nc_u32_e32 v22, v22, v24
	v_cndmask_b32_e64 v25, 0, 1, vcc_lo
	v_cmp_le_u32_e32 vcc_lo, v48, v21
	ds_bpermute_b32 v24, v47, v22
	v_lshlrev_b32_e32 v25, 4, v25
	v_add_lshl_u32 v49, v25, v41, 2
	s_waitcnt lgkmcnt(0)
	v_cndmask_b32_e32 v24, 0, v24, vcc_lo
	v_cmp_le_u32_e32 vcc_lo, v50, v21
	s_delay_alu instid0(VALU_DEP_2) | instskip(SKIP_3) | instid1(VALU_DEP_1)
	v_add_nc_u32_e32 v22, v22, v24
	ds_bpermute_b32 v24, v49, v22
	s_waitcnt lgkmcnt(0)
	v_cndmask_b32_e32 v21, 0, v24, vcc_lo
	v_dual_mov_b32 v21, 0 :: v_dual_add_nc_u32 v22, v22, v21
	s_branch .LBB813_378
.LBB813_377:                            ;   in Loop: Header=BB813_378 Depth=1
	s_or_b32 exec_lo, exec_lo, s18
	ds_bpermute_b32 v25, v31, v22
	v_and_b32_e32 v24, 0xff, v23
	v_subrev_nc_u32_e32 v20, 32, v20
	s_delay_alu instid0(VALU_DEP_2) | instskip(SKIP_1) | instid1(VALU_DEP_1)
	v_cmp_eq_u16_e32 vcc_lo, 2, v24
	v_and_or_b32 v24, vcc_lo, v33, 0x80000000
	v_ctz_i32_b32_e32 v24, v24
	s_delay_alu instid0(VALU_DEP_1) | instskip(SKIP_3) | instid1(VALU_DEP_2)
	v_cmp_lt_u32_e32 vcc_lo, v41, v24
	s_waitcnt lgkmcnt(0)
	v_cndmask_b32_e32 v25, 0, v25, vcc_lo
	v_cmp_le_u32_e32 vcc_lo, v37, v24
	v_add_nc_u32_e32 v22, v25, v22
	ds_bpermute_b32 v25, v35, v22
	s_waitcnt lgkmcnt(0)
	v_cndmask_b32_e32 v25, 0, v25, vcc_lo
	v_cmp_le_u32_e32 vcc_lo, v46, v24
	s_delay_alu instid0(VALU_DEP_2) | instskip(SKIP_4) | instid1(VALU_DEP_2)
	v_add_nc_u32_e32 v22, v22, v25
	ds_bpermute_b32 v25, v44, v22
	s_waitcnt lgkmcnt(0)
	v_cndmask_b32_e32 v25, 0, v25, vcc_lo
	v_cmp_le_u32_e32 vcc_lo, v48, v24
	v_add_nc_u32_e32 v22, v22, v25
	ds_bpermute_b32 v25, v47, v22
	s_waitcnt lgkmcnt(0)
	v_cndmask_b32_e32 v25, 0, v25, vcc_lo
	v_cmp_le_u32_e32 vcc_lo, v50, v24
	s_delay_alu instid0(VALU_DEP_2) | instskip(SKIP_3) | instid1(VALU_DEP_1)
	v_add_nc_u32_e32 v22, v22, v25
	ds_bpermute_b32 v25, v49, v22
	s_waitcnt lgkmcnt(0)
	v_cndmask_b32_e32 v24, 0, v25, vcc_lo
	v_add3_u32 v22, v24, v45, v22
.LBB813_378:                            ; =>This Loop Header: Depth=1
                                        ;     Child Loop BB813_381 Depth 2
	v_and_b32_e32 v23, 0xff, v23
	s_delay_alu instid0(VALU_DEP_2) | instskip(NEXT) | instid1(VALU_DEP_2)
	v_mov_b32_e32 v45, v22
	v_cmp_ne_u16_e32 vcc_lo, 2, v23
	v_cndmask_b32_e64 v23, 0, 1, vcc_lo
	;;#ASMSTART
	;;#ASMEND
	s_delay_alu instid0(VALU_DEP_1)
	v_cmp_ne_u32_e32 vcc_lo, 0, v23
	s_cmp_lg_u32 vcc_lo, exec_lo
	s_cbranch_scc1 .LBB813_383
; %bb.379:                              ;   in Loop: Header=BB813_378 Depth=1
	v_lshlrev_b64 v[22:23], 3, v[20:21]
	s_mov_b32 s18, exec_lo
	s_delay_alu instid0(VALU_DEP_1) | instskip(NEXT) | instid1(VALU_DEP_2)
	v_add_co_u32 v24, vcc_lo, s10, v22
	v_add_co_ci_u32_e32 v25, vcc_lo, s11, v23, vcc_lo
	global_load_b64 v[22:23], v[24:25], off glc
	s_waitcnt vmcnt(0)
	v_and_b32_e32 v51, 0xff, v23
	s_delay_alu instid0(VALU_DEP_1)
	v_cmpx_eq_u16_e32 0, v51
	s_cbranch_execz .LBB813_377
; %bb.380:                              ;   in Loop: Header=BB813_378 Depth=1
	s_mov_b32 s19, 0
.LBB813_381:                            ;   Parent Loop BB813_378 Depth=1
                                        ; =>  This Inner Loop Header: Depth=2
	global_load_b64 v[22:23], v[24:25], off glc
	s_waitcnt vmcnt(0)
	v_and_b32_e32 v51, 0xff, v23
	s_delay_alu instid0(VALU_DEP_1) | instskip(SKIP_1) | instid1(SALU_CYCLE_1)
	v_cmp_ne_u16_e32 vcc_lo, 0, v51
	s_or_b32 s19, vcc_lo, s19
	s_and_not1_b32 exec_lo, exec_lo, s19
	s_cbranch_execnz .LBB813_381
; %bb.382:                              ;   in Loop: Header=BB813_378 Depth=1
	s_or_b32 exec_lo, exec_lo, s19
	s_branch .LBB813_377
.LBB813_383:                            ;   in Loop: Header=BB813_378 Depth=1
                                        ; implicit-def: $vgpr22
                                        ; implicit-def: $vgpr23
	s_cbranch_execz .LBB813_378
; %bb.384:
	s_and_saveexec_b32 s18, s8
	s_cbranch_execz .LBB813_386
; %bb.385:
	s_add_i32 s22, s15, 32
	s_mov_b32 s23, 0
	v_dual_mov_b32 v21, 2 :: v_dual_add_nc_u32 v20, v45, v19
	s_lshl_b64 s[22:23], s[22:23], 3
	v_mov_b32_e32 v22, 0
	v_add_nc_u32_e64 v23, 0x8400, 0
	s_add_u32 s22, s10, s22
	s_addc_u32 s23, s11, s23
	global_store_b64 v22, v[20:21], s[22:23]
	ds_store_2addr_b32 v23, v19, v45 offset1:2
.LBB813_386:
	s_or_b32 exec_lo, exec_lo, s18
	v_cmp_eq_u32_e32 vcc_lo, 0, v0
	s_and_b32 exec_lo, exec_lo, vcc_lo
	s_cbranch_execz .LBB813_388
; %bb.387:
	v_mov_b32_e32 v19, 0
	ds_store_b32 v19, v45 offset:60
.LBB813_388:
	s_or_b32 exec_lo, exec_lo, s9
	s_waitcnt lgkmcnt(0)
	v_cndmask_b32_e64 v20, v29, v27, s8
	v_cmp_ne_u32_e32 vcc_lo, 0, v0
	v_mov_b32_e32 v19, 0
	s_waitcnt_vscnt null, 0x0
	s_barrier
	buffer_gl0_inv
	v_cndmask_b32_e32 v20, 0, v20, vcc_lo
	ds_load_b32 v19, v19 offset:60
	s_waitcnt lgkmcnt(0)
	s_barrier
	buffer_gl0_inv
	v_add_nc_u32_e32 v37, v19, v20
	v_add_nc_u32_e64 v19, 0x8400, 0
	s_delay_alu instid0(VALU_DEP_2) | instskip(SKIP_2) | instid1(VALU_DEP_1)
	v_add_nc_u32_e32 v35, v37, v26
	ds_load_2addr_b32 v[19:20], v19 offset1:2
	v_add_nc_u32_e32 v33, v35, v28
	v_add_nc_u32_e32 v31, v33, v30
	s_delay_alu instid0(VALU_DEP_1) | instskip(NEXT) | instid1(VALU_DEP_1)
	v_add_nc_u32_e32 v29, v31, v32
	v_add_nc_u32_e32 v27, v29, v34
	s_delay_alu instid0(VALU_DEP_1) | instskip(NEXT) | instid1(VALU_DEP_1)
	v_add_nc_u32_e32 v25, v27, v36
	v_add_nc_u32_e32 v23, v25, v38
	s_load_b64 s[8:9], s[0:1], 0x28
	v_lshrrev_b64 v[21:22], 24, v[17:18]
	s_branch .LBB813_399
.LBB813_389:
                                        ; implicit-def: $vgpr23
                                        ; implicit-def: $vgpr25
                                        ; implicit-def: $vgpr27
                                        ; implicit-def: $vgpr29
                                        ; implicit-def: $vgpr31
                                        ; implicit-def: $vgpr33
                                        ; implicit-def: $vgpr35
                                        ; implicit-def: $vgpr37
                                        ; implicit-def: $vgpr20
	s_load_b64 s[8:9], s[0:1], 0x28
	v_lshrrev_b64 v[21:22], 24, v[17:18]
	s_and_b32 vcc_lo, exec_lo, s18
	s_cbranch_vccz .LBB813_399
; %bb.390:
	s_waitcnt lgkmcnt(0)
	v_mov_b32_dpp v19, v43 row_shr:1 row_mask:0xf bank_mask:0xf
	s_delay_alu instid0(VALU_DEP_1) | instskip(NEXT) | instid1(VALU_DEP_1)
	v_cndmask_b32_e64 v19, v19, 0, s4
	v_add_nc_u32_e32 v19, v19, v43
	s_delay_alu instid0(VALU_DEP_1) | instskip(NEXT) | instid1(VALU_DEP_1)
	v_mov_b32_dpp v20, v19 row_shr:2 row_mask:0xf bank_mask:0xf
	v_cndmask_b32_e64 v20, 0, v20, s2
	s_delay_alu instid0(VALU_DEP_1) | instskip(NEXT) | instid1(VALU_DEP_1)
	v_add_nc_u32_e32 v19, v19, v20
	v_mov_b32_dpp v20, v19 row_shr:4 row_mask:0xf bank_mask:0xf
	s_delay_alu instid0(VALU_DEP_1) | instskip(NEXT) | instid1(VALU_DEP_1)
	v_cndmask_b32_e64 v20, 0, v20, s5
	v_add_nc_u32_e32 v19, v19, v20
	s_delay_alu instid0(VALU_DEP_1) | instskip(NEXT) | instid1(VALU_DEP_1)
	v_mov_b32_dpp v20, v19 row_shr:8 row_mask:0xf bank_mask:0xf
	v_cndmask_b32_e64 v20, 0, v20, s3
	s_delay_alu instid0(VALU_DEP_1) | instskip(SKIP_3) | instid1(VALU_DEP_1)
	v_add_nc_u32_e32 v19, v19, v20
	ds_swizzle_b32 v20, v19 offset:swizzle(BROADCAST,32,15)
	s_waitcnt lgkmcnt(0)
	v_cndmask_b32_e64 v20, v20, 0, s7
	v_add_nc_u32_e32 v19, v19, v20
	s_and_saveexec_b32 s0, s6
	s_cbranch_execz .LBB813_392
; %bb.391:
	v_lshlrev_b32_e32 v20, 2, v42
	ds_store_b32 v20, v19
.LBB813_392:
	s_or_b32 exec_lo, exec_lo, s0
	s_delay_alu instid0(SALU_CYCLE_1)
	s_mov_b32 s0, exec_lo
	s_waitcnt lgkmcnt(0)
	s_barrier
	buffer_gl0_inv
	v_cmpx_gt_u32_e32 16, v0
	s_cbranch_execz .LBB813_394
; %bb.393:
	v_lshlrev_b32_e32 v20, 2, v0
	ds_load_b32 v22, v20
	s_waitcnt lgkmcnt(0)
	v_mov_b32_dpp v23, v22 row_shr:1 row_mask:0xf bank_mask:0xf
	s_delay_alu instid0(VALU_DEP_1) | instskip(NEXT) | instid1(VALU_DEP_1)
	v_cndmask_b32_e64 v23, v23, 0, s4
	v_add_nc_u32_e32 v22, v23, v22
	s_delay_alu instid0(VALU_DEP_1) | instskip(NEXT) | instid1(VALU_DEP_1)
	v_mov_b32_dpp v23, v22 row_shr:2 row_mask:0xf bank_mask:0xf
	v_cndmask_b32_e64 v23, 0, v23, s2
	s_delay_alu instid0(VALU_DEP_1) | instskip(NEXT) | instid1(VALU_DEP_1)
	v_add_nc_u32_e32 v22, v22, v23
	v_mov_b32_dpp v23, v22 row_shr:4 row_mask:0xf bank_mask:0xf
	s_delay_alu instid0(VALU_DEP_1) | instskip(NEXT) | instid1(VALU_DEP_1)
	v_cndmask_b32_e64 v23, 0, v23, s5
	v_add_nc_u32_e32 v22, v22, v23
	s_delay_alu instid0(VALU_DEP_1) | instskip(NEXT) | instid1(VALU_DEP_1)
	v_mov_b32_dpp v23, v22 row_shr:8 row_mask:0xf bank_mask:0xf
	v_cndmask_b32_e64 v23, 0, v23, s3
	s_delay_alu instid0(VALU_DEP_1)
	v_add_nc_u32_e32 v22, v22, v23
	ds_store_b32 v20, v22
.LBB813_394:
	s_or_b32 exec_lo, exec_lo, s0
	v_mov_b32_e32 v20, 0
	v_mov_b32_e32 v22, 0
	s_mov_b32 s0, exec_lo
	s_waitcnt lgkmcnt(0)
	s_barrier
	buffer_gl0_inv
	v_cmpx_lt_u32_e32 31, v0
	s_cbranch_execz .LBB813_396
; %bb.395:
	v_lshl_add_u32 v22, v42, 2, -4
	ds_load_b32 v22, v22
.LBB813_396:
	s_or_b32 exec_lo, exec_lo, s0
	v_add_nc_u32_e32 v23, -1, v41
	s_waitcnt lgkmcnt(0)
	v_add_nc_u32_e32 v19, v22, v19
	s_delay_alu instid0(VALU_DEP_2) | instskip(SKIP_2) | instid1(VALU_DEP_2)
	v_cmp_gt_i32_e32 vcc_lo, 0, v23
	v_cndmask_b32_e32 v23, v23, v41, vcc_lo
	v_cmp_eq_u32_e32 vcc_lo, 0, v0
	v_lshlrev_b32_e32 v23, 2, v23
	ds_bpermute_b32 v23, v23, v19
	ds_load_b32 v19, v20 offset:60
	s_and_saveexec_b32 s0, vcc_lo
	s_cbranch_execz .LBB813_398
; %bb.397:
	v_mov_b32_e32 v24, 0
	v_mov_b32_e32 v20, 2
	s_waitcnt lgkmcnt(0)
	global_store_b64 v24, v[19:20], s[10:11] offset:256
.LBB813_398:
	s_or_b32 exec_lo, exec_lo, s0
	v_cmp_eq_u32_e64 s0, 0, v41
	s_waitcnt lgkmcnt(0)
	s_waitcnt_vscnt null, 0x0
	s_barrier
	buffer_gl0_inv
	v_cndmask_b32_e64 v20, v23, v22, s0
	s_delay_alu instid0(VALU_DEP_1) | instskip(NEXT) | instid1(VALU_DEP_1)
	v_cndmask_b32_e64 v37, v20, 0, vcc_lo
	v_dual_mov_b32 v20, 0 :: v_dual_add_nc_u32 v35, v37, v26
	s_delay_alu instid0(VALU_DEP_1) | instskip(NEXT) | instid1(VALU_DEP_1)
	v_add_nc_u32_e32 v33, v35, v28
	v_add_nc_u32_e32 v31, v33, v30
	s_delay_alu instid0(VALU_DEP_1) | instskip(NEXT) | instid1(VALU_DEP_1)
	v_add_nc_u32_e32 v29, v31, v32
	v_add_nc_u32_e32 v27, v29, v34
	;; [unrolled: 3-line block ×3, first 2 shown]
.LBB813_399:
	s_waitcnt lgkmcnt(0)
	v_cmp_gt_u32_e32 vcc_lo, 0x201, v19
	v_lshrrev_b32_e32 v43, 8, v17
	v_lshrrev_b32_e32 v42, 16, v17
	v_lshrrev_b32_e32 v41, 8, v18
	v_lshrrev_b32_e32 v22, 16, v18
	s_mov_b32 s0, -1
	s_cbranch_vccnz .LBB813_403
; %bb.400:
	s_and_b32 vcc_lo, exec_lo, s0
	s_cbranch_vccnz .LBB813_428
.LBB813_401:
	v_cmp_eq_u32_e32 vcc_lo, 0, v0
	s_and_b32 s0, vcc_lo, s14
	s_delay_alu instid0(SALU_CYCLE_1)
	s_and_saveexec_b32 s1, s0
	s_cbranch_execnz .LBB813_448
.LBB813_402:
	s_nop 0
	s_sendmsg sendmsg(MSG_DEALLOC_VGPRS)
	s_endpgm
.LBB813_403:
	v_add_nc_u32_e32 v24, v20, v19
	s_delay_alu instid0(VALU_DEP_1) | instskip(SKIP_1) | instid1(SALU_CYCLE_1)
	v_cmp_lt_u32_e32 vcc_lo, v37, v24
	s_or_b32 s1, s21, vcc_lo
	s_and_saveexec_b32 s0, s1
	s_cbranch_execz .LBB813_406
; %bb.404:
	v_and_b32_e32 v26, 1, v17
	s_delay_alu instid0(VALU_DEP_1)
	v_cmp_eq_u32_e32 vcc_lo, 1, v26
	s_and_b32 exec_lo, exec_lo, vcc_lo
	s_cbranch_execz .LBB813_406
; %bb.405:
	v_mov_b32_e32 v38, 0
	s_lshl_b64 s[2:3], s[12:13], 3
	s_delay_alu instid0(SALU_CYCLE_1) | instskip(SKIP_1) | instid1(VALU_DEP_1)
	s_add_u32 s1, s8, s2
	s_addc_u32 s2, s9, s3
	v_lshlrev_b64 v[44:45], 3, v[37:38]
	s_delay_alu instid0(VALU_DEP_1) | instskip(NEXT) | instid1(VALU_DEP_2)
	v_add_co_u32 v44, vcc_lo, s1, v44
	v_add_co_ci_u32_e32 v45, vcc_lo, s2, v45, vcc_lo
	global_store_b64 v[44:45], v[13:14], off
.LBB813_406:
	s_or_b32 exec_lo, exec_lo, s0
	v_cmp_lt_u32_e32 vcc_lo, v35, v24
	s_or_b32 s1, s21, vcc_lo
	s_delay_alu instid0(SALU_CYCLE_1)
	s_and_saveexec_b32 s0, s1
	s_cbranch_execz .LBB813_409
; %bb.407:
	v_and_b32_e32 v26, 1, v43
	s_delay_alu instid0(VALU_DEP_1)
	v_cmp_eq_u32_e32 vcc_lo, 1, v26
	s_and_b32 exec_lo, exec_lo, vcc_lo
	s_cbranch_execz .LBB813_409
; %bb.408:
	v_mov_b32_e32 v36, 0
	s_lshl_b64 s[2:3], s[12:13], 3
	s_delay_alu instid0(SALU_CYCLE_1) | instskip(SKIP_1) | instid1(VALU_DEP_1)
	s_add_u32 s1, s8, s2
	s_addc_u32 s2, s9, s3
	v_lshlrev_b64 v[44:45], 3, v[35:36]
	s_delay_alu instid0(VALU_DEP_1) | instskip(NEXT) | instid1(VALU_DEP_2)
	v_add_co_u32 v44, vcc_lo, s1, v44
	v_add_co_ci_u32_e32 v45, vcc_lo, s2, v45, vcc_lo
	global_store_b64 v[44:45], v[15:16], off
.LBB813_409:
	s_or_b32 exec_lo, exec_lo, s0
	v_cmp_lt_u32_e32 vcc_lo, v33, v24
	s_or_b32 s1, s21, vcc_lo
	s_delay_alu instid0(SALU_CYCLE_1)
	;; [unrolled: 24-line block ×7, first 2 shown]
	s_and_saveexec_b32 s0, s1
	s_cbranch_execz .LBB813_427
; %bb.425:
	v_and_b32_e32 v24, 1, v40
	s_delay_alu instid0(VALU_DEP_1)
	v_cmp_eq_u32_e32 vcc_lo, 1, v24
	s_and_b32 exec_lo, exec_lo, vcc_lo
	s_cbranch_execz .LBB813_427
; %bb.426:
	v_mov_b32_e32 v24, 0
	s_lshl_b64 s[2:3], s[12:13], 3
	s_delay_alu instid0(SALU_CYCLE_1) | instskip(SKIP_1) | instid1(VALU_DEP_1)
	s_add_u32 s1, s8, s2
	s_addc_u32 s2, s9, s3
	v_lshlrev_b64 v[44:45], 3, v[23:24]
	s_delay_alu instid0(VALU_DEP_1) | instskip(NEXT) | instid1(VALU_DEP_2)
	v_add_co_u32 v44, vcc_lo, s1, v44
	v_add_co_ci_u32_e32 v45, vcc_lo, s2, v45, vcc_lo
	global_store_b64 v[44:45], v[3:4], off
.LBB813_427:
	s_or_b32 exec_lo, exec_lo, s0
	s_branch .LBB813_401
.LBB813_428:
	v_and_b32_e32 v17, 1, v17
	s_mov_b32 s0, exec_lo
	s_delay_alu instid0(VALU_DEP_1)
	v_cmpx_eq_u32_e32 1, v17
	s_cbranch_execz .LBB813_430
; %bb.429:
	v_sub_nc_u32_e32 v17, v37, v20
	s_delay_alu instid0(VALU_DEP_1)
	v_lshlrev_b32_e32 v17, 3, v17
	ds_store_b64 v17, v[13:14]
.LBB813_430:
	s_or_b32 exec_lo, exec_lo, s0
	v_and_b32_e32 v13, 1, v43
	s_mov_b32 s0, exec_lo
	s_delay_alu instid0(VALU_DEP_1)
	v_cmpx_eq_u32_e32 1, v13
	s_cbranch_execz .LBB813_432
; %bb.431:
	v_sub_nc_u32_e32 v13, v35, v20
	s_delay_alu instid0(VALU_DEP_1)
	v_lshlrev_b32_e32 v13, 3, v13
	ds_store_b64 v13, v[15:16]
.LBB813_432:
	s_or_b32 exec_lo, exec_lo, s0
	;; [unrolled: 12-line block ×8, first 2 shown]
	s_delay_alu instid0(SALU_CYCLE_1)
	s_mov_b32 s1, exec_lo
	s_waitcnt lgkmcnt(0)
	s_waitcnt_vscnt null, 0x0
	s_barrier
	buffer_gl0_inv
	v_cmpx_lt_u32_e64 v0, v19
	s_cbranch_execz .LBB813_447
; %bb.445:
	v_dual_mov_b32 v2, 0 :: v_dual_mov_b32 v1, v20
	s_lshl_b64 s[2:3], s[12:13], 3
	v_mov_b32_e32 v3, v0
	s_delay_alu instid0(VALU_DEP_2) | instskip(NEXT) | instid1(VALU_DEP_1)
	v_lshlrev_b64 v[1:2], 3, v[1:2]
	v_add_co_u32 v1, vcc_lo, s2, v1
	s_delay_alu instid0(VALU_DEP_2) | instskip(SKIP_1) | instid1(VALU_DEP_2)
	v_add_co_ci_u32_e32 v2, vcc_lo, s3, v2, vcc_lo
	s_mov_b32 s2, 0
	v_add_co_u32 v1, vcc_lo, s8, v1
	s_delay_alu instid0(VALU_DEP_2) | instskip(NEXT) | instid1(VALU_DEP_2)
	v_add_co_ci_u32_e32 v2, vcc_lo, s9, v2, vcc_lo
	v_add_co_u32 v1, vcc_lo, v1, v39
	s_delay_alu instid0(VALU_DEP_2)
	v_add_co_ci_u32_e32 v2, vcc_lo, 0, v2, vcc_lo
	.p2align	6
.LBB813_446:                            ; =>This Inner Loop Header: Depth=1
	ds_load_b64 v[4:5], v39
	v_add_nc_u32_e32 v3, 0x200, v3
	v_add_nc_u32_e32 v39, 0x1000, v39
	s_delay_alu instid0(VALU_DEP_2) | instskip(SKIP_4) | instid1(VALU_DEP_1)
	v_cmp_ge_u32_e32 vcc_lo, v3, v19
	s_or_b32 s2, vcc_lo, s2
	s_waitcnt lgkmcnt(0)
	global_store_b64 v[1:2], v[4:5], off
	v_add_co_u32 v1, s0, 0x1000, v1
	v_add_co_ci_u32_e64 v2, s0, 0, v2, s0
	s_and_not1_b32 exec_lo, exec_lo, s2
	s_cbranch_execnz .LBB813_446
.LBB813_447:
	s_or_b32 exec_lo, exec_lo, s1
	v_cmp_eq_u32_e32 vcc_lo, 0, v0
	s_and_b32 s0, vcc_lo, s14
	s_delay_alu instid0(SALU_CYCLE_1)
	s_and_saveexec_b32 s1, s0
	s_cbranch_execz .LBB813_402
.LBB813_448:
	v_add_co_u32 v0, s0, s12, v19
	s_delay_alu instid0(VALU_DEP_1) | instskip(SKIP_1) | instid1(VALU_DEP_3)
	v_add_co_ci_u32_e64 v1, null, s13, 0, s0
	v_mov_b32_e32 v2, 0
	v_add_co_u32 v0, vcc_lo, v0, v20
	s_delay_alu instid0(VALU_DEP_3)
	v_add_co_ci_u32_e32 v1, vcc_lo, 0, v1, vcc_lo
	global_store_b64 v2, v[0:1], s[16:17]
	s_nop 0
	s_sendmsg sendmsg(MSG_DEALLOC_VGPRS)
	s_endpgm
	.section	.rodata,"a",@progbits
	.p2align	6, 0x0
	.amdhsa_kernel _ZN7rocprim17ROCPRIM_400000_NS6detail17trampoline_kernelINS0_14default_configENS1_25partition_config_selectorILNS1_17partition_subalgoE8ElNS0_10empty_typeEbEEZZNS1_14partition_implILS5_8ELb0ES3_jPlPS6_PKS6_NS0_5tupleIJS9_S6_EEENSD_IJSA_SA_EEENS0_18inequality_wrapperIZN2at6native12_GLOBAL__N_124unique_dim_cuda_templateIdEESt5tupleIJNSH_6TensorESM_SM_EERKSM_lbbbEUlllE0_EEPmJS6_EEE10hipError_tPvRmT3_T4_T5_T6_T7_T9_mT8_P12ihipStream_tbDpT10_ENKUlT_T0_E_clISt17integral_constantIbLb0EES1C_EEDaS17_S18_EUlS17_E_NS1_11comp_targetILNS1_3genE9ELNS1_11target_archE1100ELNS1_3gpuE3ELNS1_3repE0EEENS1_30default_config_static_selectorELNS0_4arch9wavefront6targetE0EEEvT1_
		.amdhsa_group_segment_fixed_size 33804
		.amdhsa_private_segment_fixed_size 0
		.amdhsa_kernarg_size 120
		.amdhsa_user_sgpr_count 15
		.amdhsa_user_sgpr_dispatch_ptr 0
		.amdhsa_user_sgpr_queue_ptr 0
		.amdhsa_user_sgpr_kernarg_segment_ptr 1
		.amdhsa_user_sgpr_dispatch_id 0
		.amdhsa_user_sgpr_private_segment_size 0
		.amdhsa_wavefront_size32 1
		.amdhsa_uses_dynamic_stack 0
		.amdhsa_enable_private_segment 0
		.amdhsa_system_sgpr_workgroup_id_x 1
		.amdhsa_system_sgpr_workgroup_id_y 0
		.amdhsa_system_sgpr_workgroup_id_z 0
		.amdhsa_system_sgpr_workgroup_info 0
		.amdhsa_system_vgpr_workitem_id 0
		.amdhsa_next_free_vgpr 52
		.amdhsa_next_free_sgpr 36
		.amdhsa_reserve_vcc 1
		.amdhsa_float_round_mode_32 0
		.amdhsa_float_round_mode_16_64 0
		.amdhsa_float_denorm_mode_32 3
		.amdhsa_float_denorm_mode_16_64 3
		.amdhsa_dx10_clamp 1
		.amdhsa_ieee_mode 1
		.amdhsa_fp16_overflow 0
		.amdhsa_workgroup_processor_mode 1
		.amdhsa_memory_ordered 1
		.amdhsa_forward_progress 0
		.amdhsa_shared_vgpr_count 0
		.amdhsa_exception_fp_ieee_invalid_op 0
		.amdhsa_exception_fp_denorm_src 0
		.amdhsa_exception_fp_ieee_div_zero 0
		.amdhsa_exception_fp_ieee_overflow 0
		.amdhsa_exception_fp_ieee_underflow 0
		.amdhsa_exception_fp_ieee_inexact 0
		.amdhsa_exception_int_div_zero 0
	.end_amdhsa_kernel
	.section	.text._ZN7rocprim17ROCPRIM_400000_NS6detail17trampoline_kernelINS0_14default_configENS1_25partition_config_selectorILNS1_17partition_subalgoE8ElNS0_10empty_typeEbEEZZNS1_14partition_implILS5_8ELb0ES3_jPlPS6_PKS6_NS0_5tupleIJS9_S6_EEENSD_IJSA_SA_EEENS0_18inequality_wrapperIZN2at6native12_GLOBAL__N_124unique_dim_cuda_templateIdEESt5tupleIJNSH_6TensorESM_SM_EERKSM_lbbbEUlllE0_EEPmJS6_EEE10hipError_tPvRmT3_T4_T5_T6_T7_T9_mT8_P12ihipStream_tbDpT10_ENKUlT_T0_E_clISt17integral_constantIbLb0EES1C_EEDaS17_S18_EUlS17_E_NS1_11comp_targetILNS1_3genE9ELNS1_11target_archE1100ELNS1_3gpuE3ELNS1_3repE0EEENS1_30default_config_static_selectorELNS0_4arch9wavefront6targetE0EEEvT1_,"axG",@progbits,_ZN7rocprim17ROCPRIM_400000_NS6detail17trampoline_kernelINS0_14default_configENS1_25partition_config_selectorILNS1_17partition_subalgoE8ElNS0_10empty_typeEbEEZZNS1_14partition_implILS5_8ELb0ES3_jPlPS6_PKS6_NS0_5tupleIJS9_S6_EEENSD_IJSA_SA_EEENS0_18inequality_wrapperIZN2at6native12_GLOBAL__N_124unique_dim_cuda_templateIdEESt5tupleIJNSH_6TensorESM_SM_EERKSM_lbbbEUlllE0_EEPmJS6_EEE10hipError_tPvRmT3_T4_T5_T6_T7_T9_mT8_P12ihipStream_tbDpT10_ENKUlT_T0_E_clISt17integral_constantIbLb0EES1C_EEDaS17_S18_EUlS17_E_NS1_11comp_targetILNS1_3genE9ELNS1_11target_archE1100ELNS1_3gpuE3ELNS1_3repE0EEENS1_30default_config_static_selectorELNS0_4arch9wavefront6targetE0EEEvT1_,comdat
.Lfunc_end813:
	.size	_ZN7rocprim17ROCPRIM_400000_NS6detail17trampoline_kernelINS0_14default_configENS1_25partition_config_selectorILNS1_17partition_subalgoE8ElNS0_10empty_typeEbEEZZNS1_14partition_implILS5_8ELb0ES3_jPlPS6_PKS6_NS0_5tupleIJS9_S6_EEENSD_IJSA_SA_EEENS0_18inequality_wrapperIZN2at6native12_GLOBAL__N_124unique_dim_cuda_templateIdEESt5tupleIJNSH_6TensorESM_SM_EERKSM_lbbbEUlllE0_EEPmJS6_EEE10hipError_tPvRmT3_T4_T5_T6_T7_T9_mT8_P12ihipStream_tbDpT10_ENKUlT_T0_E_clISt17integral_constantIbLb0EES1C_EEDaS17_S18_EUlS17_E_NS1_11comp_targetILNS1_3genE9ELNS1_11target_archE1100ELNS1_3gpuE3ELNS1_3repE0EEENS1_30default_config_static_selectorELNS0_4arch9wavefront6targetE0EEEvT1_, .Lfunc_end813-_ZN7rocprim17ROCPRIM_400000_NS6detail17trampoline_kernelINS0_14default_configENS1_25partition_config_selectorILNS1_17partition_subalgoE8ElNS0_10empty_typeEbEEZZNS1_14partition_implILS5_8ELb0ES3_jPlPS6_PKS6_NS0_5tupleIJS9_S6_EEENSD_IJSA_SA_EEENS0_18inequality_wrapperIZN2at6native12_GLOBAL__N_124unique_dim_cuda_templateIdEESt5tupleIJNSH_6TensorESM_SM_EERKSM_lbbbEUlllE0_EEPmJS6_EEE10hipError_tPvRmT3_T4_T5_T6_T7_T9_mT8_P12ihipStream_tbDpT10_ENKUlT_T0_E_clISt17integral_constantIbLb0EES1C_EEDaS17_S18_EUlS17_E_NS1_11comp_targetILNS1_3genE9ELNS1_11target_archE1100ELNS1_3gpuE3ELNS1_3repE0EEENS1_30default_config_static_selectorELNS0_4arch9wavefront6targetE0EEEvT1_
                                        ; -- End function
	.section	.AMDGPU.csdata,"",@progbits
; Kernel info:
; codeLenInByte = 18232
; NumSgprs: 38
; NumVgprs: 52
; ScratchSize: 0
; MemoryBound: 1
; FloatMode: 240
; IeeeMode: 1
; LDSByteSize: 33804 bytes/workgroup (compile time only)
; SGPRBlocks: 4
; VGPRBlocks: 6
; NumSGPRsForWavesPerEU: 38
; NumVGPRsForWavesPerEU: 52
; Occupancy: 12
; WaveLimiterHint : 1
; COMPUTE_PGM_RSRC2:SCRATCH_EN: 0
; COMPUTE_PGM_RSRC2:USER_SGPR: 15
; COMPUTE_PGM_RSRC2:TRAP_HANDLER: 0
; COMPUTE_PGM_RSRC2:TGID_X_EN: 1
; COMPUTE_PGM_RSRC2:TGID_Y_EN: 0
; COMPUTE_PGM_RSRC2:TGID_Z_EN: 0
; COMPUTE_PGM_RSRC2:TIDIG_COMP_CNT: 0
	.section	.text._ZN7rocprim17ROCPRIM_400000_NS6detail17trampoline_kernelINS0_14default_configENS1_25partition_config_selectorILNS1_17partition_subalgoE8ElNS0_10empty_typeEbEEZZNS1_14partition_implILS5_8ELb0ES3_jPlPS6_PKS6_NS0_5tupleIJS9_S6_EEENSD_IJSA_SA_EEENS0_18inequality_wrapperIZN2at6native12_GLOBAL__N_124unique_dim_cuda_templateIdEESt5tupleIJNSH_6TensorESM_SM_EERKSM_lbbbEUlllE0_EEPmJS6_EEE10hipError_tPvRmT3_T4_T5_T6_T7_T9_mT8_P12ihipStream_tbDpT10_ENKUlT_T0_E_clISt17integral_constantIbLb0EES1C_EEDaS17_S18_EUlS17_E_NS1_11comp_targetILNS1_3genE8ELNS1_11target_archE1030ELNS1_3gpuE2ELNS1_3repE0EEENS1_30default_config_static_selectorELNS0_4arch9wavefront6targetE0EEEvT1_,"axG",@progbits,_ZN7rocprim17ROCPRIM_400000_NS6detail17trampoline_kernelINS0_14default_configENS1_25partition_config_selectorILNS1_17partition_subalgoE8ElNS0_10empty_typeEbEEZZNS1_14partition_implILS5_8ELb0ES3_jPlPS6_PKS6_NS0_5tupleIJS9_S6_EEENSD_IJSA_SA_EEENS0_18inequality_wrapperIZN2at6native12_GLOBAL__N_124unique_dim_cuda_templateIdEESt5tupleIJNSH_6TensorESM_SM_EERKSM_lbbbEUlllE0_EEPmJS6_EEE10hipError_tPvRmT3_T4_T5_T6_T7_T9_mT8_P12ihipStream_tbDpT10_ENKUlT_T0_E_clISt17integral_constantIbLb0EES1C_EEDaS17_S18_EUlS17_E_NS1_11comp_targetILNS1_3genE8ELNS1_11target_archE1030ELNS1_3gpuE2ELNS1_3repE0EEENS1_30default_config_static_selectorELNS0_4arch9wavefront6targetE0EEEvT1_,comdat
	.globl	_ZN7rocprim17ROCPRIM_400000_NS6detail17trampoline_kernelINS0_14default_configENS1_25partition_config_selectorILNS1_17partition_subalgoE8ElNS0_10empty_typeEbEEZZNS1_14partition_implILS5_8ELb0ES3_jPlPS6_PKS6_NS0_5tupleIJS9_S6_EEENSD_IJSA_SA_EEENS0_18inequality_wrapperIZN2at6native12_GLOBAL__N_124unique_dim_cuda_templateIdEESt5tupleIJNSH_6TensorESM_SM_EERKSM_lbbbEUlllE0_EEPmJS6_EEE10hipError_tPvRmT3_T4_T5_T6_T7_T9_mT8_P12ihipStream_tbDpT10_ENKUlT_T0_E_clISt17integral_constantIbLb0EES1C_EEDaS17_S18_EUlS17_E_NS1_11comp_targetILNS1_3genE8ELNS1_11target_archE1030ELNS1_3gpuE2ELNS1_3repE0EEENS1_30default_config_static_selectorELNS0_4arch9wavefront6targetE0EEEvT1_ ; -- Begin function _ZN7rocprim17ROCPRIM_400000_NS6detail17trampoline_kernelINS0_14default_configENS1_25partition_config_selectorILNS1_17partition_subalgoE8ElNS0_10empty_typeEbEEZZNS1_14partition_implILS5_8ELb0ES3_jPlPS6_PKS6_NS0_5tupleIJS9_S6_EEENSD_IJSA_SA_EEENS0_18inequality_wrapperIZN2at6native12_GLOBAL__N_124unique_dim_cuda_templateIdEESt5tupleIJNSH_6TensorESM_SM_EERKSM_lbbbEUlllE0_EEPmJS6_EEE10hipError_tPvRmT3_T4_T5_T6_T7_T9_mT8_P12ihipStream_tbDpT10_ENKUlT_T0_E_clISt17integral_constantIbLb0EES1C_EEDaS17_S18_EUlS17_E_NS1_11comp_targetILNS1_3genE8ELNS1_11target_archE1030ELNS1_3gpuE2ELNS1_3repE0EEENS1_30default_config_static_selectorELNS0_4arch9wavefront6targetE0EEEvT1_
	.p2align	8
	.type	_ZN7rocprim17ROCPRIM_400000_NS6detail17trampoline_kernelINS0_14default_configENS1_25partition_config_selectorILNS1_17partition_subalgoE8ElNS0_10empty_typeEbEEZZNS1_14partition_implILS5_8ELb0ES3_jPlPS6_PKS6_NS0_5tupleIJS9_S6_EEENSD_IJSA_SA_EEENS0_18inequality_wrapperIZN2at6native12_GLOBAL__N_124unique_dim_cuda_templateIdEESt5tupleIJNSH_6TensorESM_SM_EERKSM_lbbbEUlllE0_EEPmJS6_EEE10hipError_tPvRmT3_T4_T5_T6_T7_T9_mT8_P12ihipStream_tbDpT10_ENKUlT_T0_E_clISt17integral_constantIbLb0EES1C_EEDaS17_S18_EUlS17_E_NS1_11comp_targetILNS1_3genE8ELNS1_11target_archE1030ELNS1_3gpuE2ELNS1_3repE0EEENS1_30default_config_static_selectorELNS0_4arch9wavefront6targetE0EEEvT1_,@function
_ZN7rocprim17ROCPRIM_400000_NS6detail17trampoline_kernelINS0_14default_configENS1_25partition_config_selectorILNS1_17partition_subalgoE8ElNS0_10empty_typeEbEEZZNS1_14partition_implILS5_8ELb0ES3_jPlPS6_PKS6_NS0_5tupleIJS9_S6_EEENSD_IJSA_SA_EEENS0_18inequality_wrapperIZN2at6native12_GLOBAL__N_124unique_dim_cuda_templateIdEESt5tupleIJNSH_6TensorESM_SM_EERKSM_lbbbEUlllE0_EEPmJS6_EEE10hipError_tPvRmT3_T4_T5_T6_T7_T9_mT8_P12ihipStream_tbDpT10_ENKUlT_T0_E_clISt17integral_constantIbLb0EES1C_EEDaS17_S18_EUlS17_E_NS1_11comp_targetILNS1_3genE8ELNS1_11target_archE1030ELNS1_3gpuE2ELNS1_3repE0EEENS1_30default_config_static_selectorELNS0_4arch9wavefront6targetE0EEEvT1_: ; @_ZN7rocprim17ROCPRIM_400000_NS6detail17trampoline_kernelINS0_14default_configENS1_25partition_config_selectorILNS1_17partition_subalgoE8ElNS0_10empty_typeEbEEZZNS1_14partition_implILS5_8ELb0ES3_jPlPS6_PKS6_NS0_5tupleIJS9_S6_EEENSD_IJSA_SA_EEENS0_18inequality_wrapperIZN2at6native12_GLOBAL__N_124unique_dim_cuda_templateIdEESt5tupleIJNSH_6TensorESM_SM_EERKSM_lbbbEUlllE0_EEPmJS6_EEE10hipError_tPvRmT3_T4_T5_T6_T7_T9_mT8_P12ihipStream_tbDpT10_ENKUlT_T0_E_clISt17integral_constantIbLb0EES1C_EEDaS17_S18_EUlS17_E_NS1_11comp_targetILNS1_3genE8ELNS1_11target_archE1030ELNS1_3gpuE2ELNS1_3repE0EEENS1_30default_config_static_selectorELNS0_4arch9wavefront6targetE0EEEvT1_
; %bb.0:
	.section	.rodata,"a",@progbits
	.p2align	6, 0x0
	.amdhsa_kernel _ZN7rocprim17ROCPRIM_400000_NS6detail17trampoline_kernelINS0_14default_configENS1_25partition_config_selectorILNS1_17partition_subalgoE8ElNS0_10empty_typeEbEEZZNS1_14partition_implILS5_8ELb0ES3_jPlPS6_PKS6_NS0_5tupleIJS9_S6_EEENSD_IJSA_SA_EEENS0_18inequality_wrapperIZN2at6native12_GLOBAL__N_124unique_dim_cuda_templateIdEESt5tupleIJNSH_6TensorESM_SM_EERKSM_lbbbEUlllE0_EEPmJS6_EEE10hipError_tPvRmT3_T4_T5_T6_T7_T9_mT8_P12ihipStream_tbDpT10_ENKUlT_T0_E_clISt17integral_constantIbLb0EES1C_EEDaS17_S18_EUlS17_E_NS1_11comp_targetILNS1_3genE8ELNS1_11target_archE1030ELNS1_3gpuE2ELNS1_3repE0EEENS1_30default_config_static_selectorELNS0_4arch9wavefront6targetE0EEEvT1_
		.amdhsa_group_segment_fixed_size 0
		.amdhsa_private_segment_fixed_size 0
		.amdhsa_kernarg_size 120
		.amdhsa_user_sgpr_count 15
		.amdhsa_user_sgpr_dispatch_ptr 0
		.amdhsa_user_sgpr_queue_ptr 0
		.amdhsa_user_sgpr_kernarg_segment_ptr 1
		.amdhsa_user_sgpr_dispatch_id 0
		.amdhsa_user_sgpr_private_segment_size 0
		.amdhsa_wavefront_size32 1
		.amdhsa_uses_dynamic_stack 0
		.amdhsa_enable_private_segment 0
		.amdhsa_system_sgpr_workgroup_id_x 1
		.amdhsa_system_sgpr_workgroup_id_y 0
		.amdhsa_system_sgpr_workgroup_id_z 0
		.amdhsa_system_sgpr_workgroup_info 0
		.amdhsa_system_vgpr_workitem_id 0
		.amdhsa_next_free_vgpr 1
		.amdhsa_next_free_sgpr 1
		.amdhsa_reserve_vcc 0
		.amdhsa_float_round_mode_32 0
		.amdhsa_float_round_mode_16_64 0
		.amdhsa_float_denorm_mode_32 3
		.amdhsa_float_denorm_mode_16_64 3
		.amdhsa_dx10_clamp 1
		.amdhsa_ieee_mode 1
		.amdhsa_fp16_overflow 0
		.amdhsa_workgroup_processor_mode 1
		.amdhsa_memory_ordered 1
		.amdhsa_forward_progress 0
		.amdhsa_shared_vgpr_count 0
		.amdhsa_exception_fp_ieee_invalid_op 0
		.amdhsa_exception_fp_denorm_src 0
		.amdhsa_exception_fp_ieee_div_zero 0
		.amdhsa_exception_fp_ieee_overflow 0
		.amdhsa_exception_fp_ieee_underflow 0
		.amdhsa_exception_fp_ieee_inexact 0
		.amdhsa_exception_int_div_zero 0
	.end_amdhsa_kernel
	.section	.text._ZN7rocprim17ROCPRIM_400000_NS6detail17trampoline_kernelINS0_14default_configENS1_25partition_config_selectorILNS1_17partition_subalgoE8ElNS0_10empty_typeEbEEZZNS1_14partition_implILS5_8ELb0ES3_jPlPS6_PKS6_NS0_5tupleIJS9_S6_EEENSD_IJSA_SA_EEENS0_18inequality_wrapperIZN2at6native12_GLOBAL__N_124unique_dim_cuda_templateIdEESt5tupleIJNSH_6TensorESM_SM_EERKSM_lbbbEUlllE0_EEPmJS6_EEE10hipError_tPvRmT3_T4_T5_T6_T7_T9_mT8_P12ihipStream_tbDpT10_ENKUlT_T0_E_clISt17integral_constantIbLb0EES1C_EEDaS17_S18_EUlS17_E_NS1_11comp_targetILNS1_3genE8ELNS1_11target_archE1030ELNS1_3gpuE2ELNS1_3repE0EEENS1_30default_config_static_selectorELNS0_4arch9wavefront6targetE0EEEvT1_,"axG",@progbits,_ZN7rocprim17ROCPRIM_400000_NS6detail17trampoline_kernelINS0_14default_configENS1_25partition_config_selectorILNS1_17partition_subalgoE8ElNS0_10empty_typeEbEEZZNS1_14partition_implILS5_8ELb0ES3_jPlPS6_PKS6_NS0_5tupleIJS9_S6_EEENSD_IJSA_SA_EEENS0_18inequality_wrapperIZN2at6native12_GLOBAL__N_124unique_dim_cuda_templateIdEESt5tupleIJNSH_6TensorESM_SM_EERKSM_lbbbEUlllE0_EEPmJS6_EEE10hipError_tPvRmT3_T4_T5_T6_T7_T9_mT8_P12ihipStream_tbDpT10_ENKUlT_T0_E_clISt17integral_constantIbLb0EES1C_EEDaS17_S18_EUlS17_E_NS1_11comp_targetILNS1_3genE8ELNS1_11target_archE1030ELNS1_3gpuE2ELNS1_3repE0EEENS1_30default_config_static_selectorELNS0_4arch9wavefront6targetE0EEEvT1_,comdat
.Lfunc_end814:
	.size	_ZN7rocprim17ROCPRIM_400000_NS6detail17trampoline_kernelINS0_14default_configENS1_25partition_config_selectorILNS1_17partition_subalgoE8ElNS0_10empty_typeEbEEZZNS1_14partition_implILS5_8ELb0ES3_jPlPS6_PKS6_NS0_5tupleIJS9_S6_EEENSD_IJSA_SA_EEENS0_18inequality_wrapperIZN2at6native12_GLOBAL__N_124unique_dim_cuda_templateIdEESt5tupleIJNSH_6TensorESM_SM_EERKSM_lbbbEUlllE0_EEPmJS6_EEE10hipError_tPvRmT3_T4_T5_T6_T7_T9_mT8_P12ihipStream_tbDpT10_ENKUlT_T0_E_clISt17integral_constantIbLb0EES1C_EEDaS17_S18_EUlS17_E_NS1_11comp_targetILNS1_3genE8ELNS1_11target_archE1030ELNS1_3gpuE2ELNS1_3repE0EEENS1_30default_config_static_selectorELNS0_4arch9wavefront6targetE0EEEvT1_, .Lfunc_end814-_ZN7rocprim17ROCPRIM_400000_NS6detail17trampoline_kernelINS0_14default_configENS1_25partition_config_selectorILNS1_17partition_subalgoE8ElNS0_10empty_typeEbEEZZNS1_14partition_implILS5_8ELb0ES3_jPlPS6_PKS6_NS0_5tupleIJS9_S6_EEENSD_IJSA_SA_EEENS0_18inequality_wrapperIZN2at6native12_GLOBAL__N_124unique_dim_cuda_templateIdEESt5tupleIJNSH_6TensorESM_SM_EERKSM_lbbbEUlllE0_EEPmJS6_EEE10hipError_tPvRmT3_T4_T5_T6_T7_T9_mT8_P12ihipStream_tbDpT10_ENKUlT_T0_E_clISt17integral_constantIbLb0EES1C_EEDaS17_S18_EUlS17_E_NS1_11comp_targetILNS1_3genE8ELNS1_11target_archE1030ELNS1_3gpuE2ELNS1_3repE0EEENS1_30default_config_static_selectorELNS0_4arch9wavefront6targetE0EEEvT1_
                                        ; -- End function
	.section	.AMDGPU.csdata,"",@progbits
; Kernel info:
; codeLenInByte = 0
; NumSgprs: 0
; NumVgprs: 0
; ScratchSize: 0
; MemoryBound: 0
; FloatMode: 240
; IeeeMode: 1
; LDSByteSize: 0 bytes/workgroup (compile time only)
; SGPRBlocks: 0
; VGPRBlocks: 0
; NumSGPRsForWavesPerEU: 1
; NumVGPRsForWavesPerEU: 1
; Occupancy: 16
; WaveLimiterHint : 0
; COMPUTE_PGM_RSRC2:SCRATCH_EN: 0
; COMPUTE_PGM_RSRC2:USER_SGPR: 15
; COMPUTE_PGM_RSRC2:TRAP_HANDLER: 0
; COMPUTE_PGM_RSRC2:TGID_X_EN: 1
; COMPUTE_PGM_RSRC2:TGID_Y_EN: 0
; COMPUTE_PGM_RSRC2:TGID_Z_EN: 0
; COMPUTE_PGM_RSRC2:TIDIG_COMP_CNT: 0
	.section	.text._ZN7rocprim17ROCPRIM_400000_NS6detail17trampoline_kernelINS0_14default_configENS1_25partition_config_selectorILNS1_17partition_subalgoE8ElNS0_10empty_typeEbEEZZNS1_14partition_implILS5_8ELb0ES3_jPlPS6_PKS6_NS0_5tupleIJS9_S6_EEENSD_IJSA_SA_EEENS0_18inequality_wrapperIZN2at6native12_GLOBAL__N_124unique_dim_cuda_templateIdEESt5tupleIJNSH_6TensorESM_SM_EERKSM_lbbbEUlllE0_EEPmJS6_EEE10hipError_tPvRmT3_T4_T5_T6_T7_T9_mT8_P12ihipStream_tbDpT10_ENKUlT_T0_E_clISt17integral_constantIbLb1EES1C_EEDaS17_S18_EUlS17_E_NS1_11comp_targetILNS1_3genE0ELNS1_11target_archE4294967295ELNS1_3gpuE0ELNS1_3repE0EEENS1_30default_config_static_selectorELNS0_4arch9wavefront6targetE0EEEvT1_,"axG",@progbits,_ZN7rocprim17ROCPRIM_400000_NS6detail17trampoline_kernelINS0_14default_configENS1_25partition_config_selectorILNS1_17partition_subalgoE8ElNS0_10empty_typeEbEEZZNS1_14partition_implILS5_8ELb0ES3_jPlPS6_PKS6_NS0_5tupleIJS9_S6_EEENSD_IJSA_SA_EEENS0_18inequality_wrapperIZN2at6native12_GLOBAL__N_124unique_dim_cuda_templateIdEESt5tupleIJNSH_6TensorESM_SM_EERKSM_lbbbEUlllE0_EEPmJS6_EEE10hipError_tPvRmT3_T4_T5_T6_T7_T9_mT8_P12ihipStream_tbDpT10_ENKUlT_T0_E_clISt17integral_constantIbLb1EES1C_EEDaS17_S18_EUlS17_E_NS1_11comp_targetILNS1_3genE0ELNS1_11target_archE4294967295ELNS1_3gpuE0ELNS1_3repE0EEENS1_30default_config_static_selectorELNS0_4arch9wavefront6targetE0EEEvT1_,comdat
	.globl	_ZN7rocprim17ROCPRIM_400000_NS6detail17trampoline_kernelINS0_14default_configENS1_25partition_config_selectorILNS1_17partition_subalgoE8ElNS0_10empty_typeEbEEZZNS1_14partition_implILS5_8ELb0ES3_jPlPS6_PKS6_NS0_5tupleIJS9_S6_EEENSD_IJSA_SA_EEENS0_18inequality_wrapperIZN2at6native12_GLOBAL__N_124unique_dim_cuda_templateIdEESt5tupleIJNSH_6TensorESM_SM_EERKSM_lbbbEUlllE0_EEPmJS6_EEE10hipError_tPvRmT3_T4_T5_T6_T7_T9_mT8_P12ihipStream_tbDpT10_ENKUlT_T0_E_clISt17integral_constantIbLb1EES1C_EEDaS17_S18_EUlS17_E_NS1_11comp_targetILNS1_3genE0ELNS1_11target_archE4294967295ELNS1_3gpuE0ELNS1_3repE0EEENS1_30default_config_static_selectorELNS0_4arch9wavefront6targetE0EEEvT1_ ; -- Begin function _ZN7rocprim17ROCPRIM_400000_NS6detail17trampoline_kernelINS0_14default_configENS1_25partition_config_selectorILNS1_17partition_subalgoE8ElNS0_10empty_typeEbEEZZNS1_14partition_implILS5_8ELb0ES3_jPlPS6_PKS6_NS0_5tupleIJS9_S6_EEENSD_IJSA_SA_EEENS0_18inequality_wrapperIZN2at6native12_GLOBAL__N_124unique_dim_cuda_templateIdEESt5tupleIJNSH_6TensorESM_SM_EERKSM_lbbbEUlllE0_EEPmJS6_EEE10hipError_tPvRmT3_T4_T5_T6_T7_T9_mT8_P12ihipStream_tbDpT10_ENKUlT_T0_E_clISt17integral_constantIbLb1EES1C_EEDaS17_S18_EUlS17_E_NS1_11comp_targetILNS1_3genE0ELNS1_11target_archE4294967295ELNS1_3gpuE0ELNS1_3repE0EEENS1_30default_config_static_selectorELNS0_4arch9wavefront6targetE0EEEvT1_
	.p2align	8
	.type	_ZN7rocprim17ROCPRIM_400000_NS6detail17trampoline_kernelINS0_14default_configENS1_25partition_config_selectorILNS1_17partition_subalgoE8ElNS0_10empty_typeEbEEZZNS1_14partition_implILS5_8ELb0ES3_jPlPS6_PKS6_NS0_5tupleIJS9_S6_EEENSD_IJSA_SA_EEENS0_18inequality_wrapperIZN2at6native12_GLOBAL__N_124unique_dim_cuda_templateIdEESt5tupleIJNSH_6TensorESM_SM_EERKSM_lbbbEUlllE0_EEPmJS6_EEE10hipError_tPvRmT3_T4_T5_T6_T7_T9_mT8_P12ihipStream_tbDpT10_ENKUlT_T0_E_clISt17integral_constantIbLb1EES1C_EEDaS17_S18_EUlS17_E_NS1_11comp_targetILNS1_3genE0ELNS1_11target_archE4294967295ELNS1_3gpuE0ELNS1_3repE0EEENS1_30default_config_static_selectorELNS0_4arch9wavefront6targetE0EEEvT1_,@function
_ZN7rocprim17ROCPRIM_400000_NS6detail17trampoline_kernelINS0_14default_configENS1_25partition_config_selectorILNS1_17partition_subalgoE8ElNS0_10empty_typeEbEEZZNS1_14partition_implILS5_8ELb0ES3_jPlPS6_PKS6_NS0_5tupleIJS9_S6_EEENSD_IJSA_SA_EEENS0_18inequality_wrapperIZN2at6native12_GLOBAL__N_124unique_dim_cuda_templateIdEESt5tupleIJNSH_6TensorESM_SM_EERKSM_lbbbEUlllE0_EEPmJS6_EEE10hipError_tPvRmT3_T4_T5_T6_T7_T9_mT8_P12ihipStream_tbDpT10_ENKUlT_T0_E_clISt17integral_constantIbLb1EES1C_EEDaS17_S18_EUlS17_E_NS1_11comp_targetILNS1_3genE0ELNS1_11target_archE4294967295ELNS1_3gpuE0ELNS1_3repE0EEENS1_30default_config_static_selectorELNS0_4arch9wavefront6targetE0EEEvT1_: ; @_ZN7rocprim17ROCPRIM_400000_NS6detail17trampoline_kernelINS0_14default_configENS1_25partition_config_selectorILNS1_17partition_subalgoE8ElNS0_10empty_typeEbEEZZNS1_14partition_implILS5_8ELb0ES3_jPlPS6_PKS6_NS0_5tupleIJS9_S6_EEENSD_IJSA_SA_EEENS0_18inequality_wrapperIZN2at6native12_GLOBAL__N_124unique_dim_cuda_templateIdEESt5tupleIJNSH_6TensorESM_SM_EERKSM_lbbbEUlllE0_EEPmJS6_EEE10hipError_tPvRmT3_T4_T5_T6_T7_T9_mT8_P12ihipStream_tbDpT10_ENKUlT_T0_E_clISt17integral_constantIbLb1EES1C_EEDaS17_S18_EUlS17_E_NS1_11comp_targetILNS1_3genE0ELNS1_11target_archE4294967295ELNS1_3gpuE0ELNS1_3repE0EEENS1_30default_config_static_selectorELNS0_4arch9wavefront6targetE0EEEvT1_
; %bb.0:
	.section	.rodata,"a",@progbits
	.p2align	6, 0x0
	.amdhsa_kernel _ZN7rocprim17ROCPRIM_400000_NS6detail17trampoline_kernelINS0_14default_configENS1_25partition_config_selectorILNS1_17partition_subalgoE8ElNS0_10empty_typeEbEEZZNS1_14partition_implILS5_8ELb0ES3_jPlPS6_PKS6_NS0_5tupleIJS9_S6_EEENSD_IJSA_SA_EEENS0_18inequality_wrapperIZN2at6native12_GLOBAL__N_124unique_dim_cuda_templateIdEESt5tupleIJNSH_6TensorESM_SM_EERKSM_lbbbEUlllE0_EEPmJS6_EEE10hipError_tPvRmT3_T4_T5_T6_T7_T9_mT8_P12ihipStream_tbDpT10_ENKUlT_T0_E_clISt17integral_constantIbLb1EES1C_EEDaS17_S18_EUlS17_E_NS1_11comp_targetILNS1_3genE0ELNS1_11target_archE4294967295ELNS1_3gpuE0ELNS1_3repE0EEENS1_30default_config_static_selectorELNS0_4arch9wavefront6targetE0EEEvT1_
		.amdhsa_group_segment_fixed_size 0
		.amdhsa_private_segment_fixed_size 0
		.amdhsa_kernarg_size 136
		.amdhsa_user_sgpr_count 15
		.amdhsa_user_sgpr_dispatch_ptr 0
		.amdhsa_user_sgpr_queue_ptr 0
		.amdhsa_user_sgpr_kernarg_segment_ptr 1
		.amdhsa_user_sgpr_dispatch_id 0
		.amdhsa_user_sgpr_private_segment_size 0
		.amdhsa_wavefront_size32 1
		.amdhsa_uses_dynamic_stack 0
		.amdhsa_enable_private_segment 0
		.amdhsa_system_sgpr_workgroup_id_x 1
		.amdhsa_system_sgpr_workgroup_id_y 0
		.amdhsa_system_sgpr_workgroup_id_z 0
		.amdhsa_system_sgpr_workgroup_info 0
		.amdhsa_system_vgpr_workitem_id 0
		.amdhsa_next_free_vgpr 1
		.amdhsa_next_free_sgpr 1
		.amdhsa_reserve_vcc 0
		.amdhsa_float_round_mode_32 0
		.amdhsa_float_round_mode_16_64 0
		.amdhsa_float_denorm_mode_32 3
		.amdhsa_float_denorm_mode_16_64 3
		.amdhsa_dx10_clamp 1
		.amdhsa_ieee_mode 1
		.amdhsa_fp16_overflow 0
		.amdhsa_workgroup_processor_mode 1
		.amdhsa_memory_ordered 1
		.amdhsa_forward_progress 0
		.amdhsa_shared_vgpr_count 0
		.amdhsa_exception_fp_ieee_invalid_op 0
		.amdhsa_exception_fp_denorm_src 0
		.amdhsa_exception_fp_ieee_div_zero 0
		.amdhsa_exception_fp_ieee_overflow 0
		.amdhsa_exception_fp_ieee_underflow 0
		.amdhsa_exception_fp_ieee_inexact 0
		.amdhsa_exception_int_div_zero 0
	.end_amdhsa_kernel
	.section	.text._ZN7rocprim17ROCPRIM_400000_NS6detail17trampoline_kernelINS0_14default_configENS1_25partition_config_selectorILNS1_17partition_subalgoE8ElNS0_10empty_typeEbEEZZNS1_14partition_implILS5_8ELb0ES3_jPlPS6_PKS6_NS0_5tupleIJS9_S6_EEENSD_IJSA_SA_EEENS0_18inequality_wrapperIZN2at6native12_GLOBAL__N_124unique_dim_cuda_templateIdEESt5tupleIJNSH_6TensorESM_SM_EERKSM_lbbbEUlllE0_EEPmJS6_EEE10hipError_tPvRmT3_T4_T5_T6_T7_T9_mT8_P12ihipStream_tbDpT10_ENKUlT_T0_E_clISt17integral_constantIbLb1EES1C_EEDaS17_S18_EUlS17_E_NS1_11comp_targetILNS1_3genE0ELNS1_11target_archE4294967295ELNS1_3gpuE0ELNS1_3repE0EEENS1_30default_config_static_selectorELNS0_4arch9wavefront6targetE0EEEvT1_,"axG",@progbits,_ZN7rocprim17ROCPRIM_400000_NS6detail17trampoline_kernelINS0_14default_configENS1_25partition_config_selectorILNS1_17partition_subalgoE8ElNS0_10empty_typeEbEEZZNS1_14partition_implILS5_8ELb0ES3_jPlPS6_PKS6_NS0_5tupleIJS9_S6_EEENSD_IJSA_SA_EEENS0_18inequality_wrapperIZN2at6native12_GLOBAL__N_124unique_dim_cuda_templateIdEESt5tupleIJNSH_6TensorESM_SM_EERKSM_lbbbEUlllE0_EEPmJS6_EEE10hipError_tPvRmT3_T4_T5_T6_T7_T9_mT8_P12ihipStream_tbDpT10_ENKUlT_T0_E_clISt17integral_constantIbLb1EES1C_EEDaS17_S18_EUlS17_E_NS1_11comp_targetILNS1_3genE0ELNS1_11target_archE4294967295ELNS1_3gpuE0ELNS1_3repE0EEENS1_30default_config_static_selectorELNS0_4arch9wavefront6targetE0EEEvT1_,comdat
.Lfunc_end815:
	.size	_ZN7rocprim17ROCPRIM_400000_NS6detail17trampoline_kernelINS0_14default_configENS1_25partition_config_selectorILNS1_17partition_subalgoE8ElNS0_10empty_typeEbEEZZNS1_14partition_implILS5_8ELb0ES3_jPlPS6_PKS6_NS0_5tupleIJS9_S6_EEENSD_IJSA_SA_EEENS0_18inequality_wrapperIZN2at6native12_GLOBAL__N_124unique_dim_cuda_templateIdEESt5tupleIJNSH_6TensorESM_SM_EERKSM_lbbbEUlllE0_EEPmJS6_EEE10hipError_tPvRmT3_T4_T5_T6_T7_T9_mT8_P12ihipStream_tbDpT10_ENKUlT_T0_E_clISt17integral_constantIbLb1EES1C_EEDaS17_S18_EUlS17_E_NS1_11comp_targetILNS1_3genE0ELNS1_11target_archE4294967295ELNS1_3gpuE0ELNS1_3repE0EEENS1_30default_config_static_selectorELNS0_4arch9wavefront6targetE0EEEvT1_, .Lfunc_end815-_ZN7rocprim17ROCPRIM_400000_NS6detail17trampoline_kernelINS0_14default_configENS1_25partition_config_selectorILNS1_17partition_subalgoE8ElNS0_10empty_typeEbEEZZNS1_14partition_implILS5_8ELb0ES3_jPlPS6_PKS6_NS0_5tupleIJS9_S6_EEENSD_IJSA_SA_EEENS0_18inequality_wrapperIZN2at6native12_GLOBAL__N_124unique_dim_cuda_templateIdEESt5tupleIJNSH_6TensorESM_SM_EERKSM_lbbbEUlllE0_EEPmJS6_EEE10hipError_tPvRmT3_T4_T5_T6_T7_T9_mT8_P12ihipStream_tbDpT10_ENKUlT_T0_E_clISt17integral_constantIbLb1EES1C_EEDaS17_S18_EUlS17_E_NS1_11comp_targetILNS1_3genE0ELNS1_11target_archE4294967295ELNS1_3gpuE0ELNS1_3repE0EEENS1_30default_config_static_selectorELNS0_4arch9wavefront6targetE0EEEvT1_
                                        ; -- End function
	.section	.AMDGPU.csdata,"",@progbits
; Kernel info:
; codeLenInByte = 0
; NumSgprs: 0
; NumVgprs: 0
; ScratchSize: 0
; MemoryBound: 0
; FloatMode: 240
; IeeeMode: 1
; LDSByteSize: 0 bytes/workgroup (compile time only)
; SGPRBlocks: 0
; VGPRBlocks: 0
; NumSGPRsForWavesPerEU: 1
; NumVGPRsForWavesPerEU: 1
; Occupancy: 16
; WaveLimiterHint : 0
; COMPUTE_PGM_RSRC2:SCRATCH_EN: 0
; COMPUTE_PGM_RSRC2:USER_SGPR: 15
; COMPUTE_PGM_RSRC2:TRAP_HANDLER: 0
; COMPUTE_PGM_RSRC2:TGID_X_EN: 1
; COMPUTE_PGM_RSRC2:TGID_Y_EN: 0
; COMPUTE_PGM_RSRC2:TGID_Z_EN: 0
; COMPUTE_PGM_RSRC2:TIDIG_COMP_CNT: 0
	.section	.text._ZN7rocprim17ROCPRIM_400000_NS6detail17trampoline_kernelINS0_14default_configENS1_25partition_config_selectorILNS1_17partition_subalgoE8ElNS0_10empty_typeEbEEZZNS1_14partition_implILS5_8ELb0ES3_jPlPS6_PKS6_NS0_5tupleIJS9_S6_EEENSD_IJSA_SA_EEENS0_18inequality_wrapperIZN2at6native12_GLOBAL__N_124unique_dim_cuda_templateIdEESt5tupleIJNSH_6TensorESM_SM_EERKSM_lbbbEUlllE0_EEPmJS6_EEE10hipError_tPvRmT3_T4_T5_T6_T7_T9_mT8_P12ihipStream_tbDpT10_ENKUlT_T0_E_clISt17integral_constantIbLb1EES1C_EEDaS17_S18_EUlS17_E_NS1_11comp_targetILNS1_3genE5ELNS1_11target_archE942ELNS1_3gpuE9ELNS1_3repE0EEENS1_30default_config_static_selectorELNS0_4arch9wavefront6targetE0EEEvT1_,"axG",@progbits,_ZN7rocprim17ROCPRIM_400000_NS6detail17trampoline_kernelINS0_14default_configENS1_25partition_config_selectorILNS1_17partition_subalgoE8ElNS0_10empty_typeEbEEZZNS1_14partition_implILS5_8ELb0ES3_jPlPS6_PKS6_NS0_5tupleIJS9_S6_EEENSD_IJSA_SA_EEENS0_18inequality_wrapperIZN2at6native12_GLOBAL__N_124unique_dim_cuda_templateIdEESt5tupleIJNSH_6TensorESM_SM_EERKSM_lbbbEUlllE0_EEPmJS6_EEE10hipError_tPvRmT3_T4_T5_T6_T7_T9_mT8_P12ihipStream_tbDpT10_ENKUlT_T0_E_clISt17integral_constantIbLb1EES1C_EEDaS17_S18_EUlS17_E_NS1_11comp_targetILNS1_3genE5ELNS1_11target_archE942ELNS1_3gpuE9ELNS1_3repE0EEENS1_30default_config_static_selectorELNS0_4arch9wavefront6targetE0EEEvT1_,comdat
	.globl	_ZN7rocprim17ROCPRIM_400000_NS6detail17trampoline_kernelINS0_14default_configENS1_25partition_config_selectorILNS1_17partition_subalgoE8ElNS0_10empty_typeEbEEZZNS1_14partition_implILS5_8ELb0ES3_jPlPS6_PKS6_NS0_5tupleIJS9_S6_EEENSD_IJSA_SA_EEENS0_18inequality_wrapperIZN2at6native12_GLOBAL__N_124unique_dim_cuda_templateIdEESt5tupleIJNSH_6TensorESM_SM_EERKSM_lbbbEUlllE0_EEPmJS6_EEE10hipError_tPvRmT3_T4_T5_T6_T7_T9_mT8_P12ihipStream_tbDpT10_ENKUlT_T0_E_clISt17integral_constantIbLb1EES1C_EEDaS17_S18_EUlS17_E_NS1_11comp_targetILNS1_3genE5ELNS1_11target_archE942ELNS1_3gpuE9ELNS1_3repE0EEENS1_30default_config_static_selectorELNS0_4arch9wavefront6targetE0EEEvT1_ ; -- Begin function _ZN7rocprim17ROCPRIM_400000_NS6detail17trampoline_kernelINS0_14default_configENS1_25partition_config_selectorILNS1_17partition_subalgoE8ElNS0_10empty_typeEbEEZZNS1_14partition_implILS5_8ELb0ES3_jPlPS6_PKS6_NS0_5tupleIJS9_S6_EEENSD_IJSA_SA_EEENS0_18inequality_wrapperIZN2at6native12_GLOBAL__N_124unique_dim_cuda_templateIdEESt5tupleIJNSH_6TensorESM_SM_EERKSM_lbbbEUlllE0_EEPmJS6_EEE10hipError_tPvRmT3_T4_T5_T6_T7_T9_mT8_P12ihipStream_tbDpT10_ENKUlT_T0_E_clISt17integral_constantIbLb1EES1C_EEDaS17_S18_EUlS17_E_NS1_11comp_targetILNS1_3genE5ELNS1_11target_archE942ELNS1_3gpuE9ELNS1_3repE0EEENS1_30default_config_static_selectorELNS0_4arch9wavefront6targetE0EEEvT1_
	.p2align	8
	.type	_ZN7rocprim17ROCPRIM_400000_NS6detail17trampoline_kernelINS0_14default_configENS1_25partition_config_selectorILNS1_17partition_subalgoE8ElNS0_10empty_typeEbEEZZNS1_14partition_implILS5_8ELb0ES3_jPlPS6_PKS6_NS0_5tupleIJS9_S6_EEENSD_IJSA_SA_EEENS0_18inequality_wrapperIZN2at6native12_GLOBAL__N_124unique_dim_cuda_templateIdEESt5tupleIJNSH_6TensorESM_SM_EERKSM_lbbbEUlllE0_EEPmJS6_EEE10hipError_tPvRmT3_T4_T5_T6_T7_T9_mT8_P12ihipStream_tbDpT10_ENKUlT_T0_E_clISt17integral_constantIbLb1EES1C_EEDaS17_S18_EUlS17_E_NS1_11comp_targetILNS1_3genE5ELNS1_11target_archE942ELNS1_3gpuE9ELNS1_3repE0EEENS1_30default_config_static_selectorELNS0_4arch9wavefront6targetE0EEEvT1_,@function
_ZN7rocprim17ROCPRIM_400000_NS6detail17trampoline_kernelINS0_14default_configENS1_25partition_config_selectorILNS1_17partition_subalgoE8ElNS0_10empty_typeEbEEZZNS1_14partition_implILS5_8ELb0ES3_jPlPS6_PKS6_NS0_5tupleIJS9_S6_EEENSD_IJSA_SA_EEENS0_18inequality_wrapperIZN2at6native12_GLOBAL__N_124unique_dim_cuda_templateIdEESt5tupleIJNSH_6TensorESM_SM_EERKSM_lbbbEUlllE0_EEPmJS6_EEE10hipError_tPvRmT3_T4_T5_T6_T7_T9_mT8_P12ihipStream_tbDpT10_ENKUlT_T0_E_clISt17integral_constantIbLb1EES1C_EEDaS17_S18_EUlS17_E_NS1_11comp_targetILNS1_3genE5ELNS1_11target_archE942ELNS1_3gpuE9ELNS1_3repE0EEENS1_30default_config_static_selectorELNS0_4arch9wavefront6targetE0EEEvT1_: ; @_ZN7rocprim17ROCPRIM_400000_NS6detail17trampoline_kernelINS0_14default_configENS1_25partition_config_selectorILNS1_17partition_subalgoE8ElNS0_10empty_typeEbEEZZNS1_14partition_implILS5_8ELb0ES3_jPlPS6_PKS6_NS0_5tupleIJS9_S6_EEENSD_IJSA_SA_EEENS0_18inequality_wrapperIZN2at6native12_GLOBAL__N_124unique_dim_cuda_templateIdEESt5tupleIJNSH_6TensorESM_SM_EERKSM_lbbbEUlllE0_EEPmJS6_EEE10hipError_tPvRmT3_T4_T5_T6_T7_T9_mT8_P12ihipStream_tbDpT10_ENKUlT_T0_E_clISt17integral_constantIbLb1EES1C_EEDaS17_S18_EUlS17_E_NS1_11comp_targetILNS1_3genE5ELNS1_11target_archE942ELNS1_3gpuE9ELNS1_3repE0EEENS1_30default_config_static_selectorELNS0_4arch9wavefront6targetE0EEEvT1_
; %bb.0:
	.section	.rodata,"a",@progbits
	.p2align	6, 0x0
	.amdhsa_kernel _ZN7rocprim17ROCPRIM_400000_NS6detail17trampoline_kernelINS0_14default_configENS1_25partition_config_selectorILNS1_17partition_subalgoE8ElNS0_10empty_typeEbEEZZNS1_14partition_implILS5_8ELb0ES3_jPlPS6_PKS6_NS0_5tupleIJS9_S6_EEENSD_IJSA_SA_EEENS0_18inequality_wrapperIZN2at6native12_GLOBAL__N_124unique_dim_cuda_templateIdEESt5tupleIJNSH_6TensorESM_SM_EERKSM_lbbbEUlllE0_EEPmJS6_EEE10hipError_tPvRmT3_T4_T5_T6_T7_T9_mT8_P12ihipStream_tbDpT10_ENKUlT_T0_E_clISt17integral_constantIbLb1EES1C_EEDaS17_S18_EUlS17_E_NS1_11comp_targetILNS1_3genE5ELNS1_11target_archE942ELNS1_3gpuE9ELNS1_3repE0EEENS1_30default_config_static_selectorELNS0_4arch9wavefront6targetE0EEEvT1_
		.amdhsa_group_segment_fixed_size 0
		.amdhsa_private_segment_fixed_size 0
		.amdhsa_kernarg_size 136
		.amdhsa_user_sgpr_count 15
		.amdhsa_user_sgpr_dispatch_ptr 0
		.amdhsa_user_sgpr_queue_ptr 0
		.amdhsa_user_sgpr_kernarg_segment_ptr 1
		.amdhsa_user_sgpr_dispatch_id 0
		.amdhsa_user_sgpr_private_segment_size 0
		.amdhsa_wavefront_size32 1
		.amdhsa_uses_dynamic_stack 0
		.amdhsa_enable_private_segment 0
		.amdhsa_system_sgpr_workgroup_id_x 1
		.amdhsa_system_sgpr_workgroup_id_y 0
		.amdhsa_system_sgpr_workgroup_id_z 0
		.amdhsa_system_sgpr_workgroup_info 0
		.amdhsa_system_vgpr_workitem_id 0
		.amdhsa_next_free_vgpr 1
		.amdhsa_next_free_sgpr 1
		.amdhsa_reserve_vcc 0
		.amdhsa_float_round_mode_32 0
		.amdhsa_float_round_mode_16_64 0
		.amdhsa_float_denorm_mode_32 3
		.amdhsa_float_denorm_mode_16_64 3
		.amdhsa_dx10_clamp 1
		.amdhsa_ieee_mode 1
		.amdhsa_fp16_overflow 0
		.amdhsa_workgroup_processor_mode 1
		.amdhsa_memory_ordered 1
		.amdhsa_forward_progress 0
		.amdhsa_shared_vgpr_count 0
		.amdhsa_exception_fp_ieee_invalid_op 0
		.amdhsa_exception_fp_denorm_src 0
		.amdhsa_exception_fp_ieee_div_zero 0
		.amdhsa_exception_fp_ieee_overflow 0
		.amdhsa_exception_fp_ieee_underflow 0
		.amdhsa_exception_fp_ieee_inexact 0
		.amdhsa_exception_int_div_zero 0
	.end_amdhsa_kernel
	.section	.text._ZN7rocprim17ROCPRIM_400000_NS6detail17trampoline_kernelINS0_14default_configENS1_25partition_config_selectorILNS1_17partition_subalgoE8ElNS0_10empty_typeEbEEZZNS1_14partition_implILS5_8ELb0ES3_jPlPS6_PKS6_NS0_5tupleIJS9_S6_EEENSD_IJSA_SA_EEENS0_18inequality_wrapperIZN2at6native12_GLOBAL__N_124unique_dim_cuda_templateIdEESt5tupleIJNSH_6TensorESM_SM_EERKSM_lbbbEUlllE0_EEPmJS6_EEE10hipError_tPvRmT3_T4_T5_T6_T7_T9_mT8_P12ihipStream_tbDpT10_ENKUlT_T0_E_clISt17integral_constantIbLb1EES1C_EEDaS17_S18_EUlS17_E_NS1_11comp_targetILNS1_3genE5ELNS1_11target_archE942ELNS1_3gpuE9ELNS1_3repE0EEENS1_30default_config_static_selectorELNS0_4arch9wavefront6targetE0EEEvT1_,"axG",@progbits,_ZN7rocprim17ROCPRIM_400000_NS6detail17trampoline_kernelINS0_14default_configENS1_25partition_config_selectorILNS1_17partition_subalgoE8ElNS0_10empty_typeEbEEZZNS1_14partition_implILS5_8ELb0ES3_jPlPS6_PKS6_NS0_5tupleIJS9_S6_EEENSD_IJSA_SA_EEENS0_18inequality_wrapperIZN2at6native12_GLOBAL__N_124unique_dim_cuda_templateIdEESt5tupleIJNSH_6TensorESM_SM_EERKSM_lbbbEUlllE0_EEPmJS6_EEE10hipError_tPvRmT3_T4_T5_T6_T7_T9_mT8_P12ihipStream_tbDpT10_ENKUlT_T0_E_clISt17integral_constantIbLb1EES1C_EEDaS17_S18_EUlS17_E_NS1_11comp_targetILNS1_3genE5ELNS1_11target_archE942ELNS1_3gpuE9ELNS1_3repE0EEENS1_30default_config_static_selectorELNS0_4arch9wavefront6targetE0EEEvT1_,comdat
.Lfunc_end816:
	.size	_ZN7rocprim17ROCPRIM_400000_NS6detail17trampoline_kernelINS0_14default_configENS1_25partition_config_selectorILNS1_17partition_subalgoE8ElNS0_10empty_typeEbEEZZNS1_14partition_implILS5_8ELb0ES3_jPlPS6_PKS6_NS0_5tupleIJS9_S6_EEENSD_IJSA_SA_EEENS0_18inequality_wrapperIZN2at6native12_GLOBAL__N_124unique_dim_cuda_templateIdEESt5tupleIJNSH_6TensorESM_SM_EERKSM_lbbbEUlllE0_EEPmJS6_EEE10hipError_tPvRmT3_T4_T5_T6_T7_T9_mT8_P12ihipStream_tbDpT10_ENKUlT_T0_E_clISt17integral_constantIbLb1EES1C_EEDaS17_S18_EUlS17_E_NS1_11comp_targetILNS1_3genE5ELNS1_11target_archE942ELNS1_3gpuE9ELNS1_3repE0EEENS1_30default_config_static_selectorELNS0_4arch9wavefront6targetE0EEEvT1_, .Lfunc_end816-_ZN7rocprim17ROCPRIM_400000_NS6detail17trampoline_kernelINS0_14default_configENS1_25partition_config_selectorILNS1_17partition_subalgoE8ElNS0_10empty_typeEbEEZZNS1_14partition_implILS5_8ELb0ES3_jPlPS6_PKS6_NS0_5tupleIJS9_S6_EEENSD_IJSA_SA_EEENS0_18inequality_wrapperIZN2at6native12_GLOBAL__N_124unique_dim_cuda_templateIdEESt5tupleIJNSH_6TensorESM_SM_EERKSM_lbbbEUlllE0_EEPmJS6_EEE10hipError_tPvRmT3_T4_T5_T6_T7_T9_mT8_P12ihipStream_tbDpT10_ENKUlT_T0_E_clISt17integral_constantIbLb1EES1C_EEDaS17_S18_EUlS17_E_NS1_11comp_targetILNS1_3genE5ELNS1_11target_archE942ELNS1_3gpuE9ELNS1_3repE0EEENS1_30default_config_static_selectorELNS0_4arch9wavefront6targetE0EEEvT1_
                                        ; -- End function
	.section	.AMDGPU.csdata,"",@progbits
; Kernel info:
; codeLenInByte = 0
; NumSgprs: 0
; NumVgprs: 0
; ScratchSize: 0
; MemoryBound: 0
; FloatMode: 240
; IeeeMode: 1
; LDSByteSize: 0 bytes/workgroup (compile time only)
; SGPRBlocks: 0
; VGPRBlocks: 0
; NumSGPRsForWavesPerEU: 1
; NumVGPRsForWavesPerEU: 1
; Occupancy: 16
; WaveLimiterHint : 0
; COMPUTE_PGM_RSRC2:SCRATCH_EN: 0
; COMPUTE_PGM_RSRC2:USER_SGPR: 15
; COMPUTE_PGM_RSRC2:TRAP_HANDLER: 0
; COMPUTE_PGM_RSRC2:TGID_X_EN: 1
; COMPUTE_PGM_RSRC2:TGID_Y_EN: 0
; COMPUTE_PGM_RSRC2:TGID_Z_EN: 0
; COMPUTE_PGM_RSRC2:TIDIG_COMP_CNT: 0
	.section	.text._ZN7rocprim17ROCPRIM_400000_NS6detail17trampoline_kernelINS0_14default_configENS1_25partition_config_selectorILNS1_17partition_subalgoE8ElNS0_10empty_typeEbEEZZNS1_14partition_implILS5_8ELb0ES3_jPlPS6_PKS6_NS0_5tupleIJS9_S6_EEENSD_IJSA_SA_EEENS0_18inequality_wrapperIZN2at6native12_GLOBAL__N_124unique_dim_cuda_templateIdEESt5tupleIJNSH_6TensorESM_SM_EERKSM_lbbbEUlllE0_EEPmJS6_EEE10hipError_tPvRmT3_T4_T5_T6_T7_T9_mT8_P12ihipStream_tbDpT10_ENKUlT_T0_E_clISt17integral_constantIbLb1EES1C_EEDaS17_S18_EUlS17_E_NS1_11comp_targetILNS1_3genE4ELNS1_11target_archE910ELNS1_3gpuE8ELNS1_3repE0EEENS1_30default_config_static_selectorELNS0_4arch9wavefront6targetE0EEEvT1_,"axG",@progbits,_ZN7rocprim17ROCPRIM_400000_NS6detail17trampoline_kernelINS0_14default_configENS1_25partition_config_selectorILNS1_17partition_subalgoE8ElNS0_10empty_typeEbEEZZNS1_14partition_implILS5_8ELb0ES3_jPlPS6_PKS6_NS0_5tupleIJS9_S6_EEENSD_IJSA_SA_EEENS0_18inequality_wrapperIZN2at6native12_GLOBAL__N_124unique_dim_cuda_templateIdEESt5tupleIJNSH_6TensorESM_SM_EERKSM_lbbbEUlllE0_EEPmJS6_EEE10hipError_tPvRmT3_T4_T5_T6_T7_T9_mT8_P12ihipStream_tbDpT10_ENKUlT_T0_E_clISt17integral_constantIbLb1EES1C_EEDaS17_S18_EUlS17_E_NS1_11comp_targetILNS1_3genE4ELNS1_11target_archE910ELNS1_3gpuE8ELNS1_3repE0EEENS1_30default_config_static_selectorELNS0_4arch9wavefront6targetE0EEEvT1_,comdat
	.globl	_ZN7rocprim17ROCPRIM_400000_NS6detail17trampoline_kernelINS0_14default_configENS1_25partition_config_selectorILNS1_17partition_subalgoE8ElNS0_10empty_typeEbEEZZNS1_14partition_implILS5_8ELb0ES3_jPlPS6_PKS6_NS0_5tupleIJS9_S6_EEENSD_IJSA_SA_EEENS0_18inequality_wrapperIZN2at6native12_GLOBAL__N_124unique_dim_cuda_templateIdEESt5tupleIJNSH_6TensorESM_SM_EERKSM_lbbbEUlllE0_EEPmJS6_EEE10hipError_tPvRmT3_T4_T5_T6_T7_T9_mT8_P12ihipStream_tbDpT10_ENKUlT_T0_E_clISt17integral_constantIbLb1EES1C_EEDaS17_S18_EUlS17_E_NS1_11comp_targetILNS1_3genE4ELNS1_11target_archE910ELNS1_3gpuE8ELNS1_3repE0EEENS1_30default_config_static_selectorELNS0_4arch9wavefront6targetE0EEEvT1_ ; -- Begin function _ZN7rocprim17ROCPRIM_400000_NS6detail17trampoline_kernelINS0_14default_configENS1_25partition_config_selectorILNS1_17partition_subalgoE8ElNS0_10empty_typeEbEEZZNS1_14partition_implILS5_8ELb0ES3_jPlPS6_PKS6_NS0_5tupleIJS9_S6_EEENSD_IJSA_SA_EEENS0_18inequality_wrapperIZN2at6native12_GLOBAL__N_124unique_dim_cuda_templateIdEESt5tupleIJNSH_6TensorESM_SM_EERKSM_lbbbEUlllE0_EEPmJS6_EEE10hipError_tPvRmT3_T4_T5_T6_T7_T9_mT8_P12ihipStream_tbDpT10_ENKUlT_T0_E_clISt17integral_constantIbLb1EES1C_EEDaS17_S18_EUlS17_E_NS1_11comp_targetILNS1_3genE4ELNS1_11target_archE910ELNS1_3gpuE8ELNS1_3repE0EEENS1_30default_config_static_selectorELNS0_4arch9wavefront6targetE0EEEvT1_
	.p2align	8
	.type	_ZN7rocprim17ROCPRIM_400000_NS6detail17trampoline_kernelINS0_14default_configENS1_25partition_config_selectorILNS1_17partition_subalgoE8ElNS0_10empty_typeEbEEZZNS1_14partition_implILS5_8ELb0ES3_jPlPS6_PKS6_NS0_5tupleIJS9_S6_EEENSD_IJSA_SA_EEENS0_18inequality_wrapperIZN2at6native12_GLOBAL__N_124unique_dim_cuda_templateIdEESt5tupleIJNSH_6TensorESM_SM_EERKSM_lbbbEUlllE0_EEPmJS6_EEE10hipError_tPvRmT3_T4_T5_T6_T7_T9_mT8_P12ihipStream_tbDpT10_ENKUlT_T0_E_clISt17integral_constantIbLb1EES1C_EEDaS17_S18_EUlS17_E_NS1_11comp_targetILNS1_3genE4ELNS1_11target_archE910ELNS1_3gpuE8ELNS1_3repE0EEENS1_30default_config_static_selectorELNS0_4arch9wavefront6targetE0EEEvT1_,@function
_ZN7rocprim17ROCPRIM_400000_NS6detail17trampoline_kernelINS0_14default_configENS1_25partition_config_selectorILNS1_17partition_subalgoE8ElNS0_10empty_typeEbEEZZNS1_14partition_implILS5_8ELb0ES3_jPlPS6_PKS6_NS0_5tupleIJS9_S6_EEENSD_IJSA_SA_EEENS0_18inequality_wrapperIZN2at6native12_GLOBAL__N_124unique_dim_cuda_templateIdEESt5tupleIJNSH_6TensorESM_SM_EERKSM_lbbbEUlllE0_EEPmJS6_EEE10hipError_tPvRmT3_T4_T5_T6_T7_T9_mT8_P12ihipStream_tbDpT10_ENKUlT_T0_E_clISt17integral_constantIbLb1EES1C_EEDaS17_S18_EUlS17_E_NS1_11comp_targetILNS1_3genE4ELNS1_11target_archE910ELNS1_3gpuE8ELNS1_3repE0EEENS1_30default_config_static_selectorELNS0_4arch9wavefront6targetE0EEEvT1_: ; @_ZN7rocprim17ROCPRIM_400000_NS6detail17trampoline_kernelINS0_14default_configENS1_25partition_config_selectorILNS1_17partition_subalgoE8ElNS0_10empty_typeEbEEZZNS1_14partition_implILS5_8ELb0ES3_jPlPS6_PKS6_NS0_5tupleIJS9_S6_EEENSD_IJSA_SA_EEENS0_18inequality_wrapperIZN2at6native12_GLOBAL__N_124unique_dim_cuda_templateIdEESt5tupleIJNSH_6TensorESM_SM_EERKSM_lbbbEUlllE0_EEPmJS6_EEE10hipError_tPvRmT3_T4_T5_T6_T7_T9_mT8_P12ihipStream_tbDpT10_ENKUlT_T0_E_clISt17integral_constantIbLb1EES1C_EEDaS17_S18_EUlS17_E_NS1_11comp_targetILNS1_3genE4ELNS1_11target_archE910ELNS1_3gpuE8ELNS1_3repE0EEENS1_30default_config_static_selectorELNS0_4arch9wavefront6targetE0EEEvT1_
; %bb.0:
	.section	.rodata,"a",@progbits
	.p2align	6, 0x0
	.amdhsa_kernel _ZN7rocprim17ROCPRIM_400000_NS6detail17trampoline_kernelINS0_14default_configENS1_25partition_config_selectorILNS1_17partition_subalgoE8ElNS0_10empty_typeEbEEZZNS1_14partition_implILS5_8ELb0ES3_jPlPS6_PKS6_NS0_5tupleIJS9_S6_EEENSD_IJSA_SA_EEENS0_18inequality_wrapperIZN2at6native12_GLOBAL__N_124unique_dim_cuda_templateIdEESt5tupleIJNSH_6TensorESM_SM_EERKSM_lbbbEUlllE0_EEPmJS6_EEE10hipError_tPvRmT3_T4_T5_T6_T7_T9_mT8_P12ihipStream_tbDpT10_ENKUlT_T0_E_clISt17integral_constantIbLb1EES1C_EEDaS17_S18_EUlS17_E_NS1_11comp_targetILNS1_3genE4ELNS1_11target_archE910ELNS1_3gpuE8ELNS1_3repE0EEENS1_30default_config_static_selectorELNS0_4arch9wavefront6targetE0EEEvT1_
		.amdhsa_group_segment_fixed_size 0
		.amdhsa_private_segment_fixed_size 0
		.amdhsa_kernarg_size 136
		.amdhsa_user_sgpr_count 15
		.amdhsa_user_sgpr_dispatch_ptr 0
		.amdhsa_user_sgpr_queue_ptr 0
		.amdhsa_user_sgpr_kernarg_segment_ptr 1
		.amdhsa_user_sgpr_dispatch_id 0
		.amdhsa_user_sgpr_private_segment_size 0
		.amdhsa_wavefront_size32 1
		.amdhsa_uses_dynamic_stack 0
		.amdhsa_enable_private_segment 0
		.amdhsa_system_sgpr_workgroup_id_x 1
		.amdhsa_system_sgpr_workgroup_id_y 0
		.amdhsa_system_sgpr_workgroup_id_z 0
		.amdhsa_system_sgpr_workgroup_info 0
		.amdhsa_system_vgpr_workitem_id 0
		.amdhsa_next_free_vgpr 1
		.amdhsa_next_free_sgpr 1
		.amdhsa_reserve_vcc 0
		.amdhsa_float_round_mode_32 0
		.amdhsa_float_round_mode_16_64 0
		.amdhsa_float_denorm_mode_32 3
		.amdhsa_float_denorm_mode_16_64 3
		.amdhsa_dx10_clamp 1
		.amdhsa_ieee_mode 1
		.amdhsa_fp16_overflow 0
		.amdhsa_workgroup_processor_mode 1
		.amdhsa_memory_ordered 1
		.amdhsa_forward_progress 0
		.amdhsa_shared_vgpr_count 0
		.amdhsa_exception_fp_ieee_invalid_op 0
		.amdhsa_exception_fp_denorm_src 0
		.amdhsa_exception_fp_ieee_div_zero 0
		.amdhsa_exception_fp_ieee_overflow 0
		.amdhsa_exception_fp_ieee_underflow 0
		.amdhsa_exception_fp_ieee_inexact 0
		.amdhsa_exception_int_div_zero 0
	.end_amdhsa_kernel
	.section	.text._ZN7rocprim17ROCPRIM_400000_NS6detail17trampoline_kernelINS0_14default_configENS1_25partition_config_selectorILNS1_17partition_subalgoE8ElNS0_10empty_typeEbEEZZNS1_14partition_implILS5_8ELb0ES3_jPlPS6_PKS6_NS0_5tupleIJS9_S6_EEENSD_IJSA_SA_EEENS0_18inequality_wrapperIZN2at6native12_GLOBAL__N_124unique_dim_cuda_templateIdEESt5tupleIJNSH_6TensorESM_SM_EERKSM_lbbbEUlllE0_EEPmJS6_EEE10hipError_tPvRmT3_T4_T5_T6_T7_T9_mT8_P12ihipStream_tbDpT10_ENKUlT_T0_E_clISt17integral_constantIbLb1EES1C_EEDaS17_S18_EUlS17_E_NS1_11comp_targetILNS1_3genE4ELNS1_11target_archE910ELNS1_3gpuE8ELNS1_3repE0EEENS1_30default_config_static_selectorELNS0_4arch9wavefront6targetE0EEEvT1_,"axG",@progbits,_ZN7rocprim17ROCPRIM_400000_NS6detail17trampoline_kernelINS0_14default_configENS1_25partition_config_selectorILNS1_17partition_subalgoE8ElNS0_10empty_typeEbEEZZNS1_14partition_implILS5_8ELb0ES3_jPlPS6_PKS6_NS0_5tupleIJS9_S6_EEENSD_IJSA_SA_EEENS0_18inequality_wrapperIZN2at6native12_GLOBAL__N_124unique_dim_cuda_templateIdEESt5tupleIJNSH_6TensorESM_SM_EERKSM_lbbbEUlllE0_EEPmJS6_EEE10hipError_tPvRmT3_T4_T5_T6_T7_T9_mT8_P12ihipStream_tbDpT10_ENKUlT_T0_E_clISt17integral_constantIbLb1EES1C_EEDaS17_S18_EUlS17_E_NS1_11comp_targetILNS1_3genE4ELNS1_11target_archE910ELNS1_3gpuE8ELNS1_3repE0EEENS1_30default_config_static_selectorELNS0_4arch9wavefront6targetE0EEEvT1_,comdat
.Lfunc_end817:
	.size	_ZN7rocprim17ROCPRIM_400000_NS6detail17trampoline_kernelINS0_14default_configENS1_25partition_config_selectorILNS1_17partition_subalgoE8ElNS0_10empty_typeEbEEZZNS1_14partition_implILS5_8ELb0ES3_jPlPS6_PKS6_NS0_5tupleIJS9_S6_EEENSD_IJSA_SA_EEENS0_18inequality_wrapperIZN2at6native12_GLOBAL__N_124unique_dim_cuda_templateIdEESt5tupleIJNSH_6TensorESM_SM_EERKSM_lbbbEUlllE0_EEPmJS6_EEE10hipError_tPvRmT3_T4_T5_T6_T7_T9_mT8_P12ihipStream_tbDpT10_ENKUlT_T0_E_clISt17integral_constantIbLb1EES1C_EEDaS17_S18_EUlS17_E_NS1_11comp_targetILNS1_3genE4ELNS1_11target_archE910ELNS1_3gpuE8ELNS1_3repE0EEENS1_30default_config_static_selectorELNS0_4arch9wavefront6targetE0EEEvT1_, .Lfunc_end817-_ZN7rocprim17ROCPRIM_400000_NS6detail17trampoline_kernelINS0_14default_configENS1_25partition_config_selectorILNS1_17partition_subalgoE8ElNS0_10empty_typeEbEEZZNS1_14partition_implILS5_8ELb0ES3_jPlPS6_PKS6_NS0_5tupleIJS9_S6_EEENSD_IJSA_SA_EEENS0_18inequality_wrapperIZN2at6native12_GLOBAL__N_124unique_dim_cuda_templateIdEESt5tupleIJNSH_6TensorESM_SM_EERKSM_lbbbEUlllE0_EEPmJS6_EEE10hipError_tPvRmT3_T4_T5_T6_T7_T9_mT8_P12ihipStream_tbDpT10_ENKUlT_T0_E_clISt17integral_constantIbLb1EES1C_EEDaS17_S18_EUlS17_E_NS1_11comp_targetILNS1_3genE4ELNS1_11target_archE910ELNS1_3gpuE8ELNS1_3repE0EEENS1_30default_config_static_selectorELNS0_4arch9wavefront6targetE0EEEvT1_
                                        ; -- End function
	.section	.AMDGPU.csdata,"",@progbits
; Kernel info:
; codeLenInByte = 0
; NumSgprs: 0
; NumVgprs: 0
; ScratchSize: 0
; MemoryBound: 0
; FloatMode: 240
; IeeeMode: 1
; LDSByteSize: 0 bytes/workgroup (compile time only)
; SGPRBlocks: 0
; VGPRBlocks: 0
; NumSGPRsForWavesPerEU: 1
; NumVGPRsForWavesPerEU: 1
; Occupancy: 16
; WaveLimiterHint : 0
; COMPUTE_PGM_RSRC2:SCRATCH_EN: 0
; COMPUTE_PGM_RSRC2:USER_SGPR: 15
; COMPUTE_PGM_RSRC2:TRAP_HANDLER: 0
; COMPUTE_PGM_RSRC2:TGID_X_EN: 1
; COMPUTE_PGM_RSRC2:TGID_Y_EN: 0
; COMPUTE_PGM_RSRC2:TGID_Z_EN: 0
; COMPUTE_PGM_RSRC2:TIDIG_COMP_CNT: 0
	.section	.text._ZN7rocprim17ROCPRIM_400000_NS6detail17trampoline_kernelINS0_14default_configENS1_25partition_config_selectorILNS1_17partition_subalgoE8ElNS0_10empty_typeEbEEZZNS1_14partition_implILS5_8ELb0ES3_jPlPS6_PKS6_NS0_5tupleIJS9_S6_EEENSD_IJSA_SA_EEENS0_18inequality_wrapperIZN2at6native12_GLOBAL__N_124unique_dim_cuda_templateIdEESt5tupleIJNSH_6TensorESM_SM_EERKSM_lbbbEUlllE0_EEPmJS6_EEE10hipError_tPvRmT3_T4_T5_T6_T7_T9_mT8_P12ihipStream_tbDpT10_ENKUlT_T0_E_clISt17integral_constantIbLb1EES1C_EEDaS17_S18_EUlS17_E_NS1_11comp_targetILNS1_3genE3ELNS1_11target_archE908ELNS1_3gpuE7ELNS1_3repE0EEENS1_30default_config_static_selectorELNS0_4arch9wavefront6targetE0EEEvT1_,"axG",@progbits,_ZN7rocprim17ROCPRIM_400000_NS6detail17trampoline_kernelINS0_14default_configENS1_25partition_config_selectorILNS1_17partition_subalgoE8ElNS0_10empty_typeEbEEZZNS1_14partition_implILS5_8ELb0ES3_jPlPS6_PKS6_NS0_5tupleIJS9_S6_EEENSD_IJSA_SA_EEENS0_18inequality_wrapperIZN2at6native12_GLOBAL__N_124unique_dim_cuda_templateIdEESt5tupleIJNSH_6TensorESM_SM_EERKSM_lbbbEUlllE0_EEPmJS6_EEE10hipError_tPvRmT3_T4_T5_T6_T7_T9_mT8_P12ihipStream_tbDpT10_ENKUlT_T0_E_clISt17integral_constantIbLb1EES1C_EEDaS17_S18_EUlS17_E_NS1_11comp_targetILNS1_3genE3ELNS1_11target_archE908ELNS1_3gpuE7ELNS1_3repE0EEENS1_30default_config_static_selectorELNS0_4arch9wavefront6targetE0EEEvT1_,comdat
	.globl	_ZN7rocprim17ROCPRIM_400000_NS6detail17trampoline_kernelINS0_14default_configENS1_25partition_config_selectorILNS1_17partition_subalgoE8ElNS0_10empty_typeEbEEZZNS1_14partition_implILS5_8ELb0ES3_jPlPS6_PKS6_NS0_5tupleIJS9_S6_EEENSD_IJSA_SA_EEENS0_18inequality_wrapperIZN2at6native12_GLOBAL__N_124unique_dim_cuda_templateIdEESt5tupleIJNSH_6TensorESM_SM_EERKSM_lbbbEUlllE0_EEPmJS6_EEE10hipError_tPvRmT3_T4_T5_T6_T7_T9_mT8_P12ihipStream_tbDpT10_ENKUlT_T0_E_clISt17integral_constantIbLb1EES1C_EEDaS17_S18_EUlS17_E_NS1_11comp_targetILNS1_3genE3ELNS1_11target_archE908ELNS1_3gpuE7ELNS1_3repE0EEENS1_30default_config_static_selectorELNS0_4arch9wavefront6targetE0EEEvT1_ ; -- Begin function _ZN7rocprim17ROCPRIM_400000_NS6detail17trampoline_kernelINS0_14default_configENS1_25partition_config_selectorILNS1_17partition_subalgoE8ElNS0_10empty_typeEbEEZZNS1_14partition_implILS5_8ELb0ES3_jPlPS6_PKS6_NS0_5tupleIJS9_S6_EEENSD_IJSA_SA_EEENS0_18inequality_wrapperIZN2at6native12_GLOBAL__N_124unique_dim_cuda_templateIdEESt5tupleIJNSH_6TensorESM_SM_EERKSM_lbbbEUlllE0_EEPmJS6_EEE10hipError_tPvRmT3_T4_T5_T6_T7_T9_mT8_P12ihipStream_tbDpT10_ENKUlT_T0_E_clISt17integral_constantIbLb1EES1C_EEDaS17_S18_EUlS17_E_NS1_11comp_targetILNS1_3genE3ELNS1_11target_archE908ELNS1_3gpuE7ELNS1_3repE0EEENS1_30default_config_static_selectorELNS0_4arch9wavefront6targetE0EEEvT1_
	.p2align	8
	.type	_ZN7rocprim17ROCPRIM_400000_NS6detail17trampoline_kernelINS0_14default_configENS1_25partition_config_selectorILNS1_17partition_subalgoE8ElNS0_10empty_typeEbEEZZNS1_14partition_implILS5_8ELb0ES3_jPlPS6_PKS6_NS0_5tupleIJS9_S6_EEENSD_IJSA_SA_EEENS0_18inequality_wrapperIZN2at6native12_GLOBAL__N_124unique_dim_cuda_templateIdEESt5tupleIJNSH_6TensorESM_SM_EERKSM_lbbbEUlllE0_EEPmJS6_EEE10hipError_tPvRmT3_T4_T5_T6_T7_T9_mT8_P12ihipStream_tbDpT10_ENKUlT_T0_E_clISt17integral_constantIbLb1EES1C_EEDaS17_S18_EUlS17_E_NS1_11comp_targetILNS1_3genE3ELNS1_11target_archE908ELNS1_3gpuE7ELNS1_3repE0EEENS1_30default_config_static_selectorELNS0_4arch9wavefront6targetE0EEEvT1_,@function
_ZN7rocprim17ROCPRIM_400000_NS6detail17trampoline_kernelINS0_14default_configENS1_25partition_config_selectorILNS1_17partition_subalgoE8ElNS0_10empty_typeEbEEZZNS1_14partition_implILS5_8ELb0ES3_jPlPS6_PKS6_NS0_5tupleIJS9_S6_EEENSD_IJSA_SA_EEENS0_18inequality_wrapperIZN2at6native12_GLOBAL__N_124unique_dim_cuda_templateIdEESt5tupleIJNSH_6TensorESM_SM_EERKSM_lbbbEUlllE0_EEPmJS6_EEE10hipError_tPvRmT3_T4_T5_T6_T7_T9_mT8_P12ihipStream_tbDpT10_ENKUlT_T0_E_clISt17integral_constantIbLb1EES1C_EEDaS17_S18_EUlS17_E_NS1_11comp_targetILNS1_3genE3ELNS1_11target_archE908ELNS1_3gpuE7ELNS1_3repE0EEENS1_30default_config_static_selectorELNS0_4arch9wavefront6targetE0EEEvT1_: ; @_ZN7rocprim17ROCPRIM_400000_NS6detail17trampoline_kernelINS0_14default_configENS1_25partition_config_selectorILNS1_17partition_subalgoE8ElNS0_10empty_typeEbEEZZNS1_14partition_implILS5_8ELb0ES3_jPlPS6_PKS6_NS0_5tupleIJS9_S6_EEENSD_IJSA_SA_EEENS0_18inequality_wrapperIZN2at6native12_GLOBAL__N_124unique_dim_cuda_templateIdEESt5tupleIJNSH_6TensorESM_SM_EERKSM_lbbbEUlllE0_EEPmJS6_EEE10hipError_tPvRmT3_T4_T5_T6_T7_T9_mT8_P12ihipStream_tbDpT10_ENKUlT_T0_E_clISt17integral_constantIbLb1EES1C_EEDaS17_S18_EUlS17_E_NS1_11comp_targetILNS1_3genE3ELNS1_11target_archE908ELNS1_3gpuE7ELNS1_3repE0EEENS1_30default_config_static_selectorELNS0_4arch9wavefront6targetE0EEEvT1_
; %bb.0:
	.section	.rodata,"a",@progbits
	.p2align	6, 0x0
	.amdhsa_kernel _ZN7rocprim17ROCPRIM_400000_NS6detail17trampoline_kernelINS0_14default_configENS1_25partition_config_selectorILNS1_17partition_subalgoE8ElNS0_10empty_typeEbEEZZNS1_14partition_implILS5_8ELb0ES3_jPlPS6_PKS6_NS0_5tupleIJS9_S6_EEENSD_IJSA_SA_EEENS0_18inequality_wrapperIZN2at6native12_GLOBAL__N_124unique_dim_cuda_templateIdEESt5tupleIJNSH_6TensorESM_SM_EERKSM_lbbbEUlllE0_EEPmJS6_EEE10hipError_tPvRmT3_T4_T5_T6_T7_T9_mT8_P12ihipStream_tbDpT10_ENKUlT_T0_E_clISt17integral_constantIbLb1EES1C_EEDaS17_S18_EUlS17_E_NS1_11comp_targetILNS1_3genE3ELNS1_11target_archE908ELNS1_3gpuE7ELNS1_3repE0EEENS1_30default_config_static_selectorELNS0_4arch9wavefront6targetE0EEEvT1_
		.amdhsa_group_segment_fixed_size 0
		.amdhsa_private_segment_fixed_size 0
		.amdhsa_kernarg_size 136
		.amdhsa_user_sgpr_count 15
		.amdhsa_user_sgpr_dispatch_ptr 0
		.amdhsa_user_sgpr_queue_ptr 0
		.amdhsa_user_sgpr_kernarg_segment_ptr 1
		.amdhsa_user_sgpr_dispatch_id 0
		.amdhsa_user_sgpr_private_segment_size 0
		.amdhsa_wavefront_size32 1
		.amdhsa_uses_dynamic_stack 0
		.amdhsa_enable_private_segment 0
		.amdhsa_system_sgpr_workgroup_id_x 1
		.amdhsa_system_sgpr_workgroup_id_y 0
		.amdhsa_system_sgpr_workgroup_id_z 0
		.amdhsa_system_sgpr_workgroup_info 0
		.amdhsa_system_vgpr_workitem_id 0
		.amdhsa_next_free_vgpr 1
		.amdhsa_next_free_sgpr 1
		.amdhsa_reserve_vcc 0
		.amdhsa_float_round_mode_32 0
		.amdhsa_float_round_mode_16_64 0
		.amdhsa_float_denorm_mode_32 3
		.amdhsa_float_denorm_mode_16_64 3
		.amdhsa_dx10_clamp 1
		.amdhsa_ieee_mode 1
		.amdhsa_fp16_overflow 0
		.amdhsa_workgroup_processor_mode 1
		.amdhsa_memory_ordered 1
		.amdhsa_forward_progress 0
		.amdhsa_shared_vgpr_count 0
		.amdhsa_exception_fp_ieee_invalid_op 0
		.amdhsa_exception_fp_denorm_src 0
		.amdhsa_exception_fp_ieee_div_zero 0
		.amdhsa_exception_fp_ieee_overflow 0
		.amdhsa_exception_fp_ieee_underflow 0
		.amdhsa_exception_fp_ieee_inexact 0
		.amdhsa_exception_int_div_zero 0
	.end_amdhsa_kernel
	.section	.text._ZN7rocprim17ROCPRIM_400000_NS6detail17trampoline_kernelINS0_14default_configENS1_25partition_config_selectorILNS1_17partition_subalgoE8ElNS0_10empty_typeEbEEZZNS1_14partition_implILS5_8ELb0ES3_jPlPS6_PKS6_NS0_5tupleIJS9_S6_EEENSD_IJSA_SA_EEENS0_18inequality_wrapperIZN2at6native12_GLOBAL__N_124unique_dim_cuda_templateIdEESt5tupleIJNSH_6TensorESM_SM_EERKSM_lbbbEUlllE0_EEPmJS6_EEE10hipError_tPvRmT3_T4_T5_T6_T7_T9_mT8_P12ihipStream_tbDpT10_ENKUlT_T0_E_clISt17integral_constantIbLb1EES1C_EEDaS17_S18_EUlS17_E_NS1_11comp_targetILNS1_3genE3ELNS1_11target_archE908ELNS1_3gpuE7ELNS1_3repE0EEENS1_30default_config_static_selectorELNS0_4arch9wavefront6targetE0EEEvT1_,"axG",@progbits,_ZN7rocprim17ROCPRIM_400000_NS6detail17trampoline_kernelINS0_14default_configENS1_25partition_config_selectorILNS1_17partition_subalgoE8ElNS0_10empty_typeEbEEZZNS1_14partition_implILS5_8ELb0ES3_jPlPS6_PKS6_NS0_5tupleIJS9_S6_EEENSD_IJSA_SA_EEENS0_18inequality_wrapperIZN2at6native12_GLOBAL__N_124unique_dim_cuda_templateIdEESt5tupleIJNSH_6TensorESM_SM_EERKSM_lbbbEUlllE0_EEPmJS6_EEE10hipError_tPvRmT3_T4_T5_T6_T7_T9_mT8_P12ihipStream_tbDpT10_ENKUlT_T0_E_clISt17integral_constantIbLb1EES1C_EEDaS17_S18_EUlS17_E_NS1_11comp_targetILNS1_3genE3ELNS1_11target_archE908ELNS1_3gpuE7ELNS1_3repE0EEENS1_30default_config_static_selectorELNS0_4arch9wavefront6targetE0EEEvT1_,comdat
.Lfunc_end818:
	.size	_ZN7rocprim17ROCPRIM_400000_NS6detail17trampoline_kernelINS0_14default_configENS1_25partition_config_selectorILNS1_17partition_subalgoE8ElNS0_10empty_typeEbEEZZNS1_14partition_implILS5_8ELb0ES3_jPlPS6_PKS6_NS0_5tupleIJS9_S6_EEENSD_IJSA_SA_EEENS0_18inequality_wrapperIZN2at6native12_GLOBAL__N_124unique_dim_cuda_templateIdEESt5tupleIJNSH_6TensorESM_SM_EERKSM_lbbbEUlllE0_EEPmJS6_EEE10hipError_tPvRmT3_T4_T5_T6_T7_T9_mT8_P12ihipStream_tbDpT10_ENKUlT_T0_E_clISt17integral_constantIbLb1EES1C_EEDaS17_S18_EUlS17_E_NS1_11comp_targetILNS1_3genE3ELNS1_11target_archE908ELNS1_3gpuE7ELNS1_3repE0EEENS1_30default_config_static_selectorELNS0_4arch9wavefront6targetE0EEEvT1_, .Lfunc_end818-_ZN7rocprim17ROCPRIM_400000_NS6detail17trampoline_kernelINS0_14default_configENS1_25partition_config_selectorILNS1_17partition_subalgoE8ElNS0_10empty_typeEbEEZZNS1_14partition_implILS5_8ELb0ES3_jPlPS6_PKS6_NS0_5tupleIJS9_S6_EEENSD_IJSA_SA_EEENS0_18inequality_wrapperIZN2at6native12_GLOBAL__N_124unique_dim_cuda_templateIdEESt5tupleIJNSH_6TensorESM_SM_EERKSM_lbbbEUlllE0_EEPmJS6_EEE10hipError_tPvRmT3_T4_T5_T6_T7_T9_mT8_P12ihipStream_tbDpT10_ENKUlT_T0_E_clISt17integral_constantIbLb1EES1C_EEDaS17_S18_EUlS17_E_NS1_11comp_targetILNS1_3genE3ELNS1_11target_archE908ELNS1_3gpuE7ELNS1_3repE0EEENS1_30default_config_static_selectorELNS0_4arch9wavefront6targetE0EEEvT1_
                                        ; -- End function
	.section	.AMDGPU.csdata,"",@progbits
; Kernel info:
; codeLenInByte = 0
; NumSgprs: 0
; NumVgprs: 0
; ScratchSize: 0
; MemoryBound: 0
; FloatMode: 240
; IeeeMode: 1
; LDSByteSize: 0 bytes/workgroup (compile time only)
; SGPRBlocks: 0
; VGPRBlocks: 0
; NumSGPRsForWavesPerEU: 1
; NumVGPRsForWavesPerEU: 1
; Occupancy: 16
; WaveLimiterHint : 0
; COMPUTE_PGM_RSRC2:SCRATCH_EN: 0
; COMPUTE_PGM_RSRC2:USER_SGPR: 15
; COMPUTE_PGM_RSRC2:TRAP_HANDLER: 0
; COMPUTE_PGM_RSRC2:TGID_X_EN: 1
; COMPUTE_PGM_RSRC2:TGID_Y_EN: 0
; COMPUTE_PGM_RSRC2:TGID_Z_EN: 0
; COMPUTE_PGM_RSRC2:TIDIG_COMP_CNT: 0
	.section	.text._ZN7rocprim17ROCPRIM_400000_NS6detail17trampoline_kernelINS0_14default_configENS1_25partition_config_selectorILNS1_17partition_subalgoE8ElNS0_10empty_typeEbEEZZNS1_14partition_implILS5_8ELb0ES3_jPlPS6_PKS6_NS0_5tupleIJS9_S6_EEENSD_IJSA_SA_EEENS0_18inequality_wrapperIZN2at6native12_GLOBAL__N_124unique_dim_cuda_templateIdEESt5tupleIJNSH_6TensorESM_SM_EERKSM_lbbbEUlllE0_EEPmJS6_EEE10hipError_tPvRmT3_T4_T5_T6_T7_T9_mT8_P12ihipStream_tbDpT10_ENKUlT_T0_E_clISt17integral_constantIbLb1EES1C_EEDaS17_S18_EUlS17_E_NS1_11comp_targetILNS1_3genE2ELNS1_11target_archE906ELNS1_3gpuE6ELNS1_3repE0EEENS1_30default_config_static_selectorELNS0_4arch9wavefront6targetE0EEEvT1_,"axG",@progbits,_ZN7rocprim17ROCPRIM_400000_NS6detail17trampoline_kernelINS0_14default_configENS1_25partition_config_selectorILNS1_17partition_subalgoE8ElNS0_10empty_typeEbEEZZNS1_14partition_implILS5_8ELb0ES3_jPlPS6_PKS6_NS0_5tupleIJS9_S6_EEENSD_IJSA_SA_EEENS0_18inequality_wrapperIZN2at6native12_GLOBAL__N_124unique_dim_cuda_templateIdEESt5tupleIJNSH_6TensorESM_SM_EERKSM_lbbbEUlllE0_EEPmJS6_EEE10hipError_tPvRmT3_T4_T5_T6_T7_T9_mT8_P12ihipStream_tbDpT10_ENKUlT_T0_E_clISt17integral_constantIbLb1EES1C_EEDaS17_S18_EUlS17_E_NS1_11comp_targetILNS1_3genE2ELNS1_11target_archE906ELNS1_3gpuE6ELNS1_3repE0EEENS1_30default_config_static_selectorELNS0_4arch9wavefront6targetE0EEEvT1_,comdat
	.globl	_ZN7rocprim17ROCPRIM_400000_NS6detail17trampoline_kernelINS0_14default_configENS1_25partition_config_selectorILNS1_17partition_subalgoE8ElNS0_10empty_typeEbEEZZNS1_14partition_implILS5_8ELb0ES3_jPlPS6_PKS6_NS0_5tupleIJS9_S6_EEENSD_IJSA_SA_EEENS0_18inequality_wrapperIZN2at6native12_GLOBAL__N_124unique_dim_cuda_templateIdEESt5tupleIJNSH_6TensorESM_SM_EERKSM_lbbbEUlllE0_EEPmJS6_EEE10hipError_tPvRmT3_T4_T5_T6_T7_T9_mT8_P12ihipStream_tbDpT10_ENKUlT_T0_E_clISt17integral_constantIbLb1EES1C_EEDaS17_S18_EUlS17_E_NS1_11comp_targetILNS1_3genE2ELNS1_11target_archE906ELNS1_3gpuE6ELNS1_3repE0EEENS1_30default_config_static_selectorELNS0_4arch9wavefront6targetE0EEEvT1_ ; -- Begin function _ZN7rocprim17ROCPRIM_400000_NS6detail17trampoline_kernelINS0_14default_configENS1_25partition_config_selectorILNS1_17partition_subalgoE8ElNS0_10empty_typeEbEEZZNS1_14partition_implILS5_8ELb0ES3_jPlPS6_PKS6_NS0_5tupleIJS9_S6_EEENSD_IJSA_SA_EEENS0_18inequality_wrapperIZN2at6native12_GLOBAL__N_124unique_dim_cuda_templateIdEESt5tupleIJNSH_6TensorESM_SM_EERKSM_lbbbEUlllE0_EEPmJS6_EEE10hipError_tPvRmT3_T4_T5_T6_T7_T9_mT8_P12ihipStream_tbDpT10_ENKUlT_T0_E_clISt17integral_constantIbLb1EES1C_EEDaS17_S18_EUlS17_E_NS1_11comp_targetILNS1_3genE2ELNS1_11target_archE906ELNS1_3gpuE6ELNS1_3repE0EEENS1_30default_config_static_selectorELNS0_4arch9wavefront6targetE0EEEvT1_
	.p2align	8
	.type	_ZN7rocprim17ROCPRIM_400000_NS6detail17trampoline_kernelINS0_14default_configENS1_25partition_config_selectorILNS1_17partition_subalgoE8ElNS0_10empty_typeEbEEZZNS1_14partition_implILS5_8ELb0ES3_jPlPS6_PKS6_NS0_5tupleIJS9_S6_EEENSD_IJSA_SA_EEENS0_18inequality_wrapperIZN2at6native12_GLOBAL__N_124unique_dim_cuda_templateIdEESt5tupleIJNSH_6TensorESM_SM_EERKSM_lbbbEUlllE0_EEPmJS6_EEE10hipError_tPvRmT3_T4_T5_T6_T7_T9_mT8_P12ihipStream_tbDpT10_ENKUlT_T0_E_clISt17integral_constantIbLb1EES1C_EEDaS17_S18_EUlS17_E_NS1_11comp_targetILNS1_3genE2ELNS1_11target_archE906ELNS1_3gpuE6ELNS1_3repE0EEENS1_30default_config_static_selectorELNS0_4arch9wavefront6targetE0EEEvT1_,@function
_ZN7rocprim17ROCPRIM_400000_NS6detail17trampoline_kernelINS0_14default_configENS1_25partition_config_selectorILNS1_17partition_subalgoE8ElNS0_10empty_typeEbEEZZNS1_14partition_implILS5_8ELb0ES3_jPlPS6_PKS6_NS0_5tupleIJS9_S6_EEENSD_IJSA_SA_EEENS0_18inequality_wrapperIZN2at6native12_GLOBAL__N_124unique_dim_cuda_templateIdEESt5tupleIJNSH_6TensorESM_SM_EERKSM_lbbbEUlllE0_EEPmJS6_EEE10hipError_tPvRmT3_T4_T5_T6_T7_T9_mT8_P12ihipStream_tbDpT10_ENKUlT_T0_E_clISt17integral_constantIbLb1EES1C_EEDaS17_S18_EUlS17_E_NS1_11comp_targetILNS1_3genE2ELNS1_11target_archE906ELNS1_3gpuE6ELNS1_3repE0EEENS1_30default_config_static_selectorELNS0_4arch9wavefront6targetE0EEEvT1_: ; @_ZN7rocprim17ROCPRIM_400000_NS6detail17trampoline_kernelINS0_14default_configENS1_25partition_config_selectorILNS1_17partition_subalgoE8ElNS0_10empty_typeEbEEZZNS1_14partition_implILS5_8ELb0ES3_jPlPS6_PKS6_NS0_5tupleIJS9_S6_EEENSD_IJSA_SA_EEENS0_18inequality_wrapperIZN2at6native12_GLOBAL__N_124unique_dim_cuda_templateIdEESt5tupleIJNSH_6TensorESM_SM_EERKSM_lbbbEUlllE0_EEPmJS6_EEE10hipError_tPvRmT3_T4_T5_T6_T7_T9_mT8_P12ihipStream_tbDpT10_ENKUlT_T0_E_clISt17integral_constantIbLb1EES1C_EEDaS17_S18_EUlS17_E_NS1_11comp_targetILNS1_3genE2ELNS1_11target_archE906ELNS1_3gpuE6ELNS1_3repE0EEENS1_30default_config_static_selectorELNS0_4arch9wavefront6targetE0EEEvT1_
; %bb.0:
	.section	.rodata,"a",@progbits
	.p2align	6, 0x0
	.amdhsa_kernel _ZN7rocprim17ROCPRIM_400000_NS6detail17trampoline_kernelINS0_14default_configENS1_25partition_config_selectorILNS1_17partition_subalgoE8ElNS0_10empty_typeEbEEZZNS1_14partition_implILS5_8ELb0ES3_jPlPS6_PKS6_NS0_5tupleIJS9_S6_EEENSD_IJSA_SA_EEENS0_18inequality_wrapperIZN2at6native12_GLOBAL__N_124unique_dim_cuda_templateIdEESt5tupleIJNSH_6TensorESM_SM_EERKSM_lbbbEUlllE0_EEPmJS6_EEE10hipError_tPvRmT3_T4_T5_T6_T7_T9_mT8_P12ihipStream_tbDpT10_ENKUlT_T0_E_clISt17integral_constantIbLb1EES1C_EEDaS17_S18_EUlS17_E_NS1_11comp_targetILNS1_3genE2ELNS1_11target_archE906ELNS1_3gpuE6ELNS1_3repE0EEENS1_30default_config_static_selectorELNS0_4arch9wavefront6targetE0EEEvT1_
		.amdhsa_group_segment_fixed_size 0
		.amdhsa_private_segment_fixed_size 0
		.amdhsa_kernarg_size 136
		.amdhsa_user_sgpr_count 15
		.amdhsa_user_sgpr_dispatch_ptr 0
		.amdhsa_user_sgpr_queue_ptr 0
		.amdhsa_user_sgpr_kernarg_segment_ptr 1
		.amdhsa_user_sgpr_dispatch_id 0
		.amdhsa_user_sgpr_private_segment_size 0
		.amdhsa_wavefront_size32 1
		.amdhsa_uses_dynamic_stack 0
		.amdhsa_enable_private_segment 0
		.amdhsa_system_sgpr_workgroup_id_x 1
		.amdhsa_system_sgpr_workgroup_id_y 0
		.amdhsa_system_sgpr_workgroup_id_z 0
		.amdhsa_system_sgpr_workgroup_info 0
		.amdhsa_system_vgpr_workitem_id 0
		.amdhsa_next_free_vgpr 1
		.amdhsa_next_free_sgpr 1
		.amdhsa_reserve_vcc 0
		.amdhsa_float_round_mode_32 0
		.amdhsa_float_round_mode_16_64 0
		.amdhsa_float_denorm_mode_32 3
		.amdhsa_float_denorm_mode_16_64 3
		.amdhsa_dx10_clamp 1
		.amdhsa_ieee_mode 1
		.amdhsa_fp16_overflow 0
		.amdhsa_workgroup_processor_mode 1
		.amdhsa_memory_ordered 1
		.amdhsa_forward_progress 0
		.amdhsa_shared_vgpr_count 0
		.amdhsa_exception_fp_ieee_invalid_op 0
		.amdhsa_exception_fp_denorm_src 0
		.amdhsa_exception_fp_ieee_div_zero 0
		.amdhsa_exception_fp_ieee_overflow 0
		.amdhsa_exception_fp_ieee_underflow 0
		.amdhsa_exception_fp_ieee_inexact 0
		.amdhsa_exception_int_div_zero 0
	.end_amdhsa_kernel
	.section	.text._ZN7rocprim17ROCPRIM_400000_NS6detail17trampoline_kernelINS0_14default_configENS1_25partition_config_selectorILNS1_17partition_subalgoE8ElNS0_10empty_typeEbEEZZNS1_14partition_implILS5_8ELb0ES3_jPlPS6_PKS6_NS0_5tupleIJS9_S6_EEENSD_IJSA_SA_EEENS0_18inequality_wrapperIZN2at6native12_GLOBAL__N_124unique_dim_cuda_templateIdEESt5tupleIJNSH_6TensorESM_SM_EERKSM_lbbbEUlllE0_EEPmJS6_EEE10hipError_tPvRmT3_T4_T5_T6_T7_T9_mT8_P12ihipStream_tbDpT10_ENKUlT_T0_E_clISt17integral_constantIbLb1EES1C_EEDaS17_S18_EUlS17_E_NS1_11comp_targetILNS1_3genE2ELNS1_11target_archE906ELNS1_3gpuE6ELNS1_3repE0EEENS1_30default_config_static_selectorELNS0_4arch9wavefront6targetE0EEEvT1_,"axG",@progbits,_ZN7rocprim17ROCPRIM_400000_NS6detail17trampoline_kernelINS0_14default_configENS1_25partition_config_selectorILNS1_17partition_subalgoE8ElNS0_10empty_typeEbEEZZNS1_14partition_implILS5_8ELb0ES3_jPlPS6_PKS6_NS0_5tupleIJS9_S6_EEENSD_IJSA_SA_EEENS0_18inequality_wrapperIZN2at6native12_GLOBAL__N_124unique_dim_cuda_templateIdEESt5tupleIJNSH_6TensorESM_SM_EERKSM_lbbbEUlllE0_EEPmJS6_EEE10hipError_tPvRmT3_T4_T5_T6_T7_T9_mT8_P12ihipStream_tbDpT10_ENKUlT_T0_E_clISt17integral_constantIbLb1EES1C_EEDaS17_S18_EUlS17_E_NS1_11comp_targetILNS1_3genE2ELNS1_11target_archE906ELNS1_3gpuE6ELNS1_3repE0EEENS1_30default_config_static_selectorELNS0_4arch9wavefront6targetE0EEEvT1_,comdat
.Lfunc_end819:
	.size	_ZN7rocprim17ROCPRIM_400000_NS6detail17trampoline_kernelINS0_14default_configENS1_25partition_config_selectorILNS1_17partition_subalgoE8ElNS0_10empty_typeEbEEZZNS1_14partition_implILS5_8ELb0ES3_jPlPS6_PKS6_NS0_5tupleIJS9_S6_EEENSD_IJSA_SA_EEENS0_18inequality_wrapperIZN2at6native12_GLOBAL__N_124unique_dim_cuda_templateIdEESt5tupleIJNSH_6TensorESM_SM_EERKSM_lbbbEUlllE0_EEPmJS6_EEE10hipError_tPvRmT3_T4_T5_T6_T7_T9_mT8_P12ihipStream_tbDpT10_ENKUlT_T0_E_clISt17integral_constantIbLb1EES1C_EEDaS17_S18_EUlS17_E_NS1_11comp_targetILNS1_3genE2ELNS1_11target_archE906ELNS1_3gpuE6ELNS1_3repE0EEENS1_30default_config_static_selectorELNS0_4arch9wavefront6targetE0EEEvT1_, .Lfunc_end819-_ZN7rocprim17ROCPRIM_400000_NS6detail17trampoline_kernelINS0_14default_configENS1_25partition_config_selectorILNS1_17partition_subalgoE8ElNS0_10empty_typeEbEEZZNS1_14partition_implILS5_8ELb0ES3_jPlPS6_PKS6_NS0_5tupleIJS9_S6_EEENSD_IJSA_SA_EEENS0_18inequality_wrapperIZN2at6native12_GLOBAL__N_124unique_dim_cuda_templateIdEESt5tupleIJNSH_6TensorESM_SM_EERKSM_lbbbEUlllE0_EEPmJS6_EEE10hipError_tPvRmT3_T4_T5_T6_T7_T9_mT8_P12ihipStream_tbDpT10_ENKUlT_T0_E_clISt17integral_constantIbLb1EES1C_EEDaS17_S18_EUlS17_E_NS1_11comp_targetILNS1_3genE2ELNS1_11target_archE906ELNS1_3gpuE6ELNS1_3repE0EEENS1_30default_config_static_selectorELNS0_4arch9wavefront6targetE0EEEvT1_
                                        ; -- End function
	.section	.AMDGPU.csdata,"",@progbits
; Kernel info:
; codeLenInByte = 0
; NumSgprs: 0
; NumVgprs: 0
; ScratchSize: 0
; MemoryBound: 0
; FloatMode: 240
; IeeeMode: 1
; LDSByteSize: 0 bytes/workgroup (compile time only)
; SGPRBlocks: 0
; VGPRBlocks: 0
; NumSGPRsForWavesPerEU: 1
; NumVGPRsForWavesPerEU: 1
; Occupancy: 16
; WaveLimiterHint : 0
; COMPUTE_PGM_RSRC2:SCRATCH_EN: 0
; COMPUTE_PGM_RSRC2:USER_SGPR: 15
; COMPUTE_PGM_RSRC2:TRAP_HANDLER: 0
; COMPUTE_PGM_RSRC2:TGID_X_EN: 1
; COMPUTE_PGM_RSRC2:TGID_Y_EN: 0
; COMPUTE_PGM_RSRC2:TGID_Z_EN: 0
; COMPUTE_PGM_RSRC2:TIDIG_COMP_CNT: 0
	.section	.text._ZN7rocprim17ROCPRIM_400000_NS6detail17trampoline_kernelINS0_14default_configENS1_25partition_config_selectorILNS1_17partition_subalgoE8ElNS0_10empty_typeEbEEZZNS1_14partition_implILS5_8ELb0ES3_jPlPS6_PKS6_NS0_5tupleIJS9_S6_EEENSD_IJSA_SA_EEENS0_18inequality_wrapperIZN2at6native12_GLOBAL__N_124unique_dim_cuda_templateIdEESt5tupleIJNSH_6TensorESM_SM_EERKSM_lbbbEUlllE0_EEPmJS6_EEE10hipError_tPvRmT3_T4_T5_T6_T7_T9_mT8_P12ihipStream_tbDpT10_ENKUlT_T0_E_clISt17integral_constantIbLb1EES1C_EEDaS17_S18_EUlS17_E_NS1_11comp_targetILNS1_3genE10ELNS1_11target_archE1200ELNS1_3gpuE4ELNS1_3repE0EEENS1_30default_config_static_selectorELNS0_4arch9wavefront6targetE0EEEvT1_,"axG",@progbits,_ZN7rocprim17ROCPRIM_400000_NS6detail17trampoline_kernelINS0_14default_configENS1_25partition_config_selectorILNS1_17partition_subalgoE8ElNS0_10empty_typeEbEEZZNS1_14partition_implILS5_8ELb0ES3_jPlPS6_PKS6_NS0_5tupleIJS9_S6_EEENSD_IJSA_SA_EEENS0_18inequality_wrapperIZN2at6native12_GLOBAL__N_124unique_dim_cuda_templateIdEESt5tupleIJNSH_6TensorESM_SM_EERKSM_lbbbEUlllE0_EEPmJS6_EEE10hipError_tPvRmT3_T4_T5_T6_T7_T9_mT8_P12ihipStream_tbDpT10_ENKUlT_T0_E_clISt17integral_constantIbLb1EES1C_EEDaS17_S18_EUlS17_E_NS1_11comp_targetILNS1_3genE10ELNS1_11target_archE1200ELNS1_3gpuE4ELNS1_3repE0EEENS1_30default_config_static_selectorELNS0_4arch9wavefront6targetE0EEEvT1_,comdat
	.globl	_ZN7rocprim17ROCPRIM_400000_NS6detail17trampoline_kernelINS0_14default_configENS1_25partition_config_selectorILNS1_17partition_subalgoE8ElNS0_10empty_typeEbEEZZNS1_14partition_implILS5_8ELb0ES3_jPlPS6_PKS6_NS0_5tupleIJS9_S6_EEENSD_IJSA_SA_EEENS0_18inequality_wrapperIZN2at6native12_GLOBAL__N_124unique_dim_cuda_templateIdEESt5tupleIJNSH_6TensorESM_SM_EERKSM_lbbbEUlllE0_EEPmJS6_EEE10hipError_tPvRmT3_T4_T5_T6_T7_T9_mT8_P12ihipStream_tbDpT10_ENKUlT_T0_E_clISt17integral_constantIbLb1EES1C_EEDaS17_S18_EUlS17_E_NS1_11comp_targetILNS1_3genE10ELNS1_11target_archE1200ELNS1_3gpuE4ELNS1_3repE0EEENS1_30default_config_static_selectorELNS0_4arch9wavefront6targetE0EEEvT1_ ; -- Begin function _ZN7rocprim17ROCPRIM_400000_NS6detail17trampoline_kernelINS0_14default_configENS1_25partition_config_selectorILNS1_17partition_subalgoE8ElNS0_10empty_typeEbEEZZNS1_14partition_implILS5_8ELb0ES3_jPlPS6_PKS6_NS0_5tupleIJS9_S6_EEENSD_IJSA_SA_EEENS0_18inequality_wrapperIZN2at6native12_GLOBAL__N_124unique_dim_cuda_templateIdEESt5tupleIJNSH_6TensorESM_SM_EERKSM_lbbbEUlllE0_EEPmJS6_EEE10hipError_tPvRmT3_T4_T5_T6_T7_T9_mT8_P12ihipStream_tbDpT10_ENKUlT_T0_E_clISt17integral_constantIbLb1EES1C_EEDaS17_S18_EUlS17_E_NS1_11comp_targetILNS1_3genE10ELNS1_11target_archE1200ELNS1_3gpuE4ELNS1_3repE0EEENS1_30default_config_static_selectorELNS0_4arch9wavefront6targetE0EEEvT1_
	.p2align	8
	.type	_ZN7rocprim17ROCPRIM_400000_NS6detail17trampoline_kernelINS0_14default_configENS1_25partition_config_selectorILNS1_17partition_subalgoE8ElNS0_10empty_typeEbEEZZNS1_14partition_implILS5_8ELb0ES3_jPlPS6_PKS6_NS0_5tupleIJS9_S6_EEENSD_IJSA_SA_EEENS0_18inequality_wrapperIZN2at6native12_GLOBAL__N_124unique_dim_cuda_templateIdEESt5tupleIJNSH_6TensorESM_SM_EERKSM_lbbbEUlllE0_EEPmJS6_EEE10hipError_tPvRmT3_T4_T5_T6_T7_T9_mT8_P12ihipStream_tbDpT10_ENKUlT_T0_E_clISt17integral_constantIbLb1EES1C_EEDaS17_S18_EUlS17_E_NS1_11comp_targetILNS1_3genE10ELNS1_11target_archE1200ELNS1_3gpuE4ELNS1_3repE0EEENS1_30default_config_static_selectorELNS0_4arch9wavefront6targetE0EEEvT1_,@function
_ZN7rocprim17ROCPRIM_400000_NS6detail17trampoline_kernelINS0_14default_configENS1_25partition_config_selectorILNS1_17partition_subalgoE8ElNS0_10empty_typeEbEEZZNS1_14partition_implILS5_8ELb0ES3_jPlPS6_PKS6_NS0_5tupleIJS9_S6_EEENSD_IJSA_SA_EEENS0_18inequality_wrapperIZN2at6native12_GLOBAL__N_124unique_dim_cuda_templateIdEESt5tupleIJNSH_6TensorESM_SM_EERKSM_lbbbEUlllE0_EEPmJS6_EEE10hipError_tPvRmT3_T4_T5_T6_T7_T9_mT8_P12ihipStream_tbDpT10_ENKUlT_T0_E_clISt17integral_constantIbLb1EES1C_EEDaS17_S18_EUlS17_E_NS1_11comp_targetILNS1_3genE10ELNS1_11target_archE1200ELNS1_3gpuE4ELNS1_3repE0EEENS1_30default_config_static_selectorELNS0_4arch9wavefront6targetE0EEEvT1_: ; @_ZN7rocprim17ROCPRIM_400000_NS6detail17trampoline_kernelINS0_14default_configENS1_25partition_config_selectorILNS1_17partition_subalgoE8ElNS0_10empty_typeEbEEZZNS1_14partition_implILS5_8ELb0ES3_jPlPS6_PKS6_NS0_5tupleIJS9_S6_EEENSD_IJSA_SA_EEENS0_18inequality_wrapperIZN2at6native12_GLOBAL__N_124unique_dim_cuda_templateIdEESt5tupleIJNSH_6TensorESM_SM_EERKSM_lbbbEUlllE0_EEPmJS6_EEE10hipError_tPvRmT3_T4_T5_T6_T7_T9_mT8_P12ihipStream_tbDpT10_ENKUlT_T0_E_clISt17integral_constantIbLb1EES1C_EEDaS17_S18_EUlS17_E_NS1_11comp_targetILNS1_3genE10ELNS1_11target_archE1200ELNS1_3gpuE4ELNS1_3repE0EEENS1_30default_config_static_selectorELNS0_4arch9wavefront6targetE0EEEvT1_
; %bb.0:
	.section	.rodata,"a",@progbits
	.p2align	6, 0x0
	.amdhsa_kernel _ZN7rocprim17ROCPRIM_400000_NS6detail17trampoline_kernelINS0_14default_configENS1_25partition_config_selectorILNS1_17partition_subalgoE8ElNS0_10empty_typeEbEEZZNS1_14partition_implILS5_8ELb0ES3_jPlPS6_PKS6_NS0_5tupleIJS9_S6_EEENSD_IJSA_SA_EEENS0_18inequality_wrapperIZN2at6native12_GLOBAL__N_124unique_dim_cuda_templateIdEESt5tupleIJNSH_6TensorESM_SM_EERKSM_lbbbEUlllE0_EEPmJS6_EEE10hipError_tPvRmT3_T4_T5_T6_T7_T9_mT8_P12ihipStream_tbDpT10_ENKUlT_T0_E_clISt17integral_constantIbLb1EES1C_EEDaS17_S18_EUlS17_E_NS1_11comp_targetILNS1_3genE10ELNS1_11target_archE1200ELNS1_3gpuE4ELNS1_3repE0EEENS1_30default_config_static_selectorELNS0_4arch9wavefront6targetE0EEEvT1_
		.amdhsa_group_segment_fixed_size 0
		.amdhsa_private_segment_fixed_size 0
		.amdhsa_kernarg_size 136
		.amdhsa_user_sgpr_count 15
		.amdhsa_user_sgpr_dispatch_ptr 0
		.amdhsa_user_sgpr_queue_ptr 0
		.amdhsa_user_sgpr_kernarg_segment_ptr 1
		.amdhsa_user_sgpr_dispatch_id 0
		.amdhsa_user_sgpr_private_segment_size 0
		.amdhsa_wavefront_size32 1
		.amdhsa_uses_dynamic_stack 0
		.amdhsa_enable_private_segment 0
		.amdhsa_system_sgpr_workgroup_id_x 1
		.amdhsa_system_sgpr_workgroup_id_y 0
		.amdhsa_system_sgpr_workgroup_id_z 0
		.amdhsa_system_sgpr_workgroup_info 0
		.amdhsa_system_vgpr_workitem_id 0
		.amdhsa_next_free_vgpr 1
		.amdhsa_next_free_sgpr 1
		.amdhsa_reserve_vcc 0
		.amdhsa_float_round_mode_32 0
		.amdhsa_float_round_mode_16_64 0
		.amdhsa_float_denorm_mode_32 3
		.amdhsa_float_denorm_mode_16_64 3
		.amdhsa_dx10_clamp 1
		.amdhsa_ieee_mode 1
		.amdhsa_fp16_overflow 0
		.amdhsa_workgroup_processor_mode 1
		.amdhsa_memory_ordered 1
		.amdhsa_forward_progress 0
		.amdhsa_shared_vgpr_count 0
		.amdhsa_exception_fp_ieee_invalid_op 0
		.amdhsa_exception_fp_denorm_src 0
		.amdhsa_exception_fp_ieee_div_zero 0
		.amdhsa_exception_fp_ieee_overflow 0
		.amdhsa_exception_fp_ieee_underflow 0
		.amdhsa_exception_fp_ieee_inexact 0
		.amdhsa_exception_int_div_zero 0
	.end_amdhsa_kernel
	.section	.text._ZN7rocprim17ROCPRIM_400000_NS6detail17trampoline_kernelINS0_14default_configENS1_25partition_config_selectorILNS1_17partition_subalgoE8ElNS0_10empty_typeEbEEZZNS1_14partition_implILS5_8ELb0ES3_jPlPS6_PKS6_NS0_5tupleIJS9_S6_EEENSD_IJSA_SA_EEENS0_18inequality_wrapperIZN2at6native12_GLOBAL__N_124unique_dim_cuda_templateIdEESt5tupleIJNSH_6TensorESM_SM_EERKSM_lbbbEUlllE0_EEPmJS6_EEE10hipError_tPvRmT3_T4_T5_T6_T7_T9_mT8_P12ihipStream_tbDpT10_ENKUlT_T0_E_clISt17integral_constantIbLb1EES1C_EEDaS17_S18_EUlS17_E_NS1_11comp_targetILNS1_3genE10ELNS1_11target_archE1200ELNS1_3gpuE4ELNS1_3repE0EEENS1_30default_config_static_selectorELNS0_4arch9wavefront6targetE0EEEvT1_,"axG",@progbits,_ZN7rocprim17ROCPRIM_400000_NS6detail17trampoline_kernelINS0_14default_configENS1_25partition_config_selectorILNS1_17partition_subalgoE8ElNS0_10empty_typeEbEEZZNS1_14partition_implILS5_8ELb0ES3_jPlPS6_PKS6_NS0_5tupleIJS9_S6_EEENSD_IJSA_SA_EEENS0_18inequality_wrapperIZN2at6native12_GLOBAL__N_124unique_dim_cuda_templateIdEESt5tupleIJNSH_6TensorESM_SM_EERKSM_lbbbEUlllE0_EEPmJS6_EEE10hipError_tPvRmT3_T4_T5_T6_T7_T9_mT8_P12ihipStream_tbDpT10_ENKUlT_T0_E_clISt17integral_constantIbLb1EES1C_EEDaS17_S18_EUlS17_E_NS1_11comp_targetILNS1_3genE10ELNS1_11target_archE1200ELNS1_3gpuE4ELNS1_3repE0EEENS1_30default_config_static_selectorELNS0_4arch9wavefront6targetE0EEEvT1_,comdat
.Lfunc_end820:
	.size	_ZN7rocprim17ROCPRIM_400000_NS6detail17trampoline_kernelINS0_14default_configENS1_25partition_config_selectorILNS1_17partition_subalgoE8ElNS0_10empty_typeEbEEZZNS1_14partition_implILS5_8ELb0ES3_jPlPS6_PKS6_NS0_5tupleIJS9_S6_EEENSD_IJSA_SA_EEENS0_18inequality_wrapperIZN2at6native12_GLOBAL__N_124unique_dim_cuda_templateIdEESt5tupleIJNSH_6TensorESM_SM_EERKSM_lbbbEUlllE0_EEPmJS6_EEE10hipError_tPvRmT3_T4_T5_T6_T7_T9_mT8_P12ihipStream_tbDpT10_ENKUlT_T0_E_clISt17integral_constantIbLb1EES1C_EEDaS17_S18_EUlS17_E_NS1_11comp_targetILNS1_3genE10ELNS1_11target_archE1200ELNS1_3gpuE4ELNS1_3repE0EEENS1_30default_config_static_selectorELNS0_4arch9wavefront6targetE0EEEvT1_, .Lfunc_end820-_ZN7rocprim17ROCPRIM_400000_NS6detail17trampoline_kernelINS0_14default_configENS1_25partition_config_selectorILNS1_17partition_subalgoE8ElNS0_10empty_typeEbEEZZNS1_14partition_implILS5_8ELb0ES3_jPlPS6_PKS6_NS0_5tupleIJS9_S6_EEENSD_IJSA_SA_EEENS0_18inequality_wrapperIZN2at6native12_GLOBAL__N_124unique_dim_cuda_templateIdEESt5tupleIJNSH_6TensorESM_SM_EERKSM_lbbbEUlllE0_EEPmJS6_EEE10hipError_tPvRmT3_T4_T5_T6_T7_T9_mT8_P12ihipStream_tbDpT10_ENKUlT_T0_E_clISt17integral_constantIbLb1EES1C_EEDaS17_S18_EUlS17_E_NS1_11comp_targetILNS1_3genE10ELNS1_11target_archE1200ELNS1_3gpuE4ELNS1_3repE0EEENS1_30default_config_static_selectorELNS0_4arch9wavefront6targetE0EEEvT1_
                                        ; -- End function
	.section	.AMDGPU.csdata,"",@progbits
; Kernel info:
; codeLenInByte = 0
; NumSgprs: 0
; NumVgprs: 0
; ScratchSize: 0
; MemoryBound: 0
; FloatMode: 240
; IeeeMode: 1
; LDSByteSize: 0 bytes/workgroup (compile time only)
; SGPRBlocks: 0
; VGPRBlocks: 0
; NumSGPRsForWavesPerEU: 1
; NumVGPRsForWavesPerEU: 1
; Occupancy: 15
; WaveLimiterHint : 0
; COMPUTE_PGM_RSRC2:SCRATCH_EN: 0
; COMPUTE_PGM_RSRC2:USER_SGPR: 15
; COMPUTE_PGM_RSRC2:TRAP_HANDLER: 0
; COMPUTE_PGM_RSRC2:TGID_X_EN: 1
; COMPUTE_PGM_RSRC2:TGID_Y_EN: 0
; COMPUTE_PGM_RSRC2:TGID_Z_EN: 0
; COMPUTE_PGM_RSRC2:TIDIG_COMP_CNT: 0
	.section	.text._ZN7rocprim17ROCPRIM_400000_NS6detail17trampoline_kernelINS0_14default_configENS1_25partition_config_selectorILNS1_17partition_subalgoE8ElNS0_10empty_typeEbEEZZNS1_14partition_implILS5_8ELb0ES3_jPlPS6_PKS6_NS0_5tupleIJS9_S6_EEENSD_IJSA_SA_EEENS0_18inequality_wrapperIZN2at6native12_GLOBAL__N_124unique_dim_cuda_templateIdEESt5tupleIJNSH_6TensorESM_SM_EERKSM_lbbbEUlllE0_EEPmJS6_EEE10hipError_tPvRmT3_T4_T5_T6_T7_T9_mT8_P12ihipStream_tbDpT10_ENKUlT_T0_E_clISt17integral_constantIbLb1EES1C_EEDaS17_S18_EUlS17_E_NS1_11comp_targetILNS1_3genE9ELNS1_11target_archE1100ELNS1_3gpuE3ELNS1_3repE0EEENS1_30default_config_static_selectorELNS0_4arch9wavefront6targetE0EEEvT1_,"axG",@progbits,_ZN7rocprim17ROCPRIM_400000_NS6detail17trampoline_kernelINS0_14default_configENS1_25partition_config_selectorILNS1_17partition_subalgoE8ElNS0_10empty_typeEbEEZZNS1_14partition_implILS5_8ELb0ES3_jPlPS6_PKS6_NS0_5tupleIJS9_S6_EEENSD_IJSA_SA_EEENS0_18inequality_wrapperIZN2at6native12_GLOBAL__N_124unique_dim_cuda_templateIdEESt5tupleIJNSH_6TensorESM_SM_EERKSM_lbbbEUlllE0_EEPmJS6_EEE10hipError_tPvRmT3_T4_T5_T6_T7_T9_mT8_P12ihipStream_tbDpT10_ENKUlT_T0_E_clISt17integral_constantIbLb1EES1C_EEDaS17_S18_EUlS17_E_NS1_11comp_targetILNS1_3genE9ELNS1_11target_archE1100ELNS1_3gpuE3ELNS1_3repE0EEENS1_30default_config_static_selectorELNS0_4arch9wavefront6targetE0EEEvT1_,comdat
	.globl	_ZN7rocprim17ROCPRIM_400000_NS6detail17trampoline_kernelINS0_14default_configENS1_25partition_config_selectorILNS1_17partition_subalgoE8ElNS0_10empty_typeEbEEZZNS1_14partition_implILS5_8ELb0ES3_jPlPS6_PKS6_NS0_5tupleIJS9_S6_EEENSD_IJSA_SA_EEENS0_18inequality_wrapperIZN2at6native12_GLOBAL__N_124unique_dim_cuda_templateIdEESt5tupleIJNSH_6TensorESM_SM_EERKSM_lbbbEUlllE0_EEPmJS6_EEE10hipError_tPvRmT3_T4_T5_T6_T7_T9_mT8_P12ihipStream_tbDpT10_ENKUlT_T0_E_clISt17integral_constantIbLb1EES1C_EEDaS17_S18_EUlS17_E_NS1_11comp_targetILNS1_3genE9ELNS1_11target_archE1100ELNS1_3gpuE3ELNS1_3repE0EEENS1_30default_config_static_selectorELNS0_4arch9wavefront6targetE0EEEvT1_ ; -- Begin function _ZN7rocprim17ROCPRIM_400000_NS6detail17trampoline_kernelINS0_14default_configENS1_25partition_config_selectorILNS1_17partition_subalgoE8ElNS0_10empty_typeEbEEZZNS1_14partition_implILS5_8ELb0ES3_jPlPS6_PKS6_NS0_5tupleIJS9_S6_EEENSD_IJSA_SA_EEENS0_18inequality_wrapperIZN2at6native12_GLOBAL__N_124unique_dim_cuda_templateIdEESt5tupleIJNSH_6TensorESM_SM_EERKSM_lbbbEUlllE0_EEPmJS6_EEE10hipError_tPvRmT3_T4_T5_T6_T7_T9_mT8_P12ihipStream_tbDpT10_ENKUlT_T0_E_clISt17integral_constantIbLb1EES1C_EEDaS17_S18_EUlS17_E_NS1_11comp_targetILNS1_3genE9ELNS1_11target_archE1100ELNS1_3gpuE3ELNS1_3repE0EEENS1_30default_config_static_selectorELNS0_4arch9wavefront6targetE0EEEvT1_
	.p2align	8
	.type	_ZN7rocprim17ROCPRIM_400000_NS6detail17trampoline_kernelINS0_14default_configENS1_25partition_config_selectorILNS1_17partition_subalgoE8ElNS0_10empty_typeEbEEZZNS1_14partition_implILS5_8ELb0ES3_jPlPS6_PKS6_NS0_5tupleIJS9_S6_EEENSD_IJSA_SA_EEENS0_18inequality_wrapperIZN2at6native12_GLOBAL__N_124unique_dim_cuda_templateIdEESt5tupleIJNSH_6TensorESM_SM_EERKSM_lbbbEUlllE0_EEPmJS6_EEE10hipError_tPvRmT3_T4_T5_T6_T7_T9_mT8_P12ihipStream_tbDpT10_ENKUlT_T0_E_clISt17integral_constantIbLb1EES1C_EEDaS17_S18_EUlS17_E_NS1_11comp_targetILNS1_3genE9ELNS1_11target_archE1100ELNS1_3gpuE3ELNS1_3repE0EEENS1_30default_config_static_selectorELNS0_4arch9wavefront6targetE0EEEvT1_,@function
_ZN7rocprim17ROCPRIM_400000_NS6detail17trampoline_kernelINS0_14default_configENS1_25partition_config_selectorILNS1_17partition_subalgoE8ElNS0_10empty_typeEbEEZZNS1_14partition_implILS5_8ELb0ES3_jPlPS6_PKS6_NS0_5tupleIJS9_S6_EEENSD_IJSA_SA_EEENS0_18inequality_wrapperIZN2at6native12_GLOBAL__N_124unique_dim_cuda_templateIdEESt5tupleIJNSH_6TensorESM_SM_EERKSM_lbbbEUlllE0_EEPmJS6_EEE10hipError_tPvRmT3_T4_T5_T6_T7_T9_mT8_P12ihipStream_tbDpT10_ENKUlT_T0_E_clISt17integral_constantIbLb1EES1C_EEDaS17_S18_EUlS17_E_NS1_11comp_targetILNS1_3genE9ELNS1_11target_archE1100ELNS1_3gpuE3ELNS1_3repE0EEENS1_30default_config_static_selectorELNS0_4arch9wavefront6targetE0EEEvT1_: ; @_ZN7rocprim17ROCPRIM_400000_NS6detail17trampoline_kernelINS0_14default_configENS1_25partition_config_selectorILNS1_17partition_subalgoE8ElNS0_10empty_typeEbEEZZNS1_14partition_implILS5_8ELb0ES3_jPlPS6_PKS6_NS0_5tupleIJS9_S6_EEENSD_IJSA_SA_EEENS0_18inequality_wrapperIZN2at6native12_GLOBAL__N_124unique_dim_cuda_templateIdEESt5tupleIJNSH_6TensorESM_SM_EERKSM_lbbbEUlllE0_EEPmJS6_EEE10hipError_tPvRmT3_T4_T5_T6_T7_T9_mT8_P12ihipStream_tbDpT10_ENKUlT_T0_E_clISt17integral_constantIbLb1EES1C_EEDaS17_S18_EUlS17_E_NS1_11comp_targetILNS1_3genE9ELNS1_11target_archE1100ELNS1_3gpuE3ELNS1_3repE0EEENS1_30default_config_static_selectorELNS0_4arch9wavefront6targetE0EEEvT1_
; %bb.0:
	s_clause 0x2
	s_load_b64 s[20:21], s[0:1], 0x28
	s_load_b256 s[8:15], s[0:1], 0x40
	s_load_b128 s[16:19], s[0:1], 0x60
	v_cmp_ne_u32_e64 s3, 0, v0
	v_cmp_eq_u32_e64 s2, 0, v0
	s_delay_alu instid0(VALU_DEP_1)
	s_and_saveexec_b32 s4, s2
	s_cbranch_execz .LBB821_4
; %bb.1:
	s_mov_b32 s6, exec_lo
	s_mov_b32 s5, exec_lo
	v_mbcnt_lo_u32_b32 v1, s6, 0
                                        ; implicit-def: $vgpr2
	s_delay_alu instid0(VALU_DEP_1)
	v_cmpx_eq_u32_e32 0, v1
	s_cbranch_execz .LBB821_3
; %bb.2:
	s_load_b64 s[22:23], s[0:1], 0x78
	s_bcnt1_i32_b32 s6, s6
	s_delay_alu instid0(SALU_CYCLE_1)
	v_dual_mov_b32 v2, 0 :: v_dual_mov_b32 v3, s6
	s_waitcnt lgkmcnt(0)
	global_atomic_add_u32 v2, v2, v3, s[22:23] glc
.LBB821_3:
	s_or_b32 exec_lo, exec_lo, s5
	s_waitcnt vmcnt(0)
	v_readfirstlane_b32 s5, v2
	s_delay_alu instid0(VALU_DEP_1)
	v_dual_mov_b32 v2, 0 :: v_dual_add_nc_u32 v1, s5, v1
	ds_store_b32 v2, v1
.LBB821_4:
	s_or_b32 exec_lo, exec_lo, s4
	v_dual_mov_b32 v2, 0 :: v_dual_lshlrev_b32 v39, 3, v0
	s_clause 0x1
	s_load_b128 s[4:7], s[0:1], 0x8
	s_load_b32 s0, s[0:1], 0x70
	s_waitcnt lgkmcnt(0)
	s_barrier
	buffer_gl0_inv
	ds_load_b32 v1, v2
	s_waitcnt lgkmcnt(0)
	s_barrier
	buffer_gl0_inv
	global_load_b64 v[3:4], v2, s[10:11]
	v_lshrrev_b32_e32 v19, 2, v0
	v_or_b32_e32 v26, 0x200, v0
	v_or_b32_e32 v25, 0x400, v0
	;; [unrolled: 1-line block ×7, first 2 shown]
	s_lshl_b64 s[10:11], s[6:7], 3
	s_delay_alu instid0(SALU_CYCLE_1)
	s_add_u32 s10, s4, s10
	s_addc_u32 s11, s5, s11
	s_add_i32 s1, s0, -1
	v_readfirstlane_b32 s23, v1
	s_lshl_b32 s4, s1, 12
	v_lshlrev_b32_e32 v1, 12, v1
	s_lshl_b32 s5, s0, 12
	s_add_i32 s0, s6, s4
	s_add_u32 s4, s6, s5
	s_addc_u32 s5, s7, 0
	v_lshlrev_b64 v[1:2], 3, v[1:2]
	v_cmp_ge_u64_e64 s4, s[4:5], s[12:13]
	s_cmp_eq_u32 s23, s1
	s_cselect_b32 s13, -1, 0
	s_delay_alu instid0(VALU_DEP_2) | instskip(NEXT) | instid1(VALU_DEP_2)
	v_add_co_u32 v17, vcc_lo, s10, v1
	s_and_b32 s1, s4, s13
	v_add_co_ci_u32_e32 v18, vcc_lo, s11, v2, vcc_lo
	s_xor_b32 s22, s1, -1
	s_mov_b32 s4, -1
	s_and_b32 vcc_lo, exec_lo, s22
	s_waitcnt vmcnt(0)
	v_readfirstlane_b32 s10, v3
	v_readfirstlane_b32 s11, v4
	s_cbranch_vccz .LBB821_6
; %bb.5:
	v_add_co_u32 v9, vcc_lo, v17, v39
	v_add_co_ci_u32_e32 v10, vcc_lo, 0, v18, vcc_lo
	v_readfirstlane_b32 s4, v17
	s_delay_alu instid0(VALU_DEP_3) | instskip(NEXT) | instid1(VALU_DEP_3)
	v_add_co_u32 v3, vcc_lo, v9, 0x2000
	v_add_co_ci_u32_e32 v4, vcc_lo, 0, v10, vcc_lo
	v_add_co_u32 v5, vcc_lo, v9, 0x4000
	v_add_co_ci_u32_e32 v6, vcc_lo, 0, v10, vcc_lo
	v_add_co_u32 v7, vcc_lo, v9, 0x6000
	v_readfirstlane_b32 s5, v18
	v_add_co_ci_u32_e32 v8, vcc_lo, 0, v10, vcc_lo
	v_add_co_u32 v9, vcc_lo, 0x7000, v9
	v_add_co_ci_u32_e32 v10, vcc_lo, 0, v10, vcc_lo
	s_clause 0x7
	global_load_b64 v[1:2], v39, s[4:5]
	global_load_b64 v[11:12], v[3:4], off offset:-4096
	global_load_b64 v[3:4], v[3:4], off
	global_load_b64 v[13:14], v[5:6], off offset:-4096
	global_load_b64 v[5:6], v[5:6], off
	;; [unrolled: 2-line block ×3, first 2 shown]
	global_load_b64 v[9:10], v[9:10], off
	v_lshrrev_b32_e32 v28, 2, v26
	v_lshrrev_b32_e32 v29, 2, v25
	;; [unrolled: 1-line block ×4, first 2 shown]
	v_and_b32_e32 v27, 0x78, v19
	v_lshrrev_b32_e32 v32, 2, v22
	v_lshrrev_b32_e32 v33, 2, v21
	v_lshrrev_b32_e32 v34, 2, v20
	v_and_b32_e32 v28, 0xf8, v28
	v_and_b32_e32 v29, 0x178, v29
	;; [unrolled: 1-line block ×4, first 2 shown]
	v_add_nc_u32_e32 v27, v27, v39
	v_and_b32_e32 v32, 0x2f8, v32
	v_and_b32_e32 v33, 0x378, v33
	;; [unrolled: 1-line block ×3, first 2 shown]
	v_add_nc_u32_e32 v28, v28, v39
	v_add_nc_u32_e32 v29, v29, v39
	;; [unrolled: 1-line block ×4, first 2 shown]
	s_mov_b32 s4, 0
	v_add_nc_u32_e32 v32, v32, v39
	v_add_nc_u32_e32 v33, v33, v39
	;; [unrolled: 1-line block ×3, first 2 shown]
	s_waitcnt vmcnt(7)
	ds_store_b64 v27, v[1:2]
	s_waitcnt vmcnt(6)
	ds_store_b64 v28, v[11:12] offset:4096
	s_waitcnt vmcnt(5)
	ds_store_b64 v29, v[3:4] offset:8192
	;; [unrolled: 2-line block ×7, first 2 shown]
	s_waitcnt lgkmcnt(0)
	s_barrier
.LBB821_6:
	s_and_not1_b32 vcc_lo, exec_lo, s4
	s_sub_i32 s12, s12, s0
	s_cbranch_vccnz .LBB821_17
; %bb.7:
	s_mov_b32 s0, exec_lo
                                        ; implicit-def: $vgpr1_vgpr2_vgpr3_vgpr4_vgpr5_vgpr6_vgpr7_vgpr8_vgpr9_vgpr10_vgpr11_vgpr12_vgpr13_vgpr14_vgpr15_vgpr16
	v_cmpx_gt_u32_e64 s12, v0
	s_cbranch_execnz .LBB821_27
; %bb.8:
	s_or_b32 exec_lo, exec_lo, s0
	s_delay_alu instid0(SALU_CYCLE_1)
	s_mov_b32 s0, exec_lo
	v_cmpx_gt_u32_e64 s12, v26
	s_cbranch_execnz .LBB821_28
.LBB821_9:
	s_or_b32 exec_lo, exec_lo, s0
	s_delay_alu instid0(SALU_CYCLE_1)
	s_mov_b32 s0, exec_lo
	v_cmpx_gt_u32_e64 s12, v25
	s_cbranch_execnz .LBB821_29
.LBB821_10:
	s_or_b32 exec_lo, exec_lo, s0
	s_delay_alu instid0(SALU_CYCLE_1)
	s_mov_b32 s0, exec_lo
	v_cmpx_gt_u32_e64 s12, v24
	s_cbranch_execnz .LBB821_30
.LBB821_11:
	s_or_b32 exec_lo, exec_lo, s0
	s_delay_alu instid0(SALU_CYCLE_1)
	s_mov_b32 s0, exec_lo
	v_cmpx_gt_u32_e64 s12, v23
	s_cbranch_execnz .LBB821_31
.LBB821_12:
	s_or_b32 exec_lo, exec_lo, s0
	s_delay_alu instid0(SALU_CYCLE_1)
	s_mov_b32 s0, exec_lo
	v_cmpx_gt_u32_e64 s12, v22
	s_cbranch_execnz .LBB821_32
.LBB821_13:
	s_or_b32 exec_lo, exec_lo, s0
	s_delay_alu instid0(SALU_CYCLE_1)
	s_mov_b32 s0, exec_lo
	v_cmpx_gt_u32_e64 s12, v21
	s_cbranch_execnz .LBB821_33
.LBB821_14:
	s_or_b32 exec_lo, exec_lo, s0
	s_delay_alu instid0(SALU_CYCLE_1)
	s_mov_b32 s0, exec_lo
	v_cmpx_gt_u32_e64 s12, v20
	s_cbranch_execz .LBB821_16
.LBB821_15:
	v_lshlrev_b32_e32 v15, 3, v20
	v_readfirstlane_b32 s4, v17
	v_readfirstlane_b32 s5, v18
	global_load_b64 v[15:16], v15, s[4:5]
.LBB821_16:
	s_or_b32 exec_lo, exec_lo, s0
	v_lshrrev_b32_e32 v26, 2, v26
	v_lshrrev_b32_e32 v25, 2, v25
	;; [unrolled: 1-line block ×4, first 2 shown]
	v_and_b32_e32 v27, 0x78, v19
	v_lshrrev_b32_e32 v22, 2, v22
	v_lshrrev_b32_e32 v21, 2, v21
	;; [unrolled: 1-line block ×3, first 2 shown]
	v_and_b32_e32 v26, 0xf8, v26
	v_and_b32_e32 v25, 0x1f8, v25
	;; [unrolled: 1-line block ×4, first 2 shown]
	v_add_nc_u32_e32 v27, v27, v39
	v_and_b32_e32 v22, 0x3f8, v22
	v_and_b32_e32 v21, 0x3f8, v21
	;; [unrolled: 1-line block ×3, first 2 shown]
	v_add_nc_u32_e32 v26, v26, v39
	v_add_nc_u32_e32 v25, v25, v39
	v_add_nc_u32_e32 v24, v24, v39
	v_add_nc_u32_e32 v23, v23, v39
	v_add_nc_u32_e32 v22, v22, v39
	v_add_nc_u32_e32 v21, v21, v39
	v_add_nc_u32_e32 v20, v20, v39
	s_waitcnt vmcnt(0)
	ds_store_b64 v27, v[1:2]
	ds_store_b64 v26, v[3:4] offset:4096
	ds_store_b64 v25, v[5:6] offset:8192
	;; [unrolled: 1-line block ×7, first 2 shown]
	s_waitcnt lgkmcnt(0)
	s_barrier
.LBB821_17:
	v_add_lshl_u32 v1, v19, v39, 3
	buffer_gl0_inv
	s_cmp_lg_u32 s23, 0
	v_cmp_gt_i64_e64 s26, s[14:15], 0
	s_cselect_b32 s24, -1, 0
	ds_load_2addr_b64 v[13:16], v1 offset1:1
	ds_load_2addr_b64 v[9:12], v1 offset0:2 offset1:3
	ds_load_2addr_b64 v[5:8], v1 offset0:4 offset1:5
	;; [unrolled: 1-line block ×3, first 2 shown]
	s_cmp_lg_u64 s[6:7], 0
	s_mov_b32 s25, 0
	s_cselect_b32 s0, -1, 0
	s_waitcnt lgkmcnt(0)
	s_or_b32 s0, s0, s24
	s_barrier
	s_and_b32 vcc_lo, exec_lo, s0
	buffer_gl0_inv
	s_cbranch_vccz .LBB821_26
; %bb.18:
	global_load_b64 v[17:18], v[17:18], off offset:-8
	v_cndmask_b32_e64 v27, 0, 1, s26
	s_and_b32 vcc_lo, exec_lo, s22
	ds_store_b64 v39, v[3:4]
	v_cmp_ne_u32_e64 s0, 1, v27
	s_cbranch_vccz .LBB821_34
; %bb.19:
	v_mul_lo_u32 v21, v2, s14
	v_mul_lo_u32 v22, v1, s15
	v_mad_u64_u32 v[19:20], null, v1, s14, 0
	s_and_b32 vcc_lo, exec_lo, s0
	s_mov_b32 s27, 0
	s_delay_alu instid0(VALU_DEP_1) | instskip(NEXT) | instid1(VALU_DEP_1)
	v_add3_u32 v20, v20, v22, v21
	v_lshlrev_b64 v[19:20], 3, v[19:20]
	s_cbranch_vccnz .LBB821_37
; %bb.20:
	v_mul_lo_u32 v23, v4, s14
	v_mul_lo_u32 v24, v3, s15
	v_mad_u64_u32 v[21:22], null, v3, s14, 0
	s_mov_b32 s27, -1
	s_mov_b32 s28, exec_lo
	s_delay_alu instid0(VALU_DEP_1) | instskip(SKIP_2) | instid1(VALU_DEP_3)
	v_add3_u32 v22, v22, v24, v23
	v_add_co_u32 v23, vcc_lo, s16, v19
	v_add_co_ci_u32_e32 v24, vcc_lo, s17, v20, vcc_lo
	v_lshlrev_b64 v[21:22], 3, v[21:22]
	s_delay_alu instid0(VALU_DEP_1) | instskip(NEXT) | instid1(VALU_DEP_2)
	v_add_co_u32 v21, vcc_lo, s16, v21
	v_add_co_ci_u32_e32 v22, vcc_lo, s17, v22, vcc_lo
	s_clause 0x1
	global_load_b64 v[25:26], v[23:24], off
	global_load_b64 v[28:29], v[21:22], off
	s_waitcnt vmcnt(0)
	v_cmpx_eq_f64_e32 v[25:26], v[28:29]
	s_cbranch_execz .LBB821_36
; %bb.21:
	v_add_co_u32 v21, vcc_lo, v21, 8
	v_add_co_ci_u32_e32 v22, vcc_lo, 0, v22, vcc_lo
	v_add_co_u32 v23, vcc_lo, v23, 8
	v_add_co_ci_u32_e32 v24, vcc_lo, 0, v24, vcc_lo
	s_add_u32 s4, s14, -1
	s_addc_u32 s5, s15, -1
	s_mov_b64 s[6:7], 0
	s_mov_b32 s27, 0
                                        ; implicit-def: $sgpr29
	s_set_inst_prefetch_distance 0x1
	s_branch .LBB821_24
	.p2align	6
.LBB821_22:                             ;   in Loop: Header=BB821_24 Depth=1
	global_load_b64 v[25:26], v[23:24], off
	global_load_b64 v[28:29], v[21:22], off
	v_add_co_u32 v21, s0, v21, 8
	s_delay_alu instid0(VALU_DEP_1) | instskip(SKIP_1) | instid1(VALU_DEP_1)
	v_add_co_ci_u32_e64 v22, s0, 0, v22, s0
	v_add_co_u32 v23, s0, v23, 8
	v_add_co_ci_u32_e64 v24, s0, 0, v24, s0
	s_add_u32 s6, s6, 1
	s_addc_u32 s7, s7, 0
	s_and_not1_b32 s0, s29, exec_lo
	s_waitcnt vmcnt(0)
	v_cmp_neq_f64_e32 vcc_lo, v[25:26], v[28:29]
	s_and_b32 s29, vcc_lo, exec_lo
	s_delay_alu instid0(SALU_CYCLE_1)
	s_or_b32 s29, s0, s29
.LBB821_23:                             ;   in Loop: Header=BB821_24 Depth=1
	v_dual_mov_b32 v26, s7 :: v_dual_mov_b32 v25, s6
	s_and_b32 s0, exec_lo, s29
	s_delay_alu instid0(SALU_CYCLE_1) | instskip(NEXT) | instid1(SALU_CYCLE_1)
	s_or_b32 s27, s0, s27
	s_and_not1_b32 exec_lo, exec_lo, s27
	s_cbranch_execz .LBB821_35
.LBB821_24:                             ; =>This Inner Loop Header: Depth=1
	s_or_b32 s29, s29, exec_lo
	s_cmp_eq_u64 s[4:5], s[6:7]
	s_cbranch_scc0 .LBB821_22
; %bb.25:                               ;   in Loop: Header=BB821_24 Depth=1
	s_mov_b64 s[6:7], s[14:15]
                                        ; implicit-def: $vgpr21_vgpr22
                                        ; implicit-def: $vgpr23_vgpr24
	s_branch .LBB821_23
.LBB821_26:
                                        ; implicit-def: $sgpr0
                                        ; implicit-def: $vgpr20
	s_branch .LBB821_195
.LBB821_27:
	v_readfirstlane_b32 s4, v17
	v_readfirstlane_b32 s5, v18
	global_load_b64 v[1:2], v39, s[4:5]
	s_or_b32 exec_lo, exec_lo, s0
	s_delay_alu instid0(SALU_CYCLE_1)
	s_mov_b32 s0, exec_lo
	v_cmpx_gt_u32_e64 s12, v26
	s_cbranch_execz .LBB821_9
.LBB821_28:
	v_lshlrev_b32_e32 v3, 3, v26
	v_readfirstlane_b32 s4, v17
	v_readfirstlane_b32 s5, v18
	global_load_b64 v[3:4], v3, s[4:5]
	s_or_b32 exec_lo, exec_lo, s0
	s_delay_alu instid0(SALU_CYCLE_1)
	s_mov_b32 s0, exec_lo
	v_cmpx_gt_u32_e64 s12, v25
	s_cbranch_execz .LBB821_10
.LBB821_29:
	v_lshlrev_b32_e32 v5, 3, v25
	v_readfirstlane_b32 s4, v17
	v_readfirstlane_b32 s5, v18
	global_load_b64 v[5:6], v5, s[4:5]
	s_or_b32 exec_lo, exec_lo, s0
	s_delay_alu instid0(SALU_CYCLE_1)
	s_mov_b32 s0, exec_lo
	v_cmpx_gt_u32_e64 s12, v24
	s_cbranch_execz .LBB821_11
.LBB821_30:
	v_lshlrev_b32_e32 v7, 3, v24
	v_readfirstlane_b32 s4, v17
	v_readfirstlane_b32 s5, v18
	global_load_b64 v[7:8], v7, s[4:5]
	s_or_b32 exec_lo, exec_lo, s0
	s_delay_alu instid0(SALU_CYCLE_1)
	s_mov_b32 s0, exec_lo
	v_cmpx_gt_u32_e64 s12, v23
	s_cbranch_execz .LBB821_12
.LBB821_31:
	v_lshlrev_b32_e32 v9, 3, v23
	v_readfirstlane_b32 s4, v17
	v_readfirstlane_b32 s5, v18
	global_load_b64 v[9:10], v9, s[4:5]
	s_or_b32 exec_lo, exec_lo, s0
	s_delay_alu instid0(SALU_CYCLE_1)
	s_mov_b32 s0, exec_lo
	v_cmpx_gt_u32_e64 s12, v22
	s_cbranch_execz .LBB821_13
.LBB821_32:
	v_lshlrev_b32_e32 v11, 3, v22
	v_readfirstlane_b32 s4, v17
	v_readfirstlane_b32 s5, v18
	global_load_b64 v[11:12], v11, s[4:5]
	s_or_b32 exec_lo, exec_lo, s0
	s_delay_alu instid0(SALU_CYCLE_1)
	s_mov_b32 s0, exec_lo
	v_cmpx_gt_u32_e64 s12, v21
	s_cbranch_execz .LBB821_14
.LBB821_33:
	v_lshlrev_b32_e32 v13, 3, v21
	v_readfirstlane_b32 s4, v17
	v_readfirstlane_b32 s5, v18
	global_load_b64 v[13:14], v13, s[4:5]
	s_or_b32 exec_lo, exec_lo, s0
	s_delay_alu instid0(SALU_CYCLE_1)
	s_mov_b32 s0, exec_lo
	v_cmpx_gt_u32_e64 s12, v20
	s_cbranch_execnz .LBB821_15
	s_branch .LBB821_16
.LBB821_34:
                                        ; implicit-def: $sgpr0
                                        ; implicit-def: $vgpr20
	s_cbranch_execnz .LBB821_103
	s_branch .LBB821_194
.LBB821_35:
	s_set_inst_prefetch_distance 0x2
	s_or_b32 exec_lo, exec_lo, s27
	v_cmp_gt_i64_e32 vcc_lo, s[14:15], v[25:26]
	s_or_not1_b32 s27, vcc_lo, exec_lo
.LBB821_36:
	s_or_b32 exec_lo, exec_lo, s28
.LBB821_37:
	v_mul_lo_u32 v23, v8, s14
	v_mul_lo_u32 v24, v7, s15
	v_mad_u64_u32 v[21:22], null, v7, s14, 0
	s_and_not1_b32 vcc_lo, exec_lo, s26
	s_delay_alu instid0(VALU_DEP_1) | instskip(NEXT) | instid1(VALU_DEP_1)
	v_add3_u32 v22, v22, v24, v23
	v_lshlrev_b64 v[21:22], 3, v[21:22]
	s_cbranch_vccnz .LBB821_46
; %bb.38:
	s_delay_alu instid0(VALU_DEP_1) | instskip(NEXT) | instid1(VALU_DEP_2)
	v_add_co_u32 v23, vcc_lo, s16, v21
	v_add_co_ci_u32_e32 v24, vcc_lo, s17, v22, vcc_lo
	v_add_co_u32 v19, vcc_lo, s16, v19
	v_add_co_ci_u32_e32 v20, vcc_lo, s17, v20, vcc_lo
	s_mov_b32 s25, -1
	s_clause 0x1
	global_load_b64 v[25:26], v[23:24], off
	global_load_b64 v[28:29], v[19:20], off
	s_mov_b32 s28, exec_lo
	s_waitcnt vmcnt(0)
	v_cmpx_eq_f64_e32 v[25:26], v[28:29]
	s_cbranch_execz .LBB821_45
; %bb.39:
	v_add_co_u32 v19, vcc_lo, v19, 8
	v_add_co_ci_u32_e32 v20, vcc_lo, 0, v20, vcc_lo
	v_add_co_u32 v23, vcc_lo, v23, 8
	v_add_co_ci_u32_e32 v24, vcc_lo, 0, v24, vcc_lo
	s_add_u32 s4, s14, -1
	s_addc_u32 s5, s15, -1
	s_mov_b64 s[6:7], 0
	s_mov_b32 s25, 0
                                        ; implicit-def: $sgpr29
	s_set_inst_prefetch_distance 0x1
	s_branch .LBB821_42
	.p2align	6
.LBB821_40:                             ;   in Loop: Header=BB821_42 Depth=1
	global_load_b64 v[25:26], v[23:24], off
	global_load_b64 v[28:29], v[19:20], off
	v_add_co_u32 v19, s0, v19, 8
	s_delay_alu instid0(VALU_DEP_1) | instskip(SKIP_1) | instid1(VALU_DEP_1)
	v_add_co_ci_u32_e64 v20, s0, 0, v20, s0
	v_add_co_u32 v23, s0, v23, 8
	v_add_co_ci_u32_e64 v24, s0, 0, v24, s0
	s_add_u32 s6, s6, 1
	s_addc_u32 s7, s7, 0
	s_and_not1_b32 s0, s29, exec_lo
	s_waitcnt vmcnt(0)
	v_cmp_neq_f64_e32 vcc_lo, v[25:26], v[28:29]
	s_and_b32 s29, vcc_lo, exec_lo
	s_delay_alu instid0(SALU_CYCLE_1)
	s_or_b32 s29, s0, s29
.LBB821_41:                             ;   in Loop: Header=BB821_42 Depth=1
	v_dual_mov_b32 v26, s7 :: v_dual_mov_b32 v25, s6
	s_and_b32 s0, exec_lo, s29
	s_delay_alu instid0(SALU_CYCLE_1) | instskip(NEXT) | instid1(SALU_CYCLE_1)
	s_or_b32 s25, s0, s25
	s_and_not1_b32 exec_lo, exec_lo, s25
	s_cbranch_execz .LBB821_44
.LBB821_42:                             ; =>This Inner Loop Header: Depth=1
	s_or_b32 s29, s29, exec_lo
	s_cmp_eq_u64 s[4:5], s[6:7]
	s_cbranch_scc0 .LBB821_40
; %bb.43:                               ;   in Loop: Header=BB821_42 Depth=1
	s_mov_b64 s[6:7], s[14:15]
                                        ; implicit-def: $vgpr19_vgpr20
                                        ; implicit-def: $vgpr23_vgpr24
	s_branch .LBB821_41
.LBB821_44:
	s_set_inst_prefetch_distance 0x2
	s_or_b32 exec_lo, exec_lo, s25
	v_cmp_gt_i64_e32 vcc_lo, s[14:15], v[25:26]
	s_or_not1_b32 s25, vcc_lo, exec_lo
.LBB821_45:
	s_or_b32 exec_lo, exec_lo, s28
.LBB821_46:
	v_mul_lo_u32 v23, v6, s14
	v_mul_lo_u32 v24, v5, s15
	v_mad_u64_u32 v[19:20], null, v5, s14, 0
	s_mov_b32 s28, 0
	s_and_not1_b32 vcc_lo, exec_lo, s26
	s_mov_b32 s29, 0
	s_delay_alu instid0(VALU_DEP_1) | instskip(NEXT) | instid1(VALU_DEP_1)
	v_add3_u32 v20, v20, v24, v23
	v_lshlrev_b64 v[23:24], 3, v[19:20]
	s_cbranch_vccnz .LBB821_55
; %bb.47:
	s_delay_alu instid0(VALU_DEP_1) | instskip(NEXT) | instid1(VALU_DEP_2)
	v_add_co_u32 v25, vcc_lo, s16, v23
	v_add_co_ci_u32_e32 v26, vcc_lo, s17, v24, vcc_lo
	v_add_co_u32 v19, vcc_lo, s16, v21
	v_add_co_ci_u32_e32 v20, vcc_lo, s17, v22, vcc_lo
	s_mov_b32 s29, -1
	s_clause 0x1
	global_load_b64 v[21:22], v[25:26], off
	global_load_b64 v[28:29], v[19:20], off
	s_mov_b32 s30, exec_lo
	s_waitcnt vmcnt(0)
	v_cmpx_eq_f64_e32 v[21:22], v[28:29]
	s_cbranch_execz .LBB821_54
; %bb.48:
	v_add_co_u32 v19, vcc_lo, v19, 8
	v_add_co_ci_u32_e32 v20, vcc_lo, 0, v20, vcc_lo
	v_add_co_u32 v21, vcc_lo, v25, 8
	v_add_co_ci_u32_e32 v22, vcc_lo, 0, v26, vcc_lo
	s_add_u32 s4, s14, -1
	s_addc_u32 s5, s15, -1
	s_mov_b64 s[6:7], 0
	s_mov_b32 s29, 0
                                        ; implicit-def: $sgpr31
	s_set_inst_prefetch_distance 0x1
	s_branch .LBB821_51
	.p2align	6
.LBB821_49:                             ;   in Loop: Header=BB821_51 Depth=1
	global_load_b64 v[25:26], v[21:22], off
	global_load_b64 v[28:29], v[19:20], off
	v_add_co_u32 v19, s0, v19, 8
	s_delay_alu instid0(VALU_DEP_1) | instskip(SKIP_1) | instid1(VALU_DEP_1)
	v_add_co_ci_u32_e64 v20, s0, 0, v20, s0
	v_add_co_u32 v21, s0, v21, 8
	v_add_co_ci_u32_e64 v22, s0, 0, v22, s0
	s_add_u32 s6, s6, 1
	s_addc_u32 s7, s7, 0
	s_and_not1_b32 s0, s31, exec_lo
	s_waitcnt vmcnt(0)
	v_cmp_neq_f64_e32 vcc_lo, v[25:26], v[28:29]
	s_and_b32 s31, vcc_lo, exec_lo
	s_delay_alu instid0(SALU_CYCLE_1)
	s_or_b32 s31, s0, s31
.LBB821_50:                             ;   in Loop: Header=BB821_51 Depth=1
	v_dual_mov_b32 v26, s7 :: v_dual_mov_b32 v25, s6
	s_and_b32 s0, exec_lo, s31
	s_delay_alu instid0(SALU_CYCLE_1) | instskip(NEXT) | instid1(SALU_CYCLE_1)
	s_or_b32 s29, s0, s29
	s_and_not1_b32 exec_lo, exec_lo, s29
	s_cbranch_execz .LBB821_53
.LBB821_51:                             ; =>This Inner Loop Header: Depth=1
	s_or_b32 s31, s31, exec_lo
	s_cmp_eq_u64 s[4:5], s[6:7]
	s_cbranch_scc0 .LBB821_49
; %bb.52:                               ;   in Loop: Header=BB821_51 Depth=1
	s_mov_b64 s[6:7], s[14:15]
                                        ; implicit-def: $vgpr19_vgpr20
                                        ; implicit-def: $vgpr21_vgpr22
	s_branch .LBB821_50
.LBB821_53:
	s_set_inst_prefetch_distance 0x2
	s_or_b32 exec_lo, exec_lo, s29
	v_cmp_gt_i64_e32 vcc_lo, s[14:15], v[25:26]
	s_or_not1_b32 s29, vcc_lo, exec_lo
.LBB821_54:
	s_or_b32 exec_lo, exec_lo, s30
.LBB821_55:
	v_mul_lo_u32 v21, v12, s14
	v_mul_lo_u32 v22, v11, s15
	v_mad_u64_u32 v[19:20], null, v11, s14, 0
	s_and_not1_b32 vcc_lo, exec_lo, s26
	s_delay_alu instid0(VALU_DEP_1) | instskip(NEXT) | instid1(VALU_DEP_1)
	v_add3_u32 v20, v20, v22, v21
	v_lshlrev_b64 v[19:20], 3, v[19:20]
	s_cbranch_vccnz .LBB821_64
; %bb.56:
	s_delay_alu instid0(VALU_DEP_1) | instskip(NEXT) | instid1(VALU_DEP_2)
	v_add_co_u32 v25, vcc_lo, s16, v19
	v_add_co_ci_u32_e32 v26, vcc_lo, s17, v20, vcc_lo
	v_add_co_u32 v21, vcc_lo, s16, v23
	v_add_co_ci_u32_e32 v22, vcc_lo, s17, v24, vcc_lo
	s_mov_b32 s28, -1
	s_clause 0x1
	global_load_b64 v[23:24], v[25:26], off
	global_load_b64 v[28:29], v[21:22], off
	s_mov_b32 s30, exec_lo
	s_waitcnt vmcnt(0)
	v_cmpx_eq_f64_e32 v[23:24], v[28:29]
	s_cbranch_execz .LBB821_63
; %bb.57:
	v_add_co_u32 v21, vcc_lo, v21, 8
	v_add_co_ci_u32_e32 v22, vcc_lo, 0, v22, vcc_lo
	v_add_co_u32 v23, vcc_lo, v25, 8
	v_add_co_ci_u32_e32 v24, vcc_lo, 0, v26, vcc_lo
	s_add_u32 s4, s14, -1
	s_addc_u32 s5, s15, -1
	s_mov_b64 s[6:7], 0
	s_mov_b32 s28, 0
                                        ; implicit-def: $sgpr31
	s_set_inst_prefetch_distance 0x1
	s_branch .LBB821_60
	.p2align	6
.LBB821_58:                             ;   in Loop: Header=BB821_60 Depth=1
	global_load_b64 v[25:26], v[23:24], off
	global_load_b64 v[28:29], v[21:22], off
	v_add_co_u32 v21, s0, v21, 8
	s_delay_alu instid0(VALU_DEP_1) | instskip(SKIP_1) | instid1(VALU_DEP_1)
	v_add_co_ci_u32_e64 v22, s0, 0, v22, s0
	v_add_co_u32 v23, s0, v23, 8
	v_add_co_ci_u32_e64 v24, s0, 0, v24, s0
	s_add_u32 s6, s6, 1
	s_addc_u32 s7, s7, 0
	s_and_not1_b32 s0, s31, exec_lo
	s_waitcnt vmcnt(0)
	v_cmp_neq_f64_e32 vcc_lo, v[25:26], v[28:29]
	s_and_b32 s31, vcc_lo, exec_lo
	s_delay_alu instid0(SALU_CYCLE_1)
	s_or_b32 s31, s0, s31
.LBB821_59:                             ;   in Loop: Header=BB821_60 Depth=1
	v_dual_mov_b32 v26, s7 :: v_dual_mov_b32 v25, s6
	s_and_b32 s0, exec_lo, s31
	s_delay_alu instid0(SALU_CYCLE_1) | instskip(NEXT) | instid1(SALU_CYCLE_1)
	s_or_b32 s28, s0, s28
	s_and_not1_b32 exec_lo, exec_lo, s28
	s_cbranch_execz .LBB821_62
.LBB821_60:                             ; =>This Inner Loop Header: Depth=1
	s_or_b32 s31, s31, exec_lo
	s_cmp_eq_u64 s[4:5], s[6:7]
	s_cbranch_scc0 .LBB821_58
; %bb.61:                               ;   in Loop: Header=BB821_60 Depth=1
	s_mov_b64 s[6:7], s[14:15]
                                        ; implicit-def: $vgpr21_vgpr22
                                        ; implicit-def: $vgpr23_vgpr24
	s_branch .LBB821_59
.LBB821_62:
	s_set_inst_prefetch_distance 0x2
	s_or_b32 exec_lo, exec_lo, s28
	v_cmp_gt_i64_e32 vcc_lo, s[14:15], v[25:26]
	s_or_not1_b32 s28, vcc_lo, exec_lo
.LBB821_63:
	s_or_b32 exec_lo, exec_lo, s30
.LBB821_64:
	v_mul_lo_u32 v23, v10, s14
	v_mul_lo_u32 v24, v9, s15
	v_mad_u64_u32 v[21:22], null, v9, s14, 0
	s_mov_b32 s30, 0
	s_and_not1_b32 vcc_lo, exec_lo, s26
	s_mov_b32 s31, 0
	s_delay_alu instid0(VALU_DEP_1) | instskip(NEXT) | instid1(VALU_DEP_1)
	v_add3_u32 v22, v22, v24, v23
	v_lshlrev_b64 v[23:24], 3, v[21:22]
	s_cbranch_vccnz .LBB821_73
; %bb.65:
	s_delay_alu instid0(VALU_DEP_1) | instskip(NEXT) | instid1(VALU_DEP_2)
	v_add_co_u32 v21, vcc_lo, s16, v23
	v_add_co_ci_u32_e32 v22, vcc_lo, s17, v24, vcc_lo
	v_add_co_u32 v19, vcc_lo, s16, v19
	v_add_co_ci_u32_e32 v20, vcc_lo, s17, v20, vcc_lo
	s_mov_b32 s31, -1
	s_clause 0x1
	global_load_b64 v[25:26], v[21:22], off
	global_load_b64 v[28:29], v[19:20], off
	s_mov_b32 s33, exec_lo
	s_waitcnt vmcnt(0)
	v_cmpx_eq_f64_e32 v[25:26], v[28:29]
	s_cbranch_execz .LBB821_72
; %bb.66:
	v_add_co_u32 v19, vcc_lo, v19, 8
	v_add_co_ci_u32_e32 v20, vcc_lo, 0, v20, vcc_lo
	v_add_co_u32 v21, vcc_lo, v21, 8
	v_add_co_ci_u32_e32 v22, vcc_lo, 0, v22, vcc_lo
	s_add_u32 s4, s14, -1
	s_addc_u32 s5, s15, -1
	s_mov_b64 s[6:7], 0
	s_mov_b32 s31, 0
                                        ; implicit-def: $sgpr34
	s_set_inst_prefetch_distance 0x1
	s_branch .LBB821_69
	.p2align	6
.LBB821_67:                             ;   in Loop: Header=BB821_69 Depth=1
	global_load_b64 v[25:26], v[21:22], off
	global_load_b64 v[28:29], v[19:20], off
	v_add_co_u32 v19, s0, v19, 8
	s_delay_alu instid0(VALU_DEP_1) | instskip(SKIP_1) | instid1(VALU_DEP_1)
	v_add_co_ci_u32_e64 v20, s0, 0, v20, s0
	v_add_co_u32 v21, s0, v21, 8
	v_add_co_ci_u32_e64 v22, s0, 0, v22, s0
	s_add_u32 s6, s6, 1
	s_addc_u32 s7, s7, 0
	s_and_not1_b32 s0, s34, exec_lo
	s_waitcnt vmcnt(0)
	v_cmp_neq_f64_e32 vcc_lo, v[25:26], v[28:29]
	s_and_b32 s34, vcc_lo, exec_lo
	s_delay_alu instid0(SALU_CYCLE_1)
	s_or_b32 s34, s0, s34
.LBB821_68:                             ;   in Loop: Header=BB821_69 Depth=1
	v_dual_mov_b32 v26, s7 :: v_dual_mov_b32 v25, s6
	s_and_b32 s0, exec_lo, s34
	s_delay_alu instid0(SALU_CYCLE_1) | instskip(NEXT) | instid1(SALU_CYCLE_1)
	s_or_b32 s31, s0, s31
	s_and_not1_b32 exec_lo, exec_lo, s31
	s_cbranch_execz .LBB821_71
.LBB821_69:                             ; =>This Inner Loop Header: Depth=1
	s_or_b32 s34, s34, exec_lo
	s_cmp_eq_u64 s[4:5], s[6:7]
	s_cbranch_scc0 .LBB821_67
; %bb.70:                               ;   in Loop: Header=BB821_69 Depth=1
	s_mov_b64 s[6:7], s[14:15]
                                        ; implicit-def: $vgpr19_vgpr20
                                        ; implicit-def: $vgpr21_vgpr22
	s_branch .LBB821_68
.LBB821_71:
	s_set_inst_prefetch_distance 0x2
	s_or_b32 exec_lo, exec_lo, s31
	v_cmp_gt_i64_e32 vcc_lo, s[14:15], v[25:26]
	s_or_not1_b32 s31, vcc_lo, exec_lo
.LBB821_72:
	s_or_b32 exec_lo, exec_lo, s33
.LBB821_73:
	v_mul_lo_u32 v21, v16, s14
	v_mul_lo_u32 v22, v15, s15
	v_mad_u64_u32 v[19:20], null, v15, s14, 0
	s_and_not1_b32 vcc_lo, exec_lo, s26
	s_delay_alu instid0(VALU_DEP_1) | instskip(NEXT) | instid1(VALU_DEP_1)
	v_add3_u32 v20, v20, v22, v21
	v_lshlrev_b64 v[21:22], 3, v[19:20]
	s_cbranch_vccnz .LBB821_82
; %bb.74:
	s_delay_alu instid0(VALU_DEP_1) | instskip(NEXT) | instid1(VALU_DEP_2)
	v_add_co_u32 v25, vcc_lo, s16, v21
	v_add_co_ci_u32_e32 v26, vcc_lo, s17, v22, vcc_lo
	v_add_co_u32 v19, vcc_lo, s16, v23
	v_add_co_ci_u32_e32 v20, vcc_lo, s17, v24, vcc_lo
	s_mov_b32 s30, -1
	s_clause 0x1
	global_load_b64 v[23:24], v[25:26], off
	global_load_b64 v[28:29], v[19:20], off
	s_mov_b32 s33, exec_lo
	s_waitcnt vmcnt(0)
	v_cmpx_eq_f64_e32 v[23:24], v[28:29]
	s_cbranch_execz .LBB821_81
; %bb.75:
	v_add_co_u32 v19, vcc_lo, v19, 8
	v_add_co_ci_u32_e32 v20, vcc_lo, 0, v20, vcc_lo
	v_add_co_u32 v23, vcc_lo, v25, 8
	v_add_co_ci_u32_e32 v24, vcc_lo, 0, v26, vcc_lo
	s_add_u32 s4, s14, -1
	s_addc_u32 s5, s15, -1
	s_mov_b64 s[6:7], 0
	s_mov_b32 s30, 0
                                        ; implicit-def: $sgpr34
	s_set_inst_prefetch_distance 0x1
	s_branch .LBB821_78
	.p2align	6
.LBB821_76:                             ;   in Loop: Header=BB821_78 Depth=1
	global_load_b64 v[25:26], v[23:24], off
	global_load_b64 v[28:29], v[19:20], off
	v_add_co_u32 v19, s0, v19, 8
	s_delay_alu instid0(VALU_DEP_1) | instskip(SKIP_1) | instid1(VALU_DEP_1)
	v_add_co_ci_u32_e64 v20, s0, 0, v20, s0
	v_add_co_u32 v23, s0, v23, 8
	v_add_co_ci_u32_e64 v24, s0, 0, v24, s0
	s_add_u32 s6, s6, 1
	s_addc_u32 s7, s7, 0
	s_and_not1_b32 s0, s34, exec_lo
	s_waitcnt vmcnt(0)
	v_cmp_neq_f64_e32 vcc_lo, v[25:26], v[28:29]
	s_and_b32 s34, vcc_lo, exec_lo
	s_delay_alu instid0(SALU_CYCLE_1)
	s_or_b32 s34, s0, s34
.LBB821_77:                             ;   in Loop: Header=BB821_78 Depth=1
	v_dual_mov_b32 v26, s7 :: v_dual_mov_b32 v25, s6
	s_and_b32 s0, exec_lo, s34
	s_delay_alu instid0(SALU_CYCLE_1) | instskip(NEXT) | instid1(SALU_CYCLE_1)
	s_or_b32 s30, s0, s30
	s_and_not1_b32 exec_lo, exec_lo, s30
	s_cbranch_execz .LBB821_80
.LBB821_78:                             ; =>This Inner Loop Header: Depth=1
	s_or_b32 s34, s34, exec_lo
	s_cmp_eq_u64 s[4:5], s[6:7]
	s_cbranch_scc0 .LBB821_76
; %bb.79:                               ;   in Loop: Header=BB821_78 Depth=1
	s_mov_b64 s[6:7], s[14:15]
                                        ; implicit-def: $vgpr19_vgpr20
                                        ; implicit-def: $vgpr23_vgpr24
	s_branch .LBB821_77
.LBB821_80:
	s_set_inst_prefetch_distance 0x2
	s_or_b32 exec_lo, exec_lo, s30
	v_cmp_gt_i64_e32 vcc_lo, s[14:15], v[25:26]
	s_or_not1_b32 s30, vcc_lo, exec_lo
.LBB821_81:
	s_or_b32 exec_lo, exec_lo, s33
.LBB821_82:
	v_mul_lo_u32 v23, v14, s14
	v_mul_lo_u32 v24, v13, s15
	v_mad_u64_u32 v[19:20], null, v13, s14, 0
	s_and_not1_b32 vcc_lo, exec_lo, s26
	s_mov_b32 s0, 0
	s_delay_alu instid0(VALU_DEP_1) | instskip(NEXT) | instid1(VALU_DEP_1)
	v_add3_u32 v20, v20, v24, v23
	v_lshlrev_b64 v[19:20], 3, v[19:20]
	s_cbranch_vccnz .LBB821_91
; %bb.83:
	s_delay_alu instid0(VALU_DEP_1) | instskip(NEXT) | instid1(VALU_DEP_2)
	v_add_co_u32 v23, vcc_lo, s16, v19
	v_add_co_ci_u32_e32 v24, vcc_lo, s17, v20, vcc_lo
	v_add_co_u32 v21, vcc_lo, s16, v21
	v_add_co_ci_u32_e32 v22, vcc_lo, s17, v22, vcc_lo
	s_mov_b32 s0, -1
	s_clause 0x1
	global_load_b64 v[25:26], v[23:24], off
	global_load_b64 v[28:29], v[21:22], off
	s_mov_b32 s33, exec_lo
	s_waitcnt vmcnt(0)
	v_cmpx_eq_f64_e32 v[25:26], v[28:29]
	s_cbranch_execz .LBB821_90
; %bb.84:
	v_add_co_u32 v21, vcc_lo, v21, 8
	v_add_co_ci_u32_e32 v22, vcc_lo, 0, v22, vcc_lo
	v_add_co_u32 v23, vcc_lo, v23, 8
	v_add_co_ci_u32_e32 v24, vcc_lo, 0, v24, vcc_lo
	s_add_u32 s4, s14, -1
	s_addc_u32 s5, s15, -1
	s_mov_b64 s[6:7], 0
	s_mov_b32 s34, 0
                                        ; implicit-def: $sgpr35
	s_set_inst_prefetch_distance 0x1
	s_branch .LBB821_87
	.p2align	6
.LBB821_85:                             ;   in Loop: Header=BB821_87 Depth=1
	global_load_b64 v[25:26], v[23:24], off
	global_load_b64 v[28:29], v[21:22], off
	v_add_co_u32 v21, s0, v21, 8
	s_delay_alu instid0(VALU_DEP_1) | instskip(SKIP_1) | instid1(VALU_DEP_1)
	v_add_co_ci_u32_e64 v22, s0, 0, v22, s0
	v_add_co_u32 v23, s0, v23, 8
	v_add_co_ci_u32_e64 v24, s0, 0, v24, s0
	s_add_u32 s6, s6, 1
	s_addc_u32 s7, s7, 0
	s_and_not1_b32 s0, s35, exec_lo
	s_waitcnt vmcnt(0)
	v_cmp_neq_f64_e32 vcc_lo, v[25:26], v[28:29]
	s_and_b32 s35, vcc_lo, exec_lo
	s_delay_alu instid0(SALU_CYCLE_1)
	s_or_b32 s35, s0, s35
.LBB821_86:                             ;   in Loop: Header=BB821_87 Depth=1
	v_dual_mov_b32 v26, s7 :: v_dual_mov_b32 v25, s6
	s_and_b32 s0, exec_lo, s35
	s_delay_alu instid0(SALU_CYCLE_1) | instskip(NEXT) | instid1(SALU_CYCLE_1)
	s_or_b32 s34, s0, s34
	s_and_not1_b32 exec_lo, exec_lo, s34
	s_cbranch_execz .LBB821_89
.LBB821_87:                             ; =>This Inner Loop Header: Depth=1
	s_or_b32 s35, s35, exec_lo
	s_cmp_eq_u64 s[4:5], s[6:7]
	s_cbranch_scc0 .LBB821_85
; %bb.88:                               ;   in Loop: Header=BB821_87 Depth=1
	s_mov_b64 s[6:7], s[14:15]
                                        ; implicit-def: $vgpr21_vgpr22
                                        ; implicit-def: $vgpr23_vgpr24
	s_branch .LBB821_86
.LBB821_89:
	s_set_inst_prefetch_distance 0x2
	s_or_b32 exec_lo, exec_lo, s34
	v_cmp_gt_i64_e32 vcc_lo, s[14:15], v[25:26]
	s_or_not1_b32 s0, vcc_lo, exec_lo
.LBB821_90:
	s_or_b32 exec_lo, exec_lo, s33
.LBB821_91:
	s_waitcnt vmcnt(0)
	v_dual_mov_b32 v22, v18 :: v_dual_mov_b32 v21, v17
	s_waitcnt lgkmcnt(0)
	s_barrier
	buffer_gl0_inv
	s_and_saveexec_b32 s4, s3
	s_cbranch_execz .LBB821_93
; %bb.92:
	v_add_nc_u32_e32 v21, -8, v39
	ds_load_b64 v[21:22], v21
.LBB821_93:
	s_or_b32 exec_lo, exec_lo, s4
	v_cndmask_b32_e64 v24, 0, 1, s31
	v_cndmask_b32_e64 v26, 0, 1, s29
	;; [unrolled: 1-line block ×7, first 2 shown]
	v_lshlrev_b16 v24, 8, v24
	v_lshlrev_b16 v26, 8, v26
	;; [unrolled: 1-line block ×4, first 2 shown]
	s_mov_b32 s25, 0
	v_or_b32_e32 v23, v23, v24
	v_or_b32_e32 v24, v25, v26
	;; [unrolled: 1-line block ×3, first 2 shown]
	v_and_b32_e32 v25, 0xffff, v29
	s_and_not1_b32 vcc_lo, exec_lo, s26
	v_lshlrev_b32_e32 v26, 16, v23
	v_and_b32_e32 v28, 0xffff, v24
	v_lshlrev_b32_e32 v29, 16, v30
	s_mov_b32 s0, 0
	s_cbranch_vccnz .LBB821_102
; %bb.94:
	s_waitcnt lgkmcnt(0)
	v_mul_lo_u32 v24, v22, s14
	v_mul_lo_u32 v30, v21, s15
	v_mad_u64_u32 v[22:23], null, v21, s14, 0
	s_mov_b32 s0, -1
	s_mov_b32 s27, exec_lo
	s_delay_alu instid0(VALU_DEP_1) | instskip(NEXT) | instid1(VALU_DEP_1)
	v_add3_u32 v23, v23, v30, v24
	v_lshlrev_b64 v[21:22], 3, v[22:23]
	s_delay_alu instid0(VALU_DEP_1) | instskip(NEXT) | instid1(VALU_DEP_2)
	v_add_co_u32 v21, vcc_lo, s16, v21
	v_add_co_ci_u32_e32 v22, vcc_lo, s17, v22, vcc_lo
	v_add_co_u32 v19, vcc_lo, s16, v19
	v_add_co_ci_u32_e32 v20, vcc_lo, s17, v20, vcc_lo
	s_clause 0x1
	global_load_b64 v[23:24], v[21:22], off
	global_load_b64 v[30:31], v[19:20], off
	s_waitcnt vmcnt(0)
	v_cmpx_eq_f64_e32 v[23:24], v[30:31]
	s_cbranch_execz .LBB821_101
; %bb.95:
	v_add_co_u32 v19, vcc_lo, v19, 8
	v_add_co_ci_u32_e32 v20, vcc_lo, 0, v20, vcc_lo
	v_add_co_u32 v21, vcc_lo, v21, 8
	v_add_co_ci_u32_e32 v22, vcc_lo, 0, v22, vcc_lo
	s_add_u32 s4, s14, -1
	s_addc_u32 s5, s15, -1
	s_mov_b64 s[6:7], 0
	s_mov_b32 s28, 0
                                        ; implicit-def: $sgpr29
	s_set_inst_prefetch_distance 0x1
	s_branch .LBB821_98
	.p2align	6
.LBB821_96:                             ;   in Loop: Header=BB821_98 Depth=1
	global_load_b64 v[23:24], v[21:22], off
	global_load_b64 v[30:31], v[19:20], off
	v_add_co_u32 v19, s0, v19, 8
	s_delay_alu instid0(VALU_DEP_1) | instskip(SKIP_1) | instid1(VALU_DEP_1)
	v_add_co_ci_u32_e64 v20, s0, 0, v20, s0
	v_add_co_u32 v21, s0, v21, 8
	v_add_co_ci_u32_e64 v22, s0, 0, v22, s0
	s_add_u32 s6, s6, 1
	s_addc_u32 s7, s7, 0
	s_and_not1_b32 s0, s29, exec_lo
	s_waitcnt vmcnt(0)
	v_cmp_neq_f64_e32 vcc_lo, v[23:24], v[30:31]
	s_and_b32 s29, vcc_lo, exec_lo
	s_delay_alu instid0(SALU_CYCLE_1)
	s_or_b32 s29, s0, s29
.LBB821_97:                             ;   in Loop: Header=BB821_98 Depth=1
	v_dual_mov_b32 v24, s7 :: v_dual_mov_b32 v23, s6
	s_and_b32 s0, exec_lo, s29
	s_delay_alu instid0(SALU_CYCLE_1) | instskip(NEXT) | instid1(SALU_CYCLE_1)
	s_or_b32 s28, s0, s28
	s_and_not1_b32 exec_lo, exec_lo, s28
	s_cbranch_execz .LBB821_100
.LBB821_98:                             ; =>This Inner Loop Header: Depth=1
	s_or_b32 s29, s29, exec_lo
	s_cmp_eq_u64 s[4:5], s[6:7]
	s_cbranch_scc0 .LBB821_96
; %bb.99:                               ;   in Loop: Header=BB821_98 Depth=1
	s_mov_b64 s[6:7], s[14:15]
                                        ; implicit-def: $vgpr19_vgpr20
                                        ; implicit-def: $vgpr21_vgpr22
	s_branch .LBB821_97
.LBB821_100:
	s_set_inst_prefetch_distance 0x2
	s_or_b32 exec_lo, exec_lo, s28
	v_cmp_gt_i64_e32 vcc_lo, s[14:15], v[23:24]
	s_or_not1_b32 s0, vcc_lo, exec_lo
.LBB821_101:
	s_or_b32 exec_lo, exec_lo, s27
.LBB821_102:
	v_or_b32_e32 v19, v25, v26
	s_delay_alu instid0(VALU_DEP_2)
	v_or_b32_e32 v20, v28, v29
	s_and_b32 vcc_lo, exec_lo, s25
	s_cbranch_vccz .LBB821_194
.LBB821_103:
	v_or_b32_e32 v19, 7, v39
	s_mov_b32 s25, 0
	s_mov_b32 s27, 0
	s_mov_b32 s28, exec_lo
	s_delay_alu instid0(VALU_DEP_1)
	v_cmpx_gt_u32_e64 s12, v19
	s_cbranch_execz .LBB821_114
; %bb.104:
	s_and_not1_b32 vcc_lo, exec_lo, s26
	s_mov_b32 s0, 0
	s_cbranch_vccnz .LBB821_113
; %bb.105:
	v_mul_lo_u32 v23, v2, s14
	v_mul_lo_u32 v24, v1, s15
	v_mad_u64_u32 v[19:20], null, v1, s14, 0
	v_mul_lo_u32 v25, v4, s14
	v_mul_lo_u32 v26, v3, s15
	s_waitcnt lgkmcnt(0)
	v_mad_u64_u32 v[21:22], null, v3, s14, 0
	s_mov_b32 s0, -1
	s_mov_b32 s26, exec_lo
	s_delay_alu instid0(VALU_DEP_4) | instskip(NEXT) | instid1(VALU_DEP_2)
	v_add3_u32 v20, v20, v24, v23
	v_add3_u32 v22, v22, v26, v25
	s_delay_alu instid0(VALU_DEP_2) | instskip(NEXT) | instid1(VALU_DEP_2)
	v_lshlrev_b64 v[19:20], 3, v[19:20]
	v_lshlrev_b64 v[23:24], 3, v[21:22]
	s_delay_alu instid0(VALU_DEP_2) | instskip(NEXT) | instid1(VALU_DEP_3)
	v_add_co_u32 v21, vcc_lo, s16, v19
	v_add_co_ci_u32_e32 v22, vcc_lo, s17, v20, vcc_lo
	s_delay_alu instid0(VALU_DEP_3) | instskip(NEXT) | instid1(VALU_DEP_4)
	v_add_co_u32 v19, vcc_lo, s16, v23
	v_add_co_ci_u32_e32 v20, vcc_lo, s17, v24, vcc_lo
	s_clause 0x1
	global_load_b64 v[23:24], v[21:22], off
	global_load_b64 v[25:26], v[19:20], off
	s_waitcnt vmcnt(0)
	v_cmpx_eq_f64_e32 v[23:24], v[25:26]
	s_cbranch_execz .LBB821_112
; %bb.106:
	v_add_co_u32 v19, vcc_lo, v19, 8
	v_add_co_ci_u32_e32 v20, vcc_lo, 0, v20, vcc_lo
	v_add_co_u32 v21, vcc_lo, v21, 8
	v_add_co_ci_u32_e32 v22, vcc_lo, 0, v22, vcc_lo
	s_add_u32 s4, s14, -1
	s_addc_u32 s5, s15, -1
	s_mov_b64 s[6:7], 0
                                        ; implicit-def: $sgpr29
	s_set_inst_prefetch_distance 0x1
	s_branch .LBB821_109
	.p2align	6
.LBB821_107:                            ;   in Loop: Header=BB821_109 Depth=1
	global_load_b64 v[23:24], v[21:22], off
	global_load_b64 v[25:26], v[19:20], off
	v_add_co_u32 v19, s0, v19, 8
	s_delay_alu instid0(VALU_DEP_1) | instskip(SKIP_1) | instid1(VALU_DEP_1)
	v_add_co_ci_u32_e64 v20, s0, 0, v20, s0
	v_add_co_u32 v21, s0, v21, 8
	v_add_co_ci_u32_e64 v22, s0, 0, v22, s0
	s_add_u32 s6, s6, 1
	s_addc_u32 s7, s7, 0
	s_and_not1_b32 s0, s29, exec_lo
	s_waitcnt vmcnt(0)
	v_cmp_neq_f64_e32 vcc_lo, v[23:24], v[25:26]
	s_and_b32 s29, vcc_lo, exec_lo
	s_delay_alu instid0(SALU_CYCLE_1)
	s_or_b32 s29, s0, s29
.LBB821_108:                            ;   in Loop: Header=BB821_109 Depth=1
	v_dual_mov_b32 v24, s7 :: v_dual_mov_b32 v23, s6
	s_and_b32 s0, exec_lo, s29
	s_delay_alu instid0(SALU_CYCLE_1) | instskip(NEXT) | instid1(SALU_CYCLE_1)
	s_or_b32 s27, s0, s27
	s_and_not1_b32 exec_lo, exec_lo, s27
	s_cbranch_execz .LBB821_111
.LBB821_109:                            ; =>This Inner Loop Header: Depth=1
	s_or_b32 s29, s29, exec_lo
	s_cmp_eq_u64 s[4:5], s[6:7]
	s_cbranch_scc0 .LBB821_107
; %bb.110:                              ;   in Loop: Header=BB821_109 Depth=1
	s_mov_b64 s[6:7], s[14:15]
                                        ; implicit-def: $vgpr19_vgpr20
                                        ; implicit-def: $vgpr21_vgpr22
	s_branch .LBB821_108
.LBB821_111:
	s_set_inst_prefetch_distance 0x2
	s_or_b32 exec_lo, exec_lo, s27
	v_cmp_gt_i64_e32 vcc_lo, s[14:15], v[23:24]
	s_or_not1_b32 s0, vcc_lo, exec_lo
.LBB821_112:
	s_or_b32 exec_lo, exec_lo, s26
.LBB821_113:
	s_delay_alu instid0(SALU_CYCLE_1)
	s_and_b32 s27, s0, exec_lo
.LBB821_114:
	s_or_b32 exec_lo, exec_lo, s28
	v_or_b32_e32 v19, 6, v39
	s_mov_b32 s26, exec_lo
	s_delay_alu instid0(VALU_DEP_1)
	v_cmpx_gt_u32_e64 s12, v19
	s_cbranch_execz .LBB821_125
; %bb.115:
	v_cmp_ne_u32_e32 vcc_lo, 1, v27
	s_mov_b32 s0, 0
	s_cbranch_vccnz .LBB821_124
; %bb.116:
	v_mul_lo_u32 v23, v8, s14
	v_mul_lo_u32 v24, v7, s15
	v_mad_u64_u32 v[19:20], null, v7, s14, 0
	v_mul_lo_u32 v25, v2, s14
	v_mul_lo_u32 v26, v1, s15
	s_waitcnt lgkmcnt(0)
	v_mad_u64_u32 v[21:22], null, v1, s14, 0
	s_mov_b32 s0, -1
	s_mov_b32 s25, exec_lo
	s_delay_alu instid0(VALU_DEP_4) | instskip(NEXT) | instid1(VALU_DEP_2)
	v_add3_u32 v20, v20, v24, v23
	v_add3_u32 v22, v22, v26, v25
	s_delay_alu instid0(VALU_DEP_2) | instskip(NEXT) | instid1(VALU_DEP_2)
	v_lshlrev_b64 v[19:20], 3, v[19:20]
	v_lshlrev_b64 v[23:24], 3, v[21:22]
	s_delay_alu instid0(VALU_DEP_2) | instskip(NEXT) | instid1(VALU_DEP_3)
	v_add_co_u32 v21, vcc_lo, s16, v19
	v_add_co_ci_u32_e32 v22, vcc_lo, s17, v20, vcc_lo
	s_delay_alu instid0(VALU_DEP_3) | instskip(NEXT) | instid1(VALU_DEP_4)
	v_add_co_u32 v19, vcc_lo, s16, v23
	v_add_co_ci_u32_e32 v20, vcc_lo, s17, v24, vcc_lo
	s_clause 0x1
	global_load_b64 v[23:24], v[21:22], off
	global_load_b64 v[25:26], v[19:20], off
	s_waitcnt vmcnt(0)
	v_cmpx_eq_f64_e32 v[23:24], v[25:26]
	s_cbranch_execz .LBB821_123
; %bb.117:
	v_add_co_u32 v19, vcc_lo, v19, 8
	v_add_co_ci_u32_e32 v20, vcc_lo, 0, v20, vcc_lo
	v_add_co_u32 v21, vcc_lo, v21, 8
	v_add_co_ci_u32_e32 v22, vcc_lo, 0, v22, vcc_lo
	s_add_u32 s4, s14, -1
	s_addc_u32 s5, s15, -1
	s_mov_b64 s[6:7], 0
	s_mov_b32 s28, 0
                                        ; implicit-def: $sgpr29
	s_set_inst_prefetch_distance 0x1
	s_branch .LBB821_120
	.p2align	6
.LBB821_118:                            ;   in Loop: Header=BB821_120 Depth=1
	global_load_b64 v[23:24], v[21:22], off
	global_load_b64 v[25:26], v[19:20], off
	v_add_co_u32 v19, s0, v19, 8
	s_delay_alu instid0(VALU_DEP_1) | instskip(SKIP_1) | instid1(VALU_DEP_1)
	v_add_co_ci_u32_e64 v20, s0, 0, v20, s0
	v_add_co_u32 v21, s0, v21, 8
	v_add_co_ci_u32_e64 v22, s0, 0, v22, s0
	s_add_u32 s6, s6, 1
	s_addc_u32 s7, s7, 0
	s_and_not1_b32 s0, s29, exec_lo
	s_waitcnt vmcnt(0)
	v_cmp_neq_f64_e32 vcc_lo, v[23:24], v[25:26]
	s_and_b32 s29, vcc_lo, exec_lo
	s_delay_alu instid0(SALU_CYCLE_1)
	s_or_b32 s29, s0, s29
.LBB821_119:                            ;   in Loop: Header=BB821_120 Depth=1
	v_dual_mov_b32 v24, s7 :: v_dual_mov_b32 v23, s6
	s_and_b32 s0, exec_lo, s29
	s_delay_alu instid0(SALU_CYCLE_1) | instskip(NEXT) | instid1(SALU_CYCLE_1)
	s_or_b32 s28, s0, s28
	s_and_not1_b32 exec_lo, exec_lo, s28
	s_cbranch_execz .LBB821_122
.LBB821_120:                            ; =>This Inner Loop Header: Depth=1
	s_or_b32 s29, s29, exec_lo
	s_cmp_eq_u64 s[4:5], s[6:7]
	s_cbranch_scc0 .LBB821_118
; %bb.121:                              ;   in Loop: Header=BB821_120 Depth=1
	s_mov_b64 s[6:7], s[14:15]
                                        ; implicit-def: $vgpr19_vgpr20
                                        ; implicit-def: $vgpr21_vgpr22
	s_branch .LBB821_119
.LBB821_122:
	s_set_inst_prefetch_distance 0x2
	s_or_b32 exec_lo, exec_lo, s28
	v_cmp_gt_i64_e32 vcc_lo, s[14:15], v[23:24]
	s_or_not1_b32 s0, vcc_lo, exec_lo
.LBB821_123:
	s_or_b32 exec_lo, exec_lo, s25
.LBB821_124:
	s_delay_alu instid0(SALU_CYCLE_1)
	s_and_b32 s25, s0, exec_lo
.LBB821_125:
	s_or_b32 exec_lo, exec_lo, s26
	v_or_b32_e32 v19, 5, v39
	s_mov_b32 s28, 0
	s_mov_b32 s26, 0
	s_mov_b32 s29, exec_lo
	s_delay_alu instid0(VALU_DEP_1)
	v_cmpx_gt_u32_e64 s12, v19
	s_cbranch_execz .LBB821_136
; %bb.126:
	v_cmp_ne_u32_e32 vcc_lo, 1, v27
	s_mov_b32 s0, 0
	s_cbranch_vccnz .LBB821_135
; %bb.127:
	v_mul_lo_u32 v23, v6, s14
	v_mul_lo_u32 v24, v5, s15
	v_mad_u64_u32 v[19:20], null, v5, s14, 0
	v_mul_lo_u32 v25, v8, s14
	v_mul_lo_u32 v26, v7, s15
	s_waitcnt lgkmcnt(0)
	v_mad_u64_u32 v[21:22], null, v7, s14, 0
	s_mov_b32 s0, -1
	s_mov_b32 s26, exec_lo
	s_delay_alu instid0(VALU_DEP_4) | instskip(NEXT) | instid1(VALU_DEP_2)
	v_add3_u32 v20, v20, v24, v23
	v_add3_u32 v22, v22, v26, v25
	s_delay_alu instid0(VALU_DEP_2) | instskip(NEXT) | instid1(VALU_DEP_2)
	v_lshlrev_b64 v[19:20], 3, v[19:20]
	v_lshlrev_b64 v[23:24], 3, v[21:22]
	s_delay_alu instid0(VALU_DEP_2) | instskip(NEXT) | instid1(VALU_DEP_3)
	v_add_co_u32 v21, vcc_lo, s16, v19
	v_add_co_ci_u32_e32 v22, vcc_lo, s17, v20, vcc_lo
	s_delay_alu instid0(VALU_DEP_3) | instskip(NEXT) | instid1(VALU_DEP_4)
	v_add_co_u32 v19, vcc_lo, s16, v23
	v_add_co_ci_u32_e32 v20, vcc_lo, s17, v24, vcc_lo
	s_clause 0x1
	global_load_b64 v[23:24], v[21:22], off
	global_load_b64 v[25:26], v[19:20], off
	s_waitcnt vmcnt(0)
	v_cmpx_eq_f64_e32 v[23:24], v[25:26]
	s_cbranch_execz .LBB821_134
; %bb.128:
	v_add_co_u32 v19, vcc_lo, v19, 8
	v_add_co_ci_u32_e32 v20, vcc_lo, 0, v20, vcc_lo
	v_add_co_u32 v21, vcc_lo, v21, 8
	v_add_co_ci_u32_e32 v22, vcc_lo, 0, v22, vcc_lo
	s_add_u32 s4, s14, -1
	s_addc_u32 s5, s15, -1
	s_mov_b64 s[6:7], 0
	s_mov_b32 s30, 0
                                        ; implicit-def: $sgpr31
	s_set_inst_prefetch_distance 0x1
	s_branch .LBB821_131
	.p2align	6
.LBB821_129:                            ;   in Loop: Header=BB821_131 Depth=1
	global_load_b64 v[23:24], v[21:22], off
	global_load_b64 v[25:26], v[19:20], off
	v_add_co_u32 v19, s0, v19, 8
	s_delay_alu instid0(VALU_DEP_1) | instskip(SKIP_1) | instid1(VALU_DEP_1)
	v_add_co_ci_u32_e64 v20, s0, 0, v20, s0
	v_add_co_u32 v21, s0, v21, 8
	v_add_co_ci_u32_e64 v22, s0, 0, v22, s0
	s_add_u32 s6, s6, 1
	s_addc_u32 s7, s7, 0
	s_and_not1_b32 s0, s31, exec_lo
	s_waitcnt vmcnt(0)
	v_cmp_neq_f64_e32 vcc_lo, v[23:24], v[25:26]
	s_and_b32 s31, vcc_lo, exec_lo
	s_delay_alu instid0(SALU_CYCLE_1)
	s_or_b32 s31, s0, s31
.LBB821_130:                            ;   in Loop: Header=BB821_131 Depth=1
	v_dual_mov_b32 v24, s7 :: v_dual_mov_b32 v23, s6
	s_and_b32 s0, exec_lo, s31
	s_delay_alu instid0(SALU_CYCLE_1) | instskip(NEXT) | instid1(SALU_CYCLE_1)
	s_or_b32 s30, s0, s30
	s_and_not1_b32 exec_lo, exec_lo, s30
	s_cbranch_execz .LBB821_133
.LBB821_131:                            ; =>This Inner Loop Header: Depth=1
	s_or_b32 s31, s31, exec_lo
	s_cmp_eq_u64 s[4:5], s[6:7]
	s_cbranch_scc0 .LBB821_129
; %bb.132:                              ;   in Loop: Header=BB821_131 Depth=1
	s_mov_b64 s[6:7], s[14:15]
                                        ; implicit-def: $vgpr19_vgpr20
                                        ; implicit-def: $vgpr21_vgpr22
	s_branch .LBB821_130
.LBB821_133:
	s_set_inst_prefetch_distance 0x2
	s_or_b32 exec_lo, exec_lo, s30
	v_cmp_gt_i64_e32 vcc_lo, s[14:15], v[23:24]
	s_or_not1_b32 s0, vcc_lo, exec_lo
.LBB821_134:
	s_or_b32 exec_lo, exec_lo, s26
.LBB821_135:
	s_delay_alu instid0(SALU_CYCLE_1)
	s_and_b32 s26, s0, exec_lo
.LBB821_136:
	s_or_b32 exec_lo, exec_lo, s29
	v_or_b32_e32 v19, 4, v39
	s_mov_b32 s29, exec_lo
	s_delay_alu instid0(VALU_DEP_1)
	v_cmpx_gt_u32_e64 s12, v19
	s_cbranch_execz .LBB821_147
; %bb.137:
	v_cmp_ne_u32_e32 vcc_lo, 1, v27
	s_mov_b32 s0, 0
	s_cbranch_vccnz .LBB821_146
; %bb.138:
	v_mul_lo_u32 v23, v12, s14
	v_mul_lo_u32 v24, v11, s15
	v_mad_u64_u32 v[19:20], null, v11, s14, 0
	v_mul_lo_u32 v25, v6, s14
	v_mul_lo_u32 v26, v5, s15
	s_waitcnt lgkmcnt(0)
	v_mad_u64_u32 v[21:22], null, v5, s14, 0
	s_mov_b32 s0, -1
	s_mov_b32 s28, exec_lo
	s_delay_alu instid0(VALU_DEP_4) | instskip(NEXT) | instid1(VALU_DEP_2)
	v_add3_u32 v20, v20, v24, v23
	v_add3_u32 v22, v22, v26, v25
	s_delay_alu instid0(VALU_DEP_2) | instskip(NEXT) | instid1(VALU_DEP_2)
	v_lshlrev_b64 v[19:20], 3, v[19:20]
	v_lshlrev_b64 v[23:24], 3, v[21:22]
	s_delay_alu instid0(VALU_DEP_2) | instskip(NEXT) | instid1(VALU_DEP_3)
	v_add_co_u32 v21, vcc_lo, s16, v19
	v_add_co_ci_u32_e32 v22, vcc_lo, s17, v20, vcc_lo
	s_delay_alu instid0(VALU_DEP_3) | instskip(NEXT) | instid1(VALU_DEP_4)
	v_add_co_u32 v19, vcc_lo, s16, v23
	v_add_co_ci_u32_e32 v20, vcc_lo, s17, v24, vcc_lo
	s_clause 0x1
	global_load_b64 v[23:24], v[21:22], off
	global_load_b64 v[25:26], v[19:20], off
	s_waitcnt vmcnt(0)
	v_cmpx_eq_f64_e32 v[23:24], v[25:26]
	s_cbranch_execz .LBB821_145
; %bb.139:
	v_add_co_u32 v19, vcc_lo, v19, 8
	v_add_co_ci_u32_e32 v20, vcc_lo, 0, v20, vcc_lo
	v_add_co_u32 v21, vcc_lo, v21, 8
	v_add_co_ci_u32_e32 v22, vcc_lo, 0, v22, vcc_lo
	s_add_u32 s4, s14, -1
	s_addc_u32 s5, s15, -1
	s_mov_b64 s[6:7], 0
	s_mov_b32 s30, 0
                                        ; implicit-def: $sgpr31
	s_set_inst_prefetch_distance 0x1
	s_branch .LBB821_142
	.p2align	6
.LBB821_140:                            ;   in Loop: Header=BB821_142 Depth=1
	global_load_b64 v[23:24], v[21:22], off
	global_load_b64 v[25:26], v[19:20], off
	v_add_co_u32 v19, s0, v19, 8
	s_delay_alu instid0(VALU_DEP_1) | instskip(SKIP_1) | instid1(VALU_DEP_1)
	v_add_co_ci_u32_e64 v20, s0, 0, v20, s0
	v_add_co_u32 v21, s0, v21, 8
	v_add_co_ci_u32_e64 v22, s0, 0, v22, s0
	s_add_u32 s6, s6, 1
	s_addc_u32 s7, s7, 0
	s_and_not1_b32 s0, s31, exec_lo
	s_waitcnt vmcnt(0)
	v_cmp_neq_f64_e32 vcc_lo, v[23:24], v[25:26]
	s_and_b32 s31, vcc_lo, exec_lo
	s_delay_alu instid0(SALU_CYCLE_1)
	s_or_b32 s31, s0, s31
.LBB821_141:                            ;   in Loop: Header=BB821_142 Depth=1
	v_dual_mov_b32 v24, s7 :: v_dual_mov_b32 v23, s6
	s_and_b32 s0, exec_lo, s31
	s_delay_alu instid0(SALU_CYCLE_1) | instskip(NEXT) | instid1(SALU_CYCLE_1)
	s_or_b32 s30, s0, s30
	s_and_not1_b32 exec_lo, exec_lo, s30
	s_cbranch_execz .LBB821_144
.LBB821_142:                            ; =>This Inner Loop Header: Depth=1
	s_or_b32 s31, s31, exec_lo
	s_cmp_eq_u64 s[4:5], s[6:7]
	s_cbranch_scc0 .LBB821_140
; %bb.143:                              ;   in Loop: Header=BB821_142 Depth=1
	s_mov_b64 s[6:7], s[14:15]
                                        ; implicit-def: $vgpr19_vgpr20
                                        ; implicit-def: $vgpr21_vgpr22
	s_branch .LBB821_141
.LBB821_144:
	s_set_inst_prefetch_distance 0x2
	s_or_b32 exec_lo, exec_lo, s30
	v_cmp_gt_i64_e32 vcc_lo, s[14:15], v[23:24]
	s_or_not1_b32 s0, vcc_lo, exec_lo
.LBB821_145:
	s_or_b32 exec_lo, exec_lo, s28
.LBB821_146:
	s_delay_alu instid0(SALU_CYCLE_1)
	s_and_b32 s28, s0, exec_lo
.LBB821_147:
	s_or_b32 exec_lo, exec_lo, s29
	v_or_b32_e32 v19, 3, v39
	s_mov_b32 s30, 0
	s_mov_b32 s29, 0
	s_mov_b32 s31, exec_lo
	s_delay_alu instid0(VALU_DEP_1)
	v_cmpx_gt_u32_e64 s12, v19
	s_cbranch_execz .LBB821_158
; %bb.148:
	v_cmp_ne_u32_e32 vcc_lo, 1, v27
	s_mov_b32 s0, 0
	s_cbranch_vccnz .LBB821_157
; %bb.149:
	v_mul_lo_u32 v23, v10, s14
	v_mul_lo_u32 v24, v9, s15
	v_mad_u64_u32 v[19:20], null, v9, s14, 0
	v_mul_lo_u32 v25, v12, s14
	v_mul_lo_u32 v26, v11, s15
	s_waitcnt lgkmcnt(0)
	v_mad_u64_u32 v[21:22], null, v11, s14, 0
	s_mov_b32 s0, -1
	s_mov_b32 s29, exec_lo
	s_delay_alu instid0(VALU_DEP_4) | instskip(NEXT) | instid1(VALU_DEP_2)
	v_add3_u32 v20, v20, v24, v23
	v_add3_u32 v22, v22, v26, v25
	s_delay_alu instid0(VALU_DEP_2) | instskip(NEXT) | instid1(VALU_DEP_2)
	v_lshlrev_b64 v[19:20], 3, v[19:20]
	v_lshlrev_b64 v[23:24], 3, v[21:22]
	s_delay_alu instid0(VALU_DEP_2) | instskip(NEXT) | instid1(VALU_DEP_3)
	v_add_co_u32 v21, vcc_lo, s16, v19
	v_add_co_ci_u32_e32 v22, vcc_lo, s17, v20, vcc_lo
	s_delay_alu instid0(VALU_DEP_3) | instskip(NEXT) | instid1(VALU_DEP_4)
	v_add_co_u32 v19, vcc_lo, s16, v23
	v_add_co_ci_u32_e32 v20, vcc_lo, s17, v24, vcc_lo
	s_clause 0x1
	global_load_b64 v[23:24], v[21:22], off
	global_load_b64 v[25:26], v[19:20], off
	s_waitcnt vmcnt(0)
	v_cmpx_eq_f64_e32 v[23:24], v[25:26]
	s_cbranch_execz .LBB821_156
; %bb.150:
	v_add_co_u32 v19, vcc_lo, v19, 8
	v_add_co_ci_u32_e32 v20, vcc_lo, 0, v20, vcc_lo
	v_add_co_u32 v21, vcc_lo, v21, 8
	v_add_co_ci_u32_e32 v22, vcc_lo, 0, v22, vcc_lo
	s_add_u32 s4, s14, -1
	s_addc_u32 s5, s15, -1
	s_mov_b64 s[6:7], 0
	s_mov_b32 s33, 0
                                        ; implicit-def: $sgpr34
	s_set_inst_prefetch_distance 0x1
	s_branch .LBB821_153
	.p2align	6
.LBB821_151:                            ;   in Loop: Header=BB821_153 Depth=1
	global_load_b64 v[23:24], v[21:22], off
	global_load_b64 v[25:26], v[19:20], off
	v_add_co_u32 v19, s0, v19, 8
	s_delay_alu instid0(VALU_DEP_1) | instskip(SKIP_1) | instid1(VALU_DEP_1)
	v_add_co_ci_u32_e64 v20, s0, 0, v20, s0
	v_add_co_u32 v21, s0, v21, 8
	v_add_co_ci_u32_e64 v22, s0, 0, v22, s0
	s_add_u32 s6, s6, 1
	s_addc_u32 s7, s7, 0
	s_and_not1_b32 s0, s34, exec_lo
	s_waitcnt vmcnt(0)
	v_cmp_neq_f64_e32 vcc_lo, v[23:24], v[25:26]
	s_and_b32 s34, vcc_lo, exec_lo
	s_delay_alu instid0(SALU_CYCLE_1)
	s_or_b32 s34, s0, s34
.LBB821_152:                            ;   in Loop: Header=BB821_153 Depth=1
	v_dual_mov_b32 v24, s7 :: v_dual_mov_b32 v23, s6
	s_and_b32 s0, exec_lo, s34
	s_delay_alu instid0(SALU_CYCLE_1) | instskip(NEXT) | instid1(SALU_CYCLE_1)
	s_or_b32 s33, s0, s33
	s_and_not1_b32 exec_lo, exec_lo, s33
	s_cbranch_execz .LBB821_155
.LBB821_153:                            ; =>This Inner Loop Header: Depth=1
	s_or_b32 s34, s34, exec_lo
	s_cmp_eq_u64 s[4:5], s[6:7]
	s_cbranch_scc0 .LBB821_151
; %bb.154:                              ;   in Loop: Header=BB821_153 Depth=1
	s_mov_b64 s[6:7], s[14:15]
                                        ; implicit-def: $vgpr19_vgpr20
                                        ; implicit-def: $vgpr21_vgpr22
	s_branch .LBB821_152
.LBB821_155:
	s_set_inst_prefetch_distance 0x2
	s_or_b32 exec_lo, exec_lo, s33
	v_cmp_gt_i64_e32 vcc_lo, s[14:15], v[23:24]
	s_or_not1_b32 s0, vcc_lo, exec_lo
.LBB821_156:
	s_or_b32 exec_lo, exec_lo, s29
.LBB821_157:
	s_delay_alu instid0(SALU_CYCLE_1)
	s_and_b32 s29, s0, exec_lo
.LBB821_158:
	s_or_b32 exec_lo, exec_lo, s31
	v_or_b32_e32 v19, 2, v39
	s_mov_b32 s31, exec_lo
	s_delay_alu instid0(VALU_DEP_1)
	v_cmpx_gt_u32_e64 s12, v19
	s_cbranch_execz .LBB821_169
; %bb.159:
	v_cmp_ne_u32_e32 vcc_lo, 1, v27
	s_mov_b32 s0, 0
	s_cbranch_vccnz .LBB821_168
; %bb.160:
	v_mul_lo_u32 v23, v16, s14
	v_mul_lo_u32 v24, v15, s15
	v_mad_u64_u32 v[19:20], null, v15, s14, 0
	v_mul_lo_u32 v25, v10, s14
	v_mul_lo_u32 v26, v9, s15
	s_waitcnt lgkmcnt(0)
	v_mad_u64_u32 v[21:22], null, v9, s14, 0
	s_mov_b32 s0, -1
	s_mov_b32 s30, exec_lo
	s_delay_alu instid0(VALU_DEP_4) | instskip(NEXT) | instid1(VALU_DEP_2)
	v_add3_u32 v20, v20, v24, v23
	v_add3_u32 v22, v22, v26, v25
	s_delay_alu instid0(VALU_DEP_2) | instskip(NEXT) | instid1(VALU_DEP_2)
	v_lshlrev_b64 v[19:20], 3, v[19:20]
	v_lshlrev_b64 v[23:24], 3, v[21:22]
	s_delay_alu instid0(VALU_DEP_2) | instskip(NEXT) | instid1(VALU_DEP_3)
	v_add_co_u32 v21, vcc_lo, s16, v19
	v_add_co_ci_u32_e32 v22, vcc_lo, s17, v20, vcc_lo
	s_delay_alu instid0(VALU_DEP_3) | instskip(NEXT) | instid1(VALU_DEP_4)
	v_add_co_u32 v19, vcc_lo, s16, v23
	v_add_co_ci_u32_e32 v20, vcc_lo, s17, v24, vcc_lo
	s_clause 0x1
	global_load_b64 v[23:24], v[21:22], off
	global_load_b64 v[25:26], v[19:20], off
	s_waitcnt vmcnt(0)
	v_cmpx_eq_f64_e32 v[23:24], v[25:26]
	s_cbranch_execz .LBB821_167
; %bb.161:
	v_add_co_u32 v19, vcc_lo, v19, 8
	v_add_co_ci_u32_e32 v20, vcc_lo, 0, v20, vcc_lo
	v_add_co_u32 v21, vcc_lo, v21, 8
	v_add_co_ci_u32_e32 v22, vcc_lo, 0, v22, vcc_lo
	s_add_u32 s4, s14, -1
	s_addc_u32 s5, s15, -1
	s_mov_b64 s[6:7], 0
	s_mov_b32 s33, 0
                                        ; implicit-def: $sgpr34
	s_set_inst_prefetch_distance 0x1
	s_branch .LBB821_164
	.p2align	6
.LBB821_162:                            ;   in Loop: Header=BB821_164 Depth=1
	global_load_b64 v[23:24], v[21:22], off
	global_load_b64 v[25:26], v[19:20], off
	v_add_co_u32 v19, s0, v19, 8
	s_delay_alu instid0(VALU_DEP_1) | instskip(SKIP_1) | instid1(VALU_DEP_1)
	v_add_co_ci_u32_e64 v20, s0, 0, v20, s0
	v_add_co_u32 v21, s0, v21, 8
	v_add_co_ci_u32_e64 v22, s0, 0, v22, s0
	s_add_u32 s6, s6, 1
	s_addc_u32 s7, s7, 0
	s_and_not1_b32 s0, s34, exec_lo
	s_waitcnt vmcnt(0)
	v_cmp_neq_f64_e32 vcc_lo, v[23:24], v[25:26]
	s_and_b32 s34, vcc_lo, exec_lo
	s_delay_alu instid0(SALU_CYCLE_1)
	s_or_b32 s34, s0, s34
.LBB821_163:                            ;   in Loop: Header=BB821_164 Depth=1
	v_dual_mov_b32 v24, s7 :: v_dual_mov_b32 v23, s6
	s_and_b32 s0, exec_lo, s34
	s_delay_alu instid0(SALU_CYCLE_1) | instskip(NEXT) | instid1(SALU_CYCLE_1)
	s_or_b32 s33, s0, s33
	s_and_not1_b32 exec_lo, exec_lo, s33
	s_cbranch_execz .LBB821_166
.LBB821_164:                            ; =>This Inner Loop Header: Depth=1
	s_or_b32 s34, s34, exec_lo
	s_cmp_eq_u64 s[4:5], s[6:7]
	s_cbranch_scc0 .LBB821_162
; %bb.165:                              ;   in Loop: Header=BB821_164 Depth=1
	s_mov_b64 s[6:7], s[14:15]
                                        ; implicit-def: $vgpr19_vgpr20
                                        ; implicit-def: $vgpr21_vgpr22
	s_branch .LBB821_163
.LBB821_166:
	s_set_inst_prefetch_distance 0x2
	s_or_b32 exec_lo, exec_lo, s33
	v_cmp_gt_i64_e32 vcc_lo, s[14:15], v[23:24]
	s_or_not1_b32 s0, vcc_lo, exec_lo
.LBB821_167:
	s_or_b32 exec_lo, exec_lo, s30
.LBB821_168:
	s_delay_alu instid0(SALU_CYCLE_1)
	s_and_b32 s30, s0, exec_lo
.LBB821_169:
	s_or_b32 exec_lo, exec_lo, s31
	v_or_b32_e32 v19, 1, v39
	s_mov_b32 s0, 0
	s_mov_b32 s31, exec_lo
	s_delay_alu instid0(VALU_DEP_1)
	v_cmpx_gt_u32_e64 s12, v19
	s_cbranch_execz .LBB821_180
; %bb.170:
	v_cmp_ne_u32_e32 vcc_lo, 1, v27
	s_cbranch_vccnz .LBB821_179
; %bb.171:
	v_mul_lo_u32 v23, v14, s14
	v_mul_lo_u32 v24, v13, s15
	v_mad_u64_u32 v[19:20], null, v13, s14, 0
	v_mul_lo_u32 v25, v16, s14
	v_mul_lo_u32 v26, v15, s15
	s_waitcnt lgkmcnt(0)
	v_mad_u64_u32 v[21:22], null, v15, s14, 0
	s_mov_b32 s0, -1
	s_mov_b32 s33, exec_lo
	s_delay_alu instid0(VALU_DEP_4) | instskip(NEXT) | instid1(VALU_DEP_2)
	v_add3_u32 v20, v20, v24, v23
	v_add3_u32 v22, v22, v26, v25
	s_delay_alu instid0(VALU_DEP_2) | instskip(NEXT) | instid1(VALU_DEP_2)
	v_lshlrev_b64 v[19:20], 3, v[19:20]
	v_lshlrev_b64 v[23:24], 3, v[21:22]
	s_delay_alu instid0(VALU_DEP_2) | instskip(NEXT) | instid1(VALU_DEP_3)
	v_add_co_u32 v21, vcc_lo, s16, v19
	v_add_co_ci_u32_e32 v22, vcc_lo, s17, v20, vcc_lo
	s_delay_alu instid0(VALU_DEP_3) | instskip(NEXT) | instid1(VALU_DEP_4)
	v_add_co_u32 v19, vcc_lo, s16, v23
	v_add_co_ci_u32_e32 v20, vcc_lo, s17, v24, vcc_lo
	s_clause 0x1
	global_load_b64 v[23:24], v[21:22], off
	global_load_b64 v[25:26], v[19:20], off
	s_waitcnt vmcnt(0)
	v_cmpx_eq_f64_e32 v[23:24], v[25:26]
	s_cbranch_execz .LBB821_178
; %bb.172:
	v_add_co_u32 v19, vcc_lo, v19, 8
	v_add_co_ci_u32_e32 v20, vcc_lo, 0, v20, vcc_lo
	v_add_co_u32 v21, vcc_lo, v21, 8
	v_add_co_ci_u32_e32 v22, vcc_lo, 0, v22, vcc_lo
	s_add_u32 s4, s14, -1
	s_addc_u32 s5, s15, -1
	s_mov_b64 s[6:7], 0
	s_mov_b32 s34, 0
                                        ; implicit-def: $sgpr35
	s_set_inst_prefetch_distance 0x1
	s_branch .LBB821_175
	.p2align	6
.LBB821_173:                            ;   in Loop: Header=BB821_175 Depth=1
	global_load_b64 v[23:24], v[21:22], off
	global_load_b64 v[25:26], v[19:20], off
	v_add_co_u32 v19, s0, v19, 8
	s_delay_alu instid0(VALU_DEP_1) | instskip(SKIP_1) | instid1(VALU_DEP_1)
	v_add_co_ci_u32_e64 v20, s0, 0, v20, s0
	v_add_co_u32 v21, s0, v21, 8
	v_add_co_ci_u32_e64 v22, s0, 0, v22, s0
	s_add_u32 s6, s6, 1
	s_addc_u32 s7, s7, 0
	s_and_not1_b32 s0, s35, exec_lo
	s_waitcnt vmcnt(0)
	v_cmp_neq_f64_e32 vcc_lo, v[23:24], v[25:26]
	s_and_b32 s35, vcc_lo, exec_lo
	s_delay_alu instid0(SALU_CYCLE_1)
	s_or_b32 s35, s0, s35
.LBB821_174:                            ;   in Loop: Header=BB821_175 Depth=1
	v_dual_mov_b32 v24, s7 :: v_dual_mov_b32 v23, s6
	s_and_b32 s0, exec_lo, s35
	s_delay_alu instid0(SALU_CYCLE_1) | instskip(NEXT) | instid1(SALU_CYCLE_1)
	s_or_b32 s34, s0, s34
	s_and_not1_b32 exec_lo, exec_lo, s34
	s_cbranch_execz .LBB821_177
.LBB821_175:                            ; =>This Inner Loop Header: Depth=1
	s_or_b32 s35, s35, exec_lo
	s_cmp_eq_u64 s[4:5], s[6:7]
	s_cbranch_scc0 .LBB821_173
; %bb.176:                              ;   in Loop: Header=BB821_175 Depth=1
	s_mov_b64 s[6:7], s[14:15]
                                        ; implicit-def: $vgpr19_vgpr20
                                        ; implicit-def: $vgpr21_vgpr22
	s_branch .LBB821_174
.LBB821_177:
	s_set_inst_prefetch_distance 0x2
	s_or_b32 exec_lo, exec_lo, s34
	v_cmp_gt_i64_e32 vcc_lo, s[14:15], v[23:24]
	s_or_not1_b32 s0, vcc_lo, exec_lo
.LBB821_178:
	s_or_b32 exec_lo, exec_lo, s33
.LBB821_179:
	s_delay_alu instid0(SALU_CYCLE_1)
	s_and_b32 s0, s0, exec_lo
.LBB821_180:
	s_or_b32 exec_lo, exec_lo, s31
	s_waitcnt vmcnt(0) lgkmcnt(0)
	s_barrier
	buffer_gl0_inv
	s_and_saveexec_b32 s4, s3
	s_cbranch_execz .LBB821_182
; %bb.181:
	v_add_nc_u32_e32 v17, -8, v39
	ds_load_b64 v[17:18], v17
.LBB821_182:
	s_or_b32 exec_lo, exec_lo, s4
	v_cndmask_b32_e64 v20, 0, 1, s29
	v_cndmask_b32_e64 v22, 0, 1, s26
	;; [unrolled: 1-line block ×7, first 2 shown]
	v_lshlrev_b16 v20, 8, v20
	v_lshlrev_b16 v22, 8, v22
	;; [unrolled: 1-line block ×3, first 2 shown]
	s_mov_b32 s0, 0
	v_lshlrev_b16 v25, 8, v25
	v_or_b32_e32 v19, v19, v20
	v_or_b32_e32 v20, v21, v22
	;; [unrolled: 1-line block ×3, first 2 shown]
	s_mov_b32 s25, exec_lo
	v_and_b32_e32 v23, 0xffff, v25
	v_lshlrev_b32_e32 v24, 16, v19
	v_and_b32_e32 v25, 0xffff, v20
	v_lshlrev_b32_e32 v26, 16, v21
	v_cmpx_gt_u32_e64 s12, v39
	s_cbranch_execz .LBB821_193
; %bb.183:
	v_cmp_ne_u32_e32 vcc_lo, 1, v27
	s_cbranch_vccnz .LBB821_192
; %bb.184:
	s_waitcnt lgkmcnt(0)
	v_mul_lo_u32 v22, v18, s14
	v_mul_lo_u32 v27, v17, s15
	v_mad_u64_u32 v[18:19], null, v17, s14, 0
	v_mul_lo_u32 v17, v14, s14
	v_mul_lo_u32 v28, v13, s15
	v_mad_u64_u32 v[20:21], null, v13, s14, 0
	s_mov_b32 s0, -1
	s_mov_b32 s26, exec_lo
	s_delay_alu instid0(VALU_DEP_4) | instskip(NEXT) | instid1(VALU_DEP_2)
	v_add3_u32 v19, v19, v27, v22
	v_add3_u32 v21, v21, v28, v17
	s_delay_alu instid0(VALU_DEP_2) | instskip(NEXT) | instid1(VALU_DEP_2)
	v_lshlrev_b64 v[17:18], 3, v[18:19]
	v_lshlrev_b64 v[21:22], 3, v[20:21]
	s_delay_alu instid0(VALU_DEP_2) | instskip(NEXT) | instid1(VALU_DEP_3)
	v_add_co_u32 v19, vcc_lo, s16, v17
	v_add_co_ci_u32_e32 v20, vcc_lo, s17, v18, vcc_lo
	s_delay_alu instid0(VALU_DEP_3) | instskip(NEXT) | instid1(VALU_DEP_4)
	v_add_co_u32 v17, vcc_lo, s16, v21
	v_add_co_ci_u32_e32 v18, vcc_lo, s17, v22, vcc_lo
	s_clause 0x1
	global_load_b64 v[21:22], v[19:20], off
	global_load_b64 v[27:28], v[17:18], off
	s_waitcnt vmcnt(0)
	v_cmpx_eq_f64_e32 v[21:22], v[27:28]
	s_cbranch_execz .LBB821_191
; %bb.185:
	v_add_co_u32 v17, vcc_lo, v17, 8
	v_add_co_ci_u32_e32 v18, vcc_lo, 0, v18, vcc_lo
	v_add_co_u32 v19, vcc_lo, v19, 8
	v_add_co_ci_u32_e32 v20, vcc_lo, 0, v20, vcc_lo
	s_add_u32 s4, s14, -1
	s_addc_u32 s5, s15, -1
	s_mov_b64 s[6:7], 0
	s_mov_b32 s27, 0
                                        ; implicit-def: $sgpr28
	s_set_inst_prefetch_distance 0x1
	s_branch .LBB821_188
	.p2align	6
.LBB821_186:                            ;   in Loop: Header=BB821_188 Depth=1
	global_load_b64 v[21:22], v[19:20], off
	global_load_b64 v[27:28], v[17:18], off
	v_add_co_u32 v17, s0, v17, 8
	s_delay_alu instid0(VALU_DEP_1) | instskip(SKIP_1) | instid1(VALU_DEP_1)
	v_add_co_ci_u32_e64 v18, s0, 0, v18, s0
	v_add_co_u32 v19, s0, v19, 8
	v_add_co_ci_u32_e64 v20, s0, 0, v20, s0
	s_add_u32 s6, s6, 1
	s_addc_u32 s7, s7, 0
	s_and_not1_b32 s0, s28, exec_lo
	s_waitcnt vmcnt(0)
	v_cmp_neq_f64_e32 vcc_lo, v[21:22], v[27:28]
	s_and_b32 s28, vcc_lo, exec_lo
	s_delay_alu instid0(SALU_CYCLE_1)
	s_or_b32 s28, s0, s28
.LBB821_187:                            ;   in Loop: Header=BB821_188 Depth=1
	v_dual_mov_b32 v22, s7 :: v_dual_mov_b32 v21, s6
	s_and_b32 s0, exec_lo, s28
	s_delay_alu instid0(SALU_CYCLE_1) | instskip(NEXT) | instid1(SALU_CYCLE_1)
	s_or_b32 s27, s0, s27
	s_and_not1_b32 exec_lo, exec_lo, s27
	s_cbranch_execz .LBB821_190
.LBB821_188:                            ; =>This Inner Loop Header: Depth=1
	s_or_b32 s28, s28, exec_lo
	s_cmp_eq_u64 s[4:5], s[6:7]
	s_cbranch_scc0 .LBB821_186
; %bb.189:                              ;   in Loop: Header=BB821_188 Depth=1
	s_mov_b64 s[6:7], s[14:15]
                                        ; implicit-def: $vgpr17_vgpr18
                                        ; implicit-def: $vgpr19_vgpr20
	s_branch .LBB821_187
.LBB821_190:
	s_set_inst_prefetch_distance 0x2
	s_or_b32 exec_lo, exec_lo, s27
	v_cmp_gt_i64_e32 vcc_lo, s[14:15], v[21:22]
	s_or_not1_b32 s0, vcc_lo, exec_lo
.LBB821_191:
	s_or_b32 exec_lo, exec_lo, s26
.LBB821_192:
	s_delay_alu instid0(SALU_CYCLE_1)
	s_and_b32 s0, s0, exec_lo
.LBB821_193:
	s_or_b32 exec_lo, exec_lo, s25
	v_or_b32_e32 v19, v23, v24
	v_or_b32_e32 v20, v25, v26
.LBB821_194:
	s_mov_b32 s25, -1
	s_cbranch_execnz .LBB821_363
.LBB821_195:
	v_cmp_gt_i64_e64 s26, s[14:15], 0
	s_and_b32 vcc_lo, exec_lo, s22
	ds_store_b64 v39, v[3:4]
	s_cbranch_vccz .LBB821_203
; %bb.196:
	v_mul_lo_u32 v19, v2, s14
	v_mul_lo_u32 v20, v1, s15
	s_waitcnt vmcnt(0) lgkmcnt(1)
	v_mad_u64_u32 v[17:18], null, v1, s14, 0
	s_mov_b32 s27, 0
	s_and_not1_b32 vcc_lo, exec_lo, s26
	s_mov_b32 s28, 0
	s_delay_alu instid0(VALU_DEP_1) | instskip(NEXT) | instid1(VALU_DEP_1)
	v_add3_u32 v18, v18, v20, v19
	v_lshlrev_b64 v[17:18], 3, v[17:18]
	s_cbranch_vccnz .LBB821_206
; %bb.197:
	v_mul_lo_u32 v21, v4, s14
	v_mul_lo_u32 v22, v3, s15
	v_mad_u64_u32 v[19:20], null, v3, s14, 0
	s_mov_b32 s28, -1
	s_mov_b32 s29, exec_lo
	s_delay_alu instid0(VALU_DEP_1) | instskip(SKIP_2) | instid1(VALU_DEP_3)
	v_add3_u32 v20, v20, v22, v21
	v_add_co_u32 v21, vcc_lo, s16, v17
	v_add_co_ci_u32_e32 v22, vcc_lo, s17, v18, vcc_lo
	v_lshlrev_b64 v[19:20], 3, v[19:20]
	s_delay_alu instid0(VALU_DEP_1) | instskip(NEXT) | instid1(VALU_DEP_2)
	v_add_co_u32 v19, vcc_lo, s16, v19
	v_add_co_ci_u32_e32 v20, vcc_lo, s17, v20, vcc_lo
	s_clause 0x1
	global_load_b64 v[23:24], v[21:22], off
	global_load_b64 v[25:26], v[19:20], off
	s_waitcnt vmcnt(0)
	v_cmpx_eq_f64_e32 v[23:24], v[25:26]
	s_cbranch_execz .LBB821_205
; %bb.198:
	v_add_co_u32 v19, vcc_lo, v19, 8
	v_add_co_ci_u32_e32 v20, vcc_lo, 0, v20, vcc_lo
	v_add_co_u32 v21, vcc_lo, v21, 8
	v_add_co_ci_u32_e32 v22, vcc_lo, 0, v22, vcc_lo
	s_add_u32 s4, s14, -1
	s_addc_u32 s5, s15, -1
	s_mov_b64 s[6:7], 0
	s_mov_b32 s28, 0
                                        ; implicit-def: $sgpr30
	s_set_inst_prefetch_distance 0x1
	s_branch .LBB821_201
	.p2align	6
.LBB821_199:                            ;   in Loop: Header=BB821_201 Depth=1
	global_load_b64 v[23:24], v[21:22], off
	global_load_b64 v[25:26], v[19:20], off
	v_add_co_u32 v19, s0, v19, 8
	s_delay_alu instid0(VALU_DEP_1) | instskip(SKIP_1) | instid1(VALU_DEP_1)
	v_add_co_ci_u32_e64 v20, s0, 0, v20, s0
	v_add_co_u32 v21, s0, v21, 8
	v_add_co_ci_u32_e64 v22, s0, 0, v22, s0
	s_add_u32 s6, s6, 1
	s_addc_u32 s7, s7, 0
	s_and_not1_b32 s0, s30, exec_lo
	s_waitcnt vmcnt(0)
	v_cmp_neq_f64_e32 vcc_lo, v[23:24], v[25:26]
	s_and_b32 s30, vcc_lo, exec_lo
	s_delay_alu instid0(SALU_CYCLE_1)
	s_or_b32 s30, s0, s30
.LBB821_200:                            ;   in Loop: Header=BB821_201 Depth=1
	v_dual_mov_b32 v24, s7 :: v_dual_mov_b32 v23, s6
	s_and_b32 s0, exec_lo, s30
	s_delay_alu instid0(SALU_CYCLE_1) | instskip(NEXT) | instid1(SALU_CYCLE_1)
	s_or_b32 s28, s0, s28
	s_and_not1_b32 exec_lo, exec_lo, s28
	s_cbranch_execz .LBB821_204
.LBB821_201:                            ; =>This Inner Loop Header: Depth=1
	s_or_b32 s30, s30, exec_lo
	s_cmp_eq_u64 s[4:5], s[6:7]
	s_cbranch_scc0 .LBB821_199
; %bb.202:                              ;   in Loop: Header=BB821_201 Depth=1
	s_mov_b64 s[6:7], s[14:15]
                                        ; implicit-def: $vgpr19_vgpr20
                                        ; implicit-def: $vgpr21_vgpr22
	s_branch .LBB821_200
.LBB821_203:
                                        ; implicit-def: $sgpr0
                                        ; implicit-def: $vgpr20
	s_cbranch_execnz .LBB821_272
	s_branch .LBB821_363
.LBB821_204:
	s_set_inst_prefetch_distance 0x2
	s_or_b32 exec_lo, exec_lo, s28
	v_cmp_gt_i64_e32 vcc_lo, s[14:15], v[23:24]
	s_or_not1_b32 s28, vcc_lo, exec_lo
.LBB821_205:
	s_or_b32 exec_lo, exec_lo, s29
.LBB821_206:
	v_mul_lo_u32 v21, v8, s14
	v_mul_lo_u32 v22, v7, s15
	v_mad_u64_u32 v[19:20], null, v7, s14, 0
	s_and_not1_b32 vcc_lo, exec_lo, s26
	s_delay_alu instid0(VALU_DEP_1) | instskip(NEXT) | instid1(VALU_DEP_1)
	v_add3_u32 v20, v20, v22, v21
	v_lshlrev_b64 v[19:20], 3, v[19:20]
	s_cbranch_vccnz .LBB821_215
; %bb.207:
	s_delay_alu instid0(VALU_DEP_1) | instskip(NEXT) | instid1(VALU_DEP_2)
	v_add_co_u32 v21, vcc_lo, s16, v19
	v_add_co_ci_u32_e32 v22, vcc_lo, s17, v20, vcc_lo
	v_add_co_u32 v17, vcc_lo, s16, v17
	v_add_co_ci_u32_e32 v18, vcc_lo, s17, v18, vcc_lo
	s_mov_b32 s27, -1
	s_clause 0x1
	global_load_b64 v[23:24], v[21:22], off
	global_load_b64 v[25:26], v[17:18], off
	s_mov_b32 s29, exec_lo
	s_waitcnt vmcnt(0)
	v_cmpx_eq_f64_e32 v[23:24], v[25:26]
	s_cbranch_execz .LBB821_214
; %bb.208:
	v_add_co_u32 v17, vcc_lo, v17, 8
	v_add_co_ci_u32_e32 v18, vcc_lo, 0, v18, vcc_lo
	v_add_co_u32 v21, vcc_lo, v21, 8
	v_add_co_ci_u32_e32 v22, vcc_lo, 0, v22, vcc_lo
	s_add_u32 s4, s14, -1
	s_addc_u32 s5, s15, -1
	s_mov_b64 s[6:7], 0
	s_mov_b32 s27, 0
                                        ; implicit-def: $sgpr30
	s_set_inst_prefetch_distance 0x1
	s_branch .LBB821_211
	.p2align	6
.LBB821_209:                            ;   in Loop: Header=BB821_211 Depth=1
	global_load_b64 v[23:24], v[21:22], off
	global_load_b64 v[25:26], v[17:18], off
	v_add_co_u32 v17, s0, v17, 8
	s_delay_alu instid0(VALU_DEP_1) | instskip(SKIP_1) | instid1(VALU_DEP_1)
	v_add_co_ci_u32_e64 v18, s0, 0, v18, s0
	v_add_co_u32 v21, s0, v21, 8
	v_add_co_ci_u32_e64 v22, s0, 0, v22, s0
	s_add_u32 s6, s6, 1
	s_addc_u32 s7, s7, 0
	s_and_not1_b32 s0, s30, exec_lo
	s_waitcnt vmcnt(0)
	v_cmp_neq_f64_e32 vcc_lo, v[23:24], v[25:26]
	s_and_b32 s30, vcc_lo, exec_lo
	s_delay_alu instid0(SALU_CYCLE_1)
	s_or_b32 s30, s0, s30
.LBB821_210:                            ;   in Loop: Header=BB821_211 Depth=1
	v_dual_mov_b32 v24, s7 :: v_dual_mov_b32 v23, s6
	s_and_b32 s0, exec_lo, s30
	s_delay_alu instid0(SALU_CYCLE_1) | instskip(NEXT) | instid1(SALU_CYCLE_1)
	s_or_b32 s27, s0, s27
	s_and_not1_b32 exec_lo, exec_lo, s27
	s_cbranch_execz .LBB821_213
.LBB821_211:                            ; =>This Inner Loop Header: Depth=1
	s_or_b32 s30, s30, exec_lo
	s_cmp_eq_u64 s[4:5], s[6:7]
	s_cbranch_scc0 .LBB821_209
; %bb.212:                              ;   in Loop: Header=BB821_211 Depth=1
	s_mov_b64 s[6:7], s[14:15]
                                        ; implicit-def: $vgpr17_vgpr18
                                        ; implicit-def: $vgpr21_vgpr22
	s_branch .LBB821_210
.LBB821_213:
	s_set_inst_prefetch_distance 0x2
	s_or_b32 exec_lo, exec_lo, s27
	v_cmp_gt_i64_e32 vcc_lo, s[14:15], v[23:24]
	s_or_not1_b32 s27, vcc_lo, exec_lo
.LBB821_214:
	s_or_b32 exec_lo, exec_lo, s29
.LBB821_215:
	v_mul_lo_u32 v21, v6, s14
	v_mul_lo_u32 v22, v5, s15
	v_mad_u64_u32 v[17:18], null, v5, s14, 0
	s_mov_b32 s29, 0
	s_and_not1_b32 vcc_lo, exec_lo, s26
	s_mov_b32 s30, 0
	s_delay_alu instid0(VALU_DEP_1) | instskip(NEXT) | instid1(VALU_DEP_1)
	v_add3_u32 v18, v18, v22, v21
	v_lshlrev_b64 v[21:22], 3, v[17:18]
	s_cbranch_vccnz .LBB821_224
; %bb.216:
	s_delay_alu instid0(VALU_DEP_1) | instskip(NEXT) | instid1(VALU_DEP_2)
	v_add_co_u32 v23, vcc_lo, s16, v21
	v_add_co_ci_u32_e32 v24, vcc_lo, s17, v22, vcc_lo
	v_add_co_u32 v17, vcc_lo, s16, v19
	v_add_co_ci_u32_e32 v18, vcc_lo, s17, v20, vcc_lo
	s_mov_b32 s30, -1
	s_clause 0x1
	global_load_b64 v[19:20], v[23:24], off
	global_load_b64 v[25:26], v[17:18], off
	s_mov_b32 s31, exec_lo
	s_waitcnt vmcnt(0)
	v_cmpx_eq_f64_e32 v[19:20], v[25:26]
	s_cbranch_execz .LBB821_223
; %bb.217:
	v_add_co_u32 v17, vcc_lo, v17, 8
	v_add_co_ci_u32_e32 v18, vcc_lo, 0, v18, vcc_lo
	v_add_co_u32 v19, vcc_lo, v23, 8
	v_add_co_ci_u32_e32 v20, vcc_lo, 0, v24, vcc_lo
	s_add_u32 s4, s14, -1
	s_addc_u32 s5, s15, -1
	s_mov_b64 s[6:7], 0
	s_mov_b32 s30, 0
                                        ; implicit-def: $sgpr33
	s_set_inst_prefetch_distance 0x1
	s_branch .LBB821_220
	.p2align	6
.LBB821_218:                            ;   in Loop: Header=BB821_220 Depth=1
	global_load_b64 v[23:24], v[19:20], off
	global_load_b64 v[25:26], v[17:18], off
	v_add_co_u32 v17, s0, v17, 8
	s_delay_alu instid0(VALU_DEP_1) | instskip(SKIP_1) | instid1(VALU_DEP_1)
	v_add_co_ci_u32_e64 v18, s0, 0, v18, s0
	v_add_co_u32 v19, s0, v19, 8
	v_add_co_ci_u32_e64 v20, s0, 0, v20, s0
	s_add_u32 s6, s6, 1
	s_addc_u32 s7, s7, 0
	s_and_not1_b32 s0, s33, exec_lo
	s_waitcnt vmcnt(0)
	v_cmp_neq_f64_e32 vcc_lo, v[23:24], v[25:26]
	s_and_b32 s33, vcc_lo, exec_lo
	s_delay_alu instid0(SALU_CYCLE_1)
	s_or_b32 s33, s0, s33
.LBB821_219:                            ;   in Loop: Header=BB821_220 Depth=1
	v_dual_mov_b32 v24, s7 :: v_dual_mov_b32 v23, s6
	s_and_b32 s0, exec_lo, s33
	s_delay_alu instid0(SALU_CYCLE_1) | instskip(NEXT) | instid1(SALU_CYCLE_1)
	s_or_b32 s30, s0, s30
	s_and_not1_b32 exec_lo, exec_lo, s30
	s_cbranch_execz .LBB821_222
.LBB821_220:                            ; =>This Inner Loop Header: Depth=1
	s_or_b32 s33, s33, exec_lo
	s_cmp_eq_u64 s[4:5], s[6:7]
	s_cbranch_scc0 .LBB821_218
; %bb.221:                              ;   in Loop: Header=BB821_220 Depth=1
	s_mov_b64 s[6:7], s[14:15]
                                        ; implicit-def: $vgpr17_vgpr18
                                        ; implicit-def: $vgpr19_vgpr20
	s_branch .LBB821_219
.LBB821_222:
	s_set_inst_prefetch_distance 0x2
	s_or_b32 exec_lo, exec_lo, s30
	v_cmp_gt_i64_e32 vcc_lo, s[14:15], v[23:24]
	s_or_not1_b32 s30, vcc_lo, exec_lo
.LBB821_223:
	s_or_b32 exec_lo, exec_lo, s31
.LBB821_224:
	v_mul_lo_u32 v19, v12, s14
	v_mul_lo_u32 v20, v11, s15
	v_mad_u64_u32 v[17:18], null, v11, s14, 0
	s_and_not1_b32 vcc_lo, exec_lo, s26
	s_delay_alu instid0(VALU_DEP_1) | instskip(NEXT) | instid1(VALU_DEP_1)
	v_add3_u32 v18, v18, v20, v19
	v_lshlrev_b64 v[17:18], 3, v[17:18]
	s_cbranch_vccnz .LBB821_233
; %bb.225:
	s_delay_alu instid0(VALU_DEP_1) | instskip(NEXT) | instid1(VALU_DEP_2)
	v_add_co_u32 v23, vcc_lo, s16, v17
	v_add_co_ci_u32_e32 v24, vcc_lo, s17, v18, vcc_lo
	v_add_co_u32 v19, vcc_lo, s16, v21
	v_add_co_ci_u32_e32 v20, vcc_lo, s17, v22, vcc_lo
	s_mov_b32 s29, -1
	s_clause 0x1
	global_load_b64 v[21:22], v[23:24], off
	global_load_b64 v[25:26], v[19:20], off
	s_mov_b32 s31, exec_lo
	s_waitcnt vmcnt(0)
	v_cmpx_eq_f64_e32 v[21:22], v[25:26]
	s_cbranch_execz .LBB821_232
; %bb.226:
	v_add_co_u32 v19, vcc_lo, v19, 8
	v_add_co_ci_u32_e32 v20, vcc_lo, 0, v20, vcc_lo
	v_add_co_u32 v21, vcc_lo, v23, 8
	v_add_co_ci_u32_e32 v22, vcc_lo, 0, v24, vcc_lo
	s_add_u32 s4, s14, -1
	s_addc_u32 s5, s15, -1
	s_mov_b64 s[6:7], 0
	s_mov_b32 s29, 0
                                        ; implicit-def: $sgpr33
	s_set_inst_prefetch_distance 0x1
	s_branch .LBB821_229
	.p2align	6
.LBB821_227:                            ;   in Loop: Header=BB821_229 Depth=1
	global_load_b64 v[23:24], v[21:22], off
	global_load_b64 v[25:26], v[19:20], off
	v_add_co_u32 v19, s0, v19, 8
	s_delay_alu instid0(VALU_DEP_1) | instskip(SKIP_1) | instid1(VALU_DEP_1)
	v_add_co_ci_u32_e64 v20, s0, 0, v20, s0
	v_add_co_u32 v21, s0, v21, 8
	v_add_co_ci_u32_e64 v22, s0, 0, v22, s0
	s_add_u32 s6, s6, 1
	s_addc_u32 s7, s7, 0
	s_and_not1_b32 s0, s33, exec_lo
	s_waitcnt vmcnt(0)
	v_cmp_neq_f64_e32 vcc_lo, v[23:24], v[25:26]
	s_and_b32 s33, vcc_lo, exec_lo
	s_delay_alu instid0(SALU_CYCLE_1)
	s_or_b32 s33, s0, s33
.LBB821_228:                            ;   in Loop: Header=BB821_229 Depth=1
	v_dual_mov_b32 v24, s7 :: v_dual_mov_b32 v23, s6
	s_and_b32 s0, exec_lo, s33
	s_delay_alu instid0(SALU_CYCLE_1) | instskip(NEXT) | instid1(SALU_CYCLE_1)
	s_or_b32 s29, s0, s29
	s_and_not1_b32 exec_lo, exec_lo, s29
	s_cbranch_execz .LBB821_231
.LBB821_229:                            ; =>This Inner Loop Header: Depth=1
	s_or_b32 s33, s33, exec_lo
	s_cmp_eq_u64 s[4:5], s[6:7]
	s_cbranch_scc0 .LBB821_227
; %bb.230:                              ;   in Loop: Header=BB821_229 Depth=1
	s_mov_b64 s[6:7], s[14:15]
                                        ; implicit-def: $vgpr19_vgpr20
                                        ; implicit-def: $vgpr21_vgpr22
	s_branch .LBB821_228
.LBB821_231:
	s_set_inst_prefetch_distance 0x2
	s_or_b32 exec_lo, exec_lo, s29
	v_cmp_gt_i64_e32 vcc_lo, s[14:15], v[23:24]
	s_or_not1_b32 s29, vcc_lo, exec_lo
.LBB821_232:
	s_or_b32 exec_lo, exec_lo, s31
.LBB821_233:
	v_mul_lo_u32 v21, v10, s14
	v_mul_lo_u32 v22, v9, s15
	v_mad_u64_u32 v[19:20], null, v9, s14, 0
	s_mov_b32 s31, 0
	s_and_not1_b32 vcc_lo, exec_lo, s26
	s_mov_b32 s33, 0
	s_delay_alu instid0(VALU_DEP_1) | instskip(NEXT) | instid1(VALU_DEP_1)
	v_add3_u32 v20, v20, v22, v21
	v_lshlrev_b64 v[21:22], 3, v[19:20]
	s_cbranch_vccnz .LBB821_242
; %bb.234:
	s_delay_alu instid0(VALU_DEP_1) | instskip(NEXT) | instid1(VALU_DEP_2)
	v_add_co_u32 v19, vcc_lo, s16, v21
	v_add_co_ci_u32_e32 v20, vcc_lo, s17, v22, vcc_lo
	v_add_co_u32 v17, vcc_lo, s16, v17
	v_add_co_ci_u32_e32 v18, vcc_lo, s17, v18, vcc_lo
	s_mov_b32 s33, -1
	s_clause 0x1
	global_load_b64 v[23:24], v[19:20], off
	global_load_b64 v[25:26], v[17:18], off
	s_mov_b32 s34, exec_lo
	s_waitcnt vmcnt(0)
	v_cmpx_eq_f64_e32 v[23:24], v[25:26]
	s_cbranch_execz .LBB821_241
; %bb.235:
	v_add_co_u32 v17, vcc_lo, v17, 8
	v_add_co_ci_u32_e32 v18, vcc_lo, 0, v18, vcc_lo
	v_add_co_u32 v19, vcc_lo, v19, 8
	v_add_co_ci_u32_e32 v20, vcc_lo, 0, v20, vcc_lo
	s_add_u32 s4, s14, -1
	s_addc_u32 s5, s15, -1
	s_mov_b64 s[6:7], 0
	s_mov_b32 s33, 0
                                        ; implicit-def: $sgpr35
	s_set_inst_prefetch_distance 0x1
	s_branch .LBB821_238
	.p2align	6
.LBB821_236:                            ;   in Loop: Header=BB821_238 Depth=1
	global_load_b64 v[23:24], v[19:20], off
	global_load_b64 v[25:26], v[17:18], off
	v_add_co_u32 v17, s0, v17, 8
	s_delay_alu instid0(VALU_DEP_1) | instskip(SKIP_1) | instid1(VALU_DEP_1)
	v_add_co_ci_u32_e64 v18, s0, 0, v18, s0
	v_add_co_u32 v19, s0, v19, 8
	v_add_co_ci_u32_e64 v20, s0, 0, v20, s0
	s_add_u32 s6, s6, 1
	s_addc_u32 s7, s7, 0
	s_and_not1_b32 s0, s35, exec_lo
	s_waitcnt vmcnt(0)
	v_cmp_neq_f64_e32 vcc_lo, v[23:24], v[25:26]
	s_and_b32 s35, vcc_lo, exec_lo
	s_delay_alu instid0(SALU_CYCLE_1)
	s_or_b32 s35, s0, s35
.LBB821_237:                            ;   in Loop: Header=BB821_238 Depth=1
	v_dual_mov_b32 v24, s7 :: v_dual_mov_b32 v23, s6
	s_and_b32 s0, exec_lo, s35
	s_delay_alu instid0(SALU_CYCLE_1) | instskip(NEXT) | instid1(SALU_CYCLE_1)
	s_or_b32 s33, s0, s33
	s_and_not1_b32 exec_lo, exec_lo, s33
	s_cbranch_execz .LBB821_240
.LBB821_238:                            ; =>This Inner Loop Header: Depth=1
	s_or_b32 s35, s35, exec_lo
	s_cmp_eq_u64 s[4:5], s[6:7]
	s_cbranch_scc0 .LBB821_236
; %bb.239:                              ;   in Loop: Header=BB821_238 Depth=1
	s_mov_b64 s[6:7], s[14:15]
                                        ; implicit-def: $vgpr17_vgpr18
                                        ; implicit-def: $vgpr19_vgpr20
	s_branch .LBB821_237
.LBB821_240:
	s_set_inst_prefetch_distance 0x2
	s_or_b32 exec_lo, exec_lo, s33
	v_cmp_gt_i64_e32 vcc_lo, s[14:15], v[23:24]
	s_or_not1_b32 s33, vcc_lo, exec_lo
.LBB821_241:
	s_or_b32 exec_lo, exec_lo, s34
.LBB821_242:
	v_mul_lo_u32 v19, v16, s14
	v_mul_lo_u32 v20, v15, s15
	v_mad_u64_u32 v[17:18], null, v15, s14, 0
	s_and_not1_b32 vcc_lo, exec_lo, s26
	s_delay_alu instid0(VALU_DEP_1) | instskip(NEXT) | instid1(VALU_DEP_1)
	v_add3_u32 v18, v18, v20, v19
	v_lshlrev_b64 v[19:20], 3, v[17:18]
	s_cbranch_vccnz .LBB821_251
; %bb.243:
	s_delay_alu instid0(VALU_DEP_1) | instskip(NEXT) | instid1(VALU_DEP_2)
	v_add_co_u32 v23, vcc_lo, s16, v19
	v_add_co_ci_u32_e32 v24, vcc_lo, s17, v20, vcc_lo
	v_add_co_u32 v17, vcc_lo, s16, v21
	v_add_co_ci_u32_e32 v18, vcc_lo, s17, v22, vcc_lo
	s_mov_b32 s31, -1
	s_clause 0x1
	global_load_b64 v[21:22], v[23:24], off
	global_load_b64 v[25:26], v[17:18], off
	s_mov_b32 s34, exec_lo
	s_waitcnt vmcnt(0)
	v_cmpx_eq_f64_e32 v[21:22], v[25:26]
	s_cbranch_execz .LBB821_250
; %bb.244:
	v_add_co_u32 v17, vcc_lo, v17, 8
	v_add_co_ci_u32_e32 v18, vcc_lo, 0, v18, vcc_lo
	v_add_co_u32 v21, vcc_lo, v23, 8
	v_add_co_ci_u32_e32 v22, vcc_lo, 0, v24, vcc_lo
	s_add_u32 s4, s14, -1
	s_addc_u32 s5, s15, -1
	s_mov_b64 s[6:7], 0
	s_mov_b32 s31, 0
                                        ; implicit-def: $sgpr35
	s_set_inst_prefetch_distance 0x1
	s_branch .LBB821_247
	.p2align	6
.LBB821_245:                            ;   in Loop: Header=BB821_247 Depth=1
	global_load_b64 v[23:24], v[21:22], off
	global_load_b64 v[25:26], v[17:18], off
	v_add_co_u32 v17, s0, v17, 8
	s_delay_alu instid0(VALU_DEP_1) | instskip(SKIP_1) | instid1(VALU_DEP_1)
	v_add_co_ci_u32_e64 v18, s0, 0, v18, s0
	v_add_co_u32 v21, s0, v21, 8
	v_add_co_ci_u32_e64 v22, s0, 0, v22, s0
	s_add_u32 s6, s6, 1
	s_addc_u32 s7, s7, 0
	s_and_not1_b32 s0, s35, exec_lo
	s_waitcnt vmcnt(0)
	v_cmp_neq_f64_e32 vcc_lo, v[23:24], v[25:26]
	s_and_b32 s35, vcc_lo, exec_lo
	s_delay_alu instid0(SALU_CYCLE_1)
	s_or_b32 s35, s0, s35
.LBB821_246:                            ;   in Loop: Header=BB821_247 Depth=1
	v_dual_mov_b32 v24, s7 :: v_dual_mov_b32 v23, s6
	s_and_b32 s0, exec_lo, s35
	s_delay_alu instid0(SALU_CYCLE_1) | instskip(NEXT) | instid1(SALU_CYCLE_1)
	s_or_b32 s31, s0, s31
	s_and_not1_b32 exec_lo, exec_lo, s31
	s_cbranch_execz .LBB821_249
.LBB821_247:                            ; =>This Inner Loop Header: Depth=1
	s_or_b32 s35, s35, exec_lo
	s_cmp_eq_u64 s[4:5], s[6:7]
	s_cbranch_scc0 .LBB821_245
; %bb.248:                              ;   in Loop: Header=BB821_247 Depth=1
	s_mov_b64 s[6:7], s[14:15]
                                        ; implicit-def: $vgpr17_vgpr18
                                        ; implicit-def: $vgpr21_vgpr22
	s_branch .LBB821_246
.LBB821_249:
	s_set_inst_prefetch_distance 0x2
	s_or_b32 exec_lo, exec_lo, s31
	v_cmp_gt_i64_e32 vcc_lo, s[14:15], v[23:24]
	s_or_not1_b32 s31, vcc_lo, exec_lo
.LBB821_250:
	s_or_b32 exec_lo, exec_lo, s34
.LBB821_251:
	v_mul_lo_u32 v21, v14, s14
	v_mul_lo_u32 v22, v13, s15
	v_mad_u64_u32 v[17:18], null, v13, s14, 0
	s_and_not1_b32 vcc_lo, exec_lo, s26
	s_mov_b32 s0, 0
	s_delay_alu instid0(VALU_DEP_1)
	v_add3_u32 v18, v18, v22, v21
	s_cbranch_vccnz .LBB821_260
; %bb.252:
	s_delay_alu instid0(VALU_DEP_1) | instskip(SKIP_2) | instid1(VALU_DEP_1)
	v_lshlrev_b64 v[21:22], 3, v[17:18]
	s_mov_b32 s0, -1
	s_mov_b32 s34, exec_lo
	v_add_co_u32 v21, vcc_lo, s16, v21
	s_delay_alu instid0(VALU_DEP_2)
	v_add_co_ci_u32_e32 v22, vcc_lo, s17, v22, vcc_lo
	v_add_co_u32 v19, vcc_lo, s16, v19
	v_add_co_ci_u32_e32 v20, vcc_lo, s17, v20, vcc_lo
	s_clause 0x1
	global_load_b64 v[23:24], v[21:22], off
	global_load_b64 v[25:26], v[19:20], off
	s_waitcnt vmcnt(0)
	v_cmpx_eq_f64_e32 v[23:24], v[25:26]
	s_cbranch_execz .LBB821_259
; %bb.253:
	v_add_co_u32 v19, vcc_lo, v19, 8
	v_add_co_ci_u32_e32 v20, vcc_lo, 0, v20, vcc_lo
	v_add_co_u32 v21, vcc_lo, v21, 8
	v_add_co_ci_u32_e32 v22, vcc_lo, 0, v22, vcc_lo
	s_add_u32 s4, s14, -1
	s_addc_u32 s5, s15, -1
	s_mov_b64 s[6:7], 0
	s_mov_b32 s35, 0
                                        ; implicit-def: $sgpr36
	s_set_inst_prefetch_distance 0x1
	s_branch .LBB821_256
	.p2align	6
.LBB821_254:                            ;   in Loop: Header=BB821_256 Depth=1
	global_load_b64 v[23:24], v[21:22], off
	global_load_b64 v[25:26], v[19:20], off
	v_add_co_u32 v19, s0, v19, 8
	s_delay_alu instid0(VALU_DEP_1) | instskip(SKIP_1) | instid1(VALU_DEP_1)
	v_add_co_ci_u32_e64 v20, s0, 0, v20, s0
	v_add_co_u32 v21, s0, v21, 8
	v_add_co_ci_u32_e64 v22, s0, 0, v22, s0
	s_add_u32 s6, s6, 1
	s_addc_u32 s7, s7, 0
	s_and_not1_b32 s0, s36, exec_lo
	s_waitcnt vmcnt(0)
	v_cmp_neq_f64_e32 vcc_lo, v[23:24], v[25:26]
	s_and_b32 s36, vcc_lo, exec_lo
	s_delay_alu instid0(SALU_CYCLE_1)
	s_or_b32 s36, s0, s36
.LBB821_255:                            ;   in Loop: Header=BB821_256 Depth=1
	v_dual_mov_b32 v24, s7 :: v_dual_mov_b32 v23, s6
	s_and_b32 s0, exec_lo, s36
	s_delay_alu instid0(SALU_CYCLE_1) | instskip(NEXT) | instid1(SALU_CYCLE_1)
	s_or_b32 s35, s0, s35
	s_and_not1_b32 exec_lo, exec_lo, s35
	s_cbranch_execz .LBB821_258
.LBB821_256:                            ; =>This Inner Loop Header: Depth=1
	s_or_b32 s36, s36, exec_lo
	s_cmp_eq_u64 s[4:5], s[6:7]
	s_cbranch_scc0 .LBB821_254
; %bb.257:                              ;   in Loop: Header=BB821_256 Depth=1
	s_mov_b64 s[6:7], s[14:15]
                                        ; implicit-def: $vgpr19_vgpr20
                                        ; implicit-def: $vgpr21_vgpr22
	s_branch .LBB821_255
.LBB821_258:
	s_set_inst_prefetch_distance 0x2
	s_or_b32 exec_lo, exec_lo, s35
	v_cmp_gt_i64_e32 vcc_lo, s[14:15], v[23:24]
	s_or_not1_b32 s0, vcc_lo, exec_lo
.LBB821_259:
	s_or_b32 exec_lo, exec_lo, s34
.LBB821_260:
	v_cndmask_b32_e64 v20, 0, 1, s33
	v_cndmask_b32_e64 v21, 0, 1, s30
	;; [unrolled: 1-line block ×7, first 2 shown]
	v_lshlrev_b16 v21, 8, v21
	v_lshlrev_b16 v22, 8, v22
	;; [unrolled: 1-line block ×4, first 2 shown]
	s_waitcnt lgkmcnt(0)
	v_or_b32_e32 v21, v24, v21
	v_or_b32_e32 v22, v25, v22
	v_or_b32_e32 v23, 1, v23
	v_or_b32_e32 v19, v19, v20
	s_barrier
	v_and_b32_e32 v20, 0xffff, v21
	v_lshlrev_b32_e32 v21, 16, v22
	v_and_b32_e32 v22, 0xffff, v23
	v_lshlrev_b32_e32 v19, 16, v19
	buffer_gl0_inv
                                        ; implicit-def: $sgpr0
	v_or_b32_e32 v20, v20, v21
	v_or_b32_e32 v19, v22, v19
	s_and_saveexec_b32 s4, s3
	s_delay_alu instid0(SALU_CYCLE_1)
	s_xor_b32 s27, exec_lo, s4
	s_cbranch_execz .LBB821_271
; %bb.261:
	s_and_not1_b32 vcc_lo, exec_lo, s26
	s_mov_b32 s0, 0
	s_cbranch_vccnz .LBB821_270
; %bb.262:
	v_add_nc_u32_e32 v21, -8, v39
	v_lshlrev_b64 v[17:18], 3, v[17:18]
	s_mov_b32 s0, -1
	s_mov_b32 s28, exec_lo
	ds_load_b64 v[21:22], v21
	s_waitcnt lgkmcnt(0)
	v_mul_lo_u32 v24, v22, s14
	v_mul_lo_u32 v25, v21, s15
	v_mad_u64_u32 v[22:23], null, v21, s14, 0
	s_delay_alu instid0(VALU_DEP_1) | instskip(NEXT) | instid1(VALU_DEP_1)
	v_add3_u32 v23, v23, v25, v24
	v_lshlrev_b64 v[21:22], 3, v[22:23]
	s_delay_alu instid0(VALU_DEP_1) | instskip(NEXT) | instid1(VALU_DEP_2)
	v_add_co_u32 v21, vcc_lo, s16, v21
	v_add_co_ci_u32_e32 v22, vcc_lo, s17, v22, vcc_lo
	v_add_co_u32 v17, vcc_lo, s16, v17
	v_add_co_ci_u32_e32 v18, vcc_lo, s17, v18, vcc_lo
	s_clause 0x1
	global_load_b64 v[23:24], v[21:22], off
	global_load_b64 v[25:26], v[17:18], off
	s_waitcnt vmcnt(0)
	v_cmpx_eq_f64_e32 v[23:24], v[25:26]
	s_cbranch_execz .LBB821_269
; %bb.263:
	v_add_co_u32 v17, vcc_lo, v17, 8
	v_add_co_ci_u32_e32 v18, vcc_lo, 0, v18, vcc_lo
	v_add_co_u32 v21, vcc_lo, v21, 8
	v_add_co_ci_u32_e32 v22, vcc_lo, 0, v22, vcc_lo
	s_add_u32 s4, s14, -1
	s_addc_u32 s5, s15, -1
	s_mov_b64 s[6:7], 0
	s_mov_b32 s29, 0
                                        ; implicit-def: $sgpr30
	s_set_inst_prefetch_distance 0x1
	s_branch .LBB821_266
	.p2align	6
.LBB821_264:                            ;   in Loop: Header=BB821_266 Depth=1
	global_load_b64 v[23:24], v[21:22], off
	global_load_b64 v[25:26], v[17:18], off
	v_add_co_u32 v17, s0, v17, 8
	s_delay_alu instid0(VALU_DEP_1) | instskip(SKIP_1) | instid1(VALU_DEP_1)
	v_add_co_ci_u32_e64 v18, s0, 0, v18, s0
	v_add_co_u32 v21, s0, v21, 8
	v_add_co_ci_u32_e64 v22, s0, 0, v22, s0
	s_add_u32 s6, s6, 1
	s_addc_u32 s7, s7, 0
	s_and_not1_b32 s0, s30, exec_lo
	s_waitcnt vmcnt(0)
	v_cmp_neq_f64_e32 vcc_lo, v[23:24], v[25:26]
	s_and_b32 s30, vcc_lo, exec_lo
	s_delay_alu instid0(SALU_CYCLE_1)
	s_or_b32 s30, s0, s30
.LBB821_265:                            ;   in Loop: Header=BB821_266 Depth=1
	v_dual_mov_b32 v24, s7 :: v_dual_mov_b32 v23, s6
	s_and_b32 s0, exec_lo, s30
	s_delay_alu instid0(SALU_CYCLE_1) | instskip(NEXT) | instid1(SALU_CYCLE_1)
	s_or_b32 s29, s0, s29
	s_and_not1_b32 exec_lo, exec_lo, s29
	s_cbranch_execz .LBB821_268
.LBB821_266:                            ; =>This Inner Loop Header: Depth=1
	s_or_b32 s30, s30, exec_lo
	s_cmp_eq_u64 s[4:5], s[6:7]
	s_cbranch_scc0 .LBB821_264
; %bb.267:                              ;   in Loop: Header=BB821_266 Depth=1
	s_mov_b64 s[6:7], s[14:15]
                                        ; implicit-def: $vgpr17_vgpr18
                                        ; implicit-def: $vgpr21_vgpr22
	s_branch .LBB821_265
.LBB821_268:
	s_set_inst_prefetch_distance 0x2
	s_or_b32 exec_lo, exec_lo, s29
	v_cmp_gt_i64_e32 vcc_lo, s[14:15], v[23:24]
	s_or_not1_b32 s0, vcc_lo, exec_lo
.LBB821_269:
	s_or_b32 exec_lo, exec_lo, s28
.LBB821_270:
	s_delay_alu instid0(SALU_CYCLE_1)
	s_and_b32 s0, s0, exec_lo
	s_or_b32 s25, s25, exec_lo
.LBB821_271:
	s_or_b32 exec_lo, exec_lo, s27
	s_branch .LBB821_363
.LBB821_272:
	s_waitcnt vmcnt(0) lgkmcnt(1)
	v_or_b32_e32 v17, 7, v39
	s_mov_b32 s27, 0
	s_mov_b32 s28, 0
	s_mov_b32 s29, exec_lo
	s_delay_alu instid0(VALU_DEP_1)
	v_cmpx_gt_u32_e64 s12, v17
	s_cbranch_execz .LBB821_283
; %bb.273:
	s_and_not1_b32 vcc_lo, exec_lo, s26
	s_mov_b32 s0, 0
	s_cbranch_vccnz .LBB821_282
; %bb.274:
	v_mul_lo_u32 v21, v2, s14
	v_mul_lo_u32 v22, v1, s15
	v_mad_u64_u32 v[17:18], null, v1, s14, 0
	v_mul_lo_u32 v23, v4, s14
	v_mul_lo_u32 v24, v3, s15
	v_mad_u64_u32 v[19:20], null, v3, s14, 0
	s_mov_b32 s0, -1
	s_mov_b32 s28, exec_lo
	s_delay_alu instid0(VALU_DEP_4) | instskip(NEXT) | instid1(VALU_DEP_2)
	v_add3_u32 v18, v18, v22, v21
	v_add3_u32 v20, v20, v24, v23
	s_delay_alu instid0(VALU_DEP_2) | instskip(NEXT) | instid1(VALU_DEP_2)
	v_lshlrev_b64 v[17:18], 3, v[17:18]
	v_lshlrev_b64 v[21:22], 3, v[19:20]
	s_delay_alu instid0(VALU_DEP_2) | instskip(NEXT) | instid1(VALU_DEP_3)
	v_add_co_u32 v19, vcc_lo, s16, v17
	v_add_co_ci_u32_e32 v20, vcc_lo, s17, v18, vcc_lo
	s_delay_alu instid0(VALU_DEP_3) | instskip(NEXT) | instid1(VALU_DEP_4)
	v_add_co_u32 v17, vcc_lo, s16, v21
	v_add_co_ci_u32_e32 v18, vcc_lo, s17, v22, vcc_lo
	s_clause 0x1
	global_load_b64 v[21:22], v[19:20], off
	global_load_b64 v[23:24], v[17:18], off
	s_waitcnt vmcnt(0)
	v_cmpx_eq_f64_e32 v[21:22], v[23:24]
	s_cbranch_execz .LBB821_281
; %bb.275:
	v_add_co_u32 v17, vcc_lo, v17, 8
	v_add_co_ci_u32_e32 v18, vcc_lo, 0, v18, vcc_lo
	v_add_co_u32 v19, vcc_lo, v19, 8
	v_add_co_ci_u32_e32 v20, vcc_lo, 0, v20, vcc_lo
	s_add_u32 s4, s14, -1
	s_addc_u32 s5, s15, -1
	s_mov_b64 s[6:7], 0
	s_mov_b32 s30, 0
                                        ; implicit-def: $sgpr31
	s_set_inst_prefetch_distance 0x1
	s_branch .LBB821_278
	.p2align	6
.LBB821_276:                            ;   in Loop: Header=BB821_278 Depth=1
	global_load_b64 v[21:22], v[19:20], off
	global_load_b64 v[23:24], v[17:18], off
	v_add_co_u32 v17, s0, v17, 8
	s_delay_alu instid0(VALU_DEP_1) | instskip(SKIP_1) | instid1(VALU_DEP_1)
	v_add_co_ci_u32_e64 v18, s0, 0, v18, s0
	v_add_co_u32 v19, s0, v19, 8
	v_add_co_ci_u32_e64 v20, s0, 0, v20, s0
	s_add_u32 s6, s6, 1
	s_addc_u32 s7, s7, 0
	s_and_not1_b32 s0, s31, exec_lo
	s_waitcnt vmcnt(0)
	v_cmp_neq_f64_e32 vcc_lo, v[21:22], v[23:24]
	s_and_b32 s31, vcc_lo, exec_lo
	s_delay_alu instid0(SALU_CYCLE_1)
	s_or_b32 s31, s0, s31
.LBB821_277:                            ;   in Loop: Header=BB821_278 Depth=1
	v_dual_mov_b32 v22, s7 :: v_dual_mov_b32 v21, s6
	s_and_b32 s0, exec_lo, s31
	s_delay_alu instid0(SALU_CYCLE_1) | instskip(NEXT) | instid1(SALU_CYCLE_1)
	s_or_b32 s30, s0, s30
	s_and_not1_b32 exec_lo, exec_lo, s30
	s_cbranch_execz .LBB821_280
.LBB821_278:                            ; =>This Inner Loop Header: Depth=1
	s_or_b32 s31, s31, exec_lo
	s_cmp_eq_u64 s[4:5], s[6:7]
	s_cbranch_scc0 .LBB821_276
; %bb.279:                              ;   in Loop: Header=BB821_278 Depth=1
	s_mov_b64 s[6:7], s[14:15]
                                        ; implicit-def: $vgpr17_vgpr18
                                        ; implicit-def: $vgpr19_vgpr20
	s_branch .LBB821_277
.LBB821_280:
	s_set_inst_prefetch_distance 0x2
	s_or_b32 exec_lo, exec_lo, s30
	v_cmp_gt_i64_e32 vcc_lo, s[14:15], v[21:22]
	s_or_not1_b32 s0, vcc_lo, exec_lo
.LBB821_281:
	s_or_b32 exec_lo, exec_lo, s28
.LBB821_282:
	s_delay_alu instid0(SALU_CYCLE_1)
	s_and_b32 s28, s0, exec_lo
.LBB821_283:
	s_or_b32 exec_lo, exec_lo, s29
	v_or_b32_e32 v17, 6, v39
	s_mov_b32 s29, exec_lo
	s_delay_alu instid0(VALU_DEP_1)
	v_cmpx_gt_u32_e64 s12, v17
	s_cbranch_execz .LBB821_294
; %bb.284:
	s_and_not1_b32 vcc_lo, exec_lo, s26
	s_mov_b32 s0, 0
	s_cbranch_vccnz .LBB821_293
; %bb.285:
	v_mul_lo_u32 v21, v8, s14
	v_mul_lo_u32 v22, v7, s15
	v_mad_u64_u32 v[17:18], null, v7, s14, 0
	v_mul_lo_u32 v23, v2, s14
	v_mul_lo_u32 v24, v1, s15
	v_mad_u64_u32 v[19:20], null, v1, s14, 0
	s_mov_b32 s0, -1
	s_mov_b32 s27, exec_lo
	s_delay_alu instid0(VALU_DEP_4) | instskip(NEXT) | instid1(VALU_DEP_2)
	v_add3_u32 v18, v18, v22, v21
	v_add3_u32 v20, v20, v24, v23
	s_delay_alu instid0(VALU_DEP_2) | instskip(NEXT) | instid1(VALU_DEP_2)
	v_lshlrev_b64 v[17:18], 3, v[17:18]
	v_lshlrev_b64 v[21:22], 3, v[19:20]
	s_delay_alu instid0(VALU_DEP_2) | instskip(NEXT) | instid1(VALU_DEP_3)
	v_add_co_u32 v19, vcc_lo, s16, v17
	v_add_co_ci_u32_e32 v20, vcc_lo, s17, v18, vcc_lo
	s_delay_alu instid0(VALU_DEP_3) | instskip(NEXT) | instid1(VALU_DEP_4)
	v_add_co_u32 v17, vcc_lo, s16, v21
	v_add_co_ci_u32_e32 v18, vcc_lo, s17, v22, vcc_lo
	s_clause 0x1
	global_load_b64 v[21:22], v[19:20], off
	global_load_b64 v[23:24], v[17:18], off
	s_waitcnt vmcnt(0)
	v_cmpx_eq_f64_e32 v[21:22], v[23:24]
	s_cbranch_execz .LBB821_292
; %bb.286:
	v_add_co_u32 v17, vcc_lo, v17, 8
	v_add_co_ci_u32_e32 v18, vcc_lo, 0, v18, vcc_lo
	v_add_co_u32 v19, vcc_lo, v19, 8
	v_add_co_ci_u32_e32 v20, vcc_lo, 0, v20, vcc_lo
	s_add_u32 s4, s14, -1
	s_addc_u32 s5, s15, -1
	s_mov_b64 s[6:7], 0
	s_mov_b32 s30, 0
                                        ; implicit-def: $sgpr31
	s_set_inst_prefetch_distance 0x1
	s_branch .LBB821_289
	.p2align	6
.LBB821_287:                            ;   in Loop: Header=BB821_289 Depth=1
	global_load_b64 v[21:22], v[19:20], off
	global_load_b64 v[23:24], v[17:18], off
	v_add_co_u32 v17, s0, v17, 8
	s_delay_alu instid0(VALU_DEP_1) | instskip(SKIP_1) | instid1(VALU_DEP_1)
	v_add_co_ci_u32_e64 v18, s0, 0, v18, s0
	v_add_co_u32 v19, s0, v19, 8
	v_add_co_ci_u32_e64 v20, s0, 0, v20, s0
	s_add_u32 s6, s6, 1
	s_addc_u32 s7, s7, 0
	s_and_not1_b32 s0, s31, exec_lo
	s_waitcnt vmcnt(0)
	v_cmp_neq_f64_e32 vcc_lo, v[21:22], v[23:24]
	s_and_b32 s31, vcc_lo, exec_lo
	s_delay_alu instid0(SALU_CYCLE_1)
	s_or_b32 s31, s0, s31
.LBB821_288:                            ;   in Loop: Header=BB821_289 Depth=1
	v_dual_mov_b32 v22, s7 :: v_dual_mov_b32 v21, s6
	s_and_b32 s0, exec_lo, s31
	s_delay_alu instid0(SALU_CYCLE_1) | instskip(NEXT) | instid1(SALU_CYCLE_1)
	s_or_b32 s30, s0, s30
	s_and_not1_b32 exec_lo, exec_lo, s30
	s_cbranch_execz .LBB821_291
.LBB821_289:                            ; =>This Inner Loop Header: Depth=1
	s_or_b32 s31, s31, exec_lo
	s_cmp_eq_u64 s[4:5], s[6:7]
	s_cbranch_scc0 .LBB821_287
; %bb.290:                              ;   in Loop: Header=BB821_289 Depth=1
	s_mov_b64 s[6:7], s[14:15]
                                        ; implicit-def: $vgpr17_vgpr18
                                        ; implicit-def: $vgpr19_vgpr20
	s_branch .LBB821_288
.LBB821_291:
	s_set_inst_prefetch_distance 0x2
	s_or_b32 exec_lo, exec_lo, s30
	v_cmp_gt_i64_e32 vcc_lo, s[14:15], v[21:22]
	s_or_not1_b32 s0, vcc_lo, exec_lo
.LBB821_292:
	s_or_b32 exec_lo, exec_lo, s27
.LBB821_293:
	s_delay_alu instid0(SALU_CYCLE_1)
	s_and_b32 s27, s0, exec_lo
.LBB821_294:
	s_or_b32 exec_lo, exec_lo, s29
	v_or_b32_e32 v17, 5, v39
	s_mov_b32 s29, 0
	s_mov_b32 s30, 0
	s_mov_b32 s31, exec_lo
	s_delay_alu instid0(VALU_DEP_1)
	v_cmpx_gt_u32_e64 s12, v17
	s_cbranch_execz .LBB821_305
; %bb.295:
	s_and_not1_b32 vcc_lo, exec_lo, s26
	s_mov_b32 s0, 0
	s_cbranch_vccnz .LBB821_304
; %bb.296:
	v_mul_lo_u32 v21, v6, s14
	v_mul_lo_u32 v22, v5, s15
	v_mad_u64_u32 v[17:18], null, v5, s14, 0
	v_mul_lo_u32 v23, v8, s14
	v_mul_lo_u32 v24, v7, s15
	v_mad_u64_u32 v[19:20], null, v7, s14, 0
	s_mov_b32 s0, -1
	s_mov_b32 s30, exec_lo
	s_delay_alu instid0(VALU_DEP_4) | instskip(NEXT) | instid1(VALU_DEP_2)
	v_add3_u32 v18, v18, v22, v21
	v_add3_u32 v20, v20, v24, v23
	s_delay_alu instid0(VALU_DEP_2) | instskip(NEXT) | instid1(VALU_DEP_2)
	v_lshlrev_b64 v[17:18], 3, v[17:18]
	v_lshlrev_b64 v[21:22], 3, v[19:20]
	s_delay_alu instid0(VALU_DEP_2) | instskip(NEXT) | instid1(VALU_DEP_3)
	v_add_co_u32 v19, vcc_lo, s16, v17
	v_add_co_ci_u32_e32 v20, vcc_lo, s17, v18, vcc_lo
	s_delay_alu instid0(VALU_DEP_3) | instskip(NEXT) | instid1(VALU_DEP_4)
	v_add_co_u32 v17, vcc_lo, s16, v21
	v_add_co_ci_u32_e32 v18, vcc_lo, s17, v22, vcc_lo
	s_clause 0x1
	global_load_b64 v[21:22], v[19:20], off
	global_load_b64 v[23:24], v[17:18], off
	s_waitcnt vmcnt(0)
	v_cmpx_eq_f64_e32 v[21:22], v[23:24]
	s_cbranch_execz .LBB821_303
; %bb.297:
	v_add_co_u32 v17, vcc_lo, v17, 8
	v_add_co_ci_u32_e32 v18, vcc_lo, 0, v18, vcc_lo
	v_add_co_u32 v19, vcc_lo, v19, 8
	v_add_co_ci_u32_e32 v20, vcc_lo, 0, v20, vcc_lo
	s_add_u32 s4, s14, -1
	s_addc_u32 s5, s15, -1
	s_mov_b64 s[6:7], 0
	s_mov_b32 s33, 0
                                        ; implicit-def: $sgpr34
	s_set_inst_prefetch_distance 0x1
	s_branch .LBB821_300
	.p2align	6
.LBB821_298:                            ;   in Loop: Header=BB821_300 Depth=1
	global_load_b64 v[21:22], v[19:20], off
	global_load_b64 v[23:24], v[17:18], off
	v_add_co_u32 v17, s0, v17, 8
	s_delay_alu instid0(VALU_DEP_1) | instskip(SKIP_1) | instid1(VALU_DEP_1)
	v_add_co_ci_u32_e64 v18, s0, 0, v18, s0
	v_add_co_u32 v19, s0, v19, 8
	v_add_co_ci_u32_e64 v20, s0, 0, v20, s0
	s_add_u32 s6, s6, 1
	s_addc_u32 s7, s7, 0
	s_and_not1_b32 s0, s34, exec_lo
	s_waitcnt vmcnt(0)
	v_cmp_neq_f64_e32 vcc_lo, v[21:22], v[23:24]
	s_and_b32 s34, vcc_lo, exec_lo
	s_delay_alu instid0(SALU_CYCLE_1)
	s_or_b32 s34, s0, s34
.LBB821_299:                            ;   in Loop: Header=BB821_300 Depth=1
	v_dual_mov_b32 v22, s7 :: v_dual_mov_b32 v21, s6
	s_and_b32 s0, exec_lo, s34
	s_delay_alu instid0(SALU_CYCLE_1) | instskip(NEXT) | instid1(SALU_CYCLE_1)
	s_or_b32 s33, s0, s33
	s_and_not1_b32 exec_lo, exec_lo, s33
	s_cbranch_execz .LBB821_302
.LBB821_300:                            ; =>This Inner Loop Header: Depth=1
	s_or_b32 s34, s34, exec_lo
	s_cmp_eq_u64 s[4:5], s[6:7]
	s_cbranch_scc0 .LBB821_298
; %bb.301:                              ;   in Loop: Header=BB821_300 Depth=1
	s_mov_b64 s[6:7], s[14:15]
                                        ; implicit-def: $vgpr17_vgpr18
                                        ; implicit-def: $vgpr19_vgpr20
	s_branch .LBB821_299
.LBB821_302:
	s_set_inst_prefetch_distance 0x2
	s_or_b32 exec_lo, exec_lo, s33
	v_cmp_gt_i64_e32 vcc_lo, s[14:15], v[21:22]
	s_or_not1_b32 s0, vcc_lo, exec_lo
.LBB821_303:
	s_or_b32 exec_lo, exec_lo, s30
.LBB821_304:
	s_delay_alu instid0(SALU_CYCLE_1)
	s_and_b32 s30, s0, exec_lo
.LBB821_305:
	s_or_b32 exec_lo, exec_lo, s31
	v_or_b32_e32 v17, 4, v39
	s_mov_b32 s31, exec_lo
	s_delay_alu instid0(VALU_DEP_1)
	v_cmpx_gt_u32_e64 s12, v17
	s_cbranch_execz .LBB821_316
; %bb.306:
	s_and_not1_b32 vcc_lo, exec_lo, s26
	s_mov_b32 s0, 0
	s_cbranch_vccnz .LBB821_315
; %bb.307:
	v_mul_lo_u32 v21, v12, s14
	v_mul_lo_u32 v22, v11, s15
	v_mad_u64_u32 v[17:18], null, v11, s14, 0
	v_mul_lo_u32 v23, v6, s14
	v_mul_lo_u32 v24, v5, s15
	v_mad_u64_u32 v[19:20], null, v5, s14, 0
	s_mov_b32 s0, -1
	s_mov_b32 s29, exec_lo
	s_delay_alu instid0(VALU_DEP_4) | instskip(NEXT) | instid1(VALU_DEP_2)
	v_add3_u32 v18, v18, v22, v21
	v_add3_u32 v20, v20, v24, v23
	s_delay_alu instid0(VALU_DEP_2) | instskip(NEXT) | instid1(VALU_DEP_2)
	v_lshlrev_b64 v[17:18], 3, v[17:18]
	v_lshlrev_b64 v[21:22], 3, v[19:20]
	s_delay_alu instid0(VALU_DEP_2) | instskip(NEXT) | instid1(VALU_DEP_3)
	v_add_co_u32 v19, vcc_lo, s16, v17
	v_add_co_ci_u32_e32 v20, vcc_lo, s17, v18, vcc_lo
	s_delay_alu instid0(VALU_DEP_3) | instskip(NEXT) | instid1(VALU_DEP_4)
	v_add_co_u32 v17, vcc_lo, s16, v21
	v_add_co_ci_u32_e32 v18, vcc_lo, s17, v22, vcc_lo
	s_clause 0x1
	global_load_b64 v[21:22], v[19:20], off
	global_load_b64 v[23:24], v[17:18], off
	s_waitcnt vmcnt(0)
	v_cmpx_eq_f64_e32 v[21:22], v[23:24]
	s_cbranch_execz .LBB821_314
; %bb.308:
	v_add_co_u32 v17, vcc_lo, v17, 8
	v_add_co_ci_u32_e32 v18, vcc_lo, 0, v18, vcc_lo
	v_add_co_u32 v19, vcc_lo, v19, 8
	v_add_co_ci_u32_e32 v20, vcc_lo, 0, v20, vcc_lo
	s_add_u32 s4, s14, -1
	s_addc_u32 s5, s15, -1
	s_mov_b64 s[6:7], 0
	s_mov_b32 s33, 0
                                        ; implicit-def: $sgpr34
	s_set_inst_prefetch_distance 0x1
	s_branch .LBB821_311
	.p2align	6
.LBB821_309:                            ;   in Loop: Header=BB821_311 Depth=1
	global_load_b64 v[21:22], v[19:20], off
	global_load_b64 v[23:24], v[17:18], off
	v_add_co_u32 v17, s0, v17, 8
	s_delay_alu instid0(VALU_DEP_1) | instskip(SKIP_1) | instid1(VALU_DEP_1)
	v_add_co_ci_u32_e64 v18, s0, 0, v18, s0
	v_add_co_u32 v19, s0, v19, 8
	v_add_co_ci_u32_e64 v20, s0, 0, v20, s0
	s_add_u32 s6, s6, 1
	s_addc_u32 s7, s7, 0
	s_and_not1_b32 s0, s34, exec_lo
	s_waitcnt vmcnt(0)
	v_cmp_neq_f64_e32 vcc_lo, v[21:22], v[23:24]
	s_and_b32 s34, vcc_lo, exec_lo
	s_delay_alu instid0(SALU_CYCLE_1)
	s_or_b32 s34, s0, s34
.LBB821_310:                            ;   in Loop: Header=BB821_311 Depth=1
	v_dual_mov_b32 v22, s7 :: v_dual_mov_b32 v21, s6
	s_and_b32 s0, exec_lo, s34
	s_delay_alu instid0(SALU_CYCLE_1) | instskip(NEXT) | instid1(SALU_CYCLE_1)
	s_or_b32 s33, s0, s33
	s_and_not1_b32 exec_lo, exec_lo, s33
	s_cbranch_execz .LBB821_313
.LBB821_311:                            ; =>This Inner Loop Header: Depth=1
	s_or_b32 s34, s34, exec_lo
	s_cmp_eq_u64 s[4:5], s[6:7]
	s_cbranch_scc0 .LBB821_309
; %bb.312:                              ;   in Loop: Header=BB821_311 Depth=1
	s_mov_b64 s[6:7], s[14:15]
                                        ; implicit-def: $vgpr17_vgpr18
                                        ; implicit-def: $vgpr19_vgpr20
	s_branch .LBB821_310
.LBB821_313:
	s_set_inst_prefetch_distance 0x2
	s_or_b32 exec_lo, exec_lo, s33
	v_cmp_gt_i64_e32 vcc_lo, s[14:15], v[21:22]
	s_or_not1_b32 s0, vcc_lo, exec_lo
.LBB821_314:
	s_or_b32 exec_lo, exec_lo, s29
.LBB821_315:
	s_delay_alu instid0(SALU_CYCLE_1)
	s_and_b32 s29, s0, exec_lo
.LBB821_316:
	s_or_b32 exec_lo, exec_lo, s31
	v_or_b32_e32 v17, 3, v39
	s_mov_b32 s33, 0
	s_mov_b32 s31, 0
	s_mov_b32 s34, exec_lo
	s_delay_alu instid0(VALU_DEP_1)
	v_cmpx_gt_u32_e64 s12, v17
	s_cbranch_execz .LBB821_327
; %bb.317:
	s_and_not1_b32 vcc_lo, exec_lo, s26
	s_mov_b32 s0, 0
	s_cbranch_vccnz .LBB821_326
; %bb.318:
	v_mul_lo_u32 v21, v10, s14
	v_mul_lo_u32 v22, v9, s15
	v_mad_u64_u32 v[17:18], null, v9, s14, 0
	v_mul_lo_u32 v23, v12, s14
	v_mul_lo_u32 v24, v11, s15
	v_mad_u64_u32 v[19:20], null, v11, s14, 0
	s_mov_b32 s0, -1
	s_mov_b32 s31, exec_lo
	s_delay_alu instid0(VALU_DEP_4) | instskip(NEXT) | instid1(VALU_DEP_2)
	v_add3_u32 v18, v18, v22, v21
	v_add3_u32 v20, v20, v24, v23
	s_delay_alu instid0(VALU_DEP_2) | instskip(NEXT) | instid1(VALU_DEP_2)
	v_lshlrev_b64 v[17:18], 3, v[17:18]
	v_lshlrev_b64 v[21:22], 3, v[19:20]
	s_delay_alu instid0(VALU_DEP_2) | instskip(NEXT) | instid1(VALU_DEP_3)
	v_add_co_u32 v19, vcc_lo, s16, v17
	v_add_co_ci_u32_e32 v20, vcc_lo, s17, v18, vcc_lo
	s_delay_alu instid0(VALU_DEP_3) | instskip(NEXT) | instid1(VALU_DEP_4)
	v_add_co_u32 v17, vcc_lo, s16, v21
	v_add_co_ci_u32_e32 v18, vcc_lo, s17, v22, vcc_lo
	s_clause 0x1
	global_load_b64 v[21:22], v[19:20], off
	global_load_b64 v[23:24], v[17:18], off
	s_waitcnt vmcnt(0)
	v_cmpx_eq_f64_e32 v[21:22], v[23:24]
	s_cbranch_execz .LBB821_325
; %bb.319:
	v_add_co_u32 v17, vcc_lo, v17, 8
	v_add_co_ci_u32_e32 v18, vcc_lo, 0, v18, vcc_lo
	v_add_co_u32 v19, vcc_lo, v19, 8
	v_add_co_ci_u32_e32 v20, vcc_lo, 0, v20, vcc_lo
	s_add_u32 s4, s14, -1
	s_addc_u32 s5, s15, -1
	s_mov_b64 s[6:7], 0
	s_mov_b32 s35, 0
                                        ; implicit-def: $sgpr36
	s_set_inst_prefetch_distance 0x1
	s_branch .LBB821_322
	.p2align	6
.LBB821_320:                            ;   in Loop: Header=BB821_322 Depth=1
	global_load_b64 v[21:22], v[19:20], off
	global_load_b64 v[23:24], v[17:18], off
	v_add_co_u32 v17, s0, v17, 8
	s_delay_alu instid0(VALU_DEP_1) | instskip(SKIP_1) | instid1(VALU_DEP_1)
	v_add_co_ci_u32_e64 v18, s0, 0, v18, s0
	v_add_co_u32 v19, s0, v19, 8
	v_add_co_ci_u32_e64 v20, s0, 0, v20, s0
	s_add_u32 s6, s6, 1
	s_addc_u32 s7, s7, 0
	s_and_not1_b32 s0, s36, exec_lo
	s_waitcnt vmcnt(0)
	v_cmp_neq_f64_e32 vcc_lo, v[21:22], v[23:24]
	s_and_b32 s36, vcc_lo, exec_lo
	s_delay_alu instid0(SALU_CYCLE_1)
	s_or_b32 s36, s0, s36
.LBB821_321:                            ;   in Loop: Header=BB821_322 Depth=1
	v_dual_mov_b32 v22, s7 :: v_dual_mov_b32 v21, s6
	s_and_b32 s0, exec_lo, s36
	s_delay_alu instid0(SALU_CYCLE_1) | instskip(NEXT) | instid1(SALU_CYCLE_1)
	s_or_b32 s35, s0, s35
	s_and_not1_b32 exec_lo, exec_lo, s35
	s_cbranch_execz .LBB821_324
.LBB821_322:                            ; =>This Inner Loop Header: Depth=1
	s_or_b32 s36, s36, exec_lo
	s_cmp_eq_u64 s[4:5], s[6:7]
	s_cbranch_scc0 .LBB821_320
; %bb.323:                              ;   in Loop: Header=BB821_322 Depth=1
	s_mov_b64 s[6:7], s[14:15]
                                        ; implicit-def: $vgpr17_vgpr18
                                        ; implicit-def: $vgpr19_vgpr20
	s_branch .LBB821_321
.LBB821_324:
	s_set_inst_prefetch_distance 0x2
	s_or_b32 exec_lo, exec_lo, s35
	v_cmp_gt_i64_e32 vcc_lo, s[14:15], v[21:22]
	s_or_not1_b32 s0, vcc_lo, exec_lo
.LBB821_325:
	s_or_b32 exec_lo, exec_lo, s31
.LBB821_326:
	s_delay_alu instid0(SALU_CYCLE_1)
	s_and_b32 s31, s0, exec_lo
.LBB821_327:
	s_or_b32 exec_lo, exec_lo, s34
	v_or_b32_e32 v17, 2, v39
	s_mov_b32 s34, exec_lo
	s_delay_alu instid0(VALU_DEP_1)
	v_cmpx_gt_u32_e64 s12, v17
	s_cbranch_execz .LBB821_338
; %bb.328:
	s_and_not1_b32 vcc_lo, exec_lo, s26
	s_mov_b32 s0, 0
	s_cbranch_vccnz .LBB821_337
; %bb.329:
	v_mul_lo_u32 v21, v16, s14
	v_mul_lo_u32 v22, v15, s15
	v_mad_u64_u32 v[17:18], null, v15, s14, 0
	v_mul_lo_u32 v23, v10, s14
	v_mul_lo_u32 v24, v9, s15
	v_mad_u64_u32 v[19:20], null, v9, s14, 0
	s_mov_b32 s0, -1
	s_mov_b32 s33, exec_lo
	s_delay_alu instid0(VALU_DEP_4) | instskip(NEXT) | instid1(VALU_DEP_2)
	v_add3_u32 v18, v18, v22, v21
	v_add3_u32 v20, v20, v24, v23
	s_delay_alu instid0(VALU_DEP_2) | instskip(NEXT) | instid1(VALU_DEP_2)
	v_lshlrev_b64 v[17:18], 3, v[17:18]
	v_lshlrev_b64 v[21:22], 3, v[19:20]
	s_delay_alu instid0(VALU_DEP_2) | instskip(NEXT) | instid1(VALU_DEP_3)
	v_add_co_u32 v19, vcc_lo, s16, v17
	v_add_co_ci_u32_e32 v20, vcc_lo, s17, v18, vcc_lo
	s_delay_alu instid0(VALU_DEP_3) | instskip(NEXT) | instid1(VALU_DEP_4)
	v_add_co_u32 v17, vcc_lo, s16, v21
	v_add_co_ci_u32_e32 v18, vcc_lo, s17, v22, vcc_lo
	s_clause 0x1
	global_load_b64 v[21:22], v[19:20], off
	global_load_b64 v[23:24], v[17:18], off
	s_waitcnt vmcnt(0)
	v_cmpx_eq_f64_e32 v[21:22], v[23:24]
	s_cbranch_execz .LBB821_336
; %bb.330:
	v_add_co_u32 v17, vcc_lo, v17, 8
	v_add_co_ci_u32_e32 v18, vcc_lo, 0, v18, vcc_lo
	v_add_co_u32 v19, vcc_lo, v19, 8
	v_add_co_ci_u32_e32 v20, vcc_lo, 0, v20, vcc_lo
	s_add_u32 s4, s14, -1
	s_addc_u32 s5, s15, -1
	s_mov_b64 s[6:7], 0
	s_mov_b32 s35, 0
                                        ; implicit-def: $sgpr36
	s_set_inst_prefetch_distance 0x1
	s_branch .LBB821_333
	.p2align	6
.LBB821_331:                            ;   in Loop: Header=BB821_333 Depth=1
	global_load_b64 v[21:22], v[19:20], off
	global_load_b64 v[23:24], v[17:18], off
	v_add_co_u32 v17, s0, v17, 8
	s_delay_alu instid0(VALU_DEP_1) | instskip(SKIP_1) | instid1(VALU_DEP_1)
	v_add_co_ci_u32_e64 v18, s0, 0, v18, s0
	v_add_co_u32 v19, s0, v19, 8
	v_add_co_ci_u32_e64 v20, s0, 0, v20, s0
	s_add_u32 s6, s6, 1
	s_addc_u32 s7, s7, 0
	s_and_not1_b32 s0, s36, exec_lo
	s_waitcnt vmcnt(0)
	v_cmp_neq_f64_e32 vcc_lo, v[21:22], v[23:24]
	s_and_b32 s36, vcc_lo, exec_lo
	s_delay_alu instid0(SALU_CYCLE_1)
	s_or_b32 s36, s0, s36
.LBB821_332:                            ;   in Loop: Header=BB821_333 Depth=1
	v_dual_mov_b32 v22, s7 :: v_dual_mov_b32 v21, s6
	s_and_b32 s0, exec_lo, s36
	s_delay_alu instid0(SALU_CYCLE_1) | instskip(NEXT) | instid1(SALU_CYCLE_1)
	s_or_b32 s35, s0, s35
	s_and_not1_b32 exec_lo, exec_lo, s35
	s_cbranch_execz .LBB821_335
.LBB821_333:                            ; =>This Inner Loop Header: Depth=1
	s_or_b32 s36, s36, exec_lo
	s_cmp_eq_u64 s[4:5], s[6:7]
	s_cbranch_scc0 .LBB821_331
; %bb.334:                              ;   in Loop: Header=BB821_333 Depth=1
	s_mov_b64 s[6:7], s[14:15]
                                        ; implicit-def: $vgpr17_vgpr18
                                        ; implicit-def: $vgpr19_vgpr20
	s_branch .LBB821_332
.LBB821_335:
	s_set_inst_prefetch_distance 0x2
	s_or_b32 exec_lo, exec_lo, s35
	v_cmp_gt_i64_e32 vcc_lo, s[14:15], v[21:22]
	s_or_not1_b32 s0, vcc_lo, exec_lo
.LBB821_336:
	s_or_b32 exec_lo, exec_lo, s33
.LBB821_337:
	s_delay_alu instid0(SALU_CYCLE_1)
	s_and_b32 s33, s0, exec_lo
.LBB821_338:
	s_or_b32 exec_lo, exec_lo, s34
	v_or_b32_e32 v17, 1, v39
	s_mov_b32 s0, 0
	s_mov_b32 s34, exec_lo
	s_delay_alu instid0(VALU_DEP_1)
	v_cmpx_gt_u32_e64 s12, v17
	s_cbranch_execz .LBB821_349
; %bb.339:
	s_and_not1_b32 vcc_lo, exec_lo, s26
	s_cbranch_vccnz .LBB821_348
; %bb.340:
	v_mul_lo_u32 v21, v14, s14
	v_mul_lo_u32 v22, v13, s15
	v_mad_u64_u32 v[17:18], null, v13, s14, 0
	v_mul_lo_u32 v23, v16, s14
	v_mul_lo_u32 v24, v15, s15
	v_mad_u64_u32 v[19:20], null, v15, s14, 0
	s_mov_b32 s0, -1
	s_mov_b32 s35, exec_lo
	s_delay_alu instid0(VALU_DEP_4) | instskip(NEXT) | instid1(VALU_DEP_2)
	v_add3_u32 v18, v18, v22, v21
	v_add3_u32 v20, v20, v24, v23
	s_delay_alu instid0(VALU_DEP_2) | instskip(NEXT) | instid1(VALU_DEP_2)
	v_lshlrev_b64 v[17:18], 3, v[17:18]
	v_lshlrev_b64 v[21:22], 3, v[19:20]
	s_delay_alu instid0(VALU_DEP_2) | instskip(NEXT) | instid1(VALU_DEP_3)
	v_add_co_u32 v19, vcc_lo, s16, v17
	v_add_co_ci_u32_e32 v20, vcc_lo, s17, v18, vcc_lo
	s_delay_alu instid0(VALU_DEP_3) | instskip(NEXT) | instid1(VALU_DEP_4)
	v_add_co_u32 v17, vcc_lo, s16, v21
	v_add_co_ci_u32_e32 v18, vcc_lo, s17, v22, vcc_lo
	s_clause 0x1
	global_load_b64 v[21:22], v[19:20], off
	global_load_b64 v[23:24], v[17:18], off
	s_waitcnt vmcnt(0)
	v_cmpx_eq_f64_e32 v[21:22], v[23:24]
	s_cbranch_execz .LBB821_347
; %bb.341:
	v_add_co_u32 v17, vcc_lo, v17, 8
	v_add_co_ci_u32_e32 v18, vcc_lo, 0, v18, vcc_lo
	v_add_co_u32 v19, vcc_lo, v19, 8
	v_add_co_ci_u32_e32 v20, vcc_lo, 0, v20, vcc_lo
	s_add_u32 s4, s14, -1
	s_addc_u32 s5, s15, -1
	s_mov_b64 s[6:7], 0
	s_mov_b32 s36, 0
                                        ; implicit-def: $sgpr37
	s_set_inst_prefetch_distance 0x1
	s_branch .LBB821_344
	.p2align	6
.LBB821_342:                            ;   in Loop: Header=BB821_344 Depth=1
	global_load_b64 v[21:22], v[19:20], off
	global_load_b64 v[23:24], v[17:18], off
	v_add_co_u32 v17, s0, v17, 8
	s_delay_alu instid0(VALU_DEP_1) | instskip(SKIP_1) | instid1(VALU_DEP_1)
	v_add_co_ci_u32_e64 v18, s0, 0, v18, s0
	v_add_co_u32 v19, s0, v19, 8
	v_add_co_ci_u32_e64 v20, s0, 0, v20, s0
	s_add_u32 s6, s6, 1
	s_addc_u32 s7, s7, 0
	s_and_not1_b32 s0, s37, exec_lo
	s_waitcnt vmcnt(0)
	v_cmp_neq_f64_e32 vcc_lo, v[21:22], v[23:24]
	s_and_b32 s37, vcc_lo, exec_lo
	s_delay_alu instid0(SALU_CYCLE_1)
	s_or_b32 s37, s0, s37
.LBB821_343:                            ;   in Loop: Header=BB821_344 Depth=1
	v_dual_mov_b32 v22, s7 :: v_dual_mov_b32 v21, s6
	s_and_b32 s0, exec_lo, s37
	s_delay_alu instid0(SALU_CYCLE_1) | instskip(NEXT) | instid1(SALU_CYCLE_1)
	s_or_b32 s36, s0, s36
	s_and_not1_b32 exec_lo, exec_lo, s36
	s_cbranch_execz .LBB821_346
.LBB821_344:                            ; =>This Inner Loop Header: Depth=1
	s_or_b32 s37, s37, exec_lo
	s_cmp_eq_u64 s[4:5], s[6:7]
	s_cbranch_scc0 .LBB821_342
; %bb.345:                              ;   in Loop: Header=BB821_344 Depth=1
	s_mov_b64 s[6:7], s[14:15]
                                        ; implicit-def: $vgpr17_vgpr18
                                        ; implicit-def: $vgpr19_vgpr20
	s_branch .LBB821_343
.LBB821_346:
	s_set_inst_prefetch_distance 0x2
	s_or_b32 exec_lo, exec_lo, s36
	v_cmp_gt_i64_e32 vcc_lo, s[14:15], v[21:22]
	s_or_not1_b32 s0, vcc_lo, exec_lo
.LBB821_347:
	s_or_b32 exec_lo, exec_lo, s35
.LBB821_348:
	s_delay_alu instid0(SALU_CYCLE_1)
	s_and_b32 s0, s0, exec_lo
.LBB821_349:
	s_or_b32 exec_lo, exec_lo, s34
	v_cndmask_b32_e64 v18, 0, 1, s31
	v_cndmask_b32_e64 v19, 0, 1, s30
	;; [unrolled: 1-line block ×7, first 2 shown]
	v_lshlrev_b16 v19, 8, v19
	v_lshlrev_b16 v20, 8, v20
	;; [unrolled: 1-line block ×4, first 2 shown]
	s_waitcnt lgkmcnt(0)
	v_or_b32_e32 v19, v22, v19
	v_or_b32_e32 v20, v23, v20
	;; [unrolled: 1-line block ×4, first 2 shown]
	s_barrier
	v_and_b32_e32 v18, 0xffff, v19
	v_lshlrev_b32_e32 v19, 16, v20
	v_and_b32_e32 v21, 0xffff, v21
	v_lshlrev_b32_e32 v17, 16, v17
	buffer_gl0_inv
                                        ; implicit-def: $sgpr0
	v_or_b32_e32 v20, v18, v19
	v_or_b32_e32 v19, v21, v17
	s_and_saveexec_b32 s27, s3
	s_cbranch_execz .LBB821_362
; %bb.350:
	s_mov_b32 s0, 0
	s_mov_b32 s3, exec_lo
	v_cmpx_gt_u32_e64 s12, v39
	s_cbranch_execz .LBB821_361
; %bb.351:
	s_and_not1_b32 vcc_lo, exec_lo, s26
	s_cbranch_vccnz .LBB821_360
; %bb.352:
	v_add_nc_u32_e32 v17, -8, v39
	v_mul_lo_u32 v25, v14, s14
	v_mul_lo_u32 v26, v13, s15
	s_mov_b32 s0, -1
	ds_load_b64 v[17:18], v17
	s_waitcnt lgkmcnt(0)
	v_mul_lo_u32 v23, v18, s14
	v_mul_lo_u32 v24, v17, s15
	v_mad_u64_u32 v[21:22], null, v17, s14, 0
	v_mad_u64_u32 v[17:18], null, v13, s14, 0
	s_delay_alu instid0(VALU_DEP_2) | instskip(NEXT) | instid1(VALU_DEP_2)
	v_add3_u32 v22, v22, v24, v23
	v_add3_u32 v18, v18, v26, v25
	s_delay_alu instid0(VALU_DEP_2) | instskip(NEXT) | instid1(VALU_DEP_2)
	v_lshlrev_b64 v[21:22], 3, v[21:22]
	v_lshlrev_b64 v[17:18], 3, v[17:18]
	s_delay_alu instid0(VALU_DEP_2) | instskip(NEXT) | instid1(VALU_DEP_3)
	v_add_co_u32 v21, vcc_lo, s16, v21
	v_add_co_ci_u32_e32 v22, vcc_lo, s17, v22, vcc_lo
	s_delay_alu instid0(VALU_DEP_3) | instskip(NEXT) | instid1(VALU_DEP_4)
	v_add_co_u32 v17, vcc_lo, s16, v17
	v_add_co_ci_u32_e32 v18, vcc_lo, s17, v18, vcc_lo
	s_clause 0x1
	global_load_b64 v[23:24], v[21:22], off
	global_load_b64 v[25:26], v[17:18], off
	s_mov_b32 s16, exec_lo
	s_waitcnt vmcnt(0)
	v_cmpx_eq_f64_e32 v[23:24], v[25:26]
	s_cbranch_execz .LBB821_359
; %bb.353:
	v_add_co_u32 v17, vcc_lo, v17, 8
	v_add_co_ci_u32_e32 v18, vcc_lo, 0, v18, vcc_lo
	v_add_co_u32 v21, vcc_lo, v21, 8
	v_add_co_ci_u32_e32 v22, vcc_lo, 0, v22, vcc_lo
	s_add_u32 s4, s14, -1
	s_addc_u32 s5, s15, -1
	s_mov_b64 s[6:7], 0
	s_mov_b32 s17, 0
                                        ; implicit-def: $sgpr26
	s_set_inst_prefetch_distance 0x1
	s_branch .LBB821_356
	.p2align	6
.LBB821_354:                            ;   in Loop: Header=BB821_356 Depth=1
	global_load_b64 v[23:24], v[21:22], off
	global_load_b64 v[25:26], v[17:18], off
	v_add_co_u32 v17, s0, v17, 8
	s_delay_alu instid0(VALU_DEP_1) | instskip(SKIP_1) | instid1(VALU_DEP_1)
	v_add_co_ci_u32_e64 v18, s0, 0, v18, s0
	v_add_co_u32 v21, s0, v21, 8
	v_add_co_ci_u32_e64 v22, s0, 0, v22, s0
	s_add_u32 s6, s6, 1
	s_addc_u32 s7, s7, 0
	s_and_not1_b32 s0, s26, exec_lo
	s_waitcnt vmcnt(0)
	v_cmp_neq_f64_e32 vcc_lo, v[23:24], v[25:26]
	s_and_b32 s26, vcc_lo, exec_lo
	s_delay_alu instid0(SALU_CYCLE_1)
	s_or_b32 s26, s0, s26
.LBB821_355:                            ;   in Loop: Header=BB821_356 Depth=1
	v_dual_mov_b32 v24, s7 :: v_dual_mov_b32 v23, s6
	s_and_b32 s0, exec_lo, s26
	s_delay_alu instid0(SALU_CYCLE_1) | instskip(NEXT) | instid1(SALU_CYCLE_1)
	s_or_b32 s17, s0, s17
	s_and_not1_b32 exec_lo, exec_lo, s17
	s_cbranch_execz .LBB821_358
.LBB821_356:                            ; =>This Inner Loop Header: Depth=1
	s_or_b32 s26, s26, exec_lo
	s_cmp_eq_u64 s[4:5], s[6:7]
	s_cbranch_scc0 .LBB821_354
; %bb.357:                              ;   in Loop: Header=BB821_356 Depth=1
	s_mov_b64 s[6:7], s[14:15]
                                        ; implicit-def: $vgpr17_vgpr18
                                        ; implicit-def: $vgpr21_vgpr22
	s_branch .LBB821_355
.LBB821_358:
	s_set_inst_prefetch_distance 0x2
	s_or_b32 exec_lo, exec_lo, s17
	v_cmp_gt_i64_e32 vcc_lo, s[14:15], v[23:24]
	s_or_not1_b32 s0, vcc_lo, exec_lo
.LBB821_359:
	s_or_b32 exec_lo, exec_lo, s16
.LBB821_360:
	s_delay_alu instid0(SALU_CYCLE_1)
	s_and_b32 s0, s0, exec_lo
.LBB821_361:
	s_or_b32 exec_lo, exec_lo, s3
	s_delay_alu instid0(SALU_CYCLE_1)
	s_and_b32 s0, s0, exec_lo
	s_or_b32 s25, s25, exec_lo
.LBB821_362:
	s_or_b32 exec_lo, exec_lo, s27
.LBB821_363:
	s_and_saveexec_b32 s3, s25
	s_cbranch_execz .LBB821_365
; %bb.364:
	s_waitcnt vmcnt(0) lgkmcnt(0)
	v_and_b32_e32 v17, 0xffffff00, v19
	v_cndmask_b32_e64 v18, 0, 1, s0
	s_delay_alu instid0(VALU_DEP_1) | instskip(NEXT) | instid1(VALU_DEP_1)
	v_or_b32_e32 v17, v18, v17
	v_and_b32_e32 v17, 0xffff, v17
	s_delay_alu instid0(VALU_DEP_1)
	v_and_or_b32 v19, 0xffff0000, v19, v17
.LBB821_365:
	s_or_b32 exec_lo, exec_lo, s3
	s_delay_alu instid0(SALU_CYCLE_1)
	s_and_not1_b32 vcc_lo, exec_lo, s1
	s_cbranch_vccnz .LBB821_367
; %bb.366:
	v_cmp_gt_u32_e32 vcc_lo, s12, v39
	s_waitcnt vmcnt(0) lgkmcnt(0)
	v_or_b32_e32 v18, 1, v39
	v_and_b32_e32 v21, 0xffffff00, v20
	v_or_b32_e32 v22, 2, v39
	v_cndmask_b32_e32 v17, 0, v19, vcc_lo
	s_delay_alu instid0(VALU_DEP_4) | instskip(SKIP_1) | instid1(VALU_DEP_4)
	v_cmp_gt_u32_e32 vcc_lo, s12, v18
	v_or_b32_e32 v18, 4, v39
	v_cmp_gt_u32_e64 s0, s12, v22
	v_or_b32_e32 v22, 3, v39
	v_and_b32_e32 v17, 0xff, v17
	s_delay_alu instid0(VALU_DEP_2) | instskip(NEXT) | instid1(VALU_DEP_2)
	v_cmp_gt_u32_e64 s1, s12, v22
	v_cndmask_b32_e32 v17, v17, v19, vcc_lo
	v_cmp_gt_u32_e32 vcc_lo, s12, v18
	v_cndmask_b32_e32 v18, v21, v20, vcc_lo
	v_or_b32_e32 v21, 5, v39
	s_delay_alu instid0(VALU_DEP_2) | instskip(SKIP_1) | instid1(VALU_DEP_1)
	v_and_b32_e32 v18, 0xffff00ff, v18
	v_and_b32_e32 v17, 0xffff, v17
	v_cndmask_b32_e64 v17, v17, v19, s0
	s_delay_alu instid0(VALU_DEP_4) | instskip(SKIP_1) | instid1(VALU_DEP_3)
	v_cmp_gt_u32_e64 s0, s12, v21
	v_or_b32_e32 v21, 6, v39
	v_and_b32_e32 v17, 0xffffff, v17
	s_delay_alu instid0(VALU_DEP_3) | instskip(NEXT) | instid1(VALU_DEP_2)
	v_cndmask_b32_e64 v18, v18, v20, s0
	v_cndmask_b32_e64 v17, v17, v19, s1
	s_delay_alu instid0(VALU_DEP_1) | instskip(SKIP_2) | instid1(VALU_DEP_3)
	v_dual_cndmask_b32 v17, v17, v19 :: v_dual_and_b32 v18, 0xff00ffff, v18
	v_cmp_gt_u32_e32 vcc_lo, s12, v21
	v_or_b32_e32 v21, 7, v39
	v_cndmask_b32_e64 v17, v17, v19, s0
	s_delay_alu instid0(VALU_DEP_1) | instskip(NEXT) | instid1(VALU_DEP_1)
	v_dual_cndmask_b32 v18, v18, v20 :: v_dual_cndmask_b32 v17, v17, v19
	v_and_b32_e32 v18, 0xffffff, v18
	s_delay_alu instid0(VALU_DEP_4) | instskip(NEXT) | instid1(VALU_DEP_2)
	v_cmp_gt_u32_e32 vcc_lo, s12, v21
	v_dual_cndmask_b32 v20, v18, v20 :: v_dual_cndmask_b32 v19, v17, v19
.LBB821_367:
	s_delay_alu instid0(VALU_DEP_1) | instskip(SKIP_1) | instid1(VALU_DEP_2)
	v_and_b32_e32 v28, 0xff, v19
	s_waitcnt vmcnt(0) lgkmcnt(0)
	v_alignbit_b32 v17, v20, v19, 24
	v_bfe_u32 v30, v19, 8, 8
	v_bfe_u32 v32, v19, 16, 8
	v_and_b32_e32 v36, 0xff, v20
	v_bfe_u32 v38, v20, 8, 8
	v_and_b32_e32 v34, 0xff, v17
	v_add_nc_u32_e32 v17, v30, v28
	v_mbcnt_lo_u32_b32 v42, -1, 0
	v_bfe_u32 v41, v20, 16, 8
	v_lshrrev_b32_e32 v40, 24, v20
	v_lshrrev_b32_e32 v43, 5, v0
	v_add3_u32 v17, v17, v32, v34
	v_and_b32_e32 v18, 15, v42
	v_and_b32_e32 v21, 16, v42
	s_and_b32 vcc_lo, exec_lo, s24
	s_mov_b32 s7, -1
	v_add3_u32 v17, v17, v36, v38
	v_cmp_eq_u32_e64 s3, 0, v18
	v_cmp_lt_u32_e64 s0, 1, v18
	v_cmp_lt_u32_e64 s4, 3, v18
	;; [unrolled: 1-line block ×3, first 2 shown]
	v_add3_u32 v44, v17, v41, v40
	v_or_b32_e32 v17, 31, v0
	v_cmp_eq_u32_e64 s6, 0, v21
	s_barrier
	buffer_gl0_inv
	v_cmp_eq_u32_e64 s5, v17, v0
	s_cbranch_vccz .LBB821_398
; %bb.368:
	v_mov_b32_dpp v17, v44 row_shr:1 row_mask:0xf bank_mask:0xf
	s_delay_alu instid0(VALU_DEP_1) | instskip(NEXT) | instid1(VALU_DEP_1)
	v_cndmask_b32_e64 v17, v17, 0, s3
	v_add_nc_u32_e32 v17, v17, v44
	s_delay_alu instid0(VALU_DEP_1) | instskip(NEXT) | instid1(VALU_DEP_1)
	v_mov_b32_dpp v18, v17 row_shr:2 row_mask:0xf bank_mask:0xf
	v_cndmask_b32_e64 v18, 0, v18, s0
	s_delay_alu instid0(VALU_DEP_1) | instskip(NEXT) | instid1(VALU_DEP_1)
	v_add_nc_u32_e32 v17, v17, v18
	v_mov_b32_dpp v18, v17 row_shr:4 row_mask:0xf bank_mask:0xf
	s_delay_alu instid0(VALU_DEP_1) | instskip(NEXT) | instid1(VALU_DEP_1)
	v_cndmask_b32_e64 v18, 0, v18, s4
	v_add_nc_u32_e32 v17, v17, v18
	s_delay_alu instid0(VALU_DEP_1) | instskip(NEXT) | instid1(VALU_DEP_1)
	v_mov_b32_dpp v18, v17 row_shr:8 row_mask:0xf bank_mask:0xf
	v_cndmask_b32_e64 v18, 0, v18, s1
	s_delay_alu instid0(VALU_DEP_1) | instskip(SKIP_3) | instid1(VALU_DEP_1)
	v_add_nc_u32_e32 v17, v17, v18
	ds_swizzle_b32 v18, v17 offset:swizzle(BROADCAST,32,15)
	s_waitcnt lgkmcnt(0)
	v_cndmask_b32_e64 v18, v18, 0, s6
	v_add_nc_u32_e32 v17, v17, v18
	s_and_saveexec_b32 s7, s5
	s_cbranch_execz .LBB821_370
; %bb.369:
	v_lshlrev_b32_e32 v18, 2, v43
	ds_store_b32 v18, v17
.LBB821_370:
	s_or_b32 exec_lo, exec_lo, s7
	s_delay_alu instid0(SALU_CYCLE_1)
	s_mov_b32 s7, exec_lo
	s_waitcnt lgkmcnt(0)
	s_barrier
	buffer_gl0_inv
	v_cmpx_gt_u32_e32 16, v0
	s_cbranch_execz .LBB821_372
; %bb.371:
	v_lshlrev_b32_e32 v18, 2, v0
	ds_load_b32 v21, v18
	s_waitcnt lgkmcnt(0)
	v_mov_b32_dpp v22, v21 row_shr:1 row_mask:0xf bank_mask:0xf
	s_delay_alu instid0(VALU_DEP_1) | instskip(NEXT) | instid1(VALU_DEP_1)
	v_cndmask_b32_e64 v22, v22, 0, s3
	v_add_nc_u32_e32 v21, v22, v21
	s_delay_alu instid0(VALU_DEP_1) | instskip(NEXT) | instid1(VALU_DEP_1)
	v_mov_b32_dpp v22, v21 row_shr:2 row_mask:0xf bank_mask:0xf
	v_cndmask_b32_e64 v22, 0, v22, s0
	s_delay_alu instid0(VALU_DEP_1) | instskip(NEXT) | instid1(VALU_DEP_1)
	v_add_nc_u32_e32 v21, v21, v22
	v_mov_b32_dpp v22, v21 row_shr:4 row_mask:0xf bank_mask:0xf
	s_delay_alu instid0(VALU_DEP_1) | instskip(NEXT) | instid1(VALU_DEP_1)
	v_cndmask_b32_e64 v22, 0, v22, s4
	v_add_nc_u32_e32 v21, v21, v22
	s_delay_alu instid0(VALU_DEP_1) | instskip(NEXT) | instid1(VALU_DEP_1)
	v_mov_b32_dpp v22, v21 row_shr:8 row_mask:0xf bank_mask:0xf
	v_cndmask_b32_e64 v22, 0, v22, s1
	s_delay_alu instid0(VALU_DEP_1)
	v_add_nc_u32_e32 v21, v21, v22
	ds_store_b32 v18, v21
.LBB821_372:
	s_or_b32 exec_lo, exec_lo, s7
	v_cmp_gt_u32_e32 vcc_lo, 32, v0
	s_mov_b32 s12, exec_lo
	s_waitcnt lgkmcnt(0)
	s_barrier
	buffer_gl0_inv
                                        ; implicit-def: $vgpr27
	v_cmpx_lt_u32_e32 31, v0
	s_cbranch_execz .LBB821_374
; %bb.373:
	v_lshl_add_u32 v18, v43, 2, -4
	ds_load_b32 v27, v18
	s_waitcnt lgkmcnt(0)
	v_add_nc_u32_e32 v17, v27, v17
.LBB821_374:
	s_or_b32 exec_lo, exec_lo, s12
	v_add_nc_u32_e32 v18, -1, v42
	s_delay_alu instid0(VALU_DEP_1) | instskip(NEXT) | instid1(VALU_DEP_1)
	v_cmp_gt_i32_e64 s7, 0, v18
	v_cndmask_b32_e64 v18, v18, v42, s7
	v_cmp_eq_u32_e64 s7, 0, v42
	s_delay_alu instid0(VALU_DEP_2)
	v_lshlrev_b32_e32 v18, 2, v18
	ds_bpermute_b32 v29, v18, v17
	s_and_saveexec_b32 s12, vcc_lo
	s_cbranch_execz .LBB821_397
; %bb.375:
	v_mov_b32_e32 v23, 0
	ds_load_b32 v17, v23 offset:60
	s_and_saveexec_b32 s14, s7
	s_cbranch_execz .LBB821_377
; %bb.376:
	s_add_i32 s16, s23, 32
	s_mov_b32 s17, 0
	v_mov_b32_e32 v18, 1
	s_lshl_b64 s[16:17], s[16:17], 3
	s_delay_alu instid0(SALU_CYCLE_1)
	s_add_u32 s16, s18, s16
	s_addc_u32 s17, s19, s17
	s_waitcnt lgkmcnt(0)
	global_store_b64 v23, v[17:18], s[16:17]
.LBB821_377:
	s_or_b32 exec_lo, exec_lo, s14
	v_xad_u32 v21, v42, -1, s23
	s_mov_b32 s15, 0
	s_mov_b32 s14, exec_lo
	s_delay_alu instid0(VALU_DEP_1) | instskip(NEXT) | instid1(VALU_DEP_1)
	v_add_nc_u32_e32 v22, 32, v21
	v_lshlrev_b64 v[22:23], 3, v[22:23]
	s_delay_alu instid0(VALU_DEP_1) | instskip(NEXT) | instid1(VALU_DEP_2)
	v_add_co_u32 v25, vcc_lo, s18, v22
	v_add_co_ci_u32_e32 v26, vcc_lo, s19, v23, vcc_lo
	global_load_b64 v[23:24], v[25:26], off glc
	s_waitcnt vmcnt(0)
	v_and_b32_e32 v18, 0xff, v24
	s_delay_alu instid0(VALU_DEP_1)
	v_cmpx_eq_u16_e32 0, v18
	s_cbranch_execz .LBB821_383
; %bb.378:
	s_mov_b32 s16, 1
	.p2align	6
.LBB821_379:                            ; =>This Loop Header: Depth=1
                                        ;     Child Loop BB821_380 Depth 2
	s_delay_alu instid0(SALU_CYCLE_1)
	s_max_u32 s17, s16, 1
.LBB821_380:                            ;   Parent Loop BB821_379 Depth=1
                                        ; =>  This Inner Loop Header: Depth=2
	s_delay_alu instid0(SALU_CYCLE_1)
	s_add_i32 s17, s17, -1
	s_sleep 1
	s_cmp_eq_u32 s17, 0
	s_cbranch_scc0 .LBB821_380
; %bb.381:                              ;   in Loop: Header=BB821_379 Depth=1
	global_load_b64 v[23:24], v[25:26], off glc
	s_cmp_lt_u32 s16, 32
	s_cselect_b32 s17, -1, 0
	s_delay_alu instid0(SALU_CYCLE_1) | instskip(SKIP_3) | instid1(VALU_DEP_1)
	s_cmp_lg_u32 s17, 0
	s_addc_u32 s16, s16, 0
	s_waitcnt vmcnt(0)
	v_and_b32_e32 v18, 0xff, v24
	v_cmp_ne_u16_e32 vcc_lo, 0, v18
	s_or_b32 s15, vcc_lo, s15
	s_delay_alu instid0(SALU_CYCLE_1)
	s_and_not1_b32 exec_lo, exec_lo, s15
	s_cbranch_execnz .LBB821_379
; %bb.382:
	s_or_b32 exec_lo, exec_lo, s15
.LBB821_383:
	s_delay_alu instid0(SALU_CYCLE_1)
	s_or_b32 exec_lo, exec_lo, s14
	v_cmp_ne_u32_e32 vcc_lo, 31, v42
	v_and_b32_e32 v22, 0xff, v24
	v_lshlrev_b32_e64 v31, v42, -1
	v_add_nc_u32_e32 v35, 2, v42
	v_add_nc_u32_e32 v45, 4, v42
	v_add_co_ci_u32_e32 v18, vcc_lo, 0, v42, vcc_lo
	v_cmp_eq_u16_e32 vcc_lo, 2, v22
	v_add_nc_u32_e32 v48, 8, v42
	v_add_nc_u32_e32 v50, 16, v42
	v_and_or_b32 v22, vcc_lo, v31, 0x80000000
	v_cmp_gt_u32_e32 vcc_lo, 30, v42
	s_delay_alu instid0(VALU_DEP_2) | instskip(SKIP_1) | instid1(VALU_DEP_2)
	v_ctz_i32_b32_e32 v22, v22
	v_cndmask_b32_e64 v26, 0, 1, vcc_lo
	v_cmp_lt_u32_e32 vcc_lo, v42, v22
	v_lshlrev_b32_e32 v18, 2, v18
	s_delay_alu instid0(VALU_DEP_3)
	v_lshlrev_b32_e32 v26, 1, v26
	ds_bpermute_b32 v25, v18, v23
	v_add_lshl_u32 v33, v26, v42, 2
	s_waitcnt lgkmcnt(0)
	v_cndmask_b32_e32 v25, 0, v25, vcc_lo
	v_cmp_gt_u32_e32 vcc_lo, 28, v42
	s_delay_alu instid0(VALU_DEP_2) | instskip(SKIP_4) | instid1(VALU_DEP_1)
	v_add_nc_u32_e32 v23, v25, v23
	v_cndmask_b32_e64 v26, 0, 1, vcc_lo
	v_cmp_le_u32_e32 vcc_lo, v35, v22
	ds_bpermute_b32 v25, v33, v23
	v_lshlrev_b32_e32 v26, 2, v26
	v_add_lshl_u32 v37, v26, v42, 2
	s_waitcnt lgkmcnt(0)
	v_cndmask_b32_e32 v25, 0, v25, vcc_lo
	v_cmp_gt_u32_e32 vcc_lo, 24, v42
	s_delay_alu instid0(VALU_DEP_2) | instskip(SKIP_4) | instid1(VALU_DEP_1)
	v_add_nc_u32_e32 v23, v23, v25
	v_cndmask_b32_e64 v26, 0, 1, vcc_lo
	v_cmp_le_u32_e32 vcc_lo, v45, v22
	ds_bpermute_b32 v25, v37, v23
	v_lshlrev_b32_e32 v26, 3, v26
	;; [unrolled: 10-line block ×3, first 2 shown]
	v_add_lshl_u32 v49, v26, v42, 2
	s_waitcnt lgkmcnt(0)
	v_cndmask_b32_e32 v25, 0, v25, vcc_lo
	v_cmp_le_u32_e32 vcc_lo, v50, v22
	s_delay_alu instid0(VALU_DEP_2) | instskip(SKIP_3) | instid1(VALU_DEP_1)
	v_add_nc_u32_e32 v23, v23, v25
	ds_bpermute_b32 v25, v49, v23
	s_waitcnt lgkmcnt(0)
	v_cndmask_b32_e32 v22, 0, v25, vcc_lo
	v_dual_mov_b32 v22, 0 :: v_dual_add_nc_u32 v23, v23, v22
	s_branch .LBB821_385
.LBB821_384:                            ;   in Loop: Header=BB821_385 Depth=1
	s_or_b32 exec_lo, exec_lo, s14
	ds_bpermute_b32 v26, v18, v23
	v_and_b32_e32 v25, 0xff, v24
	v_subrev_nc_u32_e32 v21, 32, v21
	s_delay_alu instid0(VALU_DEP_2) | instskip(SKIP_1) | instid1(VALU_DEP_1)
	v_cmp_eq_u16_e32 vcc_lo, 2, v25
	v_and_or_b32 v25, vcc_lo, v31, 0x80000000
	v_ctz_i32_b32_e32 v25, v25
	s_delay_alu instid0(VALU_DEP_1) | instskip(SKIP_3) | instid1(VALU_DEP_2)
	v_cmp_lt_u32_e32 vcc_lo, v42, v25
	s_waitcnt lgkmcnt(0)
	v_cndmask_b32_e32 v26, 0, v26, vcc_lo
	v_cmp_le_u32_e32 vcc_lo, v35, v25
	v_add_nc_u32_e32 v23, v26, v23
	ds_bpermute_b32 v26, v33, v23
	s_waitcnt lgkmcnt(0)
	v_cndmask_b32_e32 v26, 0, v26, vcc_lo
	v_cmp_le_u32_e32 vcc_lo, v45, v25
	s_delay_alu instid0(VALU_DEP_2) | instskip(SKIP_4) | instid1(VALU_DEP_2)
	v_add_nc_u32_e32 v23, v23, v26
	ds_bpermute_b32 v26, v37, v23
	s_waitcnt lgkmcnt(0)
	v_cndmask_b32_e32 v26, 0, v26, vcc_lo
	v_cmp_le_u32_e32 vcc_lo, v48, v25
	v_add_nc_u32_e32 v23, v23, v26
	ds_bpermute_b32 v26, v47, v23
	s_waitcnt lgkmcnt(0)
	v_cndmask_b32_e32 v26, 0, v26, vcc_lo
	v_cmp_le_u32_e32 vcc_lo, v50, v25
	s_delay_alu instid0(VALU_DEP_2) | instskip(SKIP_3) | instid1(VALU_DEP_1)
	v_add_nc_u32_e32 v23, v23, v26
	ds_bpermute_b32 v26, v49, v23
	s_waitcnt lgkmcnt(0)
	v_cndmask_b32_e32 v25, 0, v26, vcc_lo
	v_add3_u32 v23, v25, v46, v23
.LBB821_385:                            ; =>This Loop Header: Depth=1
                                        ;     Child Loop BB821_388 Depth 2
                                        ;       Child Loop BB821_389 Depth 3
	v_and_b32_e32 v24, 0xff, v24
	s_delay_alu instid0(VALU_DEP_2) | instskip(NEXT) | instid1(VALU_DEP_2)
	v_mov_b32_e32 v46, v23
	v_cmp_ne_u16_e32 vcc_lo, 2, v24
	v_cndmask_b32_e64 v24, 0, 1, vcc_lo
	;;#ASMSTART
	;;#ASMEND
	s_delay_alu instid0(VALU_DEP_1)
	v_cmp_ne_u32_e32 vcc_lo, 0, v24
	s_cmp_lg_u32 vcc_lo, exec_lo
	s_cbranch_scc1 .LBB821_392
; %bb.386:                              ;   in Loop: Header=BB821_385 Depth=1
	v_lshlrev_b64 v[23:24], 3, v[21:22]
	s_mov_b32 s14, exec_lo
	s_delay_alu instid0(VALU_DEP_1) | instskip(NEXT) | instid1(VALU_DEP_2)
	v_add_co_u32 v25, vcc_lo, s18, v23
	v_add_co_ci_u32_e32 v26, vcc_lo, s19, v24, vcc_lo
	global_load_b64 v[23:24], v[25:26], off glc
	s_waitcnt vmcnt(0)
	v_and_b32_e32 v51, 0xff, v24
	s_delay_alu instid0(VALU_DEP_1)
	v_cmpx_eq_u16_e32 0, v51
	s_cbranch_execz .LBB821_384
; %bb.387:                              ;   in Loop: Header=BB821_385 Depth=1
	s_mov_b32 s16, 1
	s_mov_b32 s15, 0
	.p2align	6
.LBB821_388:                            ;   Parent Loop BB821_385 Depth=1
                                        ; =>  This Loop Header: Depth=2
                                        ;       Child Loop BB821_389 Depth 3
	s_max_u32 s17, s16, 1
.LBB821_389:                            ;   Parent Loop BB821_385 Depth=1
                                        ;     Parent Loop BB821_388 Depth=2
                                        ; =>    This Inner Loop Header: Depth=3
	s_delay_alu instid0(SALU_CYCLE_1)
	s_add_i32 s17, s17, -1
	s_sleep 1
	s_cmp_eq_u32 s17, 0
	s_cbranch_scc0 .LBB821_389
; %bb.390:                              ;   in Loop: Header=BB821_388 Depth=2
	global_load_b64 v[23:24], v[25:26], off glc
	s_cmp_lt_u32 s16, 32
	s_cselect_b32 s17, -1, 0
	s_delay_alu instid0(SALU_CYCLE_1) | instskip(SKIP_3) | instid1(VALU_DEP_1)
	s_cmp_lg_u32 s17, 0
	s_addc_u32 s16, s16, 0
	s_waitcnt vmcnt(0)
	v_and_b32_e32 v51, 0xff, v24
	v_cmp_ne_u16_e32 vcc_lo, 0, v51
	s_or_b32 s15, vcc_lo, s15
	s_delay_alu instid0(SALU_CYCLE_1)
	s_and_not1_b32 exec_lo, exec_lo, s15
	s_cbranch_execnz .LBB821_388
; %bb.391:                              ;   in Loop: Header=BB821_385 Depth=1
	s_or_b32 exec_lo, exec_lo, s15
	s_branch .LBB821_384
.LBB821_392:                            ;   in Loop: Header=BB821_385 Depth=1
                                        ; implicit-def: $vgpr23
                                        ; implicit-def: $vgpr24
	s_cbranch_execz .LBB821_385
; %bb.393:
	s_and_saveexec_b32 s14, s7
	s_cbranch_execz .LBB821_395
; %bb.394:
	s_add_i32 s16, s23, 32
	s_mov_b32 s17, 0
	v_dual_mov_b32 v22, 2 :: v_dual_add_nc_u32 v21, v46, v17
	s_lshl_b64 s[16:17], s[16:17], 3
	v_mov_b32_e32 v18, 0
	v_add_nc_u32_e64 v23, 0x8400, 0
	s_add_u32 s16, s18, s16
	s_addc_u32 s17, s19, s17
	global_store_b64 v18, v[21:22], s[16:17]
	ds_store_2addr_b32 v23, v17, v46 offset1:2
.LBB821_395:
	s_or_b32 exec_lo, exec_lo, s14
	s_delay_alu instid0(SALU_CYCLE_1)
	s_and_b32 exec_lo, exec_lo, s2
	s_cbranch_execz .LBB821_397
; %bb.396:
	v_mov_b32_e32 v17, 0
	ds_store_b32 v17, v46 offset:60
.LBB821_397:
	s_or_b32 exec_lo, exec_lo, s12
	v_mov_b32_e32 v17, 0
	s_waitcnt lgkmcnt(0)
	s_waitcnt_vscnt null, 0x0
	s_barrier
	buffer_gl0_inv
	v_cndmask_b32_e64 v18, v29, v27, s7
	ds_load_b32 v17, v17 offset:60
	s_waitcnt lgkmcnt(0)
	s_barrier
	buffer_gl0_inv
	v_cndmask_b32_e64 v18, v18, 0, s2
	s_delay_alu instid0(VALU_DEP_1) | instskip(SKIP_1) | instid1(VALU_DEP_2)
	v_add_nc_u32_e32 v37, v17, v18
	v_add_nc_u32_e64 v17, 0x8400, 0
	v_add_nc_u32_e32 v35, v37, v28
	ds_load_2addr_b32 v[17:18], v17 offset1:2
	v_add_nc_u32_e32 v33, v35, v30
	s_delay_alu instid0(VALU_DEP_1) | instskip(NEXT) | instid1(VALU_DEP_1)
	v_add_nc_u32_e32 v31, v33, v32
	v_add_nc_u32_e32 v29, v31, v34
	s_delay_alu instid0(VALU_DEP_1) | instskip(NEXT) | instid1(VALU_DEP_1)
	v_add_nc_u32_e32 v27, v29, v36
	v_add_nc_u32_e32 v25, v27, v38
	s_delay_alu instid0(VALU_DEP_1)
	v_add_nc_u32_e32 v23, v25, v41
	v_lshrrev_b64 v[21:22], 24, v[19:20]
	s_branch .LBB821_408
.LBB821_398:
                                        ; implicit-def: $vgpr23
                                        ; implicit-def: $vgpr25
                                        ; implicit-def: $vgpr27
                                        ; implicit-def: $vgpr29
                                        ; implicit-def: $vgpr31
                                        ; implicit-def: $vgpr33
                                        ; implicit-def: $vgpr35
                                        ; implicit-def: $vgpr37
                                        ; implicit-def: $vgpr18
	v_lshrrev_b64 v[21:22], 24, v[19:20]
	s_and_b32 vcc_lo, exec_lo, s7
	s_cbranch_vccz .LBB821_408
; %bb.399:
	s_waitcnt lgkmcnt(0)
	v_mov_b32_dpp v17, v44 row_shr:1 row_mask:0xf bank_mask:0xf
	s_delay_alu instid0(VALU_DEP_1) | instskip(NEXT) | instid1(VALU_DEP_1)
	v_cndmask_b32_e64 v17, v17, 0, s3
	v_add_nc_u32_e32 v17, v17, v44
	s_delay_alu instid0(VALU_DEP_1) | instskip(NEXT) | instid1(VALU_DEP_1)
	v_mov_b32_dpp v18, v17 row_shr:2 row_mask:0xf bank_mask:0xf
	v_cndmask_b32_e64 v18, 0, v18, s0
	s_delay_alu instid0(VALU_DEP_1) | instskip(NEXT) | instid1(VALU_DEP_1)
	v_add_nc_u32_e32 v17, v17, v18
	v_mov_b32_dpp v18, v17 row_shr:4 row_mask:0xf bank_mask:0xf
	s_delay_alu instid0(VALU_DEP_1) | instskip(NEXT) | instid1(VALU_DEP_1)
	v_cndmask_b32_e64 v18, 0, v18, s4
	v_add_nc_u32_e32 v17, v17, v18
	s_delay_alu instid0(VALU_DEP_1) | instskip(NEXT) | instid1(VALU_DEP_1)
	v_mov_b32_dpp v18, v17 row_shr:8 row_mask:0xf bank_mask:0xf
	v_cndmask_b32_e64 v18, 0, v18, s1
	s_delay_alu instid0(VALU_DEP_1) | instskip(SKIP_3) | instid1(VALU_DEP_1)
	v_add_nc_u32_e32 v17, v17, v18
	ds_swizzle_b32 v18, v17 offset:swizzle(BROADCAST,32,15)
	s_waitcnt lgkmcnt(0)
	v_cndmask_b32_e64 v18, v18, 0, s6
	v_add_nc_u32_e32 v17, v17, v18
	s_and_saveexec_b32 s6, s5
	s_cbranch_execz .LBB821_401
; %bb.400:
	v_lshlrev_b32_e32 v18, 2, v43
	ds_store_b32 v18, v17
.LBB821_401:
	s_or_b32 exec_lo, exec_lo, s6
	s_delay_alu instid0(SALU_CYCLE_1)
	s_mov_b32 s5, exec_lo
	s_waitcnt lgkmcnt(0)
	s_barrier
	buffer_gl0_inv
	v_cmpx_gt_u32_e32 16, v0
	s_cbranch_execz .LBB821_403
; %bb.402:
	v_lshlrev_b32_e32 v18, 2, v0
	ds_load_b32 v22, v18
	s_waitcnt lgkmcnt(0)
	v_mov_b32_dpp v23, v22 row_shr:1 row_mask:0xf bank_mask:0xf
	s_delay_alu instid0(VALU_DEP_1) | instskip(NEXT) | instid1(VALU_DEP_1)
	v_cndmask_b32_e64 v23, v23, 0, s3
	v_add_nc_u32_e32 v22, v23, v22
	s_delay_alu instid0(VALU_DEP_1) | instskip(NEXT) | instid1(VALU_DEP_1)
	v_mov_b32_dpp v23, v22 row_shr:2 row_mask:0xf bank_mask:0xf
	v_cndmask_b32_e64 v23, 0, v23, s0
	s_delay_alu instid0(VALU_DEP_1) | instskip(NEXT) | instid1(VALU_DEP_1)
	v_add_nc_u32_e32 v22, v22, v23
	v_mov_b32_dpp v23, v22 row_shr:4 row_mask:0xf bank_mask:0xf
	s_delay_alu instid0(VALU_DEP_1) | instskip(NEXT) | instid1(VALU_DEP_1)
	v_cndmask_b32_e64 v23, 0, v23, s4
	v_add_nc_u32_e32 v22, v22, v23
	s_delay_alu instid0(VALU_DEP_1) | instskip(NEXT) | instid1(VALU_DEP_1)
	v_mov_b32_dpp v23, v22 row_shr:8 row_mask:0xf bank_mask:0xf
	v_cndmask_b32_e64 v23, 0, v23, s1
	s_delay_alu instid0(VALU_DEP_1)
	v_add_nc_u32_e32 v22, v22, v23
	ds_store_b32 v18, v22
.LBB821_403:
	s_or_b32 exec_lo, exec_lo, s5
	v_mov_b32_e32 v18, 0
	v_mov_b32_e32 v22, 0
	s_mov_b32 s0, exec_lo
	s_waitcnt lgkmcnt(0)
	s_barrier
	buffer_gl0_inv
	v_cmpx_lt_u32_e32 31, v0
	s_cbranch_execz .LBB821_405
; %bb.404:
	v_lshl_add_u32 v22, v43, 2, -4
	ds_load_b32 v22, v22
.LBB821_405:
	s_or_b32 exec_lo, exec_lo, s0
	v_add_nc_u32_e32 v23, -1, v42
	s_waitcnt lgkmcnt(0)
	v_add_nc_u32_e32 v17, v22, v17
	s_delay_alu instid0(VALU_DEP_2) | instskip(SKIP_1) | instid1(VALU_DEP_1)
	v_cmp_gt_i32_e32 vcc_lo, 0, v23
	v_cndmask_b32_e32 v23, v23, v42, vcc_lo
	v_lshlrev_b32_e32 v23, 2, v23
	ds_bpermute_b32 v23, v23, v17
	ds_load_b32 v17, v18 offset:60
	s_and_saveexec_b32 s0, s2
	s_cbranch_execz .LBB821_407
; %bb.406:
	v_mov_b32_e32 v24, 0
	v_mov_b32_e32 v18, 2
	s_waitcnt lgkmcnt(0)
	global_store_b64 v24, v[17:18], s[18:19] offset:256
.LBB821_407:
	s_or_b32 exec_lo, exec_lo, s0
	v_cmp_eq_u32_e32 vcc_lo, 0, v42
	s_waitcnt lgkmcnt(0)
	s_waitcnt_vscnt null, 0x0
	s_barrier
	buffer_gl0_inv
	v_cndmask_b32_e32 v18, v23, v22, vcc_lo
	s_delay_alu instid0(VALU_DEP_1) | instskip(NEXT) | instid1(VALU_DEP_1)
	v_cndmask_b32_e64 v37, v18, 0, s2
	v_dual_mov_b32 v18, 0 :: v_dual_add_nc_u32 v35, v37, v28
	s_delay_alu instid0(VALU_DEP_1) | instskip(NEXT) | instid1(VALU_DEP_1)
	v_add_nc_u32_e32 v33, v35, v30
	v_add_nc_u32_e32 v31, v33, v32
	s_delay_alu instid0(VALU_DEP_1) | instskip(NEXT) | instid1(VALU_DEP_1)
	v_add_nc_u32_e32 v29, v31, v34
	v_add_nc_u32_e32 v27, v29, v36
	s_delay_alu instid0(VALU_DEP_1) | instskip(NEXT) | instid1(VALU_DEP_1)
	v_add_nc_u32_e32 v25, v27, v38
	v_add_nc_u32_e32 v23, v25, v41
.LBB821_408:
	s_waitcnt lgkmcnt(0)
	v_cmp_gt_u32_e32 vcc_lo, 0x201, v17
	v_lshrrev_b32_e32 v43, 8, v19
	v_lshrrev_b32_e32 v42, 16, v19
	;; [unrolled: 1-line block ×4, first 2 shown]
	s_mov_b32 s0, -1
	s_cbranch_vccnz .LBB821_412
; %bb.409:
	s_and_b32 vcc_lo, exec_lo, s0
	s_cbranch_vccnz .LBB821_437
.LBB821_410:
	s_and_b32 s0, s2, s13
	s_delay_alu instid0(SALU_CYCLE_1)
	s_and_saveexec_b32 s1, s0
	s_cbranch_execnz .LBB821_457
.LBB821_411:
	s_nop 0
	s_sendmsg sendmsg(MSG_DEALLOC_VGPRS)
	s_endpgm
.LBB821_412:
	v_add_nc_u32_e32 v24, v18, v17
	s_delay_alu instid0(VALU_DEP_1) | instskip(SKIP_1) | instid1(SALU_CYCLE_1)
	v_cmp_lt_u32_e32 vcc_lo, v37, v24
	s_or_b32 s1, s22, vcc_lo
	s_and_saveexec_b32 s0, s1
	s_cbranch_execz .LBB821_415
; %bb.413:
	v_and_b32_e32 v26, 1, v19
	s_delay_alu instid0(VALU_DEP_1)
	v_cmp_eq_u32_e32 vcc_lo, 1, v26
	s_and_b32 exec_lo, exec_lo, vcc_lo
	s_cbranch_execz .LBB821_415
; %bb.414:
	v_mov_b32_e32 v38, 0
	s_lshl_b64 s[4:5], s[10:11], 3
	s_delay_alu instid0(SALU_CYCLE_1) | instskip(SKIP_1) | instid1(VALU_DEP_1)
	s_add_u32 s1, s20, s4
	s_addc_u32 s3, s21, s5
	v_lshlrev_b64 v[44:45], 3, v[37:38]
	s_delay_alu instid0(VALU_DEP_1) | instskip(NEXT) | instid1(VALU_DEP_2)
	v_add_co_u32 v44, vcc_lo, s1, v44
	v_add_co_ci_u32_e32 v45, vcc_lo, s3, v45, vcc_lo
	global_store_b64 v[44:45], v[13:14], off
.LBB821_415:
	s_or_b32 exec_lo, exec_lo, s0
	v_cmp_lt_u32_e32 vcc_lo, v35, v24
	s_or_b32 s1, s22, vcc_lo
	s_delay_alu instid0(SALU_CYCLE_1)
	s_and_saveexec_b32 s0, s1
	s_cbranch_execz .LBB821_418
; %bb.416:
	v_and_b32_e32 v26, 1, v43
	s_delay_alu instid0(VALU_DEP_1)
	v_cmp_eq_u32_e32 vcc_lo, 1, v26
	s_and_b32 exec_lo, exec_lo, vcc_lo
	s_cbranch_execz .LBB821_418
; %bb.417:
	v_mov_b32_e32 v36, 0
	s_lshl_b64 s[4:5], s[10:11], 3
	s_delay_alu instid0(SALU_CYCLE_1) | instskip(SKIP_1) | instid1(VALU_DEP_1)
	s_add_u32 s1, s20, s4
	s_addc_u32 s3, s21, s5
	v_lshlrev_b64 v[44:45], 3, v[35:36]
	s_delay_alu instid0(VALU_DEP_1) | instskip(NEXT) | instid1(VALU_DEP_2)
	v_add_co_u32 v44, vcc_lo, s1, v44
	v_add_co_ci_u32_e32 v45, vcc_lo, s3, v45, vcc_lo
	global_store_b64 v[44:45], v[15:16], off
.LBB821_418:
	s_or_b32 exec_lo, exec_lo, s0
	v_cmp_lt_u32_e32 vcc_lo, v33, v24
	s_or_b32 s1, s22, vcc_lo
	s_delay_alu instid0(SALU_CYCLE_1)
	;; [unrolled: 24-line block ×7, first 2 shown]
	s_and_saveexec_b32 s0, s1
	s_cbranch_execz .LBB821_436
; %bb.434:
	v_and_b32_e32 v24, 1, v40
	s_delay_alu instid0(VALU_DEP_1)
	v_cmp_eq_u32_e32 vcc_lo, 1, v24
	s_and_b32 exec_lo, exec_lo, vcc_lo
	s_cbranch_execz .LBB821_436
; %bb.435:
	v_mov_b32_e32 v24, 0
	s_lshl_b64 s[4:5], s[10:11], 3
	s_delay_alu instid0(SALU_CYCLE_1) | instskip(SKIP_1) | instid1(VALU_DEP_1)
	s_add_u32 s1, s20, s4
	s_addc_u32 s3, s21, s5
	v_lshlrev_b64 v[44:45], 3, v[23:24]
	s_delay_alu instid0(VALU_DEP_1) | instskip(NEXT) | instid1(VALU_DEP_2)
	v_add_co_u32 v44, vcc_lo, s1, v44
	v_add_co_ci_u32_e32 v45, vcc_lo, s3, v45, vcc_lo
	global_store_b64 v[44:45], v[3:4], off
.LBB821_436:
	s_or_b32 exec_lo, exec_lo, s0
	s_branch .LBB821_410
.LBB821_437:
	v_and_b32_e32 v19, 1, v19
	s_mov_b32 s0, exec_lo
	s_delay_alu instid0(VALU_DEP_1)
	v_cmpx_eq_u32_e32 1, v19
	s_cbranch_execz .LBB821_439
; %bb.438:
	v_sub_nc_u32_e32 v19, v37, v18
	s_delay_alu instid0(VALU_DEP_1)
	v_lshlrev_b32_e32 v19, 3, v19
	ds_store_b64 v19, v[13:14]
.LBB821_439:
	s_or_b32 exec_lo, exec_lo, s0
	v_and_b32_e32 v13, 1, v43
	s_mov_b32 s0, exec_lo
	s_delay_alu instid0(VALU_DEP_1)
	v_cmpx_eq_u32_e32 1, v13
	s_cbranch_execz .LBB821_441
; %bb.440:
	v_sub_nc_u32_e32 v13, v35, v18
	s_delay_alu instid0(VALU_DEP_1)
	v_lshlrev_b32_e32 v13, 3, v13
	ds_store_b64 v13, v[15:16]
.LBB821_441:
	s_or_b32 exec_lo, exec_lo, s0
	v_and_b32_e32 v13, 1, v42
	s_mov_b32 s0, exec_lo
	s_delay_alu instid0(VALU_DEP_1)
	v_cmpx_eq_u32_e32 1, v13
	s_cbranch_execz .LBB821_443
; %bb.442:
	v_sub_nc_u32_e32 v13, v33, v18
	s_delay_alu instid0(VALU_DEP_1)
	v_lshlrev_b32_e32 v13, 3, v13
	ds_store_b64 v13, v[9:10]
.LBB821_443:
	s_or_b32 exec_lo, exec_lo, s0
	v_and_b32_e32 v9, 1, v21
	s_mov_b32 s0, exec_lo
	s_delay_alu instid0(VALU_DEP_1)
	v_cmpx_eq_u32_e32 1, v9
	s_cbranch_execz .LBB821_445
; %bb.444:
	v_sub_nc_u32_e32 v9, v31, v18
	s_delay_alu instid0(VALU_DEP_1)
	v_lshlrev_b32_e32 v9, 3, v9
	ds_store_b64 v9, v[11:12]
.LBB821_445:
	s_or_b32 exec_lo, exec_lo, s0
	v_and_b32_e32 v9, 1, v20
	s_mov_b32 s0, exec_lo
	s_delay_alu instid0(VALU_DEP_1)
	v_cmpx_eq_u32_e32 1, v9
	s_cbranch_execz .LBB821_447
; %bb.446:
	v_sub_nc_u32_e32 v9, v29, v18
	s_delay_alu instid0(VALU_DEP_1)
	v_lshlrev_b32_e32 v9, 3, v9
	ds_store_b64 v9, v[5:6]
.LBB821_447:
	s_or_b32 exec_lo, exec_lo, s0
	v_and_b32_e32 v5, 1, v41
	s_mov_b32 s0, exec_lo
	s_delay_alu instid0(VALU_DEP_1)
	v_cmpx_eq_u32_e32 1, v5
	s_cbranch_execz .LBB821_449
; %bb.448:
	v_sub_nc_u32_e32 v5, v27, v18
	s_delay_alu instid0(VALU_DEP_1)
	v_lshlrev_b32_e32 v5, 3, v5
	ds_store_b64 v5, v[7:8]
.LBB821_449:
	s_or_b32 exec_lo, exec_lo, s0
	v_and_b32_e32 v5, 1, v22
	s_mov_b32 s0, exec_lo
	s_delay_alu instid0(VALU_DEP_1)
	v_cmpx_eq_u32_e32 1, v5
	s_cbranch_execz .LBB821_451
; %bb.450:
	v_sub_nc_u32_e32 v5, v25, v18
	s_delay_alu instid0(VALU_DEP_1)
	v_lshlrev_b32_e32 v5, 3, v5
	ds_store_b64 v5, v[1:2]
.LBB821_451:
	s_or_b32 exec_lo, exec_lo, s0
	v_and_b32_e32 v1, 1, v40
	s_mov_b32 s0, exec_lo
	s_delay_alu instid0(VALU_DEP_1)
	v_cmpx_eq_u32_e32 1, v1
	s_cbranch_execz .LBB821_453
; %bb.452:
	v_sub_nc_u32_e32 v1, v23, v18
	s_delay_alu instid0(VALU_DEP_1)
	v_lshlrev_b32_e32 v1, 3, v1
	ds_store_b64 v1, v[3:4]
.LBB821_453:
	s_or_b32 exec_lo, exec_lo, s0
	s_delay_alu instid0(SALU_CYCLE_1)
	s_mov_b32 s1, exec_lo
	s_waitcnt lgkmcnt(0)
	s_waitcnt_vscnt null, 0x0
	s_barrier
	buffer_gl0_inv
	v_cmpx_lt_u32_e64 v0, v17
	s_cbranch_execz .LBB821_456
; %bb.454:
	v_dual_mov_b32 v2, 0 :: v_dual_mov_b32 v1, v18
	s_lshl_b64 s[4:5], s[10:11], 3
	s_mov_b32 s3, 0
	s_delay_alu instid0(VALU_DEP_1) | instskip(NEXT) | instid1(VALU_DEP_1)
	v_lshlrev_b64 v[1:2], 3, v[1:2]
	v_add_co_u32 v1, vcc_lo, s4, v1
	s_delay_alu instid0(VALU_DEP_2) | instskip(NEXT) | instid1(VALU_DEP_2)
	v_add_co_ci_u32_e32 v2, vcc_lo, s5, v2, vcc_lo
	v_add_co_u32 v1, vcc_lo, s20, v1
	s_delay_alu instid0(VALU_DEP_2) | instskip(NEXT) | instid1(VALU_DEP_2)
	v_add_co_ci_u32_e32 v2, vcc_lo, s21, v2, vcc_lo
	v_add_co_u32 v1, vcc_lo, v1, v39
	s_delay_alu instid0(VALU_DEP_2)
	v_add_co_ci_u32_e32 v2, vcc_lo, 0, v2, vcc_lo
	.p2align	6
.LBB821_455:                            ; =>This Inner Loop Header: Depth=1
	ds_load_b64 v[3:4], v39
	v_add_nc_u32_e32 v0, 0x200, v0
	v_add_nc_u32_e32 v39, 0x1000, v39
	s_delay_alu instid0(VALU_DEP_2) | instskip(SKIP_4) | instid1(VALU_DEP_1)
	v_cmp_ge_u32_e32 vcc_lo, v0, v17
	s_or_b32 s3, vcc_lo, s3
	s_waitcnt lgkmcnt(0)
	global_store_b64 v[1:2], v[3:4], off
	v_add_co_u32 v1, s0, 0x1000, v1
	v_add_co_ci_u32_e64 v2, s0, 0, v2, s0
	s_and_not1_b32 exec_lo, exec_lo, s3
	s_cbranch_execnz .LBB821_455
.LBB821_456:
	s_or_b32 exec_lo, exec_lo, s1
	s_and_b32 s0, s2, s13
	s_delay_alu instid0(SALU_CYCLE_1)
	s_and_saveexec_b32 s1, s0
	s_cbranch_execz .LBB821_411
.LBB821_457:
	v_add_co_u32 v0, s0, s10, v17
	s_delay_alu instid0(VALU_DEP_1) | instskip(SKIP_1) | instid1(VALU_DEP_3)
	v_add_co_ci_u32_e64 v1, null, s11, 0, s0
	v_mov_b32_e32 v2, 0
	v_add_co_u32 v0, vcc_lo, v0, v18
	s_delay_alu instid0(VALU_DEP_3)
	v_add_co_ci_u32_e32 v1, vcc_lo, 0, v1, vcc_lo
	global_store_b64 v2, v[0:1], s[8:9]
	s_nop 0
	s_sendmsg sendmsg(MSG_DEALLOC_VGPRS)
	s_endpgm
	.section	.rodata,"a",@progbits
	.p2align	6, 0x0
	.amdhsa_kernel _ZN7rocprim17ROCPRIM_400000_NS6detail17trampoline_kernelINS0_14default_configENS1_25partition_config_selectorILNS1_17partition_subalgoE8ElNS0_10empty_typeEbEEZZNS1_14partition_implILS5_8ELb0ES3_jPlPS6_PKS6_NS0_5tupleIJS9_S6_EEENSD_IJSA_SA_EEENS0_18inequality_wrapperIZN2at6native12_GLOBAL__N_124unique_dim_cuda_templateIdEESt5tupleIJNSH_6TensorESM_SM_EERKSM_lbbbEUlllE0_EEPmJS6_EEE10hipError_tPvRmT3_T4_T5_T6_T7_T9_mT8_P12ihipStream_tbDpT10_ENKUlT_T0_E_clISt17integral_constantIbLb1EES1C_EEDaS17_S18_EUlS17_E_NS1_11comp_targetILNS1_3genE9ELNS1_11target_archE1100ELNS1_3gpuE3ELNS1_3repE0EEENS1_30default_config_static_selectorELNS0_4arch9wavefront6targetE0EEEvT1_
		.amdhsa_group_segment_fixed_size 33804
		.amdhsa_private_segment_fixed_size 0
		.amdhsa_kernarg_size 136
		.amdhsa_user_sgpr_count 15
		.amdhsa_user_sgpr_dispatch_ptr 0
		.amdhsa_user_sgpr_queue_ptr 0
		.amdhsa_user_sgpr_kernarg_segment_ptr 1
		.amdhsa_user_sgpr_dispatch_id 0
		.amdhsa_user_sgpr_private_segment_size 0
		.amdhsa_wavefront_size32 1
		.amdhsa_uses_dynamic_stack 0
		.amdhsa_enable_private_segment 0
		.amdhsa_system_sgpr_workgroup_id_x 1
		.amdhsa_system_sgpr_workgroup_id_y 0
		.amdhsa_system_sgpr_workgroup_id_z 0
		.amdhsa_system_sgpr_workgroup_info 0
		.amdhsa_system_vgpr_workitem_id 0
		.amdhsa_next_free_vgpr 52
		.amdhsa_next_free_sgpr 38
		.amdhsa_reserve_vcc 1
		.amdhsa_float_round_mode_32 0
		.amdhsa_float_round_mode_16_64 0
		.amdhsa_float_denorm_mode_32 3
		.amdhsa_float_denorm_mode_16_64 3
		.amdhsa_dx10_clamp 1
		.amdhsa_ieee_mode 1
		.amdhsa_fp16_overflow 0
		.amdhsa_workgroup_processor_mode 1
		.amdhsa_memory_ordered 1
		.amdhsa_forward_progress 0
		.amdhsa_shared_vgpr_count 0
		.amdhsa_exception_fp_ieee_invalid_op 0
		.amdhsa_exception_fp_denorm_src 0
		.amdhsa_exception_fp_ieee_div_zero 0
		.amdhsa_exception_fp_ieee_overflow 0
		.amdhsa_exception_fp_ieee_underflow 0
		.amdhsa_exception_fp_ieee_inexact 0
		.amdhsa_exception_int_div_zero 0
	.end_amdhsa_kernel
	.section	.text._ZN7rocprim17ROCPRIM_400000_NS6detail17trampoline_kernelINS0_14default_configENS1_25partition_config_selectorILNS1_17partition_subalgoE8ElNS0_10empty_typeEbEEZZNS1_14partition_implILS5_8ELb0ES3_jPlPS6_PKS6_NS0_5tupleIJS9_S6_EEENSD_IJSA_SA_EEENS0_18inequality_wrapperIZN2at6native12_GLOBAL__N_124unique_dim_cuda_templateIdEESt5tupleIJNSH_6TensorESM_SM_EERKSM_lbbbEUlllE0_EEPmJS6_EEE10hipError_tPvRmT3_T4_T5_T6_T7_T9_mT8_P12ihipStream_tbDpT10_ENKUlT_T0_E_clISt17integral_constantIbLb1EES1C_EEDaS17_S18_EUlS17_E_NS1_11comp_targetILNS1_3genE9ELNS1_11target_archE1100ELNS1_3gpuE3ELNS1_3repE0EEENS1_30default_config_static_selectorELNS0_4arch9wavefront6targetE0EEEvT1_,"axG",@progbits,_ZN7rocprim17ROCPRIM_400000_NS6detail17trampoline_kernelINS0_14default_configENS1_25partition_config_selectorILNS1_17partition_subalgoE8ElNS0_10empty_typeEbEEZZNS1_14partition_implILS5_8ELb0ES3_jPlPS6_PKS6_NS0_5tupleIJS9_S6_EEENSD_IJSA_SA_EEENS0_18inequality_wrapperIZN2at6native12_GLOBAL__N_124unique_dim_cuda_templateIdEESt5tupleIJNSH_6TensorESM_SM_EERKSM_lbbbEUlllE0_EEPmJS6_EEE10hipError_tPvRmT3_T4_T5_T6_T7_T9_mT8_P12ihipStream_tbDpT10_ENKUlT_T0_E_clISt17integral_constantIbLb1EES1C_EEDaS17_S18_EUlS17_E_NS1_11comp_targetILNS1_3genE9ELNS1_11target_archE1100ELNS1_3gpuE3ELNS1_3repE0EEENS1_30default_config_static_selectorELNS0_4arch9wavefront6targetE0EEEvT1_,comdat
.Lfunc_end821:
	.size	_ZN7rocprim17ROCPRIM_400000_NS6detail17trampoline_kernelINS0_14default_configENS1_25partition_config_selectorILNS1_17partition_subalgoE8ElNS0_10empty_typeEbEEZZNS1_14partition_implILS5_8ELb0ES3_jPlPS6_PKS6_NS0_5tupleIJS9_S6_EEENSD_IJSA_SA_EEENS0_18inequality_wrapperIZN2at6native12_GLOBAL__N_124unique_dim_cuda_templateIdEESt5tupleIJNSH_6TensorESM_SM_EERKSM_lbbbEUlllE0_EEPmJS6_EEE10hipError_tPvRmT3_T4_T5_T6_T7_T9_mT8_P12ihipStream_tbDpT10_ENKUlT_T0_E_clISt17integral_constantIbLb1EES1C_EEDaS17_S18_EUlS17_E_NS1_11comp_targetILNS1_3genE9ELNS1_11target_archE1100ELNS1_3gpuE3ELNS1_3repE0EEENS1_30default_config_static_selectorELNS0_4arch9wavefront6targetE0EEEvT1_, .Lfunc_end821-_ZN7rocprim17ROCPRIM_400000_NS6detail17trampoline_kernelINS0_14default_configENS1_25partition_config_selectorILNS1_17partition_subalgoE8ElNS0_10empty_typeEbEEZZNS1_14partition_implILS5_8ELb0ES3_jPlPS6_PKS6_NS0_5tupleIJS9_S6_EEENSD_IJSA_SA_EEENS0_18inequality_wrapperIZN2at6native12_GLOBAL__N_124unique_dim_cuda_templateIdEESt5tupleIJNSH_6TensorESM_SM_EERKSM_lbbbEUlllE0_EEPmJS6_EEE10hipError_tPvRmT3_T4_T5_T6_T7_T9_mT8_P12ihipStream_tbDpT10_ENKUlT_T0_E_clISt17integral_constantIbLb1EES1C_EEDaS17_S18_EUlS17_E_NS1_11comp_targetILNS1_3genE9ELNS1_11target_archE1100ELNS1_3gpuE3ELNS1_3repE0EEENS1_30default_config_static_selectorELNS0_4arch9wavefront6targetE0EEEvT1_
                                        ; -- End function
	.section	.AMDGPU.csdata,"",@progbits
; Kernel info:
; codeLenInByte = 18520
; NumSgprs: 40
; NumVgprs: 52
; ScratchSize: 0
; MemoryBound: 1
; FloatMode: 240
; IeeeMode: 1
; LDSByteSize: 33804 bytes/workgroup (compile time only)
; SGPRBlocks: 4
; VGPRBlocks: 6
; NumSGPRsForWavesPerEU: 40
; NumVGPRsForWavesPerEU: 52
; Occupancy: 12
; WaveLimiterHint : 1
; COMPUTE_PGM_RSRC2:SCRATCH_EN: 0
; COMPUTE_PGM_RSRC2:USER_SGPR: 15
; COMPUTE_PGM_RSRC2:TRAP_HANDLER: 0
; COMPUTE_PGM_RSRC2:TGID_X_EN: 1
; COMPUTE_PGM_RSRC2:TGID_Y_EN: 0
; COMPUTE_PGM_RSRC2:TGID_Z_EN: 0
; COMPUTE_PGM_RSRC2:TIDIG_COMP_CNT: 0
	.section	.text._ZN7rocprim17ROCPRIM_400000_NS6detail17trampoline_kernelINS0_14default_configENS1_25partition_config_selectorILNS1_17partition_subalgoE8ElNS0_10empty_typeEbEEZZNS1_14partition_implILS5_8ELb0ES3_jPlPS6_PKS6_NS0_5tupleIJS9_S6_EEENSD_IJSA_SA_EEENS0_18inequality_wrapperIZN2at6native12_GLOBAL__N_124unique_dim_cuda_templateIdEESt5tupleIJNSH_6TensorESM_SM_EERKSM_lbbbEUlllE0_EEPmJS6_EEE10hipError_tPvRmT3_T4_T5_T6_T7_T9_mT8_P12ihipStream_tbDpT10_ENKUlT_T0_E_clISt17integral_constantIbLb1EES1C_EEDaS17_S18_EUlS17_E_NS1_11comp_targetILNS1_3genE8ELNS1_11target_archE1030ELNS1_3gpuE2ELNS1_3repE0EEENS1_30default_config_static_selectorELNS0_4arch9wavefront6targetE0EEEvT1_,"axG",@progbits,_ZN7rocprim17ROCPRIM_400000_NS6detail17trampoline_kernelINS0_14default_configENS1_25partition_config_selectorILNS1_17partition_subalgoE8ElNS0_10empty_typeEbEEZZNS1_14partition_implILS5_8ELb0ES3_jPlPS6_PKS6_NS0_5tupleIJS9_S6_EEENSD_IJSA_SA_EEENS0_18inequality_wrapperIZN2at6native12_GLOBAL__N_124unique_dim_cuda_templateIdEESt5tupleIJNSH_6TensorESM_SM_EERKSM_lbbbEUlllE0_EEPmJS6_EEE10hipError_tPvRmT3_T4_T5_T6_T7_T9_mT8_P12ihipStream_tbDpT10_ENKUlT_T0_E_clISt17integral_constantIbLb1EES1C_EEDaS17_S18_EUlS17_E_NS1_11comp_targetILNS1_3genE8ELNS1_11target_archE1030ELNS1_3gpuE2ELNS1_3repE0EEENS1_30default_config_static_selectorELNS0_4arch9wavefront6targetE0EEEvT1_,comdat
	.globl	_ZN7rocprim17ROCPRIM_400000_NS6detail17trampoline_kernelINS0_14default_configENS1_25partition_config_selectorILNS1_17partition_subalgoE8ElNS0_10empty_typeEbEEZZNS1_14partition_implILS5_8ELb0ES3_jPlPS6_PKS6_NS0_5tupleIJS9_S6_EEENSD_IJSA_SA_EEENS0_18inequality_wrapperIZN2at6native12_GLOBAL__N_124unique_dim_cuda_templateIdEESt5tupleIJNSH_6TensorESM_SM_EERKSM_lbbbEUlllE0_EEPmJS6_EEE10hipError_tPvRmT3_T4_T5_T6_T7_T9_mT8_P12ihipStream_tbDpT10_ENKUlT_T0_E_clISt17integral_constantIbLb1EES1C_EEDaS17_S18_EUlS17_E_NS1_11comp_targetILNS1_3genE8ELNS1_11target_archE1030ELNS1_3gpuE2ELNS1_3repE0EEENS1_30default_config_static_selectorELNS0_4arch9wavefront6targetE0EEEvT1_ ; -- Begin function _ZN7rocprim17ROCPRIM_400000_NS6detail17trampoline_kernelINS0_14default_configENS1_25partition_config_selectorILNS1_17partition_subalgoE8ElNS0_10empty_typeEbEEZZNS1_14partition_implILS5_8ELb0ES3_jPlPS6_PKS6_NS0_5tupleIJS9_S6_EEENSD_IJSA_SA_EEENS0_18inequality_wrapperIZN2at6native12_GLOBAL__N_124unique_dim_cuda_templateIdEESt5tupleIJNSH_6TensorESM_SM_EERKSM_lbbbEUlllE0_EEPmJS6_EEE10hipError_tPvRmT3_T4_T5_T6_T7_T9_mT8_P12ihipStream_tbDpT10_ENKUlT_T0_E_clISt17integral_constantIbLb1EES1C_EEDaS17_S18_EUlS17_E_NS1_11comp_targetILNS1_3genE8ELNS1_11target_archE1030ELNS1_3gpuE2ELNS1_3repE0EEENS1_30default_config_static_selectorELNS0_4arch9wavefront6targetE0EEEvT1_
	.p2align	8
	.type	_ZN7rocprim17ROCPRIM_400000_NS6detail17trampoline_kernelINS0_14default_configENS1_25partition_config_selectorILNS1_17partition_subalgoE8ElNS0_10empty_typeEbEEZZNS1_14partition_implILS5_8ELb0ES3_jPlPS6_PKS6_NS0_5tupleIJS9_S6_EEENSD_IJSA_SA_EEENS0_18inequality_wrapperIZN2at6native12_GLOBAL__N_124unique_dim_cuda_templateIdEESt5tupleIJNSH_6TensorESM_SM_EERKSM_lbbbEUlllE0_EEPmJS6_EEE10hipError_tPvRmT3_T4_T5_T6_T7_T9_mT8_P12ihipStream_tbDpT10_ENKUlT_T0_E_clISt17integral_constantIbLb1EES1C_EEDaS17_S18_EUlS17_E_NS1_11comp_targetILNS1_3genE8ELNS1_11target_archE1030ELNS1_3gpuE2ELNS1_3repE0EEENS1_30default_config_static_selectorELNS0_4arch9wavefront6targetE0EEEvT1_,@function
_ZN7rocprim17ROCPRIM_400000_NS6detail17trampoline_kernelINS0_14default_configENS1_25partition_config_selectorILNS1_17partition_subalgoE8ElNS0_10empty_typeEbEEZZNS1_14partition_implILS5_8ELb0ES3_jPlPS6_PKS6_NS0_5tupleIJS9_S6_EEENSD_IJSA_SA_EEENS0_18inequality_wrapperIZN2at6native12_GLOBAL__N_124unique_dim_cuda_templateIdEESt5tupleIJNSH_6TensorESM_SM_EERKSM_lbbbEUlllE0_EEPmJS6_EEE10hipError_tPvRmT3_T4_T5_T6_T7_T9_mT8_P12ihipStream_tbDpT10_ENKUlT_T0_E_clISt17integral_constantIbLb1EES1C_EEDaS17_S18_EUlS17_E_NS1_11comp_targetILNS1_3genE8ELNS1_11target_archE1030ELNS1_3gpuE2ELNS1_3repE0EEENS1_30default_config_static_selectorELNS0_4arch9wavefront6targetE0EEEvT1_: ; @_ZN7rocprim17ROCPRIM_400000_NS6detail17trampoline_kernelINS0_14default_configENS1_25partition_config_selectorILNS1_17partition_subalgoE8ElNS0_10empty_typeEbEEZZNS1_14partition_implILS5_8ELb0ES3_jPlPS6_PKS6_NS0_5tupleIJS9_S6_EEENSD_IJSA_SA_EEENS0_18inequality_wrapperIZN2at6native12_GLOBAL__N_124unique_dim_cuda_templateIdEESt5tupleIJNSH_6TensorESM_SM_EERKSM_lbbbEUlllE0_EEPmJS6_EEE10hipError_tPvRmT3_T4_T5_T6_T7_T9_mT8_P12ihipStream_tbDpT10_ENKUlT_T0_E_clISt17integral_constantIbLb1EES1C_EEDaS17_S18_EUlS17_E_NS1_11comp_targetILNS1_3genE8ELNS1_11target_archE1030ELNS1_3gpuE2ELNS1_3repE0EEENS1_30default_config_static_selectorELNS0_4arch9wavefront6targetE0EEEvT1_
; %bb.0:
	.section	.rodata,"a",@progbits
	.p2align	6, 0x0
	.amdhsa_kernel _ZN7rocprim17ROCPRIM_400000_NS6detail17trampoline_kernelINS0_14default_configENS1_25partition_config_selectorILNS1_17partition_subalgoE8ElNS0_10empty_typeEbEEZZNS1_14partition_implILS5_8ELb0ES3_jPlPS6_PKS6_NS0_5tupleIJS9_S6_EEENSD_IJSA_SA_EEENS0_18inequality_wrapperIZN2at6native12_GLOBAL__N_124unique_dim_cuda_templateIdEESt5tupleIJNSH_6TensorESM_SM_EERKSM_lbbbEUlllE0_EEPmJS6_EEE10hipError_tPvRmT3_T4_T5_T6_T7_T9_mT8_P12ihipStream_tbDpT10_ENKUlT_T0_E_clISt17integral_constantIbLb1EES1C_EEDaS17_S18_EUlS17_E_NS1_11comp_targetILNS1_3genE8ELNS1_11target_archE1030ELNS1_3gpuE2ELNS1_3repE0EEENS1_30default_config_static_selectorELNS0_4arch9wavefront6targetE0EEEvT1_
		.amdhsa_group_segment_fixed_size 0
		.amdhsa_private_segment_fixed_size 0
		.amdhsa_kernarg_size 136
		.amdhsa_user_sgpr_count 15
		.amdhsa_user_sgpr_dispatch_ptr 0
		.amdhsa_user_sgpr_queue_ptr 0
		.amdhsa_user_sgpr_kernarg_segment_ptr 1
		.amdhsa_user_sgpr_dispatch_id 0
		.amdhsa_user_sgpr_private_segment_size 0
		.amdhsa_wavefront_size32 1
		.amdhsa_uses_dynamic_stack 0
		.amdhsa_enable_private_segment 0
		.amdhsa_system_sgpr_workgroup_id_x 1
		.amdhsa_system_sgpr_workgroup_id_y 0
		.amdhsa_system_sgpr_workgroup_id_z 0
		.amdhsa_system_sgpr_workgroup_info 0
		.amdhsa_system_vgpr_workitem_id 0
		.amdhsa_next_free_vgpr 1
		.amdhsa_next_free_sgpr 1
		.amdhsa_reserve_vcc 0
		.amdhsa_float_round_mode_32 0
		.amdhsa_float_round_mode_16_64 0
		.amdhsa_float_denorm_mode_32 3
		.amdhsa_float_denorm_mode_16_64 3
		.amdhsa_dx10_clamp 1
		.amdhsa_ieee_mode 1
		.amdhsa_fp16_overflow 0
		.amdhsa_workgroup_processor_mode 1
		.amdhsa_memory_ordered 1
		.amdhsa_forward_progress 0
		.amdhsa_shared_vgpr_count 0
		.amdhsa_exception_fp_ieee_invalid_op 0
		.amdhsa_exception_fp_denorm_src 0
		.amdhsa_exception_fp_ieee_div_zero 0
		.amdhsa_exception_fp_ieee_overflow 0
		.amdhsa_exception_fp_ieee_underflow 0
		.amdhsa_exception_fp_ieee_inexact 0
		.amdhsa_exception_int_div_zero 0
	.end_amdhsa_kernel
	.section	.text._ZN7rocprim17ROCPRIM_400000_NS6detail17trampoline_kernelINS0_14default_configENS1_25partition_config_selectorILNS1_17partition_subalgoE8ElNS0_10empty_typeEbEEZZNS1_14partition_implILS5_8ELb0ES3_jPlPS6_PKS6_NS0_5tupleIJS9_S6_EEENSD_IJSA_SA_EEENS0_18inequality_wrapperIZN2at6native12_GLOBAL__N_124unique_dim_cuda_templateIdEESt5tupleIJNSH_6TensorESM_SM_EERKSM_lbbbEUlllE0_EEPmJS6_EEE10hipError_tPvRmT3_T4_T5_T6_T7_T9_mT8_P12ihipStream_tbDpT10_ENKUlT_T0_E_clISt17integral_constantIbLb1EES1C_EEDaS17_S18_EUlS17_E_NS1_11comp_targetILNS1_3genE8ELNS1_11target_archE1030ELNS1_3gpuE2ELNS1_3repE0EEENS1_30default_config_static_selectorELNS0_4arch9wavefront6targetE0EEEvT1_,"axG",@progbits,_ZN7rocprim17ROCPRIM_400000_NS6detail17trampoline_kernelINS0_14default_configENS1_25partition_config_selectorILNS1_17partition_subalgoE8ElNS0_10empty_typeEbEEZZNS1_14partition_implILS5_8ELb0ES3_jPlPS6_PKS6_NS0_5tupleIJS9_S6_EEENSD_IJSA_SA_EEENS0_18inequality_wrapperIZN2at6native12_GLOBAL__N_124unique_dim_cuda_templateIdEESt5tupleIJNSH_6TensorESM_SM_EERKSM_lbbbEUlllE0_EEPmJS6_EEE10hipError_tPvRmT3_T4_T5_T6_T7_T9_mT8_P12ihipStream_tbDpT10_ENKUlT_T0_E_clISt17integral_constantIbLb1EES1C_EEDaS17_S18_EUlS17_E_NS1_11comp_targetILNS1_3genE8ELNS1_11target_archE1030ELNS1_3gpuE2ELNS1_3repE0EEENS1_30default_config_static_selectorELNS0_4arch9wavefront6targetE0EEEvT1_,comdat
.Lfunc_end822:
	.size	_ZN7rocprim17ROCPRIM_400000_NS6detail17trampoline_kernelINS0_14default_configENS1_25partition_config_selectorILNS1_17partition_subalgoE8ElNS0_10empty_typeEbEEZZNS1_14partition_implILS5_8ELb0ES3_jPlPS6_PKS6_NS0_5tupleIJS9_S6_EEENSD_IJSA_SA_EEENS0_18inequality_wrapperIZN2at6native12_GLOBAL__N_124unique_dim_cuda_templateIdEESt5tupleIJNSH_6TensorESM_SM_EERKSM_lbbbEUlllE0_EEPmJS6_EEE10hipError_tPvRmT3_T4_T5_T6_T7_T9_mT8_P12ihipStream_tbDpT10_ENKUlT_T0_E_clISt17integral_constantIbLb1EES1C_EEDaS17_S18_EUlS17_E_NS1_11comp_targetILNS1_3genE8ELNS1_11target_archE1030ELNS1_3gpuE2ELNS1_3repE0EEENS1_30default_config_static_selectorELNS0_4arch9wavefront6targetE0EEEvT1_, .Lfunc_end822-_ZN7rocprim17ROCPRIM_400000_NS6detail17trampoline_kernelINS0_14default_configENS1_25partition_config_selectorILNS1_17partition_subalgoE8ElNS0_10empty_typeEbEEZZNS1_14partition_implILS5_8ELb0ES3_jPlPS6_PKS6_NS0_5tupleIJS9_S6_EEENSD_IJSA_SA_EEENS0_18inequality_wrapperIZN2at6native12_GLOBAL__N_124unique_dim_cuda_templateIdEESt5tupleIJNSH_6TensorESM_SM_EERKSM_lbbbEUlllE0_EEPmJS6_EEE10hipError_tPvRmT3_T4_T5_T6_T7_T9_mT8_P12ihipStream_tbDpT10_ENKUlT_T0_E_clISt17integral_constantIbLb1EES1C_EEDaS17_S18_EUlS17_E_NS1_11comp_targetILNS1_3genE8ELNS1_11target_archE1030ELNS1_3gpuE2ELNS1_3repE0EEENS1_30default_config_static_selectorELNS0_4arch9wavefront6targetE0EEEvT1_
                                        ; -- End function
	.section	.AMDGPU.csdata,"",@progbits
; Kernel info:
; codeLenInByte = 0
; NumSgprs: 0
; NumVgprs: 0
; ScratchSize: 0
; MemoryBound: 0
; FloatMode: 240
; IeeeMode: 1
; LDSByteSize: 0 bytes/workgroup (compile time only)
; SGPRBlocks: 0
; VGPRBlocks: 0
; NumSGPRsForWavesPerEU: 1
; NumVGPRsForWavesPerEU: 1
; Occupancy: 16
; WaveLimiterHint : 0
; COMPUTE_PGM_RSRC2:SCRATCH_EN: 0
; COMPUTE_PGM_RSRC2:USER_SGPR: 15
; COMPUTE_PGM_RSRC2:TRAP_HANDLER: 0
; COMPUTE_PGM_RSRC2:TGID_X_EN: 1
; COMPUTE_PGM_RSRC2:TGID_Y_EN: 0
; COMPUTE_PGM_RSRC2:TGID_Z_EN: 0
; COMPUTE_PGM_RSRC2:TIDIG_COMP_CNT: 0
	.section	.text._ZN7rocprim17ROCPRIM_400000_NS6detail17trampoline_kernelINS0_14default_configENS1_25partition_config_selectorILNS1_17partition_subalgoE8ElNS0_10empty_typeEbEEZZNS1_14partition_implILS5_8ELb0ES3_jPlPS6_PKS6_NS0_5tupleIJS9_S6_EEENSD_IJSA_SA_EEENS0_18inequality_wrapperIZN2at6native12_GLOBAL__N_124unique_dim_cuda_templateIdEESt5tupleIJNSH_6TensorESM_SM_EERKSM_lbbbEUlllE0_EEPmJS6_EEE10hipError_tPvRmT3_T4_T5_T6_T7_T9_mT8_P12ihipStream_tbDpT10_ENKUlT_T0_E_clISt17integral_constantIbLb1EES1B_IbLb0EEEEDaS17_S18_EUlS17_E_NS1_11comp_targetILNS1_3genE0ELNS1_11target_archE4294967295ELNS1_3gpuE0ELNS1_3repE0EEENS1_30default_config_static_selectorELNS0_4arch9wavefront6targetE0EEEvT1_,"axG",@progbits,_ZN7rocprim17ROCPRIM_400000_NS6detail17trampoline_kernelINS0_14default_configENS1_25partition_config_selectorILNS1_17partition_subalgoE8ElNS0_10empty_typeEbEEZZNS1_14partition_implILS5_8ELb0ES3_jPlPS6_PKS6_NS0_5tupleIJS9_S6_EEENSD_IJSA_SA_EEENS0_18inequality_wrapperIZN2at6native12_GLOBAL__N_124unique_dim_cuda_templateIdEESt5tupleIJNSH_6TensorESM_SM_EERKSM_lbbbEUlllE0_EEPmJS6_EEE10hipError_tPvRmT3_T4_T5_T6_T7_T9_mT8_P12ihipStream_tbDpT10_ENKUlT_T0_E_clISt17integral_constantIbLb1EES1B_IbLb0EEEEDaS17_S18_EUlS17_E_NS1_11comp_targetILNS1_3genE0ELNS1_11target_archE4294967295ELNS1_3gpuE0ELNS1_3repE0EEENS1_30default_config_static_selectorELNS0_4arch9wavefront6targetE0EEEvT1_,comdat
	.globl	_ZN7rocprim17ROCPRIM_400000_NS6detail17trampoline_kernelINS0_14default_configENS1_25partition_config_selectorILNS1_17partition_subalgoE8ElNS0_10empty_typeEbEEZZNS1_14partition_implILS5_8ELb0ES3_jPlPS6_PKS6_NS0_5tupleIJS9_S6_EEENSD_IJSA_SA_EEENS0_18inequality_wrapperIZN2at6native12_GLOBAL__N_124unique_dim_cuda_templateIdEESt5tupleIJNSH_6TensorESM_SM_EERKSM_lbbbEUlllE0_EEPmJS6_EEE10hipError_tPvRmT3_T4_T5_T6_T7_T9_mT8_P12ihipStream_tbDpT10_ENKUlT_T0_E_clISt17integral_constantIbLb1EES1B_IbLb0EEEEDaS17_S18_EUlS17_E_NS1_11comp_targetILNS1_3genE0ELNS1_11target_archE4294967295ELNS1_3gpuE0ELNS1_3repE0EEENS1_30default_config_static_selectorELNS0_4arch9wavefront6targetE0EEEvT1_ ; -- Begin function _ZN7rocprim17ROCPRIM_400000_NS6detail17trampoline_kernelINS0_14default_configENS1_25partition_config_selectorILNS1_17partition_subalgoE8ElNS0_10empty_typeEbEEZZNS1_14partition_implILS5_8ELb0ES3_jPlPS6_PKS6_NS0_5tupleIJS9_S6_EEENSD_IJSA_SA_EEENS0_18inequality_wrapperIZN2at6native12_GLOBAL__N_124unique_dim_cuda_templateIdEESt5tupleIJNSH_6TensorESM_SM_EERKSM_lbbbEUlllE0_EEPmJS6_EEE10hipError_tPvRmT3_T4_T5_T6_T7_T9_mT8_P12ihipStream_tbDpT10_ENKUlT_T0_E_clISt17integral_constantIbLb1EES1B_IbLb0EEEEDaS17_S18_EUlS17_E_NS1_11comp_targetILNS1_3genE0ELNS1_11target_archE4294967295ELNS1_3gpuE0ELNS1_3repE0EEENS1_30default_config_static_selectorELNS0_4arch9wavefront6targetE0EEEvT1_
	.p2align	8
	.type	_ZN7rocprim17ROCPRIM_400000_NS6detail17trampoline_kernelINS0_14default_configENS1_25partition_config_selectorILNS1_17partition_subalgoE8ElNS0_10empty_typeEbEEZZNS1_14partition_implILS5_8ELb0ES3_jPlPS6_PKS6_NS0_5tupleIJS9_S6_EEENSD_IJSA_SA_EEENS0_18inequality_wrapperIZN2at6native12_GLOBAL__N_124unique_dim_cuda_templateIdEESt5tupleIJNSH_6TensorESM_SM_EERKSM_lbbbEUlllE0_EEPmJS6_EEE10hipError_tPvRmT3_T4_T5_T6_T7_T9_mT8_P12ihipStream_tbDpT10_ENKUlT_T0_E_clISt17integral_constantIbLb1EES1B_IbLb0EEEEDaS17_S18_EUlS17_E_NS1_11comp_targetILNS1_3genE0ELNS1_11target_archE4294967295ELNS1_3gpuE0ELNS1_3repE0EEENS1_30default_config_static_selectorELNS0_4arch9wavefront6targetE0EEEvT1_,@function
_ZN7rocprim17ROCPRIM_400000_NS6detail17trampoline_kernelINS0_14default_configENS1_25partition_config_selectorILNS1_17partition_subalgoE8ElNS0_10empty_typeEbEEZZNS1_14partition_implILS5_8ELb0ES3_jPlPS6_PKS6_NS0_5tupleIJS9_S6_EEENSD_IJSA_SA_EEENS0_18inequality_wrapperIZN2at6native12_GLOBAL__N_124unique_dim_cuda_templateIdEESt5tupleIJNSH_6TensorESM_SM_EERKSM_lbbbEUlllE0_EEPmJS6_EEE10hipError_tPvRmT3_T4_T5_T6_T7_T9_mT8_P12ihipStream_tbDpT10_ENKUlT_T0_E_clISt17integral_constantIbLb1EES1B_IbLb0EEEEDaS17_S18_EUlS17_E_NS1_11comp_targetILNS1_3genE0ELNS1_11target_archE4294967295ELNS1_3gpuE0ELNS1_3repE0EEENS1_30default_config_static_selectorELNS0_4arch9wavefront6targetE0EEEvT1_: ; @_ZN7rocprim17ROCPRIM_400000_NS6detail17trampoline_kernelINS0_14default_configENS1_25partition_config_selectorILNS1_17partition_subalgoE8ElNS0_10empty_typeEbEEZZNS1_14partition_implILS5_8ELb0ES3_jPlPS6_PKS6_NS0_5tupleIJS9_S6_EEENSD_IJSA_SA_EEENS0_18inequality_wrapperIZN2at6native12_GLOBAL__N_124unique_dim_cuda_templateIdEESt5tupleIJNSH_6TensorESM_SM_EERKSM_lbbbEUlllE0_EEPmJS6_EEE10hipError_tPvRmT3_T4_T5_T6_T7_T9_mT8_P12ihipStream_tbDpT10_ENKUlT_T0_E_clISt17integral_constantIbLb1EES1B_IbLb0EEEEDaS17_S18_EUlS17_E_NS1_11comp_targetILNS1_3genE0ELNS1_11target_archE4294967295ELNS1_3gpuE0ELNS1_3repE0EEENS1_30default_config_static_selectorELNS0_4arch9wavefront6targetE0EEEvT1_
; %bb.0:
	.section	.rodata,"a",@progbits
	.p2align	6, 0x0
	.amdhsa_kernel _ZN7rocprim17ROCPRIM_400000_NS6detail17trampoline_kernelINS0_14default_configENS1_25partition_config_selectorILNS1_17partition_subalgoE8ElNS0_10empty_typeEbEEZZNS1_14partition_implILS5_8ELb0ES3_jPlPS6_PKS6_NS0_5tupleIJS9_S6_EEENSD_IJSA_SA_EEENS0_18inequality_wrapperIZN2at6native12_GLOBAL__N_124unique_dim_cuda_templateIdEESt5tupleIJNSH_6TensorESM_SM_EERKSM_lbbbEUlllE0_EEPmJS6_EEE10hipError_tPvRmT3_T4_T5_T6_T7_T9_mT8_P12ihipStream_tbDpT10_ENKUlT_T0_E_clISt17integral_constantIbLb1EES1B_IbLb0EEEEDaS17_S18_EUlS17_E_NS1_11comp_targetILNS1_3genE0ELNS1_11target_archE4294967295ELNS1_3gpuE0ELNS1_3repE0EEENS1_30default_config_static_selectorELNS0_4arch9wavefront6targetE0EEEvT1_
		.amdhsa_group_segment_fixed_size 0
		.amdhsa_private_segment_fixed_size 0
		.amdhsa_kernarg_size 120
		.amdhsa_user_sgpr_count 15
		.amdhsa_user_sgpr_dispatch_ptr 0
		.amdhsa_user_sgpr_queue_ptr 0
		.amdhsa_user_sgpr_kernarg_segment_ptr 1
		.amdhsa_user_sgpr_dispatch_id 0
		.amdhsa_user_sgpr_private_segment_size 0
		.amdhsa_wavefront_size32 1
		.amdhsa_uses_dynamic_stack 0
		.amdhsa_enable_private_segment 0
		.amdhsa_system_sgpr_workgroup_id_x 1
		.amdhsa_system_sgpr_workgroup_id_y 0
		.amdhsa_system_sgpr_workgroup_id_z 0
		.amdhsa_system_sgpr_workgroup_info 0
		.amdhsa_system_vgpr_workitem_id 0
		.amdhsa_next_free_vgpr 1
		.amdhsa_next_free_sgpr 1
		.amdhsa_reserve_vcc 0
		.amdhsa_float_round_mode_32 0
		.amdhsa_float_round_mode_16_64 0
		.amdhsa_float_denorm_mode_32 3
		.amdhsa_float_denorm_mode_16_64 3
		.amdhsa_dx10_clamp 1
		.amdhsa_ieee_mode 1
		.amdhsa_fp16_overflow 0
		.amdhsa_workgroup_processor_mode 1
		.amdhsa_memory_ordered 1
		.amdhsa_forward_progress 0
		.amdhsa_shared_vgpr_count 0
		.amdhsa_exception_fp_ieee_invalid_op 0
		.amdhsa_exception_fp_denorm_src 0
		.amdhsa_exception_fp_ieee_div_zero 0
		.amdhsa_exception_fp_ieee_overflow 0
		.amdhsa_exception_fp_ieee_underflow 0
		.amdhsa_exception_fp_ieee_inexact 0
		.amdhsa_exception_int_div_zero 0
	.end_amdhsa_kernel
	.section	.text._ZN7rocprim17ROCPRIM_400000_NS6detail17trampoline_kernelINS0_14default_configENS1_25partition_config_selectorILNS1_17partition_subalgoE8ElNS0_10empty_typeEbEEZZNS1_14partition_implILS5_8ELb0ES3_jPlPS6_PKS6_NS0_5tupleIJS9_S6_EEENSD_IJSA_SA_EEENS0_18inequality_wrapperIZN2at6native12_GLOBAL__N_124unique_dim_cuda_templateIdEESt5tupleIJNSH_6TensorESM_SM_EERKSM_lbbbEUlllE0_EEPmJS6_EEE10hipError_tPvRmT3_T4_T5_T6_T7_T9_mT8_P12ihipStream_tbDpT10_ENKUlT_T0_E_clISt17integral_constantIbLb1EES1B_IbLb0EEEEDaS17_S18_EUlS17_E_NS1_11comp_targetILNS1_3genE0ELNS1_11target_archE4294967295ELNS1_3gpuE0ELNS1_3repE0EEENS1_30default_config_static_selectorELNS0_4arch9wavefront6targetE0EEEvT1_,"axG",@progbits,_ZN7rocprim17ROCPRIM_400000_NS6detail17trampoline_kernelINS0_14default_configENS1_25partition_config_selectorILNS1_17partition_subalgoE8ElNS0_10empty_typeEbEEZZNS1_14partition_implILS5_8ELb0ES3_jPlPS6_PKS6_NS0_5tupleIJS9_S6_EEENSD_IJSA_SA_EEENS0_18inequality_wrapperIZN2at6native12_GLOBAL__N_124unique_dim_cuda_templateIdEESt5tupleIJNSH_6TensorESM_SM_EERKSM_lbbbEUlllE0_EEPmJS6_EEE10hipError_tPvRmT3_T4_T5_T6_T7_T9_mT8_P12ihipStream_tbDpT10_ENKUlT_T0_E_clISt17integral_constantIbLb1EES1B_IbLb0EEEEDaS17_S18_EUlS17_E_NS1_11comp_targetILNS1_3genE0ELNS1_11target_archE4294967295ELNS1_3gpuE0ELNS1_3repE0EEENS1_30default_config_static_selectorELNS0_4arch9wavefront6targetE0EEEvT1_,comdat
.Lfunc_end823:
	.size	_ZN7rocprim17ROCPRIM_400000_NS6detail17trampoline_kernelINS0_14default_configENS1_25partition_config_selectorILNS1_17partition_subalgoE8ElNS0_10empty_typeEbEEZZNS1_14partition_implILS5_8ELb0ES3_jPlPS6_PKS6_NS0_5tupleIJS9_S6_EEENSD_IJSA_SA_EEENS0_18inequality_wrapperIZN2at6native12_GLOBAL__N_124unique_dim_cuda_templateIdEESt5tupleIJNSH_6TensorESM_SM_EERKSM_lbbbEUlllE0_EEPmJS6_EEE10hipError_tPvRmT3_T4_T5_T6_T7_T9_mT8_P12ihipStream_tbDpT10_ENKUlT_T0_E_clISt17integral_constantIbLb1EES1B_IbLb0EEEEDaS17_S18_EUlS17_E_NS1_11comp_targetILNS1_3genE0ELNS1_11target_archE4294967295ELNS1_3gpuE0ELNS1_3repE0EEENS1_30default_config_static_selectorELNS0_4arch9wavefront6targetE0EEEvT1_, .Lfunc_end823-_ZN7rocprim17ROCPRIM_400000_NS6detail17trampoline_kernelINS0_14default_configENS1_25partition_config_selectorILNS1_17partition_subalgoE8ElNS0_10empty_typeEbEEZZNS1_14partition_implILS5_8ELb0ES3_jPlPS6_PKS6_NS0_5tupleIJS9_S6_EEENSD_IJSA_SA_EEENS0_18inequality_wrapperIZN2at6native12_GLOBAL__N_124unique_dim_cuda_templateIdEESt5tupleIJNSH_6TensorESM_SM_EERKSM_lbbbEUlllE0_EEPmJS6_EEE10hipError_tPvRmT3_T4_T5_T6_T7_T9_mT8_P12ihipStream_tbDpT10_ENKUlT_T0_E_clISt17integral_constantIbLb1EES1B_IbLb0EEEEDaS17_S18_EUlS17_E_NS1_11comp_targetILNS1_3genE0ELNS1_11target_archE4294967295ELNS1_3gpuE0ELNS1_3repE0EEENS1_30default_config_static_selectorELNS0_4arch9wavefront6targetE0EEEvT1_
                                        ; -- End function
	.section	.AMDGPU.csdata,"",@progbits
; Kernel info:
; codeLenInByte = 0
; NumSgprs: 0
; NumVgprs: 0
; ScratchSize: 0
; MemoryBound: 0
; FloatMode: 240
; IeeeMode: 1
; LDSByteSize: 0 bytes/workgroup (compile time only)
; SGPRBlocks: 0
; VGPRBlocks: 0
; NumSGPRsForWavesPerEU: 1
; NumVGPRsForWavesPerEU: 1
; Occupancy: 16
; WaveLimiterHint : 0
; COMPUTE_PGM_RSRC2:SCRATCH_EN: 0
; COMPUTE_PGM_RSRC2:USER_SGPR: 15
; COMPUTE_PGM_RSRC2:TRAP_HANDLER: 0
; COMPUTE_PGM_RSRC2:TGID_X_EN: 1
; COMPUTE_PGM_RSRC2:TGID_Y_EN: 0
; COMPUTE_PGM_RSRC2:TGID_Z_EN: 0
; COMPUTE_PGM_RSRC2:TIDIG_COMP_CNT: 0
	.section	.text._ZN7rocprim17ROCPRIM_400000_NS6detail17trampoline_kernelINS0_14default_configENS1_25partition_config_selectorILNS1_17partition_subalgoE8ElNS0_10empty_typeEbEEZZNS1_14partition_implILS5_8ELb0ES3_jPlPS6_PKS6_NS0_5tupleIJS9_S6_EEENSD_IJSA_SA_EEENS0_18inequality_wrapperIZN2at6native12_GLOBAL__N_124unique_dim_cuda_templateIdEESt5tupleIJNSH_6TensorESM_SM_EERKSM_lbbbEUlllE0_EEPmJS6_EEE10hipError_tPvRmT3_T4_T5_T6_T7_T9_mT8_P12ihipStream_tbDpT10_ENKUlT_T0_E_clISt17integral_constantIbLb1EES1B_IbLb0EEEEDaS17_S18_EUlS17_E_NS1_11comp_targetILNS1_3genE5ELNS1_11target_archE942ELNS1_3gpuE9ELNS1_3repE0EEENS1_30default_config_static_selectorELNS0_4arch9wavefront6targetE0EEEvT1_,"axG",@progbits,_ZN7rocprim17ROCPRIM_400000_NS6detail17trampoline_kernelINS0_14default_configENS1_25partition_config_selectorILNS1_17partition_subalgoE8ElNS0_10empty_typeEbEEZZNS1_14partition_implILS5_8ELb0ES3_jPlPS6_PKS6_NS0_5tupleIJS9_S6_EEENSD_IJSA_SA_EEENS0_18inequality_wrapperIZN2at6native12_GLOBAL__N_124unique_dim_cuda_templateIdEESt5tupleIJNSH_6TensorESM_SM_EERKSM_lbbbEUlllE0_EEPmJS6_EEE10hipError_tPvRmT3_T4_T5_T6_T7_T9_mT8_P12ihipStream_tbDpT10_ENKUlT_T0_E_clISt17integral_constantIbLb1EES1B_IbLb0EEEEDaS17_S18_EUlS17_E_NS1_11comp_targetILNS1_3genE5ELNS1_11target_archE942ELNS1_3gpuE9ELNS1_3repE0EEENS1_30default_config_static_selectorELNS0_4arch9wavefront6targetE0EEEvT1_,comdat
	.globl	_ZN7rocprim17ROCPRIM_400000_NS6detail17trampoline_kernelINS0_14default_configENS1_25partition_config_selectorILNS1_17partition_subalgoE8ElNS0_10empty_typeEbEEZZNS1_14partition_implILS5_8ELb0ES3_jPlPS6_PKS6_NS0_5tupleIJS9_S6_EEENSD_IJSA_SA_EEENS0_18inequality_wrapperIZN2at6native12_GLOBAL__N_124unique_dim_cuda_templateIdEESt5tupleIJNSH_6TensorESM_SM_EERKSM_lbbbEUlllE0_EEPmJS6_EEE10hipError_tPvRmT3_T4_T5_T6_T7_T9_mT8_P12ihipStream_tbDpT10_ENKUlT_T0_E_clISt17integral_constantIbLb1EES1B_IbLb0EEEEDaS17_S18_EUlS17_E_NS1_11comp_targetILNS1_3genE5ELNS1_11target_archE942ELNS1_3gpuE9ELNS1_3repE0EEENS1_30default_config_static_selectorELNS0_4arch9wavefront6targetE0EEEvT1_ ; -- Begin function _ZN7rocprim17ROCPRIM_400000_NS6detail17trampoline_kernelINS0_14default_configENS1_25partition_config_selectorILNS1_17partition_subalgoE8ElNS0_10empty_typeEbEEZZNS1_14partition_implILS5_8ELb0ES3_jPlPS6_PKS6_NS0_5tupleIJS9_S6_EEENSD_IJSA_SA_EEENS0_18inequality_wrapperIZN2at6native12_GLOBAL__N_124unique_dim_cuda_templateIdEESt5tupleIJNSH_6TensorESM_SM_EERKSM_lbbbEUlllE0_EEPmJS6_EEE10hipError_tPvRmT3_T4_T5_T6_T7_T9_mT8_P12ihipStream_tbDpT10_ENKUlT_T0_E_clISt17integral_constantIbLb1EES1B_IbLb0EEEEDaS17_S18_EUlS17_E_NS1_11comp_targetILNS1_3genE5ELNS1_11target_archE942ELNS1_3gpuE9ELNS1_3repE0EEENS1_30default_config_static_selectorELNS0_4arch9wavefront6targetE0EEEvT1_
	.p2align	8
	.type	_ZN7rocprim17ROCPRIM_400000_NS6detail17trampoline_kernelINS0_14default_configENS1_25partition_config_selectorILNS1_17partition_subalgoE8ElNS0_10empty_typeEbEEZZNS1_14partition_implILS5_8ELb0ES3_jPlPS6_PKS6_NS0_5tupleIJS9_S6_EEENSD_IJSA_SA_EEENS0_18inequality_wrapperIZN2at6native12_GLOBAL__N_124unique_dim_cuda_templateIdEESt5tupleIJNSH_6TensorESM_SM_EERKSM_lbbbEUlllE0_EEPmJS6_EEE10hipError_tPvRmT3_T4_T5_T6_T7_T9_mT8_P12ihipStream_tbDpT10_ENKUlT_T0_E_clISt17integral_constantIbLb1EES1B_IbLb0EEEEDaS17_S18_EUlS17_E_NS1_11comp_targetILNS1_3genE5ELNS1_11target_archE942ELNS1_3gpuE9ELNS1_3repE0EEENS1_30default_config_static_selectorELNS0_4arch9wavefront6targetE0EEEvT1_,@function
_ZN7rocprim17ROCPRIM_400000_NS6detail17trampoline_kernelINS0_14default_configENS1_25partition_config_selectorILNS1_17partition_subalgoE8ElNS0_10empty_typeEbEEZZNS1_14partition_implILS5_8ELb0ES3_jPlPS6_PKS6_NS0_5tupleIJS9_S6_EEENSD_IJSA_SA_EEENS0_18inequality_wrapperIZN2at6native12_GLOBAL__N_124unique_dim_cuda_templateIdEESt5tupleIJNSH_6TensorESM_SM_EERKSM_lbbbEUlllE0_EEPmJS6_EEE10hipError_tPvRmT3_T4_T5_T6_T7_T9_mT8_P12ihipStream_tbDpT10_ENKUlT_T0_E_clISt17integral_constantIbLb1EES1B_IbLb0EEEEDaS17_S18_EUlS17_E_NS1_11comp_targetILNS1_3genE5ELNS1_11target_archE942ELNS1_3gpuE9ELNS1_3repE0EEENS1_30default_config_static_selectorELNS0_4arch9wavefront6targetE0EEEvT1_: ; @_ZN7rocprim17ROCPRIM_400000_NS6detail17trampoline_kernelINS0_14default_configENS1_25partition_config_selectorILNS1_17partition_subalgoE8ElNS0_10empty_typeEbEEZZNS1_14partition_implILS5_8ELb0ES3_jPlPS6_PKS6_NS0_5tupleIJS9_S6_EEENSD_IJSA_SA_EEENS0_18inequality_wrapperIZN2at6native12_GLOBAL__N_124unique_dim_cuda_templateIdEESt5tupleIJNSH_6TensorESM_SM_EERKSM_lbbbEUlllE0_EEPmJS6_EEE10hipError_tPvRmT3_T4_T5_T6_T7_T9_mT8_P12ihipStream_tbDpT10_ENKUlT_T0_E_clISt17integral_constantIbLb1EES1B_IbLb0EEEEDaS17_S18_EUlS17_E_NS1_11comp_targetILNS1_3genE5ELNS1_11target_archE942ELNS1_3gpuE9ELNS1_3repE0EEENS1_30default_config_static_selectorELNS0_4arch9wavefront6targetE0EEEvT1_
; %bb.0:
	.section	.rodata,"a",@progbits
	.p2align	6, 0x0
	.amdhsa_kernel _ZN7rocprim17ROCPRIM_400000_NS6detail17trampoline_kernelINS0_14default_configENS1_25partition_config_selectorILNS1_17partition_subalgoE8ElNS0_10empty_typeEbEEZZNS1_14partition_implILS5_8ELb0ES3_jPlPS6_PKS6_NS0_5tupleIJS9_S6_EEENSD_IJSA_SA_EEENS0_18inequality_wrapperIZN2at6native12_GLOBAL__N_124unique_dim_cuda_templateIdEESt5tupleIJNSH_6TensorESM_SM_EERKSM_lbbbEUlllE0_EEPmJS6_EEE10hipError_tPvRmT3_T4_T5_T6_T7_T9_mT8_P12ihipStream_tbDpT10_ENKUlT_T0_E_clISt17integral_constantIbLb1EES1B_IbLb0EEEEDaS17_S18_EUlS17_E_NS1_11comp_targetILNS1_3genE5ELNS1_11target_archE942ELNS1_3gpuE9ELNS1_3repE0EEENS1_30default_config_static_selectorELNS0_4arch9wavefront6targetE0EEEvT1_
		.amdhsa_group_segment_fixed_size 0
		.amdhsa_private_segment_fixed_size 0
		.amdhsa_kernarg_size 120
		.amdhsa_user_sgpr_count 15
		.amdhsa_user_sgpr_dispatch_ptr 0
		.amdhsa_user_sgpr_queue_ptr 0
		.amdhsa_user_sgpr_kernarg_segment_ptr 1
		.amdhsa_user_sgpr_dispatch_id 0
		.amdhsa_user_sgpr_private_segment_size 0
		.amdhsa_wavefront_size32 1
		.amdhsa_uses_dynamic_stack 0
		.amdhsa_enable_private_segment 0
		.amdhsa_system_sgpr_workgroup_id_x 1
		.amdhsa_system_sgpr_workgroup_id_y 0
		.amdhsa_system_sgpr_workgroup_id_z 0
		.amdhsa_system_sgpr_workgroup_info 0
		.amdhsa_system_vgpr_workitem_id 0
		.amdhsa_next_free_vgpr 1
		.amdhsa_next_free_sgpr 1
		.amdhsa_reserve_vcc 0
		.amdhsa_float_round_mode_32 0
		.amdhsa_float_round_mode_16_64 0
		.amdhsa_float_denorm_mode_32 3
		.amdhsa_float_denorm_mode_16_64 3
		.amdhsa_dx10_clamp 1
		.amdhsa_ieee_mode 1
		.amdhsa_fp16_overflow 0
		.amdhsa_workgroup_processor_mode 1
		.amdhsa_memory_ordered 1
		.amdhsa_forward_progress 0
		.amdhsa_shared_vgpr_count 0
		.amdhsa_exception_fp_ieee_invalid_op 0
		.amdhsa_exception_fp_denorm_src 0
		.amdhsa_exception_fp_ieee_div_zero 0
		.amdhsa_exception_fp_ieee_overflow 0
		.amdhsa_exception_fp_ieee_underflow 0
		.amdhsa_exception_fp_ieee_inexact 0
		.amdhsa_exception_int_div_zero 0
	.end_amdhsa_kernel
	.section	.text._ZN7rocprim17ROCPRIM_400000_NS6detail17trampoline_kernelINS0_14default_configENS1_25partition_config_selectorILNS1_17partition_subalgoE8ElNS0_10empty_typeEbEEZZNS1_14partition_implILS5_8ELb0ES3_jPlPS6_PKS6_NS0_5tupleIJS9_S6_EEENSD_IJSA_SA_EEENS0_18inequality_wrapperIZN2at6native12_GLOBAL__N_124unique_dim_cuda_templateIdEESt5tupleIJNSH_6TensorESM_SM_EERKSM_lbbbEUlllE0_EEPmJS6_EEE10hipError_tPvRmT3_T4_T5_T6_T7_T9_mT8_P12ihipStream_tbDpT10_ENKUlT_T0_E_clISt17integral_constantIbLb1EES1B_IbLb0EEEEDaS17_S18_EUlS17_E_NS1_11comp_targetILNS1_3genE5ELNS1_11target_archE942ELNS1_3gpuE9ELNS1_3repE0EEENS1_30default_config_static_selectorELNS0_4arch9wavefront6targetE0EEEvT1_,"axG",@progbits,_ZN7rocprim17ROCPRIM_400000_NS6detail17trampoline_kernelINS0_14default_configENS1_25partition_config_selectorILNS1_17partition_subalgoE8ElNS0_10empty_typeEbEEZZNS1_14partition_implILS5_8ELb0ES3_jPlPS6_PKS6_NS0_5tupleIJS9_S6_EEENSD_IJSA_SA_EEENS0_18inequality_wrapperIZN2at6native12_GLOBAL__N_124unique_dim_cuda_templateIdEESt5tupleIJNSH_6TensorESM_SM_EERKSM_lbbbEUlllE0_EEPmJS6_EEE10hipError_tPvRmT3_T4_T5_T6_T7_T9_mT8_P12ihipStream_tbDpT10_ENKUlT_T0_E_clISt17integral_constantIbLb1EES1B_IbLb0EEEEDaS17_S18_EUlS17_E_NS1_11comp_targetILNS1_3genE5ELNS1_11target_archE942ELNS1_3gpuE9ELNS1_3repE0EEENS1_30default_config_static_selectorELNS0_4arch9wavefront6targetE0EEEvT1_,comdat
.Lfunc_end824:
	.size	_ZN7rocprim17ROCPRIM_400000_NS6detail17trampoline_kernelINS0_14default_configENS1_25partition_config_selectorILNS1_17partition_subalgoE8ElNS0_10empty_typeEbEEZZNS1_14partition_implILS5_8ELb0ES3_jPlPS6_PKS6_NS0_5tupleIJS9_S6_EEENSD_IJSA_SA_EEENS0_18inequality_wrapperIZN2at6native12_GLOBAL__N_124unique_dim_cuda_templateIdEESt5tupleIJNSH_6TensorESM_SM_EERKSM_lbbbEUlllE0_EEPmJS6_EEE10hipError_tPvRmT3_T4_T5_T6_T7_T9_mT8_P12ihipStream_tbDpT10_ENKUlT_T0_E_clISt17integral_constantIbLb1EES1B_IbLb0EEEEDaS17_S18_EUlS17_E_NS1_11comp_targetILNS1_3genE5ELNS1_11target_archE942ELNS1_3gpuE9ELNS1_3repE0EEENS1_30default_config_static_selectorELNS0_4arch9wavefront6targetE0EEEvT1_, .Lfunc_end824-_ZN7rocprim17ROCPRIM_400000_NS6detail17trampoline_kernelINS0_14default_configENS1_25partition_config_selectorILNS1_17partition_subalgoE8ElNS0_10empty_typeEbEEZZNS1_14partition_implILS5_8ELb0ES3_jPlPS6_PKS6_NS0_5tupleIJS9_S6_EEENSD_IJSA_SA_EEENS0_18inequality_wrapperIZN2at6native12_GLOBAL__N_124unique_dim_cuda_templateIdEESt5tupleIJNSH_6TensorESM_SM_EERKSM_lbbbEUlllE0_EEPmJS6_EEE10hipError_tPvRmT3_T4_T5_T6_T7_T9_mT8_P12ihipStream_tbDpT10_ENKUlT_T0_E_clISt17integral_constantIbLb1EES1B_IbLb0EEEEDaS17_S18_EUlS17_E_NS1_11comp_targetILNS1_3genE5ELNS1_11target_archE942ELNS1_3gpuE9ELNS1_3repE0EEENS1_30default_config_static_selectorELNS0_4arch9wavefront6targetE0EEEvT1_
                                        ; -- End function
	.section	.AMDGPU.csdata,"",@progbits
; Kernel info:
; codeLenInByte = 0
; NumSgprs: 0
; NumVgprs: 0
; ScratchSize: 0
; MemoryBound: 0
; FloatMode: 240
; IeeeMode: 1
; LDSByteSize: 0 bytes/workgroup (compile time only)
; SGPRBlocks: 0
; VGPRBlocks: 0
; NumSGPRsForWavesPerEU: 1
; NumVGPRsForWavesPerEU: 1
; Occupancy: 16
; WaveLimiterHint : 0
; COMPUTE_PGM_RSRC2:SCRATCH_EN: 0
; COMPUTE_PGM_RSRC2:USER_SGPR: 15
; COMPUTE_PGM_RSRC2:TRAP_HANDLER: 0
; COMPUTE_PGM_RSRC2:TGID_X_EN: 1
; COMPUTE_PGM_RSRC2:TGID_Y_EN: 0
; COMPUTE_PGM_RSRC2:TGID_Z_EN: 0
; COMPUTE_PGM_RSRC2:TIDIG_COMP_CNT: 0
	.section	.text._ZN7rocprim17ROCPRIM_400000_NS6detail17trampoline_kernelINS0_14default_configENS1_25partition_config_selectorILNS1_17partition_subalgoE8ElNS0_10empty_typeEbEEZZNS1_14partition_implILS5_8ELb0ES3_jPlPS6_PKS6_NS0_5tupleIJS9_S6_EEENSD_IJSA_SA_EEENS0_18inequality_wrapperIZN2at6native12_GLOBAL__N_124unique_dim_cuda_templateIdEESt5tupleIJNSH_6TensorESM_SM_EERKSM_lbbbEUlllE0_EEPmJS6_EEE10hipError_tPvRmT3_T4_T5_T6_T7_T9_mT8_P12ihipStream_tbDpT10_ENKUlT_T0_E_clISt17integral_constantIbLb1EES1B_IbLb0EEEEDaS17_S18_EUlS17_E_NS1_11comp_targetILNS1_3genE4ELNS1_11target_archE910ELNS1_3gpuE8ELNS1_3repE0EEENS1_30default_config_static_selectorELNS0_4arch9wavefront6targetE0EEEvT1_,"axG",@progbits,_ZN7rocprim17ROCPRIM_400000_NS6detail17trampoline_kernelINS0_14default_configENS1_25partition_config_selectorILNS1_17partition_subalgoE8ElNS0_10empty_typeEbEEZZNS1_14partition_implILS5_8ELb0ES3_jPlPS6_PKS6_NS0_5tupleIJS9_S6_EEENSD_IJSA_SA_EEENS0_18inequality_wrapperIZN2at6native12_GLOBAL__N_124unique_dim_cuda_templateIdEESt5tupleIJNSH_6TensorESM_SM_EERKSM_lbbbEUlllE0_EEPmJS6_EEE10hipError_tPvRmT3_T4_T5_T6_T7_T9_mT8_P12ihipStream_tbDpT10_ENKUlT_T0_E_clISt17integral_constantIbLb1EES1B_IbLb0EEEEDaS17_S18_EUlS17_E_NS1_11comp_targetILNS1_3genE4ELNS1_11target_archE910ELNS1_3gpuE8ELNS1_3repE0EEENS1_30default_config_static_selectorELNS0_4arch9wavefront6targetE0EEEvT1_,comdat
	.globl	_ZN7rocprim17ROCPRIM_400000_NS6detail17trampoline_kernelINS0_14default_configENS1_25partition_config_selectorILNS1_17partition_subalgoE8ElNS0_10empty_typeEbEEZZNS1_14partition_implILS5_8ELb0ES3_jPlPS6_PKS6_NS0_5tupleIJS9_S6_EEENSD_IJSA_SA_EEENS0_18inequality_wrapperIZN2at6native12_GLOBAL__N_124unique_dim_cuda_templateIdEESt5tupleIJNSH_6TensorESM_SM_EERKSM_lbbbEUlllE0_EEPmJS6_EEE10hipError_tPvRmT3_T4_T5_T6_T7_T9_mT8_P12ihipStream_tbDpT10_ENKUlT_T0_E_clISt17integral_constantIbLb1EES1B_IbLb0EEEEDaS17_S18_EUlS17_E_NS1_11comp_targetILNS1_3genE4ELNS1_11target_archE910ELNS1_3gpuE8ELNS1_3repE0EEENS1_30default_config_static_selectorELNS0_4arch9wavefront6targetE0EEEvT1_ ; -- Begin function _ZN7rocprim17ROCPRIM_400000_NS6detail17trampoline_kernelINS0_14default_configENS1_25partition_config_selectorILNS1_17partition_subalgoE8ElNS0_10empty_typeEbEEZZNS1_14partition_implILS5_8ELb0ES3_jPlPS6_PKS6_NS0_5tupleIJS9_S6_EEENSD_IJSA_SA_EEENS0_18inequality_wrapperIZN2at6native12_GLOBAL__N_124unique_dim_cuda_templateIdEESt5tupleIJNSH_6TensorESM_SM_EERKSM_lbbbEUlllE0_EEPmJS6_EEE10hipError_tPvRmT3_T4_T5_T6_T7_T9_mT8_P12ihipStream_tbDpT10_ENKUlT_T0_E_clISt17integral_constantIbLb1EES1B_IbLb0EEEEDaS17_S18_EUlS17_E_NS1_11comp_targetILNS1_3genE4ELNS1_11target_archE910ELNS1_3gpuE8ELNS1_3repE0EEENS1_30default_config_static_selectorELNS0_4arch9wavefront6targetE0EEEvT1_
	.p2align	8
	.type	_ZN7rocprim17ROCPRIM_400000_NS6detail17trampoline_kernelINS0_14default_configENS1_25partition_config_selectorILNS1_17partition_subalgoE8ElNS0_10empty_typeEbEEZZNS1_14partition_implILS5_8ELb0ES3_jPlPS6_PKS6_NS0_5tupleIJS9_S6_EEENSD_IJSA_SA_EEENS0_18inequality_wrapperIZN2at6native12_GLOBAL__N_124unique_dim_cuda_templateIdEESt5tupleIJNSH_6TensorESM_SM_EERKSM_lbbbEUlllE0_EEPmJS6_EEE10hipError_tPvRmT3_T4_T5_T6_T7_T9_mT8_P12ihipStream_tbDpT10_ENKUlT_T0_E_clISt17integral_constantIbLb1EES1B_IbLb0EEEEDaS17_S18_EUlS17_E_NS1_11comp_targetILNS1_3genE4ELNS1_11target_archE910ELNS1_3gpuE8ELNS1_3repE0EEENS1_30default_config_static_selectorELNS0_4arch9wavefront6targetE0EEEvT1_,@function
_ZN7rocprim17ROCPRIM_400000_NS6detail17trampoline_kernelINS0_14default_configENS1_25partition_config_selectorILNS1_17partition_subalgoE8ElNS0_10empty_typeEbEEZZNS1_14partition_implILS5_8ELb0ES3_jPlPS6_PKS6_NS0_5tupleIJS9_S6_EEENSD_IJSA_SA_EEENS0_18inequality_wrapperIZN2at6native12_GLOBAL__N_124unique_dim_cuda_templateIdEESt5tupleIJNSH_6TensorESM_SM_EERKSM_lbbbEUlllE0_EEPmJS6_EEE10hipError_tPvRmT3_T4_T5_T6_T7_T9_mT8_P12ihipStream_tbDpT10_ENKUlT_T0_E_clISt17integral_constantIbLb1EES1B_IbLb0EEEEDaS17_S18_EUlS17_E_NS1_11comp_targetILNS1_3genE4ELNS1_11target_archE910ELNS1_3gpuE8ELNS1_3repE0EEENS1_30default_config_static_selectorELNS0_4arch9wavefront6targetE0EEEvT1_: ; @_ZN7rocprim17ROCPRIM_400000_NS6detail17trampoline_kernelINS0_14default_configENS1_25partition_config_selectorILNS1_17partition_subalgoE8ElNS0_10empty_typeEbEEZZNS1_14partition_implILS5_8ELb0ES3_jPlPS6_PKS6_NS0_5tupleIJS9_S6_EEENSD_IJSA_SA_EEENS0_18inequality_wrapperIZN2at6native12_GLOBAL__N_124unique_dim_cuda_templateIdEESt5tupleIJNSH_6TensorESM_SM_EERKSM_lbbbEUlllE0_EEPmJS6_EEE10hipError_tPvRmT3_T4_T5_T6_T7_T9_mT8_P12ihipStream_tbDpT10_ENKUlT_T0_E_clISt17integral_constantIbLb1EES1B_IbLb0EEEEDaS17_S18_EUlS17_E_NS1_11comp_targetILNS1_3genE4ELNS1_11target_archE910ELNS1_3gpuE8ELNS1_3repE0EEENS1_30default_config_static_selectorELNS0_4arch9wavefront6targetE0EEEvT1_
; %bb.0:
	.section	.rodata,"a",@progbits
	.p2align	6, 0x0
	.amdhsa_kernel _ZN7rocprim17ROCPRIM_400000_NS6detail17trampoline_kernelINS0_14default_configENS1_25partition_config_selectorILNS1_17partition_subalgoE8ElNS0_10empty_typeEbEEZZNS1_14partition_implILS5_8ELb0ES3_jPlPS6_PKS6_NS0_5tupleIJS9_S6_EEENSD_IJSA_SA_EEENS0_18inequality_wrapperIZN2at6native12_GLOBAL__N_124unique_dim_cuda_templateIdEESt5tupleIJNSH_6TensorESM_SM_EERKSM_lbbbEUlllE0_EEPmJS6_EEE10hipError_tPvRmT3_T4_T5_T6_T7_T9_mT8_P12ihipStream_tbDpT10_ENKUlT_T0_E_clISt17integral_constantIbLb1EES1B_IbLb0EEEEDaS17_S18_EUlS17_E_NS1_11comp_targetILNS1_3genE4ELNS1_11target_archE910ELNS1_3gpuE8ELNS1_3repE0EEENS1_30default_config_static_selectorELNS0_4arch9wavefront6targetE0EEEvT1_
		.amdhsa_group_segment_fixed_size 0
		.amdhsa_private_segment_fixed_size 0
		.amdhsa_kernarg_size 120
		.amdhsa_user_sgpr_count 15
		.amdhsa_user_sgpr_dispatch_ptr 0
		.amdhsa_user_sgpr_queue_ptr 0
		.amdhsa_user_sgpr_kernarg_segment_ptr 1
		.amdhsa_user_sgpr_dispatch_id 0
		.amdhsa_user_sgpr_private_segment_size 0
		.amdhsa_wavefront_size32 1
		.amdhsa_uses_dynamic_stack 0
		.amdhsa_enable_private_segment 0
		.amdhsa_system_sgpr_workgroup_id_x 1
		.amdhsa_system_sgpr_workgroup_id_y 0
		.amdhsa_system_sgpr_workgroup_id_z 0
		.amdhsa_system_sgpr_workgroup_info 0
		.amdhsa_system_vgpr_workitem_id 0
		.amdhsa_next_free_vgpr 1
		.amdhsa_next_free_sgpr 1
		.amdhsa_reserve_vcc 0
		.amdhsa_float_round_mode_32 0
		.amdhsa_float_round_mode_16_64 0
		.amdhsa_float_denorm_mode_32 3
		.amdhsa_float_denorm_mode_16_64 3
		.amdhsa_dx10_clamp 1
		.amdhsa_ieee_mode 1
		.amdhsa_fp16_overflow 0
		.amdhsa_workgroup_processor_mode 1
		.amdhsa_memory_ordered 1
		.amdhsa_forward_progress 0
		.amdhsa_shared_vgpr_count 0
		.amdhsa_exception_fp_ieee_invalid_op 0
		.amdhsa_exception_fp_denorm_src 0
		.amdhsa_exception_fp_ieee_div_zero 0
		.amdhsa_exception_fp_ieee_overflow 0
		.amdhsa_exception_fp_ieee_underflow 0
		.amdhsa_exception_fp_ieee_inexact 0
		.amdhsa_exception_int_div_zero 0
	.end_amdhsa_kernel
	.section	.text._ZN7rocprim17ROCPRIM_400000_NS6detail17trampoline_kernelINS0_14default_configENS1_25partition_config_selectorILNS1_17partition_subalgoE8ElNS0_10empty_typeEbEEZZNS1_14partition_implILS5_8ELb0ES3_jPlPS6_PKS6_NS0_5tupleIJS9_S6_EEENSD_IJSA_SA_EEENS0_18inequality_wrapperIZN2at6native12_GLOBAL__N_124unique_dim_cuda_templateIdEESt5tupleIJNSH_6TensorESM_SM_EERKSM_lbbbEUlllE0_EEPmJS6_EEE10hipError_tPvRmT3_T4_T5_T6_T7_T9_mT8_P12ihipStream_tbDpT10_ENKUlT_T0_E_clISt17integral_constantIbLb1EES1B_IbLb0EEEEDaS17_S18_EUlS17_E_NS1_11comp_targetILNS1_3genE4ELNS1_11target_archE910ELNS1_3gpuE8ELNS1_3repE0EEENS1_30default_config_static_selectorELNS0_4arch9wavefront6targetE0EEEvT1_,"axG",@progbits,_ZN7rocprim17ROCPRIM_400000_NS6detail17trampoline_kernelINS0_14default_configENS1_25partition_config_selectorILNS1_17partition_subalgoE8ElNS0_10empty_typeEbEEZZNS1_14partition_implILS5_8ELb0ES3_jPlPS6_PKS6_NS0_5tupleIJS9_S6_EEENSD_IJSA_SA_EEENS0_18inequality_wrapperIZN2at6native12_GLOBAL__N_124unique_dim_cuda_templateIdEESt5tupleIJNSH_6TensorESM_SM_EERKSM_lbbbEUlllE0_EEPmJS6_EEE10hipError_tPvRmT3_T4_T5_T6_T7_T9_mT8_P12ihipStream_tbDpT10_ENKUlT_T0_E_clISt17integral_constantIbLb1EES1B_IbLb0EEEEDaS17_S18_EUlS17_E_NS1_11comp_targetILNS1_3genE4ELNS1_11target_archE910ELNS1_3gpuE8ELNS1_3repE0EEENS1_30default_config_static_selectorELNS0_4arch9wavefront6targetE0EEEvT1_,comdat
.Lfunc_end825:
	.size	_ZN7rocprim17ROCPRIM_400000_NS6detail17trampoline_kernelINS0_14default_configENS1_25partition_config_selectorILNS1_17partition_subalgoE8ElNS0_10empty_typeEbEEZZNS1_14partition_implILS5_8ELb0ES3_jPlPS6_PKS6_NS0_5tupleIJS9_S6_EEENSD_IJSA_SA_EEENS0_18inequality_wrapperIZN2at6native12_GLOBAL__N_124unique_dim_cuda_templateIdEESt5tupleIJNSH_6TensorESM_SM_EERKSM_lbbbEUlllE0_EEPmJS6_EEE10hipError_tPvRmT3_T4_T5_T6_T7_T9_mT8_P12ihipStream_tbDpT10_ENKUlT_T0_E_clISt17integral_constantIbLb1EES1B_IbLb0EEEEDaS17_S18_EUlS17_E_NS1_11comp_targetILNS1_3genE4ELNS1_11target_archE910ELNS1_3gpuE8ELNS1_3repE0EEENS1_30default_config_static_selectorELNS0_4arch9wavefront6targetE0EEEvT1_, .Lfunc_end825-_ZN7rocprim17ROCPRIM_400000_NS6detail17trampoline_kernelINS0_14default_configENS1_25partition_config_selectorILNS1_17partition_subalgoE8ElNS0_10empty_typeEbEEZZNS1_14partition_implILS5_8ELb0ES3_jPlPS6_PKS6_NS0_5tupleIJS9_S6_EEENSD_IJSA_SA_EEENS0_18inequality_wrapperIZN2at6native12_GLOBAL__N_124unique_dim_cuda_templateIdEESt5tupleIJNSH_6TensorESM_SM_EERKSM_lbbbEUlllE0_EEPmJS6_EEE10hipError_tPvRmT3_T4_T5_T6_T7_T9_mT8_P12ihipStream_tbDpT10_ENKUlT_T0_E_clISt17integral_constantIbLb1EES1B_IbLb0EEEEDaS17_S18_EUlS17_E_NS1_11comp_targetILNS1_3genE4ELNS1_11target_archE910ELNS1_3gpuE8ELNS1_3repE0EEENS1_30default_config_static_selectorELNS0_4arch9wavefront6targetE0EEEvT1_
                                        ; -- End function
	.section	.AMDGPU.csdata,"",@progbits
; Kernel info:
; codeLenInByte = 0
; NumSgprs: 0
; NumVgprs: 0
; ScratchSize: 0
; MemoryBound: 0
; FloatMode: 240
; IeeeMode: 1
; LDSByteSize: 0 bytes/workgroup (compile time only)
; SGPRBlocks: 0
; VGPRBlocks: 0
; NumSGPRsForWavesPerEU: 1
; NumVGPRsForWavesPerEU: 1
; Occupancy: 16
; WaveLimiterHint : 0
; COMPUTE_PGM_RSRC2:SCRATCH_EN: 0
; COMPUTE_PGM_RSRC2:USER_SGPR: 15
; COMPUTE_PGM_RSRC2:TRAP_HANDLER: 0
; COMPUTE_PGM_RSRC2:TGID_X_EN: 1
; COMPUTE_PGM_RSRC2:TGID_Y_EN: 0
; COMPUTE_PGM_RSRC2:TGID_Z_EN: 0
; COMPUTE_PGM_RSRC2:TIDIG_COMP_CNT: 0
	.section	.text._ZN7rocprim17ROCPRIM_400000_NS6detail17trampoline_kernelINS0_14default_configENS1_25partition_config_selectorILNS1_17partition_subalgoE8ElNS0_10empty_typeEbEEZZNS1_14partition_implILS5_8ELb0ES3_jPlPS6_PKS6_NS0_5tupleIJS9_S6_EEENSD_IJSA_SA_EEENS0_18inequality_wrapperIZN2at6native12_GLOBAL__N_124unique_dim_cuda_templateIdEESt5tupleIJNSH_6TensorESM_SM_EERKSM_lbbbEUlllE0_EEPmJS6_EEE10hipError_tPvRmT3_T4_T5_T6_T7_T9_mT8_P12ihipStream_tbDpT10_ENKUlT_T0_E_clISt17integral_constantIbLb1EES1B_IbLb0EEEEDaS17_S18_EUlS17_E_NS1_11comp_targetILNS1_3genE3ELNS1_11target_archE908ELNS1_3gpuE7ELNS1_3repE0EEENS1_30default_config_static_selectorELNS0_4arch9wavefront6targetE0EEEvT1_,"axG",@progbits,_ZN7rocprim17ROCPRIM_400000_NS6detail17trampoline_kernelINS0_14default_configENS1_25partition_config_selectorILNS1_17partition_subalgoE8ElNS0_10empty_typeEbEEZZNS1_14partition_implILS5_8ELb0ES3_jPlPS6_PKS6_NS0_5tupleIJS9_S6_EEENSD_IJSA_SA_EEENS0_18inequality_wrapperIZN2at6native12_GLOBAL__N_124unique_dim_cuda_templateIdEESt5tupleIJNSH_6TensorESM_SM_EERKSM_lbbbEUlllE0_EEPmJS6_EEE10hipError_tPvRmT3_T4_T5_T6_T7_T9_mT8_P12ihipStream_tbDpT10_ENKUlT_T0_E_clISt17integral_constantIbLb1EES1B_IbLb0EEEEDaS17_S18_EUlS17_E_NS1_11comp_targetILNS1_3genE3ELNS1_11target_archE908ELNS1_3gpuE7ELNS1_3repE0EEENS1_30default_config_static_selectorELNS0_4arch9wavefront6targetE0EEEvT1_,comdat
	.globl	_ZN7rocprim17ROCPRIM_400000_NS6detail17trampoline_kernelINS0_14default_configENS1_25partition_config_selectorILNS1_17partition_subalgoE8ElNS0_10empty_typeEbEEZZNS1_14partition_implILS5_8ELb0ES3_jPlPS6_PKS6_NS0_5tupleIJS9_S6_EEENSD_IJSA_SA_EEENS0_18inequality_wrapperIZN2at6native12_GLOBAL__N_124unique_dim_cuda_templateIdEESt5tupleIJNSH_6TensorESM_SM_EERKSM_lbbbEUlllE0_EEPmJS6_EEE10hipError_tPvRmT3_T4_T5_T6_T7_T9_mT8_P12ihipStream_tbDpT10_ENKUlT_T0_E_clISt17integral_constantIbLb1EES1B_IbLb0EEEEDaS17_S18_EUlS17_E_NS1_11comp_targetILNS1_3genE3ELNS1_11target_archE908ELNS1_3gpuE7ELNS1_3repE0EEENS1_30default_config_static_selectorELNS0_4arch9wavefront6targetE0EEEvT1_ ; -- Begin function _ZN7rocprim17ROCPRIM_400000_NS6detail17trampoline_kernelINS0_14default_configENS1_25partition_config_selectorILNS1_17partition_subalgoE8ElNS0_10empty_typeEbEEZZNS1_14partition_implILS5_8ELb0ES3_jPlPS6_PKS6_NS0_5tupleIJS9_S6_EEENSD_IJSA_SA_EEENS0_18inequality_wrapperIZN2at6native12_GLOBAL__N_124unique_dim_cuda_templateIdEESt5tupleIJNSH_6TensorESM_SM_EERKSM_lbbbEUlllE0_EEPmJS6_EEE10hipError_tPvRmT3_T4_T5_T6_T7_T9_mT8_P12ihipStream_tbDpT10_ENKUlT_T0_E_clISt17integral_constantIbLb1EES1B_IbLb0EEEEDaS17_S18_EUlS17_E_NS1_11comp_targetILNS1_3genE3ELNS1_11target_archE908ELNS1_3gpuE7ELNS1_3repE0EEENS1_30default_config_static_selectorELNS0_4arch9wavefront6targetE0EEEvT1_
	.p2align	8
	.type	_ZN7rocprim17ROCPRIM_400000_NS6detail17trampoline_kernelINS0_14default_configENS1_25partition_config_selectorILNS1_17partition_subalgoE8ElNS0_10empty_typeEbEEZZNS1_14partition_implILS5_8ELb0ES3_jPlPS6_PKS6_NS0_5tupleIJS9_S6_EEENSD_IJSA_SA_EEENS0_18inequality_wrapperIZN2at6native12_GLOBAL__N_124unique_dim_cuda_templateIdEESt5tupleIJNSH_6TensorESM_SM_EERKSM_lbbbEUlllE0_EEPmJS6_EEE10hipError_tPvRmT3_T4_T5_T6_T7_T9_mT8_P12ihipStream_tbDpT10_ENKUlT_T0_E_clISt17integral_constantIbLb1EES1B_IbLb0EEEEDaS17_S18_EUlS17_E_NS1_11comp_targetILNS1_3genE3ELNS1_11target_archE908ELNS1_3gpuE7ELNS1_3repE0EEENS1_30default_config_static_selectorELNS0_4arch9wavefront6targetE0EEEvT1_,@function
_ZN7rocprim17ROCPRIM_400000_NS6detail17trampoline_kernelINS0_14default_configENS1_25partition_config_selectorILNS1_17partition_subalgoE8ElNS0_10empty_typeEbEEZZNS1_14partition_implILS5_8ELb0ES3_jPlPS6_PKS6_NS0_5tupleIJS9_S6_EEENSD_IJSA_SA_EEENS0_18inequality_wrapperIZN2at6native12_GLOBAL__N_124unique_dim_cuda_templateIdEESt5tupleIJNSH_6TensorESM_SM_EERKSM_lbbbEUlllE0_EEPmJS6_EEE10hipError_tPvRmT3_T4_T5_T6_T7_T9_mT8_P12ihipStream_tbDpT10_ENKUlT_T0_E_clISt17integral_constantIbLb1EES1B_IbLb0EEEEDaS17_S18_EUlS17_E_NS1_11comp_targetILNS1_3genE3ELNS1_11target_archE908ELNS1_3gpuE7ELNS1_3repE0EEENS1_30default_config_static_selectorELNS0_4arch9wavefront6targetE0EEEvT1_: ; @_ZN7rocprim17ROCPRIM_400000_NS6detail17trampoline_kernelINS0_14default_configENS1_25partition_config_selectorILNS1_17partition_subalgoE8ElNS0_10empty_typeEbEEZZNS1_14partition_implILS5_8ELb0ES3_jPlPS6_PKS6_NS0_5tupleIJS9_S6_EEENSD_IJSA_SA_EEENS0_18inequality_wrapperIZN2at6native12_GLOBAL__N_124unique_dim_cuda_templateIdEESt5tupleIJNSH_6TensorESM_SM_EERKSM_lbbbEUlllE0_EEPmJS6_EEE10hipError_tPvRmT3_T4_T5_T6_T7_T9_mT8_P12ihipStream_tbDpT10_ENKUlT_T0_E_clISt17integral_constantIbLb1EES1B_IbLb0EEEEDaS17_S18_EUlS17_E_NS1_11comp_targetILNS1_3genE3ELNS1_11target_archE908ELNS1_3gpuE7ELNS1_3repE0EEENS1_30default_config_static_selectorELNS0_4arch9wavefront6targetE0EEEvT1_
; %bb.0:
	.section	.rodata,"a",@progbits
	.p2align	6, 0x0
	.amdhsa_kernel _ZN7rocprim17ROCPRIM_400000_NS6detail17trampoline_kernelINS0_14default_configENS1_25partition_config_selectorILNS1_17partition_subalgoE8ElNS0_10empty_typeEbEEZZNS1_14partition_implILS5_8ELb0ES3_jPlPS6_PKS6_NS0_5tupleIJS9_S6_EEENSD_IJSA_SA_EEENS0_18inequality_wrapperIZN2at6native12_GLOBAL__N_124unique_dim_cuda_templateIdEESt5tupleIJNSH_6TensorESM_SM_EERKSM_lbbbEUlllE0_EEPmJS6_EEE10hipError_tPvRmT3_T4_T5_T6_T7_T9_mT8_P12ihipStream_tbDpT10_ENKUlT_T0_E_clISt17integral_constantIbLb1EES1B_IbLb0EEEEDaS17_S18_EUlS17_E_NS1_11comp_targetILNS1_3genE3ELNS1_11target_archE908ELNS1_3gpuE7ELNS1_3repE0EEENS1_30default_config_static_selectorELNS0_4arch9wavefront6targetE0EEEvT1_
		.amdhsa_group_segment_fixed_size 0
		.amdhsa_private_segment_fixed_size 0
		.amdhsa_kernarg_size 120
		.amdhsa_user_sgpr_count 15
		.amdhsa_user_sgpr_dispatch_ptr 0
		.amdhsa_user_sgpr_queue_ptr 0
		.amdhsa_user_sgpr_kernarg_segment_ptr 1
		.amdhsa_user_sgpr_dispatch_id 0
		.amdhsa_user_sgpr_private_segment_size 0
		.amdhsa_wavefront_size32 1
		.amdhsa_uses_dynamic_stack 0
		.amdhsa_enable_private_segment 0
		.amdhsa_system_sgpr_workgroup_id_x 1
		.amdhsa_system_sgpr_workgroup_id_y 0
		.amdhsa_system_sgpr_workgroup_id_z 0
		.amdhsa_system_sgpr_workgroup_info 0
		.amdhsa_system_vgpr_workitem_id 0
		.amdhsa_next_free_vgpr 1
		.amdhsa_next_free_sgpr 1
		.amdhsa_reserve_vcc 0
		.amdhsa_float_round_mode_32 0
		.amdhsa_float_round_mode_16_64 0
		.amdhsa_float_denorm_mode_32 3
		.amdhsa_float_denorm_mode_16_64 3
		.amdhsa_dx10_clamp 1
		.amdhsa_ieee_mode 1
		.amdhsa_fp16_overflow 0
		.amdhsa_workgroup_processor_mode 1
		.amdhsa_memory_ordered 1
		.amdhsa_forward_progress 0
		.amdhsa_shared_vgpr_count 0
		.amdhsa_exception_fp_ieee_invalid_op 0
		.amdhsa_exception_fp_denorm_src 0
		.amdhsa_exception_fp_ieee_div_zero 0
		.amdhsa_exception_fp_ieee_overflow 0
		.amdhsa_exception_fp_ieee_underflow 0
		.amdhsa_exception_fp_ieee_inexact 0
		.amdhsa_exception_int_div_zero 0
	.end_amdhsa_kernel
	.section	.text._ZN7rocprim17ROCPRIM_400000_NS6detail17trampoline_kernelINS0_14default_configENS1_25partition_config_selectorILNS1_17partition_subalgoE8ElNS0_10empty_typeEbEEZZNS1_14partition_implILS5_8ELb0ES3_jPlPS6_PKS6_NS0_5tupleIJS9_S6_EEENSD_IJSA_SA_EEENS0_18inequality_wrapperIZN2at6native12_GLOBAL__N_124unique_dim_cuda_templateIdEESt5tupleIJNSH_6TensorESM_SM_EERKSM_lbbbEUlllE0_EEPmJS6_EEE10hipError_tPvRmT3_T4_T5_T6_T7_T9_mT8_P12ihipStream_tbDpT10_ENKUlT_T0_E_clISt17integral_constantIbLb1EES1B_IbLb0EEEEDaS17_S18_EUlS17_E_NS1_11comp_targetILNS1_3genE3ELNS1_11target_archE908ELNS1_3gpuE7ELNS1_3repE0EEENS1_30default_config_static_selectorELNS0_4arch9wavefront6targetE0EEEvT1_,"axG",@progbits,_ZN7rocprim17ROCPRIM_400000_NS6detail17trampoline_kernelINS0_14default_configENS1_25partition_config_selectorILNS1_17partition_subalgoE8ElNS0_10empty_typeEbEEZZNS1_14partition_implILS5_8ELb0ES3_jPlPS6_PKS6_NS0_5tupleIJS9_S6_EEENSD_IJSA_SA_EEENS0_18inequality_wrapperIZN2at6native12_GLOBAL__N_124unique_dim_cuda_templateIdEESt5tupleIJNSH_6TensorESM_SM_EERKSM_lbbbEUlllE0_EEPmJS6_EEE10hipError_tPvRmT3_T4_T5_T6_T7_T9_mT8_P12ihipStream_tbDpT10_ENKUlT_T0_E_clISt17integral_constantIbLb1EES1B_IbLb0EEEEDaS17_S18_EUlS17_E_NS1_11comp_targetILNS1_3genE3ELNS1_11target_archE908ELNS1_3gpuE7ELNS1_3repE0EEENS1_30default_config_static_selectorELNS0_4arch9wavefront6targetE0EEEvT1_,comdat
.Lfunc_end826:
	.size	_ZN7rocprim17ROCPRIM_400000_NS6detail17trampoline_kernelINS0_14default_configENS1_25partition_config_selectorILNS1_17partition_subalgoE8ElNS0_10empty_typeEbEEZZNS1_14partition_implILS5_8ELb0ES3_jPlPS6_PKS6_NS0_5tupleIJS9_S6_EEENSD_IJSA_SA_EEENS0_18inequality_wrapperIZN2at6native12_GLOBAL__N_124unique_dim_cuda_templateIdEESt5tupleIJNSH_6TensorESM_SM_EERKSM_lbbbEUlllE0_EEPmJS6_EEE10hipError_tPvRmT3_T4_T5_T6_T7_T9_mT8_P12ihipStream_tbDpT10_ENKUlT_T0_E_clISt17integral_constantIbLb1EES1B_IbLb0EEEEDaS17_S18_EUlS17_E_NS1_11comp_targetILNS1_3genE3ELNS1_11target_archE908ELNS1_3gpuE7ELNS1_3repE0EEENS1_30default_config_static_selectorELNS0_4arch9wavefront6targetE0EEEvT1_, .Lfunc_end826-_ZN7rocprim17ROCPRIM_400000_NS6detail17trampoline_kernelINS0_14default_configENS1_25partition_config_selectorILNS1_17partition_subalgoE8ElNS0_10empty_typeEbEEZZNS1_14partition_implILS5_8ELb0ES3_jPlPS6_PKS6_NS0_5tupleIJS9_S6_EEENSD_IJSA_SA_EEENS0_18inequality_wrapperIZN2at6native12_GLOBAL__N_124unique_dim_cuda_templateIdEESt5tupleIJNSH_6TensorESM_SM_EERKSM_lbbbEUlllE0_EEPmJS6_EEE10hipError_tPvRmT3_T4_T5_T6_T7_T9_mT8_P12ihipStream_tbDpT10_ENKUlT_T0_E_clISt17integral_constantIbLb1EES1B_IbLb0EEEEDaS17_S18_EUlS17_E_NS1_11comp_targetILNS1_3genE3ELNS1_11target_archE908ELNS1_3gpuE7ELNS1_3repE0EEENS1_30default_config_static_selectorELNS0_4arch9wavefront6targetE0EEEvT1_
                                        ; -- End function
	.section	.AMDGPU.csdata,"",@progbits
; Kernel info:
; codeLenInByte = 0
; NumSgprs: 0
; NumVgprs: 0
; ScratchSize: 0
; MemoryBound: 0
; FloatMode: 240
; IeeeMode: 1
; LDSByteSize: 0 bytes/workgroup (compile time only)
; SGPRBlocks: 0
; VGPRBlocks: 0
; NumSGPRsForWavesPerEU: 1
; NumVGPRsForWavesPerEU: 1
; Occupancy: 16
; WaveLimiterHint : 0
; COMPUTE_PGM_RSRC2:SCRATCH_EN: 0
; COMPUTE_PGM_RSRC2:USER_SGPR: 15
; COMPUTE_PGM_RSRC2:TRAP_HANDLER: 0
; COMPUTE_PGM_RSRC2:TGID_X_EN: 1
; COMPUTE_PGM_RSRC2:TGID_Y_EN: 0
; COMPUTE_PGM_RSRC2:TGID_Z_EN: 0
; COMPUTE_PGM_RSRC2:TIDIG_COMP_CNT: 0
	.section	.text._ZN7rocprim17ROCPRIM_400000_NS6detail17trampoline_kernelINS0_14default_configENS1_25partition_config_selectorILNS1_17partition_subalgoE8ElNS0_10empty_typeEbEEZZNS1_14partition_implILS5_8ELb0ES3_jPlPS6_PKS6_NS0_5tupleIJS9_S6_EEENSD_IJSA_SA_EEENS0_18inequality_wrapperIZN2at6native12_GLOBAL__N_124unique_dim_cuda_templateIdEESt5tupleIJNSH_6TensorESM_SM_EERKSM_lbbbEUlllE0_EEPmJS6_EEE10hipError_tPvRmT3_T4_T5_T6_T7_T9_mT8_P12ihipStream_tbDpT10_ENKUlT_T0_E_clISt17integral_constantIbLb1EES1B_IbLb0EEEEDaS17_S18_EUlS17_E_NS1_11comp_targetILNS1_3genE2ELNS1_11target_archE906ELNS1_3gpuE6ELNS1_3repE0EEENS1_30default_config_static_selectorELNS0_4arch9wavefront6targetE0EEEvT1_,"axG",@progbits,_ZN7rocprim17ROCPRIM_400000_NS6detail17trampoline_kernelINS0_14default_configENS1_25partition_config_selectorILNS1_17partition_subalgoE8ElNS0_10empty_typeEbEEZZNS1_14partition_implILS5_8ELb0ES3_jPlPS6_PKS6_NS0_5tupleIJS9_S6_EEENSD_IJSA_SA_EEENS0_18inequality_wrapperIZN2at6native12_GLOBAL__N_124unique_dim_cuda_templateIdEESt5tupleIJNSH_6TensorESM_SM_EERKSM_lbbbEUlllE0_EEPmJS6_EEE10hipError_tPvRmT3_T4_T5_T6_T7_T9_mT8_P12ihipStream_tbDpT10_ENKUlT_T0_E_clISt17integral_constantIbLb1EES1B_IbLb0EEEEDaS17_S18_EUlS17_E_NS1_11comp_targetILNS1_3genE2ELNS1_11target_archE906ELNS1_3gpuE6ELNS1_3repE0EEENS1_30default_config_static_selectorELNS0_4arch9wavefront6targetE0EEEvT1_,comdat
	.globl	_ZN7rocprim17ROCPRIM_400000_NS6detail17trampoline_kernelINS0_14default_configENS1_25partition_config_selectorILNS1_17partition_subalgoE8ElNS0_10empty_typeEbEEZZNS1_14partition_implILS5_8ELb0ES3_jPlPS6_PKS6_NS0_5tupleIJS9_S6_EEENSD_IJSA_SA_EEENS0_18inequality_wrapperIZN2at6native12_GLOBAL__N_124unique_dim_cuda_templateIdEESt5tupleIJNSH_6TensorESM_SM_EERKSM_lbbbEUlllE0_EEPmJS6_EEE10hipError_tPvRmT3_T4_T5_T6_T7_T9_mT8_P12ihipStream_tbDpT10_ENKUlT_T0_E_clISt17integral_constantIbLb1EES1B_IbLb0EEEEDaS17_S18_EUlS17_E_NS1_11comp_targetILNS1_3genE2ELNS1_11target_archE906ELNS1_3gpuE6ELNS1_3repE0EEENS1_30default_config_static_selectorELNS0_4arch9wavefront6targetE0EEEvT1_ ; -- Begin function _ZN7rocprim17ROCPRIM_400000_NS6detail17trampoline_kernelINS0_14default_configENS1_25partition_config_selectorILNS1_17partition_subalgoE8ElNS0_10empty_typeEbEEZZNS1_14partition_implILS5_8ELb0ES3_jPlPS6_PKS6_NS0_5tupleIJS9_S6_EEENSD_IJSA_SA_EEENS0_18inequality_wrapperIZN2at6native12_GLOBAL__N_124unique_dim_cuda_templateIdEESt5tupleIJNSH_6TensorESM_SM_EERKSM_lbbbEUlllE0_EEPmJS6_EEE10hipError_tPvRmT3_T4_T5_T6_T7_T9_mT8_P12ihipStream_tbDpT10_ENKUlT_T0_E_clISt17integral_constantIbLb1EES1B_IbLb0EEEEDaS17_S18_EUlS17_E_NS1_11comp_targetILNS1_3genE2ELNS1_11target_archE906ELNS1_3gpuE6ELNS1_3repE0EEENS1_30default_config_static_selectorELNS0_4arch9wavefront6targetE0EEEvT1_
	.p2align	8
	.type	_ZN7rocprim17ROCPRIM_400000_NS6detail17trampoline_kernelINS0_14default_configENS1_25partition_config_selectorILNS1_17partition_subalgoE8ElNS0_10empty_typeEbEEZZNS1_14partition_implILS5_8ELb0ES3_jPlPS6_PKS6_NS0_5tupleIJS9_S6_EEENSD_IJSA_SA_EEENS0_18inequality_wrapperIZN2at6native12_GLOBAL__N_124unique_dim_cuda_templateIdEESt5tupleIJNSH_6TensorESM_SM_EERKSM_lbbbEUlllE0_EEPmJS6_EEE10hipError_tPvRmT3_T4_T5_T6_T7_T9_mT8_P12ihipStream_tbDpT10_ENKUlT_T0_E_clISt17integral_constantIbLb1EES1B_IbLb0EEEEDaS17_S18_EUlS17_E_NS1_11comp_targetILNS1_3genE2ELNS1_11target_archE906ELNS1_3gpuE6ELNS1_3repE0EEENS1_30default_config_static_selectorELNS0_4arch9wavefront6targetE0EEEvT1_,@function
_ZN7rocprim17ROCPRIM_400000_NS6detail17trampoline_kernelINS0_14default_configENS1_25partition_config_selectorILNS1_17partition_subalgoE8ElNS0_10empty_typeEbEEZZNS1_14partition_implILS5_8ELb0ES3_jPlPS6_PKS6_NS0_5tupleIJS9_S6_EEENSD_IJSA_SA_EEENS0_18inequality_wrapperIZN2at6native12_GLOBAL__N_124unique_dim_cuda_templateIdEESt5tupleIJNSH_6TensorESM_SM_EERKSM_lbbbEUlllE0_EEPmJS6_EEE10hipError_tPvRmT3_T4_T5_T6_T7_T9_mT8_P12ihipStream_tbDpT10_ENKUlT_T0_E_clISt17integral_constantIbLb1EES1B_IbLb0EEEEDaS17_S18_EUlS17_E_NS1_11comp_targetILNS1_3genE2ELNS1_11target_archE906ELNS1_3gpuE6ELNS1_3repE0EEENS1_30default_config_static_selectorELNS0_4arch9wavefront6targetE0EEEvT1_: ; @_ZN7rocprim17ROCPRIM_400000_NS6detail17trampoline_kernelINS0_14default_configENS1_25partition_config_selectorILNS1_17partition_subalgoE8ElNS0_10empty_typeEbEEZZNS1_14partition_implILS5_8ELb0ES3_jPlPS6_PKS6_NS0_5tupleIJS9_S6_EEENSD_IJSA_SA_EEENS0_18inequality_wrapperIZN2at6native12_GLOBAL__N_124unique_dim_cuda_templateIdEESt5tupleIJNSH_6TensorESM_SM_EERKSM_lbbbEUlllE0_EEPmJS6_EEE10hipError_tPvRmT3_T4_T5_T6_T7_T9_mT8_P12ihipStream_tbDpT10_ENKUlT_T0_E_clISt17integral_constantIbLb1EES1B_IbLb0EEEEDaS17_S18_EUlS17_E_NS1_11comp_targetILNS1_3genE2ELNS1_11target_archE906ELNS1_3gpuE6ELNS1_3repE0EEENS1_30default_config_static_selectorELNS0_4arch9wavefront6targetE0EEEvT1_
; %bb.0:
	.section	.rodata,"a",@progbits
	.p2align	6, 0x0
	.amdhsa_kernel _ZN7rocprim17ROCPRIM_400000_NS6detail17trampoline_kernelINS0_14default_configENS1_25partition_config_selectorILNS1_17partition_subalgoE8ElNS0_10empty_typeEbEEZZNS1_14partition_implILS5_8ELb0ES3_jPlPS6_PKS6_NS0_5tupleIJS9_S6_EEENSD_IJSA_SA_EEENS0_18inequality_wrapperIZN2at6native12_GLOBAL__N_124unique_dim_cuda_templateIdEESt5tupleIJNSH_6TensorESM_SM_EERKSM_lbbbEUlllE0_EEPmJS6_EEE10hipError_tPvRmT3_T4_T5_T6_T7_T9_mT8_P12ihipStream_tbDpT10_ENKUlT_T0_E_clISt17integral_constantIbLb1EES1B_IbLb0EEEEDaS17_S18_EUlS17_E_NS1_11comp_targetILNS1_3genE2ELNS1_11target_archE906ELNS1_3gpuE6ELNS1_3repE0EEENS1_30default_config_static_selectorELNS0_4arch9wavefront6targetE0EEEvT1_
		.amdhsa_group_segment_fixed_size 0
		.amdhsa_private_segment_fixed_size 0
		.amdhsa_kernarg_size 120
		.amdhsa_user_sgpr_count 15
		.amdhsa_user_sgpr_dispatch_ptr 0
		.amdhsa_user_sgpr_queue_ptr 0
		.amdhsa_user_sgpr_kernarg_segment_ptr 1
		.amdhsa_user_sgpr_dispatch_id 0
		.amdhsa_user_sgpr_private_segment_size 0
		.amdhsa_wavefront_size32 1
		.amdhsa_uses_dynamic_stack 0
		.amdhsa_enable_private_segment 0
		.amdhsa_system_sgpr_workgroup_id_x 1
		.amdhsa_system_sgpr_workgroup_id_y 0
		.amdhsa_system_sgpr_workgroup_id_z 0
		.amdhsa_system_sgpr_workgroup_info 0
		.amdhsa_system_vgpr_workitem_id 0
		.amdhsa_next_free_vgpr 1
		.amdhsa_next_free_sgpr 1
		.amdhsa_reserve_vcc 0
		.amdhsa_float_round_mode_32 0
		.amdhsa_float_round_mode_16_64 0
		.amdhsa_float_denorm_mode_32 3
		.amdhsa_float_denorm_mode_16_64 3
		.amdhsa_dx10_clamp 1
		.amdhsa_ieee_mode 1
		.amdhsa_fp16_overflow 0
		.amdhsa_workgroup_processor_mode 1
		.amdhsa_memory_ordered 1
		.amdhsa_forward_progress 0
		.amdhsa_shared_vgpr_count 0
		.amdhsa_exception_fp_ieee_invalid_op 0
		.amdhsa_exception_fp_denorm_src 0
		.amdhsa_exception_fp_ieee_div_zero 0
		.amdhsa_exception_fp_ieee_overflow 0
		.amdhsa_exception_fp_ieee_underflow 0
		.amdhsa_exception_fp_ieee_inexact 0
		.amdhsa_exception_int_div_zero 0
	.end_amdhsa_kernel
	.section	.text._ZN7rocprim17ROCPRIM_400000_NS6detail17trampoline_kernelINS0_14default_configENS1_25partition_config_selectorILNS1_17partition_subalgoE8ElNS0_10empty_typeEbEEZZNS1_14partition_implILS5_8ELb0ES3_jPlPS6_PKS6_NS0_5tupleIJS9_S6_EEENSD_IJSA_SA_EEENS0_18inequality_wrapperIZN2at6native12_GLOBAL__N_124unique_dim_cuda_templateIdEESt5tupleIJNSH_6TensorESM_SM_EERKSM_lbbbEUlllE0_EEPmJS6_EEE10hipError_tPvRmT3_T4_T5_T6_T7_T9_mT8_P12ihipStream_tbDpT10_ENKUlT_T0_E_clISt17integral_constantIbLb1EES1B_IbLb0EEEEDaS17_S18_EUlS17_E_NS1_11comp_targetILNS1_3genE2ELNS1_11target_archE906ELNS1_3gpuE6ELNS1_3repE0EEENS1_30default_config_static_selectorELNS0_4arch9wavefront6targetE0EEEvT1_,"axG",@progbits,_ZN7rocprim17ROCPRIM_400000_NS6detail17trampoline_kernelINS0_14default_configENS1_25partition_config_selectorILNS1_17partition_subalgoE8ElNS0_10empty_typeEbEEZZNS1_14partition_implILS5_8ELb0ES3_jPlPS6_PKS6_NS0_5tupleIJS9_S6_EEENSD_IJSA_SA_EEENS0_18inequality_wrapperIZN2at6native12_GLOBAL__N_124unique_dim_cuda_templateIdEESt5tupleIJNSH_6TensorESM_SM_EERKSM_lbbbEUlllE0_EEPmJS6_EEE10hipError_tPvRmT3_T4_T5_T6_T7_T9_mT8_P12ihipStream_tbDpT10_ENKUlT_T0_E_clISt17integral_constantIbLb1EES1B_IbLb0EEEEDaS17_S18_EUlS17_E_NS1_11comp_targetILNS1_3genE2ELNS1_11target_archE906ELNS1_3gpuE6ELNS1_3repE0EEENS1_30default_config_static_selectorELNS0_4arch9wavefront6targetE0EEEvT1_,comdat
.Lfunc_end827:
	.size	_ZN7rocprim17ROCPRIM_400000_NS6detail17trampoline_kernelINS0_14default_configENS1_25partition_config_selectorILNS1_17partition_subalgoE8ElNS0_10empty_typeEbEEZZNS1_14partition_implILS5_8ELb0ES3_jPlPS6_PKS6_NS0_5tupleIJS9_S6_EEENSD_IJSA_SA_EEENS0_18inequality_wrapperIZN2at6native12_GLOBAL__N_124unique_dim_cuda_templateIdEESt5tupleIJNSH_6TensorESM_SM_EERKSM_lbbbEUlllE0_EEPmJS6_EEE10hipError_tPvRmT3_T4_T5_T6_T7_T9_mT8_P12ihipStream_tbDpT10_ENKUlT_T0_E_clISt17integral_constantIbLb1EES1B_IbLb0EEEEDaS17_S18_EUlS17_E_NS1_11comp_targetILNS1_3genE2ELNS1_11target_archE906ELNS1_3gpuE6ELNS1_3repE0EEENS1_30default_config_static_selectorELNS0_4arch9wavefront6targetE0EEEvT1_, .Lfunc_end827-_ZN7rocprim17ROCPRIM_400000_NS6detail17trampoline_kernelINS0_14default_configENS1_25partition_config_selectorILNS1_17partition_subalgoE8ElNS0_10empty_typeEbEEZZNS1_14partition_implILS5_8ELb0ES3_jPlPS6_PKS6_NS0_5tupleIJS9_S6_EEENSD_IJSA_SA_EEENS0_18inequality_wrapperIZN2at6native12_GLOBAL__N_124unique_dim_cuda_templateIdEESt5tupleIJNSH_6TensorESM_SM_EERKSM_lbbbEUlllE0_EEPmJS6_EEE10hipError_tPvRmT3_T4_T5_T6_T7_T9_mT8_P12ihipStream_tbDpT10_ENKUlT_T0_E_clISt17integral_constantIbLb1EES1B_IbLb0EEEEDaS17_S18_EUlS17_E_NS1_11comp_targetILNS1_3genE2ELNS1_11target_archE906ELNS1_3gpuE6ELNS1_3repE0EEENS1_30default_config_static_selectorELNS0_4arch9wavefront6targetE0EEEvT1_
                                        ; -- End function
	.section	.AMDGPU.csdata,"",@progbits
; Kernel info:
; codeLenInByte = 0
; NumSgprs: 0
; NumVgprs: 0
; ScratchSize: 0
; MemoryBound: 0
; FloatMode: 240
; IeeeMode: 1
; LDSByteSize: 0 bytes/workgroup (compile time only)
; SGPRBlocks: 0
; VGPRBlocks: 0
; NumSGPRsForWavesPerEU: 1
; NumVGPRsForWavesPerEU: 1
; Occupancy: 16
; WaveLimiterHint : 0
; COMPUTE_PGM_RSRC2:SCRATCH_EN: 0
; COMPUTE_PGM_RSRC2:USER_SGPR: 15
; COMPUTE_PGM_RSRC2:TRAP_HANDLER: 0
; COMPUTE_PGM_RSRC2:TGID_X_EN: 1
; COMPUTE_PGM_RSRC2:TGID_Y_EN: 0
; COMPUTE_PGM_RSRC2:TGID_Z_EN: 0
; COMPUTE_PGM_RSRC2:TIDIG_COMP_CNT: 0
	.section	.text._ZN7rocprim17ROCPRIM_400000_NS6detail17trampoline_kernelINS0_14default_configENS1_25partition_config_selectorILNS1_17partition_subalgoE8ElNS0_10empty_typeEbEEZZNS1_14partition_implILS5_8ELb0ES3_jPlPS6_PKS6_NS0_5tupleIJS9_S6_EEENSD_IJSA_SA_EEENS0_18inequality_wrapperIZN2at6native12_GLOBAL__N_124unique_dim_cuda_templateIdEESt5tupleIJNSH_6TensorESM_SM_EERKSM_lbbbEUlllE0_EEPmJS6_EEE10hipError_tPvRmT3_T4_T5_T6_T7_T9_mT8_P12ihipStream_tbDpT10_ENKUlT_T0_E_clISt17integral_constantIbLb1EES1B_IbLb0EEEEDaS17_S18_EUlS17_E_NS1_11comp_targetILNS1_3genE10ELNS1_11target_archE1200ELNS1_3gpuE4ELNS1_3repE0EEENS1_30default_config_static_selectorELNS0_4arch9wavefront6targetE0EEEvT1_,"axG",@progbits,_ZN7rocprim17ROCPRIM_400000_NS6detail17trampoline_kernelINS0_14default_configENS1_25partition_config_selectorILNS1_17partition_subalgoE8ElNS0_10empty_typeEbEEZZNS1_14partition_implILS5_8ELb0ES3_jPlPS6_PKS6_NS0_5tupleIJS9_S6_EEENSD_IJSA_SA_EEENS0_18inequality_wrapperIZN2at6native12_GLOBAL__N_124unique_dim_cuda_templateIdEESt5tupleIJNSH_6TensorESM_SM_EERKSM_lbbbEUlllE0_EEPmJS6_EEE10hipError_tPvRmT3_T4_T5_T6_T7_T9_mT8_P12ihipStream_tbDpT10_ENKUlT_T0_E_clISt17integral_constantIbLb1EES1B_IbLb0EEEEDaS17_S18_EUlS17_E_NS1_11comp_targetILNS1_3genE10ELNS1_11target_archE1200ELNS1_3gpuE4ELNS1_3repE0EEENS1_30default_config_static_selectorELNS0_4arch9wavefront6targetE0EEEvT1_,comdat
	.globl	_ZN7rocprim17ROCPRIM_400000_NS6detail17trampoline_kernelINS0_14default_configENS1_25partition_config_selectorILNS1_17partition_subalgoE8ElNS0_10empty_typeEbEEZZNS1_14partition_implILS5_8ELb0ES3_jPlPS6_PKS6_NS0_5tupleIJS9_S6_EEENSD_IJSA_SA_EEENS0_18inequality_wrapperIZN2at6native12_GLOBAL__N_124unique_dim_cuda_templateIdEESt5tupleIJNSH_6TensorESM_SM_EERKSM_lbbbEUlllE0_EEPmJS6_EEE10hipError_tPvRmT3_T4_T5_T6_T7_T9_mT8_P12ihipStream_tbDpT10_ENKUlT_T0_E_clISt17integral_constantIbLb1EES1B_IbLb0EEEEDaS17_S18_EUlS17_E_NS1_11comp_targetILNS1_3genE10ELNS1_11target_archE1200ELNS1_3gpuE4ELNS1_3repE0EEENS1_30default_config_static_selectorELNS0_4arch9wavefront6targetE0EEEvT1_ ; -- Begin function _ZN7rocprim17ROCPRIM_400000_NS6detail17trampoline_kernelINS0_14default_configENS1_25partition_config_selectorILNS1_17partition_subalgoE8ElNS0_10empty_typeEbEEZZNS1_14partition_implILS5_8ELb0ES3_jPlPS6_PKS6_NS0_5tupleIJS9_S6_EEENSD_IJSA_SA_EEENS0_18inequality_wrapperIZN2at6native12_GLOBAL__N_124unique_dim_cuda_templateIdEESt5tupleIJNSH_6TensorESM_SM_EERKSM_lbbbEUlllE0_EEPmJS6_EEE10hipError_tPvRmT3_T4_T5_T6_T7_T9_mT8_P12ihipStream_tbDpT10_ENKUlT_T0_E_clISt17integral_constantIbLb1EES1B_IbLb0EEEEDaS17_S18_EUlS17_E_NS1_11comp_targetILNS1_3genE10ELNS1_11target_archE1200ELNS1_3gpuE4ELNS1_3repE0EEENS1_30default_config_static_selectorELNS0_4arch9wavefront6targetE0EEEvT1_
	.p2align	8
	.type	_ZN7rocprim17ROCPRIM_400000_NS6detail17trampoline_kernelINS0_14default_configENS1_25partition_config_selectorILNS1_17partition_subalgoE8ElNS0_10empty_typeEbEEZZNS1_14partition_implILS5_8ELb0ES3_jPlPS6_PKS6_NS0_5tupleIJS9_S6_EEENSD_IJSA_SA_EEENS0_18inequality_wrapperIZN2at6native12_GLOBAL__N_124unique_dim_cuda_templateIdEESt5tupleIJNSH_6TensorESM_SM_EERKSM_lbbbEUlllE0_EEPmJS6_EEE10hipError_tPvRmT3_T4_T5_T6_T7_T9_mT8_P12ihipStream_tbDpT10_ENKUlT_T0_E_clISt17integral_constantIbLb1EES1B_IbLb0EEEEDaS17_S18_EUlS17_E_NS1_11comp_targetILNS1_3genE10ELNS1_11target_archE1200ELNS1_3gpuE4ELNS1_3repE0EEENS1_30default_config_static_selectorELNS0_4arch9wavefront6targetE0EEEvT1_,@function
_ZN7rocprim17ROCPRIM_400000_NS6detail17trampoline_kernelINS0_14default_configENS1_25partition_config_selectorILNS1_17partition_subalgoE8ElNS0_10empty_typeEbEEZZNS1_14partition_implILS5_8ELb0ES3_jPlPS6_PKS6_NS0_5tupleIJS9_S6_EEENSD_IJSA_SA_EEENS0_18inequality_wrapperIZN2at6native12_GLOBAL__N_124unique_dim_cuda_templateIdEESt5tupleIJNSH_6TensorESM_SM_EERKSM_lbbbEUlllE0_EEPmJS6_EEE10hipError_tPvRmT3_T4_T5_T6_T7_T9_mT8_P12ihipStream_tbDpT10_ENKUlT_T0_E_clISt17integral_constantIbLb1EES1B_IbLb0EEEEDaS17_S18_EUlS17_E_NS1_11comp_targetILNS1_3genE10ELNS1_11target_archE1200ELNS1_3gpuE4ELNS1_3repE0EEENS1_30default_config_static_selectorELNS0_4arch9wavefront6targetE0EEEvT1_: ; @_ZN7rocprim17ROCPRIM_400000_NS6detail17trampoline_kernelINS0_14default_configENS1_25partition_config_selectorILNS1_17partition_subalgoE8ElNS0_10empty_typeEbEEZZNS1_14partition_implILS5_8ELb0ES3_jPlPS6_PKS6_NS0_5tupleIJS9_S6_EEENSD_IJSA_SA_EEENS0_18inequality_wrapperIZN2at6native12_GLOBAL__N_124unique_dim_cuda_templateIdEESt5tupleIJNSH_6TensorESM_SM_EERKSM_lbbbEUlllE0_EEPmJS6_EEE10hipError_tPvRmT3_T4_T5_T6_T7_T9_mT8_P12ihipStream_tbDpT10_ENKUlT_T0_E_clISt17integral_constantIbLb1EES1B_IbLb0EEEEDaS17_S18_EUlS17_E_NS1_11comp_targetILNS1_3genE10ELNS1_11target_archE1200ELNS1_3gpuE4ELNS1_3repE0EEENS1_30default_config_static_selectorELNS0_4arch9wavefront6targetE0EEEvT1_
; %bb.0:
	.section	.rodata,"a",@progbits
	.p2align	6, 0x0
	.amdhsa_kernel _ZN7rocprim17ROCPRIM_400000_NS6detail17trampoline_kernelINS0_14default_configENS1_25partition_config_selectorILNS1_17partition_subalgoE8ElNS0_10empty_typeEbEEZZNS1_14partition_implILS5_8ELb0ES3_jPlPS6_PKS6_NS0_5tupleIJS9_S6_EEENSD_IJSA_SA_EEENS0_18inequality_wrapperIZN2at6native12_GLOBAL__N_124unique_dim_cuda_templateIdEESt5tupleIJNSH_6TensorESM_SM_EERKSM_lbbbEUlllE0_EEPmJS6_EEE10hipError_tPvRmT3_T4_T5_T6_T7_T9_mT8_P12ihipStream_tbDpT10_ENKUlT_T0_E_clISt17integral_constantIbLb1EES1B_IbLb0EEEEDaS17_S18_EUlS17_E_NS1_11comp_targetILNS1_3genE10ELNS1_11target_archE1200ELNS1_3gpuE4ELNS1_3repE0EEENS1_30default_config_static_selectorELNS0_4arch9wavefront6targetE0EEEvT1_
		.amdhsa_group_segment_fixed_size 0
		.amdhsa_private_segment_fixed_size 0
		.amdhsa_kernarg_size 120
		.amdhsa_user_sgpr_count 15
		.amdhsa_user_sgpr_dispatch_ptr 0
		.amdhsa_user_sgpr_queue_ptr 0
		.amdhsa_user_sgpr_kernarg_segment_ptr 1
		.amdhsa_user_sgpr_dispatch_id 0
		.amdhsa_user_sgpr_private_segment_size 0
		.amdhsa_wavefront_size32 1
		.amdhsa_uses_dynamic_stack 0
		.amdhsa_enable_private_segment 0
		.amdhsa_system_sgpr_workgroup_id_x 1
		.amdhsa_system_sgpr_workgroup_id_y 0
		.amdhsa_system_sgpr_workgroup_id_z 0
		.amdhsa_system_sgpr_workgroup_info 0
		.amdhsa_system_vgpr_workitem_id 0
		.amdhsa_next_free_vgpr 1
		.amdhsa_next_free_sgpr 1
		.amdhsa_reserve_vcc 0
		.amdhsa_float_round_mode_32 0
		.amdhsa_float_round_mode_16_64 0
		.amdhsa_float_denorm_mode_32 3
		.amdhsa_float_denorm_mode_16_64 3
		.amdhsa_dx10_clamp 1
		.amdhsa_ieee_mode 1
		.amdhsa_fp16_overflow 0
		.amdhsa_workgroup_processor_mode 1
		.amdhsa_memory_ordered 1
		.amdhsa_forward_progress 0
		.amdhsa_shared_vgpr_count 0
		.amdhsa_exception_fp_ieee_invalid_op 0
		.amdhsa_exception_fp_denorm_src 0
		.amdhsa_exception_fp_ieee_div_zero 0
		.amdhsa_exception_fp_ieee_overflow 0
		.amdhsa_exception_fp_ieee_underflow 0
		.amdhsa_exception_fp_ieee_inexact 0
		.amdhsa_exception_int_div_zero 0
	.end_amdhsa_kernel
	.section	.text._ZN7rocprim17ROCPRIM_400000_NS6detail17trampoline_kernelINS0_14default_configENS1_25partition_config_selectorILNS1_17partition_subalgoE8ElNS0_10empty_typeEbEEZZNS1_14partition_implILS5_8ELb0ES3_jPlPS6_PKS6_NS0_5tupleIJS9_S6_EEENSD_IJSA_SA_EEENS0_18inequality_wrapperIZN2at6native12_GLOBAL__N_124unique_dim_cuda_templateIdEESt5tupleIJNSH_6TensorESM_SM_EERKSM_lbbbEUlllE0_EEPmJS6_EEE10hipError_tPvRmT3_T4_T5_T6_T7_T9_mT8_P12ihipStream_tbDpT10_ENKUlT_T0_E_clISt17integral_constantIbLb1EES1B_IbLb0EEEEDaS17_S18_EUlS17_E_NS1_11comp_targetILNS1_3genE10ELNS1_11target_archE1200ELNS1_3gpuE4ELNS1_3repE0EEENS1_30default_config_static_selectorELNS0_4arch9wavefront6targetE0EEEvT1_,"axG",@progbits,_ZN7rocprim17ROCPRIM_400000_NS6detail17trampoline_kernelINS0_14default_configENS1_25partition_config_selectorILNS1_17partition_subalgoE8ElNS0_10empty_typeEbEEZZNS1_14partition_implILS5_8ELb0ES3_jPlPS6_PKS6_NS0_5tupleIJS9_S6_EEENSD_IJSA_SA_EEENS0_18inequality_wrapperIZN2at6native12_GLOBAL__N_124unique_dim_cuda_templateIdEESt5tupleIJNSH_6TensorESM_SM_EERKSM_lbbbEUlllE0_EEPmJS6_EEE10hipError_tPvRmT3_T4_T5_T6_T7_T9_mT8_P12ihipStream_tbDpT10_ENKUlT_T0_E_clISt17integral_constantIbLb1EES1B_IbLb0EEEEDaS17_S18_EUlS17_E_NS1_11comp_targetILNS1_3genE10ELNS1_11target_archE1200ELNS1_3gpuE4ELNS1_3repE0EEENS1_30default_config_static_selectorELNS0_4arch9wavefront6targetE0EEEvT1_,comdat
.Lfunc_end828:
	.size	_ZN7rocprim17ROCPRIM_400000_NS6detail17trampoline_kernelINS0_14default_configENS1_25partition_config_selectorILNS1_17partition_subalgoE8ElNS0_10empty_typeEbEEZZNS1_14partition_implILS5_8ELb0ES3_jPlPS6_PKS6_NS0_5tupleIJS9_S6_EEENSD_IJSA_SA_EEENS0_18inequality_wrapperIZN2at6native12_GLOBAL__N_124unique_dim_cuda_templateIdEESt5tupleIJNSH_6TensorESM_SM_EERKSM_lbbbEUlllE0_EEPmJS6_EEE10hipError_tPvRmT3_T4_T5_T6_T7_T9_mT8_P12ihipStream_tbDpT10_ENKUlT_T0_E_clISt17integral_constantIbLb1EES1B_IbLb0EEEEDaS17_S18_EUlS17_E_NS1_11comp_targetILNS1_3genE10ELNS1_11target_archE1200ELNS1_3gpuE4ELNS1_3repE0EEENS1_30default_config_static_selectorELNS0_4arch9wavefront6targetE0EEEvT1_, .Lfunc_end828-_ZN7rocprim17ROCPRIM_400000_NS6detail17trampoline_kernelINS0_14default_configENS1_25partition_config_selectorILNS1_17partition_subalgoE8ElNS0_10empty_typeEbEEZZNS1_14partition_implILS5_8ELb0ES3_jPlPS6_PKS6_NS0_5tupleIJS9_S6_EEENSD_IJSA_SA_EEENS0_18inequality_wrapperIZN2at6native12_GLOBAL__N_124unique_dim_cuda_templateIdEESt5tupleIJNSH_6TensorESM_SM_EERKSM_lbbbEUlllE0_EEPmJS6_EEE10hipError_tPvRmT3_T4_T5_T6_T7_T9_mT8_P12ihipStream_tbDpT10_ENKUlT_T0_E_clISt17integral_constantIbLb1EES1B_IbLb0EEEEDaS17_S18_EUlS17_E_NS1_11comp_targetILNS1_3genE10ELNS1_11target_archE1200ELNS1_3gpuE4ELNS1_3repE0EEENS1_30default_config_static_selectorELNS0_4arch9wavefront6targetE0EEEvT1_
                                        ; -- End function
	.section	.AMDGPU.csdata,"",@progbits
; Kernel info:
; codeLenInByte = 0
; NumSgprs: 0
; NumVgprs: 0
; ScratchSize: 0
; MemoryBound: 0
; FloatMode: 240
; IeeeMode: 1
; LDSByteSize: 0 bytes/workgroup (compile time only)
; SGPRBlocks: 0
; VGPRBlocks: 0
; NumSGPRsForWavesPerEU: 1
; NumVGPRsForWavesPerEU: 1
; Occupancy: 15
; WaveLimiterHint : 0
; COMPUTE_PGM_RSRC2:SCRATCH_EN: 0
; COMPUTE_PGM_RSRC2:USER_SGPR: 15
; COMPUTE_PGM_RSRC2:TRAP_HANDLER: 0
; COMPUTE_PGM_RSRC2:TGID_X_EN: 1
; COMPUTE_PGM_RSRC2:TGID_Y_EN: 0
; COMPUTE_PGM_RSRC2:TGID_Z_EN: 0
; COMPUTE_PGM_RSRC2:TIDIG_COMP_CNT: 0
	.section	.text._ZN7rocprim17ROCPRIM_400000_NS6detail17trampoline_kernelINS0_14default_configENS1_25partition_config_selectorILNS1_17partition_subalgoE8ElNS0_10empty_typeEbEEZZNS1_14partition_implILS5_8ELb0ES3_jPlPS6_PKS6_NS0_5tupleIJS9_S6_EEENSD_IJSA_SA_EEENS0_18inequality_wrapperIZN2at6native12_GLOBAL__N_124unique_dim_cuda_templateIdEESt5tupleIJNSH_6TensorESM_SM_EERKSM_lbbbEUlllE0_EEPmJS6_EEE10hipError_tPvRmT3_T4_T5_T6_T7_T9_mT8_P12ihipStream_tbDpT10_ENKUlT_T0_E_clISt17integral_constantIbLb1EES1B_IbLb0EEEEDaS17_S18_EUlS17_E_NS1_11comp_targetILNS1_3genE9ELNS1_11target_archE1100ELNS1_3gpuE3ELNS1_3repE0EEENS1_30default_config_static_selectorELNS0_4arch9wavefront6targetE0EEEvT1_,"axG",@progbits,_ZN7rocprim17ROCPRIM_400000_NS6detail17trampoline_kernelINS0_14default_configENS1_25partition_config_selectorILNS1_17partition_subalgoE8ElNS0_10empty_typeEbEEZZNS1_14partition_implILS5_8ELb0ES3_jPlPS6_PKS6_NS0_5tupleIJS9_S6_EEENSD_IJSA_SA_EEENS0_18inequality_wrapperIZN2at6native12_GLOBAL__N_124unique_dim_cuda_templateIdEESt5tupleIJNSH_6TensorESM_SM_EERKSM_lbbbEUlllE0_EEPmJS6_EEE10hipError_tPvRmT3_T4_T5_T6_T7_T9_mT8_P12ihipStream_tbDpT10_ENKUlT_T0_E_clISt17integral_constantIbLb1EES1B_IbLb0EEEEDaS17_S18_EUlS17_E_NS1_11comp_targetILNS1_3genE9ELNS1_11target_archE1100ELNS1_3gpuE3ELNS1_3repE0EEENS1_30default_config_static_selectorELNS0_4arch9wavefront6targetE0EEEvT1_,comdat
	.globl	_ZN7rocprim17ROCPRIM_400000_NS6detail17trampoline_kernelINS0_14default_configENS1_25partition_config_selectorILNS1_17partition_subalgoE8ElNS0_10empty_typeEbEEZZNS1_14partition_implILS5_8ELb0ES3_jPlPS6_PKS6_NS0_5tupleIJS9_S6_EEENSD_IJSA_SA_EEENS0_18inequality_wrapperIZN2at6native12_GLOBAL__N_124unique_dim_cuda_templateIdEESt5tupleIJNSH_6TensorESM_SM_EERKSM_lbbbEUlllE0_EEPmJS6_EEE10hipError_tPvRmT3_T4_T5_T6_T7_T9_mT8_P12ihipStream_tbDpT10_ENKUlT_T0_E_clISt17integral_constantIbLb1EES1B_IbLb0EEEEDaS17_S18_EUlS17_E_NS1_11comp_targetILNS1_3genE9ELNS1_11target_archE1100ELNS1_3gpuE3ELNS1_3repE0EEENS1_30default_config_static_selectorELNS0_4arch9wavefront6targetE0EEEvT1_ ; -- Begin function _ZN7rocprim17ROCPRIM_400000_NS6detail17trampoline_kernelINS0_14default_configENS1_25partition_config_selectorILNS1_17partition_subalgoE8ElNS0_10empty_typeEbEEZZNS1_14partition_implILS5_8ELb0ES3_jPlPS6_PKS6_NS0_5tupleIJS9_S6_EEENSD_IJSA_SA_EEENS0_18inequality_wrapperIZN2at6native12_GLOBAL__N_124unique_dim_cuda_templateIdEESt5tupleIJNSH_6TensorESM_SM_EERKSM_lbbbEUlllE0_EEPmJS6_EEE10hipError_tPvRmT3_T4_T5_T6_T7_T9_mT8_P12ihipStream_tbDpT10_ENKUlT_T0_E_clISt17integral_constantIbLb1EES1B_IbLb0EEEEDaS17_S18_EUlS17_E_NS1_11comp_targetILNS1_3genE9ELNS1_11target_archE1100ELNS1_3gpuE3ELNS1_3repE0EEENS1_30default_config_static_selectorELNS0_4arch9wavefront6targetE0EEEvT1_
	.p2align	8
	.type	_ZN7rocprim17ROCPRIM_400000_NS6detail17trampoline_kernelINS0_14default_configENS1_25partition_config_selectorILNS1_17partition_subalgoE8ElNS0_10empty_typeEbEEZZNS1_14partition_implILS5_8ELb0ES3_jPlPS6_PKS6_NS0_5tupleIJS9_S6_EEENSD_IJSA_SA_EEENS0_18inequality_wrapperIZN2at6native12_GLOBAL__N_124unique_dim_cuda_templateIdEESt5tupleIJNSH_6TensorESM_SM_EERKSM_lbbbEUlllE0_EEPmJS6_EEE10hipError_tPvRmT3_T4_T5_T6_T7_T9_mT8_P12ihipStream_tbDpT10_ENKUlT_T0_E_clISt17integral_constantIbLb1EES1B_IbLb0EEEEDaS17_S18_EUlS17_E_NS1_11comp_targetILNS1_3genE9ELNS1_11target_archE1100ELNS1_3gpuE3ELNS1_3repE0EEENS1_30default_config_static_selectorELNS0_4arch9wavefront6targetE0EEEvT1_,@function
_ZN7rocprim17ROCPRIM_400000_NS6detail17trampoline_kernelINS0_14default_configENS1_25partition_config_selectorILNS1_17partition_subalgoE8ElNS0_10empty_typeEbEEZZNS1_14partition_implILS5_8ELb0ES3_jPlPS6_PKS6_NS0_5tupleIJS9_S6_EEENSD_IJSA_SA_EEENS0_18inequality_wrapperIZN2at6native12_GLOBAL__N_124unique_dim_cuda_templateIdEESt5tupleIJNSH_6TensorESM_SM_EERKSM_lbbbEUlllE0_EEPmJS6_EEE10hipError_tPvRmT3_T4_T5_T6_T7_T9_mT8_P12ihipStream_tbDpT10_ENKUlT_T0_E_clISt17integral_constantIbLb1EES1B_IbLb0EEEEDaS17_S18_EUlS17_E_NS1_11comp_targetILNS1_3genE9ELNS1_11target_archE1100ELNS1_3gpuE3ELNS1_3repE0EEENS1_30default_config_static_selectorELNS0_4arch9wavefront6targetE0EEEvT1_: ; @_ZN7rocprim17ROCPRIM_400000_NS6detail17trampoline_kernelINS0_14default_configENS1_25partition_config_selectorILNS1_17partition_subalgoE8ElNS0_10empty_typeEbEEZZNS1_14partition_implILS5_8ELb0ES3_jPlPS6_PKS6_NS0_5tupleIJS9_S6_EEENSD_IJSA_SA_EEENS0_18inequality_wrapperIZN2at6native12_GLOBAL__N_124unique_dim_cuda_templateIdEESt5tupleIJNSH_6TensorESM_SM_EERKSM_lbbbEUlllE0_EEPmJS6_EEE10hipError_tPvRmT3_T4_T5_T6_T7_T9_mT8_P12ihipStream_tbDpT10_ENKUlT_T0_E_clISt17integral_constantIbLb1EES1B_IbLb0EEEEDaS17_S18_EUlS17_E_NS1_11comp_targetILNS1_3genE9ELNS1_11target_archE1100ELNS1_3gpuE3ELNS1_3repE0EEENS1_30default_config_static_selectorELNS0_4arch9wavefront6targetE0EEEvT1_
; %bb.0:
	s_clause 0x3
	s_load_b128 s[4:7], s[0:1], 0x8
	s_load_b256 s[16:23], s[0:1], 0x40
	s_load_b32 s14, s[0:1], 0x70
	s_load_b128 s[8:11], s[0:1], 0x60
	s_mov_b32 s3, 0
	v_lshlrev_b32_e32 v39, 3, v0
	v_lshrrev_b32_e32 v17, 2, v0
	v_or_b32_e32 v24, 0x200, v0
	v_or_b32_e32 v22, 0x400, v0
	;; [unrolled: 1-line block ×7, first 2 shown]
	s_waitcnt lgkmcnt(0)
	s_lshl_b64 s[24:25], s[6:7], 3
	s_load_b64 s[12:13], s[18:19], 0x0
	s_add_u32 s26, s4, s24
	s_addc_u32 s5, s5, s25
	s_add_i32 s24, s14, -1
	s_lshl_b32 s14, s14, 12
	s_lshl_b32 s4, s24, 12
	;; [unrolled: 1-line block ×3, first 2 shown]
	s_add_i32 s4, s6, s4
	s_add_u32 s18, s6, s14
	s_addc_u32 s19, s7, 0
	s_cmp_eq_u32 s15, s24
	v_cmp_ge_u64_e64 s18, s[18:19], s[20:21]
	s_cselect_b32 s14, -1, 0
	s_lshl_b64 s[2:3], s[2:3], 3
	s_delay_alu instid0(VALU_DEP_1) | instskip(NEXT) | instid1(SALU_CYCLE_1)
	s_and_b32 s24, s14, s18
	s_xor_b32 s21, s24, -1
	s_add_u32 s2, s26, s2
	s_addc_u32 s3, s5, s3
	s_and_b32 vcc_lo, exec_lo, s21
	s_mov_b32 s5, -1
	s_cbranch_vccz .LBB829_2
; %bb.1:
	v_add_co_u32 v9, s5, s2, v39
	s_delay_alu instid0(VALU_DEP_1)
	v_add_co_ci_u32_e64 v10, null, s3, 0, s5
	global_load_b64 v[1:2], v39, s[2:3]
	v_add_co_u32 v3, vcc_lo, v9, 0x2000
	v_add_co_ci_u32_e32 v4, vcc_lo, 0, v10, vcc_lo
	v_add_co_u32 v5, vcc_lo, v9, 0x4000
	v_add_co_ci_u32_e32 v6, vcc_lo, 0, v10, vcc_lo
	;; [unrolled: 2-line block ×4, first 2 shown]
	s_clause 0x6
	global_load_b64 v[11:12], v[3:4], off offset:-4096
	global_load_b64 v[3:4], v[3:4], off
	global_load_b64 v[13:14], v[5:6], off offset:-4096
	global_load_b64 v[5:6], v[5:6], off
	;; [unrolled: 2-line block ×3, first 2 shown]
	global_load_b64 v[9:10], v[9:10], off
	v_lshrrev_b32_e32 v26, 2, v24
	v_lshrrev_b32_e32 v27, 2, v22
	;; [unrolled: 1-line block ×4, first 2 shown]
	v_and_b32_e32 v25, 0x78, v17
	v_lshrrev_b32_e32 v30, 2, v20
	v_lshrrev_b32_e32 v31, 2, v19
	;; [unrolled: 1-line block ×3, first 2 shown]
	v_and_b32_e32 v26, 0xf8, v26
	v_and_b32_e32 v27, 0x178, v27
	;; [unrolled: 1-line block ×4, first 2 shown]
	v_add_nc_u32_e32 v25, v25, v39
	v_and_b32_e32 v30, 0x2f8, v30
	v_and_b32_e32 v31, 0x378, v31
	;; [unrolled: 1-line block ×3, first 2 shown]
	v_add_nc_u32_e32 v26, v26, v39
	v_add_nc_u32_e32 v27, v27, v39
	;; [unrolled: 1-line block ×4, first 2 shown]
	s_mov_b32 s5, 0
	v_add_nc_u32_e32 v30, v30, v39
	v_add_nc_u32_e32 v31, v31, v39
	;; [unrolled: 1-line block ×3, first 2 shown]
	s_waitcnt vmcnt(7)
	ds_store_b64 v25, v[1:2]
	s_waitcnt vmcnt(6)
	ds_store_b64 v26, v[11:12] offset:4096
	s_waitcnt vmcnt(5)
	ds_store_b64 v27, v[3:4] offset:8192
	;; [unrolled: 2-line block ×7, first 2 shown]
	s_waitcnt lgkmcnt(0)
	s_barrier
.LBB829_2:
	s_and_not1_b32 vcc_lo, exec_lo, s5
	s_sub_i32 s20, s20, s4
	s_cbranch_vccnz .LBB829_13
; %bb.3:
	s_mov_b32 s4, exec_lo
                                        ; implicit-def: $vgpr1_vgpr2_vgpr3_vgpr4_vgpr5_vgpr6_vgpr7_vgpr8_vgpr9_vgpr10_vgpr11_vgpr12_vgpr13_vgpr14_vgpr15_vgpr16
	v_cmpx_gt_u32_e64 s20, v0
	s_cbranch_execnz .LBB829_23
; %bb.4:
	s_or_b32 exec_lo, exec_lo, s4
	s_delay_alu instid0(SALU_CYCLE_1)
	s_mov_b32 s4, exec_lo
	v_cmpx_gt_u32_e64 s20, v24
	s_cbranch_execnz .LBB829_24
.LBB829_5:
	s_or_b32 exec_lo, exec_lo, s4
	s_delay_alu instid0(SALU_CYCLE_1)
	s_mov_b32 s4, exec_lo
	v_cmpx_gt_u32_e64 s20, v22
	s_cbranch_execnz .LBB829_25
.LBB829_6:
	s_or_b32 exec_lo, exec_lo, s4
	s_delay_alu instid0(SALU_CYCLE_1)
	s_mov_b32 s4, exec_lo
	v_cmpx_gt_u32_e64 s20, v23
	s_cbranch_execnz .LBB829_26
.LBB829_7:
	s_or_b32 exec_lo, exec_lo, s4
	s_delay_alu instid0(SALU_CYCLE_1)
	s_mov_b32 s4, exec_lo
	v_cmpx_gt_u32_e64 s20, v21
	s_cbranch_execnz .LBB829_27
.LBB829_8:
	s_or_b32 exec_lo, exec_lo, s4
	s_delay_alu instid0(SALU_CYCLE_1)
	s_mov_b32 s4, exec_lo
	v_cmpx_gt_u32_e64 s20, v20
	s_cbranch_execnz .LBB829_28
.LBB829_9:
	s_or_b32 exec_lo, exec_lo, s4
	s_delay_alu instid0(SALU_CYCLE_1)
	s_mov_b32 s4, exec_lo
	v_cmpx_gt_u32_e64 s20, v19
	s_cbranch_execnz .LBB829_29
.LBB829_10:
	s_or_b32 exec_lo, exec_lo, s4
	s_delay_alu instid0(SALU_CYCLE_1)
	s_mov_b32 s4, exec_lo
	v_cmpx_gt_u32_e64 s20, v18
	s_cbranch_execz .LBB829_12
.LBB829_11:
	v_lshlrev_b32_e32 v15, 3, v18
	global_load_b64 v[15:16], v15, s[2:3]
.LBB829_12:
	s_or_b32 exec_lo, exec_lo, s4
	v_lshrrev_b32_e32 v24, 2, v24
	v_lshrrev_b32_e32 v22, 2, v22
	v_lshrrev_b32_e32 v23, 2, v23
	v_lshrrev_b32_e32 v21, 2, v21
	v_and_b32_e32 v25, 0x78, v17
	v_lshrrev_b32_e32 v20, 2, v20
	v_lshrrev_b32_e32 v19, 2, v19
	v_lshrrev_b32_e32 v18, 2, v18
	v_and_b32_e32 v24, 0xf8, v24
	v_and_b32_e32 v22, 0x1f8, v22
	;; [unrolled: 1-line block ×4, first 2 shown]
	v_add_nc_u32_e32 v25, v25, v39
	v_and_b32_e32 v20, 0x3f8, v20
	v_and_b32_e32 v19, 0x3f8, v19
	;; [unrolled: 1-line block ×3, first 2 shown]
	v_add_nc_u32_e32 v24, v24, v39
	v_add_nc_u32_e32 v22, v22, v39
	;; [unrolled: 1-line block ×7, first 2 shown]
	s_waitcnt vmcnt(0)
	ds_store_b64 v25, v[1:2]
	ds_store_b64 v24, v[3:4] offset:4096
	ds_store_b64 v22, v[5:6] offset:8192
	;; [unrolled: 1-line block ×7, first 2 shown]
	s_waitcnt lgkmcnt(0)
	s_barrier
.LBB829_13:
	v_add_lshl_u32 v1, v17, v39, 3
	s_waitcnt lgkmcnt(0)
	buffer_gl0_inv
	s_cmp_lg_u32 s15, 0
	v_cmp_gt_i64_e64 s26, s[22:23], 0
	s_cselect_b32 s25, -1, 0
	ds_load_2addr_b64 v[13:16], v1 offset1:1
	ds_load_2addr_b64 v[9:12], v1 offset0:2 offset1:3
	ds_load_2addr_b64 v[5:8], v1 offset0:4 offset1:5
	;; [unrolled: 1-line block ×3, first 2 shown]
	s_cmp_lg_u64 s[6:7], 0
	s_mov_b32 s18, 0
	s_cselect_b32 s4, -1, 0
	s_waitcnt lgkmcnt(0)
	s_or_b32 s4, s25, s4
	s_barrier
	s_and_b32 vcc_lo, exec_lo, s4
	buffer_gl0_inv
	s_cbranch_vccz .LBB829_22
; %bb.14:
	s_add_u32 s2, s2, -8
	s_addc_u32 s3, s3, -1
	v_cndmask_b32_e64 v25, 0, 1, s26
	s_load_b64 s[4:5], s[2:3], 0x0
	s_and_b32 vcc_lo, exec_lo, s21
	ds_store_b64 v39, v[3:4]
	v_cmp_ne_u32_e64 s2, 1, v25
	s_cbranch_vccz .LBB829_30
; %bb.15:
	v_mul_lo_u32 v19, v2, s22
	v_mul_lo_u32 v20, v1, s23
	v_mad_u64_u32 v[17:18], null, v1, s22, 0
	s_mov_b32 s3, 0
	s_and_b32 vcc_lo, exec_lo, s2
	s_mov_b32 s27, 0
	s_delay_alu instid0(VALU_DEP_1) | instskip(NEXT) | instid1(VALU_DEP_1)
	v_add3_u32 v18, v18, v20, v19
	v_lshlrev_b64 v[17:18], 3, v[17:18]
	s_cbranch_vccnz .LBB829_33
; %bb.16:
	v_mul_lo_u32 v21, v4, s22
	v_mul_lo_u32 v22, v3, s23
	v_mad_u64_u32 v[19:20], null, v3, s22, 0
	s_mov_b32 s27, -1
	s_mov_b32 s28, exec_lo
	s_delay_alu instid0(VALU_DEP_1) | instskip(SKIP_2) | instid1(VALU_DEP_3)
	v_add3_u32 v20, v20, v22, v21
	v_add_co_u32 v21, vcc_lo, s8, v17
	v_add_co_ci_u32_e32 v22, vcc_lo, s9, v18, vcc_lo
	v_lshlrev_b64 v[19:20], 3, v[19:20]
	s_delay_alu instid0(VALU_DEP_1) | instskip(NEXT) | instid1(VALU_DEP_2)
	v_add_co_u32 v19, vcc_lo, s8, v19
	v_add_co_ci_u32_e32 v20, vcc_lo, s9, v20, vcc_lo
	s_clause 0x1
	global_load_b64 v[23:24], v[21:22], off
	global_load_b64 v[26:27], v[19:20], off
	s_waitcnt vmcnt(0)
	v_cmpx_eq_f64_e32 v[23:24], v[26:27]
	s_cbranch_execz .LBB829_32
; %bb.17:
	v_add_co_u32 v19, vcc_lo, v19, 8
	v_add_co_ci_u32_e32 v20, vcc_lo, 0, v20, vcc_lo
	v_add_co_u32 v21, vcc_lo, v21, 8
	v_add_co_ci_u32_e32 v22, vcc_lo, 0, v22, vcc_lo
	s_add_u32 s6, s22, -1
	s_addc_u32 s7, s23, -1
	s_mov_b64 s[18:19], 0
	s_mov_b32 s27, 0
                                        ; implicit-def: $sgpr29
	s_set_inst_prefetch_distance 0x1
	s_branch .LBB829_20
	.p2align	6
.LBB829_18:                             ;   in Loop: Header=BB829_20 Depth=1
	global_load_b64 v[23:24], v[21:22], off
	global_load_b64 v[26:27], v[19:20], off
	v_add_co_u32 v19, s2, v19, 8
	s_delay_alu instid0(VALU_DEP_1) | instskip(SKIP_1) | instid1(VALU_DEP_1)
	v_add_co_ci_u32_e64 v20, s2, 0, v20, s2
	v_add_co_u32 v21, s2, v21, 8
	v_add_co_ci_u32_e64 v22, s2, 0, v22, s2
	s_add_u32 s18, s18, 1
	s_addc_u32 s19, s19, 0
	s_and_not1_b32 s2, s29, exec_lo
	s_waitcnt vmcnt(0)
	v_cmp_neq_f64_e32 vcc_lo, v[23:24], v[26:27]
	s_and_b32 s29, vcc_lo, exec_lo
	s_delay_alu instid0(SALU_CYCLE_1)
	s_or_b32 s29, s2, s29
.LBB829_19:                             ;   in Loop: Header=BB829_20 Depth=1
	v_dual_mov_b32 v24, s19 :: v_dual_mov_b32 v23, s18
	s_and_b32 s2, exec_lo, s29
	s_delay_alu instid0(SALU_CYCLE_1) | instskip(NEXT) | instid1(SALU_CYCLE_1)
	s_or_b32 s27, s2, s27
	s_and_not1_b32 exec_lo, exec_lo, s27
	s_cbranch_execz .LBB829_31
.LBB829_20:                             ; =>This Inner Loop Header: Depth=1
	s_or_b32 s29, s29, exec_lo
	s_cmp_eq_u64 s[6:7], s[18:19]
	s_cbranch_scc0 .LBB829_18
; %bb.21:                               ;   in Loop: Header=BB829_20 Depth=1
	s_mov_b64 s[18:19], s[22:23]
                                        ; implicit-def: $vgpr19_vgpr20
                                        ; implicit-def: $vgpr21_vgpr22
	s_branch .LBB829_19
.LBB829_22:
                                        ; implicit-def: $sgpr2
                                        ; implicit-def: $vgpr18
	s_branch .LBB829_191
.LBB829_23:
	global_load_b64 v[1:2], v39, s[2:3]
	s_or_b32 exec_lo, exec_lo, s4
	s_delay_alu instid0(SALU_CYCLE_1)
	s_mov_b32 s4, exec_lo
	v_cmpx_gt_u32_e64 s20, v24
	s_cbranch_execz .LBB829_5
.LBB829_24:
	v_lshlrev_b32_e32 v3, 3, v24
	global_load_b64 v[3:4], v3, s[2:3]
	s_or_b32 exec_lo, exec_lo, s4
	s_delay_alu instid0(SALU_CYCLE_1)
	s_mov_b32 s4, exec_lo
	v_cmpx_gt_u32_e64 s20, v22
	s_cbranch_execz .LBB829_6
.LBB829_25:
	v_lshlrev_b32_e32 v5, 3, v22
	global_load_b64 v[5:6], v5, s[2:3]
	s_or_b32 exec_lo, exec_lo, s4
	s_delay_alu instid0(SALU_CYCLE_1)
	s_mov_b32 s4, exec_lo
	v_cmpx_gt_u32_e64 s20, v23
	s_cbranch_execz .LBB829_7
.LBB829_26:
	v_lshlrev_b32_e32 v7, 3, v23
	global_load_b64 v[7:8], v7, s[2:3]
	s_or_b32 exec_lo, exec_lo, s4
	s_delay_alu instid0(SALU_CYCLE_1)
	s_mov_b32 s4, exec_lo
	v_cmpx_gt_u32_e64 s20, v21
	s_cbranch_execz .LBB829_8
.LBB829_27:
	v_lshlrev_b32_e32 v9, 3, v21
	global_load_b64 v[9:10], v9, s[2:3]
	s_or_b32 exec_lo, exec_lo, s4
	s_delay_alu instid0(SALU_CYCLE_1)
	s_mov_b32 s4, exec_lo
	v_cmpx_gt_u32_e64 s20, v20
	s_cbranch_execz .LBB829_9
.LBB829_28:
	v_lshlrev_b32_e32 v11, 3, v20
	global_load_b64 v[11:12], v11, s[2:3]
	s_or_b32 exec_lo, exec_lo, s4
	s_delay_alu instid0(SALU_CYCLE_1)
	s_mov_b32 s4, exec_lo
	v_cmpx_gt_u32_e64 s20, v19
	s_cbranch_execz .LBB829_10
.LBB829_29:
	v_lshlrev_b32_e32 v13, 3, v19
	global_load_b64 v[13:14], v13, s[2:3]
	s_or_b32 exec_lo, exec_lo, s4
	s_delay_alu instid0(SALU_CYCLE_1)
	s_mov_b32 s4, exec_lo
	v_cmpx_gt_u32_e64 s20, v18
	s_cbranch_execnz .LBB829_11
	s_branch .LBB829_12
.LBB829_30:
                                        ; implicit-def: $sgpr2
                                        ; implicit-def: $vgpr18
	s_cbranch_execnz .LBB829_99
	s_branch .LBB829_190
.LBB829_31:
	s_set_inst_prefetch_distance 0x2
	s_or_b32 exec_lo, exec_lo, s27
	v_cmp_gt_i64_e32 vcc_lo, s[22:23], v[23:24]
	s_or_not1_b32 s27, vcc_lo, exec_lo
.LBB829_32:
	s_or_b32 exec_lo, exec_lo, s28
.LBB829_33:
	v_mul_lo_u32 v21, v8, s22
	v_mul_lo_u32 v22, v7, s23
	v_mad_u64_u32 v[19:20], null, v7, s22, 0
	s_and_not1_b32 vcc_lo, exec_lo, s26
	s_delay_alu instid0(VALU_DEP_1) | instskip(NEXT) | instid1(VALU_DEP_1)
	v_add3_u32 v20, v20, v22, v21
	v_lshlrev_b64 v[19:20], 3, v[19:20]
	s_cbranch_vccnz .LBB829_42
; %bb.34:
	s_delay_alu instid0(VALU_DEP_1) | instskip(NEXT) | instid1(VALU_DEP_2)
	v_add_co_u32 v21, vcc_lo, s8, v19
	v_add_co_ci_u32_e32 v22, vcc_lo, s9, v20, vcc_lo
	v_add_co_u32 v17, vcc_lo, s8, v17
	v_add_co_ci_u32_e32 v18, vcc_lo, s9, v18, vcc_lo
	s_mov_b32 s3, -1
	s_clause 0x1
	global_load_b64 v[23:24], v[21:22], off
	global_load_b64 v[26:27], v[17:18], off
	s_mov_b32 s28, exec_lo
	s_waitcnt vmcnt(0)
	v_cmpx_eq_f64_e32 v[23:24], v[26:27]
	s_cbranch_execz .LBB829_41
; %bb.35:
	v_add_co_u32 v17, vcc_lo, v17, 8
	v_add_co_ci_u32_e32 v18, vcc_lo, 0, v18, vcc_lo
	v_add_co_u32 v21, vcc_lo, v21, 8
	v_add_co_ci_u32_e32 v22, vcc_lo, 0, v22, vcc_lo
	s_add_u32 s6, s22, -1
	s_addc_u32 s7, s23, -1
	s_mov_b64 s[18:19], 0
	s_mov_b32 s3, 0
                                        ; implicit-def: $sgpr29
	s_set_inst_prefetch_distance 0x1
	s_branch .LBB829_38
	.p2align	6
.LBB829_36:                             ;   in Loop: Header=BB829_38 Depth=1
	global_load_b64 v[23:24], v[21:22], off
	global_load_b64 v[26:27], v[17:18], off
	v_add_co_u32 v17, s2, v17, 8
	s_delay_alu instid0(VALU_DEP_1) | instskip(SKIP_1) | instid1(VALU_DEP_1)
	v_add_co_ci_u32_e64 v18, s2, 0, v18, s2
	v_add_co_u32 v21, s2, v21, 8
	v_add_co_ci_u32_e64 v22, s2, 0, v22, s2
	s_add_u32 s18, s18, 1
	s_addc_u32 s19, s19, 0
	s_and_not1_b32 s2, s29, exec_lo
	s_waitcnt vmcnt(0)
	v_cmp_neq_f64_e32 vcc_lo, v[23:24], v[26:27]
	s_and_b32 s29, vcc_lo, exec_lo
	s_delay_alu instid0(SALU_CYCLE_1)
	s_or_b32 s29, s2, s29
.LBB829_37:                             ;   in Loop: Header=BB829_38 Depth=1
	v_dual_mov_b32 v24, s19 :: v_dual_mov_b32 v23, s18
	s_and_b32 s2, exec_lo, s29
	s_delay_alu instid0(SALU_CYCLE_1) | instskip(NEXT) | instid1(SALU_CYCLE_1)
	s_or_b32 s3, s2, s3
	s_and_not1_b32 exec_lo, exec_lo, s3
	s_cbranch_execz .LBB829_40
.LBB829_38:                             ; =>This Inner Loop Header: Depth=1
	s_or_b32 s29, s29, exec_lo
	s_cmp_eq_u64 s[6:7], s[18:19]
	s_cbranch_scc0 .LBB829_36
; %bb.39:                               ;   in Loop: Header=BB829_38 Depth=1
	s_mov_b64 s[18:19], s[22:23]
                                        ; implicit-def: $vgpr17_vgpr18
                                        ; implicit-def: $vgpr21_vgpr22
	s_branch .LBB829_37
.LBB829_40:
	s_set_inst_prefetch_distance 0x2
	s_or_b32 exec_lo, exec_lo, s3
	v_cmp_gt_i64_e32 vcc_lo, s[22:23], v[23:24]
	s_or_not1_b32 s3, vcc_lo, exec_lo
.LBB829_41:
	s_or_b32 exec_lo, exec_lo, s28
.LBB829_42:
	v_mul_lo_u32 v21, v6, s22
	v_mul_lo_u32 v22, v5, s23
	v_mad_u64_u32 v[17:18], null, v5, s22, 0
	s_mov_b32 s28, 0
	s_and_not1_b32 vcc_lo, exec_lo, s26
	s_mov_b32 s29, 0
	s_delay_alu instid0(VALU_DEP_1) | instskip(NEXT) | instid1(VALU_DEP_1)
	v_add3_u32 v18, v18, v22, v21
	v_lshlrev_b64 v[21:22], 3, v[17:18]
	s_cbranch_vccnz .LBB829_51
; %bb.43:
	s_delay_alu instid0(VALU_DEP_1) | instskip(NEXT) | instid1(VALU_DEP_2)
	v_add_co_u32 v23, vcc_lo, s8, v21
	v_add_co_ci_u32_e32 v24, vcc_lo, s9, v22, vcc_lo
	v_add_co_u32 v17, vcc_lo, s8, v19
	v_add_co_ci_u32_e32 v18, vcc_lo, s9, v20, vcc_lo
	s_mov_b32 s29, -1
	s_clause 0x1
	global_load_b64 v[19:20], v[23:24], off
	global_load_b64 v[26:27], v[17:18], off
	s_mov_b32 s30, exec_lo
	s_waitcnt vmcnt(0)
	v_cmpx_eq_f64_e32 v[19:20], v[26:27]
	s_cbranch_execz .LBB829_50
; %bb.44:
	v_add_co_u32 v17, vcc_lo, v17, 8
	v_add_co_ci_u32_e32 v18, vcc_lo, 0, v18, vcc_lo
	v_add_co_u32 v19, vcc_lo, v23, 8
	v_add_co_ci_u32_e32 v20, vcc_lo, 0, v24, vcc_lo
	s_add_u32 s6, s22, -1
	s_addc_u32 s7, s23, -1
	s_mov_b64 s[18:19], 0
	s_mov_b32 s29, 0
                                        ; implicit-def: $sgpr31
	s_set_inst_prefetch_distance 0x1
	s_branch .LBB829_47
	.p2align	6
.LBB829_45:                             ;   in Loop: Header=BB829_47 Depth=1
	global_load_b64 v[23:24], v[19:20], off
	global_load_b64 v[26:27], v[17:18], off
	v_add_co_u32 v17, s2, v17, 8
	s_delay_alu instid0(VALU_DEP_1) | instskip(SKIP_1) | instid1(VALU_DEP_1)
	v_add_co_ci_u32_e64 v18, s2, 0, v18, s2
	v_add_co_u32 v19, s2, v19, 8
	v_add_co_ci_u32_e64 v20, s2, 0, v20, s2
	s_add_u32 s18, s18, 1
	s_addc_u32 s19, s19, 0
	s_and_not1_b32 s2, s31, exec_lo
	s_waitcnt vmcnt(0)
	v_cmp_neq_f64_e32 vcc_lo, v[23:24], v[26:27]
	s_and_b32 s31, vcc_lo, exec_lo
	s_delay_alu instid0(SALU_CYCLE_1)
	s_or_b32 s31, s2, s31
.LBB829_46:                             ;   in Loop: Header=BB829_47 Depth=1
	v_dual_mov_b32 v24, s19 :: v_dual_mov_b32 v23, s18
	s_and_b32 s2, exec_lo, s31
	s_delay_alu instid0(SALU_CYCLE_1) | instskip(NEXT) | instid1(SALU_CYCLE_1)
	s_or_b32 s29, s2, s29
	s_and_not1_b32 exec_lo, exec_lo, s29
	s_cbranch_execz .LBB829_49
.LBB829_47:                             ; =>This Inner Loop Header: Depth=1
	s_or_b32 s31, s31, exec_lo
	s_cmp_eq_u64 s[6:7], s[18:19]
	s_cbranch_scc0 .LBB829_45
; %bb.48:                               ;   in Loop: Header=BB829_47 Depth=1
	s_mov_b64 s[18:19], s[22:23]
                                        ; implicit-def: $vgpr17_vgpr18
                                        ; implicit-def: $vgpr19_vgpr20
	s_branch .LBB829_46
.LBB829_49:
	s_set_inst_prefetch_distance 0x2
	s_or_b32 exec_lo, exec_lo, s29
	v_cmp_gt_i64_e32 vcc_lo, s[22:23], v[23:24]
	s_or_not1_b32 s29, vcc_lo, exec_lo
.LBB829_50:
	s_or_b32 exec_lo, exec_lo, s30
.LBB829_51:
	v_mul_lo_u32 v19, v12, s22
	v_mul_lo_u32 v20, v11, s23
	v_mad_u64_u32 v[17:18], null, v11, s22, 0
	s_and_not1_b32 vcc_lo, exec_lo, s26
	s_delay_alu instid0(VALU_DEP_1) | instskip(NEXT) | instid1(VALU_DEP_1)
	v_add3_u32 v18, v18, v20, v19
	v_lshlrev_b64 v[17:18], 3, v[17:18]
	s_cbranch_vccnz .LBB829_60
; %bb.52:
	s_delay_alu instid0(VALU_DEP_1) | instskip(NEXT) | instid1(VALU_DEP_2)
	v_add_co_u32 v23, vcc_lo, s8, v17
	v_add_co_ci_u32_e32 v24, vcc_lo, s9, v18, vcc_lo
	v_add_co_u32 v19, vcc_lo, s8, v21
	v_add_co_ci_u32_e32 v20, vcc_lo, s9, v22, vcc_lo
	s_mov_b32 s28, -1
	s_clause 0x1
	global_load_b64 v[21:22], v[23:24], off
	global_load_b64 v[26:27], v[19:20], off
	s_mov_b32 s30, exec_lo
	s_waitcnt vmcnt(0)
	v_cmpx_eq_f64_e32 v[21:22], v[26:27]
	s_cbranch_execz .LBB829_59
; %bb.53:
	v_add_co_u32 v19, vcc_lo, v19, 8
	v_add_co_ci_u32_e32 v20, vcc_lo, 0, v20, vcc_lo
	v_add_co_u32 v21, vcc_lo, v23, 8
	v_add_co_ci_u32_e32 v22, vcc_lo, 0, v24, vcc_lo
	s_add_u32 s6, s22, -1
	s_addc_u32 s7, s23, -1
	s_mov_b64 s[18:19], 0
	s_mov_b32 s28, 0
                                        ; implicit-def: $sgpr31
	s_set_inst_prefetch_distance 0x1
	s_branch .LBB829_56
	.p2align	6
.LBB829_54:                             ;   in Loop: Header=BB829_56 Depth=1
	global_load_b64 v[23:24], v[21:22], off
	global_load_b64 v[26:27], v[19:20], off
	v_add_co_u32 v19, s2, v19, 8
	s_delay_alu instid0(VALU_DEP_1) | instskip(SKIP_1) | instid1(VALU_DEP_1)
	v_add_co_ci_u32_e64 v20, s2, 0, v20, s2
	v_add_co_u32 v21, s2, v21, 8
	v_add_co_ci_u32_e64 v22, s2, 0, v22, s2
	s_add_u32 s18, s18, 1
	s_addc_u32 s19, s19, 0
	s_and_not1_b32 s2, s31, exec_lo
	s_waitcnt vmcnt(0)
	v_cmp_neq_f64_e32 vcc_lo, v[23:24], v[26:27]
	s_and_b32 s31, vcc_lo, exec_lo
	s_delay_alu instid0(SALU_CYCLE_1)
	s_or_b32 s31, s2, s31
.LBB829_55:                             ;   in Loop: Header=BB829_56 Depth=1
	v_dual_mov_b32 v24, s19 :: v_dual_mov_b32 v23, s18
	s_and_b32 s2, exec_lo, s31
	s_delay_alu instid0(SALU_CYCLE_1) | instskip(NEXT) | instid1(SALU_CYCLE_1)
	s_or_b32 s28, s2, s28
	s_and_not1_b32 exec_lo, exec_lo, s28
	s_cbranch_execz .LBB829_58
.LBB829_56:                             ; =>This Inner Loop Header: Depth=1
	s_or_b32 s31, s31, exec_lo
	s_cmp_eq_u64 s[6:7], s[18:19]
	s_cbranch_scc0 .LBB829_54
; %bb.57:                               ;   in Loop: Header=BB829_56 Depth=1
	s_mov_b64 s[18:19], s[22:23]
                                        ; implicit-def: $vgpr19_vgpr20
                                        ; implicit-def: $vgpr21_vgpr22
	s_branch .LBB829_55
.LBB829_58:
	s_set_inst_prefetch_distance 0x2
	s_or_b32 exec_lo, exec_lo, s28
	v_cmp_gt_i64_e32 vcc_lo, s[22:23], v[23:24]
	s_or_not1_b32 s28, vcc_lo, exec_lo
.LBB829_59:
	s_or_b32 exec_lo, exec_lo, s30
.LBB829_60:
	v_mul_lo_u32 v21, v10, s22
	v_mul_lo_u32 v22, v9, s23
	v_mad_u64_u32 v[19:20], null, v9, s22, 0
	s_mov_b32 s30, 0
	s_and_not1_b32 vcc_lo, exec_lo, s26
	s_mov_b32 s31, 0
	s_delay_alu instid0(VALU_DEP_1) | instskip(NEXT) | instid1(VALU_DEP_1)
	v_add3_u32 v20, v20, v22, v21
	v_lshlrev_b64 v[21:22], 3, v[19:20]
	s_cbranch_vccnz .LBB829_69
; %bb.61:
	s_delay_alu instid0(VALU_DEP_1) | instskip(NEXT) | instid1(VALU_DEP_2)
	v_add_co_u32 v19, vcc_lo, s8, v21
	v_add_co_ci_u32_e32 v20, vcc_lo, s9, v22, vcc_lo
	v_add_co_u32 v17, vcc_lo, s8, v17
	v_add_co_ci_u32_e32 v18, vcc_lo, s9, v18, vcc_lo
	s_mov_b32 s31, -1
	s_clause 0x1
	global_load_b64 v[23:24], v[19:20], off
	global_load_b64 v[26:27], v[17:18], off
	s_mov_b32 s33, exec_lo
	s_waitcnt vmcnt(0)
	v_cmpx_eq_f64_e32 v[23:24], v[26:27]
	s_cbranch_execz .LBB829_68
; %bb.62:
	v_add_co_u32 v17, vcc_lo, v17, 8
	v_add_co_ci_u32_e32 v18, vcc_lo, 0, v18, vcc_lo
	v_add_co_u32 v19, vcc_lo, v19, 8
	v_add_co_ci_u32_e32 v20, vcc_lo, 0, v20, vcc_lo
	s_add_u32 s6, s22, -1
	s_addc_u32 s7, s23, -1
	s_mov_b64 s[18:19], 0
	s_mov_b32 s31, 0
                                        ; implicit-def: $sgpr34
	s_set_inst_prefetch_distance 0x1
	s_branch .LBB829_65
	.p2align	6
.LBB829_63:                             ;   in Loop: Header=BB829_65 Depth=1
	global_load_b64 v[23:24], v[19:20], off
	global_load_b64 v[26:27], v[17:18], off
	v_add_co_u32 v17, s2, v17, 8
	s_delay_alu instid0(VALU_DEP_1) | instskip(SKIP_1) | instid1(VALU_DEP_1)
	v_add_co_ci_u32_e64 v18, s2, 0, v18, s2
	v_add_co_u32 v19, s2, v19, 8
	v_add_co_ci_u32_e64 v20, s2, 0, v20, s2
	s_add_u32 s18, s18, 1
	s_addc_u32 s19, s19, 0
	s_and_not1_b32 s2, s34, exec_lo
	s_waitcnt vmcnt(0)
	v_cmp_neq_f64_e32 vcc_lo, v[23:24], v[26:27]
	s_and_b32 s34, vcc_lo, exec_lo
	s_delay_alu instid0(SALU_CYCLE_1)
	s_or_b32 s34, s2, s34
.LBB829_64:                             ;   in Loop: Header=BB829_65 Depth=1
	v_dual_mov_b32 v24, s19 :: v_dual_mov_b32 v23, s18
	s_and_b32 s2, exec_lo, s34
	s_delay_alu instid0(SALU_CYCLE_1) | instskip(NEXT) | instid1(SALU_CYCLE_1)
	s_or_b32 s31, s2, s31
	s_and_not1_b32 exec_lo, exec_lo, s31
	s_cbranch_execz .LBB829_67
.LBB829_65:                             ; =>This Inner Loop Header: Depth=1
	s_or_b32 s34, s34, exec_lo
	s_cmp_eq_u64 s[6:7], s[18:19]
	s_cbranch_scc0 .LBB829_63
; %bb.66:                               ;   in Loop: Header=BB829_65 Depth=1
	s_mov_b64 s[18:19], s[22:23]
                                        ; implicit-def: $vgpr17_vgpr18
                                        ; implicit-def: $vgpr19_vgpr20
	s_branch .LBB829_64
.LBB829_67:
	s_set_inst_prefetch_distance 0x2
	s_or_b32 exec_lo, exec_lo, s31
	v_cmp_gt_i64_e32 vcc_lo, s[22:23], v[23:24]
	s_or_not1_b32 s31, vcc_lo, exec_lo
.LBB829_68:
	s_or_b32 exec_lo, exec_lo, s33
.LBB829_69:
	v_mul_lo_u32 v19, v16, s22
	v_mul_lo_u32 v20, v15, s23
	v_mad_u64_u32 v[17:18], null, v15, s22, 0
	s_and_not1_b32 vcc_lo, exec_lo, s26
	s_delay_alu instid0(VALU_DEP_1) | instskip(NEXT) | instid1(VALU_DEP_1)
	v_add3_u32 v18, v18, v20, v19
	v_lshlrev_b64 v[19:20], 3, v[17:18]
	s_cbranch_vccnz .LBB829_78
; %bb.70:
	s_delay_alu instid0(VALU_DEP_1) | instskip(NEXT) | instid1(VALU_DEP_2)
	v_add_co_u32 v23, vcc_lo, s8, v19
	v_add_co_ci_u32_e32 v24, vcc_lo, s9, v20, vcc_lo
	v_add_co_u32 v17, vcc_lo, s8, v21
	v_add_co_ci_u32_e32 v18, vcc_lo, s9, v22, vcc_lo
	s_mov_b32 s30, -1
	s_clause 0x1
	global_load_b64 v[21:22], v[23:24], off
	global_load_b64 v[26:27], v[17:18], off
	s_mov_b32 s33, exec_lo
	s_waitcnt vmcnt(0)
	v_cmpx_eq_f64_e32 v[21:22], v[26:27]
	s_cbranch_execz .LBB829_77
; %bb.71:
	v_add_co_u32 v17, vcc_lo, v17, 8
	v_add_co_ci_u32_e32 v18, vcc_lo, 0, v18, vcc_lo
	v_add_co_u32 v21, vcc_lo, v23, 8
	v_add_co_ci_u32_e32 v22, vcc_lo, 0, v24, vcc_lo
	s_add_u32 s6, s22, -1
	s_addc_u32 s7, s23, -1
	s_mov_b64 s[18:19], 0
	s_mov_b32 s30, 0
                                        ; implicit-def: $sgpr34
	s_set_inst_prefetch_distance 0x1
	s_branch .LBB829_74
	.p2align	6
.LBB829_72:                             ;   in Loop: Header=BB829_74 Depth=1
	global_load_b64 v[23:24], v[21:22], off
	global_load_b64 v[26:27], v[17:18], off
	v_add_co_u32 v17, s2, v17, 8
	s_delay_alu instid0(VALU_DEP_1) | instskip(SKIP_1) | instid1(VALU_DEP_1)
	v_add_co_ci_u32_e64 v18, s2, 0, v18, s2
	v_add_co_u32 v21, s2, v21, 8
	v_add_co_ci_u32_e64 v22, s2, 0, v22, s2
	s_add_u32 s18, s18, 1
	s_addc_u32 s19, s19, 0
	s_and_not1_b32 s2, s34, exec_lo
	s_waitcnt vmcnt(0)
	v_cmp_neq_f64_e32 vcc_lo, v[23:24], v[26:27]
	s_and_b32 s34, vcc_lo, exec_lo
	s_delay_alu instid0(SALU_CYCLE_1)
	s_or_b32 s34, s2, s34
.LBB829_73:                             ;   in Loop: Header=BB829_74 Depth=1
	v_dual_mov_b32 v24, s19 :: v_dual_mov_b32 v23, s18
	s_and_b32 s2, exec_lo, s34
	s_delay_alu instid0(SALU_CYCLE_1) | instskip(NEXT) | instid1(SALU_CYCLE_1)
	s_or_b32 s30, s2, s30
	s_and_not1_b32 exec_lo, exec_lo, s30
	s_cbranch_execz .LBB829_76
.LBB829_74:                             ; =>This Inner Loop Header: Depth=1
	s_or_b32 s34, s34, exec_lo
	s_cmp_eq_u64 s[6:7], s[18:19]
	s_cbranch_scc0 .LBB829_72
; %bb.75:                               ;   in Loop: Header=BB829_74 Depth=1
	s_mov_b64 s[18:19], s[22:23]
                                        ; implicit-def: $vgpr17_vgpr18
                                        ; implicit-def: $vgpr21_vgpr22
	s_branch .LBB829_73
.LBB829_76:
	s_set_inst_prefetch_distance 0x2
	s_or_b32 exec_lo, exec_lo, s30
	v_cmp_gt_i64_e32 vcc_lo, s[22:23], v[23:24]
	s_or_not1_b32 s30, vcc_lo, exec_lo
.LBB829_77:
	s_or_b32 exec_lo, exec_lo, s33
.LBB829_78:
	v_mul_lo_u32 v21, v14, s22
	v_mul_lo_u32 v22, v13, s23
	v_mad_u64_u32 v[17:18], null, v13, s22, 0
	s_and_not1_b32 vcc_lo, exec_lo, s26
	s_mov_b32 s2, 0
	s_delay_alu instid0(VALU_DEP_1) | instskip(NEXT) | instid1(VALU_DEP_1)
	v_add3_u32 v18, v18, v22, v21
	v_lshlrev_b64 v[17:18], 3, v[17:18]
	s_cbranch_vccnz .LBB829_87
; %bb.79:
	s_delay_alu instid0(VALU_DEP_1) | instskip(NEXT) | instid1(VALU_DEP_2)
	v_add_co_u32 v21, vcc_lo, s8, v17
	v_add_co_ci_u32_e32 v22, vcc_lo, s9, v18, vcc_lo
	v_add_co_u32 v19, vcc_lo, s8, v19
	v_add_co_ci_u32_e32 v20, vcc_lo, s9, v20, vcc_lo
	s_mov_b32 s2, -1
	s_clause 0x1
	global_load_b64 v[23:24], v[21:22], off
	global_load_b64 v[26:27], v[19:20], off
	s_mov_b32 s33, exec_lo
	s_waitcnt vmcnt(0)
	v_cmpx_eq_f64_e32 v[23:24], v[26:27]
	s_cbranch_execz .LBB829_86
; %bb.80:
	v_add_co_u32 v19, vcc_lo, v19, 8
	v_add_co_ci_u32_e32 v20, vcc_lo, 0, v20, vcc_lo
	v_add_co_u32 v21, vcc_lo, v21, 8
	v_add_co_ci_u32_e32 v22, vcc_lo, 0, v22, vcc_lo
	s_add_u32 s6, s22, -1
	s_addc_u32 s7, s23, -1
	s_mov_b64 s[18:19], 0
	s_mov_b32 s34, 0
                                        ; implicit-def: $sgpr35
	s_set_inst_prefetch_distance 0x1
	s_branch .LBB829_83
	.p2align	6
.LBB829_81:                             ;   in Loop: Header=BB829_83 Depth=1
	global_load_b64 v[23:24], v[21:22], off
	global_load_b64 v[26:27], v[19:20], off
	v_add_co_u32 v19, s2, v19, 8
	s_delay_alu instid0(VALU_DEP_1) | instskip(SKIP_1) | instid1(VALU_DEP_1)
	v_add_co_ci_u32_e64 v20, s2, 0, v20, s2
	v_add_co_u32 v21, s2, v21, 8
	v_add_co_ci_u32_e64 v22, s2, 0, v22, s2
	s_add_u32 s18, s18, 1
	s_addc_u32 s19, s19, 0
	s_and_not1_b32 s2, s35, exec_lo
	s_waitcnt vmcnt(0)
	v_cmp_neq_f64_e32 vcc_lo, v[23:24], v[26:27]
	s_and_b32 s35, vcc_lo, exec_lo
	s_delay_alu instid0(SALU_CYCLE_1)
	s_or_b32 s35, s2, s35
.LBB829_82:                             ;   in Loop: Header=BB829_83 Depth=1
	v_dual_mov_b32 v24, s19 :: v_dual_mov_b32 v23, s18
	s_and_b32 s2, exec_lo, s35
	s_delay_alu instid0(SALU_CYCLE_1) | instskip(NEXT) | instid1(SALU_CYCLE_1)
	s_or_b32 s34, s2, s34
	s_and_not1_b32 exec_lo, exec_lo, s34
	s_cbranch_execz .LBB829_85
.LBB829_83:                             ; =>This Inner Loop Header: Depth=1
	s_or_b32 s35, s35, exec_lo
	s_cmp_eq_u64 s[6:7], s[18:19]
	s_cbranch_scc0 .LBB829_81
; %bb.84:                               ;   in Loop: Header=BB829_83 Depth=1
	s_mov_b64 s[18:19], s[22:23]
                                        ; implicit-def: $vgpr19_vgpr20
                                        ; implicit-def: $vgpr21_vgpr22
	s_branch .LBB829_82
.LBB829_85:
	s_set_inst_prefetch_distance 0x2
	s_or_b32 exec_lo, exec_lo, s34
	v_cmp_gt_i64_e32 vcc_lo, s[22:23], v[23:24]
	s_or_not1_b32 s2, vcc_lo, exec_lo
.LBB829_86:
	s_or_b32 exec_lo, exec_lo, s33
.LBB829_87:
	s_waitcnt lgkmcnt(0)
	v_dual_mov_b32 v20, s5 :: v_dual_mov_b32 v19, s4
	s_mov_b32 s6, exec_lo
	s_barrier
	buffer_gl0_inv
	v_cmpx_ne_u32_e32 0, v0
	s_cbranch_execz .LBB829_89
; %bb.88:
	v_add_nc_u32_e32 v19, -8, v39
	ds_load_b64 v[19:20], v19
.LBB829_89:
	s_or_b32 exec_lo, exec_lo, s6
	v_cndmask_b32_e64 v22, 0, 1, s31
	v_cndmask_b32_e64 v24, 0, 1, s29
	;; [unrolled: 1-line block ×7, first 2 shown]
	v_lshlrev_b16 v22, 8, v22
	v_lshlrev_b16 v24, 8, v24
	;; [unrolled: 1-line block ×4, first 2 shown]
	s_mov_b32 s3, 0
	v_or_b32_e32 v21, v21, v22
	v_or_b32_e32 v22, v23, v24
	;; [unrolled: 1-line block ×3, first 2 shown]
	v_and_b32_e32 v23, 0xffff, v27
	s_and_not1_b32 vcc_lo, exec_lo, s26
	v_lshlrev_b32_e32 v24, 16, v21
	v_and_b32_e32 v26, 0xffff, v22
	v_lshlrev_b32_e32 v27, 16, v28
	s_mov_b32 s2, 0
	s_cbranch_vccnz .LBB829_98
; %bb.90:
	s_waitcnt lgkmcnt(0)
	v_mul_lo_u32 v22, v20, s22
	v_mul_lo_u32 v28, v19, s23
	v_mad_u64_u32 v[20:21], null, v19, s22, 0
	s_mov_b32 s2, -1
	s_mov_b32 s27, exec_lo
	s_delay_alu instid0(VALU_DEP_1) | instskip(NEXT) | instid1(VALU_DEP_1)
	v_add3_u32 v21, v21, v28, v22
	v_lshlrev_b64 v[19:20], 3, v[20:21]
	s_delay_alu instid0(VALU_DEP_1) | instskip(NEXT) | instid1(VALU_DEP_2)
	v_add_co_u32 v19, vcc_lo, s8, v19
	v_add_co_ci_u32_e32 v20, vcc_lo, s9, v20, vcc_lo
	v_add_co_u32 v17, vcc_lo, s8, v17
	v_add_co_ci_u32_e32 v18, vcc_lo, s9, v18, vcc_lo
	s_clause 0x1
	global_load_b64 v[21:22], v[19:20], off
	global_load_b64 v[28:29], v[17:18], off
	s_waitcnt vmcnt(0)
	v_cmpx_eq_f64_e32 v[21:22], v[28:29]
	s_cbranch_execz .LBB829_97
; %bb.91:
	v_add_co_u32 v17, vcc_lo, v17, 8
	v_add_co_ci_u32_e32 v18, vcc_lo, 0, v18, vcc_lo
	v_add_co_u32 v19, vcc_lo, v19, 8
	v_add_co_ci_u32_e32 v20, vcc_lo, 0, v20, vcc_lo
	s_add_u32 s6, s22, -1
	s_addc_u32 s7, s23, -1
	s_mov_b64 s[18:19], 0
	s_mov_b32 s28, 0
                                        ; implicit-def: $sgpr29
	s_set_inst_prefetch_distance 0x1
	s_branch .LBB829_94
	.p2align	6
.LBB829_92:                             ;   in Loop: Header=BB829_94 Depth=1
	global_load_b64 v[21:22], v[19:20], off
	global_load_b64 v[28:29], v[17:18], off
	v_add_co_u32 v17, s2, v17, 8
	s_delay_alu instid0(VALU_DEP_1) | instskip(SKIP_1) | instid1(VALU_DEP_1)
	v_add_co_ci_u32_e64 v18, s2, 0, v18, s2
	v_add_co_u32 v19, s2, v19, 8
	v_add_co_ci_u32_e64 v20, s2, 0, v20, s2
	s_add_u32 s18, s18, 1
	s_addc_u32 s19, s19, 0
	s_and_not1_b32 s2, s29, exec_lo
	s_waitcnt vmcnt(0)
	v_cmp_neq_f64_e32 vcc_lo, v[21:22], v[28:29]
	s_and_b32 s29, vcc_lo, exec_lo
	s_delay_alu instid0(SALU_CYCLE_1)
	s_or_b32 s29, s2, s29
.LBB829_93:                             ;   in Loop: Header=BB829_94 Depth=1
	v_dual_mov_b32 v22, s19 :: v_dual_mov_b32 v21, s18
	s_and_b32 s2, exec_lo, s29
	s_delay_alu instid0(SALU_CYCLE_1) | instskip(NEXT) | instid1(SALU_CYCLE_1)
	s_or_b32 s28, s2, s28
	s_and_not1_b32 exec_lo, exec_lo, s28
	s_cbranch_execz .LBB829_96
.LBB829_94:                             ; =>This Inner Loop Header: Depth=1
	s_or_b32 s29, s29, exec_lo
	s_cmp_eq_u64 s[6:7], s[18:19]
	s_cbranch_scc0 .LBB829_92
; %bb.95:                               ;   in Loop: Header=BB829_94 Depth=1
	s_mov_b64 s[18:19], s[22:23]
                                        ; implicit-def: $vgpr17_vgpr18
                                        ; implicit-def: $vgpr19_vgpr20
	s_branch .LBB829_93
.LBB829_96:
	s_set_inst_prefetch_distance 0x2
	s_or_b32 exec_lo, exec_lo, s28
	v_cmp_gt_i64_e32 vcc_lo, s[22:23], v[21:22]
	s_or_not1_b32 s2, vcc_lo, exec_lo
.LBB829_97:
	s_or_b32 exec_lo, exec_lo, s27
.LBB829_98:
	v_or_b32_e32 v17, v23, v24
	s_delay_alu instid0(VALU_DEP_2)
	v_or_b32_e32 v18, v26, v27
	s_and_b32 vcc_lo, exec_lo, s3
	s_cbranch_vccz .LBB829_190
.LBB829_99:
	v_or_b32_e32 v17, 7, v39
	s_mov_b32 s3, 0
	s_mov_b32 s27, 0
	s_mov_b32 s28, exec_lo
	s_delay_alu instid0(VALU_DEP_1)
	v_cmpx_gt_u32_e64 s20, v17
	s_cbranch_execz .LBB829_110
; %bb.100:
	s_and_not1_b32 vcc_lo, exec_lo, s26
	s_mov_b32 s2, 0
	s_cbranch_vccnz .LBB829_109
; %bb.101:
	v_mul_lo_u32 v21, v2, s22
	v_mul_lo_u32 v22, v1, s23
	v_mad_u64_u32 v[17:18], null, v1, s22, 0
	v_mul_lo_u32 v23, v4, s22
	v_mul_lo_u32 v24, v3, s23
	s_waitcnt lgkmcnt(0)
	v_mad_u64_u32 v[19:20], null, v3, s22, 0
	s_mov_b32 s2, -1
	s_mov_b32 s26, exec_lo
	s_delay_alu instid0(VALU_DEP_4) | instskip(NEXT) | instid1(VALU_DEP_2)
	v_add3_u32 v18, v18, v22, v21
	v_add3_u32 v20, v20, v24, v23
	s_delay_alu instid0(VALU_DEP_2) | instskip(NEXT) | instid1(VALU_DEP_2)
	v_lshlrev_b64 v[17:18], 3, v[17:18]
	v_lshlrev_b64 v[21:22], 3, v[19:20]
	s_delay_alu instid0(VALU_DEP_2) | instskip(NEXT) | instid1(VALU_DEP_3)
	v_add_co_u32 v19, vcc_lo, s8, v17
	v_add_co_ci_u32_e32 v20, vcc_lo, s9, v18, vcc_lo
	s_delay_alu instid0(VALU_DEP_3) | instskip(NEXT) | instid1(VALU_DEP_4)
	v_add_co_u32 v17, vcc_lo, s8, v21
	v_add_co_ci_u32_e32 v18, vcc_lo, s9, v22, vcc_lo
	s_clause 0x1
	global_load_b64 v[21:22], v[19:20], off
	global_load_b64 v[23:24], v[17:18], off
	s_waitcnt vmcnt(0)
	v_cmpx_eq_f64_e32 v[21:22], v[23:24]
	s_cbranch_execz .LBB829_108
; %bb.102:
	v_add_co_u32 v17, vcc_lo, v17, 8
	v_add_co_ci_u32_e32 v18, vcc_lo, 0, v18, vcc_lo
	v_add_co_u32 v19, vcc_lo, v19, 8
	v_add_co_ci_u32_e32 v20, vcc_lo, 0, v20, vcc_lo
	s_add_u32 s6, s22, -1
	s_addc_u32 s7, s23, -1
	s_mov_b64 s[18:19], 0
                                        ; implicit-def: $sgpr29
	s_set_inst_prefetch_distance 0x1
	s_branch .LBB829_105
	.p2align	6
.LBB829_103:                            ;   in Loop: Header=BB829_105 Depth=1
	global_load_b64 v[21:22], v[19:20], off
	global_load_b64 v[23:24], v[17:18], off
	v_add_co_u32 v17, s2, v17, 8
	s_delay_alu instid0(VALU_DEP_1) | instskip(SKIP_1) | instid1(VALU_DEP_1)
	v_add_co_ci_u32_e64 v18, s2, 0, v18, s2
	v_add_co_u32 v19, s2, v19, 8
	v_add_co_ci_u32_e64 v20, s2, 0, v20, s2
	s_add_u32 s18, s18, 1
	s_addc_u32 s19, s19, 0
	s_and_not1_b32 s2, s29, exec_lo
	s_waitcnt vmcnt(0)
	v_cmp_neq_f64_e32 vcc_lo, v[21:22], v[23:24]
	s_and_b32 s29, vcc_lo, exec_lo
	s_delay_alu instid0(SALU_CYCLE_1)
	s_or_b32 s29, s2, s29
.LBB829_104:                            ;   in Loop: Header=BB829_105 Depth=1
	v_dual_mov_b32 v22, s19 :: v_dual_mov_b32 v21, s18
	s_and_b32 s2, exec_lo, s29
	s_delay_alu instid0(SALU_CYCLE_1) | instskip(NEXT) | instid1(SALU_CYCLE_1)
	s_or_b32 s27, s2, s27
	s_and_not1_b32 exec_lo, exec_lo, s27
	s_cbranch_execz .LBB829_107
.LBB829_105:                            ; =>This Inner Loop Header: Depth=1
	s_or_b32 s29, s29, exec_lo
	s_cmp_eq_u64 s[6:7], s[18:19]
	s_cbranch_scc0 .LBB829_103
; %bb.106:                              ;   in Loop: Header=BB829_105 Depth=1
	s_mov_b64 s[18:19], s[22:23]
                                        ; implicit-def: $vgpr17_vgpr18
                                        ; implicit-def: $vgpr19_vgpr20
	s_branch .LBB829_104
.LBB829_107:
	s_set_inst_prefetch_distance 0x2
	s_or_b32 exec_lo, exec_lo, s27
	v_cmp_gt_i64_e32 vcc_lo, s[22:23], v[21:22]
	s_or_not1_b32 s2, vcc_lo, exec_lo
.LBB829_108:
	s_or_b32 exec_lo, exec_lo, s26
.LBB829_109:
	s_delay_alu instid0(SALU_CYCLE_1)
	s_and_b32 s27, s2, exec_lo
.LBB829_110:
	s_or_b32 exec_lo, exec_lo, s28
	v_or_b32_e32 v17, 6, v39
	s_mov_b32 s26, exec_lo
	s_delay_alu instid0(VALU_DEP_1)
	v_cmpx_gt_u32_e64 s20, v17
	s_cbranch_execz .LBB829_121
; %bb.111:
	v_cmp_ne_u32_e32 vcc_lo, 1, v25
	s_mov_b32 s2, 0
	s_cbranch_vccnz .LBB829_120
; %bb.112:
	v_mul_lo_u32 v21, v8, s22
	v_mul_lo_u32 v22, v7, s23
	v_mad_u64_u32 v[17:18], null, v7, s22, 0
	v_mul_lo_u32 v23, v2, s22
	v_mul_lo_u32 v24, v1, s23
	s_waitcnt lgkmcnt(0)
	v_mad_u64_u32 v[19:20], null, v1, s22, 0
	s_mov_b32 s2, -1
	s_mov_b32 s3, exec_lo
	s_delay_alu instid0(VALU_DEP_4) | instskip(NEXT) | instid1(VALU_DEP_2)
	v_add3_u32 v18, v18, v22, v21
	v_add3_u32 v20, v20, v24, v23
	s_delay_alu instid0(VALU_DEP_2) | instskip(NEXT) | instid1(VALU_DEP_2)
	v_lshlrev_b64 v[17:18], 3, v[17:18]
	v_lshlrev_b64 v[21:22], 3, v[19:20]
	s_delay_alu instid0(VALU_DEP_2) | instskip(NEXT) | instid1(VALU_DEP_3)
	v_add_co_u32 v19, vcc_lo, s8, v17
	v_add_co_ci_u32_e32 v20, vcc_lo, s9, v18, vcc_lo
	s_delay_alu instid0(VALU_DEP_3) | instskip(NEXT) | instid1(VALU_DEP_4)
	v_add_co_u32 v17, vcc_lo, s8, v21
	v_add_co_ci_u32_e32 v18, vcc_lo, s9, v22, vcc_lo
	s_clause 0x1
	global_load_b64 v[21:22], v[19:20], off
	global_load_b64 v[23:24], v[17:18], off
	s_waitcnt vmcnt(0)
	v_cmpx_eq_f64_e32 v[21:22], v[23:24]
	s_cbranch_execz .LBB829_119
; %bb.113:
	v_add_co_u32 v17, vcc_lo, v17, 8
	v_add_co_ci_u32_e32 v18, vcc_lo, 0, v18, vcc_lo
	v_add_co_u32 v19, vcc_lo, v19, 8
	v_add_co_ci_u32_e32 v20, vcc_lo, 0, v20, vcc_lo
	s_add_u32 s6, s22, -1
	s_addc_u32 s7, s23, -1
	s_mov_b64 s[18:19], 0
	s_mov_b32 s28, 0
                                        ; implicit-def: $sgpr29
	s_set_inst_prefetch_distance 0x1
	s_branch .LBB829_116
	.p2align	6
.LBB829_114:                            ;   in Loop: Header=BB829_116 Depth=1
	global_load_b64 v[21:22], v[19:20], off
	global_load_b64 v[23:24], v[17:18], off
	v_add_co_u32 v17, s2, v17, 8
	s_delay_alu instid0(VALU_DEP_1) | instskip(SKIP_1) | instid1(VALU_DEP_1)
	v_add_co_ci_u32_e64 v18, s2, 0, v18, s2
	v_add_co_u32 v19, s2, v19, 8
	v_add_co_ci_u32_e64 v20, s2, 0, v20, s2
	s_add_u32 s18, s18, 1
	s_addc_u32 s19, s19, 0
	s_and_not1_b32 s2, s29, exec_lo
	s_waitcnt vmcnt(0)
	v_cmp_neq_f64_e32 vcc_lo, v[21:22], v[23:24]
	s_and_b32 s29, vcc_lo, exec_lo
	s_delay_alu instid0(SALU_CYCLE_1)
	s_or_b32 s29, s2, s29
.LBB829_115:                            ;   in Loop: Header=BB829_116 Depth=1
	v_dual_mov_b32 v22, s19 :: v_dual_mov_b32 v21, s18
	s_and_b32 s2, exec_lo, s29
	s_delay_alu instid0(SALU_CYCLE_1) | instskip(NEXT) | instid1(SALU_CYCLE_1)
	s_or_b32 s28, s2, s28
	s_and_not1_b32 exec_lo, exec_lo, s28
	s_cbranch_execz .LBB829_118
.LBB829_116:                            ; =>This Inner Loop Header: Depth=1
	s_or_b32 s29, s29, exec_lo
	s_cmp_eq_u64 s[6:7], s[18:19]
	s_cbranch_scc0 .LBB829_114
; %bb.117:                              ;   in Loop: Header=BB829_116 Depth=1
	s_mov_b64 s[18:19], s[22:23]
                                        ; implicit-def: $vgpr17_vgpr18
                                        ; implicit-def: $vgpr19_vgpr20
	s_branch .LBB829_115
.LBB829_118:
	s_set_inst_prefetch_distance 0x2
	s_or_b32 exec_lo, exec_lo, s28
	v_cmp_gt_i64_e32 vcc_lo, s[22:23], v[21:22]
	s_or_not1_b32 s2, vcc_lo, exec_lo
.LBB829_119:
	s_or_b32 exec_lo, exec_lo, s3
.LBB829_120:
	s_delay_alu instid0(SALU_CYCLE_1)
	s_and_b32 s3, s2, exec_lo
.LBB829_121:
	s_or_b32 exec_lo, exec_lo, s26
	v_or_b32_e32 v17, 5, v39
	s_mov_b32 s28, 0
	s_mov_b32 s26, 0
	s_mov_b32 s29, exec_lo
	s_delay_alu instid0(VALU_DEP_1)
	v_cmpx_gt_u32_e64 s20, v17
	s_cbranch_execz .LBB829_132
; %bb.122:
	v_cmp_ne_u32_e32 vcc_lo, 1, v25
	s_mov_b32 s2, 0
	s_cbranch_vccnz .LBB829_131
; %bb.123:
	v_mul_lo_u32 v21, v6, s22
	v_mul_lo_u32 v22, v5, s23
	v_mad_u64_u32 v[17:18], null, v5, s22, 0
	v_mul_lo_u32 v23, v8, s22
	v_mul_lo_u32 v24, v7, s23
	s_waitcnt lgkmcnt(0)
	v_mad_u64_u32 v[19:20], null, v7, s22, 0
	s_mov_b32 s2, -1
	s_mov_b32 s26, exec_lo
	s_delay_alu instid0(VALU_DEP_4) | instskip(NEXT) | instid1(VALU_DEP_2)
	v_add3_u32 v18, v18, v22, v21
	v_add3_u32 v20, v20, v24, v23
	s_delay_alu instid0(VALU_DEP_2) | instskip(NEXT) | instid1(VALU_DEP_2)
	v_lshlrev_b64 v[17:18], 3, v[17:18]
	v_lshlrev_b64 v[21:22], 3, v[19:20]
	s_delay_alu instid0(VALU_DEP_2) | instskip(NEXT) | instid1(VALU_DEP_3)
	v_add_co_u32 v19, vcc_lo, s8, v17
	v_add_co_ci_u32_e32 v20, vcc_lo, s9, v18, vcc_lo
	s_delay_alu instid0(VALU_DEP_3) | instskip(NEXT) | instid1(VALU_DEP_4)
	v_add_co_u32 v17, vcc_lo, s8, v21
	v_add_co_ci_u32_e32 v18, vcc_lo, s9, v22, vcc_lo
	s_clause 0x1
	global_load_b64 v[21:22], v[19:20], off
	global_load_b64 v[23:24], v[17:18], off
	s_waitcnt vmcnt(0)
	v_cmpx_eq_f64_e32 v[21:22], v[23:24]
	s_cbranch_execz .LBB829_130
; %bb.124:
	v_add_co_u32 v17, vcc_lo, v17, 8
	v_add_co_ci_u32_e32 v18, vcc_lo, 0, v18, vcc_lo
	v_add_co_u32 v19, vcc_lo, v19, 8
	v_add_co_ci_u32_e32 v20, vcc_lo, 0, v20, vcc_lo
	s_add_u32 s6, s22, -1
	s_addc_u32 s7, s23, -1
	s_mov_b64 s[18:19], 0
	s_mov_b32 s30, 0
                                        ; implicit-def: $sgpr31
	s_set_inst_prefetch_distance 0x1
	s_branch .LBB829_127
	.p2align	6
.LBB829_125:                            ;   in Loop: Header=BB829_127 Depth=1
	global_load_b64 v[21:22], v[19:20], off
	global_load_b64 v[23:24], v[17:18], off
	v_add_co_u32 v17, s2, v17, 8
	s_delay_alu instid0(VALU_DEP_1) | instskip(SKIP_1) | instid1(VALU_DEP_1)
	v_add_co_ci_u32_e64 v18, s2, 0, v18, s2
	v_add_co_u32 v19, s2, v19, 8
	v_add_co_ci_u32_e64 v20, s2, 0, v20, s2
	s_add_u32 s18, s18, 1
	s_addc_u32 s19, s19, 0
	s_and_not1_b32 s2, s31, exec_lo
	s_waitcnt vmcnt(0)
	v_cmp_neq_f64_e32 vcc_lo, v[21:22], v[23:24]
	s_and_b32 s31, vcc_lo, exec_lo
	s_delay_alu instid0(SALU_CYCLE_1)
	s_or_b32 s31, s2, s31
.LBB829_126:                            ;   in Loop: Header=BB829_127 Depth=1
	v_dual_mov_b32 v22, s19 :: v_dual_mov_b32 v21, s18
	s_and_b32 s2, exec_lo, s31
	s_delay_alu instid0(SALU_CYCLE_1) | instskip(NEXT) | instid1(SALU_CYCLE_1)
	s_or_b32 s30, s2, s30
	s_and_not1_b32 exec_lo, exec_lo, s30
	s_cbranch_execz .LBB829_129
.LBB829_127:                            ; =>This Inner Loop Header: Depth=1
	s_or_b32 s31, s31, exec_lo
	s_cmp_eq_u64 s[6:7], s[18:19]
	s_cbranch_scc0 .LBB829_125
; %bb.128:                              ;   in Loop: Header=BB829_127 Depth=1
	s_mov_b64 s[18:19], s[22:23]
                                        ; implicit-def: $vgpr17_vgpr18
                                        ; implicit-def: $vgpr19_vgpr20
	s_branch .LBB829_126
.LBB829_129:
	s_set_inst_prefetch_distance 0x2
	s_or_b32 exec_lo, exec_lo, s30
	v_cmp_gt_i64_e32 vcc_lo, s[22:23], v[21:22]
	s_or_not1_b32 s2, vcc_lo, exec_lo
.LBB829_130:
	s_or_b32 exec_lo, exec_lo, s26
.LBB829_131:
	s_delay_alu instid0(SALU_CYCLE_1)
	s_and_b32 s26, s2, exec_lo
.LBB829_132:
	s_or_b32 exec_lo, exec_lo, s29
	v_or_b32_e32 v17, 4, v39
	s_mov_b32 s29, exec_lo
	s_delay_alu instid0(VALU_DEP_1)
	v_cmpx_gt_u32_e64 s20, v17
	s_cbranch_execz .LBB829_143
; %bb.133:
	v_cmp_ne_u32_e32 vcc_lo, 1, v25
	s_mov_b32 s2, 0
	s_cbranch_vccnz .LBB829_142
; %bb.134:
	v_mul_lo_u32 v21, v12, s22
	v_mul_lo_u32 v22, v11, s23
	v_mad_u64_u32 v[17:18], null, v11, s22, 0
	v_mul_lo_u32 v23, v6, s22
	v_mul_lo_u32 v24, v5, s23
	s_waitcnt lgkmcnt(0)
	v_mad_u64_u32 v[19:20], null, v5, s22, 0
	s_mov_b32 s2, -1
	s_mov_b32 s28, exec_lo
	s_delay_alu instid0(VALU_DEP_4) | instskip(NEXT) | instid1(VALU_DEP_2)
	v_add3_u32 v18, v18, v22, v21
	v_add3_u32 v20, v20, v24, v23
	s_delay_alu instid0(VALU_DEP_2) | instskip(NEXT) | instid1(VALU_DEP_2)
	v_lshlrev_b64 v[17:18], 3, v[17:18]
	v_lshlrev_b64 v[21:22], 3, v[19:20]
	s_delay_alu instid0(VALU_DEP_2) | instskip(NEXT) | instid1(VALU_DEP_3)
	v_add_co_u32 v19, vcc_lo, s8, v17
	v_add_co_ci_u32_e32 v20, vcc_lo, s9, v18, vcc_lo
	s_delay_alu instid0(VALU_DEP_3) | instskip(NEXT) | instid1(VALU_DEP_4)
	v_add_co_u32 v17, vcc_lo, s8, v21
	v_add_co_ci_u32_e32 v18, vcc_lo, s9, v22, vcc_lo
	s_clause 0x1
	global_load_b64 v[21:22], v[19:20], off
	global_load_b64 v[23:24], v[17:18], off
	s_waitcnt vmcnt(0)
	v_cmpx_eq_f64_e32 v[21:22], v[23:24]
	s_cbranch_execz .LBB829_141
; %bb.135:
	v_add_co_u32 v17, vcc_lo, v17, 8
	v_add_co_ci_u32_e32 v18, vcc_lo, 0, v18, vcc_lo
	v_add_co_u32 v19, vcc_lo, v19, 8
	v_add_co_ci_u32_e32 v20, vcc_lo, 0, v20, vcc_lo
	s_add_u32 s6, s22, -1
	s_addc_u32 s7, s23, -1
	s_mov_b64 s[18:19], 0
	s_mov_b32 s30, 0
                                        ; implicit-def: $sgpr31
	s_set_inst_prefetch_distance 0x1
	s_branch .LBB829_138
	.p2align	6
.LBB829_136:                            ;   in Loop: Header=BB829_138 Depth=1
	global_load_b64 v[21:22], v[19:20], off
	global_load_b64 v[23:24], v[17:18], off
	v_add_co_u32 v17, s2, v17, 8
	s_delay_alu instid0(VALU_DEP_1) | instskip(SKIP_1) | instid1(VALU_DEP_1)
	v_add_co_ci_u32_e64 v18, s2, 0, v18, s2
	v_add_co_u32 v19, s2, v19, 8
	v_add_co_ci_u32_e64 v20, s2, 0, v20, s2
	s_add_u32 s18, s18, 1
	s_addc_u32 s19, s19, 0
	s_and_not1_b32 s2, s31, exec_lo
	s_waitcnt vmcnt(0)
	v_cmp_neq_f64_e32 vcc_lo, v[21:22], v[23:24]
	s_and_b32 s31, vcc_lo, exec_lo
	s_delay_alu instid0(SALU_CYCLE_1)
	s_or_b32 s31, s2, s31
.LBB829_137:                            ;   in Loop: Header=BB829_138 Depth=1
	v_dual_mov_b32 v22, s19 :: v_dual_mov_b32 v21, s18
	s_and_b32 s2, exec_lo, s31
	s_delay_alu instid0(SALU_CYCLE_1) | instskip(NEXT) | instid1(SALU_CYCLE_1)
	s_or_b32 s30, s2, s30
	s_and_not1_b32 exec_lo, exec_lo, s30
	s_cbranch_execz .LBB829_140
.LBB829_138:                            ; =>This Inner Loop Header: Depth=1
	s_or_b32 s31, s31, exec_lo
	s_cmp_eq_u64 s[6:7], s[18:19]
	s_cbranch_scc0 .LBB829_136
; %bb.139:                              ;   in Loop: Header=BB829_138 Depth=1
	s_mov_b64 s[18:19], s[22:23]
                                        ; implicit-def: $vgpr17_vgpr18
                                        ; implicit-def: $vgpr19_vgpr20
	s_branch .LBB829_137
.LBB829_140:
	s_set_inst_prefetch_distance 0x2
	s_or_b32 exec_lo, exec_lo, s30
	v_cmp_gt_i64_e32 vcc_lo, s[22:23], v[21:22]
	s_or_not1_b32 s2, vcc_lo, exec_lo
.LBB829_141:
	s_or_b32 exec_lo, exec_lo, s28
.LBB829_142:
	s_delay_alu instid0(SALU_CYCLE_1)
	s_and_b32 s28, s2, exec_lo
.LBB829_143:
	s_or_b32 exec_lo, exec_lo, s29
	v_or_b32_e32 v17, 3, v39
	s_mov_b32 s30, 0
	s_mov_b32 s29, 0
	s_mov_b32 s31, exec_lo
	s_delay_alu instid0(VALU_DEP_1)
	v_cmpx_gt_u32_e64 s20, v17
	s_cbranch_execz .LBB829_154
; %bb.144:
	v_cmp_ne_u32_e32 vcc_lo, 1, v25
	s_mov_b32 s2, 0
	s_cbranch_vccnz .LBB829_153
; %bb.145:
	v_mul_lo_u32 v21, v10, s22
	v_mul_lo_u32 v22, v9, s23
	v_mad_u64_u32 v[17:18], null, v9, s22, 0
	v_mul_lo_u32 v23, v12, s22
	v_mul_lo_u32 v24, v11, s23
	s_waitcnt lgkmcnt(0)
	v_mad_u64_u32 v[19:20], null, v11, s22, 0
	s_mov_b32 s2, -1
	s_mov_b32 s29, exec_lo
	s_delay_alu instid0(VALU_DEP_4) | instskip(NEXT) | instid1(VALU_DEP_2)
	v_add3_u32 v18, v18, v22, v21
	v_add3_u32 v20, v20, v24, v23
	s_delay_alu instid0(VALU_DEP_2) | instskip(NEXT) | instid1(VALU_DEP_2)
	v_lshlrev_b64 v[17:18], 3, v[17:18]
	v_lshlrev_b64 v[21:22], 3, v[19:20]
	s_delay_alu instid0(VALU_DEP_2) | instskip(NEXT) | instid1(VALU_DEP_3)
	v_add_co_u32 v19, vcc_lo, s8, v17
	v_add_co_ci_u32_e32 v20, vcc_lo, s9, v18, vcc_lo
	s_delay_alu instid0(VALU_DEP_3) | instskip(NEXT) | instid1(VALU_DEP_4)
	v_add_co_u32 v17, vcc_lo, s8, v21
	v_add_co_ci_u32_e32 v18, vcc_lo, s9, v22, vcc_lo
	s_clause 0x1
	global_load_b64 v[21:22], v[19:20], off
	global_load_b64 v[23:24], v[17:18], off
	s_waitcnt vmcnt(0)
	v_cmpx_eq_f64_e32 v[21:22], v[23:24]
	s_cbranch_execz .LBB829_152
; %bb.146:
	v_add_co_u32 v17, vcc_lo, v17, 8
	v_add_co_ci_u32_e32 v18, vcc_lo, 0, v18, vcc_lo
	v_add_co_u32 v19, vcc_lo, v19, 8
	v_add_co_ci_u32_e32 v20, vcc_lo, 0, v20, vcc_lo
	s_add_u32 s6, s22, -1
	s_addc_u32 s7, s23, -1
	s_mov_b64 s[18:19], 0
	s_mov_b32 s33, 0
                                        ; implicit-def: $sgpr34
	s_set_inst_prefetch_distance 0x1
	s_branch .LBB829_149
	.p2align	6
.LBB829_147:                            ;   in Loop: Header=BB829_149 Depth=1
	global_load_b64 v[21:22], v[19:20], off
	global_load_b64 v[23:24], v[17:18], off
	v_add_co_u32 v17, s2, v17, 8
	s_delay_alu instid0(VALU_DEP_1) | instskip(SKIP_1) | instid1(VALU_DEP_1)
	v_add_co_ci_u32_e64 v18, s2, 0, v18, s2
	v_add_co_u32 v19, s2, v19, 8
	v_add_co_ci_u32_e64 v20, s2, 0, v20, s2
	s_add_u32 s18, s18, 1
	s_addc_u32 s19, s19, 0
	s_and_not1_b32 s2, s34, exec_lo
	s_waitcnt vmcnt(0)
	v_cmp_neq_f64_e32 vcc_lo, v[21:22], v[23:24]
	s_and_b32 s34, vcc_lo, exec_lo
	s_delay_alu instid0(SALU_CYCLE_1)
	s_or_b32 s34, s2, s34
.LBB829_148:                            ;   in Loop: Header=BB829_149 Depth=1
	v_dual_mov_b32 v22, s19 :: v_dual_mov_b32 v21, s18
	s_and_b32 s2, exec_lo, s34
	s_delay_alu instid0(SALU_CYCLE_1) | instskip(NEXT) | instid1(SALU_CYCLE_1)
	s_or_b32 s33, s2, s33
	s_and_not1_b32 exec_lo, exec_lo, s33
	s_cbranch_execz .LBB829_151
.LBB829_149:                            ; =>This Inner Loop Header: Depth=1
	s_or_b32 s34, s34, exec_lo
	s_cmp_eq_u64 s[6:7], s[18:19]
	s_cbranch_scc0 .LBB829_147
; %bb.150:                              ;   in Loop: Header=BB829_149 Depth=1
	s_mov_b64 s[18:19], s[22:23]
                                        ; implicit-def: $vgpr17_vgpr18
                                        ; implicit-def: $vgpr19_vgpr20
	s_branch .LBB829_148
.LBB829_151:
	s_set_inst_prefetch_distance 0x2
	s_or_b32 exec_lo, exec_lo, s33
	v_cmp_gt_i64_e32 vcc_lo, s[22:23], v[21:22]
	s_or_not1_b32 s2, vcc_lo, exec_lo
.LBB829_152:
	s_or_b32 exec_lo, exec_lo, s29
.LBB829_153:
	s_delay_alu instid0(SALU_CYCLE_1)
	s_and_b32 s29, s2, exec_lo
.LBB829_154:
	s_or_b32 exec_lo, exec_lo, s31
	v_or_b32_e32 v17, 2, v39
	s_mov_b32 s31, exec_lo
	s_delay_alu instid0(VALU_DEP_1)
	v_cmpx_gt_u32_e64 s20, v17
	s_cbranch_execz .LBB829_165
; %bb.155:
	v_cmp_ne_u32_e32 vcc_lo, 1, v25
	s_mov_b32 s2, 0
	s_cbranch_vccnz .LBB829_164
; %bb.156:
	v_mul_lo_u32 v21, v16, s22
	v_mul_lo_u32 v22, v15, s23
	v_mad_u64_u32 v[17:18], null, v15, s22, 0
	v_mul_lo_u32 v23, v10, s22
	v_mul_lo_u32 v24, v9, s23
	s_waitcnt lgkmcnt(0)
	v_mad_u64_u32 v[19:20], null, v9, s22, 0
	s_mov_b32 s2, -1
	s_mov_b32 s30, exec_lo
	s_delay_alu instid0(VALU_DEP_4) | instskip(NEXT) | instid1(VALU_DEP_2)
	v_add3_u32 v18, v18, v22, v21
	v_add3_u32 v20, v20, v24, v23
	s_delay_alu instid0(VALU_DEP_2) | instskip(NEXT) | instid1(VALU_DEP_2)
	v_lshlrev_b64 v[17:18], 3, v[17:18]
	v_lshlrev_b64 v[21:22], 3, v[19:20]
	s_delay_alu instid0(VALU_DEP_2) | instskip(NEXT) | instid1(VALU_DEP_3)
	v_add_co_u32 v19, vcc_lo, s8, v17
	v_add_co_ci_u32_e32 v20, vcc_lo, s9, v18, vcc_lo
	s_delay_alu instid0(VALU_DEP_3) | instskip(NEXT) | instid1(VALU_DEP_4)
	v_add_co_u32 v17, vcc_lo, s8, v21
	v_add_co_ci_u32_e32 v18, vcc_lo, s9, v22, vcc_lo
	s_clause 0x1
	global_load_b64 v[21:22], v[19:20], off
	global_load_b64 v[23:24], v[17:18], off
	s_waitcnt vmcnt(0)
	v_cmpx_eq_f64_e32 v[21:22], v[23:24]
	s_cbranch_execz .LBB829_163
; %bb.157:
	v_add_co_u32 v17, vcc_lo, v17, 8
	v_add_co_ci_u32_e32 v18, vcc_lo, 0, v18, vcc_lo
	v_add_co_u32 v19, vcc_lo, v19, 8
	v_add_co_ci_u32_e32 v20, vcc_lo, 0, v20, vcc_lo
	s_add_u32 s6, s22, -1
	s_addc_u32 s7, s23, -1
	s_mov_b64 s[18:19], 0
	s_mov_b32 s33, 0
                                        ; implicit-def: $sgpr34
	s_set_inst_prefetch_distance 0x1
	s_branch .LBB829_160
	.p2align	6
.LBB829_158:                            ;   in Loop: Header=BB829_160 Depth=1
	global_load_b64 v[21:22], v[19:20], off
	global_load_b64 v[23:24], v[17:18], off
	v_add_co_u32 v17, s2, v17, 8
	s_delay_alu instid0(VALU_DEP_1) | instskip(SKIP_1) | instid1(VALU_DEP_1)
	v_add_co_ci_u32_e64 v18, s2, 0, v18, s2
	v_add_co_u32 v19, s2, v19, 8
	v_add_co_ci_u32_e64 v20, s2, 0, v20, s2
	s_add_u32 s18, s18, 1
	s_addc_u32 s19, s19, 0
	s_and_not1_b32 s2, s34, exec_lo
	s_waitcnt vmcnt(0)
	v_cmp_neq_f64_e32 vcc_lo, v[21:22], v[23:24]
	s_and_b32 s34, vcc_lo, exec_lo
	s_delay_alu instid0(SALU_CYCLE_1)
	s_or_b32 s34, s2, s34
.LBB829_159:                            ;   in Loop: Header=BB829_160 Depth=1
	v_dual_mov_b32 v22, s19 :: v_dual_mov_b32 v21, s18
	s_and_b32 s2, exec_lo, s34
	s_delay_alu instid0(SALU_CYCLE_1) | instskip(NEXT) | instid1(SALU_CYCLE_1)
	s_or_b32 s33, s2, s33
	s_and_not1_b32 exec_lo, exec_lo, s33
	s_cbranch_execz .LBB829_162
.LBB829_160:                            ; =>This Inner Loop Header: Depth=1
	s_or_b32 s34, s34, exec_lo
	s_cmp_eq_u64 s[6:7], s[18:19]
	s_cbranch_scc0 .LBB829_158
; %bb.161:                              ;   in Loop: Header=BB829_160 Depth=1
	s_mov_b64 s[18:19], s[22:23]
                                        ; implicit-def: $vgpr17_vgpr18
                                        ; implicit-def: $vgpr19_vgpr20
	s_branch .LBB829_159
.LBB829_162:
	s_set_inst_prefetch_distance 0x2
	s_or_b32 exec_lo, exec_lo, s33
	v_cmp_gt_i64_e32 vcc_lo, s[22:23], v[21:22]
	s_or_not1_b32 s2, vcc_lo, exec_lo
.LBB829_163:
	s_or_b32 exec_lo, exec_lo, s30
.LBB829_164:
	s_delay_alu instid0(SALU_CYCLE_1)
	s_and_b32 s30, s2, exec_lo
.LBB829_165:
	s_or_b32 exec_lo, exec_lo, s31
	v_or_b32_e32 v17, 1, v39
	s_mov_b32 s2, 0
	s_mov_b32 s31, exec_lo
	s_delay_alu instid0(VALU_DEP_1)
	v_cmpx_gt_u32_e64 s20, v17
	s_cbranch_execz .LBB829_176
; %bb.166:
	v_cmp_ne_u32_e32 vcc_lo, 1, v25
	s_cbranch_vccnz .LBB829_175
; %bb.167:
	v_mul_lo_u32 v21, v14, s22
	v_mul_lo_u32 v22, v13, s23
	v_mad_u64_u32 v[17:18], null, v13, s22, 0
	v_mul_lo_u32 v23, v16, s22
	v_mul_lo_u32 v24, v15, s23
	s_waitcnt lgkmcnt(0)
	v_mad_u64_u32 v[19:20], null, v15, s22, 0
	s_mov_b32 s2, -1
	s_mov_b32 s33, exec_lo
	s_delay_alu instid0(VALU_DEP_4) | instskip(NEXT) | instid1(VALU_DEP_2)
	v_add3_u32 v18, v18, v22, v21
	v_add3_u32 v20, v20, v24, v23
	s_delay_alu instid0(VALU_DEP_2) | instskip(NEXT) | instid1(VALU_DEP_2)
	v_lshlrev_b64 v[17:18], 3, v[17:18]
	v_lshlrev_b64 v[21:22], 3, v[19:20]
	s_delay_alu instid0(VALU_DEP_2) | instskip(NEXT) | instid1(VALU_DEP_3)
	v_add_co_u32 v19, vcc_lo, s8, v17
	v_add_co_ci_u32_e32 v20, vcc_lo, s9, v18, vcc_lo
	s_delay_alu instid0(VALU_DEP_3) | instskip(NEXT) | instid1(VALU_DEP_4)
	v_add_co_u32 v17, vcc_lo, s8, v21
	v_add_co_ci_u32_e32 v18, vcc_lo, s9, v22, vcc_lo
	s_clause 0x1
	global_load_b64 v[21:22], v[19:20], off
	global_load_b64 v[23:24], v[17:18], off
	s_waitcnt vmcnt(0)
	v_cmpx_eq_f64_e32 v[21:22], v[23:24]
	s_cbranch_execz .LBB829_174
; %bb.168:
	v_add_co_u32 v17, vcc_lo, v17, 8
	v_add_co_ci_u32_e32 v18, vcc_lo, 0, v18, vcc_lo
	v_add_co_u32 v19, vcc_lo, v19, 8
	v_add_co_ci_u32_e32 v20, vcc_lo, 0, v20, vcc_lo
	s_add_u32 s6, s22, -1
	s_addc_u32 s7, s23, -1
	s_mov_b64 s[18:19], 0
	s_mov_b32 s34, 0
                                        ; implicit-def: $sgpr35
	s_set_inst_prefetch_distance 0x1
	s_branch .LBB829_171
	.p2align	6
.LBB829_169:                            ;   in Loop: Header=BB829_171 Depth=1
	global_load_b64 v[21:22], v[19:20], off
	global_load_b64 v[23:24], v[17:18], off
	v_add_co_u32 v17, s2, v17, 8
	s_delay_alu instid0(VALU_DEP_1) | instskip(SKIP_1) | instid1(VALU_DEP_1)
	v_add_co_ci_u32_e64 v18, s2, 0, v18, s2
	v_add_co_u32 v19, s2, v19, 8
	v_add_co_ci_u32_e64 v20, s2, 0, v20, s2
	s_add_u32 s18, s18, 1
	s_addc_u32 s19, s19, 0
	s_and_not1_b32 s2, s35, exec_lo
	s_waitcnt vmcnt(0)
	v_cmp_neq_f64_e32 vcc_lo, v[21:22], v[23:24]
	s_and_b32 s35, vcc_lo, exec_lo
	s_delay_alu instid0(SALU_CYCLE_1)
	s_or_b32 s35, s2, s35
.LBB829_170:                            ;   in Loop: Header=BB829_171 Depth=1
	v_dual_mov_b32 v22, s19 :: v_dual_mov_b32 v21, s18
	s_and_b32 s2, exec_lo, s35
	s_delay_alu instid0(SALU_CYCLE_1) | instskip(NEXT) | instid1(SALU_CYCLE_1)
	s_or_b32 s34, s2, s34
	s_and_not1_b32 exec_lo, exec_lo, s34
	s_cbranch_execz .LBB829_173
.LBB829_171:                            ; =>This Inner Loop Header: Depth=1
	s_or_b32 s35, s35, exec_lo
	s_cmp_eq_u64 s[6:7], s[18:19]
	s_cbranch_scc0 .LBB829_169
; %bb.172:                              ;   in Loop: Header=BB829_171 Depth=1
	s_mov_b64 s[18:19], s[22:23]
                                        ; implicit-def: $vgpr17_vgpr18
                                        ; implicit-def: $vgpr19_vgpr20
	s_branch .LBB829_170
.LBB829_173:
	s_set_inst_prefetch_distance 0x2
	s_or_b32 exec_lo, exec_lo, s34
	v_cmp_gt_i64_e32 vcc_lo, s[22:23], v[21:22]
	s_or_not1_b32 s2, vcc_lo, exec_lo
.LBB829_174:
	s_or_b32 exec_lo, exec_lo, s33
.LBB829_175:
	s_delay_alu instid0(SALU_CYCLE_1)
	s_and_b32 s2, s2, exec_lo
.LBB829_176:
	s_or_b32 exec_lo, exec_lo, s31
	s_waitcnt lgkmcnt(0)
	v_dual_mov_b32 v18, s5 :: v_dual_mov_b32 v17, s4
	s_mov_b32 s4, exec_lo
	s_barrier
	buffer_gl0_inv
	v_cmpx_ne_u32_e32 0, v0
	s_cbranch_execz .LBB829_178
; %bb.177:
	v_add_nc_u32_e32 v17, -8, v39
	ds_load_b64 v[17:18], v17
.LBB829_178:
	s_or_b32 exec_lo, exec_lo, s4
	v_cndmask_b32_e64 v20, 0, 1, s29
	v_cndmask_b32_e64 v22, 0, 1, s26
	;; [unrolled: 1-line block ×7, first 2 shown]
	v_lshlrev_b16 v20, 8, v20
	v_lshlrev_b16 v22, 8, v22
	;; [unrolled: 1-line block ×3, first 2 shown]
	s_mov_b32 s2, 0
	v_lshlrev_b16 v26, 8, v26
	v_or_b32_e32 v19, v19, v20
	v_or_b32_e32 v20, v21, v22
	;; [unrolled: 1-line block ×3, first 2 shown]
	s_mov_b32 s3, exec_lo
	v_and_b32_e32 v23, 0xffff, v26
	v_lshlrev_b32_e32 v24, 16, v19
	v_and_b32_e32 v26, 0xffff, v20
	v_lshlrev_b32_e32 v27, 16, v21
	v_cmpx_gt_u32_e64 s20, v39
	s_cbranch_execz .LBB829_189
; %bb.179:
	v_cmp_ne_u32_e32 vcc_lo, 1, v25
	s_cbranch_vccnz .LBB829_188
; %bb.180:
	s_waitcnt lgkmcnt(0)
	v_mul_lo_u32 v22, v18, s22
	v_mul_lo_u32 v25, v17, s23
	v_mad_u64_u32 v[18:19], null, v17, s22, 0
	v_mul_lo_u32 v17, v14, s22
	v_mul_lo_u32 v28, v13, s23
	v_mad_u64_u32 v[20:21], null, v13, s22, 0
	s_mov_b32 s2, -1
	s_mov_b32 s18, exec_lo
	s_delay_alu instid0(VALU_DEP_4) | instskip(NEXT) | instid1(VALU_DEP_2)
	v_add3_u32 v19, v19, v25, v22
	v_add3_u32 v21, v21, v28, v17
	s_delay_alu instid0(VALU_DEP_2) | instskip(NEXT) | instid1(VALU_DEP_2)
	v_lshlrev_b64 v[17:18], 3, v[18:19]
	v_lshlrev_b64 v[21:22], 3, v[20:21]
	s_delay_alu instid0(VALU_DEP_2) | instskip(NEXT) | instid1(VALU_DEP_3)
	v_add_co_u32 v19, vcc_lo, s8, v17
	v_add_co_ci_u32_e32 v20, vcc_lo, s9, v18, vcc_lo
	s_delay_alu instid0(VALU_DEP_3) | instskip(NEXT) | instid1(VALU_DEP_4)
	v_add_co_u32 v17, vcc_lo, s8, v21
	v_add_co_ci_u32_e32 v18, vcc_lo, s9, v22, vcc_lo
	s_clause 0x1
	global_load_b64 v[21:22], v[19:20], off
	global_load_b64 v[28:29], v[17:18], off
	s_waitcnt vmcnt(0)
	v_cmpx_eq_f64_e32 v[21:22], v[28:29]
	s_cbranch_execz .LBB829_187
; %bb.181:
	v_add_co_u32 v17, vcc_lo, v17, 8
	v_add_co_ci_u32_e32 v18, vcc_lo, 0, v18, vcc_lo
	v_add_co_u32 v19, vcc_lo, v19, 8
	v_add_co_ci_u32_e32 v20, vcc_lo, 0, v20, vcc_lo
	s_add_u32 s4, s22, -1
	s_addc_u32 s5, s23, -1
	s_mov_b64 s[6:7], 0
	s_mov_b32 s19, 0
                                        ; implicit-def: $sgpr26
	s_set_inst_prefetch_distance 0x1
	s_branch .LBB829_184
	.p2align	6
.LBB829_182:                            ;   in Loop: Header=BB829_184 Depth=1
	global_load_b64 v[21:22], v[19:20], off
	global_load_b64 v[28:29], v[17:18], off
	v_add_co_u32 v17, s2, v17, 8
	s_delay_alu instid0(VALU_DEP_1) | instskip(SKIP_1) | instid1(VALU_DEP_1)
	v_add_co_ci_u32_e64 v18, s2, 0, v18, s2
	v_add_co_u32 v19, s2, v19, 8
	v_add_co_ci_u32_e64 v20, s2, 0, v20, s2
	s_add_u32 s6, s6, 1
	s_addc_u32 s7, s7, 0
	s_and_not1_b32 s2, s26, exec_lo
	s_waitcnt vmcnt(0)
	v_cmp_neq_f64_e32 vcc_lo, v[21:22], v[28:29]
	s_and_b32 s26, vcc_lo, exec_lo
	s_delay_alu instid0(SALU_CYCLE_1)
	s_or_b32 s26, s2, s26
.LBB829_183:                            ;   in Loop: Header=BB829_184 Depth=1
	v_dual_mov_b32 v22, s7 :: v_dual_mov_b32 v21, s6
	s_and_b32 s2, exec_lo, s26
	s_delay_alu instid0(SALU_CYCLE_1) | instskip(NEXT) | instid1(SALU_CYCLE_1)
	s_or_b32 s19, s2, s19
	s_and_not1_b32 exec_lo, exec_lo, s19
	s_cbranch_execz .LBB829_186
.LBB829_184:                            ; =>This Inner Loop Header: Depth=1
	s_or_b32 s26, s26, exec_lo
	s_cmp_eq_u64 s[4:5], s[6:7]
	s_cbranch_scc0 .LBB829_182
; %bb.185:                              ;   in Loop: Header=BB829_184 Depth=1
	s_mov_b64 s[6:7], s[22:23]
                                        ; implicit-def: $vgpr17_vgpr18
                                        ; implicit-def: $vgpr19_vgpr20
	s_branch .LBB829_183
.LBB829_186:
	s_set_inst_prefetch_distance 0x2
	s_or_b32 exec_lo, exec_lo, s19
	v_cmp_gt_i64_e32 vcc_lo, s[22:23], v[21:22]
	s_or_not1_b32 s2, vcc_lo, exec_lo
.LBB829_187:
	s_or_b32 exec_lo, exec_lo, s18
.LBB829_188:
	s_delay_alu instid0(SALU_CYCLE_1)
	s_and_b32 s2, s2, exec_lo
.LBB829_189:
	s_or_b32 exec_lo, exec_lo, s3
	s_waitcnt lgkmcnt(0)
	v_or_b32_e32 v17, v23, v24
	v_or_b32_e32 v18, v26, v27
.LBB829_190:
	s_mov_b32 s18, -1
	s_cbranch_execnz .LBB829_359
.LBB829_191:
	v_cmp_gt_i64_e64 s3, s[22:23], 0
	s_and_b32 vcc_lo, exec_lo, s21
	ds_store_b64 v39, v[3:4]
	s_cbranch_vccz .LBB829_199
; %bb.192:
	s_waitcnt lgkmcnt(0)
	v_mul_lo_u32 v19, v2, s22
	v_mul_lo_u32 v20, v1, s23
	v_mad_u64_u32 v[17:18], null, v1, s22, 0
	s_mov_b32 s19, 0
	s_and_not1_b32 vcc_lo, exec_lo, s3
	s_mov_b32 s26, 0
	s_delay_alu instid0(VALU_DEP_1) | instskip(NEXT) | instid1(VALU_DEP_1)
	v_add3_u32 v18, v18, v20, v19
	v_lshlrev_b64 v[17:18], 3, v[17:18]
	s_cbranch_vccnz .LBB829_202
; %bb.193:
	v_mul_lo_u32 v21, v4, s22
	v_mul_lo_u32 v22, v3, s23
	v_mad_u64_u32 v[19:20], null, v3, s22, 0
	s_mov_b32 s26, -1
	s_mov_b32 s27, exec_lo
	s_delay_alu instid0(VALU_DEP_1) | instskip(SKIP_2) | instid1(VALU_DEP_3)
	v_add3_u32 v20, v20, v22, v21
	v_add_co_u32 v21, vcc_lo, s8, v17
	v_add_co_ci_u32_e32 v22, vcc_lo, s9, v18, vcc_lo
	v_lshlrev_b64 v[19:20], 3, v[19:20]
	s_delay_alu instid0(VALU_DEP_1) | instskip(NEXT) | instid1(VALU_DEP_2)
	v_add_co_u32 v19, vcc_lo, s8, v19
	v_add_co_ci_u32_e32 v20, vcc_lo, s9, v20, vcc_lo
	s_clause 0x1
	global_load_b64 v[23:24], v[21:22], off
	global_load_b64 v[25:26], v[19:20], off
	s_waitcnt vmcnt(0)
	v_cmpx_eq_f64_e32 v[23:24], v[25:26]
	s_cbranch_execz .LBB829_201
; %bb.194:
	v_add_co_u32 v19, vcc_lo, v19, 8
	v_add_co_ci_u32_e32 v20, vcc_lo, 0, v20, vcc_lo
	v_add_co_u32 v21, vcc_lo, v21, 8
	v_add_co_ci_u32_e32 v22, vcc_lo, 0, v22, vcc_lo
	s_add_u32 s4, s22, -1
	s_addc_u32 s5, s23, -1
	s_mov_b64 s[6:7], 0
	s_mov_b32 s26, 0
                                        ; implicit-def: $sgpr28
	s_set_inst_prefetch_distance 0x1
	s_branch .LBB829_197
	.p2align	6
.LBB829_195:                            ;   in Loop: Header=BB829_197 Depth=1
	global_load_b64 v[23:24], v[21:22], off
	global_load_b64 v[25:26], v[19:20], off
	v_add_co_u32 v19, s2, v19, 8
	s_delay_alu instid0(VALU_DEP_1) | instskip(SKIP_1) | instid1(VALU_DEP_1)
	v_add_co_ci_u32_e64 v20, s2, 0, v20, s2
	v_add_co_u32 v21, s2, v21, 8
	v_add_co_ci_u32_e64 v22, s2, 0, v22, s2
	s_add_u32 s6, s6, 1
	s_addc_u32 s7, s7, 0
	s_and_not1_b32 s2, s28, exec_lo
	s_waitcnt vmcnt(0)
	v_cmp_neq_f64_e32 vcc_lo, v[23:24], v[25:26]
	s_and_b32 s28, vcc_lo, exec_lo
	s_delay_alu instid0(SALU_CYCLE_1)
	s_or_b32 s28, s2, s28
.LBB829_196:                            ;   in Loop: Header=BB829_197 Depth=1
	v_dual_mov_b32 v24, s7 :: v_dual_mov_b32 v23, s6
	s_and_b32 s2, exec_lo, s28
	s_delay_alu instid0(SALU_CYCLE_1) | instskip(NEXT) | instid1(SALU_CYCLE_1)
	s_or_b32 s26, s2, s26
	s_and_not1_b32 exec_lo, exec_lo, s26
	s_cbranch_execz .LBB829_200
.LBB829_197:                            ; =>This Inner Loop Header: Depth=1
	s_or_b32 s28, s28, exec_lo
	s_cmp_eq_u64 s[4:5], s[6:7]
	s_cbranch_scc0 .LBB829_195
; %bb.198:                              ;   in Loop: Header=BB829_197 Depth=1
	s_mov_b64 s[6:7], s[22:23]
                                        ; implicit-def: $vgpr19_vgpr20
                                        ; implicit-def: $vgpr21_vgpr22
	s_branch .LBB829_196
.LBB829_199:
	s_waitcnt lgkmcnt(0)
                                        ; implicit-def: $sgpr2
                                        ; implicit-def: $vgpr18
	s_cbranch_execnz .LBB829_268
	s_branch .LBB829_359
.LBB829_200:
	s_set_inst_prefetch_distance 0x2
	s_or_b32 exec_lo, exec_lo, s26
	v_cmp_gt_i64_e32 vcc_lo, s[22:23], v[23:24]
	s_or_not1_b32 s26, vcc_lo, exec_lo
.LBB829_201:
	s_or_b32 exec_lo, exec_lo, s27
.LBB829_202:
	v_mul_lo_u32 v21, v8, s22
	v_mul_lo_u32 v22, v7, s23
	v_mad_u64_u32 v[19:20], null, v7, s22, 0
	s_and_not1_b32 vcc_lo, exec_lo, s3
	s_delay_alu instid0(VALU_DEP_1) | instskip(NEXT) | instid1(VALU_DEP_1)
	v_add3_u32 v20, v20, v22, v21
	v_lshlrev_b64 v[19:20], 3, v[19:20]
	s_cbranch_vccnz .LBB829_211
; %bb.203:
	s_delay_alu instid0(VALU_DEP_1) | instskip(NEXT) | instid1(VALU_DEP_2)
	v_add_co_u32 v21, vcc_lo, s8, v19
	v_add_co_ci_u32_e32 v22, vcc_lo, s9, v20, vcc_lo
	v_add_co_u32 v17, vcc_lo, s8, v17
	v_add_co_ci_u32_e32 v18, vcc_lo, s9, v18, vcc_lo
	s_mov_b32 s19, -1
	s_clause 0x1
	global_load_b64 v[23:24], v[21:22], off
	global_load_b64 v[25:26], v[17:18], off
	s_mov_b32 s27, exec_lo
	s_waitcnt vmcnt(0)
	v_cmpx_eq_f64_e32 v[23:24], v[25:26]
	s_cbranch_execz .LBB829_210
; %bb.204:
	v_add_co_u32 v17, vcc_lo, v17, 8
	v_add_co_ci_u32_e32 v18, vcc_lo, 0, v18, vcc_lo
	v_add_co_u32 v21, vcc_lo, v21, 8
	v_add_co_ci_u32_e32 v22, vcc_lo, 0, v22, vcc_lo
	s_add_u32 s4, s22, -1
	s_addc_u32 s5, s23, -1
	s_mov_b64 s[6:7], 0
	s_mov_b32 s19, 0
                                        ; implicit-def: $sgpr28
	s_set_inst_prefetch_distance 0x1
	s_branch .LBB829_207
	.p2align	6
.LBB829_205:                            ;   in Loop: Header=BB829_207 Depth=1
	global_load_b64 v[23:24], v[21:22], off
	global_load_b64 v[25:26], v[17:18], off
	v_add_co_u32 v17, s2, v17, 8
	s_delay_alu instid0(VALU_DEP_1) | instskip(SKIP_1) | instid1(VALU_DEP_1)
	v_add_co_ci_u32_e64 v18, s2, 0, v18, s2
	v_add_co_u32 v21, s2, v21, 8
	v_add_co_ci_u32_e64 v22, s2, 0, v22, s2
	s_add_u32 s6, s6, 1
	s_addc_u32 s7, s7, 0
	s_and_not1_b32 s2, s28, exec_lo
	s_waitcnt vmcnt(0)
	v_cmp_neq_f64_e32 vcc_lo, v[23:24], v[25:26]
	s_and_b32 s28, vcc_lo, exec_lo
	s_delay_alu instid0(SALU_CYCLE_1)
	s_or_b32 s28, s2, s28
.LBB829_206:                            ;   in Loop: Header=BB829_207 Depth=1
	v_dual_mov_b32 v24, s7 :: v_dual_mov_b32 v23, s6
	s_and_b32 s2, exec_lo, s28
	s_delay_alu instid0(SALU_CYCLE_1) | instskip(NEXT) | instid1(SALU_CYCLE_1)
	s_or_b32 s19, s2, s19
	s_and_not1_b32 exec_lo, exec_lo, s19
	s_cbranch_execz .LBB829_209
.LBB829_207:                            ; =>This Inner Loop Header: Depth=1
	s_or_b32 s28, s28, exec_lo
	s_cmp_eq_u64 s[4:5], s[6:7]
	s_cbranch_scc0 .LBB829_205
; %bb.208:                              ;   in Loop: Header=BB829_207 Depth=1
	s_mov_b64 s[6:7], s[22:23]
                                        ; implicit-def: $vgpr17_vgpr18
                                        ; implicit-def: $vgpr21_vgpr22
	s_branch .LBB829_206
.LBB829_209:
	s_set_inst_prefetch_distance 0x2
	s_or_b32 exec_lo, exec_lo, s19
	v_cmp_gt_i64_e32 vcc_lo, s[22:23], v[23:24]
	s_or_not1_b32 s19, vcc_lo, exec_lo
.LBB829_210:
	s_or_b32 exec_lo, exec_lo, s27
.LBB829_211:
	v_mul_lo_u32 v21, v6, s22
	v_mul_lo_u32 v22, v5, s23
	v_mad_u64_u32 v[17:18], null, v5, s22, 0
	s_mov_b32 s27, 0
	s_and_not1_b32 vcc_lo, exec_lo, s3
	s_mov_b32 s28, 0
	s_delay_alu instid0(VALU_DEP_1) | instskip(NEXT) | instid1(VALU_DEP_1)
	v_add3_u32 v18, v18, v22, v21
	v_lshlrev_b64 v[21:22], 3, v[17:18]
	s_cbranch_vccnz .LBB829_220
; %bb.212:
	s_delay_alu instid0(VALU_DEP_1) | instskip(NEXT) | instid1(VALU_DEP_2)
	v_add_co_u32 v23, vcc_lo, s8, v21
	v_add_co_ci_u32_e32 v24, vcc_lo, s9, v22, vcc_lo
	v_add_co_u32 v17, vcc_lo, s8, v19
	v_add_co_ci_u32_e32 v18, vcc_lo, s9, v20, vcc_lo
	s_mov_b32 s28, -1
	s_clause 0x1
	global_load_b64 v[19:20], v[23:24], off
	global_load_b64 v[25:26], v[17:18], off
	s_mov_b32 s29, exec_lo
	s_waitcnt vmcnt(0)
	v_cmpx_eq_f64_e32 v[19:20], v[25:26]
	s_cbranch_execz .LBB829_219
; %bb.213:
	v_add_co_u32 v17, vcc_lo, v17, 8
	v_add_co_ci_u32_e32 v18, vcc_lo, 0, v18, vcc_lo
	v_add_co_u32 v19, vcc_lo, v23, 8
	v_add_co_ci_u32_e32 v20, vcc_lo, 0, v24, vcc_lo
	s_add_u32 s4, s22, -1
	s_addc_u32 s5, s23, -1
	s_mov_b64 s[6:7], 0
	s_mov_b32 s28, 0
                                        ; implicit-def: $sgpr30
	s_set_inst_prefetch_distance 0x1
	s_branch .LBB829_216
	.p2align	6
.LBB829_214:                            ;   in Loop: Header=BB829_216 Depth=1
	global_load_b64 v[23:24], v[19:20], off
	global_load_b64 v[25:26], v[17:18], off
	v_add_co_u32 v17, s2, v17, 8
	s_delay_alu instid0(VALU_DEP_1) | instskip(SKIP_1) | instid1(VALU_DEP_1)
	v_add_co_ci_u32_e64 v18, s2, 0, v18, s2
	v_add_co_u32 v19, s2, v19, 8
	v_add_co_ci_u32_e64 v20, s2, 0, v20, s2
	s_add_u32 s6, s6, 1
	s_addc_u32 s7, s7, 0
	s_and_not1_b32 s2, s30, exec_lo
	s_waitcnt vmcnt(0)
	v_cmp_neq_f64_e32 vcc_lo, v[23:24], v[25:26]
	s_and_b32 s30, vcc_lo, exec_lo
	s_delay_alu instid0(SALU_CYCLE_1)
	s_or_b32 s30, s2, s30
.LBB829_215:                            ;   in Loop: Header=BB829_216 Depth=1
	v_dual_mov_b32 v24, s7 :: v_dual_mov_b32 v23, s6
	s_and_b32 s2, exec_lo, s30
	s_delay_alu instid0(SALU_CYCLE_1) | instskip(NEXT) | instid1(SALU_CYCLE_1)
	s_or_b32 s28, s2, s28
	s_and_not1_b32 exec_lo, exec_lo, s28
	s_cbranch_execz .LBB829_218
.LBB829_216:                            ; =>This Inner Loop Header: Depth=1
	s_or_b32 s30, s30, exec_lo
	s_cmp_eq_u64 s[4:5], s[6:7]
	s_cbranch_scc0 .LBB829_214
; %bb.217:                              ;   in Loop: Header=BB829_216 Depth=1
	s_mov_b64 s[6:7], s[22:23]
                                        ; implicit-def: $vgpr17_vgpr18
                                        ; implicit-def: $vgpr19_vgpr20
	s_branch .LBB829_215
.LBB829_218:
	s_set_inst_prefetch_distance 0x2
	s_or_b32 exec_lo, exec_lo, s28
	v_cmp_gt_i64_e32 vcc_lo, s[22:23], v[23:24]
	s_or_not1_b32 s28, vcc_lo, exec_lo
.LBB829_219:
	s_or_b32 exec_lo, exec_lo, s29
.LBB829_220:
	v_mul_lo_u32 v19, v12, s22
	v_mul_lo_u32 v20, v11, s23
	v_mad_u64_u32 v[17:18], null, v11, s22, 0
	s_and_not1_b32 vcc_lo, exec_lo, s3
	s_delay_alu instid0(VALU_DEP_1) | instskip(NEXT) | instid1(VALU_DEP_1)
	v_add3_u32 v18, v18, v20, v19
	v_lshlrev_b64 v[17:18], 3, v[17:18]
	s_cbranch_vccnz .LBB829_229
; %bb.221:
	s_delay_alu instid0(VALU_DEP_1) | instskip(NEXT) | instid1(VALU_DEP_2)
	v_add_co_u32 v23, vcc_lo, s8, v17
	v_add_co_ci_u32_e32 v24, vcc_lo, s9, v18, vcc_lo
	v_add_co_u32 v19, vcc_lo, s8, v21
	v_add_co_ci_u32_e32 v20, vcc_lo, s9, v22, vcc_lo
	s_mov_b32 s27, -1
	s_clause 0x1
	global_load_b64 v[21:22], v[23:24], off
	global_load_b64 v[25:26], v[19:20], off
	s_mov_b32 s29, exec_lo
	s_waitcnt vmcnt(0)
	v_cmpx_eq_f64_e32 v[21:22], v[25:26]
	s_cbranch_execz .LBB829_228
; %bb.222:
	v_add_co_u32 v19, vcc_lo, v19, 8
	v_add_co_ci_u32_e32 v20, vcc_lo, 0, v20, vcc_lo
	v_add_co_u32 v21, vcc_lo, v23, 8
	v_add_co_ci_u32_e32 v22, vcc_lo, 0, v24, vcc_lo
	s_add_u32 s4, s22, -1
	s_addc_u32 s5, s23, -1
	s_mov_b64 s[6:7], 0
	s_mov_b32 s27, 0
                                        ; implicit-def: $sgpr30
	s_set_inst_prefetch_distance 0x1
	s_branch .LBB829_225
	.p2align	6
.LBB829_223:                            ;   in Loop: Header=BB829_225 Depth=1
	global_load_b64 v[23:24], v[21:22], off
	global_load_b64 v[25:26], v[19:20], off
	v_add_co_u32 v19, s2, v19, 8
	s_delay_alu instid0(VALU_DEP_1) | instskip(SKIP_1) | instid1(VALU_DEP_1)
	v_add_co_ci_u32_e64 v20, s2, 0, v20, s2
	v_add_co_u32 v21, s2, v21, 8
	v_add_co_ci_u32_e64 v22, s2, 0, v22, s2
	s_add_u32 s6, s6, 1
	s_addc_u32 s7, s7, 0
	s_and_not1_b32 s2, s30, exec_lo
	s_waitcnt vmcnt(0)
	v_cmp_neq_f64_e32 vcc_lo, v[23:24], v[25:26]
	s_and_b32 s30, vcc_lo, exec_lo
	s_delay_alu instid0(SALU_CYCLE_1)
	s_or_b32 s30, s2, s30
.LBB829_224:                            ;   in Loop: Header=BB829_225 Depth=1
	v_dual_mov_b32 v24, s7 :: v_dual_mov_b32 v23, s6
	s_and_b32 s2, exec_lo, s30
	s_delay_alu instid0(SALU_CYCLE_1) | instskip(NEXT) | instid1(SALU_CYCLE_1)
	s_or_b32 s27, s2, s27
	s_and_not1_b32 exec_lo, exec_lo, s27
	s_cbranch_execz .LBB829_227
.LBB829_225:                            ; =>This Inner Loop Header: Depth=1
	s_or_b32 s30, s30, exec_lo
	s_cmp_eq_u64 s[4:5], s[6:7]
	s_cbranch_scc0 .LBB829_223
; %bb.226:                              ;   in Loop: Header=BB829_225 Depth=1
	s_mov_b64 s[6:7], s[22:23]
                                        ; implicit-def: $vgpr19_vgpr20
                                        ; implicit-def: $vgpr21_vgpr22
	s_branch .LBB829_224
.LBB829_227:
	s_set_inst_prefetch_distance 0x2
	s_or_b32 exec_lo, exec_lo, s27
	v_cmp_gt_i64_e32 vcc_lo, s[22:23], v[23:24]
	s_or_not1_b32 s27, vcc_lo, exec_lo
.LBB829_228:
	s_or_b32 exec_lo, exec_lo, s29
.LBB829_229:
	v_mul_lo_u32 v21, v10, s22
	v_mul_lo_u32 v22, v9, s23
	v_mad_u64_u32 v[19:20], null, v9, s22, 0
	s_mov_b32 s29, 0
	s_and_not1_b32 vcc_lo, exec_lo, s3
	s_mov_b32 s30, 0
	s_delay_alu instid0(VALU_DEP_1) | instskip(NEXT) | instid1(VALU_DEP_1)
	v_add3_u32 v20, v20, v22, v21
	v_lshlrev_b64 v[19:20], 3, v[19:20]
	s_cbranch_vccnz .LBB829_238
; %bb.230:
	s_delay_alu instid0(VALU_DEP_1) | instskip(NEXT) | instid1(VALU_DEP_2)
	v_add_co_u32 v21, vcc_lo, s8, v19
	v_add_co_ci_u32_e32 v22, vcc_lo, s9, v20, vcc_lo
	v_add_co_u32 v17, vcc_lo, s8, v17
	v_add_co_ci_u32_e32 v18, vcc_lo, s9, v18, vcc_lo
	s_mov_b32 s30, -1
	s_clause 0x1
	global_load_b64 v[23:24], v[21:22], off
	global_load_b64 v[25:26], v[17:18], off
	s_mov_b32 s31, exec_lo
	s_waitcnt vmcnt(0)
	v_cmpx_eq_f64_e32 v[23:24], v[25:26]
	s_cbranch_execz .LBB829_237
; %bb.231:
	v_add_co_u32 v17, vcc_lo, v17, 8
	v_add_co_ci_u32_e32 v18, vcc_lo, 0, v18, vcc_lo
	v_add_co_u32 v21, vcc_lo, v21, 8
	v_add_co_ci_u32_e32 v22, vcc_lo, 0, v22, vcc_lo
	s_add_u32 s4, s22, -1
	s_addc_u32 s5, s23, -1
	s_mov_b64 s[6:7], 0
	s_mov_b32 s30, 0
                                        ; implicit-def: $sgpr33
	s_set_inst_prefetch_distance 0x1
	s_branch .LBB829_234
	.p2align	6
.LBB829_232:                            ;   in Loop: Header=BB829_234 Depth=1
	global_load_b64 v[23:24], v[21:22], off
	global_load_b64 v[25:26], v[17:18], off
	v_add_co_u32 v17, s2, v17, 8
	s_delay_alu instid0(VALU_DEP_1) | instskip(SKIP_1) | instid1(VALU_DEP_1)
	v_add_co_ci_u32_e64 v18, s2, 0, v18, s2
	v_add_co_u32 v21, s2, v21, 8
	v_add_co_ci_u32_e64 v22, s2, 0, v22, s2
	s_add_u32 s6, s6, 1
	s_addc_u32 s7, s7, 0
	s_and_not1_b32 s2, s33, exec_lo
	s_waitcnt vmcnt(0)
	v_cmp_neq_f64_e32 vcc_lo, v[23:24], v[25:26]
	s_and_b32 s33, vcc_lo, exec_lo
	s_delay_alu instid0(SALU_CYCLE_1)
	s_or_b32 s33, s2, s33
.LBB829_233:                            ;   in Loop: Header=BB829_234 Depth=1
	v_dual_mov_b32 v24, s7 :: v_dual_mov_b32 v23, s6
	s_and_b32 s2, exec_lo, s33
	s_delay_alu instid0(SALU_CYCLE_1) | instskip(NEXT) | instid1(SALU_CYCLE_1)
	s_or_b32 s30, s2, s30
	s_and_not1_b32 exec_lo, exec_lo, s30
	s_cbranch_execz .LBB829_236
.LBB829_234:                            ; =>This Inner Loop Header: Depth=1
	s_or_b32 s33, s33, exec_lo
	s_cmp_eq_u64 s[4:5], s[6:7]
	s_cbranch_scc0 .LBB829_232
; %bb.235:                              ;   in Loop: Header=BB829_234 Depth=1
	s_mov_b64 s[6:7], s[22:23]
                                        ; implicit-def: $vgpr17_vgpr18
                                        ; implicit-def: $vgpr21_vgpr22
	s_branch .LBB829_233
.LBB829_236:
	s_set_inst_prefetch_distance 0x2
	s_or_b32 exec_lo, exec_lo, s30
	v_cmp_gt_i64_e32 vcc_lo, s[22:23], v[23:24]
	s_or_not1_b32 s30, vcc_lo, exec_lo
.LBB829_237:
	s_or_b32 exec_lo, exec_lo, s31
.LBB829_238:
	v_mul_lo_u32 v21, v16, s22
	v_mul_lo_u32 v22, v15, s23
	v_mad_u64_u32 v[17:18], null, v15, s22, 0
	s_and_not1_b32 vcc_lo, exec_lo, s3
	s_delay_alu instid0(VALU_DEP_1) | instskip(NEXT) | instid1(VALU_DEP_1)
	v_add3_u32 v18, v18, v22, v21
	v_lshlrev_b64 v[17:18], 3, v[17:18]
	s_cbranch_vccnz .LBB829_247
; %bb.239:
	s_delay_alu instid0(VALU_DEP_1) | instskip(NEXT) | instid1(VALU_DEP_2)
	v_add_co_u32 v21, vcc_lo, s8, v17
	v_add_co_ci_u32_e32 v22, vcc_lo, s9, v18, vcc_lo
	v_add_co_u32 v19, vcc_lo, s8, v19
	v_add_co_ci_u32_e32 v20, vcc_lo, s9, v20, vcc_lo
	s_mov_b32 s29, -1
	s_clause 0x1
	global_load_b64 v[23:24], v[21:22], off
	global_load_b64 v[25:26], v[19:20], off
	s_mov_b32 s31, exec_lo
	s_waitcnt vmcnt(0)
	v_cmpx_eq_f64_e32 v[23:24], v[25:26]
	s_cbranch_execz .LBB829_246
; %bb.240:
	v_add_co_u32 v19, vcc_lo, v19, 8
	v_add_co_ci_u32_e32 v20, vcc_lo, 0, v20, vcc_lo
	v_add_co_u32 v21, vcc_lo, v21, 8
	v_add_co_ci_u32_e32 v22, vcc_lo, 0, v22, vcc_lo
	s_add_u32 s4, s22, -1
	s_addc_u32 s5, s23, -1
	s_mov_b64 s[6:7], 0
	s_mov_b32 s29, 0
                                        ; implicit-def: $sgpr33
	s_set_inst_prefetch_distance 0x1
	s_branch .LBB829_243
	.p2align	6
.LBB829_241:                            ;   in Loop: Header=BB829_243 Depth=1
	global_load_b64 v[23:24], v[21:22], off
	global_load_b64 v[25:26], v[19:20], off
	v_add_co_u32 v19, s2, v19, 8
	s_delay_alu instid0(VALU_DEP_1) | instskip(SKIP_1) | instid1(VALU_DEP_1)
	v_add_co_ci_u32_e64 v20, s2, 0, v20, s2
	v_add_co_u32 v21, s2, v21, 8
	v_add_co_ci_u32_e64 v22, s2, 0, v22, s2
	s_add_u32 s6, s6, 1
	s_addc_u32 s7, s7, 0
	s_and_not1_b32 s2, s33, exec_lo
	s_waitcnt vmcnt(0)
	v_cmp_neq_f64_e32 vcc_lo, v[23:24], v[25:26]
	s_and_b32 s33, vcc_lo, exec_lo
	s_delay_alu instid0(SALU_CYCLE_1)
	s_or_b32 s33, s2, s33
.LBB829_242:                            ;   in Loop: Header=BB829_243 Depth=1
	v_dual_mov_b32 v24, s7 :: v_dual_mov_b32 v23, s6
	s_and_b32 s2, exec_lo, s33
	s_delay_alu instid0(SALU_CYCLE_1) | instskip(NEXT) | instid1(SALU_CYCLE_1)
	s_or_b32 s29, s2, s29
	s_and_not1_b32 exec_lo, exec_lo, s29
	s_cbranch_execz .LBB829_245
.LBB829_243:                            ; =>This Inner Loop Header: Depth=1
	s_or_b32 s33, s33, exec_lo
	s_cmp_eq_u64 s[4:5], s[6:7]
	s_cbranch_scc0 .LBB829_241
; %bb.244:                              ;   in Loop: Header=BB829_243 Depth=1
	s_mov_b64 s[6:7], s[22:23]
                                        ; implicit-def: $vgpr19_vgpr20
                                        ; implicit-def: $vgpr21_vgpr22
	s_branch .LBB829_242
.LBB829_245:
	s_set_inst_prefetch_distance 0x2
	s_or_b32 exec_lo, exec_lo, s29
	v_cmp_gt_i64_e32 vcc_lo, s[22:23], v[23:24]
	s_or_not1_b32 s29, vcc_lo, exec_lo
.LBB829_246:
	s_or_b32 exec_lo, exec_lo, s31
.LBB829_247:
	v_mul_lo_u32 v21, v14, s22
	v_mul_lo_u32 v22, v13, s23
	v_mad_u64_u32 v[19:20], null, v13, s22, 0
	s_and_not1_b32 vcc_lo, exec_lo, s3
	s_mov_b32 s2, 0
	s_delay_alu instid0(VALU_DEP_1)
	v_add3_u32 v20, v20, v22, v21
	s_cbranch_vccnz .LBB829_256
; %bb.248:
	s_delay_alu instid0(VALU_DEP_1) | instskip(SKIP_2) | instid1(VALU_DEP_1)
	v_lshlrev_b64 v[21:22], 3, v[19:20]
	s_mov_b32 s2, -1
	s_mov_b32 s31, exec_lo
	v_add_co_u32 v21, vcc_lo, s8, v21
	s_delay_alu instid0(VALU_DEP_2)
	v_add_co_ci_u32_e32 v22, vcc_lo, s9, v22, vcc_lo
	v_add_co_u32 v17, vcc_lo, s8, v17
	v_add_co_ci_u32_e32 v18, vcc_lo, s9, v18, vcc_lo
	s_clause 0x1
	global_load_b64 v[23:24], v[21:22], off
	global_load_b64 v[25:26], v[17:18], off
	s_waitcnt vmcnt(0)
	v_cmpx_eq_f64_e32 v[23:24], v[25:26]
	s_cbranch_execz .LBB829_255
; %bb.249:
	v_add_co_u32 v17, vcc_lo, v17, 8
	v_add_co_ci_u32_e32 v18, vcc_lo, 0, v18, vcc_lo
	v_add_co_u32 v21, vcc_lo, v21, 8
	v_add_co_ci_u32_e32 v22, vcc_lo, 0, v22, vcc_lo
	s_add_u32 s4, s22, -1
	s_addc_u32 s5, s23, -1
	s_mov_b64 s[6:7], 0
	s_mov_b32 s33, 0
                                        ; implicit-def: $sgpr34
	s_set_inst_prefetch_distance 0x1
	s_branch .LBB829_252
	.p2align	6
.LBB829_250:                            ;   in Loop: Header=BB829_252 Depth=1
	global_load_b64 v[23:24], v[21:22], off
	global_load_b64 v[25:26], v[17:18], off
	v_add_co_u32 v17, s2, v17, 8
	s_delay_alu instid0(VALU_DEP_1) | instskip(SKIP_1) | instid1(VALU_DEP_1)
	v_add_co_ci_u32_e64 v18, s2, 0, v18, s2
	v_add_co_u32 v21, s2, v21, 8
	v_add_co_ci_u32_e64 v22, s2, 0, v22, s2
	s_add_u32 s6, s6, 1
	s_addc_u32 s7, s7, 0
	s_and_not1_b32 s2, s34, exec_lo
	s_waitcnt vmcnt(0)
	v_cmp_neq_f64_e32 vcc_lo, v[23:24], v[25:26]
	s_and_b32 s34, vcc_lo, exec_lo
	s_delay_alu instid0(SALU_CYCLE_1)
	s_or_b32 s34, s2, s34
.LBB829_251:                            ;   in Loop: Header=BB829_252 Depth=1
	v_dual_mov_b32 v24, s7 :: v_dual_mov_b32 v23, s6
	s_and_b32 s2, exec_lo, s34
	s_delay_alu instid0(SALU_CYCLE_1) | instskip(NEXT) | instid1(SALU_CYCLE_1)
	s_or_b32 s33, s2, s33
	s_and_not1_b32 exec_lo, exec_lo, s33
	s_cbranch_execz .LBB829_254
.LBB829_252:                            ; =>This Inner Loop Header: Depth=1
	s_or_b32 s34, s34, exec_lo
	s_cmp_eq_u64 s[4:5], s[6:7]
	s_cbranch_scc0 .LBB829_250
; %bb.253:                              ;   in Loop: Header=BB829_252 Depth=1
	s_mov_b64 s[6:7], s[22:23]
                                        ; implicit-def: $vgpr17_vgpr18
                                        ; implicit-def: $vgpr21_vgpr22
	s_branch .LBB829_251
.LBB829_254:
	s_set_inst_prefetch_distance 0x2
	s_or_b32 exec_lo, exec_lo, s33
	v_cmp_gt_i64_e32 vcc_lo, s[22:23], v[23:24]
	s_or_not1_b32 s2, vcc_lo, exec_lo
.LBB829_255:
	s_or_b32 exec_lo, exec_lo, s31
.LBB829_256:
	v_cndmask_b32_e64 v18, 0, 1, s30
	v_cndmask_b32_e64 v21, 0, 1, s28
	;; [unrolled: 1-line block ×7, first 2 shown]
	v_lshlrev_b16 v21, 8, v21
	v_lshlrev_b16 v22, 8, v22
	;; [unrolled: 1-line block ×4, first 2 shown]
	s_delay_alu instid0(VALU_DEP_4) | instskip(NEXT) | instid1(VALU_DEP_4)
	v_or_b32_e32 v21, v24, v21
	v_or_b32_e32 v22, v25, v22
	s_delay_alu instid0(VALU_DEP_4) | instskip(NEXT) | instid1(VALU_DEP_4)
	v_or_b32_e32 v23, 1, v23
	v_or_b32_e32 v17, v17, v18
	s_barrier
	v_and_b32_e32 v18, 0xffff, v21
	v_lshlrev_b32_e32 v21, 16, v22
	v_and_b32_e32 v22, 0xffff, v23
	v_lshlrev_b32_e32 v17, 16, v17
	buffer_gl0_inv
                                        ; implicit-def: $sgpr2
	s_mov_b32 s4, exec_lo
	v_or_b32_e32 v18, v18, v21
	v_or_b32_e32 v17, v22, v17
	v_cmpx_ne_u32_e32 0, v0
	s_xor_b32 s19, exec_lo, s4
	s_cbranch_execz .LBB829_267
; %bb.257:
	s_and_not1_b32 vcc_lo, exec_lo, s3
	s_mov_b32 s2, 0
	s_cbranch_vccnz .LBB829_266
; %bb.258:
	v_add_nc_u32_e32 v21, -8, v39
	v_lshlrev_b64 v[19:20], 3, v[19:20]
	s_mov_b32 s2, -1
	s_mov_b32 s26, exec_lo
	ds_load_b64 v[21:22], v21
	s_waitcnt lgkmcnt(0)
	v_mul_lo_u32 v24, v22, s22
	v_mul_lo_u32 v25, v21, s23
	v_mad_u64_u32 v[22:23], null, v21, s22, 0
	s_delay_alu instid0(VALU_DEP_1) | instskip(NEXT) | instid1(VALU_DEP_1)
	v_add3_u32 v23, v23, v25, v24
	v_lshlrev_b64 v[21:22], 3, v[22:23]
	s_delay_alu instid0(VALU_DEP_1) | instskip(NEXT) | instid1(VALU_DEP_2)
	v_add_co_u32 v21, vcc_lo, s8, v21
	v_add_co_ci_u32_e32 v22, vcc_lo, s9, v22, vcc_lo
	v_add_co_u32 v19, vcc_lo, s8, v19
	v_add_co_ci_u32_e32 v20, vcc_lo, s9, v20, vcc_lo
	s_clause 0x1
	global_load_b64 v[23:24], v[21:22], off
	global_load_b64 v[25:26], v[19:20], off
	s_waitcnt vmcnt(0)
	v_cmpx_eq_f64_e32 v[23:24], v[25:26]
	s_cbranch_execz .LBB829_265
; %bb.259:
	v_add_co_u32 v19, vcc_lo, v19, 8
	v_add_co_ci_u32_e32 v20, vcc_lo, 0, v20, vcc_lo
	v_add_co_u32 v21, vcc_lo, v21, 8
	v_add_co_ci_u32_e32 v22, vcc_lo, 0, v22, vcc_lo
	s_add_u32 s4, s22, -1
	s_addc_u32 s5, s23, -1
	s_mov_b64 s[6:7], 0
	s_mov_b32 s27, 0
                                        ; implicit-def: $sgpr28
	s_set_inst_prefetch_distance 0x1
	s_branch .LBB829_262
	.p2align	6
.LBB829_260:                            ;   in Loop: Header=BB829_262 Depth=1
	global_load_b64 v[23:24], v[21:22], off
	global_load_b64 v[25:26], v[19:20], off
	v_add_co_u32 v19, s2, v19, 8
	s_delay_alu instid0(VALU_DEP_1) | instskip(SKIP_1) | instid1(VALU_DEP_1)
	v_add_co_ci_u32_e64 v20, s2, 0, v20, s2
	v_add_co_u32 v21, s2, v21, 8
	v_add_co_ci_u32_e64 v22, s2, 0, v22, s2
	s_add_u32 s6, s6, 1
	s_addc_u32 s7, s7, 0
	s_and_not1_b32 s2, s28, exec_lo
	s_waitcnt vmcnt(0)
	v_cmp_neq_f64_e32 vcc_lo, v[23:24], v[25:26]
	s_and_b32 s28, vcc_lo, exec_lo
	s_delay_alu instid0(SALU_CYCLE_1)
	s_or_b32 s28, s2, s28
.LBB829_261:                            ;   in Loop: Header=BB829_262 Depth=1
	v_dual_mov_b32 v24, s7 :: v_dual_mov_b32 v23, s6
	s_and_b32 s2, exec_lo, s28
	s_delay_alu instid0(SALU_CYCLE_1) | instskip(NEXT) | instid1(SALU_CYCLE_1)
	s_or_b32 s27, s2, s27
	s_and_not1_b32 exec_lo, exec_lo, s27
	s_cbranch_execz .LBB829_264
.LBB829_262:                            ; =>This Inner Loop Header: Depth=1
	s_or_b32 s28, s28, exec_lo
	s_cmp_eq_u64 s[4:5], s[6:7]
	s_cbranch_scc0 .LBB829_260
; %bb.263:                              ;   in Loop: Header=BB829_262 Depth=1
	s_mov_b64 s[6:7], s[22:23]
                                        ; implicit-def: $vgpr19_vgpr20
                                        ; implicit-def: $vgpr21_vgpr22
	s_branch .LBB829_261
.LBB829_264:
	s_set_inst_prefetch_distance 0x2
	s_or_b32 exec_lo, exec_lo, s27
	v_cmp_gt_i64_e32 vcc_lo, s[22:23], v[23:24]
	s_or_not1_b32 s2, vcc_lo, exec_lo
.LBB829_265:
	s_or_b32 exec_lo, exec_lo, s26
.LBB829_266:
	s_delay_alu instid0(SALU_CYCLE_1)
	s_and_b32 s2, s2, exec_lo
	s_or_b32 s18, s18, exec_lo
.LBB829_267:
	s_or_b32 exec_lo, exec_lo, s19
	s_branch .LBB829_359
.LBB829_268:
	v_or_b32_e32 v17, 7, v39
	s_mov_b32 s19, 0
	s_mov_b32 s26, 0
	s_mov_b32 s27, exec_lo
	s_delay_alu instid0(VALU_DEP_1)
	v_cmpx_gt_u32_e64 s20, v17
	s_cbranch_execz .LBB829_279
; %bb.269:
	s_and_not1_b32 vcc_lo, exec_lo, s3
	s_mov_b32 s2, 0
	s_cbranch_vccnz .LBB829_278
; %bb.270:
	v_mul_lo_u32 v21, v2, s22
	v_mul_lo_u32 v22, v1, s23
	v_mad_u64_u32 v[17:18], null, v1, s22, 0
	v_mul_lo_u32 v23, v4, s22
	v_mul_lo_u32 v24, v3, s23
	v_mad_u64_u32 v[19:20], null, v3, s22, 0
	s_mov_b32 s2, -1
	s_mov_b32 s26, exec_lo
	s_delay_alu instid0(VALU_DEP_4) | instskip(NEXT) | instid1(VALU_DEP_2)
	v_add3_u32 v18, v18, v22, v21
	v_add3_u32 v20, v20, v24, v23
	s_delay_alu instid0(VALU_DEP_2) | instskip(NEXT) | instid1(VALU_DEP_2)
	v_lshlrev_b64 v[17:18], 3, v[17:18]
	v_lshlrev_b64 v[21:22], 3, v[19:20]
	s_delay_alu instid0(VALU_DEP_2) | instskip(NEXT) | instid1(VALU_DEP_3)
	v_add_co_u32 v19, vcc_lo, s8, v17
	v_add_co_ci_u32_e32 v20, vcc_lo, s9, v18, vcc_lo
	s_delay_alu instid0(VALU_DEP_3) | instskip(NEXT) | instid1(VALU_DEP_4)
	v_add_co_u32 v17, vcc_lo, s8, v21
	v_add_co_ci_u32_e32 v18, vcc_lo, s9, v22, vcc_lo
	s_clause 0x1
	global_load_b64 v[21:22], v[19:20], off
	global_load_b64 v[23:24], v[17:18], off
	s_waitcnt vmcnt(0)
	v_cmpx_eq_f64_e32 v[21:22], v[23:24]
	s_cbranch_execz .LBB829_277
; %bb.271:
	v_add_co_u32 v17, vcc_lo, v17, 8
	v_add_co_ci_u32_e32 v18, vcc_lo, 0, v18, vcc_lo
	v_add_co_u32 v19, vcc_lo, v19, 8
	v_add_co_ci_u32_e32 v20, vcc_lo, 0, v20, vcc_lo
	s_add_u32 s4, s22, -1
	s_addc_u32 s5, s23, -1
	s_mov_b64 s[6:7], 0
	s_mov_b32 s28, 0
                                        ; implicit-def: $sgpr29
	s_set_inst_prefetch_distance 0x1
	s_branch .LBB829_274
	.p2align	6
.LBB829_272:                            ;   in Loop: Header=BB829_274 Depth=1
	global_load_b64 v[21:22], v[19:20], off
	global_load_b64 v[23:24], v[17:18], off
	v_add_co_u32 v17, s2, v17, 8
	s_delay_alu instid0(VALU_DEP_1) | instskip(SKIP_1) | instid1(VALU_DEP_1)
	v_add_co_ci_u32_e64 v18, s2, 0, v18, s2
	v_add_co_u32 v19, s2, v19, 8
	v_add_co_ci_u32_e64 v20, s2, 0, v20, s2
	s_add_u32 s6, s6, 1
	s_addc_u32 s7, s7, 0
	s_and_not1_b32 s2, s29, exec_lo
	s_waitcnt vmcnt(0)
	v_cmp_neq_f64_e32 vcc_lo, v[21:22], v[23:24]
	s_and_b32 s29, vcc_lo, exec_lo
	s_delay_alu instid0(SALU_CYCLE_1)
	s_or_b32 s29, s2, s29
.LBB829_273:                            ;   in Loop: Header=BB829_274 Depth=1
	v_dual_mov_b32 v22, s7 :: v_dual_mov_b32 v21, s6
	s_and_b32 s2, exec_lo, s29
	s_delay_alu instid0(SALU_CYCLE_1) | instskip(NEXT) | instid1(SALU_CYCLE_1)
	s_or_b32 s28, s2, s28
	s_and_not1_b32 exec_lo, exec_lo, s28
	s_cbranch_execz .LBB829_276
.LBB829_274:                            ; =>This Inner Loop Header: Depth=1
	s_or_b32 s29, s29, exec_lo
	s_cmp_eq_u64 s[4:5], s[6:7]
	s_cbranch_scc0 .LBB829_272
; %bb.275:                              ;   in Loop: Header=BB829_274 Depth=1
	s_mov_b64 s[6:7], s[22:23]
                                        ; implicit-def: $vgpr17_vgpr18
                                        ; implicit-def: $vgpr19_vgpr20
	s_branch .LBB829_273
.LBB829_276:
	s_set_inst_prefetch_distance 0x2
	s_or_b32 exec_lo, exec_lo, s28
	v_cmp_gt_i64_e32 vcc_lo, s[22:23], v[21:22]
	s_or_not1_b32 s2, vcc_lo, exec_lo
.LBB829_277:
	s_or_b32 exec_lo, exec_lo, s26
.LBB829_278:
	s_delay_alu instid0(SALU_CYCLE_1)
	s_and_b32 s26, s2, exec_lo
.LBB829_279:
	s_or_b32 exec_lo, exec_lo, s27
	v_or_b32_e32 v17, 6, v39
	s_mov_b32 s27, exec_lo
	s_delay_alu instid0(VALU_DEP_1)
	v_cmpx_gt_u32_e64 s20, v17
	s_cbranch_execz .LBB829_290
; %bb.280:
	s_and_not1_b32 vcc_lo, exec_lo, s3
	s_mov_b32 s2, 0
	s_cbranch_vccnz .LBB829_289
; %bb.281:
	v_mul_lo_u32 v21, v8, s22
	v_mul_lo_u32 v22, v7, s23
	v_mad_u64_u32 v[17:18], null, v7, s22, 0
	v_mul_lo_u32 v23, v2, s22
	v_mul_lo_u32 v24, v1, s23
	v_mad_u64_u32 v[19:20], null, v1, s22, 0
	s_mov_b32 s2, -1
	s_mov_b32 s19, exec_lo
	s_delay_alu instid0(VALU_DEP_4) | instskip(NEXT) | instid1(VALU_DEP_2)
	v_add3_u32 v18, v18, v22, v21
	v_add3_u32 v20, v20, v24, v23
	s_delay_alu instid0(VALU_DEP_2) | instskip(NEXT) | instid1(VALU_DEP_2)
	v_lshlrev_b64 v[17:18], 3, v[17:18]
	v_lshlrev_b64 v[21:22], 3, v[19:20]
	s_delay_alu instid0(VALU_DEP_2) | instskip(NEXT) | instid1(VALU_DEP_3)
	v_add_co_u32 v19, vcc_lo, s8, v17
	v_add_co_ci_u32_e32 v20, vcc_lo, s9, v18, vcc_lo
	s_delay_alu instid0(VALU_DEP_3) | instskip(NEXT) | instid1(VALU_DEP_4)
	v_add_co_u32 v17, vcc_lo, s8, v21
	v_add_co_ci_u32_e32 v18, vcc_lo, s9, v22, vcc_lo
	s_clause 0x1
	global_load_b64 v[21:22], v[19:20], off
	global_load_b64 v[23:24], v[17:18], off
	s_waitcnt vmcnt(0)
	v_cmpx_eq_f64_e32 v[21:22], v[23:24]
	s_cbranch_execz .LBB829_288
; %bb.282:
	v_add_co_u32 v17, vcc_lo, v17, 8
	v_add_co_ci_u32_e32 v18, vcc_lo, 0, v18, vcc_lo
	v_add_co_u32 v19, vcc_lo, v19, 8
	v_add_co_ci_u32_e32 v20, vcc_lo, 0, v20, vcc_lo
	s_add_u32 s4, s22, -1
	s_addc_u32 s5, s23, -1
	s_mov_b64 s[6:7], 0
	s_mov_b32 s28, 0
                                        ; implicit-def: $sgpr29
	s_set_inst_prefetch_distance 0x1
	s_branch .LBB829_285
	.p2align	6
.LBB829_283:                            ;   in Loop: Header=BB829_285 Depth=1
	global_load_b64 v[21:22], v[19:20], off
	global_load_b64 v[23:24], v[17:18], off
	v_add_co_u32 v17, s2, v17, 8
	s_delay_alu instid0(VALU_DEP_1) | instskip(SKIP_1) | instid1(VALU_DEP_1)
	v_add_co_ci_u32_e64 v18, s2, 0, v18, s2
	v_add_co_u32 v19, s2, v19, 8
	v_add_co_ci_u32_e64 v20, s2, 0, v20, s2
	s_add_u32 s6, s6, 1
	s_addc_u32 s7, s7, 0
	s_and_not1_b32 s2, s29, exec_lo
	s_waitcnt vmcnt(0)
	v_cmp_neq_f64_e32 vcc_lo, v[21:22], v[23:24]
	s_and_b32 s29, vcc_lo, exec_lo
	s_delay_alu instid0(SALU_CYCLE_1)
	s_or_b32 s29, s2, s29
.LBB829_284:                            ;   in Loop: Header=BB829_285 Depth=1
	v_dual_mov_b32 v22, s7 :: v_dual_mov_b32 v21, s6
	s_and_b32 s2, exec_lo, s29
	s_delay_alu instid0(SALU_CYCLE_1) | instskip(NEXT) | instid1(SALU_CYCLE_1)
	s_or_b32 s28, s2, s28
	s_and_not1_b32 exec_lo, exec_lo, s28
	s_cbranch_execz .LBB829_287
.LBB829_285:                            ; =>This Inner Loop Header: Depth=1
	s_or_b32 s29, s29, exec_lo
	s_cmp_eq_u64 s[4:5], s[6:7]
	s_cbranch_scc0 .LBB829_283
; %bb.286:                              ;   in Loop: Header=BB829_285 Depth=1
	s_mov_b64 s[6:7], s[22:23]
                                        ; implicit-def: $vgpr17_vgpr18
                                        ; implicit-def: $vgpr19_vgpr20
	s_branch .LBB829_284
.LBB829_287:
	s_set_inst_prefetch_distance 0x2
	s_or_b32 exec_lo, exec_lo, s28
	v_cmp_gt_i64_e32 vcc_lo, s[22:23], v[21:22]
	s_or_not1_b32 s2, vcc_lo, exec_lo
.LBB829_288:
	s_or_b32 exec_lo, exec_lo, s19
.LBB829_289:
	s_delay_alu instid0(SALU_CYCLE_1)
	s_and_b32 s19, s2, exec_lo
.LBB829_290:
	s_or_b32 exec_lo, exec_lo, s27
	v_or_b32_e32 v17, 5, v39
	s_mov_b32 s27, 0
	s_mov_b32 s28, 0
	s_mov_b32 s29, exec_lo
	s_delay_alu instid0(VALU_DEP_1)
	v_cmpx_gt_u32_e64 s20, v17
	s_cbranch_execz .LBB829_301
; %bb.291:
	s_and_not1_b32 vcc_lo, exec_lo, s3
	s_mov_b32 s2, 0
	s_cbranch_vccnz .LBB829_300
; %bb.292:
	v_mul_lo_u32 v21, v6, s22
	v_mul_lo_u32 v22, v5, s23
	v_mad_u64_u32 v[17:18], null, v5, s22, 0
	v_mul_lo_u32 v23, v8, s22
	v_mul_lo_u32 v24, v7, s23
	v_mad_u64_u32 v[19:20], null, v7, s22, 0
	s_mov_b32 s2, -1
	s_mov_b32 s28, exec_lo
	s_delay_alu instid0(VALU_DEP_4) | instskip(NEXT) | instid1(VALU_DEP_2)
	v_add3_u32 v18, v18, v22, v21
	v_add3_u32 v20, v20, v24, v23
	s_delay_alu instid0(VALU_DEP_2) | instskip(NEXT) | instid1(VALU_DEP_2)
	v_lshlrev_b64 v[17:18], 3, v[17:18]
	v_lshlrev_b64 v[21:22], 3, v[19:20]
	s_delay_alu instid0(VALU_DEP_2) | instskip(NEXT) | instid1(VALU_DEP_3)
	v_add_co_u32 v19, vcc_lo, s8, v17
	v_add_co_ci_u32_e32 v20, vcc_lo, s9, v18, vcc_lo
	s_delay_alu instid0(VALU_DEP_3) | instskip(NEXT) | instid1(VALU_DEP_4)
	v_add_co_u32 v17, vcc_lo, s8, v21
	v_add_co_ci_u32_e32 v18, vcc_lo, s9, v22, vcc_lo
	s_clause 0x1
	global_load_b64 v[21:22], v[19:20], off
	global_load_b64 v[23:24], v[17:18], off
	s_waitcnt vmcnt(0)
	v_cmpx_eq_f64_e32 v[21:22], v[23:24]
	s_cbranch_execz .LBB829_299
; %bb.293:
	v_add_co_u32 v17, vcc_lo, v17, 8
	v_add_co_ci_u32_e32 v18, vcc_lo, 0, v18, vcc_lo
	v_add_co_u32 v19, vcc_lo, v19, 8
	v_add_co_ci_u32_e32 v20, vcc_lo, 0, v20, vcc_lo
	s_add_u32 s4, s22, -1
	s_addc_u32 s5, s23, -1
	s_mov_b64 s[6:7], 0
	s_mov_b32 s30, 0
                                        ; implicit-def: $sgpr31
	s_set_inst_prefetch_distance 0x1
	s_branch .LBB829_296
	.p2align	6
.LBB829_294:                            ;   in Loop: Header=BB829_296 Depth=1
	global_load_b64 v[21:22], v[19:20], off
	global_load_b64 v[23:24], v[17:18], off
	v_add_co_u32 v17, s2, v17, 8
	s_delay_alu instid0(VALU_DEP_1) | instskip(SKIP_1) | instid1(VALU_DEP_1)
	v_add_co_ci_u32_e64 v18, s2, 0, v18, s2
	v_add_co_u32 v19, s2, v19, 8
	v_add_co_ci_u32_e64 v20, s2, 0, v20, s2
	s_add_u32 s6, s6, 1
	s_addc_u32 s7, s7, 0
	s_and_not1_b32 s2, s31, exec_lo
	s_waitcnt vmcnt(0)
	v_cmp_neq_f64_e32 vcc_lo, v[21:22], v[23:24]
	s_and_b32 s31, vcc_lo, exec_lo
	s_delay_alu instid0(SALU_CYCLE_1)
	s_or_b32 s31, s2, s31
.LBB829_295:                            ;   in Loop: Header=BB829_296 Depth=1
	v_dual_mov_b32 v22, s7 :: v_dual_mov_b32 v21, s6
	s_and_b32 s2, exec_lo, s31
	s_delay_alu instid0(SALU_CYCLE_1) | instskip(NEXT) | instid1(SALU_CYCLE_1)
	s_or_b32 s30, s2, s30
	s_and_not1_b32 exec_lo, exec_lo, s30
	s_cbranch_execz .LBB829_298
.LBB829_296:                            ; =>This Inner Loop Header: Depth=1
	s_or_b32 s31, s31, exec_lo
	s_cmp_eq_u64 s[4:5], s[6:7]
	s_cbranch_scc0 .LBB829_294
; %bb.297:                              ;   in Loop: Header=BB829_296 Depth=1
	s_mov_b64 s[6:7], s[22:23]
                                        ; implicit-def: $vgpr17_vgpr18
                                        ; implicit-def: $vgpr19_vgpr20
	s_branch .LBB829_295
.LBB829_298:
	s_set_inst_prefetch_distance 0x2
	s_or_b32 exec_lo, exec_lo, s30
	v_cmp_gt_i64_e32 vcc_lo, s[22:23], v[21:22]
	s_or_not1_b32 s2, vcc_lo, exec_lo
.LBB829_299:
	s_or_b32 exec_lo, exec_lo, s28
.LBB829_300:
	s_delay_alu instid0(SALU_CYCLE_1)
	s_and_b32 s28, s2, exec_lo
.LBB829_301:
	s_or_b32 exec_lo, exec_lo, s29
	v_or_b32_e32 v17, 4, v39
	s_mov_b32 s29, exec_lo
	s_delay_alu instid0(VALU_DEP_1)
	v_cmpx_gt_u32_e64 s20, v17
	s_cbranch_execz .LBB829_312
; %bb.302:
	s_and_not1_b32 vcc_lo, exec_lo, s3
	s_mov_b32 s2, 0
	s_cbranch_vccnz .LBB829_311
; %bb.303:
	v_mul_lo_u32 v21, v12, s22
	v_mul_lo_u32 v22, v11, s23
	v_mad_u64_u32 v[17:18], null, v11, s22, 0
	v_mul_lo_u32 v23, v6, s22
	v_mul_lo_u32 v24, v5, s23
	v_mad_u64_u32 v[19:20], null, v5, s22, 0
	s_mov_b32 s2, -1
	s_mov_b32 s27, exec_lo
	s_delay_alu instid0(VALU_DEP_4) | instskip(NEXT) | instid1(VALU_DEP_2)
	v_add3_u32 v18, v18, v22, v21
	v_add3_u32 v20, v20, v24, v23
	s_delay_alu instid0(VALU_DEP_2) | instskip(NEXT) | instid1(VALU_DEP_2)
	v_lshlrev_b64 v[17:18], 3, v[17:18]
	v_lshlrev_b64 v[21:22], 3, v[19:20]
	s_delay_alu instid0(VALU_DEP_2) | instskip(NEXT) | instid1(VALU_DEP_3)
	v_add_co_u32 v19, vcc_lo, s8, v17
	v_add_co_ci_u32_e32 v20, vcc_lo, s9, v18, vcc_lo
	s_delay_alu instid0(VALU_DEP_3) | instskip(NEXT) | instid1(VALU_DEP_4)
	v_add_co_u32 v17, vcc_lo, s8, v21
	v_add_co_ci_u32_e32 v18, vcc_lo, s9, v22, vcc_lo
	s_clause 0x1
	global_load_b64 v[21:22], v[19:20], off
	global_load_b64 v[23:24], v[17:18], off
	s_waitcnt vmcnt(0)
	v_cmpx_eq_f64_e32 v[21:22], v[23:24]
	s_cbranch_execz .LBB829_310
; %bb.304:
	v_add_co_u32 v17, vcc_lo, v17, 8
	v_add_co_ci_u32_e32 v18, vcc_lo, 0, v18, vcc_lo
	v_add_co_u32 v19, vcc_lo, v19, 8
	v_add_co_ci_u32_e32 v20, vcc_lo, 0, v20, vcc_lo
	s_add_u32 s4, s22, -1
	s_addc_u32 s5, s23, -1
	s_mov_b64 s[6:7], 0
	s_mov_b32 s30, 0
                                        ; implicit-def: $sgpr31
	s_set_inst_prefetch_distance 0x1
	s_branch .LBB829_307
	.p2align	6
.LBB829_305:                            ;   in Loop: Header=BB829_307 Depth=1
	global_load_b64 v[21:22], v[19:20], off
	global_load_b64 v[23:24], v[17:18], off
	v_add_co_u32 v17, s2, v17, 8
	s_delay_alu instid0(VALU_DEP_1) | instskip(SKIP_1) | instid1(VALU_DEP_1)
	v_add_co_ci_u32_e64 v18, s2, 0, v18, s2
	v_add_co_u32 v19, s2, v19, 8
	v_add_co_ci_u32_e64 v20, s2, 0, v20, s2
	s_add_u32 s6, s6, 1
	s_addc_u32 s7, s7, 0
	s_and_not1_b32 s2, s31, exec_lo
	s_waitcnt vmcnt(0)
	v_cmp_neq_f64_e32 vcc_lo, v[21:22], v[23:24]
	s_and_b32 s31, vcc_lo, exec_lo
	s_delay_alu instid0(SALU_CYCLE_1)
	s_or_b32 s31, s2, s31
.LBB829_306:                            ;   in Loop: Header=BB829_307 Depth=1
	v_dual_mov_b32 v22, s7 :: v_dual_mov_b32 v21, s6
	s_and_b32 s2, exec_lo, s31
	s_delay_alu instid0(SALU_CYCLE_1) | instskip(NEXT) | instid1(SALU_CYCLE_1)
	s_or_b32 s30, s2, s30
	s_and_not1_b32 exec_lo, exec_lo, s30
	s_cbranch_execz .LBB829_309
.LBB829_307:                            ; =>This Inner Loop Header: Depth=1
	s_or_b32 s31, s31, exec_lo
	s_cmp_eq_u64 s[4:5], s[6:7]
	s_cbranch_scc0 .LBB829_305
; %bb.308:                              ;   in Loop: Header=BB829_307 Depth=1
	s_mov_b64 s[6:7], s[22:23]
                                        ; implicit-def: $vgpr17_vgpr18
                                        ; implicit-def: $vgpr19_vgpr20
	s_branch .LBB829_306
.LBB829_309:
	s_set_inst_prefetch_distance 0x2
	s_or_b32 exec_lo, exec_lo, s30
	v_cmp_gt_i64_e32 vcc_lo, s[22:23], v[21:22]
	s_or_not1_b32 s2, vcc_lo, exec_lo
.LBB829_310:
	s_or_b32 exec_lo, exec_lo, s27
.LBB829_311:
	s_delay_alu instid0(SALU_CYCLE_1)
	s_and_b32 s27, s2, exec_lo
.LBB829_312:
	s_or_b32 exec_lo, exec_lo, s29
	v_or_b32_e32 v17, 3, v39
	s_mov_b32 s30, 0
	s_mov_b32 s29, 0
	s_mov_b32 s31, exec_lo
	s_delay_alu instid0(VALU_DEP_1)
	v_cmpx_gt_u32_e64 s20, v17
	s_cbranch_execz .LBB829_323
; %bb.313:
	s_and_not1_b32 vcc_lo, exec_lo, s3
	s_mov_b32 s2, 0
	s_cbranch_vccnz .LBB829_322
; %bb.314:
	v_mul_lo_u32 v21, v10, s22
	v_mul_lo_u32 v22, v9, s23
	v_mad_u64_u32 v[17:18], null, v9, s22, 0
	v_mul_lo_u32 v23, v12, s22
	v_mul_lo_u32 v24, v11, s23
	v_mad_u64_u32 v[19:20], null, v11, s22, 0
	s_mov_b32 s2, -1
	s_mov_b32 s29, exec_lo
	s_delay_alu instid0(VALU_DEP_4) | instskip(NEXT) | instid1(VALU_DEP_2)
	v_add3_u32 v18, v18, v22, v21
	v_add3_u32 v20, v20, v24, v23
	s_delay_alu instid0(VALU_DEP_2) | instskip(NEXT) | instid1(VALU_DEP_2)
	v_lshlrev_b64 v[17:18], 3, v[17:18]
	v_lshlrev_b64 v[21:22], 3, v[19:20]
	s_delay_alu instid0(VALU_DEP_2) | instskip(NEXT) | instid1(VALU_DEP_3)
	v_add_co_u32 v19, vcc_lo, s8, v17
	v_add_co_ci_u32_e32 v20, vcc_lo, s9, v18, vcc_lo
	s_delay_alu instid0(VALU_DEP_3) | instskip(NEXT) | instid1(VALU_DEP_4)
	v_add_co_u32 v17, vcc_lo, s8, v21
	v_add_co_ci_u32_e32 v18, vcc_lo, s9, v22, vcc_lo
	s_clause 0x1
	global_load_b64 v[21:22], v[19:20], off
	global_load_b64 v[23:24], v[17:18], off
	s_waitcnt vmcnt(0)
	v_cmpx_eq_f64_e32 v[21:22], v[23:24]
	s_cbranch_execz .LBB829_321
; %bb.315:
	v_add_co_u32 v17, vcc_lo, v17, 8
	v_add_co_ci_u32_e32 v18, vcc_lo, 0, v18, vcc_lo
	v_add_co_u32 v19, vcc_lo, v19, 8
	v_add_co_ci_u32_e32 v20, vcc_lo, 0, v20, vcc_lo
	s_add_u32 s4, s22, -1
	s_addc_u32 s5, s23, -1
	s_mov_b64 s[6:7], 0
	s_mov_b32 s33, 0
                                        ; implicit-def: $sgpr34
	s_set_inst_prefetch_distance 0x1
	s_branch .LBB829_318
	.p2align	6
.LBB829_316:                            ;   in Loop: Header=BB829_318 Depth=1
	global_load_b64 v[21:22], v[19:20], off
	global_load_b64 v[23:24], v[17:18], off
	v_add_co_u32 v17, s2, v17, 8
	s_delay_alu instid0(VALU_DEP_1) | instskip(SKIP_1) | instid1(VALU_DEP_1)
	v_add_co_ci_u32_e64 v18, s2, 0, v18, s2
	v_add_co_u32 v19, s2, v19, 8
	v_add_co_ci_u32_e64 v20, s2, 0, v20, s2
	s_add_u32 s6, s6, 1
	s_addc_u32 s7, s7, 0
	s_and_not1_b32 s2, s34, exec_lo
	s_waitcnt vmcnt(0)
	v_cmp_neq_f64_e32 vcc_lo, v[21:22], v[23:24]
	s_and_b32 s34, vcc_lo, exec_lo
	s_delay_alu instid0(SALU_CYCLE_1)
	s_or_b32 s34, s2, s34
.LBB829_317:                            ;   in Loop: Header=BB829_318 Depth=1
	v_dual_mov_b32 v22, s7 :: v_dual_mov_b32 v21, s6
	s_and_b32 s2, exec_lo, s34
	s_delay_alu instid0(SALU_CYCLE_1) | instskip(NEXT) | instid1(SALU_CYCLE_1)
	s_or_b32 s33, s2, s33
	s_and_not1_b32 exec_lo, exec_lo, s33
	s_cbranch_execz .LBB829_320
.LBB829_318:                            ; =>This Inner Loop Header: Depth=1
	s_or_b32 s34, s34, exec_lo
	s_cmp_eq_u64 s[4:5], s[6:7]
	s_cbranch_scc0 .LBB829_316
; %bb.319:                              ;   in Loop: Header=BB829_318 Depth=1
	s_mov_b64 s[6:7], s[22:23]
                                        ; implicit-def: $vgpr17_vgpr18
                                        ; implicit-def: $vgpr19_vgpr20
	s_branch .LBB829_317
.LBB829_320:
	s_set_inst_prefetch_distance 0x2
	s_or_b32 exec_lo, exec_lo, s33
	v_cmp_gt_i64_e32 vcc_lo, s[22:23], v[21:22]
	s_or_not1_b32 s2, vcc_lo, exec_lo
.LBB829_321:
	s_or_b32 exec_lo, exec_lo, s29
.LBB829_322:
	s_delay_alu instid0(SALU_CYCLE_1)
	s_and_b32 s29, s2, exec_lo
.LBB829_323:
	s_or_b32 exec_lo, exec_lo, s31
	v_or_b32_e32 v17, 2, v39
	s_mov_b32 s31, exec_lo
	s_delay_alu instid0(VALU_DEP_1)
	v_cmpx_gt_u32_e64 s20, v17
	s_cbranch_execz .LBB829_334
; %bb.324:
	s_and_not1_b32 vcc_lo, exec_lo, s3
	s_mov_b32 s2, 0
	s_cbranch_vccnz .LBB829_333
; %bb.325:
	v_mul_lo_u32 v21, v16, s22
	v_mul_lo_u32 v22, v15, s23
	v_mad_u64_u32 v[17:18], null, v15, s22, 0
	v_mul_lo_u32 v23, v10, s22
	v_mul_lo_u32 v24, v9, s23
	v_mad_u64_u32 v[19:20], null, v9, s22, 0
	s_mov_b32 s2, -1
	s_mov_b32 s30, exec_lo
	s_delay_alu instid0(VALU_DEP_4) | instskip(NEXT) | instid1(VALU_DEP_2)
	v_add3_u32 v18, v18, v22, v21
	v_add3_u32 v20, v20, v24, v23
	s_delay_alu instid0(VALU_DEP_2) | instskip(NEXT) | instid1(VALU_DEP_2)
	v_lshlrev_b64 v[17:18], 3, v[17:18]
	v_lshlrev_b64 v[21:22], 3, v[19:20]
	s_delay_alu instid0(VALU_DEP_2) | instskip(NEXT) | instid1(VALU_DEP_3)
	v_add_co_u32 v19, vcc_lo, s8, v17
	v_add_co_ci_u32_e32 v20, vcc_lo, s9, v18, vcc_lo
	s_delay_alu instid0(VALU_DEP_3) | instskip(NEXT) | instid1(VALU_DEP_4)
	v_add_co_u32 v17, vcc_lo, s8, v21
	v_add_co_ci_u32_e32 v18, vcc_lo, s9, v22, vcc_lo
	s_clause 0x1
	global_load_b64 v[21:22], v[19:20], off
	global_load_b64 v[23:24], v[17:18], off
	s_waitcnt vmcnt(0)
	v_cmpx_eq_f64_e32 v[21:22], v[23:24]
	s_cbranch_execz .LBB829_332
; %bb.326:
	v_add_co_u32 v17, vcc_lo, v17, 8
	v_add_co_ci_u32_e32 v18, vcc_lo, 0, v18, vcc_lo
	v_add_co_u32 v19, vcc_lo, v19, 8
	v_add_co_ci_u32_e32 v20, vcc_lo, 0, v20, vcc_lo
	s_add_u32 s4, s22, -1
	s_addc_u32 s5, s23, -1
	s_mov_b64 s[6:7], 0
	s_mov_b32 s33, 0
                                        ; implicit-def: $sgpr34
	s_set_inst_prefetch_distance 0x1
	s_branch .LBB829_329
	.p2align	6
.LBB829_327:                            ;   in Loop: Header=BB829_329 Depth=1
	global_load_b64 v[21:22], v[19:20], off
	global_load_b64 v[23:24], v[17:18], off
	v_add_co_u32 v17, s2, v17, 8
	s_delay_alu instid0(VALU_DEP_1) | instskip(SKIP_1) | instid1(VALU_DEP_1)
	v_add_co_ci_u32_e64 v18, s2, 0, v18, s2
	v_add_co_u32 v19, s2, v19, 8
	v_add_co_ci_u32_e64 v20, s2, 0, v20, s2
	s_add_u32 s6, s6, 1
	s_addc_u32 s7, s7, 0
	s_and_not1_b32 s2, s34, exec_lo
	s_waitcnt vmcnt(0)
	v_cmp_neq_f64_e32 vcc_lo, v[21:22], v[23:24]
	s_and_b32 s34, vcc_lo, exec_lo
	s_delay_alu instid0(SALU_CYCLE_1)
	s_or_b32 s34, s2, s34
.LBB829_328:                            ;   in Loop: Header=BB829_329 Depth=1
	v_dual_mov_b32 v22, s7 :: v_dual_mov_b32 v21, s6
	s_and_b32 s2, exec_lo, s34
	s_delay_alu instid0(SALU_CYCLE_1) | instskip(NEXT) | instid1(SALU_CYCLE_1)
	s_or_b32 s33, s2, s33
	s_and_not1_b32 exec_lo, exec_lo, s33
	s_cbranch_execz .LBB829_331
.LBB829_329:                            ; =>This Inner Loop Header: Depth=1
	s_or_b32 s34, s34, exec_lo
	s_cmp_eq_u64 s[4:5], s[6:7]
	s_cbranch_scc0 .LBB829_327
; %bb.330:                              ;   in Loop: Header=BB829_329 Depth=1
	s_mov_b64 s[6:7], s[22:23]
                                        ; implicit-def: $vgpr17_vgpr18
                                        ; implicit-def: $vgpr19_vgpr20
	s_branch .LBB829_328
.LBB829_331:
	s_set_inst_prefetch_distance 0x2
	s_or_b32 exec_lo, exec_lo, s33
	v_cmp_gt_i64_e32 vcc_lo, s[22:23], v[21:22]
	s_or_not1_b32 s2, vcc_lo, exec_lo
.LBB829_332:
	s_or_b32 exec_lo, exec_lo, s30
.LBB829_333:
	s_delay_alu instid0(SALU_CYCLE_1)
	s_and_b32 s30, s2, exec_lo
.LBB829_334:
	s_or_b32 exec_lo, exec_lo, s31
	v_or_b32_e32 v17, 1, v39
	s_mov_b32 s2, 0
	s_mov_b32 s31, exec_lo
	s_delay_alu instid0(VALU_DEP_1)
	v_cmpx_gt_u32_e64 s20, v17
	s_cbranch_execz .LBB829_345
; %bb.335:
	s_and_not1_b32 vcc_lo, exec_lo, s3
	s_cbranch_vccnz .LBB829_344
; %bb.336:
	v_mul_lo_u32 v21, v14, s22
	v_mul_lo_u32 v22, v13, s23
	v_mad_u64_u32 v[17:18], null, v13, s22, 0
	v_mul_lo_u32 v23, v16, s22
	v_mul_lo_u32 v24, v15, s23
	v_mad_u64_u32 v[19:20], null, v15, s22, 0
	s_mov_b32 s2, -1
	s_mov_b32 s33, exec_lo
	s_delay_alu instid0(VALU_DEP_4) | instskip(NEXT) | instid1(VALU_DEP_2)
	v_add3_u32 v18, v18, v22, v21
	v_add3_u32 v20, v20, v24, v23
	s_delay_alu instid0(VALU_DEP_2) | instskip(NEXT) | instid1(VALU_DEP_2)
	v_lshlrev_b64 v[17:18], 3, v[17:18]
	v_lshlrev_b64 v[21:22], 3, v[19:20]
	s_delay_alu instid0(VALU_DEP_2) | instskip(NEXT) | instid1(VALU_DEP_3)
	v_add_co_u32 v19, vcc_lo, s8, v17
	v_add_co_ci_u32_e32 v20, vcc_lo, s9, v18, vcc_lo
	s_delay_alu instid0(VALU_DEP_3) | instskip(NEXT) | instid1(VALU_DEP_4)
	v_add_co_u32 v17, vcc_lo, s8, v21
	v_add_co_ci_u32_e32 v18, vcc_lo, s9, v22, vcc_lo
	s_clause 0x1
	global_load_b64 v[21:22], v[19:20], off
	global_load_b64 v[23:24], v[17:18], off
	s_waitcnt vmcnt(0)
	v_cmpx_eq_f64_e32 v[21:22], v[23:24]
	s_cbranch_execz .LBB829_343
; %bb.337:
	v_add_co_u32 v17, vcc_lo, v17, 8
	v_add_co_ci_u32_e32 v18, vcc_lo, 0, v18, vcc_lo
	v_add_co_u32 v19, vcc_lo, v19, 8
	v_add_co_ci_u32_e32 v20, vcc_lo, 0, v20, vcc_lo
	s_add_u32 s4, s22, -1
	s_addc_u32 s5, s23, -1
	s_mov_b64 s[6:7], 0
	s_mov_b32 s34, 0
                                        ; implicit-def: $sgpr35
	s_set_inst_prefetch_distance 0x1
	s_branch .LBB829_340
	.p2align	6
.LBB829_338:                            ;   in Loop: Header=BB829_340 Depth=1
	global_load_b64 v[21:22], v[19:20], off
	global_load_b64 v[23:24], v[17:18], off
	v_add_co_u32 v17, s2, v17, 8
	s_delay_alu instid0(VALU_DEP_1) | instskip(SKIP_1) | instid1(VALU_DEP_1)
	v_add_co_ci_u32_e64 v18, s2, 0, v18, s2
	v_add_co_u32 v19, s2, v19, 8
	v_add_co_ci_u32_e64 v20, s2, 0, v20, s2
	s_add_u32 s6, s6, 1
	s_addc_u32 s7, s7, 0
	s_and_not1_b32 s2, s35, exec_lo
	s_waitcnt vmcnt(0)
	v_cmp_neq_f64_e32 vcc_lo, v[21:22], v[23:24]
	s_and_b32 s35, vcc_lo, exec_lo
	s_delay_alu instid0(SALU_CYCLE_1)
	s_or_b32 s35, s2, s35
.LBB829_339:                            ;   in Loop: Header=BB829_340 Depth=1
	v_dual_mov_b32 v22, s7 :: v_dual_mov_b32 v21, s6
	s_and_b32 s2, exec_lo, s35
	s_delay_alu instid0(SALU_CYCLE_1) | instskip(NEXT) | instid1(SALU_CYCLE_1)
	s_or_b32 s34, s2, s34
	s_and_not1_b32 exec_lo, exec_lo, s34
	s_cbranch_execz .LBB829_342
.LBB829_340:                            ; =>This Inner Loop Header: Depth=1
	s_or_b32 s35, s35, exec_lo
	s_cmp_eq_u64 s[4:5], s[6:7]
	s_cbranch_scc0 .LBB829_338
; %bb.341:                              ;   in Loop: Header=BB829_340 Depth=1
	s_mov_b64 s[6:7], s[22:23]
                                        ; implicit-def: $vgpr17_vgpr18
                                        ; implicit-def: $vgpr19_vgpr20
	s_branch .LBB829_339
.LBB829_342:
	s_set_inst_prefetch_distance 0x2
	s_or_b32 exec_lo, exec_lo, s34
	v_cmp_gt_i64_e32 vcc_lo, s[22:23], v[21:22]
	s_or_not1_b32 s2, vcc_lo, exec_lo
.LBB829_343:
	s_or_b32 exec_lo, exec_lo, s33
.LBB829_344:
	s_delay_alu instid0(SALU_CYCLE_1)
	s_and_b32 s2, s2, exec_lo
.LBB829_345:
	s_or_b32 exec_lo, exec_lo, s31
	v_cndmask_b32_e64 v18, 0, 1, s29
	v_cndmask_b32_e64 v19, 0, 1, s28
	;; [unrolled: 1-line block ×7, first 2 shown]
	v_lshlrev_b16 v19, 8, v19
	v_lshlrev_b16 v20, 8, v20
	v_lshlrev_b16 v21, 8, v21
	v_lshlrev_b16 v18, 8, v18
	s_mov_b32 s19, exec_lo
	v_or_b32_e32 v19, v22, v19
	v_or_b32_e32 v20, v23, v20
	;; [unrolled: 1-line block ×4, first 2 shown]
	s_delay_alu instid0(VALU_DEP_4) | instskip(NEXT) | instid1(VALU_DEP_4)
	v_and_b32_e32 v18, 0xffff, v19
	v_lshlrev_b32_e32 v19, 16, v20
	s_delay_alu instid0(VALU_DEP_4) | instskip(NEXT) | instid1(VALU_DEP_4)
	v_and_b32_e32 v20, 0xffff, v21
	v_lshlrev_b32_e32 v17, 16, v17
	s_barrier
	buffer_gl0_inv
	v_or_b32_e32 v18, v18, v19
                                        ; implicit-def: $sgpr2
	v_or_b32_e32 v17, v20, v17
	v_cmpx_ne_u32_e32 0, v0
	s_cbranch_execz .LBB829_358
; %bb.346:
	s_mov_b32 s2, 0
	s_mov_b32 s26, exec_lo
	v_cmpx_gt_u32_e64 s20, v39
	s_cbranch_execz .LBB829_357
; %bb.347:
	s_and_not1_b32 vcc_lo, exec_lo, s3
	s_cbranch_vccnz .LBB829_356
; %bb.348:
	v_add_nc_u32_e32 v19, -8, v39
	v_mul_lo_u32 v26, v13, s23
	v_mad_u64_u32 v[22:23], null, v13, s22, 0
	s_mov_b32 s2, -1
	ds_load_b64 v[19:20], v19
	s_mov_b32 s3, exec_lo
	s_waitcnt lgkmcnt(0)
	v_mul_lo_u32 v24, v20, s22
	v_mul_lo_u32 v25, v19, s23
	v_mad_u64_u32 v[20:21], null, v19, s22, 0
	v_mul_lo_u32 v19, v14, s22
	s_delay_alu instid0(VALU_DEP_2) | instskip(NEXT) | instid1(VALU_DEP_2)
	v_add3_u32 v21, v21, v25, v24
	v_add3_u32 v23, v23, v26, v19
	s_delay_alu instid0(VALU_DEP_2) | instskip(NEXT) | instid1(VALU_DEP_2)
	v_lshlrev_b64 v[19:20], 3, v[20:21]
	v_lshlrev_b64 v[23:24], 3, v[22:23]
	s_delay_alu instid0(VALU_DEP_2) | instskip(NEXT) | instid1(VALU_DEP_3)
	v_add_co_u32 v21, vcc_lo, s8, v19
	v_add_co_ci_u32_e32 v22, vcc_lo, s9, v20, vcc_lo
	s_delay_alu instid0(VALU_DEP_3) | instskip(NEXT) | instid1(VALU_DEP_4)
	v_add_co_u32 v19, vcc_lo, s8, v23
	v_add_co_ci_u32_e32 v20, vcc_lo, s9, v24, vcc_lo
	s_clause 0x1
	global_load_b64 v[23:24], v[21:22], off
	global_load_b64 v[25:26], v[19:20], off
	s_waitcnt vmcnt(0)
	v_cmpx_eq_f64_e32 v[23:24], v[25:26]
	s_cbranch_execz .LBB829_355
; %bb.349:
	v_add_co_u32 v19, vcc_lo, v19, 8
	v_add_co_ci_u32_e32 v20, vcc_lo, 0, v20, vcc_lo
	v_add_co_u32 v21, vcc_lo, v21, 8
	v_add_co_ci_u32_e32 v22, vcc_lo, 0, v22, vcc_lo
	s_add_u32 s4, s22, -1
	s_addc_u32 s5, s23, -1
	s_mov_b64 s[6:7], 0
	s_mov_b32 s8, 0
                                        ; implicit-def: $sgpr9
	s_set_inst_prefetch_distance 0x1
	s_branch .LBB829_352
	.p2align	6
.LBB829_350:                            ;   in Loop: Header=BB829_352 Depth=1
	global_load_b64 v[23:24], v[21:22], off
	global_load_b64 v[25:26], v[19:20], off
	v_add_co_u32 v19, s2, v19, 8
	s_delay_alu instid0(VALU_DEP_1) | instskip(SKIP_1) | instid1(VALU_DEP_1)
	v_add_co_ci_u32_e64 v20, s2, 0, v20, s2
	v_add_co_u32 v21, s2, v21, 8
	v_add_co_ci_u32_e64 v22, s2, 0, v22, s2
	s_add_u32 s6, s6, 1
	s_addc_u32 s7, s7, 0
	s_and_not1_b32 s2, s9, exec_lo
	s_waitcnt vmcnt(0)
	v_cmp_neq_f64_e32 vcc_lo, v[23:24], v[25:26]
	s_and_b32 s9, vcc_lo, exec_lo
	s_delay_alu instid0(SALU_CYCLE_1)
	s_or_b32 s9, s2, s9
.LBB829_351:                            ;   in Loop: Header=BB829_352 Depth=1
	v_dual_mov_b32 v24, s7 :: v_dual_mov_b32 v23, s6
	s_and_b32 s2, exec_lo, s9
	s_delay_alu instid0(SALU_CYCLE_1) | instskip(NEXT) | instid1(SALU_CYCLE_1)
	s_or_b32 s8, s2, s8
	s_and_not1_b32 exec_lo, exec_lo, s8
	s_cbranch_execz .LBB829_354
.LBB829_352:                            ; =>This Inner Loop Header: Depth=1
	s_or_b32 s9, s9, exec_lo
	s_cmp_eq_u64 s[4:5], s[6:7]
	s_cbranch_scc0 .LBB829_350
; %bb.353:                              ;   in Loop: Header=BB829_352 Depth=1
	s_mov_b64 s[6:7], s[22:23]
                                        ; implicit-def: $vgpr19_vgpr20
                                        ; implicit-def: $vgpr21_vgpr22
	s_branch .LBB829_351
.LBB829_354:
	s_set_inst_prefetch_distance 0x2
	s_or_b32 exec_lo, exec_lo, s8
	v_cmp_gt_i64_e32 vcc_lo, s[22:23], v[23:24]
	s_or_not1_b32 s2, vcc_lo, exec_lo
.LBB829_355:
	s_or_b32 exec_lo, exec_lo, s3
.LBB829_356:
	s_delay_alu instid0(SALU_CYCLE_1)
	s_and_b32 s2, s2, exec_lo
.LBB829_357:
	s_or_b32 exec_lo, exec_lo, s26
	s_delay_alu instid0(SALU_CYCLE_1)
	s_and_b32 s2, s2, exec_lo
	s_or_b32 s18, s18, exec_lo
.LBB829_358:
	s_or_b32 exec_lo, exec_lo, s19
.LBB829_359:
	s_and_saveexec_b32 s3, s18
	s_cbranch_execz .LBB829_361
; %bb.360:
	s_waitcnt lgkmcnt(0)
	v_and_b32_e32 v19, 0xffffff00, v17
	v_cndmask_b32_e64 v20, 0, 1, s2
	s_delay_alu instid0(VALU_DEP_1) | instskip(NEXT) | instid1(VALU_DEP_1)
	v_or_b32_e32 v19, v20, v19
	v_and_b32_e32 v19, 0xffff, v19
	s_delay_alu instid0(VALU_DEP_1)
	v_and_or_b32 v17, 0xffff0000, v17, v19
.LBB829_361:
	s_or_b32 exec_lo, exec_lo, s3
	s_delay_alu instid0(SALU_CYCLE_1)
	s_and_not1_b32 vcc_lo, exec_lo, s24
	s_cbranch_vccnz .LBB829_363
; %bb.362:
	v_cmp_gt_u32_e32 vcc_lo, s20, v39
	s_waitcnt lgkmcnt(0)
	v_or_b32_e32 v20, 1, v39
	v_and_b32_e32 v21, 0xffffff00, v18
	v_or_b32_e32 v22, 2, v39
	v_cndmask_b32_e32 v19, 0, v17, vcc_lo
	s_delay_alu instid0(VALU_DEP_4) | instskip(SKIP_1) | instid1(VALU_DEP_4)
	v_cmp_gt_u32_e32 vcc_lo, s20, v20
	v_or_b32_e32 v20, 4, v39
	v_cmp_gt_u32_e64 s2, s20, v22
	v_or_b32_e32 v22, 3, v39
	v_and_b32_e32 v19, 0xff, v19
	s_delay_alu instid0(VALU_DEP_2) | instskip(NEXT) | instid1(VALU_DEP_2)
	v_cmp_gt_u32_e64 s3, s20, v22
	v_cndmask_b32_e32 v19, v19, v17, vcc_lo
	v_cmp_gt_u32_e32 vcc_lo, s20, v20
	v_cndmask_b32_e32 v20, v21, v18, vcc_lo
	v_or_b32_e32 v21, 5, v39
	s_delay_alu instid0(VALU_DEP_2) | instskip(SKIP_1) | instid1(VALU_DEP_1)
	v_and_b32_e32 v20, 0xffff00ff, v20
	v_and_b32_e32 v19, 0xffff, v19
	v_cndmask_b32_e64 v19, v19, v17, s2
	s_delay_alu instid0(VALU_DEP_4) | instskip(SKIP_1) | instid1(VALU_DEP_3)
	v_cmp_gt_u32_e64 s2, s20, v21
	v_or_b32_e32 v21, 6, v39
	v_and_b32_e32 v19, 0xffffff, v19
	s_delay_alu instid0(VALU_DEP_3) | instskip(NEXT) | instid1(VALU_DEP_2)
	v_cndmask_b32_e64 v20, v20, v18, s2
	v_cndmask_b32_e64 v19, v19, v17, s3
	s_delay_alu instid0(VALU_DEP_1) | instskip(SKIP_2) | instid1(VALU_DEP_3)
	v_dual_cndmask_b32 v19, v19, v17 :: v_dual_and_b32 v20, 0xff00ffff, v20
	v_cmp_gt_u32_e32 vcc_lo, s20, v21
	v_or_b32_e32 v21, 7, v39
	v_cndmask_b32_e64 v19, v19, v17, s2
	s_delay_alu instid0(VALU_DEP_1) | instskip(NEXT) | instid1(VALU_DEP_1)
	v_dual_cndmask_b32 v20, v20, v18 :: v_dual_cndmask_b32 v19, v19, v17
	v_and_b32_e32 v20, 0xffffff, v20
	s_delay_alu instid0(VALU_DEP_4) | instskip(NEXT) | instid1(VALU_DEP_2)
	v_cmp_gt_u32_e32 vcc_lo, s20, v21
	v_dual_cndmask_b32 v18, v20, v18 :: v_dual_cndmask_b32 v17, v19, v17
.LBB829_363:
	s_delay_alu instid0(VALU_DEP_1) | instskip(SKIP_1) | instid1(VALU_DEP_2)
	v_and_b32_e32 v26, 0xff, v17
	s_waitcnt lgkmcnt(0)
	v_alignbit_b32 v19, v18, v17, 24
	v_bfe_u32 v28, v17, 8, 8
	v_bfe_u32 v30, v17, 16, 8
	v_and_b32_e32 v34, 0xff, v18
	v_bfe_u32 v36, v18, 8, 8
	v_and_b32_e32 v32, 0xff, v19
	v_add_nc_u32_e32 v19, v28, v26
	v_mbcnt_lo_u32_b32 v41, -1, 0
	v_bfe_u32 v38, v18, 16, 8
	v_lshrrev_b32_e32 v40, 24, v18
	v_lshrrev_b32_e32 v42, 5, v0
	v_add3_u32 v19, v19, v30, v32
	v_and_b32_e32 v20, 15, v41
	v_and_b32_e32 v21, 16, v41
	s_and_b32 vcc_lo, exec_lo, s25
	s_mov_b32 s18, -1
	v_add3_u32 v19, v19, v34, v36
	v_cmp_eq_u32_e64 s4, 0, v20
	v_cmp_lt_u32_e64 s2, 1, v20
	v_cmp_lt_u32_e64 s5, 3, v20
	;; [unrolled: 1-line block ×3, first 2 shown]
	v_add3_u32 v43, v19, v38, v40
	v_or_b32_e32 v19, 31, v0
	v_cmp_eq_u32_e64 s7, 0, v21
	s_barrier
	buffer_gl0_inv
	v_cmp_eq_u32_e64 s6, v19, v0
	s_cbranch_vccz .LBB829_394
; %bb.364:
	v_mov_b32_dpp v19, v43 row_shr:1 row_mask:0xf bank_mask:0xf
	s_delay_alu instid0(VALU_DEP_1) | instskip(NEXT) | instid1(VALU_DEP_1)
	v_cndmask_b32_e64 v19, v19, 0, s4
	v_add_nc_u32_e32 v19, v19, v43
	s_delay_alu instid0(VALU_DEP_1) | instskip(NEXT) | instid1(VALU_DEP_1)
	v_mov_b32_dpp v20, v19 row_shr:2 row_mask:0xf bank_mask:0xf
	v_cndmask_b32_e64 v20, 0, v20, s2
	s_delay_alu instid0(VALU_DEP_1) | instskip(NEXT) | instid1(VALU_DEP_1)
	v_add_nc_u32_e32 v19, v19, v20
	v_mov_b32_dpp v20, v19 row_shr:4 row_mask:0xf bank_mask:0xf
	s_delay_alu instid0(VALU_DEP_1) | instskip(NEXT) | instid1(VALU_DEP_1)
	v_cndmask_b32_e64 v20, 0, v20, s5
	v_add_nc_u32_e32 v19, v19, v20
	s_delay_alu instid0(VALU_DEP_1) | instskip(NEXT) | instid1(VALU_DEP_1)
	v_mov_b32_dpp v20, v19 row_shr:8 row_mask:0xf bank_mask:0xf
	v_cndmask_b32_e64 v20, 0, v20, s3
	s_delay_alu instid0(VALU_DEP_1) | instskip(SKIP_3) | instid1(VALU_DEP_1)
	v_add_nc_u32_e32 v19, v19, v20
	ds_swizzle_b32 v20, v19 offset:swizzle(BROADCAST,32,15)
	s_waitcnt lgkmcnt(0)
	v_cndmask_b32_e64 v20, v20, 0, s7
	v_add_nc_u32_e32 v19, v19, v20
	s_and_saveexec_b32 s8, s6
	s_cbranch_execz .LBB829_366
; %bb.365:
	v_lshlrev_b32_e32 v20, 2, v42
	ds_store_b32 v20, v19
.LBB829_366:
	s_or_b32 exec_lo, exec_lo, s8
	s_delay_alu instid0(SALU_CYCLE_1)
	s_mov_b32 s8, exec_lo
	s_waitcnt lgkmcnt(0)
	s_barrier
	buffer_gl0_inv
	v_cmpx_gt_u32_e32 16, v0
	s_cbranch_execz .LBB829_368
; %bb.367:
	v_lshlrev_b32_e32 v20, 2, v0
	ds_load_b32 v21, v20
	s_waitcnt lgkmcnt(0)
	v_mov_b32_dpp v22, v21 row_shr:1 row_mask:0xf bank_mask:0xf
	s_delay_alu instid0(VALU_DEP_1) | instskip(NEXT) | instid1(VALU_DEP_1)
	v_cndmask_b32_e64 v22, v22, 0, s4
	v_add_nc_u32_e32 v21, v22, v21
	s_delay_alu instid0(VALU_DEP_1) | instskip(NEXT) | instid1(VALU_DEP_1)
	v_mov_b32_dpp v22, v21 row_shr:2 row_mask:0xf bank_mask:0xf
	v_cndmask_b32_e64 v22, 0, v22, s2
	s_delay_alu instid0(VALU_DEP_1) | instskip(NEXT) | instid1(VALU_DEP_1)
	v_add_nc_u32_e32 v21, v21, v22
	v_mov_b32_dpp v22, v21 row_shr:4 row_mask:0xf bank_mask:0xf
	s_delay_alu instid0(VALU_DEP_1) | instskip(NEXT) | instid1(VALU_DEP_1)
	v_cndmask_b32_e64 v22, 0, v22, s5
	v_add_nc_u32_e32 v21, v21, v22
	s_delay_alu instid0(VALU_DEP_1) | instskip(NEXT) | instid1(VALU_DEP_1)
	v_mov_b32_dpp v22, v21 row_shr:8 row_mask:0xf bank_mask:0xf
	v_cndmask_b32_e64 v22, 0, v22, s3
	s_delay_alu instid0(VALU_DEP_1)
	v_add_nc_u32_e32 v21, v21, v22
	ds_store_b32 v20, v21
.LBB829_368:
	s_or_b32 exec_lo, exec_lo, s8
	v_cmp_gt_u32_e32 vcc_lo, 32, v0
	s_mov_b32 s9, exec_lo
	s_waitcnt lgkmcnt(0)
	s_barrier
	buffer_gl0_inv
                                        ; implicit-def: $vgpr27
	v_cmpx_lt_u32_e32 31, v0
	s_cbranch_execz .LBB829_370
; %bb.369:
	v_lshl_add_u32 v20, v42, 2, -4
	ds_load_b32 v27, v20
	s_waitcnt lgkmcnt(0)
	v_add_nc_u32_e32 v19, v27, v19
.LBB829_370:
	s_or_b32 exec_lo, exec_lo, s9
	v_add_nc_u32_e32 v20, -1, v41
	s_delay_alu instid0(VALU_DEP_1) | instskip(NEXT) | instid1(VALU_DEP_1)
	v_cmp_gt_i32_e64 s8, 0, v20
	v_cndmask_b32_e64 v20, v20, v41, s8
	v_cmp_eq_u32_e64 s8, 0, v41
	s_delay_alu instid0(VALU_DEP_2)
	v_lshlrev_b32_e32 v20, 2, v20
	ds_bpermute_b32 v29, v20, v19
	s_and_saveexec_b32 s9, vcc_lo
	s_cbranch_execz .LBB829_393
; %bb.371:
	v_mov_b32_e32 v22, 0
	ds_load_b32 v19, v22 offset:60
	s_and_saveexec_b32 s18, s8
	s_cbranch_execz .LBB829_373
; %bb.372:
	s_add_i32 s22, s15, 32
	s_mov_b32 s23, 0
	v_mov_b32_e32 v20, 1
	s_lshl_b64 s[22:23], s[22:23], 3
	s_delay_alu instid0(SALU_CYCLE_1)
	s_add_u32 s22, s10, s22
	s_addc_u32 s23, s11, s23
	s_waitcnt lgkmcnt(0)
	global_store_b64 v22, v[19:20], s[22:23]
.LBB829_373:
	s_or_b32 exec_lo, exec_lo, s18
	v_xad_u32 v20, v41, -1, s15
	s_mov_b32 s19, 0
	s_mov_b32 s18, exec_lo
	s_delay_alu instid0(VALU_DEP_1) | instskip(NEXT) | instid1(VALU_DEP_1)
	v_add_nc_u32_e32 v21, 32, v20
	v_lshlrev_b64 v[21:22], 3, v[21:22]
	s_delay_alu instid0(VALU_DEP_1) | instskip(NEXT) | instid1(VALU_DEP_2)
	v_add_co_u32 v24, vcc_lo, s10, v21
	v_add_co_ci_u32_e32 v25, vcc_lo, s11, v22, vcc_lo
	global_load_b64 v[22:23], v[24:25], off glc
	s_waitcnt vmcnt(0)
	v_and_b32_e32 v21, 0xff, v23
	s_delay_alu instid0(VALU_DEP_1)
	v_cmpx_eq_u16_e32 0, v21
	s_cbranch_execz .LBB829_379
; %bb.374:
	s_mov_b32 s20, 1
	.p2align	6
.LBB829_375:                            ; =>This Loop Header: Depth=1
                                        ;     Child Loop BB829_376 Depth 2
	s_delay_alu instid0(SALU_CYCLE_1)
	s_max_u32 s22, s20, 1
.LBB829_376:                            ;   Parent Loop BB829_375 Depth=1
                                        ; =>  This Inner Loop Header: Depth=2
	s_delay_alu instid0(SALU_CYCLE_1)
	s_add_i32 s22, s22, -1
	s_sleep 1
	s_cmp_eq_u32 s22, 0
	s_cbranch_scc0 .LBB829_376
; %bb.377:                              ;   in Loop: Header=BB829_375 Depth=1
	global_load_b64 v[22:23], v[24:25], off glc
	s_cmp_lt_u32 s20, 32
	s_cselect_b32 s22, -1, 0
	s_delay_alu instid0(SALU_CYCLE_1) | instskip(SKIP_3) | instid1(VALU_DEP_1)
	s_cmp_lg_u32 s22, 0
	s_addc_u32 s20, s20, 0
	s_waitcnt vmcnt(0)
	v_and_b32_e32 v21, 0xff, v23
	v_cmp_ne_u16_e32 vcc_lo, 0, v21
	s_or_b32 s19, vcc_lo, s19
	s_delay_alu instid0(SALU_CYCLE_1)
	s_and_not1_b32 exec_lo, exec_lo, s19
	s_cbranch_execnz .LBB829_375
; %bb.378:
	s_or_b32 exec_lo, exec_lo, s19
.LBB829_379:
	s_delay_alu instid0(SALU_CYCLE_1)
	s_or_b32 exec_lo, exec_lo, s18
	v_cmp_ne_u32_e32 vcc_lo, 31, v41
	v_lshlrev_b32_e64 v33, v41, -1
	v_add_nc_u32_e32 v37, 2, v41
	v_add_nc_u32_e32 v46, 4, v41
	;; [unrolled: 1-line block ×3, first 2 shown]
	v_add_co_ci_u32_e32 v21, vcc_lo, 0, v41, vcc_lo
	v_add_nc_u32_e32 v50, 16, v41
	s_delay_alu instid0(VALU_DEP_2)
	v_lshlrev_b32_e32 v31, 2, v21
	v_and_b32_e32 v21, 0xff, v23
	ds_bpermute_b32 v24, v31, v22
	v_cmp_eq_u16_e32 vcc_lo, 2, v21
	v_and_or_b32 v21, vcc_lo, v33, 0x80000000
	v_cmp_gt_u32_e32 vcc_lo, 30, v41
	s_delay_alu instid0(VALU_DEP_2) | instskip(SKIP_1) | instid1(VALU_DEP_2)
	v_ctz_i32_b32_e32 v21, v21
	v_cndmask_b32_e64 v25, 0, 1, vcc_lo
	v_cmp_lt_u32_e32 vcc_lo, v41, v21
	s_waitcnt lgkmcnt(0)
	s_delay_alu instid0(VALU_DEP_2) | instskip(NEXT) | instid1(VALU_DEP_1)
	v_dual_cndmask_b32 v24, 0, v24 :: v_dual_lshlrev_b32 v25, 1, v25
	v_add_lshl_u32 v35, v25, v41, 2
	v_cmp_gt_u32_e32 vcc_lo, 28, v41
	s_delay_alu instid0(VALU_DEP_3) | instskip(SKIP_4) | instid1(VALU_DEP_1)
	v_add_nc_u32_e32 v22, v24, v22
	v_cndmask_b32_e64 v25, 0, 1, vcc_lo
	v_cmp_le_u32_e32 vcc_lo, v37, v21
	ds_bpermute_b32 v24, v35, v22
	v_lshlrev_b32_e32 v25, 2, v25
	v_add_lshl_u32 v44, v25, v41, 2
	s_waitcnt lgkmcnt(0)
	v_cndmask_b32_e32 v24, 0, v24, vcc_lo
	v_cmp_gt_u32_e32 vcc_lo, 24, v41
	s_delay_alu instid0(VALU_DEP_2) | instskip(SKIP_4) | instid1(VALU_DEP_1)
	v_add_nc_u32_e32 v22, v22, v24
	v_cndmask_b32_e64 v25, 0, 1, vcc_lo
	v_cmp_le_u32_e32 vcc_lo, v46, v21
	ds_bpermute_b32 v24, v44, v22
	v_lshlrev_b32_e32 v25, 3, v25
	v_add_lshl_u32 v47, v25, v41, 2
	s_waitcnt lgkmcnt(0)
	v_cndmask_b32_e32 v24, 0, v24, vcc_lo
	v_cmp_gt_u32_e32 vcc_lo, 16, v41
	s_delay_alu instid0(VALU_DEP_2) | instskip(SKIP_4) | instid1(VALU_DEP_1)
	v_add_nc_u32_e32 v22, v22, v24
	v_cndmask_b32_e64 v25, 0, 1, vcc_lo
	v_cmp_le_u32_e32 vcc_lo, v48, v21
	ds_bpermute_b32 v24, v47, v22
	v_lshlrev_b32_e32 v25, 4, v25
	v_add_lshl_u32 v49, v25, v41, 2
	s_waitcnt lgkmcnt(0)
	v_cndmask_b32_e32 v24, 0, v24, vcc_lo
	v_cmp_le_u32_e32 vcc_lo, v50, v21
	s_delay_alu instid0(VALU_DEP_2) | instskip(SKIP_3) | instid1(VALU_DEP_1)
	v_add_nc_u32_e32 v22, v22, v24
	ds_bpermute_b32 v24, v49, v22
	s_waitcnt lgkmcnt(0)
	v_cndmask_b32_e32 v21, 0, v24, vcc_lo
	v_dual_mov_b32 v21, 0 :: v_dual_add_nc_u32 v22, v22, v21
	s_branch .LBB829_381
.LBB829_380:                            ;   in Loop: Header=BB829_381 Depth=1
	s_or_b32 exec_lo, exec_lo, s18
	ds_bpermute_b32 v25, v31, v22
	v_and_b32_e32 v24, 0xff, v23
	v_subrev_nc_u32_e32 v20, 32, v20
	s_delay_alu instid0(VALU_DEP_2) | instskip(SKIP_1) | instid1(VALU_DEP_1)
	v_cmp_eq_u16_e32 vcc_lo, 2, v24
	v_and_or_b32 v24, vcc_lo, v33, 0x80000000
	v_ctz_i32_b32_e32 v24, v24
	s_delay_alu instid0(VALU_DEP_1) | instskip(SKIP_3) | instid1(VALU_DEP_2)
	v_cmp_lt_u32_e32 vcc_lo, v41, v24
	s_waitcnt lgkmcnt(0)
	v_cndmask_b32_e32 v25, 0, v25, vcc_lo
	v_cmp_le_u32_e32 vcc_lo, v37, v24
	v_add_nc_u32_e32 v22, v25, v22
	ds_bpermute_b32 v25, v35, v22
	s_waitcnt lgkmcnt(0)
	v_cndmask_b32_e32 v25, 0, v25, vcc_lo
	v_cmp_le_u32_e32 vcc_lo, v46, v24
	s_delay_alu instid0(VALU_DEP_2) | instskip(SKIP_4) | instid1(VALU_DEP_2)
	v_add_nc_u32_e32 v22, v22, v25
	ds_bpermute_b32 v25, v44, v22
	s_waitcnt lgkmcnt(0)
	v_cndmask_b32_e32 v25, 0, v25, vcc_lo
	v_cmp_le_u32_e32 vcc_lo, v48, v24
	v_add_nc_u32_e32 v22, v22, v25
	ds_bpermute_b32 v25, v47, v22
	s_waitcnt lgkmcnt(0)
	v_cndmask_b32_e32 v25, 0, v25, vcc_lo
	v_cmp_le_u32_e32 vcc_lo, v50, v24
	s_delay_alu instid0(VALU_DEP_2) | instskip(SKIP_3) | instid1(VALU_DEP_1)
	v_add_nc_u32_e32 v22, v22, v25
	ds_bpermute_b32 v25, v49, v22
	s_waitcnt lgkmcnt(0)
	v_cndmask_b32_e32 v24, 0, v25, vcc_lo
	v_add3_u32 v22, v24, v45, v22
.LBB829_381:                            ; =>This Loop Header: Depth=1
                                        ;     Child Loop BB829_384 Depth 2
                                        ;       Child Loop BB829_385 Depth 3
	v_and_b32_e32 v23, 0xff, v23
	s_delay_alu instid0(VALU_DEP_2) | instskip(NEXT) | instid1(VALU_DEP_2)
	v_mov_b32_e32 v45, v22
	v_cmp_ne_u16_e32 vcc_lo, 2, v23
	v_cndmask_b32_e64 v23, 0, 1, vcc_lo
	;;#ASMSTART
	;;#ASMEND
	s_delay_alu instid0(VALU_DEP_1)
	v_cmp_ne_u32_e32 vcc_lo, 0, v23
	s_cmp_lg_u32 vcc_lo, exec_lo
	s_cbranch_scc1 .LBB829_388
; %bb.382:                              ;   in Loop: Header=BB829_381 Depth=1
	v_lshlrev_b64 v[22:23], 3, v[20:21]
	s_mov_b32 s18, exec_lo
	s_delay_alu instid0(VALU_DEP_1) | instskip(NEXT) | instid1(VALU_DEP_2)
	v_add_co_u32 v24, vcc_lo, s10, v22
	v_add_co_ci_u32_e32 v25, vcc_lo, s11, v23, vcc_lo
	global_load_b64 v[22:23], v[24:25], off glc
	s_waitcnt vmcnt(0)
	v_and_b32_e32 v51, 0xff, v23
	s_delay_alu instid0(VALU_DEP_1)
	v_cmpx_eq_u16_e32 0, v51
	s_cbranch_execz .LBB829_380
; %bb.383:                              ;   in Loop: Header=BB829_381 Depth=1
	s_mov_b32 s20, 1
	s_mov_b32 s19, 0
	.p2align	6
.LBB829_384:                            ;   Parent Loop BB829_381 Depth=1
                                        ; =>  This Loop Header: Depth=2
                                        ;       Child Loop BB829_385 Depth 3
	s_max_u32 s22, s20, 1
.LBB829_385:                            ;   Parent Loop BB829_381 Depth=1
                                        ;     Parent Loop BB829_384 Depth=2
                                        ; =>    This Inner Loop Header: Depth=3
	s_delay_alu instid0(SALU_CYCLE_1)
	s_add_i32 s22, s22, -1
	s_sleep 1
	s_cmp_eq_u32 s22, 0
	s_cbranch_scc0 .LBB829_385
; %bb.386:                              ;   in Loop: Header=BB829_384 Depth=2
	global_load_b64 v[22:23], v[24:25], off glc
	s_cmp_lt_u32 s20, 32
	s_cselect_b32 s22, -1, 0
	s_delay_alu instid0(SALU_CYCLE_1) | instskip(SKIP_3) | instid1(VALU_DEP_1)
	s_cmp_lg_u32 s22, 0
	s_addc_u32 s20, s20, 0
	s_waitcnt vmcnt(0)
	v_and_b32_e32 v51, 0xff, v23
	v_cmp_ne_u16_e32 vcc_lo, 0, v51
	s_or_b32 s19, vcc_lo, s19
	s_delay_alu instid0(SALU_CYCLE_1)
	s_and_not1_b32 exec_lo, exec_lo, s19
	s_cbranch_execnz .LBB829_384
; %bb.387:                              ;   in Loop: Header=BB829_381 Depth=1
	s_or_b32 exec_lo, exec_lo, s19
	s_branch .LBB829_380
.LBB829_388:                            ;   in Loop: Header=BB829_381 Depth=1
                                        ; implicit-def: $vgpr22
                                        ; implicit-def: $vgpr23
	s_cbranch_execz .LBB829_381
; %bb.389:
	s_and_saveexec_b32 s18, s8
	s_cbranch_execz .LBB829_391
; %bb.390:
	s_add_i32 s22, s15, 32
	s_mov_b32 s23, 0
	v_dual_mov_b32 v21, 2 :: v_dual_add_nc_u32 v20, v45, v19
	s_lshl_b64 s[22:23], s[22:23], 3
	v_mov_b32_e32 v22, 0
	v_add_nc_u32_e64 v23, 0x8400, 0
	s_add_u32 s22, s10, s22
	s_addc_u32 s23, s11, s23
	global_store_b64 v22, v[20:21], s[22:23]
	ds_store_2addr_b32 v23, v19, v45 offset1:2
.LBB829_391:
	s_or_b32 exec_lo, exec_lo, s18
	v_cmp_eq_u32_e32 vcc_lo, 0, v0
	s_and_b32 exec_lo, exec_lo, vcc_lo
	s_cbranch_execz .LBB829_393
; %bb.392:
	v_mov_b32_e32 v19, 0
	ds_store_b32 v19, v45 offset:60
.LBB829_393:
	s_or_b32 exec_lo, exec_lo, s9
	s_waitcnt lgkmcnt(0)
	v_cndmask_b32_e64 v20, v29, v27, s8
	v_cmp_ne_u32_e32 vcc_lo, 0, v0
	v_mov_b32_e32 v19, 0
	s_waitcnt_vscnt null, 0x0
	s_barrier
	buffer_gl0_inv
	v_cndmask_b32_e32 v20, 0, v20, vcc_lo
	ds_load_b32 v19, v19 offset:60
	s_waitcnt lgkmcnt(0)
	s_barrier
	buffer_gl0_inv
	v_add_nc_u32_e32 v37, v19, v20
	v_add_nc_u32_e64 v19, 0x8400, 0
	s_delay_alu instid0(VALU_DEP_2) | instskip(SKIP_2) | instid1(VALU_DEP_1)
	v_add_nc_u32_e32 v35, v37, v26
	ds_load_2addr_b32 v[19:20], v19 offset1:2
	v_add_nc_u32_e32 v33, v35, v28
	v_add_nc_u32_e32 v31, v33, v30
	s_delay_alu instid0(VALU_DEP_1) | instskip(NEXT) | instid1(VALU_DEP_1)
	v_add_nc_u32_e32 v29, v31, v32
	v_add_nc_u32_e32 v27, v29, v34
	s_delay_alu instid0(VALU_DEP_1) | instskip(NEXT) | instid1(VALU_DEP_1)
	v_add_nc_u32_e32 v25, v27, v36
	v_add_nc_u32_e32 v23, v25, v38
	s_load_b64 s[8:9], s[0:1], 0x28
	v_lshrrev_b64 v[21:22], 24, v[17:18]
	s_branch .LBB829_404
.LBB829_394:
                                        ; implicit-def: $vgpr23
                                        ; implicit-def: $vgpr25
                                        ; implicit-def: $vgpr27
                                        ; implicit-def: $vgpr29
                                        ; implicit-def: $vgpr31
                                        ; implicit-def: $vgpr33
                                        ; implicit-def: $vgpr35
                                        ; implicit-def: $vgpr37
                                        ; implicit-def: $vgpr20
	s_load_b64 s[8:9], s[0:1], 0x28
	v_lshrrev_b64 v[21:22], 24, v[17:18]
	s_and_b32 vcc_lo, exec_lo, s18
	s_cbranch_vccz .LBB829_404
; %bb.395:
	s_waitcnt lgkmcnt(0)
	v_mov_b32_dpp v19, v43 row_shr:1 row_mask:0xf bank_mask:0xf
	s_delay_alu instid0(VALU_DEP_1) | instskip(NEXT) | instid1(VALU_DEP_1)
	v_cndmask_b32_e64 v19, v19, 0, s4
	v_add_nc_u32_e32 v19, v19, v43
	s_delay_alu instid0(VALU_DEP_1) | instskip(NEXT) | instid1(VALU_DEP_1)
	v_mov_b32_dpp v20, v19 row_shr:2 row_mask:0xf bank_mask:0xf
	v_cndmask_b32_e64 v20, 0, v20, s2
	s_delay_alu instid0(VALU_DEP_1) | instskip(NEXT) | instid1(VALU_DEP_1)
	v_add_nc_u32_e32 v19, v19, v20
	v_mov_b32_dpp v20, v19 row_shr:4 row_mask:0xf bank_mask:0xf
	s_delay_alu instid0(VALU_DEP_1) | instskip(NEXT) | instid1(VALU_DEP_1)
	v_cndmask_b32_e64 v20, 0, v20, s5
	v_add_nc_u32_e32 v19, v19, v20
	s_delay_alu instid0(VALU_DEP_1) | instskip(NEXT) | instid1(VALU_DEP_1)
	v_mov_b32_dpp v20, v19 row_shr:8 row_mask:0xf bank_mask:0xf
	v_cndmask_b32_e64 v20, 0, v20, s3
	s_delay_alu instid0(VALU_DEP_1) | instskip(SKIP_3) | instid1(VALU_DEP_1)
	v_add_nc_u32_e32 v19, v19, v20
	ds_swizzle_b32 v20, v19 offset:swizzle(BROADCAST,32,15)
	s_waitcnt lgkmcnt(0)
	v_cndmask_b32_e64 v20, v20, 0, s7
	v_add_nc_u32_e32 v19, v19, v20
	s_and_saveexec_b32 s0, s6
	s_cbranch_execz .LBB829_397
; %bb.396:
	v_lshlrev_b32_e32 v20, 2, v42
	ds_store_b32 v20, v19
.LBB829_397:
	s_or_b32 exec_lo, exec_lo, s0
	s_delay_alu instid0(SALU_CYCLE_1)
	s_mov_b32 s0, exec_lo
	s_waitcnt lgkmcnt(0)
	s_barrier
	buffer_gl0_inv
	v_cmpx_gt_u32_e32 16, v0
	s_cbranch_execz .LBB829_399
; %bb.398:
	v_lshlrev_b32_e32 v20, 2, v0
	ds_load_b32 v22, v20
	s_waitcnt lgkmcnt(0)
	v_mov_b32_dpp v23, v22 row_shr:1 row_mask:0xf bank_mask:0xf
	s_delay_alu instid0(VALU_DEP_1) | instskip(NEXT) | instid1(VALU_DEP_1)
	v_cndmask_b32_e64 v23, v23, 0, s4
	v_add_nc_u32_e32 v22, v23, v22
	s_delay_alu instid0(VALU_DEP_1) | instskip(NEXT) | instid1(VALU_DEP_1)
	v_mov_b32_dpp v23, v22 row_shr:2 row_mask:0xf bank_mask:0xf
	v_cndmask_b32_e64 v23, 0, v23, s2
	s_delay_alu instid0(VALU_DEP_1) | instskip(NEXT) | instid1(VALU_DEP_1)
	v_add_nc_u32_e32 v22, v22, v23
	v_mov_b32_dpp v23, v22 row_shr:4 row_mask:0xf bank_mask:0xf
	s_delay_alu instid0(VALU_DEP_1) | instskip(NEXT) | instid1(VALU_DEP_1)
	v_cndmask_b32_e64 v23, 0, v23, s5
	v_add_nc_u32_e32 v22, v22, v23
	s_delay_alu instid0(VALU_DEP_1) | instskip(NEXT) | instid1(VALU_DEP_1)
	v_mov_b32_dpp v23, v22 row_shr:8 row_mask:0xf bank_mask:0xf
	v_cndmask_b32_e64 v23, 0, v23, s3
	s_delay_alu instid0(VALU_DEP_1)
	v_add_nc_u32_e32 v22, v22, v23
	ds_store_b32 v20, v22
.LBB829_399:
	s_or_b32 exec_lo, exec_lo, s0
	v_mov_b32_e32 v20, 0
	v_mov_b32_e32 v22, 0
	s_mov_b32 s0, exec_lo
	s_waitcnt lgkmcnt(0)
	s_barrier
	buffer_gl0_inv
	v_cmpx_lt_u32_e32 31, v0
	s_cbranch_execz .LBB829_401
; %bb.400:
	v_lshl_add_u32 v22, v42, 2, -4
	ds_load_b32 v22, v22
.LBB829_401:
	s_or_b32 exec_lo, exec_lo, s0
	v_add_nc_u32_e32 v23, -1, v41
	s_waitcnt lgkmcnt(0)
	v_add_nc_u32_e32 v19, v22, v19
	s_delay_alu instid0(VALU_DEP_2) | instskip(SKIP_2) | instid1(VALU_DEP_2)
	v_cmp_gt_i32_e32 vcc_lo, 0, v23
	v_cndmask_b32_e32 v23, v23, v41, vcc_lo
	v_cmp_eq_u32_e32 vcc_lo, 0, v0
	v_lshlrev_b32_e32 v23, 2, v23
	ds_bpermute_b32 v23, v23, v19
	ds_load_b32 v19, v20 offset:60
	s_and_saveexec_b32 s0, vcc_lo
	s_cbranch_execz .LBB829_403
; %bb.402:
	v_mov_b32_e32 v24, 0
	v_mov_b32_e32 v20, 2
	s_waitcnt lgkmcnt(0)
	global_store_b64 v24, v[19:20], s[10:11] offset:256
.LBB829_403:
	s_or_b32 exec_lo, exec_lo, s0
	v_cmp_eq_u32_e64 s0, 0, v41
	s_waitcnt lgkmcnt(0)
	s_waitcnt_vscnt null, 0x0
	s_barrier
	buffer_gl0_inv
	v_cndmask_b32_e64 v20, v23, v22, s0
	s_delay_alu instid0(VALU_DEP_1) | instskip(NEXT) | instid1(VALU_DEP_1)
	v_cndmask_b32_e64 v37, v20, 0, vcc_lo
	v_dual_mov_b32 v20, 0 :: v_dual_add_nc_u32 v35, v37, v26
	s_delay_alu instid0(VALU_DEP_1) | instskip(NEXT) | instid1(VALU_DEP_1)
	v_add_nc_u32_e32 v33, v35, v28
	v_add_nc_u32_e32 v31, v33, v30
	s_delay_alu instid0(VALU_DEP_1) | instskip(NEXT) | instid1(VALU_DEP_1)
	v_add_nc_u32_e32 v29, v31, v32
	v_add_nc_u32_e32 v27, v29, v34
	;; [unrolled: 3-line block ×3, first 2 shown]
.LBB829_404:
	s_waitcnt lgkmcnt(0)
	v_cmp_gt_u32_e32 vcc_lo, 0x201, v19
	v_lshrrev_b32_e32 v43, 8, v17
	v_lshrrev_b32_e32 v42, 16, v17
	;; [unrolled: 1-line block ×4, first 2 shown]
	s_mov_b32 s0, -1
	s_cbranch_vccnz .LBB829_408
; %bb.405:
	s_and_b32 vcc_lo, exec_lo, s0
	s_cbranch_vccnz .LBB829_433
.LBB829_406:
	v_cmp_eq_u32_e32 vcc_lo, 0, v0
	s_and_b32 s0, vcc_lo, s14
	s_delay_alu instid0(SALU_CYCLE_1)
	s_and_saveexec_b32 s1, s0
	s_cbranch_execnz .LBB829_453
.LBB829_407:
	s_nop 0
	s_sendmsg sendmsg(MSG_DEALLOC_VGPRS)
	s_endpgm
.LBB829_408:
	v_add_nc_u32_e32 v24, v20, v19
	s_delay_alu instid0(VALU_DEP_1) | instskip(SKIP_1) | instid1(SALU_CYCLE_1)
	v_cmp_lt_u32_e32 vcc_lo, v37, v24
	s_or_b32 s1, s21, vcc_lo
	s_and_saveexec_b32 s0, s1
	s_cbranch_execz .LBB829_411
; %bb.409:
	v_and_b32_e32 v26, 1, v17
	s_delay_alu instid0(VALU_DEP_1)
	v_cmp_eq_u32_e32 vcc_lo, 1, v26
	s_and_b32 exec_lo, exec_lo, vcc_lo
	s_cbranch_execz .LBB829_411
; %bb.410:
	v_mov_b32_e32 v38, 0
	s_lshl_b64 s[2:3], s[12:13], 3
	s_delay_alu instid0(SALU_CYCLE_1) | instskip(SKIP_1) | instid1(VALU_DEP_1)
	s_add_u32 s1, s8, s2
	s_addc_u32 s2, s9, s3
	v_lshlrev_b64 v[44:45], 3, v[37:38]
	s_delay_alu instid0(VALU_DEP_1) | instskip(NEXT) | instid1(VALU_DEP_2)
	v_add_co_u32 v44, vcc_lo, s1, v44
	v_add_co_ci_u32_e32 v45, vcc_lo, s2, v45, vcc_lo
	global_store_b64 v[44:45], v[13:14], off
.LBB829_411:
	s_or_b32 exec_lo, exec_lo, s0
	v_cmp_lt_u32_e32 vcc_lo, v35, v24
	s_or_b32 s1, s21, vcc_lo
	s_delay_alu instid0(SALU_CYCLE_1)
	s_and_saveexec_b32 s0, s1
	s_cbranch_execz .LBB829_414
; %bb.412:
	v_and_b32_e32 v26, 1, v43
	s_delay_alu instid0(VALU_DEP_1)
	v_cmp_eq_u32_e32 vcc_lo, 1, v26
	s_and_b32 exec_lo, exec_lo, vcc_lo
	s_cbranch_execz .LBB829_414
; %bb.413:
	v_mov_b32_e32 v36, 0
	s_lshl_b64 s[2:3], s[12:13], 3
	s_delay_alu instid0(SALU_CYCLE_1) | instskip(SKIP_1) | instid1(VALU_DEP_1)
	s_add_u32 s1, s8, s2
	s_addc_u32 s2, s9, s3
	v_lshlrev_b64 v[44:45], 3, v[35:36]
	s_delay_alu instid0(VALU_DEP_1) | instskip(NEXT) | instid1(VALU_DEP_2)
	v_add_co_u32 v44, vcc_lo, s1, v44
	v_add_co_ci_u32_e32 v45, vcc_lo, s2, v45, vcc_lo
	global_store_b64 v[44:45], v[15:16], off
.LBB829_414:
	s_or_b32 exec_lo, exec_lo, s0
	v_cmp_lt_u32_e32 vcc_lo, v33, v24
	s_or_b32 s1, s21, vcc_lo
	s_delay_alu instid0(SALU_CYCLE_1)
	;; [unrolled: 24-line block ×7, first 2 shown]
	s_and_saveexec_b32 s0, s1
	s_cbranch_execz .LBB829_432
; %bb.430:
	v_and_b32_e32 v24, 1, v40
	s_delay_alu instid0(VALU_DEP_1)
	v_cmp_eq_u32_e32 vcc_lo, 1, v24
	s_and_b32 exec_lo, exec_lo, vcc_lo
	s_cbranch_execz .LBB829_432
; %bb.431:
	v_mov_b32_e32 v24, 0
	s_lshl_b64 s[2:3], s[12:13], 3
	s_delay_alu instid0(SALU_CYCLE_1) | instskip(SKIP_1) | instid1(VALU_DEP_1)
	s_add_u32 s1, s8, s2
	s_addc_u32 s2, s9, s3
	v_lshlrev_b64 v[44:45], 3, v[23:24]
	s_delay_alu instid0(VALU_DEP_1) | instskip(NEXT) | instid1(VALU_DEP_2)
	v_add_co_u32 v44, vcc_lo, s1, v44
	v_add_co_ci_u32_e32 v45, vcc_lo, s2, v45, vcc_lo
	global_store_b64 v[44:45], v[3:4], off
.LBB829_432:
	s_or_b32 exec_lo, exec_lo, s0
	s_branch .LBB829_406
.LBB829_433:
	v_and_b32_e32 v17, 1, v17
	s_mov_b32 s0, exec_lo
	s_delay_alu instid0(VALU_DEP_1)
	v_cmpx_eq_u32_e32 1, v17
	s_cbranch_execz .LBB829_435
; %bb.434:
	v_sub_nc_u32_e32 v17, v37, v20
	s_delay_alu instid0(VALU_DEP_1)
	v_lshlrev_b32_e32 v17, 3, v17
	ds_store_b64 v17, v[13:14]
.LBB829_435:
	s_or_b32 exec_lo, exec_lo, s0
	v_and_b32_e32 v13, 1, v43
	s_mov_b32 s0, exec_lo
	s_delay_alu instid0(VALU_DEP_1)
	v_cmpx_eq_u32_e32 1, v13
	s_cbranch_execz .LBB829_437
; %bb.436:
	v_sub_nc_u32_e32 v13, v35, v20
	s_delay_alu instid0(VALU_DEP_1)
	v_lshlrev_b32_e32 v13, 3, v13
	ds_store_b64 v13, v[15:16]
.LBB829_437:
	s_or_b32 exec_lo, exec_lo, s0
	;; [unrolled: 12-line block ×8, first 2 shown]
	s_delay_alu instid0(SALU_CYCLE_1)
	s_mov_b32 s1, exec_lo
	s_waitcnt lgkmcnt(0)
	s_waitcnt_vscnt null, 0x0
	s_barrier
	buffer_gl0_inv
	v_cmpx_lt_u32_e64 v0, v19
	s_cbranch_execz .LBB829_452
; %bb.450:
	v_dual_mov_b32 v2, 0 :: v_dual_mov_b32 v1, v20
	s_lshl_b64 s[2:3], s[12:13], 3
	v_mov_b32_e32 v3, v0
	s_delay_alu instid0(VALU_DEP_2) | instskip(NEXT) | instid1(VALU_DEP_1)
	v_lshlrev_b64 v[1:2], 3, v[1:2]
	v_add_co_u32 v1, vcc_lo, s2, v1
	s_delay_alu instid0(VALU_DEP_2) | instskip(SKIP_1) | instid1(VALU_DEP_2)
	v_add_co_ci_u32_e32 v2, vcc_lo, s3, v2, vcc_lo
	s_mov_b32 s2, 0
	v_add_co_u32 v1, vcc_lo, s8, v1
	s_delay_alu instid0(VALU_DEP_2) | instskip(NEXT) | instid1(VALU_DEP_2)
	v_add_co_ci_u32_e32 v2, vcc_lo, s9, v2, vcc_lo
	v_add_co_u32 v1, vcc_lo, v1, v39
	s_delay_alu instid0(VALU_DEP_2)
	v_add_co_ci_u32_e32 v2, vcc_lo, 0, v2, vcc_lo
	.p2align	6
.LBB829_451:                            ; =>This Inner Loop Header: Depth=1
	ds_load_b64 v[4:5], v39
	v_add_nc_u32_e32 v3, 0x200, v3
	v_add_nc_u32_e32 v39, 0x1000, v39
	s_delay_alu instid0(VALU_DEP_2) | instskip(SKIP_4) | instid1(VALU_DEP_1)
	v_cmp_ge_u32_e32 vcc_lo, v3, v19
	s_or_b32 s2, vcc_lo, s2
	s_waitcnt lgkmcnt(0)
	global_store_b64 v[1:2], v[4:5], off
	v_add_co_u32 v1, s0, 0x1000, v1
	v_add_co_ci_u32_e64 v2, s0, 0, v2, s0
	s_and_not1_b32 exec_lo, exec_lo, s2
	s_cbranch_execnz .LBB829_451
.LBB829_452:
	s_or_b32 exec_lo, exec_lo, s1
	v_cmp_eq_u32_e32 vcc_lo, 0, v0
	s_and_b32 s0, vcc_lo, s14
	s_delay_alu instid0(SALU_CYCLE_1)
	s_and_saveexec_b32 s1, s0
	s_cbranch_execz .LBB829_407
.LBB829_453:
	v_add_co_u32 v0, s0, s12, v19
	s_delay_alu instid0(VALU_DEP_1) | instskip(SKIP_1) | instid1(VALU_DEP_3)
	v_add_co_ci_u32_e64 v1, null, s13, 0, s0
	v_mov_b32_e32 v2, 0
	v_add_co_u32 v0, vcc_lo, v0, v20
	s_delay_alu instid0(VALU_DEP_3)
	v_add_co_ci_u32_e32 v1, vcc_lo, 0, v1, vcc_lo
	global_store_b64 v2, v[0:1], s[16:17]
	s_nop 0
	s_sendmsg sendmsg(MSG_DEALLOC_VGPRS)
	s_endpgm
	.section	.rodata,"a",@progbits
	.p2align	6, 0x0
	.amdhsa_kernel _ZN7rocprim17ROCPRIM_400000_NS6detail17trampoline_kernelINS0_14default_configENS1_25partition_config_selectorILNS1_17partition_subalgoE8ElNS0_10empty_typeEbEEZZNS1_14partition_implILS5_8ELb0ES3_jPlPS6_PKS6_NS0_5tupleIJS9_S6_EEENSD_IJSA_SA_EEENS0_18inequality_wrapperIZN2at6native12_GLOBAL__N_124unique_dim_cuda_templateIdEESt5tupleIJNSH_6TensorESM_SM_EERKSM_lbbbEUlllE0_EEPmJS6_EEE10hipError_tPvRmT3_T4_T5_T6_T7_T9_mT8_P12ihipStream_tbDpT10_ENKUlT_T0_E_clISt17integral_constantIbLb1EES1B_IbLb0EEEEDaS17_S18_EUlS17_E_NS1_11comp_targetILNS1_3genE9ELNS1_11target_archE1100ELNS1_3gpuE3ELNS1_3repE0EEENS1_30default_config_static_selectorELNS0_4arch9wavefront6targetE0EEEvT1_
		.amdhsa_group_segment_fixed_size 33804
		.amdhsa_private_segment_fixed_size 0
		.amdhsa_kernarg_size 120
		.amdhsa_user_sgpr_count 15
		.amdhsa_user_sgpr_dispatch_ptr 0
		.amdhsa_user_sgpr_queue_ptr 0
		.amdhsa_user_sgpr_kernarg_segment_ptr 1
		.amdhsa_user_sgpr_dispatch_id 0
		.amdhsa_user_sgpr_private_segment_size 0
		.amdhsa_wavefront_size32 1
		.amdhsa_uses_dynamic_stack 0
		.amdhsa_enable_private_segment 0
		.amdhsa_system_sgpr_workgroup_id_x 1
		.amdhsa_system_sgpr_workgroup_id_y 0
		.amdhsa_system_sgpr_workgroup_id_z 0
		.amdhsa_system_sgpr_workgroup_info 0
		.amdhsa_system_vgpr_workitem_id 0
		.amdhsa_next_free_vgpr 52
		.amdhsa_next_free_sgpr 36
		.amdhsa_reserve_vcc 1
		.amdhsa_float_round_mode_32 0
		.amdhsa_float_round_mode_16_64 0
		.amdhsa_float_denorm_mode_32 3
		.amdhsa_float_denorm_mode_16_64 3
		.amdhsa_dx10_clamp 1
		.amdhsa_ieee_mode 1
		.amdhsa_fp16_overflow 0
		.amdhsa_workgroup_processor_mode 1
		.amdhsa_memory_ordered 1
		.amdhsa_forward_progress 0
		.amdhsa_shared_vgpr_count 0
		.amdhsa_exception_fp_ieee_invalid_op 0
		.amdhsa_exception_fp_denorm_src 0
		.amdhsa_exception_fp_ieee_div_zero 0
		.amdhsa_exception_fp_ieee_overflow 0
		.amdhsa_exception_fp_ieee_underflow 0
		.amdhsa_exception_fp_ieee_inexact 0
		.amdhsa_exception_int_div_zero 0
	.end_amdhsa_kernel
	.section	.text._ZN7rocprim17ROCPRIM_400000_NS6detail17trampoline_kernelINS0_14default_configENS1_25partition_config_selectorILNS1_17partition_subalgoE8ElNS0_10empty_typeEbEEZZNS1_14partition_implILS5_8ELb0ES3_jPlPS6_PKS6_NS0_5tupleIJS9_S6_EEENSD_IJSA_SA_EEENS0_18inequality_wrapperIZN2at6native12_GLOBAL__N_124unique_dim_cuda_templateIdEESt5tupleIJNSH_6TensorESM_SM_EERKSM_lbbbEUlllE0_EEPmJS6_EEE10hipError_tPvRmT3_T4_T5_T6_T7_T9_mT8_P12ihipStream_tbDpT10_ENKUlT_T0_E_clISt17integral_constantIbLb1EES1B_IbLb0EEEEDaS17_S18_EUlS17_E_NS1_11comp_targetILNS1_3genE9ELNS1_11target_archE1100ELNS1_3gpuE3ELNS1_3repE0EEENS1_30default_config_static_selectorELNS0_4arch9wavefront6targetE0EEEvT1_,"axG",@progbits,_ZN7rocprim17ROCPRIM_400000_NS6detail17trampoline_kernelINS0_14default_configENS1_25partition_config_selectorILNS1_17partition_subalgoE8ElNS0_10empty_typeEbEEZZNS1_14partition_implILS5_8ELb0ES3_jPlPS6_PKS6_NS0_5tupleIJS9_S6_EEENSD_IJSA_SA_EEENS0_18inequality_wrapperIZN2at6native12_GLOBAL__N_124unique_dim_cuda_templateIdEESt5tupleIJNSH_6TensorESM_SM_EERKSM_lbbbEUlllE0_EEPmJS6_EEE10hipError_tPvRmT3_T4_T5_T6_T7_T9_mT8_P12ihipStream_tbDpT10_ENKUlT_T0_E_clISt17integral_constantIbLb1EES1B_IbLb0EEEEDaS17_S18_EUlS17_E_NS1_11comp_targetILNS1_3genE9ELNS1_11target_archE1100ELNS1_3gpuE3ELNS1_3repE0EEENS1_30default_config_static_selectorELNS0_4arch9wavefront6targetE0EEEvT1_,comdat
.Lfunc_end829:
	.size	_ZN7rocprim17ROCPRIM_400000_NS6detail17trampoline_kernelINS0_14default_configENS1_25partition_config_selectorILNS1_17partition_subalgoE8ElNS0_10empty_typeEbEEZZNS1_14partition_implILS5_8ELb0ES3_jPlPS6_PKS6_NS0_5tupleIJS9_S6_EEENSD_IJSA_SA_EEENS0_18inequality_wrapperIZN2at6native12_GLOBAL__N_124unique_dim_cuda_templateIdEESt5tupleIJNSH_6TensorESM_SM_EERKSM_lbbbEUlllE0_EEPmJS6_EEE10hipError_tPvRmT3_T4_T5_T6_T7_T9_mT8_P12ihipStream_tbDpT10_ENKUlT_T0_E_clISt17integral_constantIbLb1EES1B_IbLb0EEEEDaS17_S18_EUlS17_E_NS1_11comp_targetILNS1_3genE9ELNS1_11target_archE1100ELNS1_3gpuE3ELNS1_3repE0EEENS1_30default_config_static_selectorELNS0_4arch9wavefront6targetE0EEEvT1_, .Lfunc_end829-_ZN7rocprim17ROCPRIM_400000_NS6detail17trampoline_kernelINS0_14default_configENS1_25partition_config_selectorILNS1_17partition_subalgoE8ElNS0_10empty_typeEbEEZZNS1_14partition_implILS5_8ELb0ES3_jPlPS6_PKS6_NS0_5tupleIJS9_S6_EEENSD_IJSA_SA_EEENS0_18inequality_wrapperIZN2at6native12_GLOBAL__N_124unique_dim_cuda_templateIdEESt5tupleIJNSH_6TensorESM_SM_EERKSM_lbbbEUlllE0_EEPmJS6_EEE10hipError_tPvRmT3_T4_T5_T6_T7_T9_mT8_P12ihipStream_tbDpT10_ENKUlT_T0_E_clISt17integral_constantIbLb1EES1B_IbLb0EEEEDaS17_S18_EUlS17_E_NS1_11comp_targetILNS1_3genE9ELNS1_11target_archE1100ELNS1_3gpuE3ELNS1_3repE0EEENS1_30default_config_static_selectorELNS0_4arch9wavefront6targetE0EEEvT1_
                                        ; -- End function
	.section	.AMDGPU.csdata,"",@progbits
; Kernel info:
; codeLenInByte = 18332
; NumSgprs: 38
; NumVgprs: 52
; ScratchSize: 0
; MemoryBound: 1
; FloatMode: 240
; IeeeMode: 1
; LDSByteSize: 33804 bytes/workgroup (compile time only)
; SGPRBlocks: 4
; VGPRBlocks: 6
; NumSGPRsForWavesPerEU: 38
; NumVGPRsForWavesPerEU: 52
; Occupancy: 12
; WaveLimiterHint : 1
; COMPUTE_PGM_RSRC2:SCRATCH_EN: 0
; COMPUTE_PGM_RSRC2:USER_SGPR: 15
; COMPUTE_PGM_RSRC2:TRAP_HANDLER: 0
; COMPUTE_PGM_RSRC2:TGID_X_EN: 1
; COMPUTE_PGM_RSRC2:TGID_Y_EN: 0
; COMPUTE_PGM_RSRC2:TGID_Z_EN: 0
; COMPUTE_PGM_RSRC2:TIDIG_COMP_CNT: 0
	.section	.text._ZN7rocprim17ROCPRIM_400000_NS6detail17trampoline_kernelINS0_14default_configENS1_25partition_config_selectorILNS1_17partition_subalgoE8ElNS0_10empty_typeEbEEZZNS1_14partition_implILS5_8ELb0ES3_jPlPS6_PKS6_NS0_5tupleIJS9_S6_EEENSD_IJSA_SA_EEENS0_18inequality_wrapperIZN2at6native12_GLOBAL__N_124unique_dim_cuda_templateIdEESt5tupleIJNSH_6TensorESM_SM_EERKSM_lbbbEUlllE0_EEPmJS6_EEE10hipError_tPvRmT3_T4_T5_T6_T7_T9_mT8_P12ihipStream_tbDpT10_ENKUlT_T0_E_clISt17integral_constantIbLb1EES1B_IbLb0EEEEDaS17_S18_EUlS17_E_NS1_11comp_targetILNS1_3genE8ELNS1_11target_archE1030ELNS1_3gpuE2ELNS1_3repE0EEENS1_30default_config_static_selectorELNS0_4arch9wavefront6targetE0EEEvT1_,"axG",@progbits,_ZN7rocprim17ROCPRIM_400000_NS6detail17trampoline_kernelINS0_14default_configENS1_25partition_config_selectorILNS1_17partition_subalgoE8ElNS0_10empty_typeEbEEZZNS1_14partition_implILS5_8ELb0ES3_jPlPS6_PKS6_NS0_5tupleIJS9_S6_EEENSD_IJSA_SA_EEENS0_18inequality_wrapperIZN2at6native12_GLOBAL__N_124unique_dim_cuda_templateIdEESt5tupleIJNSH_6TensorESM_SM_EERKSM_lbbbEUlllE0_EEPmJS6_EEE10hipError_tPvRmT3_T4_T5_T6_T7_T9_mT8_P12ihipStream_tbDpT10_ENKUlT_T0_E_clISt17integral_constantIbLb1EES1B_IbLb0EEEEDaS17_S18_EUlS17_E_NS1_11comp_targetILNS1_3genE8ELNS1_11target_archE1030ELNS1_3gpuE2ELNS1_3repE0EEENS1_30default_config_static_selectorELNS0_4arch9wavefront6targetE0EEEvT1_,comdat
	.globl	_ZN7rocprim17ROCPRIM_400000_NS6detail17trampoline_kernelINS0_14default_configENS1_25partition_config_selectorILNS1_17partition_subalgoE8ElNS0_10empty_typeEbEEZZNS1_14partition_implILS5_8ELb0ES3_jPlPS6_PKS6_NS0_5tupleIJS9_S6_EEENSD_IJSA_SA_EEENS0_18inequality_wrapperIZN2at6native12_GLOBAL__N_124unique_dim_cuda_templateIdEESt5tupleIJNSH_6TensorESM_SM_EERKSM_lbbbEUlllE0_EEPmJS6_EEE10hipError_tPvRmT3_T4_T5_T6_T7_T9_mT8_P12ihipStream_tbDpT10_ENKUlT_T0_E_clISt17integral_constantIbLb1EES1B_IbLb0EEEEDaS17_S18_EUlS17_E_NS1_11comp_targetILNS1_3genE8ELNS1_11target_archE1030ELNS1_3gpuE2ELNS1_3repE0EEENS1_30default_config_static_selectorELNS0_4arch9wavefront6targetE0EEEvT1_ ; -- Begin function _ZN7rocprim17ROCPRIM_400000_NS6detail17trampoline_kernelINS0_14default_configENS1_25partition_config_selectorILNS1_17partition_subalgoE8ElNS0_10empty_typeEbEEZZNS1_14partition_implILS5_8ELb0ES3_jPlPS6_PKS6_NS0_5tupleIJS9_S6_EEENSD_IJSA_SA_EEENS0_18inequality_wrapperIZN2at6native12_GLOBAL__N_124unique_dim_cuda_templateIdEESt5tupleIJNSH_6TensorESM_SM_EERKSM_lbbbEUlllE0_EEPmJS6_EEE10hipError_tPvRmT3_T4_T5_T6_T7_T9_mT8_P12ihipStream_tbDpT10_ENKUlT_T0_E_clISt17integral_constantIbLb1EES1B_IbLb0EEEEDaS17_S18_EUlS17_E_NS1_11comp_targetILNS1_3genE8ELNS1_11target_archE1030ELNS1_3gpuE2ELNS1_3repE0EEENS1_30default_config_static_selectorELNS0_4arch9wavefront6targetE0EEEvT1_
	.p2align	8
	.type	_ZN7rocprim17ROCPRIM_400000_NS6detail17trampoline_kernelINS0_14default_configENS1_25partition_config_selectorILNS1_17partition_subalgoE8ElNS0_10empty_typeEbEEZZNS1_14partition_implILS5_8ELb0ES3_jPlPS6_PKS6_NS0_5tupleIJS9_S6_EEENSD_IJSA_SA_EEENS0_18inequality_wrapperIZN2at6native12_GLOBAL__N_124unique_dim_cuda_templateIdEESt5tupleIJNSH_6TensorESM_SM_EERKSM_lbbbEUlllE0_EEPmJS6_EEE10hipError_tPvRmT3_T4_T5_T6_T7_T9_mT8_P12ihipStream_tbDpT10_ENKUlT_T0_E_clISt17integral_constantIbLb1EES1B_IbLb0EEEEDaS17_S18_EUlS17_E_NS1_11comp_targetILNS1_3genE8ELNS1_11target_archE1030ELNS1_3gpuE2ELNS1_3repE0EEENS1_30default_config_static_selectorELNS0_4arch9wavefront6targetE0EEEvT1_,@function
_ZN7rocprim17ROCPRIM_400000_NS6detail17trampoline_kernelINS0_14default_configENS1_25partition_config_selectorILNS1_17partition_subalgoE8ElNS0_10empty_typeEbEEZZNS1_14partition_implILS5_8ELb0ES3_jPlPS6_PKS6_NS0_5tupleIJS9_S6_EEENSD_IJSA_SA_EEENS0_18inequality_wrapperIZN2at6native12_GLOBAL__N_124unique_dim_cuda_templateIdEESt5tupleIJNSH_6TensorESM_SM_EERKSM_lbbbEUlllE0_EEPmJS6_EEE10hipError_tPvRmT3_T4_T5_T6_T7_T9_mT8_P12ihipStream_tbDpT10_ENKUlT_T0_E_clISt17integral_constantIbLb1EES1B_IbLb0EEEEDaS17_S18_EUlS17_E_NS1_11comp_targetILNS1_3genE8ELNS1_11target_archE1030ELNS1_3gpuE2ELNS1_3repE0EEENS1_30default_config_static_selectorELNS0_4arch9wavefront6targetE0EEEvT1_: ; @_ZN7rocprim17ROCPRIM_400000_NS6detail17trampoline_kernelINS0_14default_configENS1_25partition_config_selectorILNS1_17partition_subalgoE8ElNS0_10empty_typeEbEEZZNS1_14partition_implILS5_8ELb0ES3_jPlPS6_PKS6_NS0_5tupleIJS9_S6_EEENSD_IJSA_SA_EEENS0_18inequality_wrapperIZN2at6native12_GLOBAL__N_124unique_dim_cuda_templateIdEESt5tupleIJNSH_6TensorESM_SM_EERKSM_lbbbEUlllE0_EEPmJS6_EEE10hipError_tPvRmT3_T4_T5_T6_T7_T9_mT8_P12ihipStream_tbDpT10_ENKUlT_T0_E_clISt17integral_constantIbLb1EES1B_IbLb0EEEEDaS17_S18_EUlS17_E_NS1_11comp_targetILNS1_3genE8ELNS1_11target_archE1030ELNS1_3gpuE2ELNS1_3repE0EEENS1_30default_config_static_selectorELNS0_4arch9wavefront6targetE0EEEvT1_
; %bb.0:
	.section	.rodata,"a",@progbits
	.p2align	6, 0x0
	.amdhsa_kernel _ZN7rocprim17ROCPRIM_400000_NS6detail17trampoline_kernelINS0_14default_configENS1_25partition_config_selectorILNS1_17partition_subalgoE8ElNS0_10empty_typeEbEEZZNS1_14partition_implILS5_8ELb0ES3_jPlPS6_PKS6_NS0_5tupleIJS9_S6_EEENSD_IJSA_SA_EEENS0_18inequality_wrapperIZN2at6native12_GLOBAL__N_124unique_dim_cuda_templateIdEESt5tupleIJNSH_6TensorESM_SM_EERKSM_lbbbEUlllE0_EEPmJS6_EEE10hipError_tPvRmT3_T4_T5_T6_T7_T9_mT8_P12ihipStream_tbDpT10_ENKUlT_T0_E_clISt17integral_constantIbLb1EES1B_IbLb0EEEEDaS17_S18_EUlS17_E_NS1_11comp_targetILNS1_3genE8ELNS1_11target_archE1030ELNS1_3gpuE2ELNS1_3repE0EEENS1_30default_config_static_selectorELNS0_4arch9wavefront6targetE0EEEvT1_
		.amdhsa_group_segment_fixed_size 0
		.amdhsa_private_segment_fixed_size 0
		.amdhsa_kernarg_size 120
		.amdhsa_user_sgpr_count 15
		.amdhsa_user_sgpr_dispatch_ptr 0
		.amdhsa_user_sgpr_queue_ptr 0
		.amdhsa_user_sgpr_kernarg_segment_ptr 1
		.amdhsa_user_sgpr_dispatch_id 0
		.amdhsa_user_sgpr_private_segment_size 0
		.amdhsa_wavefront_size32 1
		.amdhsa_uses_dynamic_stack 0
		.amdhsa_enable_private_segment 0
		.amdhsa_system_sgpr_workgroup_id_x 1
		.amdhsa_system_sgpr_workgroup_id_y 0
		.amdhsa_system_sgpr_workgroup_id_z 0
		.amdhsa_system_sgpr_workgroup_info 0
		.amdhsa_system_vgpr_workitem_id 0
		.amdhsa_next_free_vgpr 1
		.amdhsa_next_free_sgpr 1
		.amdhsa_reserve_vcc 0
		.amdhsa_float_round_mode_32 0
		.amdhsa_float_round_mode_16_64 0
		.amdhsa_float_denorm_mode_32 3
		.amdhsa_float_denorm_mode_16_64 3
		.amdhsa_dx10_clamp 1
		.amdhsa_ieee_mode 1
		.amdhsa_fp16_overflow 0
		.amdhsa_workgroup_processor_mode 1
		.amdhsa_memory_ordered 1
		.amdhsa_forward_progress 0
		.amdhsa_shared_vgpr_count 0
		.amdhsa_exception_fp_ieee_invalid_op 0
		.amdhsa_exception_fp_denorm_src 0
		.amdhsa_exception_fp_ieee_div_zero 0
		.amdhsa_exception_fp_ieee_overflow 0
		.amdhsa_exception_fp_ieee_underflow 0
		.amdhsa_exception_fp_ieee_inexact 0
		.amdhsa_exception_int_div_zero 0
	.end_amdhsa_kernel
	.section	.text._ZN7rocprim17ROCPRIM_400000_NS6detail17trampoline_kernelINS0_14default_configENS1_25partition_config_selectorILNS1_17partition_subalgoE8ElNS0_10empty_typeEbEEZZNS1_14partition_implILS5_8ELb0ES3_jPlPS6_PKS6_NS0_5tupleIJS9_S6_EEENSD_IJSA_SA_EEENS0_18inequality_wrapperIZN2at6native12_GLOBAL__N_124unique_dim_cuda_templateIdEESt5tupleIJNSH_6TensorESM_SM_EERKSM_lbbbEUlllE0_EEPmJS6_EEE10hipError_tPvRmT3_T4_T5_T6_T7_T9_mT8_P12ihipStream_tbDpT10_ENKUlT_T0_E_clISt17integral_constantIbLb1EES1B_IbLb0EEEEDaS17_S18_EUlS17_E_NS1_11comp_targetILNS1_3genE8ELNS1_11target_archE1030ELNS1_3gpuE2ELNS1_3repE0EEENS1_30default_config_static_selectorELNS0_4arch9wavefront6targetE0EEEvT1_,"axG",@progbits,_ZN7rocprim17ROCPRIM_400000_NS6detail17trampoline_kernelINS0_14default_configENS1_25partition_config_selectorILNS1_17partition_subalgoE8ElNS0_10empty_typeEbEEZZNS1_14partition_implILS5_8ELb0ES3_jPlPS6_PKS6_NS0_5tupleIJS9_S6_EEENSD_IJSA_SA_EEENS0_18inequality_wrapperIZN2at6native12_GLOBAL__N_124unique_dim_cuda_templateIdEESt5tupleIJNSH_6TensorESM_SM_EERKSM_lbbbEUlllE0_EEPmJS6_EEE10hipError_tPvRmT3_T4_T5_T6_T7_T9_mT8_P12ihipStream_tbDpT10_ENKUlT_T0_E_clISt17integral_constantIbLb1EES1B_IbLb0EEEEDaS17_S18_EUlS17_E_NS1_11comp_targetILNS1_3genE8ELNS1_11target_archE1030ELNS1_3gpuE2ELNS1_3repE0EEENS1_30default_config_static_selectorELNS0_4arch9wavefront6targetE0EEEvT1_,comdat
.Lfunc_end830:
	.size	_ZN7rocprim17ROCPRIM_400000_NS6detail17trampoline_kernelINS0_14default_configENS1_25partition_config_selectorILNS1_17partition_subalgoE8ElNS0_10empty_typeEbEEZZNS1_14partition_implILS5_8ELb0ES3_jPlPS6_PKS6_NS0_5tupleIJS9_S6_EEENSD_IJSA_SA_EEENS0_18inequality_wrapperIZN2at6native12_GLOBAL__N_124unique_dim_cuda_templateIdEESt5tupleIJNSH_6TensorESM_SM_EERKSM_lbbbEUlllE0_EEPmJS6_EEE10hipError_tPvRmT3_T4_T5_T6_T7_T9_mT8_P12ihipStream_tbDpT10_ENKUlT_T0_E_clISt17integral_constantIbLb1EES1B_IbLb0EEEEDaS17_S18_EUlS17_E_NS1_11comp_targetILNS1_3genE8ELNS1_11target_archE1030ELNS1_3gpuE2ELNS1_3repE0EEENS1_30default_config_static_selectorELNS0_4arch9wavefront6targetE0EEEvT1_, .Lfunc_end830-_ZN7rocprim17ROCPRIM_400000_NS6detail17trampoline_kernelINS0_14default_configENS1_25partition_config_selectorILNS1_17partition_subalgoE8ElNS0_10empty_typeEbEEZZNS1_14partition_implILS5_8ELb0ES3_jPlPS6_PKS6_NS0_5tupleIJS9_S6_EEENSD_IJSA_SA_EEENS0_18inequality_wrapperIZN2at6native12_GLOBAL__N_124unique_dim_cuda_templateIdEESt5tupleIJNSH_6TensorESM_SM_EERKSM_lbbbEUlllE0_EEPmJS6_EEE10hipError_tPvRmT3_T4_T5_T6_T7_T9_mT8_P12ihipStream_tbDpT10_ENKUlT_T0_E_clISt17integral_constantIbLb1EES1B_IbLb0EEEEDaS17_S18_EUlS17_E_NS1_11comp_targetILNS1_3genE8ELNS1_11target_archE1030ELNS1_3gpuE2ELNS1_3repE0EEENS1_30default_config_static_selectorELNS0_4arch9wavefront6targetE0EEEvT1_
                                        ; -- End function
	.section	.AMDGPU.csdata,"",@progbits
; Kernel info:
; codeLenInByte = 0
; NumSgprs: 0
; NumVgprs: 0
; ScratchSize: 0
; MemoryBound: 0
; FloatMode: 240
; IeeeMode: 1
; LDSByteSize: 0 bytes/workgroup (compile time only)
; SGPRBlocks: 0
; VGPRBlocks: 0
; NumSGPRsForWavesPerEU: 1
; NumVGPRsForWavesPerEU: 1
; Occupancy: 16
; WaveLimiterHint : 0
; COMPUTE_PGM_RSRC2:SCRATCH_EN: 0
; COMPUTE_PGM_RSRC2:USER_SGPR: 15
; COMPUTE_PGM_RSRC2:TRAP_HANDLER: 0
; COMPUTE_PGM_RSRC2:TGID_X_EN: 1
; COMPUTE_PGM_RSRC2:TGID_Y_EN: 0
; COMPUTE_PGM_RSRC2:TGID_Z_EN: 0
; COMPUTE_PGM_RSRC2:TIDIG_COMP_CNT: 0
	.section	.text._ZN7rocprim17ROCPRIM_400000_NS6detail17trampoline_kernelINS0_14default_configENS1_25partition_config_selectorILNS1_17partition_subalgoE8ElNS0_10empty_typeEbEEZZNS1_14partition_implILS5_8ELb0ES3_jPlPS6_PKS6_NS0_5tupleIJS9_S6_EEENSD_IJSA_SA_EEENS0_18inequality_wrapperIZN2at6native12_GLOBAL__N_124unique_dim_cuda_templateIdEESt5tupleIJNSH_6TensorESM_SM_EERKSM_lbbbEUlllE0_EEPmJS6_EEE10hipError_tPvRmT3_T4_T5_T6_T7_T9_mT8_P12ihipStream_tbDpT10_ENKUlT_T0_E_clISt17integral_constantIbLb0EES1B_IbLb1EEEEDaS17_S18_EUlS17_E_NS1_11comp_targetILNS1_3genE0ELNS1_11target_archE4294967295ELNS1_3gpuE0ELNS1_3repE0EEENS1_30default_config_static_selectorELNS0_4arch9wavefront6targetE0EEEvT1_,"axG",@progbits,_ZN7rocprim17ROCPRIM_400000_NS6detail17trampoline_kernelINS0_14default_configENS1_25partition_config_selectorILNS1_17partition_subalgoE8ElNS0_10empty_typeEbEEZZNS1_14partition_implILS5_8ELb0ES3_jPlPS6_PKS6_NS0_5tupleIJS9_S6_EEENSD_IJSA_SA_EEENS0_18inequality_wrapperIZN2at6native12_GLOBAL__N_124unique_dim_cuda_templateIdEESt5tupleIJNSH_6TensorESM_SM_EERKSM_lbbbEUlllE0_EEPmJS6_EEE10hipError_tPvRmT3_T4_T5_T6_T7_T9_mT8_P12ihipStream_tbDpT10_ENKUlT_T0_E_clISt17integral_constantIbLb0EES1B_IbLb1EEEEDaS17_S18_EUlS17_E_NS1_11comp_targetILNS1_3genE0ELNS1_11target_archE4294967295ELNS1_3gpuE0ELNS1_3repE0EEENS1_30default_config_static_selectorELNS0_4arch9wavefront6targetE0EEEvT1_,comdat
	.globl	_ZN7rocprim17ROCPRIM_400000_NS6detail17trampoline_kernelINS0_14default_configENS1_25partition_config_selectorILNS1_17partition_subalgoE8ElNS0_10empty_typeEbEEZZNS1_14partition_implILS5_8ELb0ES3_jPlPS6_PKS6_NS0_5tupleIJS9_S6_EEENSD_IJSA_SA_EEENS0_18inequality_wrapperIZN2at6native12_GLOBAL__N_124unique_dim_cuda_templateIdEESt5tupleIJNSH_6TensorESM_SM_EERKSM_lbbbEUlllE0_EEPmJS6_EEE10hipError_tPvRmT3_T4_T5_T6_T7_T9_mT8_P12ihipStream_tbDpT10_ENKUlT_T0_E_clISt17integral_constantIbLb0EES1B_IbLb1EEEEDaS17_S18_EUlS17_E_NS1_11comp_targetILNS1_3genE0ELNS1_11target_archE4294967295ELNS1_3gpuE0ELNS1_3repE0EEENS1_30default_config_static_selectorELNS0_4arch9wavefront6targetE0EEEvT1_ ; -- Begin function _ZN7rocprim17ROCPRIM_400000_NS6detail17trampoline_kernelINS0_14default_configENS1_25partition_config_selectorILNS1_17partition_subalgoE8ElNS0_10empty_typeEbEEZZNS1_14partition_implILS5_8ELb0ES3_jPlPS6_PKS6_NS0_5tupleIJS9_S6_EEENSD_IJSA_SA_EEENS0_18inequality_wrapperIZN2at6native12_GLOBAL__N_124unique_dim_cuda_templateIdEESt5tupleIJNSH_6TensorESM_SM_EERKSM_lbbbEUlllE0_EEPmJS6_EEE10hipError_tPvRmT3_T4_T5_T6_T7_T9_mT8_P12ihipStream_tbDpT10_ENKUlT_T0_E_clISt17integral_constantIbLb0EES1B_IbLb1EEEEDaS17_S18_EUlS17_E_NS1_11comp_targetILNS1_3genE0ELNS1_11target_archE4294967295ELNS1_3gpuE0ELNS1_3repE0EEENS1_30default_config_static_selectorELNS0_4arch9wavefront6targetE0EEEvT1_
	.p2align	8
	.type	_ZN7rocprim17ROCPRIM_400000_NS6detail17trampoline_kernelINS0_14default_configENS1_25partition_config_selectorILNS1_17partition_subalgoE8ElNS0_10empty_typeEbEEZZNS1_14partition_implILS5_8ELb0ES3_jPlPS6_PKS6_NS0_5tupleIJS9_S6_EEENSD_IJSA_SA_EEENS0_18inequality_wrapperIZN2at6native12_GLOBAL__N_124unique_dim_cuda_templateIdEESt5tupleIJNSH_6TensorESM_SM_EERKSM_lbbbEUlllE0_EEPmJS6_EEE10hipError_tPvRmT3_T4_T5_T6_T7_T9_mT8_P12ihipStream_tbDpT10_ENKUlT_T0_E_clISt17integral_constantIbLb0EES1B_IbLb1EEEEDaS17_S18_EUlS17_E_NS1_11comp_targetILNS1_3genE0ELNS1_11target_archE4294967295ELNS1_3gpuE0ELNS1_3repE0EEENS1_30default_config_static_selectorELNS0_4arch9wavefront6targetE0EEEvT1_,@function
_ZN7rocprim17ROCPRIM_400000_NS6detail17trampoline_kernelINS0_14default_configENS1_25partition_config_selectorILNS1_17partition_subalgoE8ElNS0_10empty_typeEbEEZZNS1_14partition_implILS5_8ELb0ES3_jPlPS6_PKS6_NS0_5tupleIJS9_S6_EEENSD_IJSA_SA_EEENS0_18inequality_wrapperIZN2at6native12_GLOBAL__N_124unique_dim_cuda_templateIdEESt5tupleIJNSH_6TensorESM_SM_EERKSM_lbbbEUlllE0_EEPmJS6_EEE10hipError_tPvRmT3_T4_T5_T6_T7_T9_mT8_P12ihipStream_tbDpT10_ENKUlT_T0_E_clISt17integral_constantIbLb0EES1B_IbLb1EEEEDaS17_S18_EUlS17_E_NS1_11comp_targetILNS1_3genE0ELNS1_11target_archE4294967295ELNS1_3gpuE0ELNS1_3repE0EEENS1_30default_config_static_selectorELNS0_4arch9wavefront6targetE0EEEvT1_: ; @_ZN7rocprim17ROCPRIM_400000_NS6detail17trampoline_kernelINS0_14default_configENS1_25partition_config_selectorILNS1_17partition_subalgoE8ElNS0_10empty_typeEbEEZZNS1_14partition_implILS5_8ELb0ES3_jPlPS6_PKS6_NS0_5tupleIJS9_S6_EEENSD_IJSA_SA_EEENS0_18inequality_wrapperIZN2at6native12_GLOBAL__N_124unique_dim_cuda_templateIdEESt5tupleIJNSH_6TensorESM_SM_EERKSM_lbbbEUlllE0_EEPmJS6_EEE10hipError_tPvRmT3_T4_T5_T6_T7_T9_mT8_P12ihipStream_tbDpT10_ENKUlT_T0_E_clISt17integral_constantIbLb0EES1B_IbLb1EEEEDaS17_S18_EUlS17_E_NS1_11comp_targetILNS1_3genE0ELNS1_11target_archE4294967295ELNS1_3gpuE0ELNS1_3repE0EEENS1_30default_config_static_selectorELNS0_4arch9wavefront6targetE0EEEvT1_
; %bb.0:
	.section	.rodata,"a",@progbits
	.p2align	6, 0x0
	.amdhsa_kernel _ZN7rocprim17ROCPRIM_400000_NS6detail17trampoline_kernelINS0_14default_configENS1_25partition_config_selectorILNS1_17partition_subalgoE8ElNS0_10empty_typeEbEEZZNS1_14partition_implILS5_8ELb0ES3_jPlPS6_PKS6_NS0_5tupleIJS9_S6_EEENSD_IJSA_SA_EEENS0_18inequality_wrapperIZN2at6native12_GLOBAL__N_124unique_dim_cuda_templateIdEESt5tupleIJNSH_6TensorESM_SM_EERKSM_lbbbEUlllE0_EEPmJS6_EEE10hipError_tPvRmT3_T4_T5_T6_T7_T9_mT8_P12ihipStream_tbDpT10_ENKUlT_T0_E_clISt17integral_constantIbLb0EES1B_IbLb1EEEEDaS17_S18_EUlS17_E_NS1_11comp_targetILNS1_3genE0ELNS1_11target_archE4294967295ELNS1_3gpuE0ELNS1_3repE0EEENS1_30default_config_static_selectorELNS0_4arch9wavefront6targetE0EEEvT1_
		.amdhsa_group_segment_fixed_size 0
		.amdhsa_private_segment_fixed_size 0
		.amdhsa_kernarg_size 136
		.amdhsa_user_sgpr_count 15
		.amdhsa_user_sgpr_dispatch_ptr 0
		.amdhsa_user_sgpr_queue_ptr 0
		.amdhsa_user_sgpr_kernarg_segment_ptr 1
		.amdhsa_user_sgpr_dispatch_id 0
		.amdhsa_user_sgpr_private_segment_size 0
		.amdhsa_wavefront_size32 1
		.amdhsa_uses_dynamic_stack 0
		.amdhsa_enable_private_segment 0
		.amdhsa_system_sgpr_workgroup_id_x 1
		.amdhsa_system_sgpr_workgroup_id_y 0
		.amdhsa_system_sgpr_workgroup_id_z 0
		.amdhsa_system_sgpr_workgroup_info 0
		.amdhsa_system_vgpr_workitem_id 0
		.amdhsa_next_free_vgpr 1
		.amdhsa_next_free_sgpr 1
		.amdhsa_reserve_vcc 0
		.amdhsa_float_round_mode_32 0
		.amdhsa_float_round_mode_16_64 0
		.amdhsa_float_denorm_mode_32 3
		.amdhsa_float_denorm_mode_16_64 3
		.amdhsa_dx10_clamp 1
		.amdhsa_ieee_mode 1
		.amdhsa_fp16_overflow 0
		.amdhsa_workgroup_processor_mode 1
		.amdhsa_memory_ordered 1
		.amdhsa_forward_progress 0
		.amdhsa_shared_vgpr_count 0
		.amdhsa_exception_fp_ieee_invalid_op 0
		.amdhsa_exception_fp_denorm_src 0
		.amdhsa_exception_fp_ieee_div_zero 0
		.amdhsa_exception_fp_ieee_overflow 0
		.amdhsa_exception_fp_ieee_underflow 0
		.amdhsa_exception_fp_ieee_inexact 0
		.amdhsa_exception_int_div_zero 0
	.end_amdhsa_kernel
	.section	.text._ZN7rocprim17ROCPRIM_400000_NS6detail17trampoline_kernelINS0_14default_configENS1_25partition_config_selectorILNS1_17partition_subalgoE8ElNS0_10empty_typeEbEEZZNS1_14partition_implILS5_8ELb0ES3_jPlPS6_PKS6_NS0_5tupleIJS9_S6_EEENSD_IJSA_SA_EEENS0_18inequality_wrapperIZN2at6native12_GLOBAL__N_124unique_dim_cuda_templateIdEESt5tupleIJNSH_6TensorESM_SM_EERKSM_lbbbEUlllE0_EEPmJS6_EEE10hipError_tPvRmT3_T4_T5_T6_T7_T9_mT8_P12ihipStream_tbDpT10_ENKUlT_T0_E_clISt17integral_constantIbLb0EES1B_IbLb1EEEEDaS17_S18_EUlS17_E_NS1_11comp_targetILNS1_3genE0ELNS1_11target_archE4294967295ELNS1_3gpuE0ELNS1_3repE0EEENS1_30default_config_static_selectorELNS0_4arch9wavefront6targetE0EEEvT1_,"axG",@progbits,_ZN7rocprim17ROCPRIM_400000_NS6detail17trampoline_kernelINS0_14default_configENS1_25partition_config_selectorILNS1_17partition_subalgoE8ElNS0_10empty_typeEbEEZZNS1_14partition_implILS5_8ELb0ES3_jPlPS6_PKS6_NS0_5tupleIJS9_S6_EEENSD_IJSA_SA_EEENS0_18inequality_wrapperIZN2at6native12_GLOBAL__N_124unique_dim_cuda_templateIdEESt5tupleIJNSH_6TensorESM_SM_EERKSM_lbbbEUlllE0_EEPmJS6_EEE10hipError_tPvRmT3_T4_T5_T6_T7_T9_mT8_P12ihipStream_tbDpT10_ENKUlT_T0_E_clISt17integral_constantIbLb0EES1B_IbLb1EEEEDaS17_S18_EUlS17_E_NS1_11comp_targetILNS1_3genE0ELNS1_11target_archE4294967295ELNS1_3gpuE0ELNS1_3repE0EEENS1_30default_config_static_selectorELNS0_4arch9wavefront6targetE0EEEvT1_,comdat
.Lfunc_end831:
	.size	_ZN7rocprim17ROCPRIM_400000_NS6detail17trampoline_kernelINS0_14default_configENS1_25partition_config_selectorILNS1_17partition_subalgoE8ElNS0_10empty_typeEbEEZZNS1_14partition_implILS5_8ELb0ES3_jPlPS6_PKS6_NS0_5tupleIJS9_S6_EEENSD_IJSA_SA_EEENS0_18inequality_wrapperIZN2at6native12_GLOBAL__N_124unique_dim_cuda_templateIdEESt5tupleIJNSH_6TensorESM_SM_EERKSM_lbbbEUlllE0_EEPmJS6_EEE10hipError_tPvRmT3_T4_T5_T6_T7_T9_mT8_P12ihipStream_tbDpT10_ENKUlT_T0_E_clISt17integral_constantIbLb0EES1B_IbLb1EEEEDaS17_S18_EUlS17_E_NS1_11comp_targetILNS1_3genE0ELNS1_11target_archE4294967295ELNS1_3gpuE0ELNS1_3repE0EEENS1_30default_config_static_selectorELNS0_4arch9wavefront6targetE0EEEvT1_, .Lfunc_end831-_ZN7rocprim17ROCPRIM_400000_NS6detail17trampoline_kernelINS0_14default_configENS1_25partition_config_selectorILNS1_17partition_subalgoE8ElNS0_10empty_typeEbEEZZNS1_14partition_implILS5_8ELb0ES3_jPlPS6_PKS6_NS0_5tupleIJS9_S6_EEENSD_IJSA_SA_EEENS0_18inequality_wrapperIZN2at6native12_GLOBAL__N_124unique_dim_cuda_templateIdEESt5tupleIJNSH_6TensorESM_SM_EERKSM_lbbbEUlllE0_EEPmJS6_EEE10hipError_tPvRmT3_T4_T5_T6_T7_T9_mT8_P12ihipStream_tbDpT10_ENKUlT_T0_E_clISt17integral_constantIbLb0EES1B_IbLb1EEEEDaS17_S18_EUlS17_E_NS1_11comp_targetILNS1_3genE0ELNS1_11target_archE4294967295ELNS1_3gpuE0ELNS1_3repE0EEENS1_30default_config_static_selectorELNS0_4arch9wavefront6targetE0EEEvT1_
                                        ; -- End function
	.section	.AMDGPU.csdata,"",@progbits
; Kernel info:
; codeLenInByte = 0
; NumSgprs: 0
; NumVgprs: 0
; ScratchSize: 0
; MemoryBound: 0
; FloatMode: 240
; IeeeMode: 1
; LDSByteSize: 0 bytes/workgroup (compile time only)
; SGPRBlocks: 0
; VGPRBlocks: 0
; NumSGPRsForWavesPerEU: 1
; NumVGPRsForWavesPerEU: 1
; Occupancy: 16
; WaveLimiterHint : 0
; COMPUTE_PGM_RSRC2:SCRATCH_EN: 0
; COMPUTE_PGM_RSRC2:USER_SGPR: 15
; COMPUTE_PGM_RSRC2:TRAP_HANDLER: 0
; COMPUTE_PGM_RSRC2:TGID_X_EN: 1
; COMPUTE_PGM_RSRC2:TGID_Y_EN: 0
; COMPUTE_PGM_RSRC2:TGID_Z_EN: 0
; COMPUTE_PGM_RSRC2:TIDIG_COMP_CNT: 0
	.section	.text._ZN7rocprim17ROCPRIM_400000_NS6detail17trampoline_kernelINS0_14default_configENS1_25partition_config_selectorILNS1_17partition_subalgoE8ElNS0_10empty_typeEbEEZZNS1_14partition_implILS5_8ELb0ES3_jPlPS6_PKS6_NS0_5tupleIJS9_S6_EEENSD_IJSA_SA_EEENS0_18inequality_wrapperIZN2at6native12_GLOBAL__N_124unique_dim_cuda_templateIdEESt5tupleIJNSH_6TensorESM_SM_EERKSM_lbbbEUlllE0_EEPmJS6_EEE10hipError_tPvRmT3_T4_T5_T6_T7_T9_mT8_P12ihipStream_tbDpT10_ENKUlT_T0_E_clISt17integral_constantIbLb0EES1B_IbLb1EEEEDaS17_S18_EUlS17_E_NS1_11comp_targetILNS1_3genE5ELNS1_11target_archE942ELNS1_3gpuE9ELNS1_3repE0EEENS1_30default_config_static_selectorELNS0_4arch9wavefront6targetE0EEEvT1_,"axG",@progbits,_ZN7rocprim17ROCPRIM_400000_NS6detail17trampoline_kernelINS0_14default_configENS1_25partition_config_selectorILNS1_17partition_subalgoE8ElNS0_10empty_typeEbEEZZNS1_14partition_implILS5_8ELb0ES3_jPlPS6_PKS6_NS0_5tupleIJS9_S6_EEENSD_IJSA_SA_EEENS0_18inequality_wrapperIZN2at6native12_GLOBAL__N_124unique_dim_cuda_templateIdEESt5tupleIJNSH_6TensorESM_SM_EERKSM_lbbbEUlllE0_EEPmJS6_EEE10hipError_tPvRmT3_T4_T5_T6_T7_T9_mT8_P12ihipStream_tbDpT10_ENKUlT_T0_E_clISt17integral_constantIbLb0EES1B_IbLb1EEEEDaS17_S18_EUlS17_E_NS1_11comp_targetILNS1_3genE5ELNS1_11target_archE942ELNS1_3gpuE9ELNS1_3repE0EEENS1_30default_config_static_selectorELNS0_4arch9wavefront6targetE0EEEvT1_,comdat
	.globl	_ZN7rocprim17ROCPRIM_400000_NS6detail17trampoline_kernelINS0_14default_configENS1_25partition_config_selectorILNS1_17partition_subalgoE8ElNS0_10empty_typeEbEEZZNS1_14partition_implILS5_8ELb0ES3_jPlPS6_PKS6_NS0_5tupleIJS9_S6_EEENSD_IJSA_SA_EEENS0_18inequality_wrapperIZN2at6native12_GLOBAL__N_124unique_dim_cuda_templateIdEESt5tupleIJNSH_6TensorESM_SM_EERKSM_lbbbEUlllE0_EEPmJS6_EEE10hipError_tPvRmT3_T4_T5_T6_T7_T9_mT8_P12ihipStream_tbDpT10_ENKUlT_T0_E_clISt17integral_constantIbLb0EES1B_IbLb1EEEEDaS17_S18_EUlS17_E_NS1_11comp_targetILNS1_3genE5ELNS1_11target_archE942ELNS1_3gpuE9ELNS1_3repE0EEENS1_30default_config_static_selectorELNS0_4arch9wavefront6targetE0EEEvT1_ ; -- Begin function _ZN7rocprim17ROCPRIM_400000_NS6detail17trampoline_kernelINS0_14default_configENS1_25partition_config_selectorILNS1_17partition_subalgoE8ElNS0_10empty_typeEbEEZZNS1_14partition_implILS5_8ELb0ES3_jPlPS6_PKS6_NS0_5tupleIJS9_S6_EEENSD_IJSA_SA_EEENS0_18inequality_wrapperIZN2at6native12_GLOBAL__N_124unique_dim_cuda_templateIdEESt5tupleIJNSH_6TensorESM_SM_EERKSM_lbbbEUlllE0_EEPmJS6_EEE10hipError_tPvRmT3_T4_T5_T6_T7_T9_mT8_P12ihipStream_tbDpT10_ENKUlT_T0_E_clISt17integral_constantIbLb0EES1B_IbLb1EEEEDaS17_S18_EUlS17_E_NS1_11comp_targetILNS1_3genE5ELNS1_11target_archE942ELNS1_3gpuE9ELNS1_3repE0EEENS1_30default_config_static_selectorELNS0_4arch9wavefront6targetE0EEEvT1_
	.p2align	8
	.type	_ZN7rocprim17ROCPRIM_400000_NS6detail17trampoline_kernelINS0_14default_configENS1_25partition_config_selectorILNS1_17partition_subalgoE8ElNS0_10empty_typeEbEEZZNS1_14partition_implILS5_8ELb0ES3_jPlPS6_PKS6_NS0_5tupleIJS9_S6_EEENSD_IJSA_SA_EEENS0_18inequality_wrapperIZN2at6native12_GLOBAL__N_124unique_dim_cuda_templateIdEESt5tupleIJNSH_6TensorESM_SM_EERKSM_lbbbEUlllE0_EEPmJS6_EEE10hipError_tPvRmT3_T4_T5_T6_T7_T9_mT8_P12ihipStream_tbDpT10_ENKUlT_T0_E_clISt17integral_constantIbLb0EES1B_IbLb1EEEEDaS17_S18_EUlS17_E_NS1_11comp_targetILNS1_3genE5ELNS1_11target_archE942ELNS1_3gpuE9ELNS1_3repE0EEENS1_30default_config_static_selectorELNS0_4arch9wavefront6targetE0EEEvT1_,@function
_ZN7rocprim17ROCPRIM_400000_NS6detail17trampoline_kernelINS0_14default_configENS1_25partition_config_selectorILNS1_17partition_subalgoE8ElNS0_10empty_typeEbEEZZNS1_14partition_implILS5_8ELb0ES3_jPlPS6_PKS6_NS0_5tupleIJS9_S6_EEENSD_IJSA_SA_EEENS0_18inequality_wrapperIZN2at6native12_GLOBAL__N_124unique_dim_cuda_templateIdEESt5tupleIJNSH_6TensorESM_SM_EERKSM_lbbbEUlllE0_EEPmJS6_EEE10hipError_tPvRmT3_T4_T5_T6_T7_T9_mT8_P12ihipStream_tbDpT10_ENKUlT_T0_E_clISt17integral_constantIbLb0EES1B_IbLb1EEEEDaS17_S18_EUlS17_E_NS1_11comp_targetILNS1_3genE5ELNS1_11target_archE942ELNS1_3gpuE9ELNS1_3repE0EEENS1_30default_config_static_selectorELNS0_4arch9wavefront6targetE0EEEvT1_: ; @_ZN7rocprim17ROCPRIM_400000_NS6detail17trampoline_kernelINS0_14default_configENS1_25partition_config_selectorILNS1_17partition_subalgoE8ElNS0_10empty_typeEbEEZZNS1_14partition_implILS5_8ELb0ES3_jPlPS6_PKS6_NS0_5tupleIJS9_S6_EEENSD_IJSA_SA_EEENS0_18inequality_wrapperIZN2at6native12_GLOBAL__N_124unique_dim_cuda_templateIdEESt5tupleIJNSH_6TensorESM_SM_EERKSM_lbbbEUlllE0_EEPmJS6_EEE10hipError_tPvRmT3_T4_T5_T6_T7_T9_mT8_P12ihipStream_tbDpT10_ENKUlT_T0_E_clISt17integral_constantIbLb0EES1B_IbLb1EEEEDaS17_S18_EUlS17_E_NS1_11comp_targetILNS1_3genE5ELNS1_11target_archE942ELNS1_3gpuE9ELNS1_3repE0EEENS1_30default_config_static_selectorELNS0_4arch9wavefront6targetE0EEEvT1_
; %bb.0:
	.section	.rodata,"a",@progbits
	.p2align	6, 0x0
	.amdhsa_kernel _ZN7rocprim17ROCPRIM_400000_NS6detail17trampoline_kernelINS0_14default_configENS1_25partition_config_selectorILNS1_17partition_subalgoE8ElNS0_10empty_typeEbEEZZNS1_14partition_implILS5_8ELb0ES3_jPlPS6_PKS6_NS0_5tupleIJS9_S6_EEENSD_IJSA_SA_EEENS0_18inequality_wrapperIZN2at6native12_GLOBAL__N_124unique_dim_cuda_templateIdEESt5tupleIJNSH_6TensorESM_SM_EERKSM_lbbbEUlllE0_EEPmJS6_EEE10hipError_tPvRmT3_T4_T5_T6_T7_T9_mT8_P12ihipStream_tbDpT10_ENKUlT_T0_E_clISt17integral_constantIbLb0EES1B_IbLb1EEEEDaS17_S18_EUlS17_E_NS1_11comp_targetILNS1_3genE5ELNS1_11target_archE942ELNS1_3gpuE9ELNS1_3repE0EEENS1_30default_config_static_selectorELNS0_4arch9wavefront6targetE0EEEvT1_
		.amdhsa_group_segment_fixed_size 0
		.amdhsa_private_segment_fixed_size 0
		.amdhsa_kernarg_size 136
		.amdhsa_user_sgpr_count 15
		.amdhsa_user_sgpr_dispatch_ptr 0
		.amdhsa_user_sgpr_queue_ptr 0
		.amdhsa_user_sgpr_kernarg_segment_ptr 1
		.amdhsa_user_sgpr_dispatch_id 0
		.amdhsa_user_sgpr_private_segment_size 0
		.amdhsa_wavefront_size32 1
		.amdhsa_uses_dynamic_stack 0
		.amdhsa_enable_private_segment 0
		.amdhsa_system_sgpr_workgroup_id_x 1
		.amdhsa_system_sgpr_workgroup_id_y 0
		.amdhsa_system_sgpr_workgroup_id_z 0
		.amdhsa_system_sgpr_workgroup_info 0
		.amdhsa_system_vgpr_workitem_id 0
		.amdhsa_next_free_vgpr 1
		.amdhsa_next_free_sgpr 1
		.amdhsa_reserve_vcc 0
		.amdhsa_float_round_mode_32 0
		.amdhsa_float_round_mode_16_64 0
		.amdhsa_float_denorm_mode_32 3
		.amdhsa_float_denorm_mode_16_64 3
		.amdhsa_dx10_clamp 1
		.amdhsa_ieee_mode 1
		.amdhsa_fp16_overflow 0
		.amdhsa_workgroup_processor_mode 1
		.amdhsa_memory_ordered 1
		.amdhsa_forward_progress 0
		.amdhsa_shared_vgpr_count 0
		.amdhsa_exception_fp_ieee_invalid_op 0
		.amdhsa_exception_fp_denorm_src 0
		.amdhsa_exception_fp_ieee_div_zero 0
		.amdhsa_exception_fp_ieee_overflow 0
		.amdhsa_exception_fp_ieee_underflow 0
		.amdhsa_exception_fp_ieee_inexact 0
		.amdhsa_exception_int_div_zero 0
	.end_amdhsa_kernel
	.section	.text._ZN7rocprim17ROCPRIM_400000_NS6detail17trampoline_kernelINS0_14default_configENS1_25partition_config_selectorILNS1_17partition_subalgoE8ElNS0_10empty_typeEbEEZZNS1_14partition_implILS5_8ELb0ES3_jPlPS6_PKS6_NS0_5tupleIJS9_S6_EEENSD_IJSA_SA_EEENS0_18inequality_wrapperIZN2at6native12_GLOBAL__N_124unique_dim_cuda_templateIdEESt5tupleIJNSH_6TensorESM_SM_EERKSM_lbbbEUlllE0_EEPmJS6_EEE10hipError_tPvRmT3_T4_T5_T6_T7_T9_mT8_P12ihipStream_tbDpT10_ENKUlT_T0_E_clISt17integral_constantIbLb0EES1B_IbLb1EEEEDaS17_S18_EUlS17_E_NS1_11comp_targetILNS1_3genE5ELNS1_11target_archE942ELNS1_3gpuE9ELNS1_3repE0EEENS1_30default_config_static_selectorELNS0_4arch9wavefront6targetE0EEEvT1_,"axG",@progbits,_ZN7rocprim17ROCPRIM_400000_NS6detail17trampoline_kernelINS0_14default_configENS1_25partition_config_selectorILNS1_17partition_subalgoE8ElNS0_10empty_typeEbEEZZNS1_14partition_implILS5_8ELb0ES3_jPlPS6_PKS6_NS0_5tupleIJS9_S6_EEENSD_IJSA_SA_EEENS0_18inequality_wrapperIZN2at6native12_GLOBAL__N_124unique_dim_cuda_templateIdEESt5tupleIJNSH_6TensorESM_SM_EERKSM_lbbbEUlllE0_EEPmJS6_EEE10hipError_tPvRmT3_T4_T5_T6_T7_T9_mT8_P12ihipStream_tbDpT10_ENKUlT_T0_E_clISt17integral_constantIbLb0EES1B_IbLb1EEEEDaS17_S18_EUlS17_E_NS1_11comp_targetILNS1_3genE5ELNS1_11target_archE942ELNS1_3gpuE9ELNS1_3repE0EEENS1_30default_config_static_selectorELNS0_4arch9wavefront6targetE0EEEvT1_,comdat
.Lfunc_end832:
	.size	_ZN7rocprim17ROCPRIM_400000_NS6detail17trampoline_kernelINS0_14default_configENS1_25partition_config_selectorILNS1_17partition_subalgoE8ElNS0_10empty_typeEbEEZZNS1_14partition_implILS5_8ELb0ES3_jPlPS6_PKS6_NS0_5tupleIJS9_S6_EEENSD_IJSA_SA_EEENS0_18inequality_wrapperIZN2at6native12_GLOBAL__N_124unique_dim_cuda_templateIdEESt5tupleIJNSH_6TensorESM_SM_EERKSM_lbbbEUlllE0_EEPmJS6_EEE10hipError_tPvRmT3_T4_T5_T6_T7_T9_mT8_P12ihipStream_tbDpT10_ENKUlT_T0_E_clISt17integral_constantIbLb0EES1B_IbLb1EEEEDaS17_S18_EUlS17_E_NS1_11comp_targetILNS1_3genE5ELNS1_11target_archE942ELNS1_3gpuE9ELNS1_3repE0EEENS1_30default_config_static_selectorELNS0_4arch9wavefront6targetE0EEEvT1_, .Lfunc_end832-_ZN7rocprim17ROCPRIM_400000_NS6detail17trampoline_kernelINS0_14default_configENS1_25partition_config_selectorILNS1_17partition_subalgoE8ElNS0_10empty_typeEbEEZZNS1_14partition_implILS5_8ELb0ES3_jPlPS6_PKS6_NS0_5tupleIJS9_S6_EEENSD_IJSA_SA_EEENS0_18inequality_wrapperIZN2at6native12_GLOBAL__N_124unique_dim_cuda_templateIdEESt5tupleIJNSH_6TensorESM_SM_EERKSM_lbbbEUlllE0_EEPmJS6_EEE10hipError_tPvRmT3_T4_T5_T6_T7_T9_mT8_P12ihipStream_tbDpT10_ENKUlT_T0_E_clISt17integral_constantIbLb0EES1B_IbLb1EEEEDaS17_S18_EUlS17_E_NS1_11comp_targetILNS1_3genE5ELNS1_11target_archE942ELNS1_3gpuE9ELNS1_3repE0EEENS1_30default_config_static_selectorELNS0_4arch9wavefront6targetE0EEEvT1_
                                        ; -- End function
	.section	.AMDGPU.csdata,"",@progbits
; Kernel info:
; codeLenInByte = 0
; NumSgprs: 0
; NumVgprs: 0
; ScratchSize: 0
; MemoryBound: 0
; FloatMode: 240
; IeeeMode: 1
; LDSByteSize: 0 bytes/workgroup (compile time only)
; SGPRBlocks: 0
; VGPRBlocks: 0
; NumSGPRsForWavesPerEU: 1
; NumVGPRsForWavesPerEU: 1
; Occupancy: 16
; WaveLimiterHint : 0
; COMPUTE_PGM_RSRC2:SCRATCH_EN: 0
; COMPUTE_PGM_RSRC2:USER_SGPR: 15
; COMPUTE_PGM_RSRC2:TRAP_HANDLER: 0
; COMPUTE_PGM_RSRC2:TGID_X_EN: 1
; COMPUTE_PGM_RSRC2:TGID_Y_EN: 0
; COMPUTE_PGM_RSRC2:TGID_Z_EN: 0
; COMPUTE_PGM_RSRC2:TIDIG_COMP_CNT: 0
	.section	.text._ZN7rocprim17ROCPRIM_400000_NS6detail17trampoline_kernelINS0_14default_configENS1_25partition_config_selectorILNS1_17partition_subalgoE8ElNS0_10empty_typeEbEEZZNS1_14partition_implILS5_8ELb0ES3_jPlPS6_PKS6_NS0_5tupleIJS9_S6_EEENSD_IJSA_SA_EEENS0_18inequality_wrapperIZN2at6native12_GLOBAL__N_124unique_dim_cuda_templateIdEESt5tupleIJNSH_6TensorESM_SM_EERKSM_lbbbEUlllE0_EEPmJS6_EEE10hipError_tPvRmT3_T4_T5_T6_T7_T9_mT8_P12ihipStream_tbDpT10_ENKUlT_T0_E_clISt17integral_constantIbLb0EES1B_IbLb1EEEEDaS17_S18_EUlS17_E_NS1_11comp_targetILNS1_3genE4ELNS1_11target_archE910ELNS1_3gpuE8ELNS1_3repE0EEENS1_30default_config_static_selectorELNS0_4arch9wavefront6targetE0EEEvT1_,"axG",@progbits,_ZN7rocprim17ROCPRIM_400000_NS6detail17trampoline_kernelINS0_14default_configENS1_25partition_config_selectorILNS1_17partition_subalgoE8ElNS0_10empty_typeEbEEZZNS1_14partition_implILS5_8ELb0ES3_jPlPS6_PKS6_NS0_5tupleIJS9_S6_EEENSD_IJSA_SA_EEENS0_18inequality_wrapperIZN2at6native12_GLOBAL__N_124unique_dim_cuda_templateIdEESt5tupleIJNSH_6TensorESM_SM_EERKSM_lbbbEUlllE0_EEPmJS6_EEE10hipError_tPvRmT3_T4_T5_T6_T7_T9_mT8_P12ihipStream_tbDpT10_ENKUlT_T0_E_clISt17integral_constantIbLb0EES1B_IbLb1EEEEDaS17_S18_EUlS17_E_NS1_11comp_targetILNS1_3genE4ELNS1_11target_archE910ELNS1_3gpuE8ELNS1_3repE0EEENS1_30default_config_static_selectorELNS0_4arch9wavefront6targetE0EEEvT1_,comdat
	.globl	_ZN7rocprim17ROCPRIM_400000_NS6detail17trampoline_kernelINS0_14default_configENS1_25partition_config_selectorILNS1_17partition_subalgoE8ElNS0_10empty_typeEbEEZZNS1_14partition_implILS5_8ELb0ES3_jPlPS6_PKS6_NS0_5tupleIJS9_S6_EEENSD_IJSA_SA_EEENS0_18inequality_wrapperIZN2at6native12_GLOBAL__N_124unique_dim_cuda_templateIdEESt5tupleIJNSH_6TensorESM_SM_EERKSM_lbbbEUlllE0_EEPmJS6_EEE10hipError_tPvRmT3_T4_T5_T6_T7_T9_mT8_P12ihipStream_tbDpT10_ENKUlT_T0_E_clISt17integral_constantIbLb0EES1B_IbLb1EEEEDaS17_S18_EUlS17_E_NS1_11comp_targetILNS1_3genE4ELNS1_11target_archE910ELNS1_3gpuE8ELNS1_3repE0EEENS1_30default_config_static_selectorELNS0_4arch9wavefront6targetE0EEEvT1_ ; -- Begin function _ZN7rocprim17ROCPRIM_400000_NS6detail17trampoline_kernelINS0_14default_configENS1_25partition_config_selectorILNS1_17partition_subalgoE8ElNS0_10empty_typeEbEEZZNS1_14partition_implILS5_8ELb0ES3_jPlPS6_PKS6_NS0_5tupleIJS9_S6_EEENSD_IJSA_SA_EEENS0_18inequality_wrapperIZN2at6native12_GLOBAL__N_124unique_dim_cuda_templateIdEESt5tupleIJNSH_6TensorESM_SM_EERKSM_lbbbEUlllE0_EEPmJS6_EEE10hipError_tPvRmT3_T4_T5_T6_T7_T9_mT8_P12ihipStream_tbDpT10_ENKUlT_T0_E_clISt17integral_constantIbLb0EES1B_IbLb1EEEEDaS17_S18_EUlS17_E_NS1_11comp_targetILNS1_3genE4ELNS1_11target_archE910ELNS1_3gpuE8ELNS1_3repE0EEENS1_30default_config_static_selectorELNS0_4arch9wavefront6targetE0EEEvT1_
	.p2align	8
	.type	_ZN7rocprim17ROCPRIM_400000_NS6detail17trampoline_kernelINS0_14default_configENS1_25partition_config_selectorILNS1_17partition_subalgoE8ElNS0_10empty_typeEbEEZZNS1_14partition_implILS5_8ELb0ES3_jPlPS6_PKS6_NS0_5tupleIJS9_S6_EEENSD_IJSA_SA_EEENS0_18inequality_wrapperIZN2at6native12_GLOBAL__N_124unique_dim_cuda_templateIdEESt5tupleIJNSH_6TensorESM_SM_EERKSM_lbbbEUlllE0_EEPmJS6_EEE10hipError_tPvRmT3_T4_T5_T6_T7_T9_mT8_P12ihipStream_tbDpT10_ENKUlT_T0_E_clISt17integral_constantIbLb0EES1B_IbLb1EEEEDaS17_S18_EUlS17_E_NS1_11comp_targetILNS1_3genE4ELNS1_11target_archE910ELNS1_3gpuE8ELNS1_3repE0EEENS1_30default_config_static_selectorELNS0_4arch9wavefront6targetE0EEEvT1_,@function
_ZN7rocprim17ROCPRIM_400000_NS6detail17trampoline_kernelINS0_14default_configENS1_25partition_config_selectorILNS1_17partition_subalgoE8ElNS0_10empty_typeEbEEZZNS1_14partition_implILS5_8ELb0ES3_jPlPS6_PKS6_NS0_5tupleIJS9_S6_EEENSD_IJSA_SA_EEENS0_18inequality_wrapperIZN2at6native12_GLOBAL__N_124unique_dim_cuda_templateIdEESt5tupleIJNSH_6TensorESM_SM_EERKSM_lbbbEUlllE0_EEPmJS6_EEE10hipError_tPvRmT3_T4_T5_T6_T7_T9_mT8_P12ihipStream_tbDpT10_ENKUlT_T0_E_clISt17integral_constantIbLb0EES1B_IbLb1EEEEDaS17_S18_EUlS17_E_NS1_11comp_targetILNS1_3genE4ELNS1_11target_archE910ELNS1_3gpuE8ELNS1_3repE0EEENS1_30default_config_static_selectorELNS0_4arch9wavefront6targetE0EEEvT1_: ; @_ZN7rocprim17ROCPRIM_400000_NS6detail17trampoline_kernelINS0_14default_configENS1_25partition_config_selectorILNS1_17partition_subalgoE8ElNS0_10empty_typeEbEEZZNS1_14partition_implILS5_8ELb0ES3_jPlPS6_PKS6_NS0_5tupleIJS9_S6_EEENSD_IJSA_SA_EEENS0_18inequality_wrapperIZN2at6native12_GLOBAL__N_124unique_dim_cuda_templateIdEESt5tupleIJNSH_6TensorESM_SM_EERKSM_lbbbEUlllE0_EEPmJS6_EEE10hipError_tPvRmT3_T4_T5_T6_T7_T9_mT8_P12ihipStream_tbDpT10_ENKUlT_T0_E_clISt17integral_constantIbLb0EES1B_IbLb1EEEEDaS17_S18_EUlS17_E_NS1_11comp_targetILNS1_3genE4ELNS1_11target_archE910ELNS1_3gpuE8ELNS1_3repE0EEENS1_30default_config_static_selectorELNS0_4arch9wavefront6targetE0EEEvT1_
; %bb.0:
	.section	.rodata,"a",@progbits
	.p2align	6, 0x0
	.amdhsa_kernel _ZN7rocprim17ROCPRIM_400000_NS6detail17trampoline_kernelINS0_14default_configENS1_25partition_config_selectorILNS1_17partition_subalgoE8ElNS0_10empty_typeEbEEZZNS1_14partition_implILS5_8ELb0ES3_jPlPS6_PKS6_NS0_5tupleIJS9_S6_EEENSD_IJSA_SA_EEENS0_18inequality_wrapperIZN2at6native12_GLOBAL__N_124unique_dim_cuda_templateIdEESt5tupleIJNSH_6TensorESM_SM_EERKSM_lbbbEUlllE0_EEPmJS6_EEE10hipError_tPvRmT3_T4_T5_T6_T7_T9_mT8_P12ihipStream_tbDpT10_ENKUlT_T0_E_clISt17integral_constantIbLb0EES1B_IbLb1EEEEDaS17_S18_EUlS17_E_NS1_11comp_targetILNS1_3genE4ELNS1_11target_archE910ELNS1_3gpuE8ELNS1_3repE0EEENS1_30default_config_static_selectorELNS0_4arch9wavefront6targetE0EEEvT1_
		.amdhsa_group_segment_fixed_size 0
		.amdhsa_private_segment_fixed_size 0
		.amdhsa_kernarg_size 136
		.amdhsa_user_sgpr_count 15
		.amdhsa_user_sgpr_dispatch_ptr 0
		.amdhsa_user_sgpr_queue_ptr 0
		.amdhsa_user_sgpr_kernarg_segment_ptr 1
		.amdhsa_user_sgpr_dispatch_id 0
		.amdhsa_user_sgpr_private_segment_size 0
		.amdhsa_wavefront_size32 1
		.amdhsa_uses_dynamic_stack 0
		.amdhsa_enable_private_segment 0
		.amdhsa_system_sgpr_workgroup_id_x 1
		.amdhsa_system_sgpr_workgroup_id_y 0
		.amdhsa_system_sgpr_workgroup_id_z 0
		.amdhsa_system_sgpr_workgroup_info 0
		.amdhsa_system_vgpr_workitem_id 0
		.amdhsa_next_free_vgpr 1
		.amdhsa_next_free_sgpr 1
		.amdhsa_reserve_vcc 0
		.amdhsa_float_round_mode_32 0
		.amdhsa_float_round_mode_16_64 0
		.amdhsa_float_denorm_mode_32 3
		.amdhsa_float_denorm_mode_16_64 3
		.amdhsa_dx10_clamp 1
		.amdhsa_ieee_mode 1
		.amdhsa_fp16_overflow 0
		.amdhsa_workgroup_processor_mode 1
		.amdhsa_memory_ordered 1
		.amdhsa_forward_progress 0
		.amdhsa_shared_vgpr_count 0
		.amdhsa_exception_fp_ieee_invalid_op 0
		.amdhsa_exception_fp_denorm_src 0
		.amdhsa_exception_fp_ieee_div_zero 0
		.amdhsa_exception_fp_ieee_overflow 0
		.amdhsa_exception_fp_ieee_underflow 0
		.amdhsa_exception_fp_ieee_inexact 0
		.amdhsa_exception_int_div_zero 0
	.end_amdhsa_kernel
	.section	.text._ZN7rocprim17ROCPRIM_400000_NS6detail17trampoline_kernelINS0_14default_configENS1_25partition_config_selectorILNS1_17partition_subalgoE8ElNS0_10empty_typeEbEEZZNS1_14partition_implILS5_8ELb0ES3_jPlPS6_PKS6_NS0_5tupleIJS9_S6_EEENSD_IJSA_SA_EEENS0_18inequality_wrapperIZN2at6native12_GLOBAL__N_124unique_dim_cuda_templateIdEESt5tupleIJNSH_6TensorESM_SM_EERKSM_lbbbEUlllE0_EEPmJS6_EEE10hipError_tPvRmT3_T4_T5_T6_T7_T9_mT8_P12ihipStream_tbDpT10_ENKUlT_T0_E_clISt17integral_constantIbLb0EES1B_IbLb1EEEEDaS17_S18_EUlS17_E_NS1_11comp_targetILNS1_3genE4ELNS1_11target_archE910ELNS1_3gpuE8ELNS1_3repE0EEENS1_30default_config_static_selectorELNS0_4arch9wavefront6targetE0EEEvT1_,"axG",@progbits,_ZN7rocprim17ROCPRIM_400000_NS6detail17trampoline_kernelINS0_14default_configENS1_25partition_config_selectorILNS1_17partition_subalgoE8ElNS0_10empty_typeEbEEZZNS1_14partition_implILS5_8ELb0ES3_jPlPS6_PKS6_NS0_5tupleIJS9_S6_EEENSD_IJSA_SA_EEENS0_18inequality_wrapperIZN2at6native12_GLOBAL__N_124unique_dim_cuda_templateIdEESt5tupleIJNSH_6TensorESM_SM_EERKSM_lbbbEUlllE0_EEPmJS6_EEE10hipError_tPvRmT3_T4_T5_T6_T7_T9_mT8_P12ihipStream_tbDpT10_ENKUlT_T0_E_clISt17integral_constantIbLb0EES1B_IbLb1EEEEDaS17_S18_EUlS17_E_NS1_11comp_targetILNS1_3genE4ELNS1_11target_archE910ELNS1_3gpuE8ELNS1_3repE0EEENS1_30default_config_static_selectorELNS0_4arch9wavefront6targetE0EEEvT1_,comdat
.Lfunc_end833:
	.size	_ZN7rocprim17ROCPRIM_400000_NS6detail17trampoline_kernelINS0_14default_configENS1_25partition_config_selectorILNS1_17partition_subalgoE8ElNS0_10empty_typeEbEEZZNS1_14partition_implILS5_8ELb0ES3_jPlPS6_PKS6_NS0_5tupleIJS9_S6_EEENSD_IJSA_SA_EEENS0_18inequality_wrapperIZN2at6native12_GLOBAL__N_124unique_dim_cuda_templateIdEESt5tupleIJNSH_6TensorESM_SM_EERKSM_lbbbEUlllE0_EEPmJS6_EEE10hipError_tPvRmT3_T4_T5_T6_T7_T9_mT8_P12ihipStream_tbDpT10_ENKUlT_T0_E_clISt17integral_constantIbLb0EES1B_IbLb1EEEEDaS17_S18_EUlS17_E_NS1_11comp_targetILNS1_3genE4ELNS1_11target_archE910ELNS1_3gpuE8ELNS1_3repE0EEENS1_30default_config_static_selectorELNS0_4arch9wavefront6targetE0EEEvT1_, .Lfunc_end833-_ZN7rocprim17ROCPRIM_400000_NS6detail17trampoline_kernelINS0_14default_configENS1_25partition_config_selectorILNS1_17partition_subalgoE8ElNS0_10empty_typeEbEEZZNS1_14partition_implILS5_8ELb0ES3_jPlPS6_PKS6_NS0_5tupleIJS9_S6_EEENSD_IJSA_SA_EEENS0_18inequality_wrapperIZN2at6native12_GLOBAL__N_124unique_dim_cuda_templateIdEESt5tupleIJNSH_6TensorESM_SM_EERKSM_lbbbEUlllE0_EEPmJS6_EEE10hipError_tPvRmT3_T4_T5_T6_T7_T9_mT8_P12ihipStream_tbDpT10_ENKUlT_T0_E_clISt17integral_constantIbLb0EES1B_IbLb1EEEEDaS17_S18_EUlS17_E_NS1_11comp_targetILNS1_3genE4ELNS1_11target_archE910ELNS1_3gpuE8ELNS1_3repE0EEENS1_30default_config_static_selectorELNS0_4arch9wavefront6targetE0EEEvT1_
                                        ; -- End function
	.section	.AMDGPU.csdata,"",@progbits
; Kernel info:
; codeLenInByte = 0
; NumSgprs: 0
; NumVgprs: 0
; ScratchSize: 0
; MemoryBound: 0
; FloatMode: 240
; IeeeMode: 1
; LDSByteSize: 0 bytes/workgroup (compile time only)
; SGPRBlocks: 0
; VGPRBlocks: 0
; NumSGPRsForWavesPerEU: 1
; NumVGPRsForWavesPerEU: 1
; Occupancy: 16
; WaveLimiterHint : 0
; COMPUTE_PGM_RSRC2:SCRATCH_EN: 0
; COMPUTE_PGM_RSRC2:USER_SGPR: 15
; COMPUTE_PGM_RSRC2:TRAP_HANDLER: 0
; COMPUTE_PGM_RSRC2:TGID_X_EN: 1
; COMPUTE_PGM_RSRC2:TGID_Y_EN: 0
; COMPUTE_PGM_RSRC2:TGID_Z_EN: 0
; COMPUTE_PGM_RSRC2:TIDIG_COMP_CNT: 0
	.section	.text._ZN7rocprim17ROCPRIM_400000_NS6detail17trampoline_kernelINS0_14default_configENS1_25partition_config_selectorILNS1_17partition_subalgoE8ElNS0_10empty_typeEbEEZZNS1_14partition_implILS5_8ELb0ES3_jPlPS6_PKS6_NS0_5tupleIJS9_S6_EEENSD_IJSA_SA_EEENS0_18inequality_wrapperIZN2at6native12_GLOBAL__N_124unique_dim_cuda_templateIdEESt5tupleIJNSH_6TensorESM_SM_EERKSM_lbbbEUlllE0_EEPmJS6_EEE10hipError_tPvRmT3_T4_T5_T6_T7_T9_mT8_P12ihipStream_tbDpT10_ENKUlT_T0_E_clISt17integral_constantIbLb0EES1B_IbLb1EEEEDaS17_S18_EUlS17_E_NS1_11comp_targetILNS1_3genE3ELNS1_11target_archE908ELNS1_3gpuE7ELNS1_3repE0EEENS1_30default_config_static_selectorELNS0_4arch9wavefront6targetE0EEEvT1_,"axG",@progbits,_ZN7rocprim17ROCPRIM_400000_NS6detail17trampoline_kernelINS0_14default_configENS1_25partition_config_selectorILNS1_17partition_subalgoE8ElNS0_10empty_typeEbEEZZNS1_14partition_implILS5_8ELb0ES3_jPlPS6_PKS6_NS0_5tupleIJS9_S6_EEENSD_IJSA_SA_EEENS0_18inequality_wrapperIZN2at6native12_GLOBAL__N_124unique_dim_cuda_templateIdEESt5tupleIJNSH_6TensorESM_SM_EERKSM_lbbbEUlllE0_EEPmJS6_EEE10hipError_tPvRmT3_T4_T5_T6_T7_T9_mT8_P12ihipStream_tbDpT10_ENKUlT_T0_E_clISt17integral_constantIbLb0EES1B_IbLb1EEEEDaS17_S18_EUlS17_E_NS1_11comp_targetILNS1_3genE3ELNS1_11target_archE908ELNS1_3gpuE7ELNS1_3repE0EEENS1_30default_config_static_selectorELNS0_4arch9wavefront6targetE0EEEvT1_,comdat
	.globl	_ZN7rocprim17ROCPRIM_400000_NS6detail17trampoline_kernelINS0_14default_configENS1_25partition_config_selectorILNS1_17partition_subalgoE8ElNS0_10empty_typeEbEEZZNS1_14partition_implILS5_8ELb0ES3_jPlPS6_PKS6_NS0_5tupleIJS9_S6_EEENSD_IJSA_SA_EEENS0_18inequality_wrapperIZN2at6native12_GLOBAL__N_124unique_dim_cuda_templateIdEESt5tupleIJNSH_6TensorESM_SM_EERKSM_lbbbEUlllE0_EEPmJS6_EEE10hipError_tPvRmT3_T4_T5_T6_T7_T9_mT8_P12ihipStream_tbDpT10_ENKUlT_T0_E_clISt17integral_constantIbLb0EES1B_IbLb1EEEEDaS17_S18_EUlS17_E_NS1_11comp_targetILNS1_3genE3ELNS1_11target_archE908ELNS1_3gpuE7ELNS1_3repE0EEENS1_30default_config_static_selectorELNS0_4arch9wavefront6targetE0EEEvT1_ ; -- Begin function _ZN7rocprim17ROCPRIM_400000_NS6detail17trampoline_kernelINS0_14default_configENS1_25partition_config_selectorILNS1_17partition_subalgoE8ElNS0_10empty_typeEbEEZZNS1_14partition_implILS5_8ELb0ES3_jPlPS6_PKS6_NS0_5tupleIJS9_S6_EEENSD_IJSA_SA_EEENS0_18inequality_wrapperIZN2at6native12_GLOBAL__N_124unique_dim_cuda_templateIdEESt5tupleIJNSH_6TensorESM_SM_EERKSM_lbbbEUlllE0_EEPmJS6_EEE10hipError_tPvRmT3_T4_T5_T6_T7_T9_mT8_P12ihipStream_tbDpT10_ENKUlT_T0_E_clISt17integral_constantIbLb0EES1B_IbLb1EEEEDaS17_S18_EUlS17_E_NS1_11comp_targetILNS1_3genE3ELNS1_11target_archE908ELNS1_3gpuE7ELNS1_3repE0EEENS1_30default_config_static_selectorELNS0_4arch9wavefront6targetE0EEEvT1_
	.p2align	8
	.type	_ZN7rocprim17ROCPRIM_400000_NS6detail17trampoline_kernelINS0_14default_configENS1_25partition_config_selectorILNS1_17partition_subalgoE8ElNS0_10empty_typeEbEEZZNS1_14partition_implILS5_8ELb0ES3_jPlPS6_PKS6_NS0_5tupleIJS9_S6_EEENSD_IJSA_SA_EEENS0_18inequality_wrapperIZN2at6native12_GLOBAL__N_124unique_dim_cuda_templateIdEESt5tupleIJNSH_6TensorESM_SM_EERKSM_lbbbEUlllE0_EEPmJS6_EEE10hipError_tPvRmT3_T4_T5_T6_T7_T9_mT8_P12ihipStream_tbDpT10_ENKUlT_T0_E_clISt17integral_constantIbLb0EES1B_IbLb1EEEEDaS17_S18_EUlS17_E_NS1_11comp_targetILNS1_3genE3ELNS1_11target_archE908ELNS1_3gpuE7ELNS1_3repE0EEENS1_30default_config_static_selectorELNS0_4arch9wavefront6targetE0EEEvT1_,@function
_ZN7rocprim17ROCPRIM_400000_NS6detail17trampoline_kernelINS0_14default_configENS1_25partition_config_selectorILNS1_17partition_subalgoE8ElNS0_10empty_typeEbEEZZNS1_14partition_implILS5_8ELb0ES3_jPlPS6_PKS6_NS0_5tupleIJS9_S6_EEENSD_IJSA_SA_EEENS0_18inequality_wrapperIZN2at6native12_GLOBAL__N_124unique_dim_cuda_templateIdEESt5tupleIJNSH_6TensorESM_SM_EERKSM_lbbbEUlllE0_EEPmJS6_EEE10hipError_tPvRmT3_T4_T5_T6_T7_T9_mT8_P12ihipStream_tbDpT10_ENKUlT_T0_E_clISt17integral_constantIbLb0EES1B_IbLb1EEEEDaS17_S18_EUlS17_E_NS1_11comp_targetILNS1_3genE3ELNS1_11target_archE908ELNS1_3gpuE7ELNS1_3repE0EEENS1_30default_config_static_selectorELNS0_4arch9wavefront6targetE0EEEvT1_: ; @_ZN7rocprim17ROCPRIM_400000_NS6detail17trampoline_kernelINS0_14default_configENS1_25partition_config_selectorILNS1_17partition_subalgoE8ElNS0_10empty_typeEbEEZZNS1_14partition_implILS5_8ELb0ES3_jPlPS6_PKS6_NS0_5tupleIJS9_S6_EEENSD_IJSA_SA_EEENS0_18inequality_wrapperIZN2at6native12_GLOBAL__N_124unique_dim_cuda_templateIdEESt5tupleIJNSH_6TensorESM_SM_EERKSM_lbbbEUlllE0_EEPmJS6_EEE10hipError_tPvRmT3_T4_T5_T6_T7_T9_mT8_P12ihipStream_tbDpT10_ENKUlT_T0_E_clISt17integral_constantIbLb0EES1B_IbLb1EEEEDaS17_S18_EUlS17_E_NS1_11comp_targetILNS1_3genE3ELNS1_11target_archE908ELNS1_3gpuE7ELNS1_3repE0EEENS1_30default_config_static_selectorELNS0_4arch9wavefront6targetE0EEEvT1_
; %bb.0:
	.section	.rodata,"a",@progbits
	.p2align	6, 0x0
	.amdhsa_kernel _ZN7rocprim17ROCPRIM_400000_NS6detail17trampoline_kernelINS0_14default_configENS1_25partition_config_selectorILNS1_17partition_subalgoE8ElNS0_10empty_typeEbEEZZNS1_14partition_implILS5_8ELb0ES3_jPlPS6_PKS6_NS0_5tupleIJS9_S6_EEENSD_IJSA_SA_EEENS0_18inequality_wrapperIZN2at6native12_GLOBAL__N_124unique_dim_cuda_templateIdEESt5tupleIJNSH_6TensorESM_SM_EERKSM_lbbbEUlllE0_EEPmJS6_EEE10hipError_tPvRmT3_T4_T5_T6_T7_T9_mT8_P12ihipStream_tbDpT10_ENKUlT_T0_E_clISt17integral_constantIbLb0EES1B_IbLb1EEEEDaS17_S18_EUlS17_E_NS1_11comp_targetILNS1_3genE3ELNS1_11target_archE908ELNS1_3gpuE7ELNS1_3repE0EEENS1_30default_config_static_selectorELNS0_4arch9wavefront6targetE0EEEvT1_
		.amdhsa_group_segment_fixed_size 0
		.amdhsa_private_segment_fixed_size 0
		.amdhsa_kernarg_size 136
		.amdhsa_user_sgpr_count 15
		.amdhsa_user_sgpr_dispatch_ptr 0
		.amdhsa_user_sgpr_queue_ptr 0
		.amdhsa_user_sgpr_kernarg_segment_ptr 1
		.amdhsa_user_sgpr_dispatch_id 0
		.amdhsa_user_sgpr_private_segment_size 0
		.amdhsa_wavefront_size32 1
		.amdhsa_uses_dynamic_stack 0
		.amdhsa_enable_private_segment 0
		.amdhsa_system_sgpr_workgroup_id_x 1
		.amdhsa_system_sgpr_workgroup_id_y 0
		.amdhsa_system_sgpr_workgroup_id_z 0
		.amdhsa_system_sgpr_workgroup_info 0
		.amdhsa_system_vgpr_workitem_id 0
		.amdhsa_next_free_vgpr 1
		.amdhsa_next_free_sgpr 1
		.amdhsa_reserve_vcc 0
		.amdhsa_float_round_mode_32 0
		.amdhsa_float_round_mode_16_64 0
		.amdhsa_float_denorm_mode_32 3
		.amdhsa_float_denorm_mode_16_64 3
		.amdhsa_dx10_clamp 1
		.amdhsa_ieee_mode 1
		.amdhsa_fp16_overflow 0
		.amdhsa_workgroup_processor_mode 1
		.amdhsa_memory_ordered 1
		.amdhsa_forward_progress 0
		.amdhsa_shared_vgpr_count 0
		.amdhsa_exception_fp_ieee_invalid_op 0
		.amdhsa_exception_fp_denorm_src 0
		.amdhsa_exception_fp_ieee_div_zero 0
		.amdhsa_exception_fp_ieee_overflow 0
		.amdhsa_exception_fp_ieee_underflow 0
		.amdhsa_exception_fp_ieee_inexact 0
		.amdhsa_exception_int_div_zero 0
	.end_amdhsa_kernel
	.section	.text._ZN7rocprim17ROCPRIM_400000_NS6detail17trampoline_kernelINS0_14default_configENS1_25partition_config_selectorILNS1_17partition_subalgoE8ElNS0_10empty_typeEbEEZZNS1_14partition_implILS5_8ELb0ES3_jPlPS6_PKS6_NS0_5tupleIJS9_S6_EEENSD_IJSA_SA_EEENS0_18inequality_wrapperIZN2at6native12_GLOBAL__N_124unique_dim_cuda_templateIdEESt5tupleIJNSH_6TensorESM_SM_EERKSM_lbbbEUlllE0_EEPmJS6_EEE10hipError_tPvRmT3_T4_T5_T6_T7_T9_mT8_P12ihipStream_tbDpT10_ENKUlT_T0_E_clISt17integral_constantIbLb0EES1B_IbLb1EEEEDaS17_S18_EUlS17_E_NS1_11comp_targetILNS1_3genE3ELNS1_11target_archE908ELNS1_3gpuE7ELNS1_3repE0EEENS1_30default_config_static_selectorELNS0_4arch9wavefront6targetE0EEEvT1_,"axG",@progbits,_ZN7rocprim17ROCPRIM_400000_NS6detail17trampoline_kernelINS0_14default_configENS1_25partition_config_selectorILNS1_17partition_subalgoE8ElNS0_10empty_typeEbEEZZNS1_14partition_implILS5_8ELb0ES3_jPlPS6_PKS6_NS0_5tupleIJS9_S6_EEENSD_IJSA_SA_EEENS0_18inequality_wrapperIZN2at6native12_GLOBAL__N_124unique_dim_cuda_templateIdEESt5tupleIJNSH_6TensorESM_SM_EERKSM_lbbbEUlllE0_EEPmJS6_EEE10hipError_tPvRmT3_T4_T5_T6_T7_T9_mT8_P12ihipStream_tbDpT10_ENKUlT_T0_E_clISt17integral_constantIbLb0EES1B_IbLb1EEEEDaS17_S18_EUlS17_E_NS1_11comp_targetILNS1_3genE3ELNS1_11target_archE908ELNS1_3gpuE7ELNS1_3repE0EEENS1_30default_config_static_selectorELNS0_4arch9wavefront6targetE0EEEvT1_,comdat
.Lfunc_end834:
	.size	_ZN7rocprim17ROCPRIM_400000_NS6detail17trampoline_kernelINS0_14default_configENS1_25partition_config_selectorILNS1_17partition_subalgoE8ElNS0_10empty_typeEbEEZZNS1_14partition_implILS5_8ELb0ES3_jPlPS6_PKS6_NS0_5tupleIJS9_S6_EEENSD_IJSA_SA_EEENS0_18inequality_wrapperIZN2at6native12_GLOBAL__N_124unique_dim_cuda_templateIdEESt5tupleIJNSH_6TensorESM_SM_EERKSM_lbbbEUlllE0_EEPmJS6_EEE10hipError_tPvRmT3_T4_T5_T6_T7_T9_mT8_P12ihipStream_tbDpT10_ENKUlT_T0_E_clISt17integral_constantIbLb0EES1B_IbLb1EEEEDaS17_S18_EUlS17_E_NS1_11comp_targetILNS1_3genE3ELNS1_11target_archE908ELNS1_3gpuE7ELNS1_3repE0EEENS1_30default_config_static_selectorELNS0_4arch9wavefront6targetE0EEEvT1_, .Lfunc_end834-_ZN7rocprim17ROCPRIM_400000_NS6detail17trampoline_kernelINS0_14default_configENS1_25partition_config_selectorILNS1_17partition_subalgoE8ElNS0_10empty_typeEbEEZZNS1_14partition_implILS5_8ELb0ES3_jPlPS6_PKS6_NS0_5tupleIJS9_S6_EEENSD_IJSA_SA_EEENS0_18inequality_wrapperIZN2at6native12_GLOBAL__N_124unique_dim_cuda_templateIdEESt5tupleIJNSH_6TensorESM_SM_EERKSM_lbbbEUlllE0_EEPmJS6_EEE10hipError_tPvRmT3_T4_T5_T6_T7_T9_mT8_P12ihipStream_tbDpT10_ENKUlT_T0_E_clISt17integral_constantIbLb0EES1B_IbLb1EEEEDaS17_S18_EUlS17_E_NS1_11comp_targetILNS1_3genE3ELNS1_11target_archE908ELNS1_3gpuE7ELNS1_3repE0EEENS1_30default_config_static_selectorELNS0_4arch9wavefront6targetE0EEEvT1_
                                        ; -- End function
	.section	.AMDGPU.csdata,"",@progbits
; Kernel info:
; codeLenInByte = 0
; NumSgprs: 0
; NumVgprs: 0
; ScratchSize: 0
; MemoryBound: 0
; FloatMode: 240
; IeeeMode: 1
; LDSByteSize: 0 bytes/workgroup (compile time only)
; SGPRBlocks: 0
; VGPRBlocks: 0
; NumSGPRsForWavesPerEU: 1
; NumVGPRsForWavesPerEU: 1
; Occupancy: 16
; WaveLimiterHint : 0
; COMPUTE_PGM_RSRC2:SCRATCH_EN: 0
; COMPUTE_PGM_RSRC2:USER_SGPR: 15
; COMPUTE_PGM_RSRC2:TRAP_HANDLER: 0
; COMPUTE_PGM_RSRC2:TGID_X_EN: 1
; COMPUTE_PGM_RSRC2:TGID_Y_EN: 0
; COMPUTE_PGM_RSRC2:TGID_Z_EN: 0
; COMPUTE_PGM_RSRC2:TIDIG_COMP_CNT: 0
	.section	.text._ZN7rocprim17ROCPRIM_400000_NS6detail17trampoline_kernelINS0_14default_configENS1_25partition_config_selectorILNS1_17partition_subalgoE8ElNS0_10empty_typeEbEEZZNS1_14partition_implILS5_8ELb0ES3_jPlPS6_PKS6_NS0_5tupleIJS9_S6_EEENSD_IJSA_SA_EEENS0_18inequality_wrapperIZN2at6native12_GLOBAL__N_124unique_dim_cuda_templateIdEESt5tupleIJNSH_6TensorESM_SM_EERKSM_lbbbEUlllE0_EEPmJS6_EEE10hipError_tPvRmT3_T4_T5_T6_T7_T9_mT8_P12ihipStream_tbDpT10_ENKUlT_T0_E_clISt17integral_constantIbLb0EES1B_IbLb1EEEEDaS17_S18_EUlS17_E_NS1_11comp_targetILNS1_3genE2ELNS1_11target_archE906ELNS1_3gpuE6ELNS1_3repE0EEENS1_30default_config_static_selectorELNS0_4arch9wavefront6targetE0EEEvT1_,"axG",@progbits,_ZN7rocprim17ROCPRIM_400000_NS6detail17trampoline_kernelINS0_14default_configENS1_25partition_config_selectorILNS1_17partition_subalgoE8ElNS0_10empty_typeEbEEZZNS1_14partition_implILS5_8ELb0ES3_jPlPS6_PKS6_NS0_5tupleIJS9_S6_EEENSD_IJSA_SA_EEENS0_18inequality_wrapperIZN2at6native12_GLOBAL__N_124unique_dim_cuda_templateIdEESt5tupleIJNSH_6TensorESM_SM_EERKSM_lbbbEUlllE0_EEPmJS6_EEE10hipError_tPvRmT3_T4_T5_T6_T7_T9_mT8_P12ihipStream_tbDpT10_ENKUlT_T0_E_clISt17integral_constantIbLb0EES1B_IbLb1EEEEDaS17_S18_EUlS17_E_NS1_11comp_targetILNS1_3genE2ELNS1_11target_archE906ELNS1_3gpuE6ELNS1_3repE0EEENS1_30default_config_static_selectorELNS0_4arch9wavefront6targetE0EEEvT1_,comdat
	.globl	_ZN7rocprim17ROCPRIM_400000_NS6detail17trampoline_kernelINS0_14default_configENS1_25partition_config_selectorILNS1_17partition_subalgoE8ElNS0_10empty_typeEbEEZZNS1_14partition_implILS5_8ELb0ES3_jPlPS6_PKS6_NS0_5tupleIJS9_S6_EEENSD_IJSA_SA_EEENS0_18inequality_wrapperIZN2at6native12_GLOBAL__N_124unique_dim_cuda_templateIdEESt5tupleIJNSH_6TensorESM_SM_EERKSM_lbbbEUlllE0_EEPmJS6_EEE10hipError_tPvRmT3_T4_T5_T6_T7_T9_mT8_P12ihipStream_tbDpT10_ENKUlT_T0_E_clISt17integral_constantIbLb0EES1B_IbLb1EEEEDaS17_S18_EUlS17_E_NS1_11comp_targetILNS1_3genE2ELNS1_11target_archE906ELNS1_3gpuE6ELNS1_3repE0EEENS1_30default_config_static_selectorELNS0_4arch9wavefront6targetE0EEEvT1_ ; -- Begin function _ZN7rocprim17ROCPRIM_400000_NS6detail17trampoline_kernelINS0_14default_configENS1_25partition_config_selectorILNS1_17partition_subalgoE8ElNS0_10empty_typeEbEEZZNS1_14partition_implILS5_8ELb0ES3_jPlPS6_PKS6_NS0_5tupleIJS9_S6_EEENSD_IJSA_SA_EEENS0_18inequality_wrapperIZN2at6native12_GLOBAL__N_124unique_dim_cuda_templateIdEESt5tupleIJNSH_6TensorESM_SM_EERKSM_lbbbEUlllE0_EEPmJS6_EEE10hipError_tPvRmT3_T4_T5_T6_T7_T9_mT8_P12ihipStream_tbDpT10_ENKUlT_T0_E_clISt17integral_constantIbLb0EES1B_IbLb1EEEEDaS17_S18_EUlS17_E_NS1_11comp_targetILNS1_3genE2ELNS1_11target_archE906ELNS1_3gpuE6ELNS1_3repE0EEENS1_30default_config_static_selectorELNS0_4arch9wavefront6targetE0EEEvT1_
	.p2align	8
	.type	_ZN7rocprim17ROCPRIM_400000_NS6detail17trampoline_kernelINS0_14default_configENS1_25partition_config_selectorILNS1_17partition_subalgoE8ElNS0_10empty_typeEbEEZZNS1_14partition_implILS5_8ELb0ES3_jPlPS6_PKS6_NS0_5tupleIJS9_S6_EEENSD_IJSA_SA_EEENS0_18inequality_wrapperIZN2at6native12_GLOBAL__N_124unique_dim_cuda_templateIdEESt5tupleIJNSH_6TensorESM_SM_EERKSM_lbbbEUlllE0_EEPmJS6_EEE10hipError_tPvRmT3_T4_T5_T6_T7_T9_mT8_P12ihipStream_tbDpT10_ENKUlT_T0_E_clISt17integral_constantIbLb0EES1B_IbLb1EEEEDaS17_S18_EUlS17_E_NS1_11comp_targetILNS1_3genE2ELNS1_11target_archE906ELNS1_3gpuE6ELNS1_3repE0EEENS1_30default_config_static_selectorELNS0_4arch9wavefront6targetE0EEEvT1_,@function
_ZN7rocprim17ROCPRIM_400000_NS6detail17trampoline_kernelINS0_14default_configENS1_25partition_config_selectorILNS1_17partition_subalgoE8ElNS0_10empty_typeEbEEZZNS1_14partition_implILS5_8ELb0ES3_jPlPS6_PKS6_NS0_5tupleIJS9_S6_EEENSD_IJSA_SA_EEENS0_18inequality_wrapperIZN2at6native12_GLOBAL__N_124unique_dim_cuda_templateIdEESt5tupleIJNSH_6TensorESM_SM_EERKSM_lbbbEUlllE0_EEPmJS6_EEE10hipError_tPvRmT3_T4_T5_T6_T7_T9_mT8_P12ihipStream_tbDpT10_ENKUlT_T0_E_clISt17integral_constantIbLb0EES1B_IbLb1EEEEDaS17_S18_EUlS17_E_NS1_11comp_targetILNS1_3genE2ELNS1_11target_archE906ELNS1_3gpuE6ELNS1_3repE0EEENS1_30default_config_static_selectorELNS0_4arch9wavefront6targetE0EEEvT1_: ; @_ZN7rocprim17ROCPRIM_400000_NS6detail17trampoline_kernelINS0_14default_configENS1_25partition_config_selectorILNS1_17partition_subalgoE8ElNS0_10empty_typeEbEEZZNS1_14partition_implILS5_8ELb0ES3_jPlPS6_PKS6_NS0_5tupleIJS9_S6_EEENSD_IJSA_SA_EEENS0_18inequality_wrapperIZN2at6native12_GLOBAL__N_124unique_dim_cuda_templateIdEESt5tupleIJNSH_6TensorESM_SM_EERKSM_lbbbEUlllE0_EEPmJS6_EEE10hipError_tPvRmT3_T4_T5_T6_T7_T9_mT8_P12ihipStream_tbDpT10_ENKUlT_T0_E_clISt17integral_constantIbLb0EES1B_IbLb1EEEEDaS17_S18_EUlS17_E_NS1_11comp_targetILNS1_3genE2ELNS1_11target_archE906ELNS1_3gpuE6ELNS1_3repE0EEENS1_30default_config_static_selectorELNS0_4arch9wavefront6targetE0EEEvT1_
; %bb.0:
	.section	.rodata,"a",@progbits
	.p2align	6, 0x0
	.amdhsa_kernel _ZN7rocprim17ROCPRIM_400000_NS6detail17trampoline_kernelINS0_14default_configENS1_25partition_config_selectorILNS1_17partition_subalgoE8ElNS0_10empty_typeEbEEZZNS1_14partition_implILS5_8ELb0ES3_jPlPS6_PKS6_NS0_5tupleIJS9_S6_EEENSD_IJSA_SA_EEENS0_18inequality_wrapperIZN2at6native12_GLOBAL__N_124unique_dim_cuda_templateIdEESt5tupleIJNSH_6TensorESM_SM_EERKSM_lbbbEUlllE0_EEPmJS6_EEE10hipError_tPvRmT3_T4_T5_T6_T7_T9_mT8_P12ihipStream_tbDpT10_ENKUlT_T0_E_clISt17integral_constantIbLb0EES1B_IbLb1EEEEDaS17_S18_EUlS17_E_NS1_11comp_targetILNS1_3genE2ELNS1_11target_archE906ELNS1_3gpuE6ELNS1_3repE0EEENS1_30default_config_static_selectorELNS0_4arch9wavefront6targetE0EEEvT1_
		.amdhsa_group_segment_fixed_size 0
		.amdhsa_private_segment_fixed_size 0
		.amdhsa_kernarg_size 136
		.amdhsa_user_sgpr_count 15
		.amdhsa_user_sgpr_dispatch_ptr 0
		.amdhsa_user_sgpr_queue_ptr 0
		.amdhsa_user_sgpr_kernarg_segment_ptr 1
		.amdhsa_user_sgpr_dispatch_id 0
		.amdhsa_user_sgpr_private_segment_size 0
		.amdhsa_wavefront_size32 1
		.amdhsa_uses_dynamic_stack 0
		.amdhsa_enable_private_segment 0
		.amdhsa_system_sgpr_workgroup_id_x 1
		.amdhsa_system_sgpr_workgroup_id_y 0
		.amdhsa_system_sgpr_workgroup_id_z 0
		.amdhsa_system_sgpr_workgroup_info 0
		.amdhsa_system_vgpr_workitem_id 0
		.amdhsa_next_free_vgpr 1
		.amdhsa_next_free_sgpr 1
		.amdhsa_reserve_vcc 0
		.amdhsa_float_round_mode_32 0
		.amdhsa_float_round_mode_16_64 0
		.amdhsa_float_denorm_mode_32 3
		.amdhsa_float_denorm_mode_16_64 3
		.amdhsa_dx10_clamp 1
		.amdhsa_ieee_mode 1
		.amdhsa_fp16_overflow 0
		.amdhsa_workgroup_processor_mode 1
		.amdhsa_memory_ordered 1
		.amdhsa_forward_progress 0
		.amdhsa_shared_vgpr_count 0
		.amdhsa_exception_fp_ieee_invalid_op 0
		.amdhsa_exception_fp_denorm_src 0
		.amdhsa_exception_fp_ieee_div_zero 0
		.amdhsa_exception_fp_ieee_overflow 0
		.amdhsa_exception_fp_ieee_underflow 0
		.amdhsa_exception_fp_ieee_inexact 0
		.amdhsa_exception_int_div_zero 0
	.end_amdhsa_kernel
	.section	.text._ZN7rocprim17ROCPRIM_400000_NS6detail17trampoline_kernelINS0_14default_configENS1_25partition_config_selectorILNS1_17partition_subalgoE8ElNS0_10empty_typeEbEEZZNS1_14partition_implILS5_8ELb0ES3_jPlPS6_PKS6_NS0_5tupleIJS9_S6_EEENSD_IJSA_SA_EEENS0_18inequality_wrapperIZN2at6native12_GLOBAL__N_124unique_dim_cuda_templateIdEESt5tupleIJNSH_6TensorESM_SM_EERKSM_lbbbEUlllE0_EEPmJS6_EEE10hipError_tPvRmT3_T4_T5_T6_T7_T9_mT8_P12ihipStream_tbDpT10_ENKUlT_T0_E_clISt17integral_constantIbLb0EES1B_IbLb1EEEEDaS17_S18_EUlS17_E_NS1_11comp_targetILNS1_3genE2ELNS1_11target_archE906ELNS1_3gpuE6ELNS1_3repE0EEENS1_30default_config_static_selectorELNS0_4arch9wavefront6targetE0EEEvT1_,"axG",@progbits,_ZN7rocprim17ROCPRIM_400000_NS6detail17trampoline_kernelINS0_14default_configENS1_25partition_config_selectorILNS1_17partition_subalgoE8ElNS0_10empty_typeEbEEZZNS1_14partition_implILS5_8ELb0ES3_jPlPS6_PKS6_NS0_5tupleIJS9_S6_EEENSD_IJSA_SA_EEENS0_18inequality_wrapperIZN2at6native12_GLOBAL__N_124unique_dim_cuda_templateIdEESt5tupleIJNSH_6TensorESM_SM_EERKSM_lbbbEUlllE0_EEPmJS6_EEE10hipError_tPvRmT3_T4_T5_T6_T7_T9_mT8_P12ihipStream_tbDpT10_ENKUlT_T0_E_clISt17integral_constantIbLb0EES1B_IbLb1EEEEDaS17_S18_EUlS17_E_NS1_11comp_targetILNS1_3genE2ELNS1_11target_archE906ELNS1_3gpuE6ELNS1_3repE0EEENS1_30default_config_static_selectorELNS0_4arch9wavefront6targetE0EEEvT1_,comdat
.Lfunc_end835:
	.size	_ZN7rocprim17ROCPRIM_400000_NS6detail17trampoline_kernelINS0_14default_configENS1_25partition_config_selectorILNS1_17partition_subalgoE8ElNS0_10empty_typeEbEEZZNS1_14partition_implILS5_8ELb0ES3_jPlPS6_PKS6_NS0_5tupleIJS9_S6_EEENSD_IJSA_SA_EEENS0_18inequality_wrapperIZN2at6native12_GLOBAL__N_124unique_dim_cuda_templateIdEESt5tupleIJNSH_6TensorESM_SM_EERKSM_lbbbEUlllE0_EEPmJS6_EEE10hipError_tPvRmT3_T4_T5_T6_T7_T9_mT8_P12ihipStream_tbDpT10_ENKUlT_T0_E_clISt17integral_constantIbLb0EES1B_IbLb1EEEEDaS17_S18_EUlS17_E_NS1_11comp_targetILNS1_3genE2ELNS1_11target_archE906ELNS1_3gpuE6ELNS1_3repE0EEENS1_30default_config_static_selectorELNS0_4arch9wavefront6targetE0EEEvT1_, .Lfunc_end835-_ZN7rocprim17ROCPRIM_400000_NS6detail17trampoline_kernelINS0_14default_configENS1_25partition_config_selectorILNS1_17partition_subalgoE8ElNS0_10empty_typeEbEEZZNS1_14partition_implILS5_8ELb0ES3_jPlPS6_PKS6_NS0_5tupleIJS9_S6_EEENSD_IJSA_SA_EEENS0_18inequality_wrapperIZN2at6native12_GLOBAL__N_124unique_dim_cuda_templateIdEESt5tupleIJNSH_6TensorESM_SM_EERKSM_lbbbEUlllE0_EEPmJS6_EEE10hipError_tPvRmT3_T4_T5_T6_T7_T9_mT8_P12ihipStream_tbDpT10_ENKUlT_T0_E_clISt17integral_constantIbLb0EES1B_IbLb1EEEEDaS17_S18_EUlS17_E_NS1_11comp_targetILNS1_3genE2ELNS1_11target_archE906ELNS1_3gpuE6ELNS1_3repE0EEENS1_30default_config_static_selectorELNS0_4arch9wavefront6targetE0EEEvT1_
                                        ; -- End function
	.section	.AMDGPU.csdata,"",@progbits
; Kernel info:
; codeLenInByte = 0
; NumSgprs: 0
; NumVgprs: 0
; ScratchSize: 0
; MemoryBound: 0
; FloatMode: 240
; IeeeMode: 1
; LDSByteSize: 0 bytes/workgroup (compile time only)
; SGPRBlocks: 0
; VGPRBlocks: 0
; NumSGPRsForWavesPerEU: 1
; NumVGPRsForWavesPerEU: 1
; Occupancy: 16
; WaveLimiterHint : 0
; COMPUTE_PGM_RSRC2:SCRATCH_EN: 0
; COMPUTE_PGM_RSRC2:USER_SGPR: 15
; COMPUTE_PGM_RSRC2:TRAP_HANDLER: 0
; COMPUTE_PGM_RSRC2:TGID_X_EN: 1
; COMPUTE_PGM_RSRC2:TGID_Y_EN: 0
; COMPUTE_PGM_RSRC2:TGID_Z_EN: 0
; COMPUTE_PGM_RSRC2:TIDIG_COMP_CNT: 0
	.section	.text._ZN7rocprim17ROCPRIM_400000_NS6detail17trampoline_kernelINS0_14default_configENS1_25partition_config_selectorILNS1_17partition_subalgoE8ElNS0_10empty_typeEbEEZZNS1_14partition_implILS5_8ELb0ES3_jPlPS6_PKS6_NS0_5tupleIJS9_S6_EEENSD_IJSA_SA_EEENS0_18inequality_wrapperIZN2at6native12_GLOBAL__N_124unique_dim_cuda_templateIdEESt5tupleIJNSH_6TensorESM_SM_EERKSM_lbbbEUlllE0_EEPmJS6_EEE10hipError_tPvRmT3_T4_T5_T6_T7_T9_mT8_P12ihipStream_tbDpT10_ENKUlT_T0_E_clISt17integral_constantIbLb0EES1B_IbLb1EEEEDaS17_S18_EUlS17_E_NS1_11comp_targetILNS1_3genE10ELNS1_11target_archE1200ELNS1_3gpuE4ELNS1_3repE0EEENS1_30default_config_static_selectorELNS0_4arch9wavefront6targetE0EEEvT1_,"axG",@progbits,_ZN7rocprim17ROCPRIM_400000_NS6detail17trampoline_kernelINS0_14default_configENS1_25partition_config_selectorILNS1_17partition_subalgoE8ElNS0_10empty_typeEbEEZZNS1_14partition_implILS5_8ELb0ES3_jPlPS6_PKS6_NS0_5tupleIJS9_S6_EEENSD_IJSA_SA_EEENS0_18inequality_wrapperIZN2at6native12_GLOBAL__N_124unique_dim_cuda_templateIdEESt5tupleIJNSH_6TensorESM_SM_EERKSM_lbbbEUlllE0_EEPmJS6_EEE10hipError_tPvRmT3_T4_T5_T6_T7_T9_mT8_P12ihipStream_tbDpT10_ENKUlT_T0_E_clISt17integral_constantIbLb0EES1B_IbLb1EEEEDaS17_S18_EUlS17_E_NS1_11comp_targetILNS1_3genE10ELNS1_11target_archE1200ELNS1_3gpuE4ELNS1_3repE0EEENS1_30default_config_static_selectorELNS0_4arch9wavefront6targetE0EEEvT1_,comdat
	.globl	_ZN7rocprim17ROCPRIM_400000_NS6detail17trampoline_kernelINS0_14default_configENS1_25partition_config_selectorILNS1_17partition_subalgoE8ElNS0_10empty_typeEbEEZZNS1_14partition_implILS5_8ELb0ES3_jPlPS6_PKS6_NS0_5tupleIJS9_S6_EEENSD_IJSA_SA_EEENS0_18inequality_wrapperIZN2at6native12_GLOBAL__N_124unique_dim_cuda_templateIdEESt5tupleIJNSH_6TensorESM_SM_EERKSM_lbbbEUlllE0_EEPmJS6_EEE10hipError_tPvRmT3_T4_T5_T6_T7_T9_mT8_P12ihipStream_tbDpT10_ENKUlT_T0_E_clISt17integral_constantIbLb0EES1B_IbLb1EEEEDaS17_S18_EUlS17_E_NS1_11comp_targetILNS1_3genE10ELNS1_11target_archE1200ELNS1_3gpuE4ELNS1_3repE0EEENS1_30default_config_static_selectorELNS0_4arch9wavefront6targetE0EEEvT1_ ; -- Begin function _ZN7rocprim17ROCPRIM_400000_NS6detail17trampoline_kernelINS0_14default_configENS1_25partition_config_selectorILNS1_17partition_subalgoE8ElNS0_10empty_typeEbEEZZNS1_14partition_implILS5_8ELb0ES3_jPlPS6_PKS6_NS0_5tupleIJS9_S6_EEENSD_IJSA_SA_EEENS0_18inequality_wrapperIZN2at6native12_GLOBAL__N_124unique_dim_cuda_templateIdEESt5tupleIJNSH_6TensorESM_SM_EERKSM_lbbbEUlllE0_EEPmJS6_EEE10hipError_tPvRmT3_T4_T5_T6_T7_T9_mT8_P12ihipStream_tbDpT10_ENKUlT_T0_E_clISt17integral_constantIbLb0EES1B_IbLb1EEEEDaS17_S18_EUlS17_E_NS1_11comp_targetILNS1_3genE10ELNS1_11target_archE1200ELNS1_3gpuE4ELNS1_3repE0EEENS1_30default_config_static_selectorELNS0_4arch9wavefront6targetE0EEEvT1_
	.p2align	8
	.type	_ZN7rocprim17ROCPRIM_400000_NS6detail17trampoline_kernelINS0_14default_configENS1_25partition_config_selectorILNS1_17partition_subalgoE8ElNS0_10empty_typeEbEEZZNS1_14partition_implILS5_8ELb0ES3_jPlPS6_PKS6_NS0_5tupleIJS9_S6_EEENSD_IJSA_SA_EEENS0_18inequality_wrapperIZN2at6native12_GLOBAL__N_124unique_dim_cuda_templateIdEESt5tupleIJNSH_6TensorESM_SM_EERKSM_lbbbEUlllE0_EEPmJS6_EEE10hipError_tPvRmT3_T4_T5_T6_T7_T9_mT8_P12ihipStream_tbDpT10_ENKUlT_T0_E_clISt17integral_constantIbLb0EES1B_IbLb1EEEEDaS17_S18_EUlS17_E_NS1_11comp_targetILNS1_3genE10ELNS1_11target_archE1200ELNS1_3gpuE4ELNS1_3repE0EEENS1_30default_config_static_selectorELNS0_4arch9wavefront6targetE0EEEvT1_,@function
_ZN7rocprim17ROCPRIM_400000_NS6detail17trampoline_kernelINS0_14default_configENS1_25partition_config_selectorILNS1_17partition_subalgoE8ElNS0_10empty_typeEbEEZZNS1_14partition_implILS5_8ELb0ES3_jPlPS6_PKS6_NS0_5tupleIJS9_S6_EEENSD_IJSA_SA_EEENS0_18inequality_wrapperIZN2at6native12_GLOBAL__N_124unique_dim_cuda_templateIdEESt5tupleIJNSH_6TensorESM_SM_EERKSM_lbbbEUlllE0_EEPmJS6_EEE10hipError_tPvRmT3_T4_T5_T6_T7_T9_mT8_P12ihipStream_tbDpT10_ENKUlT_T0_E_clISt17integral_constantIbLb0EES1B_IbLb1EEEEDaS17_S18_EUlS17_E_NS1_11comp_targetILNS1_3genE10ELNS1_11target_archE1200ELNS1_3gpuE4ELNS1_3repE0EEENS1_30default_config_static_selectorELNS0_4arch9wavefront6targetE0EEEvT1_: ; @_ZN7rocprim17ROCPRIM_400000_NS6detail17trampoline_kernelINS0_14default_configENS1_25partition_config_selectorILNS1_17partition_subalgoE8ElNS0_10empty_typeEbEEZZNS1_14partition_implILS5_8ELb0ES3_jPlPS6_PKS6_NS0_5tupleIJS9_S6_EEENSD_IJSA_SA_EEENS0_18inequality_wrapperIZN2at6native12_GLOBAL__N_124unique_dim_cuda_templateIdEESt5tupleIJNSH_6TensorESM_SM_EERKSM_lbbbEUlllE0_EEPmJS6_EEE10hipError_tPvRmT3_T4_T5_T6_T7_T9_mT8_P12ihipStream_tbDpT10_ENKUlT_T0_E_clISt17integral_constantIbLb0EES1B_IbLb1EEEEDaS17_S18_EUlS17_E_NS1_11comp_targetILNS1_3genE10ELNS1_11target_archE1200ELNS1_3gpuE4ELNS1_3repE0EEENS1_30default_config_static_selectorELNS0_4arch9wavefront6targetE0EEEvT1_
; %bb.0:
	.section	.rodata,"a",@progbits
	.p2align	6, 0x0
	.amdhsa_kernel _ZN7rocprim17ROCPRIM_400000_NS6detail17trampoline_kernelINS0_14default_configENS1_25partition_config_selectorILNS1_17partition_subalgoE8ElNS0_10empty_typeEbEEZZNS1_14partition_implILS5_8ELb0ES3_jPlPS6_PKS6_NS0_5tupleIJS9_S6_EEENSD_IJSA_SA_EEENS0_18inequality_wrapperIZN2at6native12_GLOBAL__N_124unique_dim_cuda_templateIdEESt5tupleIJNSH_6TensorESM_SM_EERKSM_lbbbEUlllE0_EEPmJS6_EEE10hipError_tPvRmT3_T4_T5_T6_T7_T9_mT8_P12ihipStream_tbDpT10_ENKUlT_T0_E_clISt17integral_constantIbLb0EES1B_IbLb1EEEEDaS17_S18_EUlS17_E_NS1_11comp_targetILNS1_3genE10ELNS1_11target_archE1200ELNS1_3gpuE4ELNS1_3repE0EEENS1_30default_config_static_selectorELNS0_4arch9wavefront6targetE0EEEvT1_
		.amdhsa_group_segment_fixed_size 0
		.amdhsa_private_segment_fixed_size 0
		.amdhsa_kernarg_size 136
		.amdhsa_user_sgpr_count 15
		.amdhsa_user_sgpr_dispatch_ptr 0
		.amdhsa_user_sgpr_queue_ptr 0
		.amdhsa_user_sgpr_kernarg_segment_ptr 1
		.amdhsa_user_sgpr_dispatch_id 0
		.amdhsa_user_sgpr_private_segment_size 0
		.amdhsa_wavefront_size32 1
		.amdhsa_uses_dynamic_stack 0
		.amdhsa_enable_private_segment 0
		.amdhsa_system_sgpr_workgroup_id_x 1
		.amdhsa_system_sgpr_workgroup_id_y 0
		.amdhsa_system_sgpr_workgroup_id_z 0
		.amdhsa_system_sgpr_workgroup_info 0
		.amdhsa_system_vgpr_workitem_id 0
		.amdhsa_next_free_vgpr 1
		.amdhsa_next_free_sgpr 1
		.amdhsa_reserve_vcc 0
		.amdhsa_float_round_mode_32 0
		.amdhsa_float_round_mode_16_64 0
		.amdhsa_float_denorm_mode_32 3
		.amdhsa_float_denorm_mode_16_64 3
		.amdhsa_dx10_clamp 1
		.amdhsa_ieee_mode 1
		.amdhsa_fp16_overflow 0
		.amdhsa_workgroup_processor_mode 1
		.amdhsa_memory_ordered 1
		.amdhsa_forward_progress 0
		.amdhsa_shared_vgpr_count 0
		.amdhsa_exception_fp_ieee_invalid_op 0
		.amdhsa_exception_fp_denorm_src 0
		.amdhsa_exception_fp_ieee_div_zero 0
		.amdhsa_exception_fp_ieee_overflow 0
		.amdhsa_exception_fp_ieee_underflow 0
		.amdhsa_exception_fp_ieee_inexact 0
		.amdhsa_exception_int_div_zero 0
	.end_amdhsa_kernel
	.section	.text._ZN7rocprim17ROCPRIM_400000_NS6detail17trampoline_kernelINS0_14default_configENS1_25partition_config_selectorILNS1_17partition_subalgoE8ElNS0_10empty_typeEbEEZZNS1_14partition_implILS5_8ELb0ES3_jPlPS6_PKS6_NS0_5tupleIJS9_S6_EEENSD_IJSA_SA_EEENS0_18inequality_wrapperIZN2at6native12_GLOBAL__N_124unique_dim_cuda_templateIdEESt5tupleIJNSH_6TensorESM_SM_EERKSM_lbbbEUlllE0_EEPmJS6_EEE10hipError_tPvRmT3_T4_T5_T6_T7_T9_mT8_P12ihipStream_tbDpT10_ENKUlT_T0_E_clISt17integral_constantIbLb0EES1B_IbLb1EEEEDaS17_S18_EUlS17_E_NS1_11comp_targetILNS1_3genE10ELNS1_11target_archE1200ELNS1_3gpuE4ELNS1_3repE0EEENS1_30default_config_static_selectorELNS0_4arch9wavefront6targetE0EEEvT1_,"axG",@progbits,_ZN7rocprim17ROCPRIM_400000_NS6detail17trampoline_kernelINS0_14default_configENS1_25partition_config_selectorILNS1_17partition_subalgoE8ElNS0_10empty_typeEbEEZZNS1_14partition_implILS5_8ELb0ES3_jPlPS6_PKS6_NS0_5tupleIJS9_S6_EEENSD_IJSA_SA_EEENS0_18inequality_wrapperIZN2at6native12_GLOBAL__N_124unique_dim_cuda_templateIdEESt5tupleIJNSH_6TensorESM_SM_EERKSM_lbbbEUlllE0_EEPmJS6_EEE10hipError_tPvRmT3_T4_T5_T6_T7_T9_mT8_P12ihipStream_tbDpT10_ENKUlT_T0_E_clISt17integral_constantIbLb0EES1B_IbLb1EEEEDaS17_S18_EUlS17_E_NS1_11comp_targetILNS1_3genE10ELNS1_11target_archE1200ELNS1_3gpuE4ELNS1_3repE0EEENS1_30default_config_static_selectorELNS0_4arch9wavefront6targetE0EEEvT1_,comdat
.Lfunc_end836:
	.size	_ZN7rocprim17ROCPRIM_400000_NS6detail17trampoline_kernelINS0_14default_configENS1_25partition_config_selectorILNS1_17partition_subalgoE8ElNS0_10empty_typeEbEEZZNS1_14partition_implILS5_8ELb0ES3_jPlPS6_PKS6_NS0_5tupleIJS9_S6_EEENSD_IJSA_SA_EEENS0_18inequality_wrapperIZN2at6native12_GLOBAL__N_124unique_dim_cuda_templateIdEESt5tupleIJNSH_6TensorESM_SM_EERKSM_lbbbEUlllE0_EEPmJS6_EEE10hipError_tPvRmT3_T4_T5_T6_T7_T9_mT8_P12ihipStream_tbDpT10_ENKUlT_T0_E_clISt17integral_constantIbLb0EES1B_IbLb1EEEEDaS17_S18_EUlS17_E_NS1_11comp_targetILNS1_3genE10ELNS1_11target_archE1200ELNS1_3gpuE4ELNS1_3repE0EEENS1_30default_config_static_selectorELNS0_4arch9wavefront6targetE0EEEvT1_, .Lfunc_end836-_ZN7rocprim17ROCPRIM_400000_NS6detail17trampoline_kernelINS0_14default_configENS1_25partition_config_selectorILNS1_17partition_subalgoE8ElNS0_10empty_typeEbEEZZNS1_14partition_implILS5_8ELb0ES3_jPlPS6_PKS6_NS0_5tupleIJS9_S6_EEENSD_IJSA_SA_EEENS0_18inequality_wrapperIZN2at6native12_GLOBAL__N_124unique_dim_cuda_templateIdEESt5tupleIJNSH_6TensorESM_SM_EERKSM_lbbbEUlllE0_EEPmJS6_EEE10hipError_tPvRmT3_T4_T5_T6_T7_T9_mT8_P12ihipStream_tbDpT10_ENKUlT_T0_E_clISt17integral_constantIbLb0EES1B_IbLb1EEEEDaS17_S18_EUlS17_E_NS1_11comp_targetILNS1_3genE10ELNS1_11target_archE1200ELNS1_3gpuE4ELNS1_3repE0EEENS1_30default_config_static_selectorELNS0_4arch9wavefront6targetE0EEEvT1_
                                        ; -- End function
	.section	.AMDGPU.csdata,"",@progbits
; Kernel info:
; codeLenInByte = 0
; NumSgprs: 0
; NumVgprs: 0
; ScratchSize: 0
; MemoryBound: 0
; FloatMode: 240
; IeeeMode: 1
; LDSByteSize: 0 bytes/workgroup (compile time only)
; SGPRBlocks: 0
; VGPRBlocks: 0
; NumSGPRsForWavesPerEU: 1
; NumVGPRsForWavesPerEU: 1
; Occupancy: 15
; WaveLimiterHint : 0
; COMPUTE_PGM_RSRC2:SCRATCH_EN: 0
; COMPUTE_PGM_RSRC2:USER_SGPR: 15
; COMPUTE_PGM_RSRC2:TRAP_HANDLER: 0
; COMPUTE_PGM_RSRC2:TGID_X_EN: 1
; COMPUTE_PGM_RSRC2:TGID_Y_EN: 0
; COMPUTE_PGM_RSRC2:TGID_Z_EN: 0
; COMPUTE_PGM_RSRC2:TIDIG_COMP_CNT: 0
	.section	.text._ZN7rocprim17ROCPRIM_400000_NS6detail17trampoline_kernelINS0_14default_configENS1_25partition_config_selectorILNS1_17partition_subalgoE8ElNS0_10empty_typeEbEEZZNS1_14partition_implILS5_8ELb0ES3_jPlPS6_PKS6_NS0_5tupleIJS9_S6_EEENSD_IJSA_SA_EEENS0_18inequality_wrapperIZN2at6native12_GLOBAL__N_124unique_dim_cuda_templateIdEESt5tupleIJNSH_6TensorESM_SM_EERKSM_lbbbEUlllE0_EEPmJS6_EEE10hipError_tPvRmT3_T4_T5_T6_T7_T9_mT8_P12ihipStream_tbDpT10_ENKUlT_T0_E_clISt17integral_constantIbLb0EES1B_IbLb1EEEEDaS17_S18_EUlS17_E_NS1_11comp_targetILNS1_3genE9ELNS1_11target_archE1100ELNS1_3gpuE3ELNS1_3repE0EEENS1_30default_config_static_selectorELNS0_4arch9wavefront6targetE0EEEvT1_,"axG",@progbits,_ZN7rocprim17ROCPRIM_400000_NS6detail17trampoline_kernelINS0_14default_configENS1_25partition_config_selectorILNS1_17partition_subalgoE8ElNS0_10empty_typeEbEEZZNS1_14partition_implILS5_8ELb0ES3_jPlPS6_PKS6_NS0_5tupleIJS9_S6_EEENSD_IJSA_SA_EEENS0_18inequality_wrapperIZN2at6native12_GLOBAL__N_124unique_dim_cuda_templateIdEESt5tupleIJNSH_6TensorESM_SM_EERKSM_lbbbEUlllE0_EEPmJS6_EEE10hipError_tPvRmT3_T4_T5_T6_T7_T9_mT8_P12ihipStream_tbDpT10_ENKUlT_T0_E_clISt17integral_constantIbLb0EES1B_IbLb1EEEEDaS17_S18_EUlS17_E_NS1_11comp_targetILNS1_3genE9ELNS1_11target_archE1100ELNS1_3gpuE3ELNS1_3repE0EEENS1_30default_config_static_selectorELNS0_4arch9wavefront6targetE0EEEvT1_,comdat
	.globl	_ZN7rocprim17ROCPRIM_400000_NS6detail17trampoline_kernelINS0_14default_configENS1_25partition_config_selectorILNS1_17partition_subalgoE8ElNS0_10empty_typeEbEEZZNS1_14partition_implILS5_8ELb0ES3_jPlPS6_PKS6_NS0_5tupleIJS9_S6_EEENSD_IJSA_SA_EEENS0_18inequality_wrapperIZN2at6native12_GLOBAL__N_124unique_dim_cuda_templateIdEESt5tupleIJNSH_6TensorESM_SM_EERKSM_lbbbEUlllE0_EEPmJS6_EEE10hipError_tPvRmT3_T4_T5_T6_T7_T9_mT8_P12ihipStream_tbDpT10_ENKUlT_T0_E_clISt17integral_constantIbLb0EES1B_IbLb1EEEEDaS17_S18_EUlS17_E_NS1_11comp_targetILNS1_3genE9ELNS1_11target_archE1100ELNS1_3gpuE3ELNS1_3repE0EEENS1_30default_config_static_selectorELNS0_4arch9wavefront6targetE0EEEvT1_ ; -- Begin function _ZN7rocprim17ROCPRIM_400000_NS6detail17trampoline_kernelINS0_14default_configENS1_25partition_config_selectorILNS1_17partition_subalgoE8ElNS0_10empty_typeEbEEZZNS1_14partition_implILS5_8ELb0ES3_jPlPS6_PKS6_NS0_5tupleIJS9_S6_EEENSD_IJSA_SA_EEENS0_18inequality_wrapperIZN2at6native12_GLOBAL__N_124unique_dim_cuda_templateIdEESt5tupleIJNSH_6TensorESM_SM_EERKSM_lbbbEUlllE0_EEPmJS6_EEE10hipError_tPvRmT3_T4_T5_T6_T7_T9_mT8_P12ihipStream_tbDpT10_ENKUlT_T0_E_clISt17integral_constantIbLb0EES1B_IbLb1EEEEDaS17_S18_EUlS17_E_NS1_11comp_targetILNS1_3genE9ELNS1_11target_archE1100ELNS1_3gpuE3ELNS1_3repE0EEENS1_30default_config_static_selectorELNS0_4arch9wavefront6targetE0EEEvT1_
	.p2align	8
	.type	_ZN7rocprim17ROCPRIM_400000_NS6detail17trampoline_kernelINS0_14default_configENS1_25partition_config_selectorILNS1_17partition_subalgoE8ElNS0_10empty_typeEbEEZZNS1_14partition_implILS5_8ELb0ES3_jPlPS6_PKS6_NS0_5tupleIJS9_S6_EEENSD_IJSA_SA_EEENS0_18inequality_wrapperIZN2at6native12_GLOBAL__N_124unique_dim_cuda_templateIdEESt5tupleIJNSH_6TensorESM_SM_EERKSM_lbbbEUlllE0_EEPmJS6_EEE10hipError_tPvRmT3_T4_T5_T6_T7_T9_mT8_P12ihipStream_tbDpT10_ENKUlT_T0_E_clISt17integral_constantIbLb0EES1B_IbLb1EEEEDaS17_S18_EUlS17_E_NS1_11comp_targetILNS1_3genE9ELNS1_11target_archE1100ELNS1_3gpuE3ELNS1_3repE0EEENS1_30default_config_static_selectorELNS0_4arch9wavefront6targetE0EEEvT1_,@function
_ZN7rocprim17ROCPRIM_400000_NS6detail17trampoline_kernelINS0_14default_configENS1_25partition_config_selectorILNS1_17partition_subalgoE8ElNS0_10empty_typeEbEEZZNS1_14partition_implILS5_8ELb0ES3_jPlPS6_PKS6_NS0_5tupleIJS9_S6_EEENSD_IJSA_SA_EEENS0_18inequality_wrapperIZN2at6native12_GLOBAL__N_124unique_dim_cuda_templateIdEESt5tupleIJNSH_6TensorESM_SM_EERKSM_lbbbEUlllE0_EEPmJS6_EEE10hipError_tPvRmT3_T4_T5_T6_T7_T9_mT8_P12ihipStream_tbDpT10_ENKUlT_T0_E_clISt17integral_constantIbLb0EES1B_IbLb1EEEEDaS17_S18_EUlS17_E_NS1_11comp_targetILNS1_3genE9ELNS1_11target_archE1100ELNS1_3gpuE3ELNS1_3repE0EEENS1_30default_config_static_selectorELNS0_4arch9wavefront6targetE0EEEvT1_: ; @_ZN7rocprim17ROCPRIM_400000_NS6detail17trampoline_kernelINS0_14default_configENS1_25partition_config_selectorILNS1_17partition_subalgoE8ElNS0_10empty_typeEbEEZZNS1_14partition_implILS5_8ELb0ES3_jPlPS6_PKS6_NS0_5tupleIJS9_S6_EEENSD_IJSA_SA_EEENS0_18inequality_wrapperIZN2at6native12_GLOBAL__N_124unique_dim_cuda_templateIdEESt5tupleIJNSH_6TensorESM_SM_EERKSM_lbbbEUlllE0_EEPmJS6_EEE10hipError_tPvRmT3_T4_T5_T6_T7_T9_mT8_P12ihipStream_tbDpT10_ENKUlT_T0_E_clISt17integral_constantIbLb0EES1B_IbLb1EEEEDaS17_S18_EUlS17_E_NS1_11comp_targetILNS1_3genE9ELNS1_11target_archE1100ELNS1_3gpuE3ELNS1_3repE0EEENS1_30default_config_static_selectorELNS0_4arch9wavefront6targetE0EEEvT1_
; %bb.0:
	s_clause 0x2
	s_load_b64 s[20:21], s[0:1], 0x28
	s_load_b256 s[8:15], s[0:1], 0x40
	s_load_b128 s[16:19], s[0:1], 0x60
	v_cmp_ne_u32_e64 s3, 0, v0
	v_cmp_eq_u32_e64 s2, 0, v0
	s_delay_alu instid0(VALU_DEP_1)
	s_and_saveexec_b32 s4, s2
	s_cbranch_execz .LBB837_4
; %bb.1:
	s_mov_b32 s6, exec_lo
	s_mov_b32 s5, exec_lo
	v_mbcnt_lo_u32_b32 v1, s6, 0
                                        ; implicit-def: $vgpr2
	s_delay_alu instid0(VALU_DEP_1)
	v_cmpx_eq_u32_e32 0, v1
	s_cbranch_execz .LBB837_3
; %bb.2:
	s_load_b64 s[22:23], s[0:1], 0x78
	s_bcnt1_i32_b32 s6, s6
	s_delay_alu instid0(SALU_CYCLE_1)
	v_dual_mov_b32 v2, 0 :: v_dual_mov_b32 v3, s6
	s_waitcnt lgkmcnt(0)
	global_atomic_add_u32 v2, v2, v3, s[22:23] glc
.LBB837_3:
	s_or_b32 exec_lo, exec_lo, s5
	s_waitcnt vmcnt(0)
	v_readfirstlane_b32 s5, v2
	s_delay_alu instid0(VALU_DEP_1)
	v_dual_mov_b32 v2, 0 :: v_dual_add_nc_u32 v1, s5, v1
	ds_store_b32 v2, v1
.LBB837_4:
	s_or_b32 exec_lo, exec_lo, s4
	v_dual_mov_b32 v2, 0 :: v_dual_lshlrev_b32 v39, 3, v0
	s_clause 0x1
	s_load_b128 s[4:7], s[0:1], 0x8
	s_load_b32 s0, s[0:1], 0x70
	s_waitcnt lgkmcnt(0)
	s_barrier
	buffer_gl0_inv
	ds_load_b32 v1, v2
	s_waitcnt lgkmcnt(0)
	s_barrier
	buffer_gl0_inv
	global_load_b64 v[3:4], v2, s[10:11]
	v_lshrrev_b32_e32 v19, 2, v0
	v_or_b32_e32 v26, 0x200, v0
	v_or_b32_e32 v25, 0x400, v0
	;; [unrolled: 1-line block ×7, first 2 shown]
	s_lshl_b64 s[10:11], s[6:7], 3
	s_delay_alu instid0(SALU_CYCLE_1)
	s_add_u32 s10, s4, s10
	s_addc_u32 s11, s5, s11
	s_add_i32 s1, s0, -1
	v_readfirstlane_b32 s23, v1
	s_lshl_b32 s4, s1, 12
	v_lshlrev_b32_e32 v1, 12, v1
	s_lshl_b32 s5, s0, 12
	s_add_i32 s0, s6, s4
	s_add_u32 s4, s6, s5
	s_addc_u32 s5, s7, 0
	v_lshlrev_b64 v[1:2], 3, v[1:2]
	v_cmp_ge_u64_e64 s4, s[4:5], s[12:13]
	s_cmp_eq_u32 s23, s1
	s_cselect_b32 s13, -1, 0
	s_delay_alu instid0(VALU_DEP_2) | instskip(NEXT) | instid1(VALU_DEP_2)
	v_add_co_u32 v17, vcc_lo, s10, v1
	s_and_b32 s1, s4, s13
	v_add_co_ci_u32_e32 v18, vcc_lo, s11, v2, vcc_lo
	s_xor_b32 s22, s1, -1
	s_mov_b32 s4, -1
	s_and_b32 vcc_lo, exec_lo, s22
	s_waitcnt vmcnt(0)
	v_readfirstlane_b32 s10, v3
	v_readfirstlane_b32 s11, v4
	s_cbranch_vccz .LBB837_6
; %bb.5:
	v_add_co_u32 v9, vcc_lo, v17, v39
	v_add_co_ci_u32_e32 v10, vcc_lo, 0, v18, vcc_lo
	v_readfirstlane_b32 s4, v17
	s_delay_alu instid0(VALU_DEP_3) | instskip(NEXT) | instid1(VALU_DEP_3)
	v_add_co_u32 v3, vcc_lo, v9, 0x2000
	v_add_co_ci_u32_e32 v4, vcc_lo, 0, v10, vcc_lo
	v_add_co_u32 v5, vcc_lo, v9, 0x4000
	v_add_co_ci_u32_e32 v6, vcc_lo, 0, v10, vcc_lo
	v_add_co_u32 v7, vcc_lo, v9, 0x6000
	v_readfirstlane_b32 s5, v18
	v_add_co_ci_u32_e32 v8, vcc_lo, 0, v10, vcc_lo
	v_add_co_u32 v9, vcc_lo, 0x7000, v9
	v_add_co_ci_u32_e32 v10, vcc_lo, 0, v10, vcc_lo
	s_clause 0x7
	global_load_b64 v[1:2], v39, s[4:5]
	global_load_b64 v[11:12], v[3:4], off offset:-4096
	global_load_b64 v[3:4], v[3:4], off
	global_load_b64 v[13:14], v[5:6], off offset:-4096
	global_load_b64 v[5:6], v[5:6], off
	;; [unrolled: 2-line block ×3, first 2 shown]
	global_load_b64 v[9:10], v[9:10], off
	v_lshrrev_b32_e32 v28, 2, v26
	v_lshrrev_b32_e32 v29, 2, v25
	;; [unrolled: 1-line block ×4, first 2 shown]
	v_and_b32_e32 v27, 0x78, v19
	v_lshrrev_b32_e32 v32, 2, v22
	v_lshrrev_b32_e32 v33, 2, v21
	;; [unrolled: 1-line block ×3, first 2 shown]
	v_and_b32_e32 v28, 0xf8, v28
	v_and_b32_e32 v29, 0x178, v29
	;; [unrolled: 1-line block ×4, first 2 shown]
	v_add_nc_u32_e32 v27, v27, v39
	v_and_b32_e32 v32, 0x2f8, v32
	v_and_b32_e32 v33, 0x378, v33
	;; [unrolled: 1-line block ×3, first 2 shown]
	v_add_nc_u32_e32 v28, v28, v39
	v_add_nc_u32_e32 v29, v29, v39
	;; [unrolled: 1-line block ×4, first 2 shown]
	s_mov_b32 s4, 0
	v_add_nc_u32_e32 v32, v32, v39
	v_add_nc_u32_e32 v33, v33, v39
	;; [unrolled: 1-line block ×3, first 2 shown]
	s_waitcnt vmcnt(7)
	ds_store_b64 v27, v[1:2]
	s_waitcnt vmcnt(6)
	ds_store_b64 v28, v[11:12] offset:4096
	s_waitcnt vmcnt(5)
	ds_store_b64 v29, v[3:4] offset:8192
	;; [unrolled: 2-line block ×7, first 2 shown]
	s_waitcnt lgkmcnt(0)
	s_barrier
.LBB837_6:
	s_and_not1_b32 vcc_lo, exec_lo, s4
	s_sub_i32 s12, s12, s0
	s_cbranch_vccnz .LBB837_17
; %bb.7:
	s_mov_b32 s0, exec_lo
                                        ; implicit-def: $vgpr1_vgpr2_vgpr3_vgpr4_vgpr5_vgpr6_vgpr7_vgpr8_vgpr9_vgpr10_vgpr11_vgpr12_vgpr13_vgpr14_vgpr15_vgpr16
	v_cmpx_gt_u32_e64 s12, v0
	s_cbranch_execnz .LBB837_27
; %bb.8:
	s_or_b32 exec_lo, exec_lo, s0
	s_delay_alu instid0(SALU_CYCLE_1)
	s_mov_b32 s0, exec_lo
	v_cmpx_gt_u32_e64 s12, v26
	s_cbranch_execnz .LBB837_28
.LBB837_9:
	s_or_b32 exec_lo, exec_lo, s0
	s_delay_alu instid0(SALU_CYCLE_1)
	s_mov_b32 s0, exec_lo
	v_cmpx_gt_u32_e64 s12, v25
	s_cbranch_execnz .LBB837_29
.LBB837_10:
	s_or_b32 exec_lo, exec_lo, s0
	s_delay_alu instid0(SALU_CYCLE_1)
	s_mov_b32 s0, exec_lo
	v_cmpx_gt_u32_e64 s12, v24
	s_cbranch_execnz .LBB837_30
.LBB837_11:
	s_or_b32 exec_lo, exec_lo, s0
	s_delay_alu instid0(SALU_CYCLE_1)
	s_mov_b32 s0, exec_lo
	v_cmpx_gt_u32_e64 s12, v23
	s_cbranch_execnz .LBB837_31
.LBB837_12:
	s_or_b32 exec_lo, exec_lo, s0
	s_delay_alu instid0(SALU_CYCLE_1)
	s_mov_b32 s0, exec_lo
	v_cmpx_gt_u32_e64 s12, v22
	s_cbranch_execnz .LBB837_32
.LBB837_13:
	s_or_b32 exec_lo, exec_lo, s0
	s_delay_alu instid0(SALU_CYCLE_1)
	s_mov_b32 s0, exec_lo
	v_cmpx_gt_u32_e64 s12, v21
	s_cbranch_execnz .LBB837_33
.LBB837_14:
	s_or_b32 exec_lo, exec_lo, s0
	s_delay_alu instid0(SALU_CYCLE_1)
	s_mov_b32 s0, exec_lo
	v_cmpx_gt_u32_e64 s12, v20
	s_cbranch_execz .LBB837_16
.LBB837_15:
	v_lshlrev_b32_e32 v15, 3, v20
	v_readfirstlane_b32 s4, v17
	v_readfirstlane_b32 s5, v18
	global_load_b64 v[15:16], v15, s[4:5]
.LBB837_16:
	s_or_b32 exec_lo, exec_lo, s0
	v_lshrrev_b32_e32 v26, 2, v26
	v_lshrrev_b32_e32 v25, 2, v25
	;; [unrolled: 1-line block ×4, first 2 shown]
	v_and_b32_e32 v27, 0x78, v19
	v_lshrrev_b32_e32 v22, 2, v22
	v_lshrrev_b32_e32 v21, 2, v21
	;; [unrolled: 1-line block ×3, first 2 shown]
	v_and_b32_e32 v26, 0xf8, v26
	v_and_b32_e32 v25, 0x1f8, v25
	;; [unrolled: 1-line block ×4, first 2 shown]
	v_add_nc_u32_e32 v27, v27, v39
	v_and_b32_e32 v22, 0x3f8, v22
	v_and_b32_e32 v21, 0x3f8, v21
	;; [unrolled: 1-line block ×3, first 2 shown]
	v_add_nc_u32_e32 v26, v26, v39
	v_add_nc_u32_e32 v25, v25, v39
	;; [unrolled: 1-line block ×7, first 2 shown]
	s_waitcnt vmcnt(0)
	ds_store_b64 v27, v[1:2]
	ds_store_b64 v26, v[3:4] offset:4096
	ds_store_b64 v25, v[5:6] offset:8192
	;; [unrolled: 1-line block ×7, first 2 shown]
	s_waitcnt lgkmcnt(0)
	s_barrier
.LBB837_17:
	v_add_lshl_u32 v1, v19, v39, 3
	buffer_gl0_inv
	s_cmp_lg_u32 s23, 0
	v_cmp_gt_i64_e64 s26, s[14:15], 0
	s_cselect_b32 s24, -1, 0
	ds_load_2addr_b64 v[13:16], v1 offset1:1
	ds_load_2addr_b64 v[9:12], v1 offset0:2 offset1:3
	ds_load_2addr_b64 v[5:8], v1 offset0:4 offset1:5
	;; [unrolled: 1-line block ×3, first 2 shown]
	s_cmp_lg_u64 s[6:7], 0
	s_mov_b32 s25, 0
	s_cselect_b32 s0, -1, 0
	s_waitcnt lgkmcnt(0)
	s_or_b32 s0, s0, s24
	s_barrier
	s_and_b32 vcc_lo, exec_lo, s0
	buffer_gl0_inv
	s_cbranch_vccz .LBB837_26
; %bb.18:
	global_load_b64 v[17:18], v[17:18], off offset:-8
	v_cndmask_b32_e64 v27, 0, 1, s26
	s_and_b32 vcc_lo, exec_lo, s22
	ds_store_b64 v39, v[3:4]
	v_cmp_ne_u32_e64 s0, 1, v27
	s_cbranch_vccz .LBB837_34
; %bb.19:
	v_mul_lo_u32 v21, v2, s14
	v_mul_lo_u32 v22, v1, s15
	v_mad_u64_u32 v[19:20], null, v1, s14, 0
	s_and_b32 vcc_lo, exec_lo, s0
	s_mov_b32 s27, 0
	s_delay_alu instid0(VALU_DEP_1) | instskip(NEXT) | instid1(VALU_DEP_1)
	v_add3_u32 v20, v20, v22, v21
	v_lshlrev_b64 v[19:20], 3, v[19:20]
	s_cbranch_vccnz .LBB837_37
; %bb.20:
	v_mul_lo_u32 v23, v4, s14
	v_mul_lo_u32 v24, v3, s15
	v_mad_u64_u32 v[21:22], null, v3, s14, 0
	s_mov_b32 s27, -1
	s_mov_b32 s28, exec_lo
	s_delay_alu instid0(VALU_DEP_1) | instskip(SKIP_2) | instid1(VALU_DEP_3)
	v_add3_u32 v22, v22, v24, v23
	v_add_co_u32 v23, vcc_lo, s16, v19
	v_add_co_ci_u32_e32 v24, vcc_lo, s17, v20, vcc_lo
	v_lshlrev_b64 v[21:22], 3, v[21:22]
	s_delay_alu instid0(VALU_DEP_1) | instskip(NEXT) | instid1(VALU_DEP_2)
	v_add_co_u32 v21, vcc_lo, s16, v21
	v_add_co_ci_u32_e32 v22, vcc_lo, s17, v22, vcc_lo
	s_clause 0x1
	global_load_b64 v[25:26], v[23:24], off
	global_load_b64 v[28:29], v[21:22], off
	s_waitcnt vmcnt(0)
	v_cmpx_eq_f64_e32 v[25:26], v[28:29]
	s_cbranch_execz .LBB837_36
; %bb.21:
	v_add_co_u32 v21, vcc_lo, v21, 8
	v_add_co_ci_u32_e32 v22, vcc_lo, 0, v22, vcc_lo
	v_add_co_u32 v23, vcc_lo, v23, 8
	v_add_co_ci_u32_e32 v24, vcc_lo, 0, v24, vcc_lo
	s_add_u32 s4, s14, -1
	s_addc_u32 s5, s15, -1
	s_mov_b64 s[6:7], 0
	s_mov_b32 s27, 0
                                        ; implicit-def: $sgpr29
	s_set_inst_prefetch_distance 0x1
	s_branch .LBB837_24
	.p2align	6
.LBB837_22:                             ;   in Loop: Header=BB837_24 Depth=1
	global_load_b64 v[25:26], v[23:24], off
	global_load_b64 v[28:29], v[21:22], off
	v_add_co_u32 v21, s0, v21, 8
	s_delay_alu instid0(VALU_DEP_1) | instskip(SKIP_1) | instid1(VALU_DEP_1)
	v_add_co_ci_u32_e64 v22, s0, 0, v22, s0
	v_add_co_u32 v23, s0, v23, 8
	v_add_co_ci_u32_e64 v24, s0, 0, v24, s0
	s_add_u32 s6, s6, 1
	s_addc_u32 s7, s7, 0
	s_and_not1_b32 s0, s29, exec_lo
	s_waitcnt vmcnt(0)
	v_cmp_neq_f64_e32 vcc_lo, v[25:26], v[28:29]
	s_and_b32 s29, vcc_lo, exec_lo
	s_delay_alu instid0(SALU_CYCLE_1)
	s_or_b32 s29, s0, s29
.LBB837_23:                             ;   in Loop: Header=BB837_24 Depth=1
	v_dual_mov_b32 v26, s7 :: v_dual_mov_b32 v25, s6
	s_and_b32 s0, exec_lo, s29
	s_delay_alu instid0(SALU_CYCLE_1) | instskip(NEXT) | instid1(SALU_CYCLE_1)
	s_or_b32 s27, s0, s27
	s_and_not1_b32 exec_lo, exec_lo, s27
	s_cbranch_execz .LBB837_35
.LBB837_24:                             ; =>This Inner Loop Header: Depth=1
	s_or_b32 s29, s29, exec_lo
	s_cmp_eq_u64 s[4:5], s[6:7]
	s_cbranch_scc0 .LBB837_22
; %bb.25:                               ;   in Loop: Header=BB837_24 Depth=1
	s_mov_b64 s[6:7], s[14:15]
                                        ; implicit-def: $vgpr21_vgpr22
                                        ; implicit-def: $vgpr23_vgpr24
	s_branch .LBB837_23
.LBB837_26:
                                        ; implicit-def: $sgpr0
                                        ; implicit-def: $vgpr20
	s_branch .LBB837_195
.LBB837_27:
	v_readfirstlane_b32 s4, v17
	v_readfirstlane_b32 s5, v18
	global_load_b64 v[1:2], v39, s[4:5]
	s_or_b32 exec_lo, exec_lo, s0
	s_delay_alu instid0(SALU_CYCLE_1)
	s_mov_b32 s0, exec_lo
	v_cmpx_gt_u32_e64 s12, v26
	s_cbranch_execz .LBB837_9
.LBB837_28:
	v_lshlrev_b32_e32 v3, 3, v26
	v_readfirstlane_b32 s4, v17
	v_readfirstlane_b32 s5, v18
	global_load_b64 v[3:4], v3, s[4:5]
	s_or_b32 exec_lo, exec_lo, s0
	s_delay_alu instid0(SALU_CYCLE_1)
	s_mov_b32 s0, exec_lo
	v_cmpx_gt_u32_e64 s12, v25
	s_cbranch_execz .LBB837_10
.LBB837_29:
	v_lshlrev_b32_e32 v5, 3, v25
	v_readfirstlane_b32 s4, v17
	v_readfirstlane_b32 s5, v18
	global_load_b64 v[5:6], v5, s[4:5]
	s_or_b32 exec_lo, exec_lo, s0
	s_delay_alu instid0(SALU_CYCLE_1)
	s_mov_b32 s0, exec_lo
	v_cmpx_gt_u32_e64 s12, v24
	s_cbranch_execz .LBB837_11
.LBB837_30:
	v_lshlrev_b32_e32 v7, 3, v24
	v_readfirstlane_b32 s4, v17
	v_readfirstlane_b32 s5, v18
	global_load_b64 v[7:8], v7, s[4:5]
	s_or_b32 exec_lo, exec_lo, s0
	s_delay_alu instid0(SALU_CYCLE_1)
	s_mov_b32 s0, exec_lo
	v_cmpx_gt_u32_e64 s12, v23
	s_cbranch_execz .LBB837_12
.LBB837_31:
	v_lshlrev_b32_e32 v9, 3, v23
	v_readfirstlane_b32 s4, v17
	v_readfirstlane_b32 s5, v18
	global_load_b64 v[9:10], v9, s[4:5]
	s_or_b32 exec_lo, exec_lo, s0
	s_delay_alu instid0(SALU_CYCLE_1)
	s_mov_b32 s0, exec_lo
	v_cmpx_gt_u32_e64 s12, v22
	s_cbranch_execz .LBB837_13
.LBB837_32:
	v_lshlrev_b32_e32 v11, 3, v22
	v_readfirstlane_b32 s4, v17
	v_readfirstlane_b32 s5, v18
	global_load_b64 v[11:12], v11, s[4:5]
	s_or_b32 exec_lo, exec_lo, s0
	s_delay_alu instid0(SALU_CYCLE_1)
	s_mov_b32 s0, exec_lo
	v_cmpx_gt_u32_e64 s12, v21
	s_cbranch_execz .LBB837_14
.LBB837_33:
	v_lshlrev_b32_e32 v13, 3, v21
	v_readfirstlane_b32 s4, v17
	v_readfirstlane_b32 s5, v18
	global_load_b64 v[13:14], v13, s[4:5]
	s_or_b32 exec_lo, exec_lo, s0
	s_delay_alu instid0(SALU_CYCLE_1)
	s_mov_b32 s0, exec_lo
	v_cmpx_gt_u32_e64 s12, v20
	s_cbranch_execnz .LBB837_15
	s_branch .LBB837_16
.LBB837_34:
                                        ; implicit-def: $sgpr0
                                        ; implicit-def: $vgpr20
	s_cbranch_execnz .LBB837_103
	s_branch .LBB837_194
.LBB837_35:
	s_set_inst_prefetch_distance 0x2
	s_or_b32 exec_lo, exec_lo, s27
	v_cmp_gt_i64_e32 vcc_lo, s[14:15], v[25:26]
	s_or_not1_b32 s27, vcc_lo, exec_lo
.LBB837_36:
	s_or_b32 exec_lo, exec_lo, s28
.LBB837_37:
	v_mul_lo_u32 v23, v8, s14
	v_mul_lo_u32 v24, v7, s15
	v_mad_u64_u32 v[21:22], null, v7, s14, 0
	s_and_not1_b32 vcc_lo, exec_lo, s26
	s_delay_alu instid0(VALU_DEP_1) | instskip(NEXT) | instid1(VALU_DEP_1)
	v_add3_u32 v22, v22, v24, v23
	v_lshlrev_b64 v[21:22], 3, v[21:22]
	s_cbranch_vccnz .LBB837_46
; %bb.38:
	s_delay_alu instid0(VALU_DEP_1) | instskip(NEXT) | instid1(VALU_DEP_2)
	v_add_co_u32 v23, vcc_lo, s16, v21
	v_add_co_ci_u32_e32 v24, vcc_lo, s17, v22, vcc_lo
	v_add_co_u32 v19, vcc_lo, s16, v19
	v_add_co_ci_u32_e32 v20, vcc_lo, s17, v20, vcc_lo
	s_mov_b32 s25, -1
	s_clause 0x1
	global_load_b64 v[25:26], v[23:24], off
	global_load_b64 v[28:29], v[19:20], off
	s_mov_b32 s28, exec_lo
	s_waitcnt vmcnt(0)
	v_cmpx_eq_f64_e32 v[25:26], v[28:29]
	s_cbranch_execz .LBB837_45
; %bb.39:
	v_add_co_u32 v19, vcc_lo, v19, 8
	v_add_co_ci_u32_e32 v20, vcc_lo, 0, v20, vcc_lo
	v_add_co_u32 v23, vcc_lo, v23, 8
	v_add_co_ci_u32_e32 v24, vcc_lo, 0, v24, vcc_lo
	s_add_u32 s4, s14, -1
	s_addc_u32 s5, s15, -1
	s_mov_b64 s[6:7], 0
	s_mov_b32 s25, 0
                                        ; implicit-def: $sgpr29
	s_set_inst_prefetch_distance 0x1
	s_branch .LBB837_42
	.p2align	6
.LBB837_40:                             ;   in Loop: Header=BB837_42 Depth=1
	global_load_b64 v[25:26], v[23:24], off
	global_load_b64 v[28:29], v[19:20], off
	v_add_co_u32 v19, s0, v19, 8
	s_delay_alu instid0(VALU_DEP_1) | instskip(SKIP_1) | instid1(VALU_DEP_1)
	v_add_co_ci_u32_e64 v20, s0, 0, v20, s0
	v_add_co_u32 v23, s0, v23, 8
	v_add_co_ci_u32_e64 v24, s0, 0, v24, s0
	s_add_u32 s6, s6, 1
	s_addc_u32 s7, s7, 0
	s_and_not1_b32 s0, s29, exec_lo
	s_waitcnt vmcnt(0)
	v_cmp_neq_f64_e32 vcc_lo, v[25:26], v[28:29]
	s_and_b32 s29, vcc_lo, exec_lo
	s_delay_alu instid0(SALU_CYCLE_1)
	s_or_b32 s29, s0, s29
.LBB837_41:                             ;   in Loop: Header=BB837_42 Depth=1
	v_dual_mov_b32 v26, s7 :: v_dual_mov_b32 v25, s6
	s_and_b32 s0, exec_lo, s29
	s_delay_alu instid0(SALU_CYCLE_1) | instskip(NEXT) | instid1(SALU_CYCLE_1)
	s_or_b32 s25, s0, s25
	s_and_not1_b32 exec_lo, exec_lo, s25
	s_cbranch_execz .LBB837_44
.LBB837_42:                             ; =>This Inner Loop Header: Depth=1
	s_or_b32 s29, s29, exec_lo
	s_cmp_eq_u64 s[4:5], s[6:7]
	s_cbranch_scc0 .LBB837_40
; %bb.43:                               ;   in Loop: Header=BB837_42 Depth=1
	s_mov_b64 s[6:7], s[14:15]
                                        ; implicit-def: $vgpr19_vgpr20
                                        ; implicit-def: $vgpr23_vgpr24
	s_branch .LBB837_41
.LBB837_44:
	s_set_inst_prefetch_distance 0x2
	s_or_b32 exec_lo, exec_lo, s25
	v_cmp_gt_i64_e32 vcc_lo, s[14:15], v[25:26]
	s_or_not1_b32 s25, vcc_lo, exec_lo
.LBB837_45:
	s_or_b32 exec_lo, exec_lo, s28
.LBB837_46:
	v_mul_lo_u32 v23, v6, s14
	v_mul_lo_u32 v24, v5, s15
	v_mad_u64_u32 v[19:20], null, v5, s14, 0
	s_mov_b32 s28, 0
	s_and_not1_b32 vcc_lo, exec_lo, s26
	s_mov_b32 s29, 0
	s_delay_alu instid0(VALU_DEP_1) | instskip(NEXT) | instid1(VALU_DEP_1)
	v_add3_u32 v20, v20, v24, v23
	v_lshlrev_b64 v[23:24], 3, v[19:20]
	s_cbranch_vccnz .LBB837_55
; %bb.47:
	s_delay_alu instid0(VALU_DEP_1) | instskip(NEXT) | instid1(VALU_DEP_2)
	v_add_co_u32 v25, vcc_lo, s16, v23
	v_add_co_ci_u32_e32 v26, vcc_lo, s17, v24, vcc_lo
	v_add_co_u32 v19, vcc_lo, s16, v21
	v_add_co_ci_u32_e32 v20, vcc_lo, s17, v22, vcc_lo
	s_mov_b32 s29, -1
	s_clause 0x1
	global_load_b64 v[21:22], v[25:26], off
	global_load_b64 v[28:29], v[19:20], off
	s_mov_b32 s30, exec_lo
	s_waitcnt vmcnt(0)
	v_cmpx_eq_f64_e32 v[21:22], v[28:29]
	s_cbranch_execz .LBB837_54
; %bb.48:
	v_add_co_u32 v19, vcc_lo, v19, 8
	v_add_co_ci_u32_e32 v20, vcc_lo, 0, v20, vcc_lo
	v_add_co_u32 v21, vcc_lo, v25, 8
	v_add_co_ci_u32_e32 v22, vcc_lo, 0, v26, vcc_lo
	s_add_u32 s4, s14, -1
	s_addc_u32 s5, s15, -1
	s_mov_b64 s[6:7], 0
	s_mov_b32 s29, 0
                                        ; implicit-def: $sgpr31
	s_set_inst_prefetch_distance 0x1
	s_branch .LBB837_51
	.p2align	6
.LBB837_49:                             ;   in Loop: Header=BB837_51 Depth=1
	global_load_b64 v[25:26], v[21:22], off
	global_load_b64 v[28:29], v[19:20], off
	v_add_co_u32 v19, s0, v19, 8
	s_delay_alu instid0(VALU_DEP_1) | instskip(SKIP_1) | instid1(VALU_DEP_1)
	v_add_co_ci_u32_e64 v20, s0, 0, v20, s0
	v_add_co_u32 v21, s0, v21, 8
	v_add_co_ci_u32_e64 v22, s0, 0, v22, s0
	s_add_u32 s6, s6, 1
	s_addc_u32 s7, s7, 0
	s_and_not1_b32 s0, s31, exec_lo
	s_waitcnt vmcnt(0)
	v_cmp_neq_f64_e32 vcc_lo, v[25:26], v[28:29]
	s_and_b32 s31, vcc_lo, exec_lo
	s_delay_alu instid0(SALU_CYCLE_1)
	s_or_b32 s31, s0, s31
.LBB837_50:                             ;   in Loop: Header=BB837_51 Depth=1
	v_dual_mov_b32 v26, s7 :: v_dual_mov_b32 v25, s6
	s_and_b32 s0, exec_lo, s31
	s_delay_alu instid0(SALU_CYCLE_1) | instskip(NEXT) | instid1(SALU_CYCLE_1)
	s_or_b32 s29, s0, s29
	s_and_not1_b32 exec_lo, exec_lo, s29
	s_cbranch_execz .LBB837_53
.LBB837_51:                             ; =>This Inner Loop Header: Depth=1
	s_or_b32 s31, s31, exec_lo
	s_cmp_eq_u64 s[4:5], s[6:7]
	s_cbranch_scc0 .LBB837_49
; %bb.52:                               ;   in Loop: Header=BB837_51 Depth=1
	s_mov_b64 s[6:7], s[14:15]
                                        ; implicit-def: $vgpr19_vgpr20
                                        ; implicit-def: $vgpr21_vgpr22
	s_branch .LBB837_50
.LBB837_53:
	s_set_inst_prefetch_distance 0x2
	s_or_b32 exec_lo, exec_lo, s29
	v_cmp_gt_i64_e32 vcc_lo, s[14:15], v[25:26]
	s_or_not1_b32 s29, vcc_lo, exec_lo
.LBB837_54:
	s_or_b32 exec_lo, exec_lo, s30
.LBB837_55:
	v_mul_lo_u32 v21, v12, s14
	v_mul_lo_u32 v22, v11, s15
	v_mad_u64_u32 v[19:20], null, v11, s14, 0
	s_and_not1_b32 vcc_lo, exec_lo, s26
	s_delay_alu instid0(VALU_DEP_1) | instskip(NEXT) | instid1(VALU_DEP_1)
	v_add3_u32 v20, v20, v22, v21
	v_lshlrev_b64 v[19:20], 3, v[19:20]
	s_cbranch_vccnz .LBB837_64
; %bb.56:
	s_delay_alu instid0(VALU_DEP_1) | instskip(NEXT) | instid1(VALU_DEP_2)
	v_add_co_u32 v25, vcc_lo, s16, v19
	v_add_co_ci_u32_e32 v26, vcc_lo, s17, v20, vcc_lo
	v_add_co_u32 v21, vcc_lo, s16, v23
	v_add_co_ci_u32_e32 v22, vcc_lo, s17, v24, vcc_lo
	s_mov_b32 s28, -1
	s_clause 0x1
	global_load_b64 v[23:24], v[25:26], off
	global_load_b64 v[28:29], v[21:22], off
	s_mov_b32 s30, exec_lo
	s_waitcnt vmcnt(0)
	v_cmpx_eq_f64_e32 v[23:24], v[28:29]
	s_cbranch_execz .LBB837_63
; %bb.57:
	v_add_co_u32 v21, vcc_lo, v21, 8
	v_add_co_ci_u32_e32 v22, vcc_lo, 0, v22, vcc_lo
	v_add_co_u32 v23, vcc_lo, v25, 8
	v_add_co_ci_u32_e32 v24, vcc_lo, 0, v26, vcc_lo
	s_add_u32 s4, s14, -1
	s_addc_u32 s5, s15, -1
	s_mov_b64 s[6:7], 0
	s_mov_b32 s28, 0
                                        ; implicit-def: $sgpr31
	s_set_inst_prefetch_distance 0x1
	s_branch .LBB837_60
	.p2align	6
.LBB837_58:                             ;   in Loop: Header=BB837_60 Depth=1
	global_load_b64 v[25:26], v[23:24], off
	global_load_b64 v[28:29], v[21:22], off
	v_add_co_u32 v21, s0, v21, 8
	s_delay_alu instid0(VALU_DEP_1) | instskip(SKIP_1) | instid1(VALU_DEP_1)
	v_add_co_ci_u32_e64 v22, s0, 0, v22, s0
	v_add_co_u32 v23, s0, v23, 8
	v_add_co_ci_u32_e64 v24, s0, 0, v24, s0
	s_add_u32 s6, s6, 1
	s_addc_u32 s7, s7, 0
	s_and_not1_b32 s0, s31, exec_lo
	s_waitcnt vmcnt(0)
	v_cmp_neq_f64_e32 vcc_lo, v[25:26], v[28:29]
	s_and_b32 s31, vcc_lo, exec_lo
	s_delay_alu instid0(SALU_CYCLE_1)
	s_or_b32 s31, s0, s31
.LBB837_59:                             ;   in Loop: Header=BB837_60 Depth=1
	v_dual_mov_b32 v26, s7 :: v_dual_mov_b32 v25, s6
	s_and_b32 s0, exec_lo, s31
	s_delay_alu instid0(SALU_CYCLE_1) | instskip(NEXT) | instid1(SALU_CYCLE_1)
	s_or_b32 s28, s0, s28
	s_and_not1_b32 exec_lo, exec_lo, s28
	s_cbranch_execz .LBB837_62
.LBB837_60:                             ; =>This Inner Loop Header: Depth=1
	s_or_b32 s31, s31, exec_lo
	s_cmp_eq_u64 s[4:5], s[6:7]
	s_cbranch_scc0 .LBB837_58
; %bb.61:                               ;   in Loop: Header=BB837_60 Depth=1
	s_mov_b64 s[6:7], s[14:15]
                                        ; implicit-def: $vgpr21_vgpr22
                                        ; implicit-def: $vgpr23_vgpr24
	s_branch .LBB837_59
.LBB837_62:
	s_set_inst_prefetch_distance 0x2
	s_or_b32 exec_lo, exec_lo, s28
	v_cmp_gt_i64_e32 vcc_lo, s[14:15], v[25:26]
	s_or_not1_b32 s28, vcc_lo, exec_lo
.LBB837_63:
	s_or_b32 exec_lo, exec_lo, s30
.LBB837_64:
	v_mul_lo_u32 v23, v10, s14
	v_mul_lo_u32 v24, v9, s15
	v_mad_u64_u32 v[21:22], null, v9, s14, 0
	s_mov_b32 s30, 0
	s_and_not1_b32 vcc_lo, exec_lo, s26
	s_mov_b32 s31, 0
	s_delay_alu instid0(VALU_DEP_1) | instskip(NEXT) | instid1(VALU_DEP_1)
	v_add3_u32 v22, v22, v24, v23
	v_lshlrev_b64 v[23:24], 3, v[21:22]
	s_cbranch_vccnz .LBB837_73
; %bb.65:
	s_delay_alu instid0(VALU_DEP_1) | instskip(NEXT) | instid1(VALU_DEP_2)
	v_add_co_u32 v21, vcc_lo, s16, v23
	v_add_co_ci_u32_e32 v22, vcc_lo, s17, v24, vcc_lo
	v_add_co_u32 v19, vcc_lo, s16, v19
	v_add_co_ci_u32_e32 v20, vcc_lo, s17, v20, vcc_lo
	s_mov_b32 s31, -1
	s_clause 0x1
	global_load_b64 v[25:26], v[21:22], off
	global_load_b64 v[28:29], v[19:20], off
	s_mov_b32 s33, exec_lo
	s_waitcnt vmcnt(0)
	v_cmpx_eq_f64_e32 v[25:26], v[28:29]
	s_cbranch_execz .LBB837_72
; %bb.66:
	v_add_co_u32 v19, vcc_lo, v19, 8
	v_add_co_ci_u32_e32 v20, vcc_lo, 0, v20, vcc_lo
	v_add_co_u32 v21, vcc_lo, v21, 8
	v_add_co_ci_u32_e32 v22, vcc_lo, 0, v22, vcc_lo
	s_add_u32 s4, s14, -1
	s_addc_u32 s5, s15, -1
	s_mov_b64 s[6:7], 0
	s_mov_b32 s31, 0
                                        ; implicit-def: $sgpr34
	s_set_inst_prefetch_distance 0x1
	s_branch .LBB837_69
	.p2align	6
.LBB837_67:                             ;   in Loop: Header=BB837_69 Depth=1
	global_load_b64 v[25:26], v[21:22], off
	global_load_b64 v[28:29], v[19:20], off
	v_add_co_u32 v19, s0, v19, 8
	s_delay_alu instid0(VALU_DEP_1) | instskip(SKIP_1) | instid1(VALU_DEP_1)
	v_add_co_ci_u32_e64 v20, s0, 0, v20, s0
	v_add_co_u32 v21, s0, v21, 8
	v_add_co_ci_u32_e64 v22, s0, 0, v22, s0
	s_add_u32 s6, s6, 1
	s_addc_u32 s7, s7, 0
	s_and_not1_b32 s0, s34, exec_lo
	s_waitcnt vmcnt(0)
	v_cmp_neq_f64_e32 vcc_lo, v[25:26], v[28:29]
	s_and_b32 s34, vcc_lo, exec_lo
	s_delay_alu instid0(SALU_CYCLE_1)
	s_or_b32 s34, s0, s34
.LBB837_68:                             ;   in Loop: Header=BB837_69 Depth=1
	v_dual_mov_b32 v26, s7 :: v_dual_mov_b32 v25, s6
	s_and_b32 s0, exec_lo, s34
	s_delay_alu instid0(SALU_CYCLE_1) | instskip(NEXT) | instid1(SALU_CYCLE_1)
	s_or_b32 s31, s0, s31
	s_and_not1_b32 exec_lo, exec_lo, s31
	s_cbranch_execz .LBB837_71
.LBB837_69:                             ; =>This Inner Loop Header: Depth=1
	s_or_b32 s34, s34, exec_lo
	s_cmp_eq_u64 s[4:5], s[6:7]
	s_cbranch_scc0 .LBB837_67
; %bb.70:                               ;   in Loop: Header=BB837_69 Depth=1
	s_mov_b64 s[6:7], s[14:15]
                                        ; implicit-def: $vgpr19_vgpr20
                                        ; implicit-def: $vgpr21_vgpr22
	s_branch .LBB837_68
.LBB837_71:
	s_set_inst_prefetch_distance 0x2
	s_or_b32 exec_lo, exec_lo, s31
	v_cmp_gt_i64_e32 vcc_lo, s[14:15], v[25:26]
	s_or_not1_b32 s31, vcc_lo, exec_lo
.LBB837_72:
	s_or_b32 exec_lo, exec_lo, s33
.LBB837_73:
	v_mul_lo_u32 v21, v16, s14
	v_mul_lo_u32 v22, v15, s15
	v_mad_u64_u32 v[19:20], null, v15, s14, 0
	s_and_not1_b32 vcc_lo, exec_lo, s26
	s_delay_alu instid0(VALU_DEP_1) | instskip(NEXT) | instid1(VALU_DEP_1)
	v_add3_u32 v20, v20, v22, v21
	v_lshlrev_b64 v[21:22], 3, v[19:20]
	s_cbranch_vccnz .LBB837_82
; %bb.74:
	s_delay_alu instid0(VALU_DEP_1) | instskip(NEXT) | instid1(VALU_DEP_2)
	v_add_co_u32 v25, vcc_lo, s16, v21
	v_add_co_ci_u32_e32 v26, vcc_lo, s17, v22, vcc_lo
	v_add_co_u32 v19, vcc_lo, s16, v23
	v_add_co_ci_u32_e32 v20, vcc_lo, s17, v24, vcc_lo
	s_mov_b32 s30, -1
	s_clause 0x1
	global_load_b64 v[23:24], v[25:26], off
	global_load_b64 v[28:29], v[19:20], off
	s_mov_b32 s33, exec_lo
	s_waitcnt vmcnt(0)
	v_cmpx_eq_f64_e32 v[23:24], v[28:29]
	s_cbranch_execz .LBB837_81
; %bb.75:
	v_add_co_u32 v19, vcc_lo, v19, 8
	v_add_co_ci_u32_e32 v20, vcc_lo, 0, v20, vcc_lo
	v_add_co_u32 v23, vcc_lo, v25, 8
	v_add_co_ci_u32_e32 v24, vcc_lo, 0, v26, vcc_lo
	s_add_u32 s4, s14, -1
	s_addc_u32 s5, s15, -1
	s_mov_b64 s[6:7], 0
	s_mov_b32 s30, 0
                                        ; implicit-def: $sgpr34
	s_set_inst_prefetch_distance 0x1
	s_branch .LBB837_78
	.p2align	6
.LBB837_76:                             ;   in Loop: Header=BB837_78 Depth=1
	global_load_b64 v[25:26], v[23:24], off
	global_load_b64 v[28:29], v[19:20], off
	v_add_co_u32 v19, s0, v19, 8
	s_delay_alu instid0(VALU_DEP_1) | instskip(SKIP_1) | instid1(VALU_DEP_1)
	v_add_co_ci_u32_e64 v20, s0, 0, v20, s0
	v_add_co_u32 v23, s0, v23, 8
	v_add_co_ci_u32_e64 v24, s0, 0, v24, s0
	s_add_u32 s6, s6, 1
	s_addc_u32 s7, s7, 0
	s_and_not1_b32 s0, s34, exec_lo
	s_waitcnt vmcnt(0)
	v_cmp_neq_f64_e32 vcc_lo, v[25:26], v[28:29]
	s_and_b32 s34, vcc_lo, exec_lo
	s_delay_alu instid0(SALU_CYCLE_1)
	s_or_b32 s34, s0, s34
.LBB837_77:                             ;   in Loop: Header=BB837_78 Depth=1
	v_dual_mov_b32 v26, s7 :: v_dual_mov_b32 v25, s6
	s_and_b32 s0, exec_lo, s34
	s_delay_alu instid0(SALU_CYCLE_1) | instskip(NEXT) | instid1(SALU_CYCLE_1)
	s_or_b32 s30, s0, s30
	s_and_not1_b32 exec_lo, exec_lo, s30
	s_cbranch_execz .LBB837_80
.LBB837_78:                             ; =>This Inner Loop Header: Depth=1
	s_or_b32 s34, s34, exec_lo
	s_cmp_eq_u64 s[4:5], s[6:7]
	s_cbranch_scc0 .LBB837_76
; %bb.79:                               ;   in Loop: Header=BB837_78 Depth=1
	s_mov_b64 s[6:7], s[14:15]
                                        ; implicit-def: $vgpr19_vgpr20
                                        ; implicit-def: $vgpr23_vgpr24
	s_branch .LBB837_77
.LBB837_80:
	s_set_inst_prefetch_distance 0x2
	s_or_b32 exec_lo, exec_lo, s30
	v_cmp_gt_i64_e32 vcc_lo, s[14:15], v[25:26]
	s_or_not1_b32 s30, vcc_lo, exec_lo
.LBB837_81:
	s_or_b32 exec_lo, exec_lo, s33
.LBB837_82:
	v_mul_lo_u32 v23, v14, s14
	v_mul_lo_u32 v24, v13, s15
	v_mad_u64_u32 v[19:20], null, v13, s14, 0
	s_and_not1_b32 vcc_lo, exec_lo, s26
	s_mov_b32 s0, 0
	s_delay_alu instid0(VALU_DEP_1) | instskip(NEXT) | instid1(VALU_DEP_1)
	v_add3_u32 v20, v20, v24, v23
	v_lshlrev_b64 v[19:20], 3, v[19:20]
	s_cbranch_vccnz .LBB837_91
; %bb.83:
	s_delay_alu instid0(VALU_DEP_1) | instskip(NEXT) | instid1(VALU_DEP_2)
	v_add_co_u32 v23, vcc_lo, s16, v19
	v_add_co_ci_u32_e32 v24, vcc_lo, s17, v20, vcc_lo
	v_add_co_u32 v21, vcc_lo, s16, v21
	v_add_co_ci_u32_e32 v22, vcc_lo, s17, v22, vcc_lo
	s_mov_b32 s0, -1
	s_clause 0x1
	global_load_b64 v[25:26], v[23:24], off
	global_load_b64 v[28:29], v[21:22], off
	s_mov_b32 s33, exec_lo
	s_waitcnt vmcnt(0)
	v_cmpx_eq_f64_e32 v[25:26], v[28:29]
	s_cbranch_execz .LBB837_90
; %bb.84:
	v_add_co_u32 v21, vcc_lo, v21, 8
	v_add_co_ci_u32_e32 v22, vcc_lo, 0, v22, vcc_lo
	v_add_co_u32 v23, vcc_lo, v23, 8
	v_add_co_ci_u32_e32 v24, vcc_lo, 0, v24, vcc_lo
	s_add_u32 s4, s14, -1
	s_addc_u32 s5, s15, -1
	s_mov_b64 s[6:7], 0
	s_mov_b32 s34, 0
                                        ; implicit-def: $sgpr35
	s_set_inst_prefetch_distance 0x1
	s_branch .LBB837_87
	.p2align	6
.LBB837_85:                             ;   in Loop: Header=BB837_87 Depth=1
	global_load_b64 v[25:26], v[23:24], off
	global_load_b64 v[28:29], v[21:22], off
	v_add_co_u32 v21, s0, v21, 8
	s_delay_alu instid0(VALU_DEP_1) | instskip(SKIP_1) | instid1(VALU_DEP_1)
	v_add_co_ci_u32_e64 v22, s0, 0, v22, s0
	v_add_co_u32 v23, s0, v23, 8
	v_add_co_ci_u32_e64 v24, s0, 0, v24, s0
	s_add_u32 s6, s6, 1
	s_addc_u32 s7, s7, 0
	s_and_not1_b32 s0, s35, exec_lo
	s_waitcnt vmcnt(0)
	v_cmp_neq_f64_e32 vcc_lo, v[25:26], v[28:29]
	s_and_b32 s35, vcc_lo, exec_lo
	s_delay_alu instid0(SALU_CYCLE_1)
	s_or_b32 s35, s0, s35
.LBB837_86:                             ;   in Loop: Header=BB837_87 Depth=1
	v_dual_mov_b32 v26, s7 :: v_dual_mov_b32 v25, s6
	s_and_b32 s0, exec_lo, s35
	s_delay_alu instid0(SALU_CYCLE_1) | instskip(NEXT) | instid1(SALU_CYCLE_1)
	s_or_b32 s34, s0, s34
	s_and_not1_b32 exec_lo, exec_lo, s34
	s_cbranch_execz .LBB837_89
.LBB837_87:                             ; =>This Inner Loop Header: Depth=1
	s_or_b32 s35, s35, exec_lo
	s_cmp_eq_u64 s[4:5], s[6:7]
	s_cbranch_scc0 .LBB837_85
; %bb.88:                               ;   in Loop: Header=BB837_87 Depth=1
	s_mov_b64 s[6:7], s[14:15]
                                        ; implicit-def: $vgpr21_vgpr22
                                        ; implicit-def: $vgpr23_vgpr24
	s_branch .LBB837_86
.LBB837_89:
	s_set_inst_prefetch_distance 0x2
	s_or_b32 exec_lo, exec_lo, s34
	v_cmp_gt_i64_e32 vcc_lo, s[14:15], v[25:26]
	s_or_not1_b32 s0, vcc_lo, exec_lo
.LBB837_90:
	s_or_b32 exec_lo, exec_lo, s33
.LBB837_91:
	s_waitcnt vmcnt(0)
	v_dual_mov_b32 v22, v18 :: v_dual_mov_b32 v21, v17
	s_waitcnt lgkmcnt(0)
	s_barrier
	buffer_gl0_inv
	s_and_saveexec_b32 s4, s3
	s_cbranch_execz .LBB837_93
; %bb.92:
	v_add_nc_u32_e32 v21, -8, v39
	ds_load_b64 v[21:22], v21
.LBB837_93:
	s_or_b32 exec_lo, exec_lo, s4
	v_cndmask_b32_e64 v24, 0, 1, s31
	v_cndmask_b32_e64 v26, 0, 1, s29
	v_cndmask_b32_e64 v28, 0, 1, s27
	v_cndmask_b32_e64 v23, 0, 1, s30
	v_cndmask_b32_e64 v25, 0, 1, s28
	v_cndmask_b32_e64 v29, 0, 1, s0
	v_cndmask_b32_e64 v30, 0, 1, s25
	v_lshlrev_b16 v24, 8, v24
	v_lshlrev_b16 v26, 8, v26
	;; [unrolled: 1-line block ×4, first 2 shown]
	s_mov_b32 s25, 0
	v_or_b32_e32 v23, v23, v24
	v_or_b32_e32 v24, v25, v26
	;; [unrolled: 1-line block ×3, first 2 shown]
	v_and_b32_e32 v25, 0xffff, v29
	s_and_not1_b32 vcc_lo, exec_lo, s26
	v_lshlrev_b32_e32 v26, 16, v23
	v_and_b32_e32 v28, 0xffff, v24
	v_lshlrev_b32_e32 v29, 16, v30
	s_mov_b32 s0, 0
	s_cbranch_vccnz .LBB837_102
; %bb.94:
	s_waitcnt lgkmcnt(0)
	v_mul_lo_u32 v24, v22, s14
	v_mul_lo_u32 v30, v21, s15
	v_mad_u64_u32 v[22:23], null, v21, s14, 0
	s_mov_b32 s0, -1
	s_mov_b32 s27, exec_lo
	s_delay_alu instid0(VALU_DEP_1) | instskip(NEXT) | instid1(VALU_DEP_1)
	v_add3_u32 v23, v23, v30, v24
	v_lshlrev_b64 v[21:22], 3, v[22:23]
	s_delay_alu instid0(VALU_DEP_1) | instskip(NEXT) | instid1(VALU_DEP_2)
	v_add_co_u32 v21, vcc_lo, s16, v21
	v_add_co_ci_u32_e32 v22, vcc_lo, s17, v22, vcc_lo
	v_add_co_u32 v19, vcc_lo, s16, v19
	v_add_co_ci_u32_e32 v20, vcc_lo, s17, v20, vcc_lo
	s_clause 0x1
	global_load_b64 v[23:24], v[21:22], off
	global_load_b64 v[30:31], v[19:20], off
	s_waitcnt vmcnt(0)
	v_cmpx_eq_f64_e32 v[23:24], v[30:31]
	s_cbranch_execz .LBB837_101
; %bb.95:
	v_add_co_u32 v19, vcc_lo, v19, 8
	v_add_co_ci_u32_e32 v20, vcc_lo, 0, v20, vcc_lo
	v_add_co_u32 v21, vcc_lo, v21, 8
	v_add_co_ci_u32_e32 v22, vcc_lo, 0, v22, vcc_lo
	s_add_u32 s4, s14, -1
	s_addc_u32 s5, s15, -1
	s_mov_b64 s[6:7], 0
	s_mov_b32 s28, 0
                                        ; implicit-def: $sgpr29
	s_set_inst_prefetch_distance 0x1
	s_branch .LBB837_98
	.p2align	6
.LBB837_96:                             ;   in Loop: Header=BB837_98 Depth=1
	global_load_b64 v[23:24], v[21:22], off
	global_load_b64 v[30:31], v[19:20], off
	v_add_co_u32 v19, s0, v19, 8
	s_delay_alu instid0(VALU_DEP_1) | instskip(SKIP_1) | instid1(VALU_DEP_1)
	v_add_co_ci_u32_e64 v20, s0, 0, v20, s0
	v_add_co_u32 v21, s0, v21, 8
	v_add_co_ci_u32_e64 v22, s0, 0, v22, s0
	s_add_u32 s6, s6, 1
	s_addc_u32 s7, s7, 0
	s_and_not1_b32 s0, s29, exec_lo
	s_waitcnt vmcnt(0)
	v_cmp_neq_f64_e32 vcc_lo, v[23:24], v[30:31]
	s_and_b32 s29, vcc_lo, exec_lo
	s_delay_alu instid0(SALU_CYCLE_1)
	s_or_b32 s29, s0, s29
.LBB837_97:                             ;   in Loop: Header=BB837_98 Depth=1
	v_dual_mov_b32 v24, s7 :: v_dual_mov_b32 v23, s6
	s_and_b32 s0, exec_lo, s29
	s_delay_alu instid0(SALU_CYCLE_1) | instskip(NEXT) | instid1(SALU_CYCLE_1)
	s_or_b32 s28, s0, s28
	s_and_not1_b32 exec_lo, exec_lo, s28
	s_cbranch_execz .LBB837_100
.LBB837_98:                             ; =>This Inner Loop Header: Depth=1
	s_or_b32 s29, s29, exec_lo
	s_cmp_eq_u64 s[4:5], s[6:7]
	s_cbranch_scc0 .LBB837_96
; %bb.99:                               ;   in Loop: Header=BB837_98 Depth=1
	s_mov_b64 s[6:7], s[14:15]
                                        ; implicit-def: $vgpr19_vgpr20
                                        ; implicit-def: $vgpr21_vgpr22
	s_branch .LBB837_97
.LBB837_100:
	s_set_inst_prefetch_distance 0x2
	s_or_b32 exec_lo, exec_lo, s28
	v_cmp_gt_i64_e32 vcc_lo, s[14:15], v[23:24]
	s_or_not1_b32 s0, vcc_lo, exec_lo
.LBB837_101:
	s_or_b32 exec_lo, exec_lo, s27
.LBB837_102:
	v_or_b32_e32 v19, v25, v26
	s_delay_alu instid0(VALU_DEP_2)
	v_or_b32_e32 v20, v28, v29
	s_and_b32 vcc_lo, exec_lo, s25
	s_cbranch_vccz .LBB837_194
.LBB837_103:
	v_or_b32_e32 v19, 7, v39
	s_mov_b32 s25, 0
	s_mov_b32 s27, 0
	s_mov_b32 s28, exec_lo
	s_delay_alu instid0(VALU_DEP_1)
	v_cmpx_gt_u32_e64 s12, v19
	s_cbranch_execz .LBB837_114
; %bb.104:
	s_and_not1_b32 vcc_lo, exec_lo, s26
	s_mov_b32 s0, 0
	s_cbranch_vccnz .LBB837_113
; %bb.105:
	v_mul_lo_u32 v23, v2, s14
	v_mul_lo_u32 v24, v1, s15
	v_mad_u64_u32 v[19:20], null, v1, s14, 0
	v_mul_lo_u32 v25, v4, s14
	v_mul_lo_u32 v26, v3, s15
	s_waitcnt lgkmcnt(0)
	v_mad_u64_u32 v[21:22], null, v3, s14, 0
	s_mov_b32 s0, -1
	s_mov_b32 s26, exec_lo
	s_delay_alu instid0(VALU_DEP_4) | instskip(NEXT) | instid1(VALU_DEP_2)
	v_add3_u32 v20, v20, v24, v23
	v_add3_u32 v22, v22, v26, v25
	s_delay_alu instid0(VALU_DEP_2) | instskip(NEXT) | instid1(VALU_DEP_2)
	v_lshlrev_b64 v[19:20], 3, v[19:20]
	v_lshlrev_b64 v[23:24], 3, v[21:22]
	s_delay_alu instid0(VALU_DEP_2) | instskip(NEXT) | instid1(VALU_DEP_3)
	v_add_co_u32 v21, vcc_lo, s16, v19
	v_add_co_ci_u32_e32 v22, vcc_lo, s17, v20, vcc_lo
	s_delay_alu instid0(VALU_DEP_3) | instskip(NEXT) | instid1(VALU_DEP_4)
	v_add_co_u32 v19, vcc_lo, s16, v23
	v_add_co_ci_u32_e32 v20, vcc_lo, s17, v24, vcc_lo
	s_clause 0x1
	global_load_b64 v[23:24], v[21:22], off
	global_load_b64 v[25:26], v[19:20], off
	s_waitcnt vmcnt(0)
	v_cmpx_eq_f64_e32 v[23:24], v[25:26]
	s_cbranch_execz .LBB837_112
; %bb.106:
	v_add_co_u32 v19, vcc_lo, v19, 8
	v_add_co_ci_u32_e32 v20, vcc_lo, 0, v20, vcc_lo
	v_add_co_u32 v21, vcc_lo, v21, 8
	v_add_co_ci_u32_e32 v22, vcc_lo, 0, v22, vcc_lo
	s_add_u32 s4, s14, -1
	s_addc_u32 s5, s15, -1
	s_mov_b64 s[6:7], 0
                                        ; implicit-def: $sgpr29
	s_set_inst_prefetch_distance 0x1
	s_branch .LBB837_109
	.p2align	6
.LBB837_107:                            ;   in Loop: Header=BB837_109 Depth=1
	global_load_b64 v[23:24], v[21:22], off
	global_load_b64 v[25:26], v[19:20], off
	v_add_co_u32 v19, s0, v19, 8
	s_delay_alu instid0(VALU_DEP_1) | instskip(SKIP_1) | instid1(VALU_DEP_1)
	v_add_co_ci_u32_e64 v20, s0, 0, v20, s0
	v_add_co_u32 v21, s0, v21, 8
	v_add_co_ci_u32_e64 v22, s0, 0, v22, s0
	s_add_u32 s6, s6, 1
	s_addc_u32 s7, s7, 0
	s_and_not1_b32 s0, s29, exec_lo
	s_waitcnt vmcnt(0)
	v_cmp_neq_f64_e32 vcc_lo, v[23:24], v[25:26]
	s_and_b32 s29, vcc_lo, exec_lo
	s_delay_alu instid0(SALU_CYCLE_1)
	s_or_b32 s29, s0, s29
.LBB837_108:                            ;   in Loop: Header=BB837_109 Depth=1
	v_dual_mov_b32 v24, s7 :: v_dual_mov_b32 v23, s6
	s_and_b32 s0, exec_lo, s29
	s_delay_alu instid0(SALU_CYCLE_1) | instskip(NEXT) | instid1(SALU_CYCLE_1)
	s_or_b32 s27, s0, s27
	s_and_not1_b32 exec_lo, exec_lo, s27
	s_cbranch_execz .LBB837_111
.LBB837_109:                            ; =>This Inner Loop Header: Depth=1
	s_or_b32 s29, s29, exec_lo
	s_cmp_eq_u64 s[4:5], s[6:7]
	s_cbranch_scc0 .LBB837_107
; %bb.110:                              ;   in Loop: Header=BB837_109 Depth=1
	s_mov_b64 s[6:7], s[14:15]
                                        ; implicit-def: $vgpr19_vgpr20
                                        ; implicit-def: $vgpr21_vgpr22
	s_branch .LBB837_108
.LBB837_111:
	s_set_inst_prefetch_distance 0x2
	s_or_b32 exec_lo, exec_lo, s27
	v_cmp_gt_i64_e32 vcc_lo, s[14:15], v[23:24]
	s_or_not1_b32 s0, vcc_lo, exec_lo
.LBB837_112:
	s_or_b32 exec_lo, exec_lo, s26
.LBB837_113:
	s_delay_alu instid0(SALU_CYCLE_1)
	s_and_b32 s27, s0, exec_lo
.LBB837_114:
	s_or_b32 exec_lo, exec_lo, s28
	v_or_b32_e32 v19, 6, v39
	s_mov_b32 s26, exec_lo
	s_delay_alu instid0(VALU_DEP_1)
	v_cmpx_gt_u32_e64 s12, v19
	s_cbranch_execz .LBB837_125
; %bb.115:
	v_cmp_ne_u32_e32 vcc_lo, 1, v27
	s_mov_b32 s0, 0
	s_cbranch_vccnz .LBB837_124
; %bb.116:
	v_mul_lo_u32 v23, v8, s14
	v_mul_lo_u32 v24, v7, s15
	v_mad_u64_u32 v[19:20], null, v7, s14, 0
	v_mul_lo_u32 v25, v2, s14
	v_mul_lo_u32 v26, v1, s15
	s_waitcnt lgkmcnt(0)
	v_mad_u64_u32 v[21:22], null, v1, s14, 0
	s_mov_b32 s0, -1
	s_mov_b32 s25, exec_lo
	s_delay_alu instid0(VALU_DEP_4) | instskip(NEXT) | instid1(VALU_DEP_2)
	v_add3_u32 v20, v20, v24, v23
	v_add3_u32 v22, v22, v26, v25
	s_delay_alu instid0(VALU_DEP_2) | instskip(NEXT) | instid1(VALU_DEP_2)
	v_lshlrev_b64 v[19:20], 3, v[19:20]
	v_lshlrev_b64 v[23:24], 3, v[21:22]
	s_delay_alu instid0(VALU_DEP_2) | instskip(NEXT) | instid1(VALU_DEP_3)
	v_add_co_u32 v21, vcc_lo, s16, v19
	v_add_co_ci_u32_e32 v22, vcc_lo, s17, v20, vcc_lo
	s_delay_alu instid0(VALU_DEP_3) | instskip(NEXT) | instid1(VALU_DEP_4)
	v_add_co_u32 v19, vcc_lo, s16, v23
	v_add_co_ci_u32_e32 v20, vcc_lo, s17, v24, vcc_lo
	s_clause 0x1
	global_load_b64 v[23:24], v[21:22], off
	global_load_b64 v[25:26], v[19:20], off
	s_waitcnt vmcnt(0)
	v_cmpx_eq_f64_e32 v[23:24], v[25:26]
	s_cbranch_execz .LBB837_123
; %bb.117:
	v_add_co_u32 v19, vcc_lo, v19, 8
	v_add_co_ci_u32_e32 v20, vcc_lo, 0, v20, vcc_lo
	v_add_co_u32 v21, vcc_lo, v21, 8
	v_add_co_ci_u32_e32 v22, vcc_lo, 0, v22, vcc_lo
	s_add_u32 s4, s14, -1
	s_addc_u32 s5, s15, -1
	s_mov_b64 s[6:7], 0
	s_mov_b32 s28, 0
                                        ; implicit-def: $sgpr29
	s_set_inst_prefetch_distance 0x1
	s_branch .LBB837_120
	.p2align	6
.LBB837_118:                            ;   in Loop: Header=BB837_120 Depth=1
	global_load_b64 v[23:24], v[21:22], off
	global_load_b64 v[25:26], v[19:20], off
	v_add_co_u32 v19, s0, v19, 8
	s_delay_alu instid0(VALU_DEP_1) | instskip(SKIP_1) | instid1(VALU_DEP_1)
	v_add_co_ci_u32_e64 v20, s0, 0, v20, s0
	v_add_co_u32 v21, s0, v21, 8
	v_add_co_ci_u32_e64 v22, s0, 0, v22, s0
	s_add_u32 s6, s6, 1
	s_addc_u32 s7, s7, 0
	s_and_not1_b32 s0, s29, exec_lo
	s_waitcnt vmcnt(0)
	v_cmp_neq_f64_e32 vcc_lo, v[23:24], v[25:26]
	s_and_b32 s29, vcc_lo, exec_lo
	s_delay_alu instid0(SALU_CYCLE_1)
	s_or_b32 s29, s0, s29
.LBB837_119:                            ;   in Loop: Header=BB837_120 Depth=1
	v_dual_mov_b32 v24, s7 :: v_dual_mov_b32 v23, s6
	s_and_b32 s0, exec_lo, s29
	s_delay_alu instid0(SALU_CYCLE_1) | instskip(NEXT) | instid1(SALU_CYCLE_1)
	s_or_b32 s28, s0, s28
	s_and_not1_b32 exec_lo, exec_lo, s28
	s_cbranch_execz .LBB837_122
.LBB837_120:                            ; =>This Inner Loop Header: Depth=1
	s_or_b32 s29, s29, exec_lo
	s_cmp_eq_u64 s[4:5], s[6:7]
	s_cbranch_scc0 .LBB837_118
; %bb.121:                              ;   in Loop: Header=BB837_120 Depth=1
	s_mov_b64 s[6:7], s[14:15]
                                        ; implicit-def: $vgpr19_vgpr20
                                        ; implicit-def: $vgpr21_vgpr22
	s_branch .LBB837_119
.LBB837_122:
	s_set_inst_prefetch_distance 0x2
	s_or_b32 exec_lo, exec_lo, s28
	v_cmp_gt_i64_e32 vcc_lo, s[14:15], v[23:24]
	s_or_not1_b32 s0, vcc_lo, exec_lo
.LBB837_123:
	s_or_b32 exec_lo, exec_lo, s25
.LBB837_124:
	s_delay_alu instid0(SALU_CYCLE_1)
	s_and_b32 s25, s0, exec_lo
.LBB837_125:
	s_or_b32 exec_lo, exec_lo, s26
	v_or_b32_e32 v19, 5, v39
	s_mov_b32 s28, 0
	s_mov_b32 s26, 0
	s_mov_b32 s29, exec_lo
	s_delay_alu instid0(VALU_DEP_1)
	v_cmpx_gt_u32_e64 s12, v19
	s_cbranch_execz .LBB837_136
; %bb.126:
	v_cmp_ne_u32_e32 vcc_lo, 1, v27
	s_mov_b32 s0, 0
	s_cbranch_vccnz .LBB837_135
; %bb.127:
	v_mul_lo_u32 v23, v6, s14
	v_mul_lo_u32 v24, v5, s15
	v_mad_u64_u32 v[19:20], null, v5, s14, 0
	v_mul_lo_u32 v25, v8, s14
	v_mul_lo_u32 v26, v7, s15
	s_waitcnt lgkmcnt(0)
	v_mad_u64_u32 v[21:22], null, v7, s14, 0
	s_mov_b32 s0, -1
	s_mov_b32 s26, exec_lo
	s_delay_alu instid0(VALU_DEP_4) | instskip(NEXT) | instid1(VALU_DEP_2)
	v_add3_u32 v20, v20, v24, v23
	v_add3_u32 v22, v22, v26, v25
	s_delay_alu instid0(VALU_DEP_2) | instskip(NEXT) | instid1(VALU_DEP_2)
	v_lshlrev_b64 v[19:20], 3, v[19:20]
	v_lshlrev_b64 v[23:24], 3, v[21:22]
	s_delay_alu instid0(VALU_DEP_2) | instskip(NEXT) | instid1(VALU_DEP_3)
	v_add_co_u32 v21, vcc_lo, s16, v19
	v_add_co_ci_u32_e32 v22, vcc_lo, s17, v20, vcc_lo
	s_delay_alu instid0(VALU_DEP_3) | instskip(NEXT) | instid1(VALU_DEP_4)
	v_add_co_u32 v19, vcc_lo, s16, v23
	v_add_co_ci_u32_e32 v20, vcc_lo, s17, v24, vcc_lo
	s_clause 0x1
	global_load_b64 v[23:24], v[21:22], off
	global_load_b64 v[25:26], v[19:20], off
	s_waitcnt vmcnt(0)
	v_cmpx_eq_f64_e32 v[23:24], v[25:26]
	s_cbranch_execz .LBB837_134
; %bb.128:
	v_add_co_u32 v19, vcc_lo, v19, 8
	v_add_co_ci_u32_e32 v20, vcc_lo, 0, v20, vcc_lo
	v_add_co_u32 v21, vcc_lo, v21, 8
	v_add_co_ci_u32_e32 v22, vcc_lo, 0, v22, vcc_lo
	s_add_u32 s4, s14, -1
	s_addc_u32 s5, s15, -1
	s_mov_b64 s[6:7], 0
	s_mov_b32 s30, 0
                                        ; implicit-def: $sgpr31
	s_set_inst_prefetch_distance 0x1
	s_branch .LBB837_131
	.p2align	6
.LBB837_129:                            ;   in Loop: Header=BB837_131 Depth=1
	global_load_b64 v[23:24], v[21:22], off
	global_load_b64 v[25:26], v[19:20], off
	v_add_co_u32 v19, s0, v19, 8
	s_delay_alu instid0(VALU_DEP_1) | instskip(SKIP_1) | instid1(VALU_DEP_1)
	v_add_co_ci_u32_e64 v20, s0, 0, v20, s0
	v_add_co_u32 v21, s0, v21, 8
	v_add_co_ci_u32_e64 v22, s0, 0, v22, s0
	s_add_u32 s6, s6, 1
	s_addc_u32 s7, s7, 0
	s_and_not1_b32 s0, s31, exec_lo
	s_waitcnt vmcnt(0)
	v_cmp_neq_f64_e32 vcc_lo, v[23:24], v[25:26]
	s_and_b32 s31, vcc_lo, exec_lo
	s_delay_alu instid0(SALU_CYCLE_1)
	s_or_b32 s31, s0, s31
.LBB837_130:                            ;   in Loop: Header=BB837_131 Depth=1
	v_dual_mov_b32 v24, s7 :: v_dual_mov_b32 v23, s6
	s_and_b32 s0, exec_lo, s31
	s_delay_alu instid0(SALU_CYCLE_1) | instskip(NEXT) | instid1(SALU_CYCLE_1)
	s_or_b32 s30, s0, s30
	s_and_not1_b32 exec_lo, exec_lo, s30
	s_cbranch_execz .LBB837_133
.LBB837_131:                            ; =>This Inner Loop Header: Depth=1
	s_or_b32 s31, s31, exec_lo
	s_cmp_eq_u64 s[4:5], s[6:7]
	s_cbranch_scc0 .LBB837_129
; %bb.132:                              ;   in Loop: Header=BB837_131 Depth=1
	s_mov_b64 s[6:7], s[14:15]
                                        ; implicit-def: $vgpr19_vgpr20
                                        ; implicit-def: $vgpr21_vgpr22
	s_branch .LBB837_130
.LBB837_133:
	s_set_inst_prefetch_distance 0x2
	s_or_b32 exec_lo, exec_lo, s30
	v_cmp_gt_i64_e32 vcc_lo, s[14:15], v[23:24]
	s_or_not1_b32 s0, vcc_lo, exec_lo
.LBB837_134:
	s_or_b32 exec_lo, exec_lo, s26
.LBB837_135:
	s_delay_alu instid0(SALU_CYCLE_1)
	s_and_b32 s26, s0, exec_lo
.LBB837_136:
	s_or_b32 exec_lo, exec_lo, s29
	v_or_b32_e32 v19, 4, v39
	s_mov_b32 s29, exec_lo
	s_delay_alu instid0(VALU_DEP_1)
	v_cmpx_gt_u32_e64 s12, v19
	s_cbranch_execz .LBB837_147
; %bb.137:
	v_cmp_ne_u32_e32 vcc_lo, 1, v27
	s_mov_b32 s0, 0
	s_cbranch_vccnz .LBB837_146
; %bb.138:
	v_mul_lo_u32 v23, v12, s14
	v_mul_lo_u32 v24, v11, s15
	v_mad_u64_u32 v[19:20], null, v11, s14, 0
	v_mul_lo_u32 v25, v6, s14
	v_mul_lo_u32 v26, v5, s15
	s_waitcnt lgkmcnt(0)
	v_mad_u64_u32 v[21:22], null, v5, s14, 0
	s_mov_b32 s0, -1
	s_mov_b32 s28, exec_lo
	s_delay_alu instid0(VALU_DEP_4) | instskip(NEXT) | instid1(VALU_DEP_2)
	v_add3_u32 v20, v20, v24, v23
	v_add3_u32 v22, v22, v26, v25
	s_delay_alu instid0(VALU_DEP_2) | instskip(NEXT) | instid1(VALU_DEP_2)
	v_lshlrev_b64 v[19:20], 3, v[19:20]
	v_lshlrev_b64 v[23:24], 3, v[21:22]
	s_delay_alu instid0(VALU_DEP_2) | instskip(NEXT) | instid1(VALU_DEP_3)
	v_add_co_u32 v21, vcc_lo, s16, v19
	v_add_co_ci_u32_e32 v22, vcc_lo, s17, v20, vcc_lo
	s_delay_alu instid0(VALU_DEP_3) | instskip(NEXT) | instid1(VALU_DEP_4)
	v_add_co_u32 v19, vcc_lo, s16, v23
	v_add_co_ci_u32_e32 v20, vcc_lo, s17, v24, vcc_lo
	s_clause 0x1
	global_load_b64 v[23:24], v[21:22], off
	global_load_b64 v[25:26], v[19:20], off
	s_waitcnt vmcnt(0)
	v_cmpx_eq_f64_e32 v[23:24], v[25:26]
	s_cbranch_execz .LBB837_145
; %bb.139:
	v_add_co_u32 v19, vcc_lo, v19, 8
	v_add_co_ci_u32_e32 v20, vcc_lo, 0, v20, vcc_lo
	v_add_co_u32 v21, vcc_lo, v21, 8
	v_add_co_ci_u32_e32 v22, vcc_lo, 0, v22, vcc_lo
	s_add_u32 s4, s14, -1
	s_addc_u32 s5, s15, -1
	s_mov_b64 s[6:7], 0
	s_mov_b32 s30, 0
                                        ; implicit-def: $sgpr31
	s_set_inst_prefetch_distance 0x1
	s_branch .LBB837_142
	.p2align	6
.LBB837_140:                            ;   in Loop: Header=BB837_142 Depth=1
	global_load_b64 v[23:24], v[21:22], off
	global_load_b64 v[25:26], v[19:20], off
	v_add_co_u32 v19, s0, v19, 8
	s_delay_alu instid0(VALU_DEP_1) | instskip(SKIP_1) | instid1(VALU_DEP_1)
	v_add_co_ci_u32_e64 v20, s0, 0, v20, s0
	v_add_co_u32 v21, s0, v21, 8
	v_add_co_ci_u32_e64 v22, s0, 0, v22, s0
	s_add_u32 s6, s6, 1
	s_addc_u32 s7, s7, 0
	s_and_not1_b32 s0, s31, exec_lo
	s_waitcnt vmcnt(0)
	v_cmp_neq_f64_e32 vcc_lo, v[23:24], v[25:26]
	s_and_b32 s31, vcc_lo, exec_lo
	s_delay_alu instid0(SALU_CYCLE_1)
	s_or_b32 s31, s0, s31
.LBB837_141:                            ;   in Loop: Header=BB837_142 Depth=1
	v_dual_mov_b32 v24, s7 :: v_dual_mov_b32 v23, s6
	s_and_b32 s0, exec_lo, s31
	s_delay_alu instid0(SALU_CYCLE_1) | instskip(NEXT) | instid1(SALU_CYCLE_1)
	s_or_b32 s30, s0, s30
	s_and_not1_b32 exec_lo, exec_lo, s30
	s_cbranch_execz .LBB837_144
.LBB837_142:                            ; =>This Inner Loop Header: Depth=1
	s_or_b32 s31, s31, exec_lo
	s_cmp_eq_u64 s[4:5], s[6:7]
	s_cbranch_scc0 .LBB837_140
; %bb.143:                              ;   in Loop: Header=BB837_142 Depth=1
	s_mov_b64 s[6:7], s[14:15]
                                        ; implicit-def: $vgpr19_vgpr20
                                        ; implicit-def: $vgpr21_vgpr22
	s_branch .LBB837_141
.LBB837_144:
	s_set_inst_prefetch_distance 0x2
	s_or_b32 exec_lo, exec_lo, s30
	v_cmp_gt_i64_e32 vcc_lo, s[14:15], v[23:24]
	s_or_not1_b32 s0, vcc_lo, exec_lo
.LBB837_145:
	s_or_b32 exec_lo, exec_lo, s28
.LBB837_146:
	s_delay_alu instid0(SALU_CYCLE_1)
	s_and_b32 s28, s0, exec_lo
.LBB837_147:
	s_or_b32 exec_lo, exec_lo, s29
	v_or_b32_e32 v19, 3, v39
	s_mov_b32 s30, 0
	s_mov_b32 s29, 0
	s_mov_b32 s31, exec_lo
	s_delay_alu instid0(VALU_DEP_1)
	v_cmpx_gt_u32_e64 s12, v19
	s_cbranch_execz .LBB837_158
; %bb.148:
	v_cmp_ne_u32_e32 vcc_lo, 1, v27
	s_mov_b32 s0, 0
	s_cbranch_vccnz .LBB837_157
; %bb.149:
	v_mul_lo_u32 v23, v10, s14
	v_mul_lo_u32 v24, v9, s15
	v_mad_u64_u32 v[19:20], null, v9, s14, 0
	v_mul_lo_u32 v25, v12, s14
	v_mul_lo_u32 v26, v11, s15
	s_waitcnt lgkmcnt(0)
	v_mad_u64_u32 v[21:22], null, v11, s14, 0
	s_mov_b32 s0, -1
	s_mov_b32 s29, exec_lo
	s_delay_alu instid0(VALU_DEP_4) | instskip(NEXT) | instid1(VALU_DEP_2)
	v_add3_u32 v20, v20, v24, v23
	v_add3_u32 v22, v22, v26, v25
	s_delay_alu instid0(VALU_DEP_2) | instskip(NEXT) | instid1(VALU_DEP_2)
	v_lshlrev_b64 v[19:20], 3, v[19:20]
	v_lshlrev_b64 v[23:24], 3, v[21:22]
	s_delay_alu instid0(VALU_DEP_2) | instskip(NEXT) | instid1(VALU_DEP_3)
	v_add_co_u32 v21, vcc_lo, s16, v19
	v_add_co_ci_u32_e32 v22, vcc_lo, s17, v20, vcc_lo
	s_delay_alu instid0(VALU_DEP_3) | instskip(NEXT) | instid1(VALU_DEP_4)
	v_add_co_u32 v19, vcc_lo, s16, v23
	v_add_co_ci_u32_e32 v20, vcc_lo, s17, v24, vcc_lo
	s_clause 0x1
	global_load_b64 v[23:24], v[21:22], off
	global_load_b64 v[25:26], v[19:20], off
	s_waitcnt vmcnt(0)
	v_cmpx_eq_f64_e32 v[23:24], v[25:26]
	s_cbranch_execz .LBB837_156
; %bb.150:
	v_add_co_u32 v19, vcc_lo, v19, 8
	v_add_co_ci_u32_e32 v20, vcc_lo, 0, v20, vcc_lo
	v_add_co_u32 v21, vcc_lo, v21, 8
	v_add_co_ci_u32_e32 v22, vcc_lo, 0, v22, vcc_lo
	s_add_u32 s4, s14, -1
	s_addc_u32 s5, s15, -1
	s_mov_b64 s[6:7], 0
	s_mov_b32 s33, 0
                                        ; implicit-def: $sgpr34
	s_set_inst_prefetch_distance 0x1
	s_branch .LBB837_153
	.p2align	6
.LBB837_151:                            ;   in Loop: Header=BB837_153 Depth=1
	global_load_b64 v[23:24], v[21:22], off
	global_load_b64 v[25:26], v[19:20], off
	v_add_co_u32 v19, s0, v19, 8
	s_delay_alu instid0(VALU_DEP_1) | instskip(SKIP_1) | instid1(VALU_DEP_1)
	v_add_co_ci_u32_e64 v20, s0, 0, v20, s0
	v_add_co_u32 v21, s0, v21, 8
	v_add_co_ci_u32_e64 v22, s0, 0, v22, s0
	s_add_u32 s6, s6, 1
	s_addc_u32 s7, s7, 0
	s_and_not1_b32 s0, s34, exec_lo
	s_waitcnt vmcnt(0)
	v_cmp_neq_f64_e32 vcc_lo, v[23:24], v[25:26]
	s_and_b32 s34, vcc_lo, exec_lo
	s_delay_alu instid0(SALU_CYCLE_1)
	s_or_b32 s34, s0, s34
.LBB837_152:                            ;   in Loop: Header=BB837_153 Depth=1
	v_dual_mov_b32 v24, s7 :: v_dual_mov_b32 v23, s6
	s_and_b32 s0, exec_lo, s34
	s_delay_alu instid0(SALU_CYCLE_1) | instskip(NEXT) | instid1(SALU_CYCLE_1)
	s_or_b32 s33, s0, s33
	s_and_not1_b32 exec_lo, exec_lo, s33
	s_cbranch_execz .LBB837_155
.LBB837_153:                            ; =>This Inner Loop Header: Depth=1
	s_or_b32 s34, s34, exec_lo
	s_cmp_eq_u64 s[4:5], s[6:7]
	s_cbranch_scc0 .LBB837_151
; %bb.154:                              ;   in Loop: Header=BB837_153 Depth=1
	s_mov_b64 s[6:7], s[14:15]
                                        ; implicit-def: $vgpr19_vgpr20
                                        ; implicit-def: $vgpr21_vgpr22
	s_branch .LBB837_152
.LBB837_155:
	s_set_inst_prefetch_distance 0x2
	s_or_b32 exec_lo, exec_lo, s33
	v_cmp_gt_i64_e32 vcc_lo, s[14:15], v[23:24]
	s_or_not1_b32 s0, vcc_lo, exec_lo
.LBB837_156:
	s_or_b32 exec_lo, exec_lo, s29
.LBB837_157:
	s_delay_alu instid0(SALU_CYCLE_1)
	s_and_b32 s29, s0, exec_lo
.LBB837_158:
	s_or_b32 exec_lo, exec_lo, s31
	v_or_b32_e32 v19, 2, v39
	s_mov_b32 s31, exec_lo
	s_delay_alu instid0(VALU_DEP_1)
	v_cmpx_gt_u32_e64 s12, v19
	s_cbranch_execz .LBB837_169
; %bb.159:
	v_cmp_ne_u32_e32 vcc_lo, 1, v27
	s_mov_b32 s0, 0
	s_cbranch_vccnz .LBB837_168
; %bb.160:
	v_mul_lo_u32 v23, v16, s14
	v_mul_lo_u32 v24, v15, s15
	v_mad_u64_u32 v[19:20], null, v15, s14, 0
	v_mul_lo_u32 v25, v10, s14
	v_mul_lo_u32 v26, v9, s15
	s_waitcnt lgkmcnt(0)
	v_mad_u64_u32 v[21:22], null, v9, s14, 0
	s_mov_b32 s0, -1
	s_mov_b32 s30, exec_lo
	s_delay_alu instid0(VALU_DEP_4) | instskip(NEXT) | instid1(VALU_DEP_2)
	v_add3_u32 v20, v20, v24, v23
	v_add3_u32 v22, v22, v26, v25
	s_delay_alu instid0(VALU_DEP_2) | instskip(NEXT) | instid1(VALU_DEP_2)
	v_lshlrev_b64 v[19:20], 3, v[19:20]
	v_lshlrev_b64 v[23:24], 3, v[21:22]
	s_delay_alu instid0(VALU_DEP_2) | instskip(NEXT) | instid1(VALU_DEP_3)
	v_add_co_u32 v21, vcc_lo, s16, v19
	v_add_co_ci_u32_e32 v22, vcc_lo, s17, v20, vcc_lo
	s_delay_alu instid0(VALU_DEP_3) | instskip(NEXT) | instid1(VALU_DEP_4)
	v_add_co_u32 v19, vcc_lo, s16, v23
	v_add_co_ci_u32_e32 v20, vcc_lo, s17, v24, vcc_lo
	s_clause 0x1
	global_load_b64 v[23:24], v[21:22], off
	global_load_b64 v[25:26], v[19:20], off
	s_waitcnt vmcnt(0)
	v_cmpx_eq_f64_e32 v[23:24], v[25:26]
	s_cbranch_execz .LBB837_167
; %bb.161:
	v_add_co_u32 v19, vcc_lo, v19, 8
	v_add_co_ci_u32_e32 v20, vcc_lo, 0, v20, vcc_lo
	v_add_co_u32 v21, vcc_lo, v21, 8
	v_add_co_ci_u32_e32 v22, vcc_lo, 0, v22, vcc_lo
	s_add_u32 s4, s14, -1
	s_addc_u32 s5, s15, -1
	s_mov_b64 s[6:7], 0
	s_mov_b32 s33, 0
                                        ; implicit-def: $sgpr34
	s_set_inst_prefetch_distance 0x1
	s_branch .LBB837_164
	.p2align	6
.LBB837_162:                            ;   in Loop: Header=BB837_164 Depth=1
	global_load_b64 v[23:24], v[21:22], off
	global_load_b64 v[25:26], v[19:20], off
	v_add_co_u32 v19, s0, v19, 8
	s_delay_alu instid0(VALU_DEP_1) | instskip(SKIP_1) | instid1(VALU_DEP_1)
	v_add_co_ci_u32_e64 v20, s0, 0, v20, s0
	v_add_co_u32 v21, s0, v21, 8
	v_add_co_ci_u32_e64 v22, s0, 0, v22, s0
	s_add_u32 s6, s6, 1
	s_addc_u32 s7, s7, 0
	s_and_not1_b32 s0, s34, exec_lo
	s_waitcnt vmcnt(0)
	v_cmp_neq_f64_e32 vcc_lo, v[23:24], v[25:26]
	s_and_b32 s34, vcc_lo, exec_lo
	s_delay_alu instid0(SALU_CYCLE_1)
	s_or_b32 s34, s0, s34
.LBB837_163:                            ;   in Loop: Header=BB837_164 Depth=1
	v_dual_mov_b32 v24, s7 :: v_dual_mov_b32 v23, s6
	s_and_b32 s0, exec_lo, s34
	s_delay_alu instid0(SALU_CYCLE_1) | instskip(NEXT) | instid1(SALU_CYCLE_1)
	s_or_b32 s33, s0, s33
	s_and_not1_b32 exec_lo, exec_lo, s33
	s_cbranch_execz .LBB837_166
.LBB837_164:                            ; =>This Inner Loop Header: Depth=1
	s_or_b32 s34, s34, exec_lo
	s_cmp_eq_u64 s[4:5], s[6:7]
	s_cbranch_scc0 .LBB837_162
; %bb.165:                              ;   in Loop: Header=BB837_164 Depth=1
	s_mov_b64 s[6:7], s[14:15]
                                        ; implicit-def: $vgpr19_vgpr20
                                        ; implicit-def: $vgpr21_vgpr22
	s_branch .LBB837_163
.LBB837_166:
	s_set_inst_prefetch_distance 0x2
	s_or_b32 exec_lo, exec_lo, s33
	v_cmp_gt_i64_e32 vcc_lo, s[14:15], v[23:24]
	s_or_not1_b32 s0, vcc_lo, exec_lo
.LBB837_167:
	s_or_b32 exec_lo, exec_lo, s30
.LBB837_168:
	s_delay_alu instid0(SALU_CYCLE_1)
	s_and_b32 s30, s0, exec_lo
.LBB837_169:
	s_or_b32 exec_lo, exec_lo, s31
	v_or_b32_e32 v19, 1, v39
	s_mov_b32 s0, 0
	s_mov_b32 s31, exec_lo
	s_delay_alu instid0(VALU_DEP_1)
	v_cmpx_gt_u32_e64 s12, v19
	s_cbranch_execz .LBB837_180
; %bb.170:
	v_cmp_ne_u32_e32 vcc_lo, 1, v27
	s_cbranch_vccnz .LBB837_179
; %bb.171:
	v_mul_lo_u32 v23, v14, s14
	v_mul_lo_u32 v24, v13, s15
	v_mad_u64_u32 v[19:20], null, v13, s14, 0
	v_mul_lo_u32 v25, v16, s14
	v_mul_lo_u32 v26, v15, s15
	s_waitcnt lgkmcnt(0)
	v_mad_u64_u32 v[21:22], null, v15, s14, 0
	s_mov_b32 s0, -1
	s_mov_b32 s33, exec_lo
	s_delay_alu instid0(VALU_DEP_4) | instskip(NEXT) | instid1(VALU_DEP_2)
	v_add3_u32 v20, v20, v24, v23
	v_add3_u32 v22, v22, v26, v25
	s_delay_alu instid0(VALU_DEP_2) | instskip(NEXT) | instid1(VALU_DEP_2)
	v_lshlrev_b64 v[19:20], 3, v[19:20]
	v_lshlrev_b64 v[23:24], 3, v[21:22]
	s_delay_alu instid0(VALU_DEP_2) | instskip(NEXT) | instid1(VALU_DEP_3)
	v_add_co_u32 v21, vcc_lo, s16, v19
	v_add_co_ci_u32_e32 v22, vcc_lo, s17, v20, vcc_lo
	s_delay_alu instid0(VALU_DEP_3) | instskip(NEXT) | instid1(VALU_DEP_4)
	v_add_co_u32 v19, vcc_lo, s16, v23
	v_add_co_ci_u32_e32 v20, vcc_lo, s17, v24, vcc_lo
	s_clause 0x1
	global_load_b64 v[23:24], v[21:22], off
	global_load_b64 v[25:26], v[19:20], off
	s_waitcnt vmcnt(0)
	v_cmpx_eq_f64_e32 v[23:24], v[25:26]
	s_cbranch_execz .LBB837_178
; %bb.172:
	v_add_co_u32 v19, vcc_lo, v19, 8
	v_add_co_ci_u32_e32 v20, vcc_lo, 0, v20, vcc_lo
	v_add_co_u32 v21, vcc_lo, v21, 8
	v_add_co_ci_u32_e32 v22, vcc_lo, 0, v22, vcc_lo
	s_add_u32 s4, s14, -1
	s_addc_u32 s5, s15, -1
	s_mov_b64 s[6:7], 0
	s_mov_b32 s34, 0
                                        ; implicit-def: $sgpr35
	s_set_inst_prefetch_distance 0x1
	s_branch .LBB837_175
	.p2align	6
.LBB837_173:                            ;   in Loop: Header=BB837_175 Depth=1
	global_load_b64 v[23:24], v[21:22], off
	global_load_b64 v[25:26], v[19:20], off
	v_add_co_u32 v19, s0, v19, 8
	s_delay_alu instid0(VALU_DEP_1) | instskip(SKIP_1) | instid1(VALU_DEP_1)
	v_add_co_ci_u32_e64 v20, s0, 0, v20, s0
	v_add_co_u32 v21, s0, v21, 8
	v_add_co_ci_u32_e64 v22, s0, 0, v22, s0
	s_add_u32 s6, s6, 1
	s_addc_u32 s7, s7, 0
	s_and_not1_b32 s0, s35, exec_lo
	s_waitcnt vmcnt(0)
	v_cmp_neq_f64_e32 vcc_lo, v[23:24], v[25:26]
	s_and_b32 s35, vcc_lo, exec_lo
	s_delay_alu instid0(SALU_CYCLE_1)
	s_or_b32 s35, s0, s35
.LBB837_174:                            ;   in Loop: Header=BB837_175 Depth=1
	v_dual_mov_b32 v24, s7 :: v_dual_mov_b32 v23, s6
	s_and_b32 s0, exec_lo, s35
	s_delay_alu instid0(SALU_CYCLE_1) | instskip(NEXT) | instid1(SALU_CYCLE_1)
	s_or_b32 s34, s0, s34
	s_and_not1_b32 exec_lo, exec_lo, s34
	s_cbranch_execz .LBB837_177
.LBB837_175:                            ; =>This Inner Loop Header: Depth=1
	s_or_b32 s35, s35, exec_lo
	s_cmp_eq_u64 s[4:5], s[6:7]
	s_cbranch_scc0 .LBB837_173
; %bb.176:                              ;   in Loop: Header=BB837_175 Depth=1
	s_mov_b64 s[6:7], s[14:15]
                                        ; implicit-def: $vgpr19_vgpr20
                                        ; implicit-def: $vgpr21_vgpr22
	s_branch .LBB837_174
.LBB837_177:
	s_set_inst_prefetch_distance 0x2
	s_or_b32 exec_lo, exec_lo, s34
	v_cmp_gt_i64_e32 vcc_lo, s[14:15], v[23:24]
	s_or_not1_b32 s0, vcc_lo, exec_lo
.LBB837_178:
	s_or_b32 exec_lo, exec_lo, s33
.LBB837_179:
	s_delay_alu instid0(SALU_CYCLE_1)
	s_and_b32 s0, s0, exec_lo
.LBB837_180:
	s_or_b32 exec_lo, exec_lo, s31
	s_waitcnt vmcnt(0) lgkmcnt(0)
	s_barrier
	buffer_gl0_inv
	s_and_saveexec_b32 s4, s3
	s_cbranch_execz .LBB837_182
; %bb.181:
	v_add_nc_u32_e32 v17, -8, v39
	ds_load_b64 v[17:18], v17
.LBB837_182:
	s_or_b32 exec_lo, exec_lo, s4
	v_cndmask_b32_e64 v20, 0, 1, s29
	v_cndmask_b32_e64 v22, 0, 1, s26
	;; [unrolled: 1-line block ×7, first 2 shown]
	v_lshlrev_b16 v20, 8, v20
	v_lshlrev_b16 v22, 8, v22
	;; [unrolled: 1-line block ×3, first 2 shown]
	s_mov_b32 s0, 0
	v_lshlrev_b16 v25, 8, v25
	v_or_b32_e32 v19, v19, v20
	v_or_b32_e32 v20, v21, v22
	;; [unrolled: 1-line block ×3, first 2 shown]
	s_mov_b32 s25, exec_lo
	v_and_b32_e32 v23, 0xffff, v25
	v_lshlrev_b32_e32 v24, 16, v19
	v_and_b32_e32 v25, 0xffff, v20
	v_lshlrev_b32_e32 v26, 16, v21
	v_cmpx_gt_u32_e64 s12, v39
	s_cbranch_execz .LBB837_193
; %bb.183:
	v_cmp_ne_u32_e32 vcc_lo, 1, v27
	s_cbranch_vccnz .LBB837_192
; %bb.184:
	s_waitcnt lgkmcnt(0)
	v_mul_lo_u32 v22, v18, s14
	v_mul_lo_u32 v27, v17, s15
	v_mad_u64_u32 v[18:19], null, v17, s14, 0
	v_mul_lo_u32 v17, v14, s14
	v_mul_lo_u32 v28, v13, s15
	v_mad_u64_u32 v[20:21], null, v13, s14, 0
	s_mov_b32 s0, -1
	s_mov_b32 s26, exec_lo
	s_delay_alu instid0(VALU_DEP_4) | instskip(NEXT) | instid1(VALU_DEP_2)
	v_add3_u32 v19, v19, v27, v22
	v_add3_u32 v21, v21, v28, v17
	s_delay_alu instid0(VALU_DEP_2) | instskip(NEXT) | instid1(VALU_DEP_2)
	v_lshlrev_b64 v[17:18], 3, v[18:19]
	v_lshlrev_b64 v[21:22], 3, v[20:21]
	s_delay_alu instid0(VALU_DEP_2) | instskip(NEXT) | instid1(VALU_DEP_3)
	v_add_co_u32 v19, vcc_lo, s16, v17
	v_add_co_ci_u32_e32 v20, vcc_lo, s17, v18, vcc_lo
	s_delay_alu instid0(VALU_DEP_3) | instskip(NEXT) | instid1(VALU_DEP_4)
	v_add_co_u32 v17, vcc_lo, s16, v21
	v_add_co_ci_u32_e32 v18, vcc_lo, s17, v22, vcc_lo
	s_clause 0x1
	global_load_b64 v[21:22], v[19:20], off
	global_load_b64 v[27:28], v[17:18], off
	s_waitcnt vmcnt(0)
	v_cmpx_eq_f64_e32 v[21:22], v[27:28]
	s_cbranch_execz .LBB837_191
; %bb.185:
	v_add_co_u32 v17, vcc_lo, v17, 8
	v_add_co_ci_u32_e32 v18, vcc_lo, 0, v18, vcc_lo
	v_add_co_u32 v19, vcc_lo, v19, 8
	v_add_co_ci_u32_e32 v20, vcc_lo, 0, v20, vcc_lo
	s_add_u32 s4, s14, -1
	s_addc_u32 s5, s15, -1
	s_mov_b64 s[6:7], 0
	s_mov_b32 s27, 0
                                        ; implicit-def: $sgpr28
	s_set_inst_prefetch_distance 0x1
	s_branch .LBB837_188
	.p2align	6
.LBB837_186:                            ;   in Loop: Header=BB837_188 Depth=1
	global_load_b64 v[21:22], v[19:20], off
	global_load_b64 v[27:28], v[17:18], off
	v_add_co_u32 v17, s0, v17, 8
	s_delay_alu instid0(VALU_DEP_1) | instskip(SKIP_1) | instid1(VALU_DEP_1)
	v_add_co_ci_u32_e64 v18, s0, 0, v18, s0
	v_add_co_u32 v19, s0, v19, 8
	v_add_co_ci_u32_e64 v20, s0, 0, v20, s0
	s_add_u32 s6, s6, 1
	s_addc_u32 s7, s7, 0
	s_and_not1_b32 s0, s28, exec_lo
	s_waitcnt vmcnt(0)
	v_cmp_neq_f64_e32 vcc_lo, v[21:22], v[27:28]
	s_and_b32 s28, vcc_lo, exec_lo
	s_delay_alu instid0(SALU_CYCLE_1)
	s_or_b32 s28, s0, s28
.LBB837_187:                            ;   in Loop: Header=BB837_188 Depth=1
	v_dual_mov_b32 v22, s7 :: v_dual_mov_b32 v21, s6
	s_and_b32 s0, exec_lo, s28
	s_delay_alu instid0(SALU_CYCLE_1) | instskip(NEXT) | instid1(SALU_CYCLE_1)
	s_or_b32 s27, s0, s27
	s_and_not1_b32 exec_lo, exec_lo, s27
	s_cbranch_execz .LBB837_190
.LBB837_188:                            ; =>This Inner Loop Header: Depth=1
	s_or_b32 s28, s28, exec_lo
	s_cmp_eq_u64 s[4:5], s[6:7]
	s_cbranch_scc0 .LBB837_186
; %bb.189:                              ;   in Loop: Header=BB837_188 Depth=1
	s_mov_b64 s[6:7], s[14:15]
                                        ; implicit-def: $vgpr17_vgpr18
                                        ; implicit-def: $vgpr19_vgpr20
	s_branch .LBB837_187
.LBB837_190:
	s_set_inst_prefetch_distance 0x2
	s_or_b32 exec_lo, exec_lo, s27
	v_cmp_gt_i64_e32 vcc_lo, s[14:15], v[21:22]
	s_or_not1_b32 s0, vcc_lo, exec_lo
.LBB837_191:
	s_or_b32 exec_lo, exec_lo, s26
.LBB837_192:
	s_delay_alu instid0(SALU_CYCLE_1)
	s_and_b32 s0, s0, exec_lo
.LBB837_193:
	s_or_b32 exec_lo, exec_lo, s25
	v_or_b32_e32 v19, v23, v24
	v_or_b32_e32 v20, v25, v26
.LBB837_194:
	s_mov_b32 s25, -1
	s_cbranch_execnz .LBB837_363
.LBB837_195:
	v_cmp_gt_i64_e64 s26, s[14:15], 0
	s_and_b32 vcc_lo, exec_lo, s22
	ds_store_b64 v39, v[3:4]
	s_cbranch_vccz .LBB837_203
; %bb.196:
	v_mul_lo_u32 v19, v2, s14
	v_mul_lo_u32 v20, v1, s15
	s_waitcnt vmcnt(0) lgkmcnt(1)
	v_mad_u64_u32 v[17:18], null, v1, s14, 0
	s_mov_b32 s27, 0
	s_and_not1_b32 vcc_lo, exec_lo, s26
	s_mov_b32 s28, 0
	s_delay_alu instid0(VALU_DEP_1) | instskip(NEXT) | instid1(VALU_DEP_1)
	v_add3_u32 v18, v18, v20, v19
	v_lshlrev_b64 v[17:18], 3, v[17:18]
	s_cbranch_vccnz .LBB837_206
; %bb.197:
	v_mul_lo_u32 v21, v4, s14
	v_mul_lo_u32 v22, v3, s15
	v_mad_u64_u32 v[19:20], null, v3, s14, 0
	s_mov_b32 s28, -1
	s_mov_b32 s29, exec_lo
	s_delay_alu instid0(VALU_DEP_1) | instskip(SKIP_2) | instid1(VALU_DEP_3)
	v_add3_u32 v20, v20, v22, v21
	v_add_co_u32 v21, vcc_lo, s16, v17
	v_add_co_ci_u32_e32 v22, vcc_lo, s17, v18, vcc_lo
	v_lshlrev_b64 v[19:20], 3, v[19:20]
	s_delay_alu instid0(VALU_DEP_1) | instskip(NEXT) | instid1(VALU_DEP_2)
	v_add_co_u32 v19, vcc_lo, s16, v19
	v_add_co_ci_u32_e32 v20, vcc_lo, s17, v20, vcc_lo
	s_clause 0x1
	global_load_b64 v[23:24], v[21:22], off
	global_load_b64 v[25:26], v[19:20], off
	s_waitcnt vmcnt(0)
	v_cmpx_eq_f64_e32 v[23:24], v[25:26]
	s_cbranch_execz .LBB837_205
; %bb.198:
	v_add_co_u32 v19, vcc_lo, v19, 8
	v_add_co_ci_u32_e32 v20, vcc_lo, 0, v20, vcc_lo
	v_add_co_u32 v21, vcc_lo, v21, 8
	v_add_co_ci_u32_e32 v22, vcc_lo, 0, v22, vcc_lo
	s_add_u32 s4, s14, -1
	s_addc_u32 s5, s15, -1
	s_mov_b64 s[6:7], 0
	s_mov_b32 s28, 0
                                        ; implicit-def: $sgpr30
	s_set_inst_prefetch_distance 0x1
	s_branch .LBB837_201
	.p2align	6
.LBB837_199:                            ;   in Loop: Header=BB837_201 Depth=1
	global_load_b64 v[23:24], v[21:22], off
	global_load_b64 v[25:26], v[19:20], off
	v_add_co_u32 v19, s0, v19, 8
	s_delay_alu instid0(VALU_DEP_1) | instskip(SKIP_1) | instid1(VALU_DEP_1)
	v_add_co_ci_u32_e64 v20, s0, 0, v20, s0
	v_add_co_u32 v21, s0, v21, 8
	v_add_co_ci_u32_e64 v22, s0, 0, v22, s0
	s_add_u32 s6, s6, 1
	s_addc_u32 s7, s7, 0
	s_and_not1_b32 s0, s30, exec_lo
	s_waitcnt vmcnt(0)
	v_cmp_neq_f64_e32 vcc_lo, v[23:24], v[25:26]
	s_and_b32 s30, vcc_lo, exec_lo
	s_delay_alu instid0(SALU_CYCLE_1)
	s_or_b32 s30, s0, s30
.LBB837_200:                            ;   in Loop: Header=BB837_201 Depth=1
	v_dual_mov_b32 v24, s7 :: v_dual_mov_b32 v23, s6
	s_and_b32 s0, exec_lo, s30
	s_delay_alu instid0(SALU_CYCLE_1) | instskip(NEXT) | instid1(SALU_CYCLE_1)
	s_or_b32 s28, s0, s28
	s_and_not1_b32 exec_lo, exec_lo, s28
	s_cbranch_execz .LBB837_204
.LBB837_201:                            ; =>This Inner Loop Header: Depth=1
	s_or_b32 s30, s30, exec_lo
	s_cmp_eq_u64 s[4:5], s[6:7]
	s_cbranch_scc0 .LBB837_199
; %bb.202:                              ;   in Loop: Header=BB837_201 Depth=1
	s_mov_b64 s[6:7], s[14:15]
                                        ; implicit-def: $vgpr19_vgpr20
                                        ; implicit-def: $vgpr21_vgpr22
	s_branch .LBB837_200
.LBB837_203:
                                        ; implicit-def: $sgpr0
                                        ; implicit-def: $vgpr20
	s_cbranch_execnz .LBB837_272
	s_branch .LBB837_363
.LBB837_204:
	s_set_inst_prefetch_distance 0x2
	s_or_b32 exec_lo, exec_lo, s28
	v_cmp_gt_i64_e32 vcc_lo, s[14:15], v[23:24]
	s_or_not1_b32 s28, vcc_lo, exec_lo
.LBB837_205:
	s_or_b32 exec_lo, exec_lo, s29
.LBB837_206:
	v_mul_lo_u32 v21, v8, s14
	v_mul_lo_u32 v22, v7, s15
	v_mad_u64_u32 v[19:20], null, v7, s14, 0
	s_and_not1_b32 vcc_lo, exec_lo, s26
	s_delay_alu instid0(VALU_DEP_1) | instskip(NEXT) | instid1(VALU_DEP_1)
	v_add3_u32 v20, v20, v22, v21
	v_lshlrev_b64 v[19:20], 3, v[19:20]
	s_cbranch_vccnz .LBB837_215
; %bb.207:
	s_delay_alu instid0(VALU_DEP_1) | instskip(NEXT) | instid1(VALU_DEP_2)
	v_add_co_u32 v21, vcc_lo, s16, v19
	v_add_co_ci_u32_e32 v22, vcc_lo, s17, v20, vcc_lo
	v_add_co_u32 v17, vcc_lo, s16, v17
	v_add_co_ci_u32_e32 v18, vcc_lo, s17, v18, vcc_lo
	s_mov_b32 s27, -1
	s_clause 0x1
	global_load_b64 v[23:24], v[21:22], off
	global_load_b64 v[25:26], v[17:18], off
	s_mov_b32 s29, exec_lo
	s_waitcnt vmcnt(0)
	v_cmpx_eq_f64_e32 v[23:24], v[25:26]
	s_cbranch_execz .LBB837_214
; %bb.208:
	v_add_co_u32 v17, vcc_lo, v17, 8
	v_add_co_ci_u32_e32 v18, vcc_lo, 0, v18, vcc_lo
	v_add_co_u32 v21, vcc_lo, v21, 8
	v_add_co_ci_u32_e32 v22, vcc_lo, 0, v22, vcc_lo
	s_add_u32 s4, s14, -1
	s_addc_u32 s5, s15, -1
	s_mov_b64 s[6:7], 0
	s_mov_b32 s27, 0
                                        ; implicit-def: $sgpr30
	s_set_inst_prefetch_distance 0x1
	s_branch .LBB837_211
	.p2align	6
.LBB837_209:                            ;   in Loop: Header=BB837_211 Depth=1
	global_load_b64 v[23:24], v[21:22], off
	global_load_b64 v[25:26], v[17:18], off
	v_add_co_u32 v17, s0, v17, 8
	s_delay_alu instid0(VALU_DEP_1) | instskip(SKIP_1) | instid1(VALU_DEP_1)
	v_add_co_ci_u32_e64 v18, s0, 0, v18, s0
	v_add_co_u32 v21, s0, v21, 8
	v_add_co_ci_u32_e64 v22, s0, 0, v22, s0
	s_add_u32 s6, s6, 1
	s_addc_u32 s7, s7, 0
	s_and_not1_b32 s0, s30, exec_lo
	s_waitcnt vmcnt(0)
	v_cmp_neq_f64_e32 vcc_lo, v[23:24], v[25:26]
	s_and_b32 s30, vcc_lo, exec_lo
	s_delay_alu instid0(SALU_CYCLE_1)
	s_or_b32 s30, s0, s30
.LBB837_210:                            ;   in Loop: Header=BB837_211 Depth=1
	v_dual_mov_b32 v24, s7 :: v_dual_mov_b32 v23, s6
	s_and_b32 s0, exec_lo, s30
	s_delay_alu instid0(SALU_CYCLE_1) | instskip(NEXT) | instid1(SALU_CYCLE_1)
	s_or_b32 s27, s0, s27
	s_and_not1_b32 exec_lo, exec_lo, s27
	s_cbranch_execz .LBB837_213
.LBB837_211:                            ; =>This Inner Loop Header: Depth=1
	s_or_b32 s30, s30, exec_lo
	s_cmp_eq_u64 s[4:5], s[6:7]
	s_cbranch_scc0 .LBB837_209
; %bb.212:                              ;   in Loop: Header=BB837_211 Depth=1
	s_mov_b64 s[6:7], s[14:15]
                                        ; implicit-def: $vgpr17_vgpr18
                                        ; implicit-def: $vgpr21_vgpr22
	s_branch .LBB837_210
.LBB837_213:
	s_set_inst_prefetch_distance 0x2
	s_or_b32 exec_lo, exec_lo, s27
	v_cmp_gt_i64_e32 vcc_lo, s[14:15], v[23:24]
	s_or_not1_b32 s27, vcc_lo, exec_lo
.LBB837_214:
	s_or_b32 exec_lo, exec_lo, s29
.LBB837_215:
	v_mul_lo_u32 v21, v6, s14
	v_mul_lo_u32 v22, v5, s15
	v_mad_u64_u32 v[17:18], null, v5, s14, 0
	s_mov_b32 s29, 0
	s_and_not1_b32 vcc_lo, exec_lo, s26
	s_mov_b32 s30, 0
	s_delay_alu instid0(VALU_DEP_1) | instskip(NEXT) | instid1(VALU_DEP_1)
	v_add3_u32 v18, v18, v22, v21
	v_lshlrev_b64 v[21:22], 3, v[17:18]
	s_cbranch_vccnz .LBB837_224
; %bb.216:
	s_delay_alu instid0(VALU_DEP_1) | instskip(NEXT) | instid1(VALU_DEP_2)
	v_add_co_u32 v23, vcc_lo, s16, v21
	v_add_co_ci_u32_e32 v24, vcc_lo, s17, v22, vcc_lo
	v_add_co_u32 v17, vcc_lo, s16, v19
	v_add_co_ci_u32_e32 v18, vcc_lo, s17, v20, vcc_lo
	s_mov_b32 s30, -1
	s_clause 0x1
	global_load_b64 v[19:20], v[23:24], off
	global_load_b64 v[25:26], v[17:18], off
	s_mov_b32 s31, exec_lo
	s_waitcnt vmcnt(0)
	v_cmpx_eq_f64_e32 v[19:20], v[25:26]
	s_cbranch_execz .LBB837_223
; %bb.217:
	v_add_co_u32 v17, vcc_lo, v17, 8
	v_add_co_ci_u32_e32 v18, vcc_lo, 0, v18, vcc_lo
	v_add_co_u32 v19, vcc_lo, v23, 8
	v_add_co_ci_u32_e32 v20, vcc_lo, 0, v24, vcc_lo
	s_add_u32 s4, s14, -1
	s_addc_u32 s5, s15, -1
	s_mov_b64 s[6:7], 0
	s_mov_b32 s30, 0
                                        ; implicit-def: $sgpr33
	s_set_inst_prefetch_distance 0x1
	s_branch .LBB837_220
	.p2align	6
.LBB837_218:                            ;   in Loop: Header=BB837_220 Depth=1
	global_load_b64 v[23:24], v[19:20], off
	global_load_b64 v[25:26], v[17:18], off
	v_add_co_u32 v17, s0, v17, 8
	s_delay_alu instid0(VALU_DEP_1) | instskip(SKIP_1) | instid1(VALU_DEP_1)
	v_add_co_ci_u32_e64 v18, s0, 0, v18, s0
	v_add_co_u32 v19, s0, v19, 8
	v_add_co_ci_u32_e64 v20, s0, 0, v20, s0
	s_add_u32 s6, s6, 1
	s_addc_u32 s7, s7, 0
	s_and_not1_b32 s0, s33, exec_lo
	s_waitcnt vmcnt(0)
	v_cmp_neq_f64_e32 vcc_lo, v[23:24], v[25:26]
	s_and_b32 s33, vcc_lo, exec_lo
	s_delay_alu instid0(SALU_CYCLE_1)
	s_or_b32 s33, s0, s33
.LBB837_219:                            ;   in Loop: Header=BB837_220 Depth=1
	v_dual_mov_b32 v24, s7 :: v_dual_mov_b32 v23, s6
	s_and_b32 s0, exec_lo, s33
	s_delay_alu instid0(SALU_CYCLE_1) | instskip(NEXT) | instid1(SALU_CYCLE_1)
	s_or_b32 s30, s0, s30
	s_and_not1_b32 exec_lo, exec_lo, s30
	s_cbranch_execz .LBB837_222
.LBB837_220:                            ; =>This Inner Loop Header: Depth=1
	s_or_b32 s33, s33, exec_lo
	s_cmp_eq_u64 s[4:5], s[6:7]
	s_cbranch_scc0 .LBB837_218
; %bb.221:                              ;   in Loop: Header=BB837_220 Depth=1
	s_mov_b64 s[6:7], s[14:15]
                                        ; implicit-def: $vgpr17_vgpr18
                                        ; implicit-def: $vgpr19_vgpr20
	s_branch .LBB837_219
.LBB837_222:
	s_set_inst_prefetch_distance 0x2
	s_or_b32 exec_lo, exec_lo, s30
	v_cmp_gt_i64_e32 vcc_lo, s[14:15], v[23:24]
	s_or_not1_b32 s30, vcc_lo, exec_lo
.LBB837_223:
	s_or_b32 exec_lo, exec_lo, s31
.LBB837_224:
	v_mul_lo_u32 v19, v12, s14
	v_mul_lo_u32 v20, v11, s15
	v_mad_u64_u32 v[17:18], null, v11, s14, 0
	s_and_not1_b32 vcc_lo, exec_lo, s26
	s_delay_alu instid0(VALU_DEP_1) | instskip(NEXT) | instid1(VALU_DEP_1)
	v_add3_u32 v18, v18, v20, v19
	v_lshlrev_b64 v[17:18], 3, v[17:18]
	s_cbranch_vccnz .LBB837_233
; %bb.225:
	s_delay_alu instid0(VALU_DEP_1) | instskip(NEXT) | instid1(VALU_DEP_2)
	v_add_co_u32 v23, vcc_lo, s16, v17
	v_add_co_ci_u32_e32 v24, vcc_lo, s17, v18, vcc_lo
	v_add_co_u32 v19, vcc_lo, s16, v21
	v_add_co_ci_u32_e32 v20, vcc_lo, s17, v22, vcc_lo
	s_mov_b32 s29, -1
	s_clause 0x1
	global_load_b64 v[21:22], v[23:24], off
	global_load_b64 v[25:26], v[19:20], off
	s_mov_b32 s31, exec_lo
	s_waitcnt vmcnt(0)
	v_cmpx_eq_f64_e32 v[21:22], v[25:26]
	s_cbranch_execz .LBB837_232
; %bb.226:
	v_add_co_u32 v19, vcc_lo, v19, 8
	v_add_co_ci_u32_e32 v20, vcc_lo, 0, v20, vcc_lo
	v_add_co_u32 v21, vcc_lo, v23, 8
	v_add_co_ci_u32_e32 v22, vcc_lo, 0, v24, vcc_lo
	s_add_u32 s4, s14, -1
	s_addc_u32 s5, s15, -1
	s_mov_b64 s[6:7], 0
	s_mov_b32 s29, 0
                                        ; implicit-def: $sgpr33
	s_set_inst_prefetch_distance 0x1
	s_branch .LBB837_229
	.p2align	6
.LBB837_227:                            ;   in Loop: Header=BB837_229 Depth=1
	global_load_b64 v[23:24], v[21:22], off
	global_load_b64 v[25:26], v[19:20], off
	v_add_co_u32 v19, s0, v19, 8
	s_delay_alu instid0(VALU_DEP_1) | instskip(SKIP_1) | instid1(VALU_DEP_1)
	v_add_co_ci_u32_e64 v20, s0, 0, v20, s0
	v_add_co_u32 v21, s0, v21, 8
	v_add_co_ci_u32_e64 v22, s0, 0, v22, s0
	s_add_u32 s6, s6, 1
	s_addc_u32 s7, s7, 0
	s_and_not1_b32 s0, s33, exec_lo
	s_waitcnt vmcnt(0)
	v_cmp_neq_f64_e32 vcc_lo, v[23:24], v[25:26]
	s_and_b32 s33, vcc_lo, exec_lo
	s_delay_alu instid0(SALU_CYCLE_1)
	s_or_b32 s33, s0, s33
.LBB837_228:                            ;   in Loop: Header=BB837_229 Depth=1
	v_dual_mov_b32 v24, s7 :: v_dual_mov_b32 v23, s6
	s_and_b32 s0, exec_lo, s33
	s_delay_alu instid0(SALU_CYCLE_1) | instskip(NEXT) | instid1(SALU_CYCLE_1)
	s_or_b32 s29, s0, s29
	s_and_not1_b32 exec_lo, exec_lo, s29
	s_cbranch_execz .LBB837_231
.LBB837_229:                            ; =>This Inner Loop Header: Depth=1
	s_or_b32 s33, s33, exec_lo
	s_cmp_eq_u64 s[4:5], s[6:7]
	s_cbranch_scc0 .LBB837_227
; %bb.230:                              ;   in Loop: Header=BB837_229 Depth=1
	s_mov_b64 s[6:7], s[14:15]
                                        ; implicit-def: $vgpr19_vgpr20
                                        ; implicit-def: $vgpr21_vgpr22
	s_branch .LBB837_228
.LBB837_231:
	s_set_inst_prefetch_distance 0x2
	s_or_b32 exec_lo, exec_lo, s29
	v_cmp_gt_i64_e32 vcc_lo, s[14:15], v[23:24]
	s_or_not1_b32 s29, vcc_lo, exec_lo
.LBB837_232:
	s_or_b32 exec_lo, exec_lo, s31
.LBB837_233:
	v_mul_lo_u32 v21, v10, s14
	v_mul_lo_u32 v22, v9, s15
	v_mad_u64_u32 v[19:20], null, v9, s14, 0
	s_mov_b32 s31, 0
	s_and_not1_b32 vcc_lo, exec_lo, s26
	s_mov_b32 s33, 0
	s_delay_alu instid0(VALU_DEP_1) | instskip(NEXT) | instid1(VALU_DEP_1)
	v_add3_u32 v20, v20, v22, v21
	v_lshlrev_b64 v[21:22], 3, v[19:20]
	s_cbranch_vccnz .LBB837_242
; %bb.234:
	s_delay_alu instid0(VALU_DEP_1) | instskip(NEXT) | instid1(VALU_DEP_2)
	v_add_co_u32 v19, vcc_lo, s16, v21
	v_add_co_ci_u32_e32 v20, vcc_lo, s17, v22, vcc_lo
	v_add_co_u32 v17, vcc_lo, s16, v17
	v_add_co_ci_u32_e32 v18, vcc_lo, s17, v18, vcc_lo
	s_mov_b32 s33, -1
	s_clause 0x1
	global_load_b64 v[23:24], v[19:20], off
	global_load_b64 v[25:26], v[17:18], off
	s_mov_b32 s34, exec_lo
	s_waitcnt vmcnt(0)
	v_cmpx_eq_f64_e32 v[23:24], v[25:26]
	s_cbranch_execz .LBB837_241
; %bb.235:
	v_add_co_u32 v17, vcc_lo, v17, 8
	v_add_co_ci_u32_e32 v18, vcc_lo, 0, v18, vcc_lo
	v_add_co_u32 v19, vcc_lo, v19, 8
	v_add_co_ci_u32_e32 v20, vcc_lo, 0, v20, vcc_lo
	s_add_u32 s4, s14, -1
	s_addc_u32 s5, s15, -1
	s_mov_b64 s[6:7], 0
	s_mov_b32 s33, 0
                                        ; implicit-def: $sgpr35
	s_set_inst_prefetch_distance 0x1
	s_branch .LBB837_238
	.p2align	6
.LBB837_236:                            ;   in Loop: Header=BB837_238 Depth=1
	global_load_b64 v[23:24], v[19:20], off
	global_load_b64 v[25:26], v[17:18], off
	v_add_co_u32 v17, s0, v17, 8
	s_delay_alu instid0(VALU_DEP_1) | instskip(SKIP_1) | instid1(VALU_DEP_1)
	v_add_co_ci_u32_e64 v18, s0, 0, v18, s0
	v_add_co_u32 v19, s0, v19, 8
	v_add_co_ci_u32_e64 v20, s0, 0, v20, s0
	s_add_u32 s6, s6, 1
	s_addc_u32 s7, s7, 0
	s_and_not1_b32 s0, s35, exec_lo
	s_waitcnt vmcnt(0)
	v_cmp_neq_f64_e32 vcc_lo, v[23:24], v[25:26]
	s_and_b32 s35, vcc_lo, exec_lo
	s_delay_alu instid0(SALU_CYCLE_1)
	s_or_b32 s35, s0, s35
.LBB837_237:                            ;   in Loop: Header=BB837_238 Depth=1
	v_dual_mov_b32 v24, s7 :: v_dual_mov_b32 v23, s6
	s_and_b32 s0, exec_lo, s35
	s_delay_alu instid0(SALU_CYCLE_1) | instskip(NEXT) | instid1(SALU_CYCLE_1)
	s_or_b32 s33, s0, s33
	s_and_not1_b32 exec_lo, exec_lo, s33
	s_cbranch_execz .LBB837_240
.LBB837_238:                            ; =>This Inner Loop Header: Depth=1
	s_or_b32 s35, s35, exec_lo
	s_cmp_eq_u64 s[4:5], s[6:7]
	s_cbranch_scc0 .LBB837_236
; %bb.239:                              ;   in Loop: Header=BB837_238 Depth=1
	s_mov_b64 s[6:7], s[14:15]
                                        ; implicit-def: $vgpr17_vgpr18
                                        ; implicit-def: $vgpr19_vgpr20
	s_branch .LBB837_237
.LBB837_240:
	s_set_inst_prefetch_distance 0x2
	s_or_b32 exec_lo, exec_lo, s33
	v_cmp_gt_i64_e32 vcc_lo, s[14:15], v[23:24]
	s_or_not1_b32 s33, vcc_lo, exec_lo
.LBB837_241:
	s_or_b32 exec_lo, exec_lo, s34
.LBB837_242:
	v_mul_lo_u32 v19, v16, s14
	v_mul_lo_u32 v20, v15, s15
	v_mad_u64_u32 v[17:18], null, v15, s14, 0
	s_and_not1_b32 vcc_lo, exec_lo, s26
	s_delay_alu instid0(VALU_DEP_1) | instskip(NEXT) | instid1(VALU_DEP_1)
	v_add3_u32 v18, v18, v20, v19
	v_lshlrev_b64 v[19:20], 3, v[17:18]
	s_cbranch_vccnz .LBB837_251
; %bb.243:
	s_delay_alu instid0(VALU_DEP_1) | instskip(NEXT) | instid1(VALU_DEP_2)
	v_add_co_u32 v23, vcc_lo, s16, v19
	v_add_co_ci_u32_e32 v24, vcc_lo, s17, v20, vcc_lo
	v_add_co_u32 v17, vcc_lo, s16, v21
	v_add_co_ci_u32_e32 v18, vcc_lo, s17, v22, vcc_lo
	s_mov_b32 s31, -1
	s_clause 0x1
	global_load_b64 v[21:22], v[23:24], off
	global_load_b64 v[25:26], v[17:18], off
	s_mov_b32 s34, exec_lo
	s_waitcnt vmcnt(0)
	v_cmpx_eq_f64_e32 v[21:22], v[25:26]
	s_cbranch_execz .LBB837_250
; %bb.244:
	v_add_co_u32 v17, vcc_lo, v17, 8
	v_add_co_ci_u32_e32 v18, vcc_lo, 0, v18, vcc_lo
	v_add_co_u32 v21, vcc_lo, v23, 8
	v_add_co_ci_u32_e32 v22, vcc_lo, 0, v24, vcc_lo
	s_add_u32 s4, s14, -1
	s_addc_u32 s5, s15, -1
	s_mov_b64 s[6:7], 0
	s_mov_b32 s31, 0
                                        ; implicit-def: $sgpr35
	s_set_inst_prefetch_distance 0x1
	s_branch .LBB837_247
	.p2align	6
.LBB837_245:                            ;   in Loop: Header=BB837_247 Depth=1
	global_load_b64 v[23:24], v[21:22], off
	global_load_b64 v[25:26], v[17:18], off
	v_add_co_u32 v17, s0, v17, 8
	s_delay_alu instid0(VALU_DEP_1) | instskip(SKIP_1) | instid1(VALU_DEP_1)
	v_add_co_ci_u32_e64 v18, s0, 0, v18, s0
	v_add_co_u32 v21, s0, v21, 8
	v_add_co_ci_u32_e64 v22, s0, 0, v22, s0
	s_add_u32 s6, s6, 1
	s_addc_u32 s7, s7, 0
	s_and_not1_b32 s0, s35, exec_lo
	s_waitcnt vmcnt(0)
	v_cmp_neq_f64_e32 vcc_lo, v[23:24], v[25:26]
	s_and_b32 s35, vcc_lo, exec_lo
	s_delay_alu instid0(SALU_CYCLE_1)
	s_or_b32 s35, s0, s35
.LBB837_246:                            ;   in Loop: Header=BB837_247 Depth=1
	v_dual_mov_b32 v24, s7 :: v_dual_mov_b32 v23, s6
	s_and_b32 s0, exec_lo, s35
	s_delay_alu instid0(SALU_CYCLE_1) | instskip(NEXT) | instid1(SALU_CYCLE_1)
	s_or_b32 s31, s0, s31
	s_and_not1_b32 exec_lo, exec_lo, s31
	s_cbranch_execz .LBB837_249
.LBB837_247:                            ; =>This Inner Loop Header: Depth=1
	s_or_b32 s35, s35, exec_lo
	s_cmp_eq_u64 s[4:5], s[6:7]
	s_cbranch_scc0 .LBB837_245
; %bb.248:                              ;   in Loop: Header=BB837_247 Depth=1
	s_mov_b64 s[6:7], s[14:15]
                                        ; implicit-def: $vgpr17_vgpr18
                                        ; implicit-def: $vgpr21_vgpr22
	s_branch .LBB837_246
.LBB837_249:
	s_set_inst_prefetch_distance 0x2
	s_or_b32 exec_lo, exec_lo, s31
	v_cmp_gt_i64_e32 vcc_lo, s[14:15], v[23:24]
	s_or_not1_b32 s31, vcc_lo, exec_lo
.LBB837_250:
	s_or_b32 exec_lo, exec_lo, s34
.LBB837_251:
	v_mul_lo_u32 v21, v14, s14
	v_mul_lo_u32 v22, v13, s15
	v_mad_u64_u32 v[17:18], null, v13, s14, 0
	s_and_not1_b32 vcc_lo, exec_lo, s26
	s_mov_b32 s0, 0
	s_delay_alu instid0(VALU_DEP_1)
	v_add3_u32 v18, v18, v22, v21
	s_cbranch_vccnz .LBB837_260
; %bb.252:
	s_delay_alu instid0(VALU_DEP_1) | instskip(SKIP_2) | instid1(VALU_DEP_1)
	v_lshlrev_b64 v[21:22], 3, v[17:18]
	s_mov_b32 s0, -1
	s_mov_b32 s34, exec_lo
	v_add_co_u32 v21, vcc_lo, s16, v21
	s_delay_alu instid0(VALU_DEP_2)
	v_add_co_ci_u32_e32 v22, vcc_lo, s17, v22, vcc_lo
	v_add_co_u32 v19, vcc_lo, s16, v19
	v_add_co_ci_u32_e32 v20, vcc_lo, s17, v20, vcc_lo
	s_clause 0x1
	global_load_b64 v[23:24], v[21:22], off
	global_load_b64 v[25:26], v[19:20], off
	s_waitcnt vmcnt(0)
	v_cmpx_eq_f64_e32 v[23:24], v[25:26]
	s_cbranch_execz .LBB837_259
; %bb.253:
	v_add_co_u32 v19, vcc_lo, v19, 8
	v_add_co_ci_u32_e32 v20, vcc_lo, 0, v20, vcc_lo
	v_add_co_u32 v21, vcc_lo, v21, 8
	v_add_co_ci_u32_e32 v22, vcc_lo, 0, v22, vcc_lo
	s_add_u32 s4, s14, -1
	s_addc_u32 s5, s15, -1
	s_mov_b64 s[6:7], 0
	s_mov_b32 s35, 0
                                        ; implicit-def: $sgpr36
	s_set_inst_prefetch_distance 0x1
	s_branch .LBB837_256
	.p2align	6
.LBB837_254:                            ;   in Loop: Header=BB837_256 Depth=1
	global_load_b64 v[23:24], v[21:22], off
	global_load_b64 v[25:26], v[19:20], off
	v_add_co_u32 v19, s0, v19, 8
	s_delay_alu instid0(VALU_DEP_1) | instskip(SKIP_1) | instid1(VALU_DEP_1)
	v_add_co_ci_u32_e64 v20, s0, 0, v20, s0
	v_add_co_u32 v21, s0, v21, 8
	v_add_co_ci_u32_e64 v22, s0, 0, v22, s0
	s_add_u32 s6, s6, 1
	s_addc_u32 s7, s7, 0
	s_and_not1_b32 s0, s36, exec_lo
	s_waitcnt vmcnt(0)
	v_cmp_neq_f64_e32 vcc_lo, v[23:24], v[25:26]
	s_and_b32 s36, vcc_lo, exec_lo
	s_delay_alu instid0(SALU_CYCLE_1)
	s_or_b32 s36, s0, s36
.LBB837_255:                            ;   in Loop: Header=BB837_256 Depth=1
	v_dual_mov_b32 v24, s7 :: v_dual_mov_b32 v23, s6
	s_and_b32 s0, exec_lo, s36
	s_delay_alu instid0(SALU_CYCLE_1) | instskip(NEXT) | instid1(SALU_CYCLE_1)
	s_or_b32 s35, s0, s35
	s_and_not1_b32 exec_lo, exec_lo, s35
	s_cbranch_execz .LBB837_258
.LBB837_256:                            ; =>This Inner Loop Header: Depth=1
	s_or_b32 s36, s36, exec_lo
	s_cmp_eq_u64 s[4:5], s[6:7]
	s_cbranch_scc0 .LBB837_254
; %bb.257:                              ;   in Loop: Header=BB837_256 Depth=1
	s_mov_b64 s[6:7], s[14:15]
                                        ; implicit-def: $vgpr19_vgpr20
                                        ; implicit-def: $vgpr21_vgpr22
	s_branch .LBB837_255
.LBB837_258:
	s_set_inst_prefetch_distance 0x2
	s_or_b32 exec_lo, exec_lo, s35
	v_cmp_gt_i64_e32 vcc_lo, s[14:15], v[23:24]
	s_or_not1_b32 s0, vcc_lo, exec_lo
.LBB837_259:
	s_or_b32 exec_lo, exec_lo, s34
.LBB837_260:
	v_cndmask_b32_e64 v20, 0, 1, s33
	v_cndmask_b32_e64 v21, 0, 1, s30
	v_cndmask_b32_e64 v22, 0, 1, s28
	v_cndmask_b32_e64 v23, 0, 1, s0
	v_cndmask_b32_e64 v19, 0, 1, s31
	v_cndmask_b32_e64 v24, 0, 1, s29
	v_cndmask_b32_e64 v25, 0, 1, s27
	v_lshlrev_b16 v21, 8, v21
	v_lshlrev_b16 v22, 8, v22
	;; [unrolled: 1-line block ×4, first 2 shown]
	s_waitcnt lgkmcnt(0)
	v_or_b32_e32 v21, v24, v21
	v_or_b32_e32 v22, v25, v22
	;; [unrolled: 1-line block ×4, first 2 shown]
	s_barrier
	v_and_b32_e32 v20, 0xffff, v21
	v_lshlrev_b32_e32 v21, 16, v22
	v_and_b32_e32 v22, 0xffff, v23
	v_lshlrev_b32_e32 v19, 16, v19
	buffer_gl0_inv
                                        ; implicit-def: $sgpr0
	v_or_b32_e32 v20, v20, v21
	v_or_b32_e32 v19, v22, v19
	s_and_saveexec_b32 s4, s3
	s_delay_alu instid0(SALU_CYCLE_1)
	s_xor_b32 s27, exec_lo, s4
	s_cbranch_execz .LBB837_271
; %bb.261:
	s_and_not1_b32 vcc_lo, exec_lo, s26
	s_mov_b32 s0, 0
	s_cbranch_vccnz .LBB837_270
; %bb.262:
	v_add_nc_u32_e32 v21, -8, v39
	v_lshlrev_b64 v[17:18], 3, v[17:18]
	s_mov_b32 s0, -1
	s_mov_b32 s28, exec_lo
	ds_load_b64 v[21:22], v21
	s_waitcnt lgkmcnt(0)
	v_mul_lo_u32 v24, v22, s14
	v_mul_lo_u32 v25, v21, s15
	v_mad_u64_u32 v[22:23], null, v21, s14, 0
	s_delay_alu instid0(VALU_DEP_1) | instskip(NEXT) | instid1(VALU_DEP_1)
	v_add3_u32 v23, v23, v25, v24
	v_lshlrev_b64 v[21:22], 3, v[22:23]
	s_delay_alu instid0(VALU_DEP_1) | instskip(NEXT) | instid1(VALU_DEP_2)
	v_add_co_u32 v21, vcc_lo, s16, v21
	v_add_co_ci_u32_e32 v22, vcc_lo, s17, v22, vcc_lo
	v_add_co_u32 v17, vcc_lo, s16, v17
	v_add_co_ci_u32_e32 v18, vcc_lo, s17, v18, vcc_lo
	s_clause 0x1
	global_load_b64 v[23:24], v[21:22], off
	global_load_b64 v[25:26], v[17:18], off
	s_waitcnt vmcnt(0)
	v_cmpx_eq_f64_e32 v[23:24], v[25:26]
	s_cbranch_execz .LBB837_269
; %bb.263:
	v_add_co_u32 v17, vcc_lo, v17, 8
	v_add_co_ci_u32_e32 v18, vcc_lo, 0, v18, vcc_lo
	v_add_co_u32 v21, vcc_lo, v21, 8
	v_add_co_ci_u32_e32 v22, vcc_lo, 0, v22, vcc_lo
	s_add_u32 s4, s14, -1
	s_addc_u32 s5, s15, -1
	s_mov_b64 s[6:7], 0
	s_mov_b32 s29, 0
                                        ; implicit-def: $sgpr30
	s_set_inst_prefetch_distance 0x1
	s_branch .LBB837_266
	.p2align	6
.LBB837_264:                            ;   in Loop: Header=BB837_266 Depth=1
	global_load_b64 v[23:24], v[21:22], off
	global_load_b64 v[25:26], v[17:18], off
	v_add_co_u32 v17, s0, v17, 8
	s_delay_alu instid0(VALU_DEP_1) | instskip(SKIP_1) | instid1(VALU_DEP_1)
	v_add_co_ci_u32_e64 v18, s0, 0, v18, s0
	v_add_co_u32 v21, s0, v21, 8
	v_add_co_ci_u32_e64 v22, s0, 0, v22, s0
	s_add_u32 s6, s6, 1
	s_addc_u32 s7, s7, 0
	s_and_not1_b32 s0, s30, exec_lo
	s_waitcnt vmcnt(0)
	v_cmp_neq_f64_e32 vcc_lo, v[23:24], v[25:26]
	s_and_b32 s30, vcc_lo, exec_lo
	s_delay_alu instid0(SALU_CYCLE_1)
	s_or_b32 s30, s0, s30
.LBB837_265:                            ;   in Loop: Header=BB837_266 Depth=1
	v_dual_mov_b32 v24, s7 :: v_dual_mov_b32 v23, s6
	s_and_b32 s0, exec_lo, s30
	s_delay_alu instid0(SALU_CYCLE_1) | instskip(NEXT) | instid1(SALU_CYCLE_1)
	s_or_b32 s29, s0, s29
	s_and_not1_b32 exec_lo, exec_lo, s29
	s_cbranch_execz .LBB837_268
.LBB837_266:                            ; =>This Inner Loop Header: Depth=1
	s_or_b32 s30, s30, exec_lo
	s_cmp_eq_u64 s[4:5], s[6:7]
	s_cbranch_scc0 .LBB837_264
; %bb.267:                              ;   in Loop: Header=BB837_266 Depth=1
	s_mov_b64 s[6:7], s[14:15]
                                        ; implicit-def: $vgpr17_vgpr18
                                        ; implicit-def: $vgpr21_vgpr22
	s_branch .LBB837_265
.LBB837_268:
	s_set_inst_prefetch_distance 0x2
	s_or_b32 exec_lo, exec_lo, s29
	v_cmp_gt_i64_e32 vcc_lo, s[14:15], v[23:24]
	s_or_not1_b32 s0, vcc_lo, exec_lo
.LBB837_269:
	s_or_b32 exec_lo, exec_lo, s28
.LBB837_270:
	s_delay_alu instid0(SALU_CYCLE_1)
	s_and_b32 s0, s0, exec_lo
	s_or_b32 s25, s25, exec_lo
.LBB837_271:
	s_or_b32 exec_lo, exec_lo, s27
	s_branch .LBB837_363
.LBB837_272:
	s_waitcnt vmcnt(0) lgkmcnt(1)
	v_or_b32_e32 v17, 7, v39
	s_mov_b32 s27, 0
	s_mov_b32 s28, 0
	s_mov_b32 s29, exec_lo
	s_delay_alu instid0(VALU_DEP_1)
	v_cmpx_gt_u32_e64 s12, v17
	s_cbranch_execz .LBB837_283
; %bb.273:
	s_and_not1_b32 vcc_lo, exec_lo, s26
	s_mov_b32 s0, 0
	s_cbranch_vccnz .LBB837_282
; %bb.274:
	v_mul_lo_u32 v21, v2, s14
	v_mul_lo_u32 v22, v1, s15
	v_mad_u64_u32 v[17:18], null, v1, s14, 0
	v_mul_lo_u32 v23, v4, s14
	v_mul_lo_u32 v24, v3, s15
	v_mad_u64_u32 v[19:20], null, v3, s14, 0
	s_mov_b32 s0, -1
	s_mov_b32 s28, exec_lo
	s_delay_alu instid0(VALU_DEP_4) | instskip(NEXT) | instid1(VALU_DEP_2)
	v_add3_u32 v18, v18, v22, v21
	v_add3_u32 v20, v20, v24, v23
	s_delay_alu instid0(VALU_DEP_2) | instskip(NEXT) | instid1(VALU_DEP_2)
	v_lshlrev_b64 v[17:18], 3, v[17:18]
	v_lshlrev_b64 v[21:22], 3, v[19:20]
	s_delay_alu instid0(VALU_DEP_2) | instskip(NEXT) | instid1(VALU_DEP_3)
	v_add_co_u32 v19, vcc_lo, s16, v17
	v_add_co_ci_u32_e32 v20, vcc_lo, s17, v18, vcc_lo
	s_delay_alu instid0(VALU_DEP_3) | instskip(NEXT) | instid1(VALU_DEP_4)
	v_add_co_u32 v17, vcc_lo, s16, v21
	v_add_co_ci_u32_e32 v18, vcc_lo, s17, v22, vcc_lo
	s_clause 0x1
	global_load_b64 v[21:22], v[19:20], off
	global_load_b64 v[23:24], v[17:18], off
	s_waitcnt vmcnt(0)
	v_cmpx_eq_f64_e32 v[21:22], v[23:24]
	s_cbranch_execz .LBB837_281
; %bb.275:
	v_add_co_u32 v17, vcc_lo, v17, 8
	v_add_co_ci_u32_e32 v18, vcc_lo, 0, v18, vcc_lo
	v_add_co_u32 v19, vcc_lo, v19, 8
	v_add_co_ci_u32_e32 v20, vcc_lo, 0, v20, vcc_lo
	s_add_u32 s4, s14, -1
	s_addc_u32 s5, s15, -1
	s_mov_b64 s[6:7], 0
	s_mov_b32 s30, 0
                                        ; implicit-def: $sgpr31
	s_set_inst_prefetch_distance 0x1
	s_branch .LBB837_278
	.p2align	6
.LBB837_276:                            ;   in Loop: Header=BB837_278 Depth=1
	global_load_b64 v[21:22], v[19:20], off
	global_load_b64 v[23:24], v[17:18], off
	v_add_co_u32 v17, s0, v17, 8
	s_delay_alu instid0(VALU_DEP_1) | instskip(SKIP_1) | instid1(VALU_DEP_1)
	v_add_co_ci_u32_e64 v18, s0, 0, v18, s0
	v_add_co_u32 v19, s0, v19, 8
	v_add_co_ci_u32_e64 v20, s0, 0, v20, s0
	s_add_u32 s6, s6, 1
	s_addc_u32 s7, s7, 0
	s_and_not1_b32 s0, s31, exec_lo
	s_waitcnt vmcnt(0)
	v_cmp_neq_f64_e32 vcc_lo, v[21:22], v[23:24]
	s_and_b32 s31, vcc_lo, exec_lo
	s_delay_alu instid0(SALU_CYCLE_1)
	s_or_b32 s31, s0, s31
.LBB837_277:                            ;   in Loop: Header=BB837_278 Depth=1
	v_dual_mov_b32 v22, s7 :: v_dual_mov_b32 v21, s6
	s_and_b32 s0, exec_lo, s31
	s_delay_alu instid0(SALU_CYCLE_1) | instskip(NEXT) | instid1(SALU_CYCLE_1)
	s_or_b32 s30, s0, s30
	s_and_not1_b32 exec_lo, exec_lo, s30
	s_cbranch_execz .LBB837_280
.LBB837_278:                            ; =>This Inner Loop Header: Depth=1
	s_or_b32 s31, s31, exec_lo
	s_cmp_eq_u64 s[4:5], s[6:7]
	s_cbranch_scc0 .LBB837_276
; %bb.279:                              ;   in Loop: Header=BB837_278 Depth=1
	s_mov_b64 s[6:7], s[14:15]
                                        ; implicit-def: $vgpr17_vgpr18
                                        ; implicit-def: $vgpr19_vgpr20
	s_branch .LBB837_277
.LBB837_280:
	s_set_inst_prefetch_distance 0x2
	s_or_b32 exec_lo, exec_lo, s30
	v_cmp_gt_i64_e32 vcc_lo, s[14:15], v[21:22]
	s_or_not1_b32 s0, vcc_lo, exec_lo
.LBB837_281:
	s_or_b32 exec_lo, exec_lo, s28
.LBB837_282:
	s_delay_alu instid0(SALU_CYCLE_1)
	s_and_b32 s28, s0, exec_lo
.LBB837_283:
	s_or_b32 exec_lo, exec_lo, s29
	v_or_b32_e32 v17, 6, v39
	s_mov_b32 s29, exec_lo
	s_delay_alu instid0(VALU_DEP_1)
	v_cmpx_gt_u32_e64 s12, v17
	s_cbranch_execz .LBB837_294
; %bb.284:
	s_and_not1_b32 vcc_lo, exec_lo, s26
	s_mov_b32 s0, 0
	s_cbranch_vccnz .LBB837_293
; %bb.285:
	v_mul_lo_u32 v21, v8, s14
	v_mul_lo_u32 v22, v7, s15
	v_mad_u64_u32 v[17:18], null, v7, s14, 0
	v_mul_lo_u32 v23, v2, s14
	v_mul_lo_u32 v24, v1, s15
	v_mad_u64_u32 v[19:20], null, v1, s14, 0
	s_mov_b32 s0, -1
	s_mov_b32 s27, exec_lo
	s_delay_alu instid0(VALU_DEP_4) | instskip(NEXT) | instid1(VALU_DEP_2)
	v_add3_u32 v18, v18, v22, v21
	v_add3_u32 v20, v20, v24, v23
	s_delay_alu instid0(VALU_DEP_2) | instskip(NEXT) | instid1(VALU_DEP_2)
	v_lshlrev_b64 v[17:18], 3, v[17:18]
	v_lshlrev_b64 v[21:22], 3, v[19:20]
	s_delay_alu instid0(VALU_DEP_2) | instskip(NEXT) | instid1(VALU_DEP_3)
	v_add_co_u32 v19, vcc_lo, s16, v17
	v_add_co_ci_u32_e32 v20, vcc_lo, s17, v18, vcc_lo
	s_delay_alu instid0(VALU_DEP_3) | instskip(NEXT) | instid1(VALU_DEP_4)
	v_add_co_u32 v17, vcc_lo, s16, v21
	v_add_co_ci_u32_e32 v18, vcc_lo, s17, v22, vcc_lo
	s_clause 0x1
	global_load_b64 v[21:22], v[19:20], off
	global_load_b64 v[23:24], v[17:18], off
	s_waitcnt vmcnt(0)
	v_cmpx_eq_f64_e32 v[21:22], v[23:24]
	s_cbranch_execz .LBB837_292
; %bb.286:
	v_add_co_u32 v17, vcc_lo, v17, 8
	v_add_co_ci_u32_e32 v18, vcc_lo, 0, v18, vcc_lo
	v_add_co_u32 v19, vcc_lo, v19, 8
	v_add_co_ci_u32_e32 v20, vcc_lo, 0, v20, vcc_lo
	s_add_u32 s4, s14, -1
	s_addc_u32 s5, s15, -1
	s_mov_b64 s[6:7], 0
	s_mov_b32 s30, 0
                                        ; implicit-def: $sgpr31
	s_set_inst_prefetch_distance 0x1
	s_branch .LBB837_289
	.p2align	6
.LBB837_287:                            ;   in Loop: Header=BB837_289 Depth=1
	global_load_b64 v[21:22], v[19:20], off
	global_load_b64 v[23:24], v[17:18], off
	v_add_co_u32 v17, s0, v17, 8
	s_delay_alu instid0(VALU_DEP_1) | instskip(SKIP_1) | instid1(VALU_DEP_1)
	v_add_co_ci_u32_e64 v18, s0, 0, v18, s0
	v_add_co_u32 v19, s0, v19, 8
	v_add_co_ci_u32_e64 v20, s0, 0, v20, s0
	s_add_u32 s6, s6, 1
	s_addc_u32 s7, s7, 0
	s_and_not1_b32 s0, s31, exec_lo
	s_waitcnt vmcnt(0)
	v_cmp_neq_f64_e32 vcc_lo, v[21:22], v[23:24]
	s_and_b32 s31, vcc_lo, exec_lo
	s_delay_alu instid0(SALU_CYCLE_1)
	s_or_b32 s31, s0, s31
.LBB837_288:                            ;   in Loop: Header=BB837_289 Depth=1
	v_dual_mov_b32 v22, s7 :: v_dual_mov_b32 v21, s6
	s_and_b32 s0, exec_lo, s31
	s_delay_alu instid0(SALU_CYCLE_1) | instskip(NEXT) | instid1(SALU_CYCLE_1)
	s_or_b32 s30, s0, s30
	s_and_not1_b32 exec_lo, exec_lo, s30
	s_cbranch_execz .LBB837_291
.LBB837_289:                            ; =>This Inner Loop Header: Depth=1
	s_or_b32 s31, s31, exec_lo
	s_cmp_eq_u64 s[4:5], s[6:7]
	s_cbranch_scc0 .LBB837_287
; %bb.290:                              ;   in Loop: Header=BB837_289 Depth=1
	s_mov_b64 s[6:7], s[14:15]
                                        ; implicit-def: $vgpr17_vgpr18
                                        ; implicit-def: $vgpr19_vgpr20
	s_branch .LBB837_288
.LBB837_291:
	s_set_inst_prefetch_distance 0x2
	s_or_b32 exec_lo, exec_lo, s30
	v_cmp_gt_i64_e32 vcc_lo, s[14:15], v[21:22]
	s_or_not1_b32 s0, vcc_lo, exec_lo
.LBB837_292:
	s_or_b32 exec_lo, exec_lo, s27
.LBB837_293:
	s_delay_alu instid0(SALU_CYCLE_1)
	s_and_b32 s27, s0, exec_lo
.LBB837_294:
	s_or_b32 exec_lo, exec_lo, s29
	v_or_b32_e32 v17, 5, v39
	s_mov_b32 s29, 0
	s_mov_b32 s30, 0
	s_mov_b32 s31, exec_lo
	s_delay_alu instid0(VALU_DEP_1)
	v_cmpx_gt_u32_e64 s12, v17
	s_cbranch_execz .LBB837_305
; %bb.295:
	s_and_not1_b32 vcc_lo, exec_lo, s26
	s_mov_b32 s0, 0
	s_cbranch_vccnz .LBB837_304
; %bb.296:
	v_mul_lo_u32 v21, v6, s14
	v_mul_lo_u32 v22, v5, s15
	v_mad_u64_u32 v[17:18], null, v5, s14, 0
	v_mul_lo_u32 v23, v8, s14
	v_mul_lo_u32 v24, v7, s15
	v_mad_u64_u32 v[19:20], null, v7, s14, 0
	s_mov_b32 s0, -1
	s_mov_b32 s30, exec_lo
	s_delay_alu instid0(VALU_DEP_4) | instskip(NEXT) | instid1(VALU_DEP_2)
	v_add3_u32 v18, v18, v22, v21
	v_add3_u32 v20, v20, v24, v23
	s_delay_alu instid0(VALU_DEP_2) | instskip(NEXT) | instid1(VALU_DEP_2)
	v_lshlrev_b64 v[17:18], 3, v[17:18]
	v_lshlrev_b64 v[21:22], 3, v[19:20]
	s_delay_alu instid0(VALU_DEP_2) | instskip(NEXT) | instid1(VALU_DEP_3)
	v_add_co_u32 v19, vcc_lo, s16, v17
	v_add_co_ci_u32_e32 v20, vcc_lo, s17, v18, vcc_lo
	s_delay_alu instid0(VALU_DEP_3) | instskip(NEXT) | instid1(VALU_DEP_4)
	v_add_co_u32 v17, vcc_lo, s16, v21
	v_add_co_ci_u32_e32 v18, vcc_lo, s17, v22, vcc_lo
	s_clause 0x1
	global_load_b64 v[21:22], v[19:20], off
	global_load_b64 v[23:24], v[17:18], off
	s_waitcnt vmcnt(0)
	v_cmpx_eq_f64_e32 v[21:22], v[23:24]
	s_cbranch_execz .LBB837_303
; %bb.297:
	v_add_co_u32 v17, vcc_lo, v17, 8
	v_add_co_ci_u32_e32 v18, vcc_lo, 0, v18, vcc_lo
	v_add_co_u32 v19, vcc_lo, v19, 8
	v_add_co_ci_u32_e32 v20, vcc_lo, 0, v20, vcc_lo
	s_add_u32 s4, s14, -1
	s_addc_u32 s5, s15, -1
	s_mov_b64 s[6:7], 0
	s_mov_b32 s33, 0
                                        ; implicit-def: $sgpr34
	s_set_inst_prefetch_distance 0x1
	s_branch .LBB837_300
	.p2align	6
.LBB837_298:                            ;   in Loop: Header=BB837_300 Depth=1
	global_load_b64 v[21:22], v[19:20], off
	global_load_b64 v[23:24], v[17:18], off
	v_add_co_u32 v17, s0, v17, 8
	s_delay_alu instid0(VALU_DEP_1) | instskip(SKIP_1) | instid1(VALU_DEP_1)
	v_add_co_ci_u32_e64 v18, s0, 0, v18, s0
	v_add_co_u32 v19, s0, v19, 8
	v_add_co_ci_u32_e64 v20, s0, 0, v20, s0
	s_add_u32 s6, s6, 1
	s_addc_u32 s7, s7, 0
	s_and_not1_b32 s0, s34, exec_lo
	s_waitcnt vmcnt(0)
	v_cmp_neq_f64_e32 vcc_lo, v[21:22], v[23:24]
	s_and_b32 s34, vcc_lo, exec_lo
	s_delay_alu instid0(SALU_CYCLE_1)
	s_or_b32 s34, s0, s34
.LBB837_299:                            ;   in Loop: Header=BB837_300 Depth=1
	v_dual_mov_b32 v22, s7 :: v_dual_mov_b32 v21, s6
	s_and_b32 s0, exec_lo, s34
	s_delay_alu instid0(SALU_CYCLE_1) | instskip(NEXT) | instid1(SALU_CYCLE_1)
	s_or_b32 s33, s0, s33
	s_and_not1_b32 exec_lo, exec_lo, s33
	s_cbranch_execz .LBB837_302
.LBB837_300:                            ; =>This Inner Loop Header: Depth=1
	s_or_b32 s34, s34, exec_lo
	s_cmp_eq_u64 s[4:5], s[6:7]
	s_cbranch_scc0 .LBB837_298
; %bb.301:                              ;   in Loop: Header=BB837_300 Depth=1
	s_mov_b64 s[6:7], s[14:15]
                                        ; implicit-def: $vgpr17_vgpr18
                                        ; implicit-def: $vgpr19_vgpr20
	s_branch .LBB837_299
.LBB837_302:
	s_set_inst_prefetch_distance 0x2
	s_or_b32 exec_lo, exec_lo, s33
	v_cmp_gt_i64_e32 vcc_lo, s[14:15], v[21:22]
	s_or_not1_b32 s0, vcc_lo, exec_lo
.LBB837_303:
	s_or_b32 exec_lo, exec_lo, s30
.LBB837_304:
	s_delay_alu instid0(SALU_CYCLE_1)
	s_and_b32 s30, s0, exec_lo
.LBB837_305:
	s_or_b32 exec_lo, exec_lo, s31
	v_or_b32_e32 v17, 4, v39
	s_mov_b32 s31, exec_lo
	s_delay_alu instid0(VALU_DEP_1)
	v_cmpx_gt_u32_e64 s12, v17
	s_cbranch_execz .LBB837_316
; %bb.306:
	s_and_not1_b32 vcc_lo, exec_lo, s26
	s_mov_b32 s0, 0
	s_cbranch_vccnz .LBB837_315
; %bb.307:
	v_mul_lo_u32 v21, v12, s14
	v_mul_lo_u32 v22, v11, s15
	v_mad_u64_u32 v[17:18], null, v11, s14, 0
	v_mul_lo_u32 v23, v6, s14
	v_mul_lo_u32 v24, v5, s15
	v_mad_u64_u32 v[19:20], null, v5, s14, 0
	s_mov_b32 s0, -1
	s_mov_b32 s29, exec_lo
	s_delay_alu instid0(VALU_DEP_4) | instskip(NEXT) | instid1(VALU_DEP_2)
	v_add3_u32 v18, v18, v22, v21
	v_add3_u32 v20, v20, v24, v23
	s_delay_alu instid0(VALU_DEP_2) | instskip(NEXT) | instid1(VALU_DEP_2)
	v_lshlrev_b64 v[17:18], 3, v[17:18]
	v_lshlrev_b64 v[21:22], 3, v[19:20]
	s_delay_alu instid0(VALU_DEP_2) | instskip(NEXT) | instid1(VALU_DEP_3)
	v_add_co_u32 v19, vcc_lo, s16, v17
	v_add_co_ci_u32_e32 v20, vcc_lo, s17, v18, vcc_lo
	s_delay_alu instid0(VALU_DEP_3) | instskip(NEXT) | instid1(VALU_DEP_4)
	v_add_co_u32 v17, vcc_lo, s16, v21
	v_add_co_ci_u32_e32 v18, vcc_lo, s17, v22, vcc_lo
	s_clause 0x1
	global_load_b64 v[21:22], v[19:20], off
	global_load_b64 v[23:24], v[17:18], off
	s_waitcnt vmcnt(0)
	v_cmpx_eq_f64_e32 v[21:22], v[23:24]
	s_cbranch_execz .LBB837_314
; %bb.308:
	v_add_co_u32 v17, vcc_lo, v17, 8
	v_add_co_ci_u32_e32 v18, vcc_lo, 0, v18, vcc_lo
	v_add_co_u32 v19, vcc_lo, v19, 8
	v_add_co_ci_u32_e32 v20, vcc_lo, 0, v20, vcc_lo
	s_add_u32 s4, s14, -1
	s_addc_u32 s5, s15, -1
	s_mov_b64 s[6:7], 0
	s_mov_b32 s33, 0
                                        ; implicit-def: $sgpr34
	s_set_inst_prefetch_distance 0x1
	s_branch .LBB837_311
	.p2align	6
.LBB837_309:                            ;   in Loop: Header=BB837_311 Depth=1
	global_load_b64 v[21:22], v[19:20], off
	global_load_b64 v[23:24], v[17:18], off
	v_add_co_u32 v17, s0, v17, 8
	s_delay_alu instid0(VALU_DEP_1) | instskip(SKIP_1) | instid1(VALU_DEP_1)
	v_add_co_ci_u32_e64 v18, s0, 0, v18, s0
	v_add_co_u32 v19, s0, v19, 8
	v_add_co_ci_u32_e64 v20, s0, 0, v20, s0
	s_add_u32 s6, s6, 1
	s_addc_u32 s7, s7, 0
	s_and_not1_b32 s0, s34, exec_lo
	s_waitcnt vmcnt(0)
	v_cmp_neq_f64_e32 vcc_lo, v[21:22], v[23:24]
	s_and_b32 s34, vcc_lo, exec_lo
	s_delay_alu instid0(SALU_CYCLE_1)
	s_or_b32 s34, s0, s34
.LBB837_310:                            ;   in Loop: Header=BB837_311 Depth=1
	v_dual_mov_b32 v22, s7 :: v_dual_mov_b32 v21, s6
	s_and_b32 s0, exec_lo, s34
	s_delay_alu instid0(SALU_CYCLE_1) | instskip(NEXT) | instid1(SALU_CYCLE_1)
	s_or_b32 s33, s0, s33
	s_and_not1_b32 exec_lo, exec_lo, s33
	s_cbranch_execz .LBB837_313
.LBB837_311:                            ; =>This Inner Loop Header: Depth=1
	s_or_b32 s34, s34, exec_lo
	s_cmp_eq_u64 s[4:5], s[6:7]
	s_cbranch_scc0 .LBB837_309
; %bb.312:                              ;   in Loop: Header=BB837_311 Depth=1
	s_mov_b64 s[6:7], s[14:15]
                                        ; implicit-def: $vgpr17_vgpr18
                                        ; implicit-def: $vgpr19_vgpr20
	s_branch .LBB837_310
.LBB837_313:
	s_set_inst_prefetch_distance 0x2
	s_or_b32 exec_lo, exec_lo, s33
	v_cmp_gt_i64_e32 vcc_lo, s[14:15], v[21:22]
	s_or_not1_b32 s0, vcc_lo, exec_lo
.LBB837_314:
	s_or_b32 exec_lo, exec_lo, s29
.LBB837_315:
	s_delay_alu instid0(SALU_CYCLE_1)
	s_and_b32 s29, s0, exec_lo
.LBB837_316:
	s_or_b32 exec_lo, exec_lo, s31
	v_or_b32_e32 v17, 3, v39
	s_mov_b32 s33, 0
	s_mov_b32 s31, 0
	s_mov_b32 s34, exec_lo
	s_delay_alu instid0(VALU_DEP_1)
	v_cmpx_gt_u32_e64 s12, v17
	s_cbranch_execz .LBB837_327
; %bb.317:
	s_and_not1_b32 vcc_lo, exec_lo, s26
	s_mov_b32 s0, 0
	s_cbranch_vccnz .LBB837_326
; %bb.318:
	v_mul_lo_u32 v21, v10, s14
	v_mul_lo_u32 v22, v9, s15
	v_mad_u64_u32 v[17:18], null, v9, s14, 0
	v_mul_lo_u32 v23, v12, s14
	v_mul_lo_u32 v24, v11, s15
	v_mad_u64_u32 v[19:20], null, v11, s14, 0
	s_mov_b32 s0, -1
	s_mov_b32 s31, exec_lo
	s_delay_alu instid0(VALU_DEP_4) | instskip(NEXT) | instid1(VALU_DEP_2)
	v_add3_u32 v18, v18, v22, v21
	v_add3_u32 v20, v20, v24, v23
	s_delay_alu instid0(VALU_DEP_2) | instskip(NEXT) | instid1(VALU_DEP_2)
	v_lshlrev_b64 v[17:18], 3, v[17:18]
	v_lshlrev_b64 v[21:22], 3, v[19:20]
	s_delay_alu instid0(VALU_DEP_2) | instskip(NEXT) | instid1(VALU_DEP_3)
	v_add_co_u32 v19, vcc_lo, s16, v17
	v_add_co_ci_u32_e32 v20, vcc_lo, s17, v18, vcc_lo
	s_delay_alu instid0(VALU_DEP_3) | instskip(NEXT) | instid1(VALU_DEP_4)
	v_add_co_u32 v17, vcc_lo, s16, v21
	v_add_co_ci_u32_e32 v18, vcc_lo, s17, v22, vcc_lo
	s_clause 0x1
	global_load_b64 v[21:22], v[19:20], off
	global_load_b64 v[23:24], v[17:18], off
	s_waitcnt vmcnt(0)
	v_cmpx_eq_f64_e32 v[21:22], v[23:24]
	s_cbranch_execz .LBB837_325
; %bb.319:
	v_add_co_u32 v17, vcc_lo, v17, 8
	v_add_co_ci_u32_e32 v18, vcc_lo, 0, v18, vcc_lo
	v_add_co_u32 v19, vcc_lo, v19, 8
	v_add_co_ci_u32_e32 v20, vcc_lo, 0, v20, vcc_lo
	s_add_u32 s4, s14, -1
	s_addc_u32 s5, s15, -1
	s_mov_b64 s[6:7], 0
	s_mov_b32 s35, 0
                                        ; implicit-def: $sgpr36
	s_set_inst_prefetch_distance 0x1
	s_branch .LBB837_322
	.p2align	6
.LBB837_320:                            ;   in Loop: Header=BB837_322 Depth=1
	global_load_b64 v[21:22], v[19:20], off
	global_load_b64 v[23:24], v[17:18], off
	v_add_co_u32 v17, s0, v17, 8
	s_delay_alu instid0(VALU_DEP_1) | instskip(SKIP_1) | instid1(VALU_DEP_1)
	v_add_co_ci_u32_e64 v18, s0, 0, v18, s0
	v_add_co_u32 v19, s0, v19, 8
	v_add_co_ci_u32_e64 v20, s0, 0, v20, s0
	s_add_u32 s6, s6, 1
	s_addc_u32 s7, s7, 0
	s_and_not1_b32 s0, s36, exec_lo
	s_waitcnt vmcnt(0)
	v_cmp_neq_f64_e32 vcc_lo, v[21:22], v[23:24]
	s_and_b32 s36, vcc_lo, exec_lo
	s_delay_alu instid0(SALU_CYCLE_1)
	s_or_b32 s36, s0, s36
.LBB837_321:                            ;   in Loop: Header=BB837_322 Depth=1
	v_dual_mov_b32 v22, s7 :: v_dual_mov_b32 v21, s6
	s_and_b32 s0, exec_lo, s36
	s_delay_alu instid0(SALU_CYCLE_1) | instskip(NEXT) | instid1(SALU_CYCLE_1)
	s_or_b32 s35, s0, s35
	s_and_not1_b32 exec_lo, exec_lo, s35
	s_cbranch_execz .LBB837_324
.LBB837_322:                            ; =>This Inner Loop Header: Depth=1
	s_or_b32 s36, s36, exec_lo
	s_cmp_eq_u64 s[4:5], s[6:7]
	s_cbranch_scc0 .LBB837_320
; %bb.323:                              ;   in Loop: Header=BB837_322 Depth=1
	s_mov_b64 s[6:7], s[14:15]
                                        ; implicit-def: $vgpr17_vgpr18
                                        ; implicit-def: $vgpr19_vgpr20
	s_branch .LBB837_321
.LBB837_324:
	s_set_inst_prefetch_distance 0x2
	s_or_b32 exec_lo, exec_lo, s35
	v_cmp_gt_i64_e32 vcc_lo, s[14:15], v[21:22]
	s_or_not1_b32 s0, vcc_lo, exec_lo
.LBB837_325:
	s_or_b32 exec_lo, exec_lo, s31
.LBB837_326:
	s_delay_alu instid0(SALU_CYCLE_1)
	s_and_b32 s31, s0, exec_lo
.LBB837_327:
	s_or_b32 exec_lo, exec_lo, s34
	v_or_b32_e32 v17, 2, v39
	s_mov_b32 s34, exec_lo
	s_delay_alu instid0(VALU_DEP_1)
	v_cmpx_gt_u32_e64 s12, v17
	s_cbranch_execz .LBB837_338
; %bb.328:
	s_and_not1_b32 vcc_lo, exec_lo, s26
	s_mov_b32 s0, 0
	s_cbranch_vccnz .LBB837_337
; %bb.329:
	v_mul_lo_u32 v21, v16, s14
	v_mul_lo_u32 v22, v15, s15
	v_mad_u64_u32 v[17:18], null, v15, s14, 0
	v_mul_lo_u32 v23, v10, s14
	v_mul_lo_u32 v24, v9, s15
	v_mad_u64_u32 v[19:20], null, v9, s14, 0
	s_mov_b32 s0, -1
	s_mov_b32 s33, exec_lo
	s_delay_alu instid0(VALU_DEP_4) | instskip(NEXT) | instid1(VALU_DEP_2)
	v_add3_u32 v18, v18, v22, v21
	v_add3_u32 v20, v20, v24, v23
	s_delay_alu instid0(VALU_DEP_2) | instskip(NEXT) | instid1(VALU_DEP_2)
	v_lshlrev_b64 v[17:18], 3, v[17:18]
	v_lshlrev_b64 v[21:22], 3, v[19:20]
	s_delay_alu instid0(VALU_DEP_2) | instskip(NEXT) | instid1(VALU_DEP_3)
	v_add_co_u32 v19, vcc_lo, s16, v17
	v_add_co_ci_u32_e32 v20, vcc_lo, s17, v18, vcc_lo
	s_delay_alu instid0(VALU_DEP_3) | instskip(NEXT) | instid1(VALU_DEP_4)
	v_add_co_u32 v17, vcc_lo, s16, v21
	v_add_co_ci_u32_e32 v18, vcc_lo, s17, v22, vcc_lo
	s_clause 0x1
	global_load_b64 v[21:22], v[19:20], off
	global_load_b64 v[23:24], v[17:18], off
	s_waitcnt vmcnt(0)
	v_cmpx_eq_f64_e32 v[21:22], v[23:24]
	s_cbranch_execz .LBB837_336
; %bb.330:
	v_add_co_u32 v17, vcc_lo, v17, 8
	v_add_co_ci_u32_e32 v18, vcc_lo, 0, v18, vcc_lo
	v_add_co_u32 v19, vcc_lo, v19, 8
	v_add_co_ci_u32_e32 v20, vcc_lo, 0, v20, vcc_lo
	s_add_u32 s4, s14, -1
	s_addc_u32 s5, s15, -1
	s_mov_b64 s[6:7], 0
	s_mov_b32 s35, 0
                                        ; implicit-def: $sgpr36
	s_set_inst_prefetch_distance 0x1
	s_branch .LBB837_333
	.p2align	6
.LBB837_331:                            ;   in Loop: Header=BB837_333 Depth=1
	global_load_b64 v[21:22], v[19:20], off
	global_load_b64 v[23:24], v[17:18], off
	v_add_co_u32 v17, s0, v17, 8
	s_delay_alu instid0(VALU_DEP_1) | instskip(SKIP_1) | instid1(VALU_DEP_1)
	v_add_co_ci_u32_e64 v18, s0, 0, v18, s0
	v_add_co_u32 v19, s0, v19, 8
	v_add_co_ci_u32_e64 v20, s0, 0, v20, s0
	s_add_u32 s6, s6, 1
	s_addc_u32 s7, s7, 0
	s_and_not1_b32 s0, s36, exec_lo
	s_waitcnt vmcnt(0)
	v_cmp_neq_f64_e32 vcc_lo, v[21:22], v[23:24]
	s_and_b32 s36, vcc_lo, exec_lo
	s_delay_alu instid0(SALU_CYCLE_1)
	s_or_b32 s36, s0, s36
.LBB837_332:                            ;   in Loop: Header=BB837_333 Depth=1
	v_dual_mov_b32 v22, s7 :: v_dual_mov_b32 v21, s6
	s_and_b32 s0, exec_lo, s36
	s_delay_alu instid0(SALU_CYCLE_1) | instskip(NEXT) | instid1(SALU_CYCLE_1)
	s_or_b32 s35, s0, s35
	s_and_not1_b32 exec_lo, exec_lo, s35
	s_cbranch_execz .LBB837_335
.LBB837_333:                            ; =>This Inner Loop Header: Depth=1
	s_or_b32 s36, s36, exec_lo
	s_cmp_eq_u64 s[4:5], s[6:7]
	s_cbranch_scc0 .LBB837_331
; %bb.334:                              ;   in Loop: Header=BB837_333 Depth=1
	s_mov_b64 s[6:7], s[14:15]
                                        ; implicit-def: $vgpr17_vgpr18
                                        ; implicit-def: $vgpr19_vgpr20
	s_branch .LBB837_332
.LBB837_335:
	s_set_inst_prefetch_distance 0x2
	s_or_b32 exec_lo, exec_lo, s35
	v_cmp_gt_i64_e32 vcc_lo, s[14:15], v[21:22]
	s_or_not1_b32 s0, vcc_lo, exec_lo
.LBB837_336:
	s_or_b32 exec_lo, exec_lo, s33
.LBB837_337:
	s_delay_alu instid0(SALU_CYCLE_1)
	s_and_b32 s33, s0, exec_lo
.LBB837_338:
	s_or_b32 exec_lo, exec_lo, s34
	v_or_b32_e32 v17, 1, v39
	s_mov_b32 s0, 0
	s_mov_b32 s34, exec_lo
	s_delay_alu instid0(VALU_DEP_1)
	v_cmpx_gt_u32_e64 s12, v17
	s_cbranch_execz .LBB837_349
; %bb.339:
	s_and_not1_b32 vcc_lo, exec_lo, s26
	s_cbranch_vccnz .LBB837_348
; %bb.340:
	v_mul_lo_u32 v21, v14, s14
	v_mul_lo_u32 v22, v13, s15
	v_mad_u64_u32 v[17:18], null, v13, s14, 0
	v_mul_lo_u32 v23, v16, s14
	v_mul_lo_u32 v24, v15, s15
	v_mad_u64_u32 v[19:20], null, v15, s14, 0
	s_mov_b32 s0, -1
	s_mov_b32 s35, exec_lo
	s_delay_alu instid0(VALU_DEP_4) | instskip(NEXT) | instid1(VALU_DEP_2)
	v_add3_u32 v18, v18, v22, v21
	v_add3_u32 v20, v20, v24, v23
	s_delay_alu instid0(VALU_DEP_2) | instskip(NEXT) | instid1(VALU_DEP_2)
	v_lshlrev_b64 v[17:18], 3, v[17:18]
	v_lshlrev_b64 v[21:22], 3, v[19:20]
	s_delay_alu instid0(VALU_DEP_2) | instskip(NEXT) | instid1(VALU_DEP_3)
	v_add_co_u32 v19, vcc_lo, s16, v17
	v_add_co_ci_u32_e32 v20, vcc_lo, s17, v18, vcc_lo
	s_delay_alu instid0(VALU_DEP_3) | instskip(NEXT) | instid1(VALU_DEP_4)
	v_add_co_u32 v17, vcc_lo, s16, v21
	v_add_co_ci_u32_e32 v18, vcc_lo, s17, v22, vcc_lo
	s_clause 0x1
	global_load_b64 v[21:22], v[19:20], off
	global_load_b64 v[23:24], v[17:18], off
	s_waitcnt vmcnt(0)
	v_cmpx_eq_f64_e32 v[21:22], v[23:24]
	s_cbranch_execz .LBB837_347
; %bb.341:
	v_add_co_u32 v17, vcc_lo, v17, 8
	v_add_co_ci_u32_e32 v18, vcc_lo, 0, v18, vcc_lo
	v_add_co_u32 v19, vcc_lo, v19, 8
	v_add_co_ci_u32_e32 v20, vcc_lo, 0, v20, vcc_lo
	s_add_u32 s4, s14, -1
	s_addc_u32 s5, s15, -1
	s_mov_b64 s[6:7], 0
	s_mov_b32 s36, 0
                                        ; implicit-def: $sgpr37
	s_set_inst_prefetch_distance 0x1
	s_branch .LBB837_344
	.p2align	6
.LBB837_342:                            ;   in Loop: Header=BB837_344 Depth=1
	global_load_b64 v[21:22], v[19:20], off
	global_load_b64 v[23:24], v[17:18], off
	v_add_co_u32 v17, s0, v17, 8
	s_delay_alu instid0(VALU_DEP_1) | instskip(SKIP_1) | instid1(VALU_DEP_1)
	v_add_co_ci_u32_e64 v18, s0, 0, v18, s0
	v_add_co_u32 v19, s0, v19, 8
	v_add_co_ci_u32_e64 v20, s0, 0, v20, s0
	s_add_u32 s6, s6, 1
	s_addc_u32 s7, s7, 0
	s_and_not1_b32 s0, s37, exec_lo
	s_waitcnt vmcnt(0)
	v_cmp_neq_f64_e32 vcc_lo, v[21:22], v[23:24]
	s_and_b32 s37, vcc_lo, exec_lo
	s_delay_alu instid0(SALU_CYCLE_1)
	s_or_b32 s37, s0, s37
.LBB837_343:                            ;   in Loop: Header=BB837_344 Depth=1
	v_dual_mov_b32 v22, s7 :: v_dual_mov_b32 v21, s6
	s_and_b32 s0, exec_lo, s37
	s_delay_alu instid0(SALU_CYCLE_1) | instskip(NEXT) | instid1(SALU_CYCLE_1)
	s_or_b32 s36, s0, s36
	s_and_not1_b32 exec_lo, exec_lo, s36
	s_cbranch_execz .LBB837_346
.LBB837_344:                            ; =>This Inner Loop Header: Depth=1
	s_or_b32 s37, s37, exec_lo
	s_cmp_eq_u64 s[4:5], s[6:7]
	s_cbranch_scc0 .LBB837_342
; %bb.345:                              ;   in Loop: Header=BB837_344 Depth=1
	s_mov_b64 s[6:7], s[14:15]
                                        ; implicit-def: $vgpr17_vgpr18
                                        ; implicit-def: $vgpr19_vgpr20
	s_branch .LBB837_343
.LBB837_346:
	s_set_inst_prefetch_distance 0x2
	s_or_b32 exec_lo, exec_lo, s36
	v_cmp_gt_i64_e32 vcc_lo, s[14:15], v[21:22]
	s_or_not1_b32 s0, vcc_lo, exec_lo
.LBB837_347:
	s_or_b32 exec_lo, exec_lo, s35
.LBB837_348:
	s_delay_alu instid0(SALU_CYCLE_1)
	s_and_b32 s0, s0, exec_lo
.LBB837_349:
	s_or_b32 exec_lo, exec_lo, s34
	v_cndmask_b32_e64 v18, 0, 1, s31
	v_cndmask_b32_e64 v19, 0, 1, s30
	;; [unrolled: 1-line block ×7, first 2 shown]
	v_lshlrev_b16 v19, 8, v19
	v_lshlrev_b16 v20, 8, v20
	;; [unrolled: 1-line block ×4, first 2 shown]
	s_waitcnt lgkmcnt(0)
	v_or_b32_e32 v19, v22, v19
	v_or_b32_e32 v20, v23, v20
	;; [unrolled: 1-line block ×4, first 2 shown]
	s_barrier
	v_and_b32_e32 v18, 0xffff, v19
	v_lshlrev_b32_e32 v19, 16, v20
	v_and_b32_e32 v21, 0xffff, v21
	v_lshlrev_b32_e32 v17, 16, v17
	buffer_gl0_inv
                                        ; implicit-def: $sgpr0
	v_or_b32_e32 v20, v18, v19
	v_or_b32_e32 v19, v21, v17
	s_and_saveexec_b32 s27, s3
	s_cbranch_execz .LBB837_362
; %bb.350:
	s_mov_b32 s0, 0
	s_mov_b32 s3, exec_lo
	v_cmpx_gt_u32_e64 s12, v39
	s_cbranch_execz .LBB837_361
; %bb.351:
	s_and_not1_b32 vcc_lo, exec_lo, s26
	s_cbranch_vccnz .LBB837_360
; %bb.352:
	v_add_nc_u32_e32 v17, -8, v39
	v_mul_lo_u32 v25, v14, s14
	v_mul_lo_u32 v26, v13, s15
	s_mov_b32 s0, -1
	ds_load_b64 v[17:18], v17
	s_waitcnt lgkmcnt(0)
	v_mul_lo_u32 v23, v18, s14
	v_mul_lo_u32 v24, v17, s15
	v_mad_u64_u32 v[21:22], null, v17, s14, 0
	v_mad_u64_u32 v[17:18], null, v13, s14, 0
	s_delay_alu instid0(VALU_DEP_2) | instskip(NEXT) | instid1(VALU_DEP_2)
	v_add3_u32 v22, v22, v24, v23
	v_add3_u32 v18, v18, v26, v25
	s_delay_alu instid0(VALU_DEP_2) | instskip(NEXT) | instid1(VALU_DEP_2)
	v_lshlrev_b64 v[21:22], 3, v[21:22]
	v_lshlrev_b64 v[17:18], 3, v[17:18]
	s_delay_alu instid0(VALU_DEP_2) | instskip(NEXT) | instid1(VALU_DEP_3)
	v_add_co_u32 v21, vcc_lo, s16, v21
	v_add_co_ci_u32_e32 v22, vcc_lo, s17, v22, vcc_lo
	s_delay_alu instid0(VALU_DEP_3) | instskip(NEXT) | instid1(VALU_DEP_4)
	v_add_co_u32 v17, vcc_lo, s16, v17
	v_add_co_ci_u32_e32 v18, vcc_lo, s17, v18, vcc_lo
	s_clause 0x1
	global_load_b64 v[23:24], v[21:22], off
	global_load_b64 v[25:26], v[17:18], off
	s_mov_b32 s16, exec_lo
	s_waitcnt vmcnt(0)
	v_cmpx_eq_f64_e32 v[23:24], v[25:26]
	s_cbranch_execz .LBB837_359
; %bb.353:
	v_add_co_u32 v17, vcc_lo, v17, 8
	v_add_co_ci_u32_e32 v18, vcc_lo, 0, v18, vcc_lo
	v_add_co_u32 v21, vcc_lo, v21, 8
	v_add_co_ci_u32_e32 v22, vcc_lo, 0, v22, vcc_lo
	s_add_u32 s4, s14, -1
	s_addc_u32 s5, s15, -1
	s_mov_b64 s[6:7], 0
	s_mov_b32 s17, 0
                                        ; implicit-def: $sgpr26
	s_set_inst_prefetch_distance 0x1
	s_branch .LBB837_356
	.p2align	6
.LBB837_354:                            ;   in Loop: Header=BB837_356 Depth=1
	global_load_b64 v[23:24], v[21:22], off
	global_load_b64 v[25:26], v[17:18], off
	v_add_co_u32 v17, s0, v17, 8
	s_delay_alu instid0(VALU_DEP_1) | instskip(SKIP_1) | instid1(VALU_DEP_1)
	v_add_co_ci_u32_e64 v18, s0, 0, v18, s0
	v_add_co_u32 v21, s0, v21, 8
	v_add_co_ci_u32_e64 v22, s0, 0, v22, s0
	s_add_u32 s6, s6, 1
	s_addc_u32 s7, s7, 0
	s_and_not1_b32 s0, s26, exec_lo
	s_waitcnt vmcnt(0)
	v_cmp_neq_f64_e32 vcc_lo, v[23:24], v[25:26]
	s_and_b32 s26, vcc_lo, exec_lo
	s_delay_alu instid0(SALU_CYCLE_1)
	s_or_b32 s26, s0, s26
.LBB837_355:                            ;   in Loop: Header=BB837_356 Depth=1
	v_dual_mov_b32 v24, s7 :: v_dual_mov_b32 v23, s6
	s_and_b32 s0, exec_lo, s26
	s_delay_alu instid0(SALU_CYCLE_1) | instskip(NEXT) | instid1(SALU_CYCLE_1)
	s_or_b32 s17, s0, s17
	s_and_not1_b32 exec_lo, exec_lo, s17
	s_cbranch_execz .LBB837_358
.LBB837_356:                            ; =>This Inner Loop Header: Depth=1
	s_or_b32 s26, s26, exec_lo
	s_cmp_eq_u64 s[4:5], s[6:7]
	s_cbranch_scc0 .LBB837_354
; %bb.357:                              ;   in Loop: Header=BB837_356 Depth=1
	s_mov_b64 s[6:7], s[14:15]
                                        ; implicit-def: $vgpr17_vgpr18
                                        ; implicit-def: $vgpr21_vgpr22
	s_branch .LBB837_355
.LBB837_358:
	s_set_inst_prefetch_distance 0x2
	s_or_b32 exec_lo, exec_lo, s17
	v_cmp_gt_i64_e32 vcc_lo, s[14:15], v[23:24]
	s_or_not1_b32 s0, vcc_lo, exec_lo
.LBB837_359:
	s_or_b32 exec_lo, exec_lo, s16
.LBB837_360:
	s_delay_alu instid0(SALU_CYCLE_1)
	s_and_b32 s0, s0, exec_lo
.LBB837_361:
	s_or_b32 exec_lo, exec_lo, s3
	s_delay_alu instid0(SALU_CYCLE_1)
	s_and_b32 s0, s0, exec_lo
	s_or_b32 s25, s25, exec_lo
.LBB837_362:
	s_or_b32 exec_lo, exec_lo, s27
.LBB837_363:
	s_and_saveexec_b32 s3, s25
	s_cbranch_execz .LBB837_365
; %bb.364:
	s_waitcnt vmcnt(0) lgkmcnt(0)
	v_and_b32_e32 v17, 0xffffff00, v19
	v_cndmask_b32_e64 v18, 0, 1, s0
	s_delay_alu instid0(VALU_DEP_1) | instskip(NEXT) | instid1(VALU_DEP_1)
	v_or_b32_e32 v17, v18, v17
	v_and_b32_e32 v17, 0xffff, v17
	s_delay_alu instid0(VALU_DEP_1)
	v_and_or_b32 v19, 0xffff0000, v19, v17
.LBB837_365:
	s_or_b32 exec_lo, exec_lo, s3
	s_delay_alu instid0(SALU_CYCLE_1)
	s_and_not1_b32 vcc_lo, exec_lo, s1
	s_cbranch_vccnz .LBB837_367
; %bb.366:
	v_cmp_gt_u32_e32 vcc_lo, s12, v39
	s_waitcnt vmcnt(0) lgkmcnt(0)
	v_or_b32_e32 v18, 1, v39
	v_and_b32_e32 v21, 0xffffff00, v20
	v_or_b32_e32 v22, 2, v39
	v_cndmask_b32_e32 v17, 0, v19, vcc_lo
	s_delay_alu instid0(VALU_DEP_4) | instskip(SKIP_1) | instid1(VALU_DEP_4)
	v_cmp_gt_u32_e32 vcc_lo, s12, v18
	v_or_b32_e32 v18, 4, v39
	v_cmp_gt_u32_e64 s0, s12, v22
	v_or_b32_e32 v22, 3, v39
	v_and_b32_e32 v17, 0xff, v17
	s_delay_alu instid0(VALU_DEP_2) | instskip(NEXT) | instid1(VALU_DEP_2)
	v_cmp_gt_u32_e64 s1, s12, v22
	v_cndmask_b32_e32 v17, v17, v19, vcc_lo
	v_cmp_gt_u32_e32 vcc_lo, s12, v18
	v_cndmask_b32_e32 v18, v21, v20, vcc_lo
	v_or_b32_e32 v21, 5, v39
	s_delay_alu instid0(VALU_DEP_2) | instskip(SKIP_1) | instid1(VALU_DEP_1)
	v_and_b32_e32 v18, 0xffff00ff, v18
	v_and_b32_e32 v17, 0xffff, v17
	v_cndmask_b32_e64 v17, v17, v19, s0
	s_delay_alu instid0(VALU_DEP_4) | instskip(SKIP_1) | instid1(VALU_DEP_3)
	v_cmp_gt_u32_e64 s0, s12, v21
	v_or_b32_e32 v21, 6, v39
	v_and_b32_e32 v17, 0xffffff, v17
	s_delay_alu instid0(VALU_DEP_3) | instskip(NEXT) | instid1(VALU_DEP_2)
	v_cndmask_b32_e64 v18, v18, v20, s0
	v_cndmask_b32_e64 v17, v17, v19, s1
	s_delay_alu instid0(VALU_DEP_1) | instskip(SKIP_2) | instid1(VALU_DEP_3)
	v_dual_cndmask_b32 v17, v17, v19 :: v_dual_and_b32 v18, 0xff00ffff, v18
	v_cmp_gt_u32_e32 vcc_lo, s12, v21
	v_or_b32_e32 v21, 7, v39
	v_cndmask_b32_e64 v17, v17, v19, s0
	s_delay_alu instid0(VALU_DEP_1) | instskip(NEXT) | instid1(VALU_DEP_1)
	v_dual_cndmask_b32 v18, v18, v20 :: v_dual_cndmask_b32 v17, v17, v19
	v_and_b32_e32 v18, 0xffffff, v18
	s_delay_alu instid0(VALU_DEP_4) | instskip(NEXT) | instid1(VALU_DEP_2)
	v_cmp_gt_u32_e32 vcc_lo, s12, v21
	v_dual_cndmask_b32 v20, v18, v20 :: v_dual_cndmask_b32 v19, v17, v19
.LBB837_367:
	s_delay_alu instid0(VALU_DEP_1) | instskip(SKIP_1) | instid1(VALU_DEP_2)
	v_and_b32_e32 v28, 0xff, v19
	s_waitcnt vmcnt(0) lgkmcnt(0)
	v_alignbit_b32 v17, v20, v19, 24
	v_bfe_u32 v30, v19, 8, 8
	v_bfe_u32 v32, v19, 16, 8
	v_and_b32_e32 v36, 0xff, v20
	v_bfe_u32 v38, v20, 8, 8
	v_and_b32_e32 v34, 0xff, v17
	v_add_nc_u32_e32 v17, v30, v28
	v_mbcnt_lo_u32_b32 v42, -1, 0
	v_bfe_u32 v41, v20, 16, 8
	v_lshrrev_b32_e32 v40, 24, v20
	v_lshrrev_b32_e32 v43, 5, v0
	v_add3_u32 v17, v17, v32, v34
	v_and_b32_e32 v18, 15, v42
	v_and_b32_e32 v21, 16, v42
	s_and_b32 vcc_lo, exec_lo, s24
	s_mov_b32 s7, -1
	v_add3_u32 v17, v17, v36, v38
	v_cmp_eq_u32_e64 s3, 0, v18
	v_cmp_lt_u32_e64 s0, 1, v18
	v_cmp_lt_u32_e64 s4, 3, v18
	;; [unrolled: 1-line block ×3, first 2 shown]
	v_add3_u32 v44, v17, v41, v40
	v_or_b32_e32 v17, 31, v0
	v_cmp_eq_u32_e64 s6, 0, v21
	s_barrier
	buffer_gl0_inv
	v_cmp_eq_u32_e64 s5, v17, v0
	s_cbranch_vccz .LBB837_393
; %bb.368:
	v_mov_b32_dpp v17, v44 row_shr:1 row_mask:0xf bank_mask:0xf
	s_delay_alu instid0(VALU_DEP_1) | instskip(NEXT) | instid1(VALU_DEP_1)
	v_cndmask_b32_e64 v17, v17, 0, s3
	v_add_nc_u32_e32 v17, v17, v44
	s_delay_alu instid0(VALU_DEP_1) | instskip(NEXT) | instid1(VALU_DEP_1)
	v_mov_b32_dpp v18, v17 row_shr:2 row_mask:0xf bank_mask:0xf
	v_cndmask_b32_e64 v18, 0, v18, s0
	s_delay_alu instid0(VALU_DEP_1) | instskip(NEXT) | instid1(VALU_DEP_1)
	v_add_nc_u32_e32 v17, v17, v18
	v_mov_b32_dpp v18, v17 row_shr:4 row_mask:0xf bank_mask:0xf
	s_delay_alu instid0(VALU_DEP_1) | instskip(NEXT) | instid1(VALU_DEP_1)
	v_cndmask_b32_e64 v18, 0, v18, s4
	v_add_nc_u32_e32 v17, v17, v18
	s_delay_alu instid0(VALU_DEP_1) | instskip(NEXT) | instid1(VALU_DEP_1)
	v_mov_b32_dpp v18, v17 row_shr:8 row_mask:0xf bank_mask:0xf
	v_cndmask_b32_e64 v18, 0, v18, s1
	s_delay_alu instid0(VALU_DEP_1) | instskip(SKIP_3) | instid1(VALU_DEP_1)
	v_add_nc_u32_e32 v17, v17, v18
	ds_swizzle_b32 v18, v17 offset:swizzle(BROADCAST,32,15)
	s_waitcnt lgkmcnt(0)
	v_cndmask_b32_e64 v18, v18, 0, s6
	v_add_nc_u32_e32 v17, v17, v18
	s_and_saveexec_b32 s7, s5
	s_cbranch_execz .LBB837_370
; %bb.369:
	v_lshlrev_b32_e32 v18, 2, v43
	ds_store_b32 v18, v17
.LBB837_370:
	s_or_b32 exec_lo, exec_lo, s7
	s_delay_alu instid0(SALU_CYCLE_1)
	s_mov_b32 s7, exec_lo
	s_waitcnt lgkmcnt(0)
	s_barrier
	buffer_gl0_inv
	v_cmpx_gt_u32_e32 16, v0
	s_cbranch_execz .LBB837_372
; %bb.371:
	v_lshlrev_b32_e32 v18, 2, v0
	ds_load_b32 v21, v18
	s_waitcnt lgkmcnt(0)
	v_mov_b32_dpp v22, v21 row_shr:1 row_mask:0xf bank_mask:0xf
	s_delay_alu instid0(VALU_DEP_1) | instskip(NEXT) | instid1(VALU_DEP_1)
	v_cndmask_b32_e64 v22, v22, 0, s3
	v_add_nc_u32_e32 v21, v22, v21
	s_delay_alu instid0(VALU_DEP_1) | instskip(NEXT) | instid1(VALU_DEP_1)
	v_mov_b32_dpp v22, v21 row_shr:2 row_mask:0xf bank_mask:0xf
	v_cndmask_b32_e64 v22, 0, v22, s0
	s_delay_alu instid0(VALU_DEP_1) | instskip(NEXT) | instid1(VALU_DEP_1)
	v_add_nc_u32_e32 v21, v21, v22
	v_mov_b32_dpp v22, v21 row_shr:4 row_mask:0xf bank_mask:0xf
	s_delay_alu instid0(VALU_DEP_1) | instskip(NEXT) | instid1(VALU_DEP_1)
	v_cndmask_b32_e64 v22, 0, v22, s4
	v_add_nc_u32_e32 v21, v21, v22
	s_delay_alu instid0(VALU_DEP_1) | instskip(NEXT) | instid1(VALU_DEP_1)
	v_mov_b32_dpp v22, v21 row_shr:8 row_mask:0xf bank_mask:0xf
	v_cndmask_b32_e64 v22, 0, v22, s1
	s_delay_alu instid0(VALU_DEP_1)
	v_add_nc_u32_e32 v21, v21, v22
	ds_store_b32 v18, v21
.LBB837_372:
	s_or_b32 exec_lo, exec_lo, s7
	v_cmp_gt_u32_e32 vcc_lo, 32, v0
	s_mov_b32 s12, exec_lo
	s_waitcnt lgkmcnt(0)
	s_barrier
	buffer_gl0_inv
                                        ; implicit-def: $vgpr27
	v_cmpx_lt_u32_e32 31, v0
	s_cbranch_execz .LBB837_374
; %bb.373:
	v_lshl_add_u32 v18, v43, 2, -4
	ds_load_b32 v27, v18
	s_waitcnt lgkmcnt(0)
	v_add_nc_u32_e32 v17, v27, v17
.LBB837_374:
	s_or_b32 exec_lo, exec_lo, s12
	v_add_nc_u32_e32 v18, -1, v42
	s_delay_alu instid0(VALU_DEP_1) | instskip(NEXT) | instid1(VALU_DEP_1)
	v_cmp_gt_i32_e64 s7, 0, v18
	v_cndmask_b32_e64 v18, v18, v42, s7
	v_cmp_eq_u32_e64 s7, 0, v42
	s_delay_alu instid0(VALU_DEP_2)
	v_lshlrev_b32_e32 v18, 2, v18
	ds_bpermute_b32 v29, v18, v17
	s_and_saveexec_b32 s12, vcc_lo
	s_cbranch_execz .LBB837_392
; %bb.375:
	v_mov_b32_e32 v23, 0
	ds_load_b32 v17, v23 offset:60
	s_and_saveexec_b32 s14, s7
	s_cbranch_execz .LBB837_377
; %bb.376:
	s_add_i32 s16, s23, 32
	s_mov_b32 s17, 0
	v_mov_b32_e32 v18, 1
	s_lshl_b64 s[16:17], s[16:17], 3
	s_delay_alu instid0(SALU_CYCLE_1)
	s_add_u32 s16, s18, s16
	s_addc_u32 s17, s19, s17
	s_waitcnt lgkmcnt(0)
	global_store_b64 v23, v[17:18], s[16:17]
.LBB837_377:
	s_or_b32 exec_lo, exec_lo, s14
	v_xad_u32 v21, v42, -1, s23
	s_mov_b32 s15, 0
	s_mov_b32 s14, exec_lo
	s_delay_alu instid0(VALU_DEP_1) | instskip(NEXT) | instid1(VALU_DEP_1)
	v_add_nc_u32_e32 v22, 32, v21
	v_lshlrev_b64 v[22:23], 3, v[22:23]
	s_delay_alu instid0(VALU_DEP_1) | instskip(NEXT) | instid1(VALU_DEP_2)
	v_add_co_u32 v25, vcc_lo, s18, v22
	v_add_co_ci_u32_e32 v26, vcc_lo, s19, v23, vcc_lo
	global_load_b64 v[23:24], v[25:26], off glc
	s_waitcnt vmcnt(0)
	v_and_b32_e32 v18, 0xff, v24
	s_delay_alu instid0(VALU_DEP_1)
	v_cmpx_eq_u16_e32 0, v18
	s_cbranch_execz .LBB837_380
.LBB837_378:                            ; =>This Inner Loop Header: Depth=1
	global_load_b64 v[23:24], v[25:26], off glc
	s_waitcnt vmcnt(0)
	v_and_b32_e32 v18, 0xff, v24
	s_delay_alu instid0(VALU_DEP_1) | instskip(SKIP_1) | instid1(SALU_CYCLE_1)
	v_cmp_ne_u16_e32 vcc_lo, 0, v18
	s_or_b32 s15, vcc_lo, s15
	s_and_not1_b32 exec_lo, exec_lo, s15
	s_cbranch_execnz .LBB837_378
; %bb.379:
	s_or_b32 exec_lo, exec_lo, s15
.LBB837_380:
	s_delay_alu instid0(SALU_CYCLE_1)
	s_or_b32 exec_lo, exec_lo, s14
	v_cmp_ne_u32_e32 vcc_lo, 31, v42
	v_and_b32_e32 v22, 0xff, v24
	v_lshlrev_b32_e64 v31, v42, -1
	v_add_nc_u32_e32 v35, 2, v42
	v_add_nc_u32_e32 v45, 4, v42
	v_add_co_ci_u32_e32 v18, vcc_lo, 0, v42, vcc_lo
	v_cmp_eq_u16_e32 vcc_lo, 2, v22
	v_add_nc_u32_e32 v48, 8, v42
	v_add_nc_u32_e32 v50, 16, v42
	v_and_or_b32 v22, vcc_lo, v31, 0x80000000
	v_cmp_gt_u32_e32 vcc_lo, 30, v42
	s_delay_alu instid0(VALU_DEP_2) | instskip(SKIP_1) | instid1(VALU_DEP_2)
	v_ctz_i32_b32_e32 v22, v22
	v_cndmask_b32_e64 v26, 0, 1, vcc_lo
	v_cmp_lt_u32_e32 vcc_lo, v42, v22
	v_lshlrev_b32_e32 v18, 2, v18
	s_delay_alu instid0(VALU_DEP_3)
	v_lshlrev_b32_e32 v26, 1, v26
	ds_bpermute_b32 v25, v18, v23
	v_add_lshl_u32 v33, v26, v42, 2
	s_waitcnt lgkmcnt(0)
	v_cndmask_b32_e32 v25, 0, v25, vcc_lo
	v_cmp_gt_u32_e32 vcc_lo, 28, v42
	s_delay_alu instid0(VALU_DEP_2) | instskip(SKIP_4) | instid1(VALU_DEP_1)
	v_add_nc_u32_e32 v23, v25, v23
	v_cndmask_b32_e64 v26, 0, 1, vcc_lo
	v_cmp_le_u32_e32 vcc_lo, v35, v22
	ds_bpermute_b32 v25, v33, v23
	v_lshlrev_b32_e32 v26, 2, v26
	v_add_lshl_u32 v37, v26, v42, 2
	s_waitcnt lgkmcnt(0)
	v_cndmask_b32_e32 v25, 0, v25, vcc_lo
	v_cmp_gt_u32_e32 vcc_lo, 24, v42
	s_delay_alu instid0(VALU_DEP_2) | instskip(SKIP_4) | instid1(VALU_DEP_1)
	v_add_nc_u32_e32 v23, v23, v25
	v_cndmask_b32_e64 v26, 0, 1, vcc_lo
	v_cmp_le_u32_e32 vcc_lo, v45, v22
	ds_bpermute_b32 v25, v37, v23
	v_lshlrev_b32_e32 v26, 3, v26
	;; [unrolled: 10-line block ×3, first 2 shown]
	v_add_lshl_u32 v49, v26, v42, 2
	s_waitcnt lgkmcnt(0)
	v_cndmask_b32_e32 v25, 0, v25, vcc_lo
	v_cmp_le_u32_e32 vcc_lo, v50, v22
	s_delay_alu instid0(VALU_DEP_2) | instskip(SKIP_3) | instid1(VALU_DEP_1)
	v_add_nc_u32_e32 v23, v23, v25
	ds_bpermute_b32 v25, v49, v23
	s_waitcnt lgkmcnt(0)
	v_cndmask_b32_e32 v22, 0, v25, vcc_lo
	v_dual_mov_b32 v22, 0 :: v_dual_add_nc_u32 v23, v23, v22
	s_branch .LBB837_382
.LBB837_381:                            ;   in Loop: Header=BB837_382 Depth=1
	s_or_b32 exec_lo, exec_lo, s14
	ds_bpermute_b32 v26, v18, v23
	v_and_b32_e32 v25, 0xff, v24
	v_subrev_nc_u32_e32 v21, 32, v21
	s_delay_alu instid0(VALU_DEP_2) | instskip(SKIP_1) | instid1(VALU_DEP_1)
	v_cmp_eq_u16_e32 vcc_lo, 2, v25
	v_and_or_b32 v25, vcc_lo, v31, 0x80000000
	v_ctz_i32_b32_e32 v25, v25
	s_delay_alu instid0(VALU_DEP_1) | instskip(SKIP_3) | instid1(VALU_DEP_2)
	v_cmp_lt_u32_e32 vcc_lo, v42, v25
	s_waitcnt lgkmcnt(0)
	v_cndmask_b32_e32 v26, 0, v26, vcc_lo
	v_cmp_le_u32_e32 vcc_lo, v35, v25
	v_add_nc_u32_e32 v23, v26, v23
	ds_bpermute_b32 v26, v33, v23
	s_waitcnt lgkmcnt(0)
	v_cndmask_b32_e32 v26, 0, v26, vcc_lo
	v_cmp_le_u32_e32 vcc_lo, v45, v25
	s_delay_alu instid0(VALU_DEP_2) | instskip(SKIP_4) | instid1(VALU_DEP_2)
	v_add_nc_u32_e32 v23, v23, v26
	ds_bpermute_b32 v26, v37, v23
	s_waitcnt lgkmcnt(0)
	v_cndmask_b32_e32 v26, 0, v26, vcc_lo
	v_cmp_le_u32_e32 vcc_lo, v48, v25
	v_add_nc_u32_e32 v23, v23, v26
	ds_bpermute_b32 v26, v47, v23
	s_waitcnt lgkmcnt(0)
	v_cndmask_b32_e32 v26, 0, v26, vcc_lo
	v_cmp_le_u32_e32 vcc_lo, v50, v25
	s_delay_alu instid0(VALU_DEP_2) | instskip(SKIP_3) | instid1(VALU_DEP_1)
	v_add_nc_u32_e32 v23, v23, v26
	ds_bpermute_b32 v26, v49, v23
	s_waitcnt lgkmcnt(0)
	v_cndmask_b32_e32 v25, 0, v26, vcc_lo
	v_add3_u32 v23, v25, v46, v23
.LBB837_382:                            ; =>This Loop Header: Depth=1
                                        ;     Child Loop BB837_385 Depth 2
	v_and_b32_e32 v24, 0xff, v24
	s_delay_alu instid0(VALU_DEP_2) | instskip(NEXT) | instid1(VALU_DEP_2)
	v_mov_b32_e32 v46, v23
	v_cmp_ne_u16_e32 vcc_lo, 2, v24
	v_cndmask_b32_e64 v24, 0, 1, vcc_lo
	;;#ASMSTART
	;;#ASMEND
	s_delay_alu instid0(VALU_DEP_1)
	v_cmp_ne_u32_e32 vcc_lo, 0, v24
	s_cmp_lg_u32 vcc_lo, exec_lo
	s_cbranch_scc1 .LBB837_387
; %bb.383:                              ;   in Loop: Header=BB837_382 Depth=1
	v_lshlrev_b64 v[23:24], 3, v[21:22]
	s_mov_b32 s14, exec_lo
	s_delay_alu instid0(VALU_DEP_1) | instskip(NEXT) | instid1(VALU_DEP_2)
	v_add_co_u32 v25, vcc_lo, s18, v23
	v_add_co_ci_u32_e32 v26, vcc_lo, s19, v24, vcc_lo
	global_load_b64 v[23:24], v[25:26], off glc
	s_waitcnt vmcnt(0)
	v_and_b32_e32 v51, 0xff, v24
	s_delay_alu instid0(VALU_DEP_1)
	v_cmpx_eq_u16_e32 0, v51
	s_cbranch_execz .LBB837_381
; %bb.384:                              ;   in Loop: Header=BB837_382 Depth=1
	s_mov_b32 s15, 0
.LBB837_385:                            ;   Parent Loop BB837_382 Depth=1
                                        ; =>  This Inner Loop Header: Depth=2
	global_load_b64 v[23:24], v[25:26], off glc
	s_waitcnt vmcnt(0)
	v_and_b32_e32 v51, 0xff, v24
	s_delay_alu instid0(VALU_DEP_1) | instskip(SKIP_1) | instid1(SALU_CYCLE_1)
	v_cmp_ne_u16_e32 vcc_lo, 0, v51
	s_or_b32 s15, vcc_lo, s15
	s_and_not1_b32 exec_lo, exec_lo, s15
	s_cbranch_execnz .LBB837_385
; %bb.386:                              ;   in Loop: Header=BB837_382 Depth=1
	s_or_b32 exec_lo, exec_lo, s15
	s_branch .LBB837_381
.LBB837_387:                            ;   in Loop: Header=BB837_382 Depth=1
                                        ; implicit-def: $vgpr23
                                        ; implicit-def: $vgpr24
	s_cbranch_execz .LBB837_382
; %bb.388:
	s_and_saveexec_b32 s14, s7
	s_cbranch_execz .LBB837_390
; %bb.389:
	s_add_i32 s16, s23, 32
	s_mov_b32 s17, 0
	v_dual_mov_b32 v22, 2 :: v_dual_add_nc_u32 v21, v46, v17
	s_lshl_b64 s[16:17], s[16:17], 3
	v_mov_b32_e32 v18, 0
	v_add_nc_u32_e64 v23, 0x8400, 0
	s_add_u32 s16, s18, s16
	s_addc_u32 s17, s19, s17
	global_store_b64 v18, v[21:22], s[16:17]
	ds_store_2addr_b32 v23, v17, v46 offset1:2
.LBB837_390:
	s_or_b32 exec_lo, exec_lo, s14
	s_delay_alu instid0(SALU_CYCLE_1)
	s_and_b32 exec_lo, exec_lo, s2
	s_cbranch_execz .LBB837_392
; %bb.391:
	v_mov_b32_e32 v17, 0
	ds_store_b32 v17, v46 offset:60
.LBB837_392:
	s_or_b32 exec_lo, exec_lo, s12
	v_mov_b32_e32 v17, 0
	s_waitcnt lgkmcnt(0)
	s_waitcnt_vscnt null, 0x0
	s_barrier
	buffer_gl0_inv
	v_cndmask_b32_e64 v18, v29, v27, s7
	ds_load_b32 v17, v17 offset:60
	s_waitcnt lgkmcnt(0)
	s_barrier
	buffer_gl0_inv
	v_cndmask_b32_e64 v18, v18, 0, s2
	s_delay_alu instid0(VALU_DEP_1) | instskip(SKIP_1) | instid1(VALU_DEP_2)
	v_add_nc_u32_e32 v37, v17, v18
	v_add_nc_u32_e64 v17, 0x8400, 0
	v_add_nc_u32_e32 v35, v37, v28
	ds_load_2addr_b32 v[17:18], v17 offset1:2
	v_add_nc_u32_e32 v33, v35, v30
	s_delay_alu instid0(VALU_DEP_1) | instskip(NEXT) | instid1(VALU_DEP_1)
	v_add_nc_u32_e32 v31, v33, v32
	v_add_nc_u32_e32 v29, v31, v34
	s_delay_alu instid0(VALU_DEP_1) | instskip(NEXT) | instid1(VALU_DEP_1)
	v_add_nc_u32_e32 v27, v29, v36
	v_add_nc_u32_e32 v25, v27, v38
	s_delay_alu instid0(VALU_DEP_1)
	v_add_nc_u32_e32 v23, v25, v41
	v_lshrrev_b64 v[21:22], 24, v[19:20]
	s_branch .LBB837_403
.LBB837_393:
                                        ; implicit-def: $vgpr23
                                        ; implicit-def: $vgpr25
                                        ; implicit-def: $vgpr27
                                        ; implicit-def: $vgpr29
                                        ; implicit-def: $vgpr31
                                        ; implicit-def: $vgpr33
                                        ; implicit-def: $vgpr35
                                        ; implicit-def: $vgpr37
                                        ; implicit-def: $vgpr18
	v_lshrrev_b64 v[21:22], 24, v[19:20]
	s_and_b32 vcc_lo, exec_lo, s7
	s_cbranch_vccz .LBB837_403
; %bb.394:
	s_waitcnt lgkmcnt(0)
	v_mov_b32_dpp v17, v44 row_shr:1 row_mask:0xf bank_mask:0xf
	s_delay_alu instid0(VALU_DEP_1) | instskip(NEXT) | instid1(VALU_DEP_1)
	v_cndmask_b32_e64 v17, v17, 0, s3
	v_add_nc_u32_e32 v17, v17, v44
	s_delay_alu instid0(VALU_DEP_1) | instskip(NEXT) | instid1(VALU_DEP_1)
	v_mov_b32_dpp v18, v17 row_shr:2 row_mask:0xf bank_mask:0xf
	v_cndmask_b32_e64 v18, 0, v18, s0
	s_delay_alu instid0(VALU_DEP_1) | instskip(NEXT) | instid1(VALU_DEP_1)
	v_add_nc_u32_e32 v17, v17, v18
	v_mov_b32_dpp v18, v17 row_shr:4 row_mask:0xf bank_mask:0xf
	s_delay_alu instid0(VALU_DEP_1) | instskip(NEXT) | instid1(VALU_DEP_1)
	v_cndmask_b32_e64 v18, 0, v18, s4
	v_add_nc_u32_e32 v17, v17, v18
	s_delay_alu instid0(VALU_DEP_1) | instskip(NEXT) | instid1(VALU_DEP_1)
	v_mov_b32_dpp v18, v17 row_shr:8 row_mask:0xf bank_mask:0xf
	v_cndmask_b32_e64 v18, 0, v18, s1
	s_delay_alu instid0(VALU_DEP_1) | instskip(SKIP_3) | instid1(VALU_DEP_1)
	v_add_nc_u32_e32 v17, v17, v18
	ds_swizzle_b32 v18, v17 offset:swizzle(BROADCAST,32,15)
	s_waitcnt lgkmcnt(0)
	v_cndmask_b32_e64 v18, v18, 0, s6
	v_add_nc_u32_e32 v17, v17, v18
	s_and_saveexec_b32 s6, s5
	s_cbranch_execz .LBB837_396
; %bb.395:
	v_lshlrev_b32_e32 v18, 2, v43
	ds_store_b32 v18, v17
.LBB837_396:
	s_or_b32 exec_lo, exec_lo, s6
	s_delay_alu instid0(SALU_CYCLE_1)
	s_mov_b32 s5, exec_lo
	s_waitcnt lgkmcnt(0)
	s_barrier
	buffer_gl0_inv
	v_cmpx_gt_u32_e32 16, v0
	s_cbranch_execz .LBB837_398
; %bb.397:
	v_lshlrev_b32_e32 v18, 2, v0
	ds_load_b32 v22, v18
	s_waitcnt lgkmcnt(0)
	v_mov_b32_dpp v23, v22 row_shr:1 row_mask:0xf bank_mask:0xf
	s_delay_alu instid0(VALU_DEP_1) | instskip(NEXT) | instid1(VALU_DEP_1)
	v_cndmask_b32_e64 v23, v23, 0, s3
	v_add_nc_u32_e32 v22, v23, v22
	s_delay_alu instid0(VALU_DEP_1) | instskip(NEXT) | instid1(VALU_DEP_1)
	v_mov_b32_dpp v23, v22 row_shr:2 row_mask:0xf bank_mask:0xf
	v_cndmask_b32_e64 v23, 0, v23, s0
	s_delay_alu instid0(VALU_DEP_1) | instskip(NEXT) | instid1(VALU_DEP_1)
	v_add_nc_u32_e32 v22, v22, v23
	v_mov_b32_dpp v23, v22 row_shr:4 row_mask:0xf bank_mask:0xf
	s_delay_alu instid0(VALU_DEP_1) | instskip(NEXT) | instid1(VALU_DEP_1)
	v_cndmask_b32_e64 v23, 0, v23, s4
	v_add_nc_u32_e32 v22, v22, v23
	s_delay_alu instid0(VALU_DEP_1) | instskip(NEXT) | instid1(VALU_DEP_1)
	v_mov_b32_dpp v23, v22 row_shr:8 row_mask:0xf bank_mask:0xf
	v_cndmask_b32_e64 v23, 0, v23, s1
	s_delay_alu instid0(VALU_DEP_1)
	v_add_nc_u32_e32 v22, v22, v23
	ds_store_b32 v18, v22
.LBB837_398:
	s_or_b32 exec_lo, exec_lo, s5
	v_mov_b32_e32 v18, 0
	v_mov_b32_e32 v22, 0
	s_mov_b32 s0, exec_lo
	s_waitcnt lgkmcnt(0)
	s_barrier
	buffer_gl0_inv
	v_cmpx_lt_u32_e32 31, v0
	s_cbranch_execz .LBB837_400
; %bb.399:
	v_lshl_add_u32 v22, v43, 2, -4
	ds_load_b32 v22, v22
.LBB837_400:
	s_or_b32 exec_lo, exec_lo, s0
	v_add_nc_u32_e32 v23, -1, v42
	s_waitcnt lgkmcnt(0)
	v_add_nc_u32_e32 v17, v22, v17
	s_delay_alu instid0(VALU_DEP_2) | instskip(SKIP_1) | instid1(VALU_DEP_1)
	v_cmp_gt_i32_e32 vcc_lo, 0, v23
	v_cndmask_b32_e32 v23, v23, v42, vcc_lo
	v_lshlrev_b32_e32 v23, 2, v23
	ds_bpermute_b32 v23, v23, v17
	ds_load_b32 v17, v18 offset:60
	s_and_saveexec_b32 s0, s2
	s_cbranch_execz .LBB837_402
; %bb.401:
	v_mov_b32_e32 v24, 0
	v_mov_b32_e32 v18, 2
	s_waitcnt lgkmcnt(0)
	global_store_b64 v24, v[17:18], s[18:19] offset:256
.LBB837_402:
	s_or_b32 exec_lo, exec_lo, s0
	v_cmp_eq_u32_e32 vcc_lo, 0, v42
	s_waitcnt lgkmcnt(0)
	s_waitcnt_vscnt null, 0x0
	s_barrier
	buffer_gl0_inv
	v_cndmask_b32_e32 v18, v23, v22, vcc_lo
	s_delay_alu instid0(VALU_DEP_1) | instskip(NEXT) | instid1(VALU_DEP_1)
	v_cndmask_b32_e64 v37, v18, 0, s2
	v_dual_mov_b32 v18, 0 :: v_dual_add_nc_u32 v35, v37, v28
	s_delay_alu instid0(VALU_DEP_1) | instskip(NEXT) | instid1(VALU_DEP_1)
	v_add_nc_u32_e32 v33, v35, v30
	v_add_nc_u32_e32 v31, v33, v32
	s_delay_alu instid0(VALU_DEP_1) | instskip(NEXT) | instid1(VALU_DEP_1)
	v_add_nc_u32_e32 v29, v31, v34
	v_add_nc_u32_e32 v27, v29, v36
	;; [unrolled: 3-line block ×3, first 2 shown]
.LBB837_403:
	s_waitcnt lgkmcnt(0)
	v_cmp_gt_u32_e32 vcc_lo, 0x201, v17
	v_lshrrev_b32_e32 v43, 8, v19
	v_lshrrev_b32_e32 v42, 16, v19
	;; [unrolled: 1-line block ×4, first 2 shown]
	s_mov_b32 s0, -1
	s_cbranch_vccnz .LBB837_407
; %bb.404:
	s_and_b32 vcc_lo, exec_lo, s0
	s_cbranch_vccnz .LBB837_432
.LBB837_405:
	s_and_b32 s0, s2, s13
	s_delay_alu instid0(SALU_CYCLE_1)
	s_and_saveexec_b32 s1, s0
	s_cbranch_execnz .LBB837_452
.LBB837_406:
	s_nop 0
	s_sendmsg sendmsg(MSG_DEALLOC_VGPRS)
	s_endpgm
.LBB837_407:
	v_add_nc_u32_e32 v24, v18, v17
	s_delay_alu instid0(VALU_DEP_1) | instskip(SKIP_1) | instid1(SALU_CYCLE_1)
	v_cmp_lt_u32_e32 vcc_lo, v37, v24
	s_or_b32 s1, s22, vcc_lo
	s_and_saveexec_b32 s0, s1
	s_cbranch_execz .LBB837_410
; %bb.408:
	v_and_b32_e32 v26, 1, v19
	s_delay_alu instid0(VALU_DEP_1)
	v_cmp_eq_u32_e32 vcc_lo, 1, v26
	s_and_b32 exec_lo, exec_lo, vcc_lo
	s_cbranch_execz .LBB837_410
; %bb.409:
	v_mov_b32_e32 v38, 0
	s_lshl_b64 s[4:5], s[10:11], 3
	s_delay_alu instid0(SALU_CYCLE_1) | instskip(SKIP_1) | instid1(VALU_DEP_1)
	s_add_u32 s1, s20, s4
	s_addc_u32 s3, s21, s5
	v_lshlrev_b64 v[44:45], 3, v[37:38]
	s_delay_alu instid0(VALU_DEP_1) | instskip(NEXT) | instid1(VALU_DEP_2)
	v_add_co_u32 v44, vcc_lo, s1, v44
	v_add_co_ci_u32_e32 v45, vcc_lo, s3, v45, vcc_lo
	global_store_b64 v[44:45], v[13:14], off
.LBB837_410:
	s_or_b32 exec_lo, exec_lo, s0
	v_cmp_lt_u32_e32 vcc_lo, v35, v24
	s_or_b32 s1, s22, vcc_lo
	s_delay_alu instid0(SALU_CYCLE_1)
	s_and_saveexec_b32 s0, s1
	s_cbranch_execz .LBB837_413
; %bb.411:
	v_and_b32_e32 v26, 1, v43
	s_delay_alu instid0(VALU_DEP_1)
	v_cmp_eq_u32_e32 vcc_lo, 1, v26
	s_and_b32 exec_lo, exec_lo, vcc_lo
	s_cbranch_execz .LBB837_413
; %bb.412:
	v_mov_b32_e32 v36, 0
	s_lshl_b64 s[4:5], s[10:11], 3
	s_delay_alu instid0(SALU_CYCLE_1) | instskip(SKIP_1) | instid1(VALU_DEP_1)
	s_add_u32 s1, s20, s4
	s_addc_u32 s3, s21, s5
	v_lshlrev_b64 v[44:45], 3, v[35:36]
	s_delay_alu instid0(VALU_DEP_1) | instskip(NEXT) | instid1(VALU_DEP_2)
	v_add_co_u32 v44, vcc_lo, s1, v44
	v_add_co_ci_u32_e32 v45, vcc_lo, s3, v45, vcc_lo
	global_store_b64 v[44:45], v[15:16], off
.LBB837_413:
	s_or_b32 exec_lo, exec_lo, s0
	v_cmp_lt_u32_e32 vcc_lo, v33, v24
	s_or_b32 s1, s22, vcc_lo
	s_delay_alu instid0(SALU_CYCLE_1)
	;; [unrolled: 24-line block ×7, first 2 shown]
	s_and_saveexec_b32 s0, s1
	s_cbranch_execz .LBB837_431
; %bb.429:
	v_and_b32_e32 v24, 1, v40
	s_delay_alu instid0(VALU_DEP_1)
	v_cmp_eq_u32_e32 vcc_lo, 1, v24
	s_and_b32 exec_lo, exec_lo, vcc_lo
	s_cbranch_execz .LBB837_431
; %bb.430:
	v_mov_b32_e32 v24, 0
	s_lshl_b64 s[4:5], s[10:11], 3
	s_delay_alu instid0(SALU_CYCLE_1) | instskip(SKIP_1) | instid1(VALU_DEP_1)
	s_add_u32 s1, s20, s4
	s_addc_u32 s3, s21, s5
	v_lshlrev_b64 v[44:45], 3, v[23:24]
	s_delay_alu instid0(VALU_DEP_1) | instskip(NEXT) | instid1(VALU_DEP_2)
	v_add_co_u32 v44, vcc_lo, s1, v44
	v_add_co_ci_u32_e32 v45, vcc_lo, s3, v45, vcc_lo
	global_store_b64 v[44:45], v[3:4], off
.LBB837_431:
	s_or_b32 exec_lo, exec_lo, s0
	s_branch .LBB837_405
.LBB837_432:
	v_and_b32_e32 v19, 1, v19
	s_mov_b32 s0, exec_lo
	s_delay_alu instid0(VALU_DEP_1)
	v_cmpx_eq_u32_e32 1, v19
	s_cbranch_execz .LBB837_434
; %bb.433:
	v_sub_nc_u32_e32 v19, v37, v18
	s_delay_alu instid0(VALU_DEP_1)
	v_lshlrev_b32_e32 v19, 3, v19
	ds_store_b64 v19, v[13:14]
.LBB837_434:
	s_or_b32 exec_lo, exec_lo, s0
	v_and_b32_e32 v13, 1, v43
	s_mov_b32 s0, exec_lo
	s_delay_alu instid0(VALU_DEP_1)
	v_cmpx_eq_u32_e32 1, v13
	s_cbranch_execz .LBB837_436
; %bb.435:
	v_sub_nc_u32_e32 v13, v35, v18
	s_delay_alu instid0(VALU_DEP_1)
	v_lshlrev_b32_e32 v13, 3, v13
	ds_store_b64 v13, v[15:16]
.LBB837_436:
	s_or_b32 exec_lo, exec_lo, s0
	;; [unrolled: 12-line block ×8, first 2 shown]
	s_delay_alu instid0(SALU_CYCLE_1)
	s_mov_b32 s1, exec_lo
	s_waitcnt lgkmcnt(0)
	s_waitcnt_vscnt null, 0x0
	s_barrier
	buffer_gl0_inv
	v_cmpx_lt_u32_e64 v0, v17
	s_cbranch_execz .LBB837_451
; %bb.449:
	v_dual_mov_b32 v2, 0 :: v_dual_mov_b32 v1, v18
	s_lshl_b64 s[4:5], s[10:11], 3
	s_mov_b32 s3, 0
	s_delay_alu instid0(VALU_DEP_1) | instskip(NEXT) | instid1(VALU_DEP_1)
	v_lshlrev_b64 v[1:2], 3, v[1:2]
	v_add_co_u32 v1, vcc_lo, s4, v1
	s_delay_alu instid0(VALU_DEP_2) | instskip(NEXT) | instid1(VALU_DEP_2)
	v_add_co_ci_u32_e32 v2, vcc_lo, s5, v2, vcc_lo
	v_add_co_u32 v1, vcc_lo, s20, v1
	s_delay_alu instid0(VALU_DEP_2) | instskip(NEXT) | instid1(VALU_DEP_2)
	v_add_co_ci_u32_e32 v2, vcc_lo, s21, v2, vcc_lo
	v_add_co_u32 v1, vcc_lo, v1, v39
	s_delay_alu instid0(VALU_DEP_2)
	v_add_co_ci_u32_e32 v2, vcc_lo, 0, v2, vcc_lo
	.p2align	6
.LBB837_450:                            ; =>This Inner Loop Header: Depth=1
	ds_load_b64 v[3:4], v39
	v_add_nc_u32_e32 v0, 0x200, v0
	v_add_nc_u32_e32 v39, 0x1000, v39
	s_delay_alu instid0(VALU_DEP_2) | instskip(SKIP_4) | instid1(VALU_DEP_1)
	v_cmp_ge_u32_e32 vcc_lo, v0, v17
	s_or_b32 s3, vcc_lo, s3
	s_waitcnt lgkmcnt(0)
	global_store_b64 v[1:2], v[3:4], off
	v_add_co_u32 v1, s0, 0x1000, v1
	v_add_co_ci_u32_e64 v2, s0, 0, v2, s0
	s_and_not1_b32 exec_lo, exec_lo, s3
	s_cbranch_execnz .LBB837_450
.LBB837_451:
	s_or_b32 exec_lo, exec_lo, s1
	s_and_b32 s0, s2, s13
	s_delay_alu instid0(SALU_CYCLE_1)
	s_and_saveexec_b32 s1, s0
	s_cbranch_execz .LBB837_406
.LBB837_452:
	v_add_co_u32 v0, s0, s10, v17
	s_delay_alu instid0(VALU_DEP_1) | instskip(SKIP_1) | instid1(VALU_DEP_3)
	v_add_co_ci_u32_e64 v1, null, s11, 0, s0
	v_mov_b32_e32 v2, 0
	v_add_co_u32 v0, vcc_lo, v0, v18
	s_delay_alu instid0(VALU_DEP_3)
	v_add_co_ci_u32_e32 v1, vcc_lo, 0, v1, vcc_lo
	global_store_b64 v2, v[0:1], s[8:9]
	s_nop 0
	s_sendmsg sendmsg(MSG_DEALLOC_VGPRS)
	s_endpgm
	.section	.rodata,"a",@progbits
	.p2align	6, 0x0
	.amdhsa_kernel _ZN7rocprim17ROCPRIM_400000_NS6detail17trampoline_kernelINS0_14default_configENS1_25partition_config_selectorILNS1_17partition_subalgoE8ElNS0_10empty_typeEbEEZZNS1_14partition_implILS5_8ELb0ES3_jPlPS6_PKS6_NS0_5tupleIJS9_S6_EEENSD_IJSA_SA_EEENS0_18inequality_wrapperIZN2at6native12_GLOBAL__N_124unique_dim_cuda_templateIdEESt5tupleIJNSH_6TensorESM_SM_EERKSM_lbbbEUlllE0_EEPmJS6_EEE10hipError_tPvRmT3_T4_T5_T6_T7_T9_mT8_P12ihipStream_tbDpT10_ENKUlT_T0_E_clISt17integral_constantIbLb0EES1B_IbLb1EEEEDaS17_S18_EUlS17_E_NS1_11comp_targetILNS1_3genE9ELNS1_11target_archE1100ELNS1_3gpuE3ELNS1_3repE0EEENS1_30default_config_static_selectorELNS0_4arch9wavefront6targetE0EEEvT1_
		.amdhsa_group_segment_fixed_size 33804
		.amdhsa_private_segment_fixed_size 0
		.amdhsa_kernarg_size 136
		.amdhsa_user_sgpr_count 15
		.amdhsa_user_sgpr_dispatch_ptr 0
		.amdhsa_user_sgpr_queue_ptr 0
		.amdhsa_user_sgpr_kernarg_segment_ptr 1
		.amdhsa_user_sgpr_dispatch_id 0
		.amdhsa_user_sgpr_private_segment_size 0
		.amdhsa_wavefront_size32 1
		.amdhsa_uses_dynamic_stack 0
		.amdhsa_enable_private_segment 0
		.amdhsa_system_sgpr_workgroup_id_x 1
		.amdhsa_system_sgpr_workgroup_id_y 0
		.amdhsa_system_sgpr_workgroup_id_z 0
		.amdhsa_system_sgpr_workgroup_info 0
		.amdhsa_system_vgpr_workitem_id 0
		.amdhsa_next_free_vgpr 52
		.amdhsa_next_free_sgpr 38
		.amdhsa_reserve_vcc 1
		.amdhsa_float_round_mode_32 0
		.amdhsa_float_round_mode_16_64 0
		.amdhsa_float_denorm_mode_32 3
		.amdhsa_float_denorm_mode_16_64 3
		.amdhsa_dx10_clamp 1
		.amdhsa_ieee_mode 1
		.amdhsa_fp16_overflow 0
		.amdhsa_workgroup_processor_mode 1
		.amdhsa_memory_ordered 1
		.amdhsa_forward_progress 0
		.amdhsa_shared_vgpr_count 0
		.amdhsa_exception_fp_ieee_invalid_op 0
		.amdhsa_exception_fp_denorm_src 0
		.amdhsa_exception_fp_ieee_div_zero 0
		.amdhsa_exception_fp_ieee_overflow 0
		.amdhsa_exception_fp_ieee_underflow 0
		.amdhsa_exception_fp_ieee_inexact 0
		.amdhsa_exception_int_div_zero 0
	.end_amdhsa_kernel
	.section	.text._ZN7rocprim17ROCPRIM_400000_NS6detail17trampoline_kernelINS0_14default_configENS1_25partition_config_selectorILNS1_17partition_subalgoE8ElNS0_10empty_typeEbEEZZNS1_14partition_implILS5_8ELb0ES3_jPlPS6_PKS6_NS0_5tupleIJS9_S6_EEENSD_IJSA_SA_EEENS0_18inequality_wrapperIZN2at6native12_GLOBAL__N_124unique_dim_cuda_templateIdEESt5tupleIJNSH_6TensorESM_SM_EERKSM_lbbbEUlllE0_EEPmJS6_EEE10hipError_tPvRmT3_T4_T5_T6_T7_T9_mT8_P12ihipStream_tbDpT10_ENKUlT_T0_E_clISt17integral_constantIbLb0EES1B_IbLb1EEEEDaS17_S18_EUlS17_E_NS1_11comp_targetILNS1_3genE9ELNS1_11target_archE1100ELNS1_3gpuE3ELNS1_3repE0EEENS1_30default_config_static_selectorELNS0_4arch9wavefront6targetE0EEEvT1_,"axG",@progbits,_ZN7rocprim17ROCPRIM_400000_NS6detail17trampoline_kernelINS0_14default_configENS1_25partition_config_selectorILNS1_17partition_subalgoE8ElNS0_10empty_typeEbEEZZNS1_14partition_implILS5_8ELb0ES3_jPlPS6_PKS6_NS0_5tupleIJS9_S6_EEENSD_IJSA_SA_EEENS0_18inequality_wrapperIZN2at6native12_GLOBAL__N_124unique_dim_cuda_templateIdEESt5tupleIJNSH_6TensorESM_SM_EERKSM_lbbbEUlllE0_EEPmJS6_EEE10hipError_tPvRmT3_T4_T5_T6_T7_T9_mT8_P12ihipStream_tbDpT10_ENKUlT_T0_E_clISt17integral_constantIbLb0EES1B_IbLb1EEEEDaS17_S18_EUlS17_E_NS1_11comp_targetILNS1_3genE9ELNS1_11target_archE1100ELNS1_3gpuE3ELNS1_3repE0EEENS1_30default_config_static_selectorELNS0_4arch9wavefront6targetE0EEEvT1_,comdat
.Lfunc_end837:
	.size	_ZN7rocprim17ROCPRIM_400000_NS6detail17trampoline_kernelINS0_14default_configENS1_25partition_config_selectorILNS1_17partition_subalgoE8ElNS0_10empty_typeEbEEZZNS1_14partition_implILS5_8ELb0ES3_jPlPS6_PKS6_NS0_5tupleIJS9_S6_EEENSD_IJSA_SA_EEENS0_18inequality_wrapperIZN2at6native12_GLOBAL__N_124unique_dim_cuda_templateIdEESt5tupleIJNSH_6TensorESM_SM_EERKSM_lbbbEUlllE0_EEPmJS6_EEE10hipError_tPvRmT3_T4_T5_T6_T7_T9_mT8_P12ihipStream_tbDpT10_ENKUlT_T0_E_clISt17integral_constantIbLb0EES1B_IbLb1EEEEDaS17_S18_EUlS17_E_NS1_11comp_targetILNS1_3genE9ELNS1_11target_archE1100ELNS1_3gpuE3ELNS1_3repE0EEENS1_30default_config_static_selectorELNS0_4arch9wavefront6targetE0EEEvT1_, .Lfunc_end837-_ZN7rocprim17ROCPRIM_400000_NS6detail17trampoline_kernelINS0_14default_configENS1_25partition_config_selectorILNS1_17partition_subalgoE8ElNS0_10empty_typeEbEEZZNS1_14partition_implILS5_8ELb0ES3_jPlPS6_PKS6_NS0_5tupleIJS9_S6_EEENSD_IJSA_SA_EEENS0_18inequality_wrapperIZN2at6native12_GLOBAL__N_124unique_dim_cuda_templateIdEESt5tupleIJNSH_6TensorESM_SM_EERKSM_lbbbEUlllE0_EEPmJS6_EEE10hipError_tPvRmT3_T4_T5_T6_T7_T9_mT8_P12ihipStream_tbDpT10_ENKUlT_T0_E_clISt17integral_constantIbLb0EES1B_IbLb1EEEEDaS17_S18_EUlS17_E_NS1_11comp_targetILNS1_3genE9ELNS1_11target_archE1100ELNS1_3gpuE3ELNS1_3repE0EEENS1_30default_config_static_selectorELNS0_4arch9wavefront6targetE0EEEvT1_
                                        ; -- End function
	.section	.AMDGPU.csdata,"",@progbits
; Kernel info:
; codeLenInByte = 18420
; NumSgprs: 40
; NumVgprs: 52
; ScratchSize: 0
; MemoryBound: 1
; FloatMode: 240
; IeeeMode: 1
; LDSByteSize: 33804 bytes/workgroup (compile time only)
; SGPRBlocks: 4
; VGPRBlocks: 6
; NumSGPRsForWavesPerEU: 40
; NumVGPRsForWavesPerEU: 52
; Occupancy: 12
; WaveLimiterHint : 1
; COMPUTE_PGM_RSRC2:SCRATCH_EN: 0
; COMPUTE_PGM_RSRC2:USER_SGPR: 15
; COMPUTE_PGM_RSRC2:TRAP_HANDLER: 0
; COMPUTE_PGM_RSRC2:TGID_X_EN: 1
; COMPUTE_PGM_RSRC2:TGID_Y_EN: 0
; COMPUTE_PGM_RSRC2:TGID_Z_EN: 0
; COMPUTE_PGM_RSRC2:TIDIG_COMP_CNT: 0
	.section	.text._ZN7rocprim17ROCPRIM_400000_NS6detail17trampoline_kernelINS0_14default_configENS1_25partition_config_selectorILNS1_17partition_subalgoE8ElNS0_10empty_typeEbEEZZNS1_14partition_implILS5_8ELb0ES3_jPlPS6_PKS6_NS0_5tupleIJS9_S6_EEENSD_IJSA_SA_EEENS0_18inequality_wrapperIZN2at6native12_GLOBAL__N_124unique_dim_cuda_templateIdEESt5tupleIJNSH_6TensorESM_SM_EERKSM_lbbbEUlllE0_EEPmJS6_EEE10hipError_tPvRmT3_T4_T5_T6_T7_T9_mT8_P12ihipStream_tbDpT10_ENKUlT_T0_E_clISt17integral_constantIbLb0EES1B_IbLb1EEEEDaS17_S18_EUlS17_E_NS1_11comp_targetILNS1_3genE8ELNS1_11target_archE1030ELNS1_3gpuE2ELNS1_3repE0EEENS1_30default_config_static_selectorELNS0_4arch9wavefront6targetE0EEEvT1_,"axG",@progbits,_ZN7rocprim17ROCPRIM_400000_NS6detail17trampoline_kernelINS0_14default_configENS1_25partition_config_selectorILNS1_17partition_subalgoE8ElNS0_10empty_typeEbEEZZNS1_14partition_implILS5_8ELb0ES3_jPlPS6_PKS6_NS0_5tupleIJS9_S6_EEENSD_IJSA_SA_EEENS0_18inequality_wrapperIZN2at6native12_GLOBAL__N_124unique_dim_cuda_templateIdEESt5tupleIJNSH_6TensorESM_SM_EERKSM_lbbbEUlllE0_EEPmJS6_EEE10hipError_tPvRmT3_T4_T5_T6_T7_T9_mT8_P12ihipStream_tbDpT10_ENKUlT_T0_E_clISt17integral_constantIbLb0EES1B_IbLb1EEEEDaS17_S18_EUlS17_E_NS1_11comp_targetILNS1_3genE8ELNS1_11target_archE1030ELNS1_3gpuE2ELNS1_3repE0EEENS1_30default_config_static_selectorELNS0_4arch9wavefront6targetE0EEEvT1_,comdat
	.globl	_ZN7rocprim17ROCPRIM_400000_NS6detail17trampoline_kernelINS0_14default_configENS1_25partition_config_selectorILNS1_17partition_subalgoE8ElNS0_10empty_typeEbEEZZNS1_14partition_implILS5_8ELb0ES3_jPlPS6_PKS6_NS0_5tupleIJS9_S6_EEENSD_IJSA_SA_EEENS0_18inequality_wrapperIZN2at6native12_GLOBAL__N_124unique_dim_cuda_templateIdEESt5tupleIJNSH_6TensorESM_SM_EERKSM_lbbbEUlllE0_EEPmJS6_EEE10hipError_tPvRmT3_T4_T5_T6_T7_T9_mT8_P12ihipStream_tbDpT10_ENKUlT_T0_E_clISt17integral_constantIbLb0EES1B_IbLb1EEEEDaS17_S18_EUlS17_E_NS1_11comp_targetILNS1_3genE8ELNS1_11target_archE1030ELNS1_3gpuE2ELNS1_3repE0EEENS1_30default_config_static_selectorELNS0_4arch9wavefront6targetE0EEEvT1_ ; -- Begin function _ZN7rocprim17ROCPRIM_400000_NS6detail17trampoline_kernelINS0_14default_configENS1_25partition_config_selectorILNS1_17partition_subalgoE8ElNS0_10empty_typeEbEEZZNS1_14partition_implILS5_8ELb0ES3_jPlPS6_PKS6_NS0_5tupleIJS9_S6_EEENSD_IJSA_SA_EEENS0_18inequality_wrapperIZN2at6native12_GLOBAL__N_124unique_dim_cuda_templateIdEESt5tupleIJNSH_6TensorESM_SM_EERKSM_lbbbEUlllE0_EEPmJS6_EEE10hipError_tPvRmT3_T4_T5_T6_T7_T9_mT8_P12ihipStream_tbDpT10_ENKUlT_T0_E_clISt17integral_constantIbLb0EES1B_IbLb1EEEEDaS17_S18_EUlS17_E_NS1_11comp_targetILNS1_3genE8ELNS1_11target_archE1030ELNS1_3gpuE2ELNS1_3repE0EEENS1_30default_config_static_selectorELNS0_4arch9wavefront6targetE0EEEvT1_
	.p2align	8
	.type	_ZN7rocprim17ROCPRIM_400000_NS6detail17trampoline_kernelINS0_14default_configENS1_25partition_config_selectorILNS1_17partition_subalgoE8ElNS0_10empty_typeEbEEZZNS1_14partition_implILS5_8ELb0ES3_jPlPS6_PKS6_NS0_5tupleIJS9_S6_EEENSD_IJSA_SA_EEENS0_18inequality_wrapperIZN2at6native12_GLOBAL__N_124unique_dim_cuda_templateIdEESt5tupleIJNSH_6TensorESM_SM_EERKSM_lbbbEUlllE0_EEPmJS6_EEE10hipError_tPvRmT3_T4_T5_T6_T7_T9_mT8_P12ihipStream_tbDpT10_ENKUlT_T0_E_clISt17integral_constantIbLb0EES1B_IbLb1EEEEDaS17_S18_EUlS17_E_NS1_11comp_targetILNS1_3genE8ELNS1_11target_archE1030ELNS1_3gpuE2ELNS1_3repE0EEENS1_30default_config_static_selectorELNS0_4arch9wavefront6targetE0EEEvT1_,@function
_ZN7rocprim17ROCPRIM_400000_NS6detail17trampoline_kernelINS0_14default_configENS1_25partition_config_selectorILNS1_17partition_subalgoE8ElNS0_10empty_typeEbEEZZNS1_14partition_implILS5_8ELb0ES3_jPlPS6_PKS6_NS0_5tupleIJS9_S6_EEENSD_IJSA_SA_EEENS0_18inequality_wrapperIZN2at6native12_GLOBAL__N_124unique_dim_cuda_templateIdEESt5tupleIJNSH_6TensorESM_SM_EERKSM_lbbbEUlllE0_EEPmJS6_EEE10hipError_tPvRmT3_T4_T5_T6_T7_T9_mT8_P12ihipStream_tbDpT10_ENKUlT_T0_E_clISt17integral_constantIbLb0EES1B_IbLb1EEEEDaS17_S18_EUlS17_E_NS1_11comp_targetILNS1_3genE8ELNS1_11target_archE1030ELNS1_3gpuE2ELNS1_3repE0EEENS1_30default_config_static_selectorELNS0_4arch9wavefront6targetE0EEEvT1_: ; @_ZN7rocprim17ROCPRIM_400000_NS6detail17trampoline_kernelINS0_14default_configENS1_25partition_config_selectorILNS1_17partition_subalgoE8ElNS0_10empty_typeEbEEZZNS1_14partition_implILS5_8ELb0ES3_jPlPS6_PKS6_NS0_5tupleIJS9_S6_EEENSD_IJSA_SA_EEENS0_18inequality_wrapperIZN2at6native12_GLOBAL__N_124unique_dim_cuda_templateIdEESt5tupleIJNSH_6TensorESM_SM_EERKSM_lbbbEUlllE0_EEPmJS6_EEE10hipError_tPvRmT3_T4_T5_T6_T7_T9_mT8_P12ihipStream_tbDpT10_ENKUlT_T0_E_clISt17integral_constantIbLb0EES1B_IbLb1EEEEDaS17_S18_EUlS17_E_NS1_11comp_targetILNS1_3genE8ELNS1_11target_archE1030ELNS1_3gpuE2ELNS1_3repE0EEENS1_30default_config_static_selectorELNS0_4arch9wavefront6targetE0EEEvT1_
; %bb.0:
	.section	.rodata,"a",@progbits
	.p2align	6, 0x0
	.amdhsa_kernel _ZN7rocprim17ROCPRIM_400000_NS6detail17trampoline_kernelINS0_14default_configENS1_25partition_config_selectorILNS1_17partition_subalgoE8ElNS0_10empty_typeEbEEZZNS1_14partition_implILS5_8ELb0ES3_jPlPS6_PKS6_NS0_5tupleIJS9_S6_EEENSD_IJSA_SA_EEENS0_18inequality_wrapperIZN2at6native12_GLOBAL__N_124unique_dim_cuda_templateIdEESt5tupleIJNSH_6TensorESM_SM_EERKSM_lbbbEUlllE0_EEPmJS6_EEE10hipError_tPvRmT3_T4_T5_T6_T7_T9_mT8_P12ihipStream_tbDpT10_ENKUlT_T0_E_clISt17integral_constantIbLb0EES1B_IbLb1EEEEDaS17_S18_EUlS17_E_NS1_11comp_targetILNS1_3genE8ELNS1_11target_archE1030ELNS1_3gpuE2ELNS1_3repE0EEENS1_30default_config_static_selectorELNS0_4arch9wavefront6targetE0EEEvT1_
		.amdhsa_group_segment_fixed_size 0
		.amdhsa_private_segment_fixed_size 0
		.amdhsa_kernarg_size 136
		.amdhsa_user_sgpr_count 15
		.amdhsa_user_sgpr_dispatch_ptr 0
		.amdhsa_user_sgpr_queue_ptr 0
		.amdhsa_user_sgpr_kernarg_segment_ptr 1
		.amdhsa_user_sgpr_dispatch_id 0
		.amdhsa_user_sgpr_private_segment_size 0
		.amdhsa_wavefront_size32 1
		.amdhsa_uses_dynamic_stack 0
		.amdhsa_enable_private_segment 0
		.amdhsa_system_sgpr_workgroup_id_x 1
		.amdhsa_system_sgpr_workgroup_id_y 0
		.amdhsa_system_sgpr_workgroup_id_z 0
		.amdhsa_system_sgpr_workgroup_info 0
		.amdhsa_system_vgpr_workitem_id 0
		.amdhsa_next_free_vgpr 1
		.amdhsa_next_free_sgpr 1
		.amdhsa_reserve_vcc 0
		.amdhsa_float_round_mode_32 0
		.amdhsa_float_round_mode_16_64 0
		.amdhsa_float_denorm_mode_32 3
		.amdhsa_float_denorm_mode_16_64 3
		.amdhsa_dx10_clamp 1
		.amdhsa_ieee_mode 1
		.amdhsa_fp16_overflow 0
		.amdhsa_workgroup_processor_mode 1
		.amdhsa_memory_ordered 1
		.amdhsa_forward_progress 0
		.amdhsa_shared_vgpr_count 0
		.amdhsa_exception_fp_ieee_invalid_op 0
		.amdhsa_exception_fp_denorm_src 0
		.amdhsa_exception_fp_ieee_div_zero 0
		.amdhsa_exception_fp_ieee_overflow 0
		.amdhsa_exception_fp_ieee_underflow 0
		.amdhsa_exception_fp_ieee_inexact 0
		.amdhsa_exception_int_div_zero 0
	.end_amdhsa_kernel
	.section	.text._ZN7rocprim17ROCPRIM_400000_NS6detail17trampoline_kernelINS0_14default_configENS1_25partition_config_selectorILNS1_17partition_subalgoE8ElNS0_10empty_typeEbEEZZNS1_14partition_implILS5_8ELb0ES3_jPlPS6_PKS6_NS0_5tupleIJS9_S6_EEENSD_IJSA_SA_EEENS0_18inequality_wrapperIZN2at6native12_GLOBAL__N_124unique_dim_cuda_templateIdEESt5tupleIJNSH_6TensorESM_SM_EERKSM_lbbbEUlllE0_EEPmJS6_EEE10hipError_tPvRmT3_T4_T5_T6_T7_T9_mT8_P12ihipStream_tbDpT10_ENKUlT_T0_E_clISt17integral_constantIbLb0EES1B_IbLb1EEEEDaS17_S18_EUlS17_E_NS1_11comp_targetILNS1_3genE8ELNS1_11target_archE1030ELNS1_3gpuE2ELNS1_3repE0EEENS1_30default_config_static_selectorELNS0_4arch9wavefront6targetE0EEEvT1_,"axG",@progbits,_ZN7rocprim17ROCPRIM_400000_NS6detail17trampoline_kernelINS0_14default_configENS1_25partition_config_selectorILNS1_17partition_subalgoE8ElNS0_10empty_typeEbEEZZNS1_14partition_implILS5_8ELb0ES3_jPlPS6_PKS6_NS0_5tupleIJS9_S6_EEENSD_IJSA_SA_EEENS0_18inequality_wrapperIZN2at6native12_GLOBAL__N_124unique_dim_cuda_templateIdEESt5tupleIJNSH_6TensorESM_SM_EERKSM_lbbbEUlllE0_EEPmJS6_EEE10hipError_tPvRmT3_T4_T5_T6_T7_T9_mT8_P12ihipStream_tbDpT10_ENKUlT_T0_E_clISt17integral_constantIbLb0EES1B_IbLb1EEEEDaS17_S18_EUlS17_E_NS1_11comp_targetILNS1_3genE8ELNS1_11target_archE1030ELNS1_3gpuE2ELNS1_3repE0EEENS1_30default_config_static_selectorELNS0_4arch9wavefront6targetE0EEEvT1_,comdat
.Lfunc_end838:
	.size	_ZN7rocprim17ROCPRIM_400000_NS6detail17trampoline_kernelINS0_14default_configENS1_25partition_config_selectorILNS1_17partition_subalgoE8ElNS0_10empty_typeEbEEZZNS1_14partition_implILS5_8ELb0ES3_jPlPS6_PKS6_NS0_5tupleIJS9_S6_EEENSD_IJSA_SA_EEENS0_18inequality_wrapperIZN2at6native12_GLOBAL__N_124unique_dim_cuda_templateIdEESt5tupleIJNSH_6TensorESM_SM_EERKSM_lbbbEUlllE0_EEPmJS6_EEE10hipError_tPvRmT3_T4_T5_T6_T7_T9_mT8_P12ihipStream_tbDpT10_ENKUlT_T0_E_clISt17integral_constantIbLb0EES1B_IbLb1EEEEDaS17_S18_EUlS17_E_NS1_11comp_targetILNS1_3genE8ELNS1_11target_archE1030ELNS1_3gpuE2ELNS1_3repE0EEENS1_30default_config_static_selectorELNS0_4arch9wavefront6targetE0EEEvT1_, .Lfunc_end838-_ZN7rocprim17ROCPRIM_400000_NS6detail17trampoline_kernelINS0_14default_configENS1_25partition_config_selectorILNS1_17partition_subalgoE8ElNS0_10empty_typeEbEEZZNS1_14partition_implILS5_8ELb0ES3_jPlPS6_PKS6_NS0_5tupleIJS9_S6_EEENSD_IJSA_SA_EEENS0_18inequality_wrapperIZN2at6native12_GLOBAL__N_124unique_dim_cuda_templateIdEESt5tupleIJNSH_6TensorESM_SM_EERKSM_lbbbEUlllE0_EEPmJS6_EEE10hipError_tPvRmT3_T4_T5_T6_T7_T9_mT8_P12ihipStream_tbDpT10_ENKUlT_T0_E_clISt17integral_constantIbLb0EES1B_IbLb1EEEEDaS17_S18_EUlS17_E_NS1_11comp_targetILNS1_3genE8ELNS1_11target_archE1030ELNS1_3gpuE2ELNS1_3repE0EEENS1_30default_config_static_selectorELNS0_4arch9wavefront6targetE0EEEvT1_
                                        ; -- End function
	.section	.AMDGPU.csdata,"",@progbits
; Kernel info:
; codeLenInByte = 0
; NumSgprs: 0
; NumVgprs: 0
; ScratchSize: 0
; MemoryBound: 0
; FloatMode: 240
; IeeeMode: 1
; LDSByteSize: 0 bytes/workgroup (compile time only)
; SGPRBlocks: 0
; VGPRBlocks: 0
; NumSGPRsForWavesPerEU: 1
; NumVGPRsForWavesPerEU: 1
; Occupancy: 16
; WaveLimiterHint : 0
; COMPUTE_PGM_RSRC2:SCRATCH_EN: 0
; COMPUTE_PGM_RSRC2:USER_SGPR: 15
; COMPUTE_PGM_RSRC2:TRAP_HANDLER: 0
; COMPUTE_PGM_RSRC2:TGID_X_EN: 1
; COMPUTE_PGM_RSRC2:TGID_Y_EN: 0
; COMPUTE_PGM_RSRC2:TGID_Z_EN: 0
; COMPUTE_PGM_RSRC2:TIDIG_COMP_CNT: 0
	.section	.text._ZN7rocprim17ROCPRIM_400000_NS6detail17trampoline_kernelINS0_14default_configENS1_25partition_config_selectorILNS1_17partition_subalgoE9EllbEEZZNS1_14partition_implILS5_9ELb0ES3_jPlS8_PNS0_10empty_typeENS0_5tupleIJS8_S9_EEENSB_IJS8_SA_EEENS0_18inequality_wrapperIZN2at6native12_GLOBAL__N_124unique_dim_cuda_templateIdEESt5tupleIJNSF_6TensorESK_SK_EERKSK_lbbbEUlllE0_EEPmJS9_EEE10hipError_tPvRmT3_T4_T5_T6_T7_T9_mT8_P12ihipStream_tbDpT10_ENKUlT_T0_E_clISt17integral_constantIbLb0EES1A_EEDaS15_S16_EUlS15_E_NS1_11comp_targetILNS1_3genE0ELNS1_11target_archE4294967295ELNS1_3gpuE0ELNS1_3repE0EEENS1_30default_config_static_selectorELNS0_4arch9wavefront6targetE0EEEvT1_,"axG",@progbits,_ZN7rocprim17ROCPRIM_400000_NS6detail17trampoline_kernelINS0_14default_configENS1_25partition_config_selectorILNS1_17partition_subalgoE9EllbEEZZNS1_14partition_implILS5_9ELb0ES3_jPlS8_PNS0_10empty_typeENS0_5tupleIJS8_S9_EEENSB_IJS8_SA_EEENS0_18inequality_wrapperIZN2at6native12_GLOBAL__N_124unique_dim_cuda_templateIdEESt5tupleIJNSF_6TensorESK_SK_EERKSK_lbbbEUlllE0_EEPmJS9_EEE10hipError_tPvRmT3_T4_T5_T6_T7_T9_mT8_P12ihipStream_tbDpT10_ENKUlT_T0_E_clISt17integral_constantIbLb0EES1A_EEDaS15_S16_EUlS15_E_NS1_11comp_targetILNS1_3genE0ELNS1_11target_archE4294967295ELNS1_3gpuE0ELNS1_3repE0EEENS1_30default_config_static_selectorELNS0_4arch9wavefront6targetE0EEEvT1_,comdat
	.globl	_ZN7rocprim17ROCPRIM_400000_NS6detail17trampoline_kernelINS0_14default_configENS1_25partition_config_selectorILNS1_17partition_subalgoE9EllbEEZZNS1_14partition_implILS5_9ELb0ES3_jPlS8_PNS0_10empty_typeENS0_5tupleIJS8_S9_EEENSB_IJS8_SA_EEENS0_18inequality_wrapperIZN2at6native12_GLOBAL__N_124unique_dim_cuda_templateIdEESt5tupleIJNSF_6TensorESK_SK_EERKSK_lbbbEUlllE0_EEPmJS9_EEE10hipError_tPvRmT3_T4_T5_T6_T7_T9_mT8_P12ihipStream_tbDpT10_ENKUlT_T0_E_clISt17integral_constantIbLb0EES1A_EEDaS15_S16_EUlS15_E_NS1_11comp_targetILNS1_3genE0ELNS1_11target_archE4294967295ELNS1_3gpuE0ELNS1_3repE0EEENS1_30default_config_static_selectorELNS0_4arch9wavefront6targetE0EEEvT1_ ; -- Begin function _ZN7rocprim17ROCPRIM_400000_NS6detail17trampoline_kernelINS0_14default_configENS1_25partition_config_selectorILNS1_17partition_subalgoE9EllbEEZZNS1_14partition_implILS5_9ELb0ES3_jPlS8_PNS0_10empty_typeENS0_5tupleIJS8_S9_EEENSB_IJS8_SA_EEENS0_18inequality_wrapperIZN2at6native12_GLOBAL__N_124unique_dim_cuda_templateIdEESt5tupleIJNSF_6TensorESK_SK_EERKSK_lbbbEUlllE0_EEPmJS9_EEE10hipError_tPvRmT3_T4_T5_T6_T7_T9_mT8_P12ihipStream_tbDpT10_ENKUlT_T0_E_clISt17integral_constantIbLb0EES1A_EEDaS15_S16_EUlS15_E_NS1_11comp_targetILNS1_3genE0ELNS1_11target_archE4294967295ELNS1_3gpuE0ELNS1_3repE0EEENS1_30default_config_static_selectorELNS0_4arch9wavefront6targetE0EEEvT1_
	.p2align	8
	.type	_ZN7rocprim17ROCPRIM_400000_NS6detail17trampoline_kernelINS0_14default_configENS1_25partition_config_selectorILNS1_17partition_subalgoE9EllbEEZZNS1_14partition_implILS5_9ELb0ES3_jPlS8_PNS0_10empty_typeENS0_5tupleIJS8_S9_EEENSB_IJS8_SA_EEENS0_18inequality_wrapperIZN2at6native12_GLOBAL__N_124unique_dim_cuda_templateIdEESt5tupleIJNSF_6TensorESK_SK_EERKSK_lbbbEUlllE0_EEPmJS9_EEE10hipError_tPvRmT3_T4_T5_T6_T7_T9_mT8_P12ihipStream_tbDpT10_ENKUlT_T0_E_clISt17integral_constantIbLb0EES1A_EEDaS15_S16_EUlS15_E_NS1_11comp_targetILNS1_3genE0ELNS1_11target_archE4294967295ELNS1_3gpuE0ELNS1_3repE0EEENS1_30default_config_static_selectorELNS0_4arch9wavefront6targetE0EEEvT1_,@function
_ZN7rocprim17ROCPRIM_400000_NS6detail17trampoline_kernelINS0_14default_configENS1_25partition_config_selectorILNS1_17partition_subalgoE9EllbEEZZNS1_14partition_implILS5_9ELb0ES3_jPlS8_PNS0_10empty_typeENS0_5tupleIJS8_S9_EEENSB_IJS8_SA_EEENS0_18inequality_wrapperIZN2at6native12_GLOBAL__N_124unique_dim_cuda_templateIdEESt5tupleIJNSF_6TensorESK_SK_EERKSK_lbbbEUlllE0_EEPmJS9_EEE10hipError_tPvRmT3_T4_T5_T6_T7_T9_mT8_P12ihipStream_tbDpT10_ENKUlT_T0_E_clISt17integral_constantIbLb0EES1A_EEDaS15_S16_EUlS15_E_NS1_11comp_targetILNS1_3genE0ELNS1_11target_archE4294967295ELNS1_3gpuE0ELNS1_3repE0EEENS1_30default_config_static_selectorELNS0_4arch9wavefront6targetE0EEEvT1_: ; @_ZN7rocprim17ROCPRIM_400000_NS6detail17trampoline_kernelINS0_14default_configENS1_25partition_config_selectorILNS1_17partition_subalgoE9EllbEEZZNS1_14partition_implILS5_9ELb0ES3_jPlS8_PNS0_10empty_typeENS0_5tupleIJS8_S9_EEENSB_IJS8_SA_EEENS0_18inequality_wrapperIZN2at6native12_GLOBAL__N_124unique_dim_cuda_templateIdEESt5tupleIJNSF_6TensorESK_SK_EERKSK_lbbbEUlllE0_EEPmJS9_EEE10hipError_tPvRmT3_T4_T5_T6_T7_T9_mT8_P12ihipStream_tbDpT10_ENKUlT_T0_E_clISt17integral_constantIbLb0EES1A_EEDaS15_S16_EUlS15_E_NS1_11comp_targetILNS1_3genE0ELNS1_11target_archE4294967295ELNS1_3gpuE0ELNS1_3repE0EEENS1_30default_config_static_selectorELNS0_4arch9wavefront6targetE0EEEvT1_
; %bb.0:
	.section	.rodata,"a",@progbits
	.p2align	6, 0x0
	.amdhsa_kernel _ZN7rocprim17ROCPRIM_400000_NS6detail17trampoline_kernelINS0_14default_configENS1_25partition_config_selectorILNS1_17partition_subalgoE9EllbEEZZNS1_14partition_implILS5_9ELb0ES3_jPlS8_PNS0_10empty_typeENS0_5tupleIJS8_S9_EEENSB_IJS8_SA_EEENS0_18inequality_wrapperIZN2at6native12_GLOBAL__N_124unique_dim_cuda_templateIdEESt5tupleIJNSF_6TensorESK_SK_EERKSK_lbbbEUlllE0_EEPmJS9_EEE10hipError_tPvRmT3_T4_T5_T6_T7_T9_mT8_P12ihipStream_tbDpT10_ENKUlT_T0_E_clISt17integral_constantIbLb0EES1A_EEDaS15_S16_EUlS15_E_NS1_11comp_targetILNS1_3genE0ELNS1_11target_archE4294967295ELNS1_3gpuE0ELNS1_3repE0EEENS1_30default_config_static_selectorELNS0_4arch9wavefront6targetE0EEEvT1_
		.amdhsa_group_segment_fixed_size 0
		.amdhsa_private_segment_fixed_size 0
		.amdhsa_kernarg_size 120
		.amdhsa_user_sgpr_count 15
		.amdhsa_user_sgpr_dispatch_ptr 0
		.amdhsa_user_sgpr_queue_ptr 0
		.amdhsa_user_sgpr_kernarg_segment_ptr 1
		.amdhsa_user_sgpr_dispatch_id 0
		.amdhsa_user_sgpr_private_segment_size 0
		.amdhsa_wavefront_size32 1
		.amdhsa_uses_dynamic_stack 0
		.amdhsa_enable_private_segment 0
		.amdhsa_system_sgpr_workgroup_id_x 1
		.amdhsa_system_sgpr_workgroup_id_y 0
		.amdhsa_system_sgpr_workgroup_id_z 0
		.amdhsa_system_sgpr_workgroup_info 0
		.amdhsa_system_vgpr_workitem_id 0
		.amdhsa_next_free_vgpr 1
		.amdhsa_next_free_sgpr 1
		.amdhsa_reserve_vcc 0
		.amdhsa_float_round_mode_32 0
		.amdhsa_float_round_mode_16_64 0
		.amdhsa_float_denorm_mode_32 3
		.amdhsa_float_denorm_mode_16_64 3
		.amdhsa_dx10_clamp 1
		.amdhsa_ieee_mode 1
		.amdhsa_fp16_overflow 0
		.amdhsa_workgroup_processor_mode 1
		.amdhsa_memory_ordered 1
		.amdhsa_forward_progress 0
		.amdhsa_shared_vgpr_count 0
		.amdhsa_exception_fp_ieee_invalid_op 0
		.amdhsa_exception_fp_denorm_src 0
		.amdhsa_exception_fp_ieee_div_zero 0
		.amdhsa_exception_fp_ieee_overflow 0
		.amdhsa_exception_fp_ieee_underflow 0
		.amdhsa_exception_fp_ieee_inexact 0
		.amdhsa_exception_int_div_zero 0
	.end_amdhsa_kernel
	.section	.text._ZN7rocprim17ROCPRIM_400000_NS6detail17trampoline_kernelINS0_14default_configENS1_25partition_config_selectorILNS1_17partition_subalgoE9EllbEEZZNS1_14partition_implILS5_9ELb0ES3_jPlS8_PNS0_10empty_typeENS0_5tupleIJS8_S9_EEENSB_IJS8_SA_EEENS0_18inequality_wrapperIZN2at6native12_GLOBAL__N_124unique_dim_cuda_templateIdEESt5tupleIJNSF_6TensorESK_SK_EERKSK_lbbbEUlllE0_EEPmJS9_EEE10hipError_tPvRmT3_T4_T5_T6_T7_T9_mT8_P12ihipStream_tbDpT10_ENKUlT_T0_E_clISt17integral_constantIbLb0EES1A_EEDaS15_S16_EUlS15_E_NS1_11comp_targetILNS1_3genE0ELNS1_11target_archE4294967295ELNS1_3gpuE0ELNS1_3repE0EEENS1_30default_config_static_selectorELNS0_4arch9wavefront6targetE0EEEvT1_,"axG",@progbits,_ZN7rocprim17ROCPRIM_400000_NS6detail17trampoline_kernelINS0_14default_configENS1_25partition_config_selectorILNS1_17partition_subalgoE9EllbEEZZNS1_14partition_implILS5_9ELb0ES3_jPlS8_PNS0_10empty_typeENS0_5tupleIJS8_S9_EEENSB_IJS8_SA_EEENS0_18inequality_wrapperIZN2at6native12_GLOBAL__N_124unique_dim_cuda_templateIdEESt5tupleIJNSF_6TensorESK_SK_EERKSK_lbbbEUlllE0_EEPmJS9_EEE10hipError_tPvRmT3_T4_T5_T6_T7_T9_mT8_P12ihipStream_tbDpT10_ENKUlT_T0_E_clISt17integral_constantIbLb0EES1A_EEDaS15_S16_EUlS15_E_NS1_11comp_targetILNS1_3genE0ELNS1_11target_archE4294967295ELNS1_3gpuE0ELNS1_3repE0EEENS1_30default_config_static_selectorELNS0_4arch9wavefront6targetE0EEEvT1_,comdat
.Lfunc_end839:
	.size	_ZN7rocprim17ROCPRIM_400000_NS6detail17trampoline_kernelINS0_14default_configENS1_25partition_config_selectorILNS1_17partition_subalgoE9EllbEEZZNS1_14partition_implILS5_9ELb0ES3_jPlS8_PNS0_10empty_typeENS0_5tupleIJS8_S9_EEENSB_IJS8_SA_EEENS0_18inequality_wrapperIZN2at6native12_GLOBAL__N_124unique_dim_cuda_templateIdEESt5tupleIJNSF_6TensorESK_SK_EERKSK_lbbbEUlllE0_EEPmJS9_EEE10hipError_tPvRmT3_T4_T5_T6_T7_T9_mT8_P12ihipStream_tbDpT10_ENKUlT_T0_E_clISt17integral_constantIbLb0EES1A_EEDaS15_S16_EUlS15_E_NS1_11comp_targetILNS1_3genE0ELNS1_11target_archE4294967295ELNS1_3gpuE0ELNS1_3repE0EEENS1_30default_config_static_selectorELNS0_4arch9wavefront6targetE0EEEvT1_, .Lfunc_end839-_ZN7rocprim17ROCPRIM_400000_NS6detail17trampoline_kernelINS0_14default_configENS1_25partition_config_selectorILNS1_17partition_subalgoE9EllbEEZZNS1_14partition_implILS5_9ELb0ES3_jPlS8_PNS0_10empty_typeENS0_5tupleIJS8_S9_EEENSB_IJS8_SA_EEENS0_18inequality_wrapperIZN2at6native12_GLOBAL__N_124unique_dim_cuda_templateIdEESt5tupleIJNSF_6TensorESK_SK_EERKSK_lbbbEUlllE0_EEPmJS9_EEE10hipError_tPvRmT3_T4_T5_T6_T7_T9_mT8_P12ihipStream_tbDpT10_ENKUlT_T0_E_clISt17integral_constantIbLb0EES1A_EEDaS15_S16_EUlS15_E_NS1_11comp_targetILNS1_3genE0ELNS1_11target_archE4294967295ELNS1_3gpuE0ELNS1_3repE0EEENS1_30default_config_static_selectorELNS0_4arch9wavefront6targetE0EEEvT1_
                                        ; -- End function
	.section	.AMDGPU.csdata,"",@progbits
; Kernel info:
; codeLenInByte = 0
; NumSgprs: 0
; NumVgprs: 0
; ScratchSize: 0
; MemoryBound: 0
; FloatMode: 240
; IeeeMode: 1
; LDSByteSize: 0 bytes/workgroup (compile time only)
; SGPRBlocks: 0
; VGPRBlocks: 0
; NumSGPRsForWavesPerEU: 1
; NumVGPRsForWavesPerEU: 1
; Occupancy: 16
; WaveLimiterHint : 0
; COMPUTE_PGM_RSRC2:SCRATCH_EN: 0
; COMPUTE_PGM_RSRC2:USER_SGPR: 15
; COMPUTE_PGM_RSRC2:TRAP_HANDLER: 0
; COMPUTE_PGM_RSRC2:TGID_X_EN: 1
; COMPUTE_PGM_RSRC2:TGID_Y_EN: 0
; COMPUTE_PGM_RSRC2:TGID_Z_EN: 0
; COMPUTE_PGM_RSRC2:TIDIG_COMP_CNT: 0
	.section	.text._ZN7rocprim17ROCPRIM_400000_NS6detail17trampoline_kernelINS0_14default_configENS1_25partition_config_selectorILNS1_17partition_subalgoE9EllbEEZZNS1_14partition_implILS5_9ELb0ES3_jPlS8_PNS0_10empty_typeENS0_5tupleIJS8_S9_EEENSB_IJS8_SA_EEENS0_18inequality_wrapperIZN2at6native12_GLOBAL__N_124unique_dim_cuda_templateIdEESt5tupleIJNSF_6TensorESK_SK_EERKSK_lbbbEUlllE0_EEPmJS9_EEE10hipError_tPvRmT3_T4_T5_T6_T7_T9_mT8_P12ihipStream_tbDpT10_ENKUlT_T0_E_clISt17integral_constantIbLb0EES1A_EEDaS15_S16_EUlS15_E_NS1_11comp_targetILNS1_3genE5ELNS1_11target_archE942ELNS1_3gpuE9ELNS1_3repE0EEENS1_30default_config_static_selectorELNS0_4arch9wavefront6targetE0EEEvT1_,"axG",@progbits,_ZN7rocprim17ROCPRIM_400000_NS6detail17trampoline_kernelINS0_14default_configENS1_25partition_config_selectorILNS1_17partition_subalgoE9EllbEEZZNS1_14partition_implILS5_9ELb0ES3_jPlS8_PNS0_10empty_typeENS0_5tupleIJS8_S9_EEENSB_IJS8_SA_EEENS0_18inequality_wrapperIZN2at6native12_GLOBAL__N_124unique_dim_cuda_templateIdEESt5tupleIJNSF_6TensorESK_SK_EERKSK_lbbbEUlllE0_EEPmJS9_EEE10hipError_tPvRmT3_T4_T5_T6_T7_T9_mT8_P12ihipStream_tbDpT10_ENKUlT_T0_E_clISt17integral_constantIbLb0EES1A_EEDaS15_S16_EUlS15_E_NS1_11comp_targetILNS1_3genE5ELNS1_11target_archE942ELNS1_3gpuE9ELNS1_3repE0EEENS1_30default_config_static_selectorELNS0_4arch9wavefront6targetE0EEEvT1_,comdat
	.globl	_ZN7rocprim17ROCPRIM_400000_NS6detail17trampoline_kernelINS0_14default_configENS1_25partition_config_selectorILNS1_17partition_subalgoE9EllbEEZZNS1_14partition_implILS5_9ELb0ES3_jPlS8_PNS0_10empty_typeENS0_5tupleIJS8_S9_EEENSB_IJS8_SA_EEENS0_18inequality_wrapperIZN2at6native12_GLOBAL__N_124unique_dim_cuda_templateIdEESt5tupleIJNSF_6TensorESK_SK_EERKSK_lbbbEUlllE0_EEPmJS9_EEE10hipError_tPvRmT3_T4_T5_T6_T7_T9_mT8_P12ihipStream_tbDpT10_ENKUlT_T0_E_clISt17integral_constantIbLb0EES1A_EEDaS15_S16_EUlS15_E_NS1_11comp_targetILNS1_3genE5ELNS1_11target_archE942ELNS1_3gpuE9ELNS1_3repE0EEENS1_30default_config_static_selectorELNS0_4arch9wavefront6targetE0EEEvT1_ ; -- Begin function _ZN7rocprim17ROCPRIM_400000_NS6detail17trampoline_kernelINS0_14default_configENS1_25partition_config_selectorILNS1_17partition_subalgoE9EllbEEZZNS1_14partition_implILS5_9ELb0ES3_jPlS8_PNS0_10empty_typeENS0_5tupleIJS8_S9_EEENSB_IJS8_SA_EEENS0_18inequality_wrapperIZN2at6native12_GLOBAL__N_124unique_dim_cuda_templateIdEESt5tupleIJNSF_6TensorESK_SK_EERKSK_lbbbEUlllE0_EEPmJS9_EEE10hipError_tPvRmT3_T4_T5_T6_T7_T9_mT8_P12ihipStream_tbDpT10_ENKUlT_T0_E_clISt17integral_constantIbLb0EES1A_EEDaS15_S16_EUlS15_E_NS1_11comp_targetILNS1_3genE5ELNS1_11target_archE942ELNS1_3gpuE9ELNS1_3repE0EEENS1_30default_config_static_selectorELNS0_4arch9wavefront6targetE0EEEvT1_
	.p2align	8
	.type	_ZN7rocprim17ROCPRIM_400000_NS6detail17trampoline_kernelINS0_14default_configENS1_25partition_config_selectorILNS1_17partition_subalgoE9EllbEEZZNS1_14partition_implILS5_9ELb0ES3_jPlS8_PNS0_10empty_typeENS0_5tupleIJS8_S9_EEENSB_IJS8_SA_EEENS0_18inequality_wrapperIZN2at6native12_GLOBAL__N_124unique_dim_cuda_templateIdEESt5tupleIJNSF_6TensorESK_SK_EERKSK_lbbbEUlllE0_EEPmJS9_EEE10hipError_tPvRmT3_T4_T5_T6_T7_T9_mT8_P12ihipStream_tbDpT10_ENKUlT_T0_E_clISt17integral_constantIbLb0EES1A_EEDaS15_S16_EUlS15_E_NS1_11comp_targetILNS1_3genE5ELNS1_11target_archE942ELNS1_3gpuE9ELNS1_3repE0EEENS1_30default_config_static_selectorELNS0_4arch9wavefront6targetE0EEEvT1_,@function
_ZN7rocprim17ROCPRIM_400000_NS6detail17trampoline_kernelINS0_14default_configENS1_25partition_config_selectorILNS1_17partition_subalgoE9EllbEEZZNS1_14partition_implILS5_9ELb0ES3_jPlS8_PNS0_10empty_typeENS0_5tupleIJS8_S9_EEENSB_IJS8_SA_EEENS0_18inequality_wrapperIZN2at6native12_GLOBAL__N_124unique_dim_cuda_templateIdEESt5tupleIJNSF_6TensorESK_SK_EERKSK_lbbbEUlllE0_EEPmJS9_EEE10hipError_tPvRmT3_T4_T5_T6_T7_T9_mT8_P12ihipStream_tbDpT10_ENKUlT_T0_E_clISt17integral_constantIbLb0EES1A_EEDaS15_S16_EUlS15_E_NS1_11comp_targetILNS1_3genE5ELNS1_11target_archE942ELNS1_3gpuE9ELNS1_3repE0EEENS1_30default_config_static_selectorELNS0_4arch9wavefront6targetE0EEEvT1_: ; @_ZN7rocprim17ROCPRIM_400000_NS6detail17trampoline_kernelINS0_14default_configENS1_25partition_config_selectorILNS1_17partition_subalgoE9EllbEEZZNS1_14partition_implILS5_9ELb0ES3_jPlS8_PNS0_10empty_typeENS0_5tupleIJS8_S9_EEENSB_IJS8_SA_EEENS0_18inequality_wrapperIZN2at6native12_GLOBAL__N_124unique_dim_cuda_templateIdEESt5tupleIJNSF_6TensorESK_SK_EERKSK_lbbbEUlllE0_EEPmJS9_EEE10hipError_tPvRmT3_T4_T5_T6_T7_T9_mT8_P12ihipStream_tbDpT10_ENKUlT_T0_E_clISt17integral_constantIbLb0EES1A_EEDaS15_S16_EUlS15_E_NS1_11comp_targetILNS1_3genE5ELNS1_11target_archE942ELNS1_3gpuE9ELNS1_3repE0EEENS1_30default_config_static_selectorELNS0_4arch9wavefront6targetE0EEEvT1_
; %bb.0:
	.section	.rodata,"a",@progbits
	.p2align	6, 0x0
	.amdhsa_kernel _ZN7rocprim17ROCPRIM_400000_NS6detail17trampoline_kernelINS0_14default_configENS1_25partition_config_selectorILNS1_17partition_subalgoE9EllbEEZZNS1_14partition_implILS5_9ELb0ES3_jPlS8_PNS0_10empty_typeENS0_5tupleIJS8_S9_EEENSB_IJS8_SA_EEENS0_18inequality_wrapperIZN2at6native12_GLOBAL__N_124unique_dim_cuda_templateIdEESt5tupleIJNSF_6TensorESK_SK_EERKSK_lbbbEUlllE0_EEPmJS9_EEE10hipError_tPvRmT3_T4_T5_T6_T7_T9_mT8_P12ihipStream_tbDpT10_ENKUlT_T0_E_clISt17integral_constantIbLb0EES1A_EEDaS15_S16_EUlS15_E_NS1_11comp_targetILNS1_3genE5ELNS1_11target_archE942ELNS1_3gpuE9ELNS1_3repE0EEENS1_30default_config_static_selectorELNS0_4arch9wavefront6targetE0EEEvT1_
		.amdhsa_group_segment_fixed_size 0
		.amdhsa_private_segment_fixed_size 0
		.amdhsa_kernarg_size 120
		.amdhsa_user_sgpr_count 15
		.amdhsa_user_sgpr_dispatch_ptr 0
		.amdhsa_user_sgpr_queue_ptr 0
		.amdhsa_user_sgpr_kernarg_segment_ptr 1
		.amdhsa_user_sgpr_dispatch_id 0
		.amdhsa_user_sgpr_private_segment_size 0
		.amdhsa_wavefront_size32 1
		.amdhsa_uses_dynamic_stack 0
		.amdhsa_enable_private_segment 0
		.amdhsa_system_sgpr_workgroup_id_x 1
		.amdhsa_system_sgpr_workgroup_id_y 0
		.amdhsa_system_sgpr_workgroup_id_z 0
		.amdhsa_system_sgpr_workgroup_info 0
		.amdhsa_system_vgpr_workitem_id 0
		.amdhsa_next_free_vgpr 1
		.amdhsa_next_free_sgpr 1
		.amdhsa_reserve_vcc 0
		.amdhsa_float_round_mode_32 0
		.amdhsa_float_round_mode_16_64 0
		.amdhsa_float_denorm_mode_32 3
		.amdhsa_float_denorm_mode_16_64 3
		.amdhsa_dx10_clamp 1
		.amdhsa_ieee_mode 1
		.amdhsa_fp16_overflow 0
		.amdhsa_workgroup_processor_mode 1
		.amdhsa_memory_ordered 1
		.amdhsa_forward_progress 0
		.amdhsa_shared_vgpr_count 0
		.amdhsa_exception_fp_ieee_invalid_op 0
		.amdhsa_exception_fp_denorm_src 0
		.amdhsa_exception_fp_ieee_div_zero 0
		.amdhsa_exception_fp_ieee_overflow 0
		.amdhsa_exception_fp_ieee_underflow 0
		.amdhsa_exception_fp_ieee_inexact 0
		.amdhsa_exception_int_div_zero 0
	.end_amdhsa_kernel
	.section	.text._ZN7rocprim17ROCPRIM_400000_NS6detail17trampoline_kernelINS0_14default_configENS1_25partition_config_selectorILNS1_17partition_subalgoE9EllbEEZZNS1_14partition_implILS5_9ELb0ES3_jPlS8_PNS0_10empty_typeENS0_5tupleIJS8_S9_EEENSB_IJS8_SA_EEENS0_18inequality_wrapperIZN2at6native12_GLOBAL__N_124unique_dim_cuda_templateIdEESt5tupleIJNSF_6TensorESK_SK_EERKSK_lbbbEUlllE0_EEPmJS9_EEE10hipError_tPvRmT3_T4_T5_T6_T7_T9_mT8_P12ihipStream_tbDpT10_ENKUlT_T0_E_clISt17integral_constantIbLb0EES1A_EEDaS15_S16_EUlS15_E_NS1_11comp_targetILNS1_3genE5ELNS1_11target_archE942ELNS1_3gpuE9ELNS1_3repE0EEENS1_30default_config_static_selectorELNS0_4arch9wavefront6targetE0EEEvT1_,"axG",@progbits,_ZN7rocprim17ROCPRIM_400000_NS6detail17trampoline_kernelINS0_14default_configENS1_25partition_config_selectorILNS1_17partition_subalgoE9EllbEEZZNS1_14partition_implILS5_9ELb0ES3_jPlS8_PNS0_10empty_typeENS0_5tupleIJS8_S9_EEENSB_IJS8_SA_EEENS0_18inequality_wrapperIZN2at6native12_GLOBAL__N_124unique_dim_cuda_templateIdEESt5tupleIJNSF_6TensorESK_SK_EERKSK_lbbbEUlllE0_EEPmJS9_EEE10hipError_tPvRmT3_T4_T5_T6_T7_T9_mT8_P12ihipStream_tbDpT10_ENKUlT_T0_E_clISt17integral_constantIbLb0EES1A_EEDaS15_S16_EUlS15_E_NS1_11comp_targetILNS1_3genE5ELNS1_11target_archE942ELNS1_3gpuE9ELNS1_3repE0EEENS1_30default_config_static_selectorELNS0_4arch9wavefront6targetE0EEEvT1_,comdat
.Lfunc_end840:
	.size	_ZN7rocprim17ROCPRIM_400000_NS6detail17trampoline_kernelINS0_14default_configENS1_25partition_config_selectorILNS1_17partition_subalgoE9EllbEEZZNS1_14partition_implILS5_9ELb0ES3_jPlS8_PNS0_10empty_typeENS0_5tupleIJS8_S9_EEENSB_IJS8_SA_EEENS0_18inequality_wrapperIZN2at6native12_GLOBAL__N_124unique_dim_cuda_templateIdEESt5tupleIJNSF_6TensorESK_SK_EERKSK_lbbbEUlllE0_EEPmJS9_EEE10hipError_tPvRmT3_T4_T5_T6_T7_T9_mT8_P12ihipStream_tbDpT10_ENKUlT_T0_E_clISt17integral_constantIbLb0EES1A_EEDaS15_S16_EUlS15_E_NS1_11comp_targetILNS1_3genE5ELNS1_11target_archE942ELNS1_3gpuE9ELNS1_3repE0EEENS1_30default_config_static_selectorELNS0_4arch9wavefront6targetE0EEEvT1_, .Lfunc_end840-_ZN7rocprim17ROCPRIM_400000_NS6detail17trampoline_kernelINS0_14default_configENS1_25partition_config_selectorILNS1_17partition_subalgoE9EllbEEZZNS1_14partition_implILS5_9ELb0ES3_jPlS8_PNS0_10empty_typeENS0_5tupleIJS8_S9_EEENSB_IJS8_SA_EEENS0_18inequality_wrapperIZN2at6native12_GLOBAL__N_124unique_dim_cuda_templateIdEESt5tupleIJNSF_6TensorESK_SK_EERKSK_lbbbEUlllE0_EEPmJS9_EEE10hipError_tPvRmT3_T4_T5_T6_T7_T9_mT8_P12ihipStream_tbDpT10_ENKUlT_T0_E_clISt17integral_constantIbLb0EES1A_EEDaS15_S16_EUlS15_E_NS1_11comp_targetILNS1_3genE5ELNS1_11target_archE942ELNS1_3gpuE9ELNS1_3repE0EEENS1_30default_config_static_selectorELNS0_4arch9wavefront6targetE0EEEvT1_
                                        ; -- End function
	.section	.AMDGPU.csdata,"",@progbits
; Kernel info:
; codeLenInByte = 0
; NumSgprs: 0
; NumVgprs: 0
; ScratchSize: 0
; MemoryBound: 0
; FloatMode: 240
; IeeeMode: 1
; LDSByteSize: 0 bytes/workgroup (compile time only)
; SGPRBlocks: 0
; VGPRBlocks: 0
; NumSGPRsForWavesPerEU: 1
; NumVGPRsForWavesPerEU: 1
; Occupancy: 16
; WaveLimiterHint : 0
; COMPUTE_PGM_RSRC2:SCRATCH_EN: 0
; COMPUTE_PGM_RSRC2:USER_SGPR: 15
; COMPUTE_PGM_RSRC2:TRAP_HANDLER: 0
; COMPUTE_PGM_RSRC2:TGID_X_EN: 1
; COMPUTE_PGM_RSRC2:TGID_Y_EN: 0
; COMPUTE_PGM_RSRC2:TGID_Z_EN: 0
; COMPUTE_PGM_RSRC2:TIDIG_COMP_CNT: 0
	.section	.text._ZN7rocprim17ROCPRIM_400000_NS6detail17trampoline_kernelINS0_14default_configENS1_25partition_config_selectorILNS1_17partition_subalgoE9EllbEEZZNS1_14partition_implILS5_9ELb0ES3_jPlS8_PNS0_10empty_typeENS0_5tupleIJS8_S9_EEENSB_IJS8_SA_EEENS0_18inequality_wrapperIZN2at6native12_GLOBAL__N_124unique_dim_cuda_templateIdEESt5tupleIJNSF_6TensorESK_SK_EERKSK_lbbbEUlllE0_EEPmJS9_EEE10hipError_tPvRmT3_T4_T5_T6_T7_T9_mT8_P12ihipStream_tbDpT10_ENKUlT_T0_E_clISt17integral_constantIbLb0EES1A_EEDaS15_S16_EUlS15_E_NS1_11comp_targetILNS1_3genE4ELNS1_11target_archE910ELNS1_3gpuE8ELNS1_3repE0EEENS1_30default_config_static_selectorELNS0_4arch9wavefront6targetE0EEEvT1_,"axG",@progbits,_ZN7rocprim17ROCPRIM_400000_NS6detail17trampoline_kernelINS0_14default_configENS1_25partition_config_selectorILNS1_17partition_subalgoE9EllbEEZZNS1_14partition_implILS5_9ELb0ES3_jPlS8_PNS0_10empty_typeENS0_5tupleIJS8_S9_EEENSB_IJS8_SA_EEENS0_18inequality_wrapperIZN2at6native12_GLOBAL__N_124unique_dim_cuda_templateIdEESt5tupleIJNSF_6TensorESK_SK_EERKSK_lbbbEUlllE0_EEPmJS9_EEE10hipError_tPvRmT3_T4_T5_T6_T7_T9_mT8_P12ihipStream_tbDpT10_ENKUlT_T0_E_clISt17integral_constantIbLb0EES1A_EEDaS15_S16_EUlS15_E_NS1_11comp_targetILNS1_3genE4ELNS1_11target_archE910ELNS1_3gpuE8ELNS1_3repE0EEENS1_30default_config_static_selectorELNS0_4arch9wavefront6targetE0EEEvT1_,comdat
	.globl	_ZN7rocprim17ROCPRIM_400000_NS6detail17trampoline_kernelINS0_14default_configENS1_25partition_config_selectorILNS1_17partition_subalgoE9EllbEEZZNS1_14partition_implILS5_9ELb0ES3_jPlS8_PNS0_10empty_typeENS0_5tupleIJS8_S9_EEENSB_IJS8_SA_EEENS0_18inequality_wrapperIZN2at6native12_GLOBAL__N_124unique_dim_cuda_templateIdEESt5tupleIJNSF_6TensorESK_SK_EERKSK_lbbbEUlllE0_EEPmJS9_EEE10hipError_tPvRmT3_T4_T5_T6_T7_T9_mT8_P12ihipStream_tbDpT10_ENKUlT_T0_E_clISt17integral_constantIbLb0EES1A_EEDaS15_S16_EUlS15_E_NS1_11comp_targetILNS1_3genE4ELNS1_11target_archE910ELNS1_3gpuE8ELNS1_3repE0EEENS1_30default_config_static_selectorELNS0_4arch9wavefront6targetE0EEEvT1_ ; -- Begin function _ZN7rocprim17ROCPRIM_400000_NS6detail17trampoline_kernelINS0_14default_configENS1_25partition_config_selectorILNS1_17partition_subalgoE9EllbEEZZNS1_14partition_implILS5_9ELb0ES3_jPlS8_PNS0_10empty_typeENS0_5tupleIJS8_S9_EEENSB_IJS8_SA_EEENS0_18inequality_wrapperIZN2at6native12_GLOBAL__N_124unique_dim_cuda_templateIdEESt5tupleIJNSF_6TensorESK_SK_EERKSK_lbbbEUlllE0_EEPmJS9_EEE10hipError_tPvRmT3_T4_T5_T6_T7_T9_mT8_P12ihipStream_tbDpT10_ENKUlT_T0_E_clISt17integral_constantIbLb0EES1A_EEDaS15_S16_EUlS15_E_NS1_11comp_targetILNS1_3genE4ELNS1_11target_archE910ELNS1_3gpuE8ELNS1_3repE0EEENS1_30default_config_static_selectorELNS0_4arch9wavefront6targetE0EEEvT1_
	.p2align	8
	.type	_ZN7rocprim17ROCPRIM_400000_NS6detail17trampoline_kernelINS0_14default_configENS1_25partition_config_selectorILNS1_17partition_subalgoE9EllbEEZZNS1_14partition_implILS5_9ELb0ES3_jPlS8_PNS0_10empty_typeENS0_5tupleIJS8_S9_EEENSB_IJS8_SA_EEENS0_18inequality_wrapperIZN2at6native12_GLOBAL__N_124unique_dim_cuda_templateIdEESt5tupleIJNSF_6TensorESK_SK_EERKSK_lbbbEUlllE0_EEPmJS9_EEE10hipError_tPvRmT3_T4_T5_T6_T7_T9_mT8_P12ihipStream_tbDpT10_ENKUlT_T0_E_clISt17integral_constantIbLb0EES1A_EEDaS15_S16_EUlS15_E_NS1_11comp_targetILNS1_3genE4ELNS1_11target_archE910ELNS1_3gpuE8ELNS1_3repE0EEENS1_30default_config_static_selectorELNS0_4arch9wavefront6targetE0EEEvT1_,@function
_ZN7rocprim17ROCPRIM_400000_NS6detail17trampoline_kernelINS0_14default_configENS1_25partition_config_selectorILNS1_17partition_subalgoE9EllbEEZZNS1_14partition_implILS5_9ELb0ES3_jPlS8_PNS0_10empty_typeENS0_5tupleIJS8_S9_EEENSB_IJS8_SA_EEENS0_18inequality_wrapperIZN2at6native12_GLOBAL__N_124unique_dim_cuda_templateIdEESt5tupleIJNSF_6TensorESK_SK_EERKSK_lbbbEUlllE0_EEPmJS9_EEE10hipError_tPvRmT3_T4_T5_T6_T7_T9_mT8_P12ihipStream_tbDpT10_ENKUlT_T0_E_clISt17integral_constantIbLb0EES1A_EEDaS15_S16_EUlS15_E_NS1_11comp_targetILNS1_3genE4ELNS1_11target_archE910ELNS1_3gpuE8ELNS1_3repE0EEENS1_30default_config_static_selectorELNS0_4arch9wavefront6targetE0EEEvT1_: ; @_ZN7rocprim17ROCPRIM_400000_NS6detail17trampoline_kernelINS0_14default_configENS1_25partition_config_selectorILNS1_17partition_subalgoE9EllbEEZZNS1_14partition_implILS5_9ELb0ES3_jPlS8_PNS0_10empty_typeENS0_5tupleIJS8_S9_EEENSB_IJS8_SA_EEENS0_18inequality_wrapperIZN2at6native12_GLOBAL__N_124unique_dim_cuda_templateIdEESt5tupleIJNSF_6TensorESK_SK_EERKSK_lbbbEUlllE0_EEPmJS9_EEE10hipError_tPvRmT3_T4_T5_T6_T7_T9_mT8_P12ihipStream_tbDpT10_ENKUlT_T0_E_clISt17integral_constantIbLb0EES1A_EEDaS15_S16_EUlS15_E_NS1_11comp_targetILNS1_3genE4ELNS1_11target_archE910ELNS1_3gpuE8ELNS1_3repE0EEENS1_30default_config_static_selectorELNS0_4arch9wavefront6targetE0EEEvT1_
; %bb.0:
	.section	.rodata,"a",@progbits
	.p2align	6, 0x0
	.amdhsa_kernel _ZN7rocprim17ROCPRIM_400000_NS6detail17trampoline_kernelINS0_14default_configENS1_25partition_config_selectorILNS1_17partition_subalgoE9EllbEEZZNS1_14partition_implILS5_9ELb0ES3_jPlS8_PNS0_10empty_typeENS0_5tupleIJS8_S9_EEENSB_IJS8_SA_EEENS0_18inequality_wrapperIZN2at6native12_GLOBAL__N_124unique_dim_cuda_templateIdEESt5tupleIJNSF_6TensorESK_SK_EERKSK_lbbbEUlllE0_EEPmJS9_EEE10hipError_tPvRmT3_T4_T5_T6_T7_T9_mT8_P12ihipStream_tbDpT10_ENKUlT_T0_E_clISt17integral_constantIbLb0EES1A_EEDaS15_S16_EUlS15_E_NS1_11comp_targetILNS1_3genE4ELNS1_11target_archE910ELNS1_3gpuE8ELNS1_3repE0EEENS1_30default_config_static_selectorELNS0_4arch9wavefront6targetE0EEEvT1_
		.amdhsa_group_segment_fixed_size 0
		.amdhsa_private_segment_fixed_size 0
		.amdhsa_kernarg_size 120
		.amdhsa_user_sgpr_count 15
		.amdhsa_user_sgpr_dispatch_ptr 0
		.amdhsa_user_sgpr_queue_ptr 0
		.amdhsa_user_sgpr_kernarg_segment_ptr 1
		.amdhsa_user_sgpr_dispatch_id 0
		.amdhsa_user_sgpr_private_segment_size 0
		.amdhsa_wavefront_size32 1
		.amdhsa_uses_dynamic_stack 0
		.amdhsa_enable_private_segment 0
		.amdhsa_system_sgpr_workgroup_id_x 1
		.amdhsa_system_sgpr_workgroup_id_y 0
		.amdhsa_system_sgpr_workgroup_id_z 0
		.amdhsa_system_sgpr_workgroup_info 0
		.amdhsa_system_vgpr_workitem_id 0
		.amdhsa_next_free_vgpr 1
		.amdhsa_next_free_sgpr 1
		.amdhsa_reserve_vcc 0
		.amdhsa_float_round_mode_32 0
		.amdhsa_float_round_mode_16_64 0
		.amdhsa_float_denorm_mode_32 3
		.amdhsa_float_denorm_mode_16_64 3
		.amdhsa_dx10_clamp 1
		.amdhsa_ieee_mode 1
		.amdhsa_fp16_overflow 0
		.amdhsa_workgroup_processor_mode 1
		.amdhsa_memory_ordered 1
		.amdhsa_forward_progress 0
		.amdhsa_shared_vgpr_count 0
		.amdhsa_exception_fp_ieee_invalid_op 0
		.amdhsa_exception_fp_denorm_src 0
		.amdhsa_exception_fp_ieee_div_zero 0
		.amdhsa_exception_fp_ieee_overflow 0
		.amdhsa_exception_fp_ieee_underflow 0
		.amdhsa_exception_fp_ieee_inexact 0
		.amdhsa_exception_int_div_zero 0
	.end_amdhsa_kernel
	.section	.text._ZN7rocprim17ROCPRIM_400000_NS6detail17trampoline_kernelINS0_14default_configENS1_25partition_config_selectorILNS1_17partition_subalgoE9EllbEEZZNS1_14partition_implILS5_9ELb0ES3_jPlS8_PNS0_10empty_typeENS0_5tupleIJS8_S9_EEENSB_IJS8_SA_EEENS0_18inequality_wrapperIZN2at6native12_GLOBAL__N_124unique_dim_cuda_templateIdEESt5tupleIJNSF_6TensorESK_SK_EERKSK_lbbbEUlllE0_EEPmJS9_EEE10hipError_tPvRmT3_T4_T5_T6_T7_T9_mT8_P12ihipStream_tbDpT10_ENKUlT_T0_E_clISt17integral_constantIbLb0EES1A_EEDaS15_S16_EUlS15_E_NS1_11comp_targetILNS1_3genE4ELNS1_11target_archE910ELNS1_3gpuE8ELNS1_3repE0EEENS1_30default_config_static_selectorELNS0_4arch9wavefront6targetE0EEEvT1_,"axG",@progbits,_ZN7rocprim17ROCPRIM_400000_NS6detail17trampoline_kernelINS0_14default_configENS1_25partition_config_selectorILNS1_17partition_subalgoE9EllbEEZZNS1_14partition_implILS5_9ELb0ES3_jPlS8_PNS0_10empty_typeENS0_5tupleIJS8_S9_EEENSB_IJS8_SA_EEENS0_18inequality_wrapperIZN2at6native12_GLOBAL__N_124unique_dim_cuda_templateIdEESt5tupleIJNSF_6TensorESK_SK_EERKSK_lbbbEUlllE0_EEPmJS9_EEE10hipError_tPvRmT3_T4_T5_T6_T7_T9_mT8_P12ihipStream_tbDpT10_ENKUlT_T0_E_clISt17integral_constantIbLb0EES1A_EEDaS15_S16_EUlS15_E_NS1_11comp_targetILNS1_3genE4ELNS1_11target_archE910ELNS1_3gpuE8ELNS1_3repE0EEENS1_30default_config_static_selectorELNS0_4arch9wavefront6targetE0EEEvT1_,comdat
.Lfunc_end841:
	.size	_ZN7rocprim17ROCPRIM_400000_NS6detail17trampoline_kernelINS0_14default_configENS1_25partition_config_selectorILNS1_17partition_subalgoE9EllbEEZZNS1_14partition_implILS5_9ELb0ES3_jPlS8_PNS0_10empty_typeENS0_5tupleIJS8_S9_EEENSB_IJS8_SA_EEENS0_18inequality_wrapperIZN2at6native12_GLOBAL__N_124unique_dim_cuda_templateIdEESt5tupleIJNSF_6TensorESK_SK_EERKSK_lbbbEUlllE0_EEPmJS9_EEE10hipError_tPvRmT3_T4_T5_T6_T7_T9_mT8_P12ihipStream_tbDpT10_ENKUlT_T0_E_clISt17integral_constantIbLb0EES1A_EEDaS15_S16_EUlS15_E_NS1_11comp_targetILNS1_3genE4ELNS1_11target_archE910ELNS1_3gpuE8ELNS1_3repE0EEENS1_30default_config_static_selectorELNS0_4arch9wavefront6targetE0EEEvT1_, .Lfunc_end841-_ZN7rocprim17ROCPRIM_400000_NS6detail17trampoline_kernelINS0_14default_configENS1_25partition_config_selectorILNS1_17partition_subalgoE9EllbEEZZNS1_14partition_implILS5_9ELb0ES3_jPlS8_PNS0_10empty_typeENS0_5tupleIJS8_S9_EEENSB_IJS8_SA_EEENS0_18inequality_wrapperIZN2at6native12_GLOBAL__N_124unique_dim_cuda_templateIdEESt5tupleIJNSF_6TensorESK_SK_EERKSK_lbbbEUlllE0_EEPmJS9_EEE10hipError_tPvRmT3_T4_T5_T6_T7_T9_mT8_P12ihipStream_tbDpT10_ENKUlT_T0_E_clISt17integral_constantIbLb0EES1A_EEDaS15_S16_EUlS15_E_NS1_11comp_targetILNS1_3genE4ELNS1_11target_archE910ELNS1_3gpuE8ELNS1_3repE0EEENS1_30default_config_static_selectorELNS0_4arch9wavefront6targetE0EEEvT1_
                                        ; -- End function
	.section	.AMDGPU.csdata,"",@progbits
; Kernel info:
; codeLenInByte = 0
; NumSgprs: 0
; NumVgprs: 0
; ScratchSize: 0
; MemoryBound: 0
; FloatMode: 240
; IeeeMode: 1
; LDSByteSize: 0 bytes/workgroup (compile time only)
; SGPRBlocks: 0
; VGPRBlocks: 0
; NumSGPRsForWavesPerEU: 1
; NumVGPRsForWavesPerEU: 1
; Occupancy: 16
; WaveLimiterHint : 0
; COMPUTE_PGM_RSRC2:SCRATCH_EN: 0
; COMPUTE_PGM_RSRC2:USER_SGPR: 15
; COMPUTE_PGM_RSRC2:TRAP_HANDLER: 0
; COMPUTE_PGM_RSRC2:TGID_X_EN: 1
; COMPUTE_PGM_RSRC2:TGID_Y_EN: 0
; COMPUTE_PGM_RSRC2:TGID_Z_EN: 0
; COMPUTE_PGM_RSRC2:TIDIG_COMP_CNT: 0
	.section	.text._ZN7rocprim17ROCPRIM_400000_NS6detail17trampoline_kernelINS0_14default_configENS1_25partition_config_selectorILNS1_17partition_subalgoE9EllbEEZZNS1_14partition_implILS5_9ELb0ES3_jPlS8_PNS0_10empty_typeENS0_5tupleIJS8_S9_EEENSB_IJS8_SA_EEENS0_18inequality_wrapperIZN2at6native12_GLOBAL__N_124unique_dim_cuda_templateIdEESt5tupleIJNSF_6TensorESK_SK_EERKSK_lbbbEUlllE0_EEPmJS9_EEE10hipError_tPvRmT3_T4_T5_T6_T7_T9_mT8_P12ihipStream_tbDpT10_ENKUlT_T0_E_clISt17integral_constantIbLb0EES1A_EEDaS15_S16_EUlS15_E_NS1_11comp_targetILNS1_3genE3ELNS1_11target_archE908ELNS1_3gpuE7ELNS1_3repE0EEENS1_30default_config_static_selectorELNS0_4arch9wavefront6targetE0EEEvT1_,"axG",@progbits,_ZN7rocprim17ROCPRIM_400000_NS6detail17trampoline_kernelINS0_14default_configENS1_25partition_config_selectorILNS1_17partition_subalgoE9EllbEEZZNS1_14partition_implILS5_9ELb0ES3_jPlS8_PNS0_10empty_typeENS0_5tupleIJS8_S9_EEENSB_IJS8_SA_EEENS0_18inequality_wrapperIZN2at6native12_GLOBAL__N_124unique_dim_cuda_templateIdEESt5tupleIJNSF_6TensorESK_SK_EERKSK_lbbbEUlllE0_EEPmJS9_EEE10hipError_tPvRmT3_T4_T5_T6_T7_T9_mT8_P12ihipStream_tbDpT10_ENKUlT_T0_E_clISt17integral_constantIbLb0EES1A_EEDaS15_S16_EUlS15_E_NS1_11comp_targetILNS1_3genE3ELNS1_11target_archE908ELNS1_3gpuE7ELNS1_3repE0EEENS1_30default_config_static_selectorELNS0_4arch9wavefront6targetE0EEEvT1_,comdat
	.globl	_ZN7rocprim17ROCPRIM_400000_NS6detail17trampoline_kernelINS0_14default_configENS1_25partition_config_selectorILNS1_17partition_subalgoE9EllbEEZZNS1_14partition_implILS5_9ELb0ES3_jPlS8_PNS0_10empty_typeENS0_5tupleIJS8_S9_EEENSB_IJS8_SA_EEENS0_18inequality_wrapperIZN2at6native12_GLOBAL__N_124unique_dim_cuda_templateIdEESt5tupleIJNSF_6TensorESK_SK_EERKSK_lbbbEUlllE0_EEPmJS9_EEE10hipError_tPvRmT3_T4_T5_T6_T7_T9_mT8_P12ihipStream_tbDpT10_ENKUlT_T0_E_clISt17integral_constantIbLb0EES1A_EEDaS15_S16_EUlS15_E_NS1_11comp_targetILNS1_3genE3ELNS1_11target_archE908ELNS1_3gpuE7ELNS1_3repE0EEENS1_30default_config_static_selectorELNS0_4arch9wavefront6targetE0EEEvT1_ ; -- Begin function _ZN7rocprim17ROCPRIM_400000_NS6detail17trampoline_kernelINS0_14default_configENS1_25partition_config_selectorILNS1_17partition_subalgoE9EllbEEZZNS1_14partition_implILS5_9ELb0ES3_jPlS8_PNS0_10empty_typeENS0_5tupleIJS8_S9_EEENSB_IJS8_SA_EEENS0_18inequality_wrapperIZN2at6native12_GLOBAL__N_124unique_dim_cuda_templateIdEESt5tupleIJNSF_6TensorESK_SK_EERKSK_lbbbEUlllE0_EEPmJS9_EEE10hipError_tPvRmT3_T4_T5_T6_T7_T9_mT8_P12ihipStream_tbDpT10_ENKUlT_T0_E_clISt17integral_constantIbLb0EES1A_EEDaS15_S16_EUlS15_E_NS1_11comp_targetILNS1_3genE3ELNS1_11target_archE908ELNS1_3gpuE7ELNS1_3repE0EEENS1_30default_config_static_selectorELNS0_4arch9wavefront6targetE0EEEvT1_
	.p2align	8
	.type	_ZN7rocprim17ROCPRIM_400000_NS6detail17trampoline_kernelINS0_14default_configENS1_25partition_config_selectorILNS1_17partition_subalgoE9EllbEEZZNS1_14partition_implILS5_9ELb0ES3_jPlS8_PNS0_10empty_typeENS0_5tupleIJS8_S9_EEENSB_IJS8_SA_EEENS0_18inequality_wrapperIZN2at6native12_GLOBAL__N_124unique_dim_cuda_templateIdEESt5tupleIJNSF_6TensorESK_SK_EERKSK_lbbbEUlllE0_EEPmJS9_EEE10hipError_tPvRmT3_T4_T5_T6_T7_T9_mT8_P12ihipStream_tbDpT10_ENKUlT_T0_E_clISt17integral_constantIbLb0EES1A_EEDaS15_S16_EUlS15_E_NS1_11comp_targetILNS1_3genE3ELNS1_11target_archE908ELNS1_3gpuE7ELNS1_3repE0EEENS1_30default_config_static_selectorELNS0_4arch9wavefront6targetE0EEEvT1_,@function
_ZN7rocprim17ROCPRIM_400000_NS6detail17trampoline_kernelINS0_14default_configENS1_25partition_config_selectorILNS1_17partition_subalgoE9EllbEEZZNS1_14partition_implILS5_9ELb0ES3_jPlS8_PNS0_10empty_typeENS0_5tupleIJS8_S9_EEENSB_IJS8_SA_EEENS0_18inequality_wrapperIZN2at6native12_GLOBAL__N_124unique_dim_cuda_templateIdEESt5tupleIJNSF_6TensorESK_SK_EERKSK_lbbbEUlllE0_EEPmJS9_EEE10hipError_tPvRmT3_T4_T5_T6_T7_T9_mT8_P12ihipStream_tbDpT10_ENKUlT_T0_E_clISt17integral_constantIbLb0EES1A_EEDaS15_S16_EUlS15_E_NS1_11comp_targetILNS1_3genE3ELNS1_11target_archE908ELNS1_3gpuE7ELNS1_3repE0EEENS1_30default_config_static_selectorELNS0_4arch9wavefront6targetE0EEEvT1_: ; @_ZN7rocprim17ROCPRIM_400000_NS6detail17trampoline_kernelINS0_14default_configENS1_25partition_config_selectorILNS1_17partition_subalgoE9EllbEEZZNS1_14partition_implILS5_9ELb0ES3_jPlS8_PNS0_10empty_typeENS0_5tupleIJS8_S9_EEENSB_IJS8_SA_EEENS0_18inequality_wrapperIZN2at6native12_GLOBAL__N_124unique_dim_cuda_templateIdEESt5tupleIJNSF_6TensorESK_SK_EERKSK_lbbbEUlllE0_EEPmJS9_EEE10hipError_tPvRmT3_T4_T5_T6_T7_T9_mT8_P12ihipStream_tbDpT10_ENKUlT_T0_E_clISt17integral_constantIbLb0EES1A_EEDaS15_S16_EUlS15_E_NS1_11comp_targetILNS1_3genE3ELNS1_11target_archE908ELNS1_3gpuE7ELNS1_3repE0EEENS1_30default_config_static_selectorELNS0_4arch9wavefront6targetE0EEEvT1_
; %bb.0:
	.section	.rodata,"a",@progbits
	.p2align	6, 0x0
	.amdhsa_kernel _ZN7rocprim17ROCPRIM_400000_NS6detail17trampoline_kernelINS0_14default_configENS1_25partition_config_selectorILNS1_17partition_subalgoE9EllbEEZZNS1_14partition_implILS5_9ELb0ES3_jPlS8_PNS0_10empty_typeENS0_5tupleIJS8_S9_EEENSB_IJS8_SA_EEENS0_18inequality_wrapperIZN2at6native12_GLOBAL__N_124unique_dim_cuda_templateIdEESt5tupleIJNSF_6TensorESK_SK_EERKSK_lbbbEUlllE0_EEPmJS9_EEE10hipError_tPvRmT3_T4_T5_T6_T7_T9_mT8_P12ihipStream_tbDpT10_ENKUlT_T0_E_clISt17integral_constantIbLb0EES1A_EEDaS15_S16_EUlS15_E_NS1_11comp_targetILNS1_3genE3ELNS1_11target_archE908ELNS1_3gpuE7ELNS1_3repE0EEENS1_30default_config_static_selectorELNS0_4arch9wavefront6targetE0EEEvT1_
		.amdhsa_group_segment_fixed_size 0
		.amdhsa_private_segment_fixed_size 0
		.amdhsa_kernarg_size 120
		.amdhsa_user_sgpr_count 15
		.amdhsa_user_sgpr_dispatch_ptr 0
		.amdhsa_user_sgpr_queue_ptr 0
		.amdhsa_user_sgpr_kernarg_segment_ptr 1
		.amdhsa_user_sgpr_dispatch_id 0
		.amdhsa_user_sgpr_private_segment_size 0
		.amdhsa_wavefront_size32 1
		.amdhsa_uses_dynamic_stack 0
		.amdhsa_enable_private_segment 0
		.amdhsa_system_sgpr_workgroup_id_x 1
		.amdhsa_system_sgpr_workgroup_id_y 0
		.amdhsa_system_sgpr_workgroup_id_z 0
		.amdhsa_system_sgpr_workgroup_info 0
		.amdhsa_system_vgpr_workitem_id 0
		.amdhsa_next_free_vgpr 1
		.amdhsa_next_free_sgpr 1
		.amdhsa_reserve_vcc 0
		.amdhsa_float_round_mode_32 0
		.amdhsa_float_round_mode_16_64 0
		.amdhsa_float_denorm_mode_32 3
		.amdhsa_float_denorm_mode_16_64 3
		.amdhsa_dx10_clamp 1
		.amdhsa_ieee_mode 1
		.amdhsa_fp16_overflow 0
		.amdhsa_workgroup_processor_mode 1
		.amdhsa_memory_ordered 1
		.amdhsa_forward_progress 0
		.amdhsa_shared_vgpr_count 0
		.amdhsa_exception_fp_ieee_invalid_op 0
		.amdhsa_exception_fp_denorm_src 0
		.amdhsa_exception_fp_ieee_div_zero 0
		.amdhsa_exception_fp_ieee_overflow 0
		.amdhsa_exception_fp_ieee_underflow 0
		.amdhsa_exception_fp_ieee_inexact 0
		.amdhsa_exception_int_div_zero 0
	.end_amdhsa_kernel
	.section	.text._ZN7rocprim17ROCPRIM_400000_NS6detail17trampoline_kernelINS0_14default_configENS1_25partition_config_selectorILNS1_17partition_subalgoE9EllbEEZZNS1_14partition_implILS5_9ELb0ES3_jPlS8_PNS0_10empty_typeENS0_5tupleIJS8_S9_EEENSB_IJS8_SA_EEENS0_18inequality_wrapperIZN2at6native12_GLOBAL__N_124unique_dim_cuda_templateIdEESt5tupleIJNSF_6TensorESK_SK_EERKSK_lbbbEUlllE0_EEPmJS9_EEE10hipError_tPvRmT3_T4_T5_T6_T7_T9_mT8_P12ihipStream_tbDpT10_ENKUlT_T0_E_clISt17integral_constantIbLb0EES1A_EEDaS15_S16_EUlS15_E_NS1_11comp_targetILNS1_3genE3ELNS1_11target_archE908ELNS1_3gpuE7ELNS1_3repE0EEENS1_30default_config_static_selectorELNS0_4arch9wavefront6targetE0EEEvT1_,"axG",@progbits,_ZN7rocprim17ROCPRIM_400000_NS6detail17trampoline_kernelINS0_14default_configENS1_25partition_config_selectorILNS1_17partition_subalgoE9EllbEEZZNS1_14partition_implILS5_9ELb0ES3_jPlS8_PNS0_10empty_typeENS0_5tupleIJS8_S9_EEENSB_IJS8_SA_EEENS0_18inequality_wrapperIZN2at6native12_GLOBAL__N_124unique_dim_cuda_templateIdEESt5tupleIJNSF_6TensorESK_SK_EERKSK_lbbbEUlllE0_EEPmJS9_EEE10hipError_tPvRmT3_T4_T5_T6_T7_T9_mT8_P12ihipStream_tbDpT10_ENKUlT_T0_E_clISt17integral_constantIbLb0EES1A_EEDaS15_S16_EUlS15_E_NS1_11comp_targetILNS1_3genE3ELNS1_11target_archE908ELNS1_3gpuE7ELNS1_3repE0EEENS1_30default_config_static_selectorELNS0_4arch9wavefront6targetE0EEEvT1_,comdat
.Lfunc_end842:
	.size	_ZN7rocprim17ROCPRIM_400000_NS6detail17trampoline_kernelINS0_14default_configENS1_25partition_config_selectorILNS1_17partition_subalgoE9EllbEEZZNS1_14partition_implILS5_9ELb0ES3_jPlS8_PNS0_10empty_typeENS0_5tupleIJS8_S9_EEENSB_IJS8_SA_EEENS0_18inequality_wrapperIZN2at6native12_GLOBAL__N_124unique_dim_cuda_templateIdEESt5tupleIJNSF_6TensorESK_SK_EERKSK_lbbbEUlllE0_EEPmJS9_EEE10hipError_tPvRmT3_T4_T5_T6_T7_T9_mT8_P12ihipStream_tbDpT10_ENKUlT_T0_E_clISt17integral_constantIbLb0EES1A_EEDaS15_S16_EUlS15_E_NS1_11comp_targetILNS1_3genE3ELNS1_11target_archE908ELNS1_3gpuE7ELNS1_3repE0EEENS1_30default_config_static_selectorELNS0_4arch9wavefront6targetE0EEEvT1_, .Lfunc_end842-_ZN7rocprim17ROCPRIM_400000_NS6detail17trampoline_kernelINS0_14default_configENS1_25partition_config_selectorILNS1_17partition_subalgoE9EllbEEZZNS1_14partition_implILS5_9ELb0ES3_jPlS8_PNS0_10empty_typeENS0_5tupleIJS8_S9_EEENSB_IJS8_SA_EEENS0_18inequality_wrapperIZN2at6native12_GLOBAL__N_124unique_dim_cuda_templateIdEESt5tupleIJNSF_6TensorESK_SK_EERKSK_lbbbEUlllE0_EEPmJS9_EEE10hipError_tPvRmT3_T4_T5_T6_T7_T9_mT8_P12ihipStream_tbDpT10_ENKUlT_T0_E_clISt17integral_constantIbLb0EES1A_EEDaS15_S16_EUlS15_E_NS1_11comp_targetILNS1_3genE3ELNS1_11target_archE908ELNS1_3gpuE7ELNS1_3repE0EEENS1_30default_config_static_selectorELNS0_4arch9wavefront6targetE0EEEvT1_
                                        ; -- End function
	.section	.AMDGPU.csdata,"",@progbits
; Kernel info:
; codeLenInByte = 0
; NumSgprs: 0
; NumVgprs: 0
; ScratchSize: 0
; MemoryBound: 0
; FloatMode: 240
; IeeeMode: 1
; LDSByteSize: 0 bytes/workgroup (compile time only)
; SGPRBlocks: 0
; VGPRBlocks: 0
; NumSGPRsForWavesPerEU: 1
; NumVGPRsForWavesPerEU: 1
; Occupancy: 16
; WaveLimiterHint : 0
; COMPUTE_PGM_RSRC2:SCRATCH_EN: 0
; COMPUTE_PGM_RSRC2:USER_SGPR: 15
; COMPUTE_PGM_RSRC2:TRAP_HANDLER: 0
; COMPUTE_PGM_RSRC2:TGID_X_EN: 1
; COMPUTE_PGM_RSRC2:TGID_Y_EN: 0
; COMPUTE_PGM_RSRC2:TGID_Z_EN: 0
; COMPUTE_PGM_RSRC2:TIDIG_COMP_CNT: 0
	.section	.text._ZN7rocprim17ROCPRIM_400000_NS6detail17trampoline_kernelINS0_14default_configENS1_25partition_config_selectorILNS1_17partition_subalgoE9EllbEEZZNS1_14partition_implILS5_9ELb0ES3_jPlS8_PNS0_10empty_typeENS0_5tupleIJS8_S9_EEENSB_IJS8_SA_EEENS0_18inequality_wrapperIZN2at6native12_GLOBAL__N_124unique_dim_cuda_templateIdEESt5tupleIJNSF_6TensorESK_SK_EERKSK_lbbbEUlllE0_EEPmJS9_EEE10hipError_tPvRmT3_T4_T5_T6_T7_T9_mT8_P12ihipStream_tbDpT10_ENKUlT_T0_E_clISt17integral_constantIbLb0EES1A_EEDaS15_S16_EUlS15_E_NS1_11comp_targetILNS1_3genE2ELNS1_11target_archE906ELNS1_3gpuE6ELNS1_3repE0EEENS1_30default_config_static_selectorELNS0_4arch9wavefront6targetE0EEEvT1_,"axG",@progbits,_ZN7rocprim17ROCPRIM_400000_NS6detail17trampoline_kernelINS0_14default_configENS1_25partition_config_selectorILNS1_17partition_subalgoE9EllbEEZZNS1_14partition_implILS5_9ELb0ES3_jPlS8_PNS0_10empty_typeENS0_5tupleIJS8_S9_EEENSB_IJS8_SA_EEENS0_18inequality_wrapperIZN2at6native12_GLOBAL__N_124unique_dim_cuda_templateIdEESt5tupleIJNSF_6TensorESK_SK_EERKSK_lbbbEUlllE0_EEPmJS9_EEE10hipError_tPvRmT3_T4_T5_T6_T7_T9_mT8_P12ihipStream_tbDpT10_ENKUlT_T0_E_clISt17integral_constantIbLb0EES1A_EEDaS15_S16_EUlS15_E_NS1_11comp_targetILNS1_3genE2ELNS1_11target_archE906ELNS1_3gpuE6ELNS1_3repE0EEENS1_30default_config_static_selectorELNS0_4arch9wavefront6targetE0EEEvT1_,comdat
	.globl	_ZN7rocprim17ROCPRIM_400000_NS6detail17trampoline_kernelINS0_14default_configENS1_25partition_config_selectorILNS1_17partition_subalgoE9EllbEEZZNS1_14partition_implILS5_9ELb0ES3_jPlS8_PNS0_10empty_typeENS0_5tupleIJS8_S9_EEENSB_IJS8_SA_EEENS0_18inequality_wrapperIZN2at6native12_GLOBAL__N_124unique_dim_cuda_templateIdEESt5tupleIJNSF_6TensorESK_SK_EERKSK_lbbbEUlllE0_EEPmJS9_EEE10hipError_tPvRmT3_T4_T5_T6_T7_T9_mT8_P12ihipStream_tbDpT10_ENKUlT_T0_E_clISt17integral_constantIbLb0EES1A_EEDaS15_S16_EUlS15_E_NS1_11comp_targetILNS1_3genE2ELNS1_11target_archE906ELNS1_3gpuE6ELNS1_3repE0EEENS1_30default_config_static_selectorELNS0_4arch9wavefront6targetE0EEEvT1_ ; -- Begin function _ZN7rocprim17ROCPRIM_400000_NS6detail17trampoline_kernelINS0_14default_configENS1_25partition_config_selectorILNS1_17partition_subalgoE9EllbEEZZNS1_14partition_implILS5_9ELb0ES3_jPlS8_PNS0_10empty_typeENS0_5tupleIJS8_S9_EEENSB_IJS8_SA_EEENS0_18inequality_wrapperIZN2at6native12_GLOBAL__N_124unique_dim_cuda_templateIdEESt5tupleIJNSF_6TensorESK_SK_EERKSK_lbbbEUlllE0_EEPmJS9_EEE10hipError_tPvRmT3_T4_T5_T6_T7_T9_mT8_P12ihipStream_tbDpT10_ENKUlT_T0_E_clISt17integral_constantIbLb0EES1A_EEDaS15_S16_EUlS15_E_NS1_11comp_targetILNS1_3genE2ELNS1_11target_archE906ELNS1_3gpuE6ELNS1_3repE0EEENS1_30default_config_static_selectorELNS0_4arch9wavefront6targetE0EEEvT1_
	.p2align	8
	.type	_ZN7rocprim17ROCPRIM_400000_NS6detail17trampoline_kernelINS0_14default_configENS1_25partition_config_selectorILNS1_17partition_subalgoE9EllbEEZZNS1_14partition_implILS5_9ELb0ES3_jPlS8_PNS0_10empty_typeENS0_5tupleIJS8_S9_EEENSB_IJS8_SA_EEENS0_18inequality_wrapperIZN2at6native12_GLOBAL__N_124unique_dim_cuda_templateIdEESt5tupleIJNSF_6TensorESK_SK_EERKSK_lbbbEUlllE0_EEPmJS9_EEE10hipError_tPvRmT3_T4_T5_T6_T7_T9_mT8_P12ihipStream_tbDpT10_ENKUlT_T0_E_clISt17integral_constantIbLb0EES1A_EEDaS15_S16_EUlS15_E_NS1_11comp_targetILNS1_3genE2ELNS1_11target_archE906ELNS1_3gpuE6ELNS1_3repE0EEENS1_30default_config_static_selectorELNS0_4arch9wavefront6targetE0EEEvT1_,@function
_ZN7rocprim17ROCPRIM_400000_NS6detail17trampoline_kernelINS0_14default_configENS1_25partition_config_selectorILNS1_17partition_subalgoE9EllbEEZZNS1_14partition_implILS5_9ELb0ES3_jPlS8_PNS0_10empty_typeENS0_5tupleIJS8_S9_EEENSB_IJS8_SA_EEENS0_18inequality_wrapperIZN2at6native12_GLOBAL__N_124unique_dim_cuda_templateIdEESt5tupleIJNSF_6TensorESK_SK_EERKSK_lbbbEUlllE0_EEPmJS9_EEE10hipError_tPvRmT3_T4_T5_T6_T7_T9_mT8_P12ihipStream_tbDpT10_ENKUlT_T0_E_clISt17integral_constantIbLb0EES1A_EEDaS15_S16_EUlS15_E_NS1_11comp_targetILNS1_3genE2ELNS1_11target_archE906ELNS1_3gpuE6ELNS1_3repE0EEENS1_30default_config_static_selectorELNS0_4arch9wavefront6targetE0EEEvT1_: ; @_ZN7rocprim17ROCPRIM_400000_NS6detail17trampoline_kernelINS0_14default_configENS1_25partition_config_selectorILNS1_17partition_subalgoE9EllbEEZZNS1_14partition_implILS5_9ELb0ES3_jPlS8_PNS0_10empty_typeENS0_5tupleIJS8_S9_EEENSB_IJS8_SA_EEENS0_18inequality_wrapperIZN2at6native12_GLOBAL__N_124unique_dim_cuda_templateIdEESt5tupleIJNSF_6TensorESK_SK_EERKSK_lbbbEUlllE0_EEPmJS9_EEE10hipError_tPvRmT3_T4_T5_T6_T7_T9_mT8_P12ihipStream_tbDpT10_ENKUlT_T0_E_clISt17integral_constantIbLb0EES1A_EEDaS15_S16_EUlS15_E_NS1_11comp_targetILNS1_3genE2ELNS1_11target_archE906ELNS1_3gpuE6ELNS1_3repE0EEENS1_30default_config_static_selectorELNS0_4arch9wavefront6targetE0EEEvT1_
; %bb.0:
	.section	.rodata,"a",@progbits
	.p2align	6, 0x0
	.amdhsa_kernel _ZN7rocprim17ROCPRIM_400000_NS6detail17trampoline_kernelINS0_14default_configENS1_25partition_config_selectorILNS1_17partition_subalgoE9EllbEEZZNS1_14partition_implILS5_9ELb0ES3_jPlS8_PNS0_10empty_typeENS0_5tupleIJS8_S9_EEENSB_IJS8_SA_EEENS0_18inequality_wrapperIZN2at6native12_GLOBAL__N_124unique_dim_cuda_templateIdEESt5tupleIJNSF_6TensorESK_SK_EERKSK_lbbbEUlllE0_EEPmJS9_EEE10hipError_tPvRmT3_T4_T5_T6_T7_T9_mT8_P12ihipStream_tbDpT10_ENKUlT_T0_E_clISt17integral_constantIbLb0EES1A_EEDaS15_S16_EUlS15_E_NS1_11comp_targetILNS1_3genE2ELNS1_11target_archE906ELNS1_3gpuE6ELNS1_3repE0EEENS1_30default_config_static_selectorELNS0_4arch9wavefront6targetE0EEEvT1_
		.amdhsa_group_segment_fixed_size 0
		.amdhsa_private_segment_fixed_size 0
		.amdhsa_kernarg_size 120
		.amdhsa_user_sgpr_count 15
		.amdhsa_user_sgpr_dispatch_ptr 0
		.amdhsa_user_sgpr_queue_ptr 0
		.amdhsa_user_sgpr_kernarg_segment_ptr 1
		.amdhsa_user_sgpr_dispatch_id 0
		.amdhsa_user_sgpr_private_segment_size 0
		.amdhsa_wavefront_size32 1
		.amdhsa_uses_dynamic_stack 0
		.amdhsa_enable_private_segment 0
		.amdhsa_system_sgpr_workgroup_id_x 1
		.amdhsa_system_sgpr_workgroup_id_y 0
		.amdhsa_system_sgpr_workgroup_id_z 0
		.amdhsa_system_sgpr_workgroup_info 0
		.amdhsa_system_vgpr_workitem_id 0
		.amdhsa_next_free_vgpr 1
		.amdhsa_next_free_sgpr 1
		.amdhsa_reserve_vcc 0
		.amdhsa_float_round_mode_32 0
		.amdhsa_float_round_mode_16_64 0
		.amdhsa_float_denorm_mode_32 3
		.amdhsa_float_denorm_mode_16_64 3
		.amdhsa_dx10_clamp 1
		.amdhsa_ieee_mode 1
		.amdhsa_fp16_overflow 0
		.amdhsa_workgroup_processor_mode 1
		.amdhsa_memory_ordered 1
		.amdhsa_forward_progress 0
		.amdhsa_shared_vgpr_count 0
		.amdhsa_exception_fp_ieee_invalid_op 0
		.amdhsa_exception_fp_denorm_src 0
		.amdhsa_exception_fp_ieee_div_zero 0
		.amdhsa_exception_fp_ieee_overflow 0
		.amdhsa_exception_fp_ieee_underflow 0
		.amdhsa_exception_fp_ieee_inexact 0
		.amdhsa_exception_int_div_zero 0
	.end_amdhsa_kernel
	.section	.text._ZN7rocprim17ROCPRIM_400000_NS6detail17trampoline_kernelINS0_14default_configENS1_25partition_config_selectorILNS1_17partition_subalgoE9EllbEEZZNS1_14partition_implILS5_9ELb0ES3_jPlS8_PNS0_10empty_typeENS0_5tupleIJS8_S9_EEENSB_IJS8_SA_EEENS0_18inequality_wrapperIZN2at6native12_GLOBAL__N_124unique_dim_cuda_templateIdEESt5tupleIJNSF_6TensorESK_SK_EERKSK_lbbbEUlllE0_EEPmJS9_EEE10hipError_tPvRmT3_T4_T5_T6_T7_T9_mT8_P12ihipStream_tbDpT10_ENKUlT_T0_E_clISt17integral_constantIbLb0EES1A_EEDaS15_S16_EUlS15_E_NS1_11comp_targetILNS1_3genE2ELNS1_11target_archE906ELNS1_3gpuE6ELNS1_3repE0EEENS1_30default_config_static_selectorELNS0_4arch9wavefront6targetE0EEEvT1_,"axG",@progbits,_ZN7rocprim17ROCPRIM_400000_NS6detail17trampoline_kernelINS0_14default_configENS1_25partition_config_selectorILNS1_17partition_subalgoE9EllbEEZZNS1_14partition_implILS5_9ELb0ES3_jPlS8_PNS0_10empty_typeENS0_5tupleIJS8_S9_EEENSB_IJS8_SA_EEENS0_18inequality_wrapperIZN2at6native12_GLOBAL__N_124unique_dim_cuda_templateIdEESt5tupleIJNSF_6TensorESK_SK_EERKSK_lbbbEUlllE0_EEPmJS9_EEE10hipError_tPvRmT3_T4_T5_T6_T7_T9_mT8_P12ihipStream_tbDpT10_ENKUlT_T0_E_clISt17integral_constantIbLb0EES1A_EEDaS15_S16_EUlS15_E_NS1_11comp_targetILNS1_3genE2ELNS1_11target_archE906ELNS1_3gpuE6ELNS1_3repE0EEENS1_30default_config_static_selectorELNS0_4arch9wavefront6targetE0EEEvT1_,comdat
.Lfunc_end843:
	.size	_ZN7rocprim17ROCPRIM_400000_NS6detail17trampoline_kernelINS0_14default_configENS1_25partition_config_selectorILNS1_17partition_subalgoE9EllbEEZZNS1_14partition_implILS5_9ELb0ES3_jPlS8_PNS0_10empty_typeENS0_5tupleIJS8_S9_EEENSB_IJS8_SA_EEENS0_18inequality_wrapperIZN2at6native12_GLOBAL__N_124unique_dim_cuda_templateIdEESt5tupleIJNSF_6TensorESK_SK_EERKSK_lbbbEUlllE0_EEPmJS9_EEE10hipError_tPvRmT3_T4_T5_T6_T7_T9_mT8_P12ihipStream_tbDpT10_ENKUlT_T0_E_clISt17integral_constantIbLb0EES1A_EEDaS15_S16_EUlS15_E_NS1_11comp_targetILNS1_3genE2ELNS1_11target_archE906ELNS1_3gpuE6ELNS1_3repE0EEENS1_30default_config_static_selectorELNS0_4arch9wavefront6targetE0EEEvT1_, .Lfunc_end843-_ZN7rocprim17ROCPRIM_400000_NS6detail17trampoline_kernelINS0_14default_configENS1_25partition_config_selectorILNS1_17partition_subalgoE9EllbEEZZNS1_14partition_implILS5_9ELb0ES3_jPlS8_PNS0_10empty_typeENS0_5tupleIJS8_S9_EEENSB_IJS8_SA_EEENS0_18inequality_wrapperIZN2at6native12_GLOBAL__N_124unique_dim_cuda_templateIdEESt5tupleIJNSF_6TensorESK_SK_EERKSK_lbbbEUlllE0_EEPmJS9_EEE10hipError_tPvRmT3_T4_T5_T6_T7_T9_mT8_P12ihipStream_tbDpT10_ENKUlT_T0_E_clISt17integral_constantIbLb0EES1A_EEDaS15_S16_EUlS15_E_NS1_11comp_targetILNS1_3genE2ELNS1_11target_archE906ELNS1_3gpuE6ELNS1_3repE0EEENS1_30default_config_static_selectorELNS0_4arch9wavefront6targetE0EEEvT1_
                                        ; -- End function
	.section	.AMDGPU.csdata,"",@progbits
; Kernel info:
; codeLenInByte = 0
; NumSgprs: 0
; NumVgprs: 0
; ScratchSize: 0
; MemoryBound: 0
; FloatMode: 240
; IeeeMode: 1
; LDSByteSize: 0 bytes/workgroup (compile time only)
; SGPRBlocks: 0
; VGPRBlocks: 0
; NumSGPRsForWavesPerEU: 1
; NumVGPRsForWavesPerEU: 1
; Occupancy: 15
; WaveLimiterHint : 0
; COMPUTE_PGM_RSRC2:SCRATCH_EN: 0
; COMPUTE_PGM_RSRC2:USER_SGPR: 15
; COMPUTE_PGM_RSRC2:TRAP_HANDLER: 0
; COMPUTE_PGM_RSRC2:TGID_X_EN: 1
; COMPUTE_PGM_RSRC2:TGID_Y_EN: 0
; COMPUTE_PGM_RSRC2:TGID_Z_EN: 0
; COMPUTE_PGM_RSRC2:TIDIG_COMP_CNT: 0
	.section	.text._ZN7rocprim17ROCPRIM_400000_NS6detail17trampoline_kernelINS0_14default_configENS1_25partition_config_selectorILNS1_17partition_subalgoE9EllbEEZZNS1_14partition_implILS5_9ELb0ES3_jPlS8_PNS0_10empty_typeENS0_5tupleIJS8_S9_EEENSB_IJS8_SA_EEENS0_18inequality_wrapperIZN2at6native12_GLOBAL__N_124unique_dim_cuda_templateIdEESt5tupleIJNSF_6TensorESK_SK_EERKSK_lbbbEUlllE0_EEPmJS9_EEE10hipError_tPvRmT3_T4_T5_T6_T7_T9_mT8_P12ihipStream_tbDpT10_ENKUlT_T0_E_clISt17integral_constantIbLb0EES1A_EEDaS15_S16_EUlS15_E_NS1_11comp_targetILNS1_3genE10ELNS1_11target_archE1200ELNS1_3gpuE4ELNS1_3repE0EEENS1_30default_config_static_selectorELNS0_4arch9wavefront6targetE0EEEvT1_,"axG",@progbits,_ZN7rocprim17ROCPRIM_400000_NS6detail17trampoline_kernelINS0_14default_configENS1_25partition_config_selectorILNS1_17partition_subalgoE9EllbEEZZNS1_14partition_implILS5_9ELb0ES3_jPlS8_PNS0_10empty_typeENS0_5tupleIJS8_S9_EEENSB_IJS8_SA_EEENS0_18inequality_wrapperIZN2at6native12_GLOBAL__N_124unique_dim_cuda_templateIdEESt5tupleIJNSF_6TensorESK_SK_EERKSK_lbbbEUlllE0_EEPmJS9_EEE10hipError_tPvRmT3_T4_T5_T6_T7_T9_mT8_P12ihipStream_tbDpT10_ENKUlT_T0_E_clISt17integral_constantIbLb0EES1A_EEDaS15_S16_EUlS15_E_NS1_11comp_targetILNS1_3genE10ELNS1_11target_archE1200ELNS1_3gpuE4ELNS1_3repE0EEENS1_30default_config_static_selectorELNS0_4arch9wavefront6targetE0EEEvT1_,comdat
	.globl	_ZN7rocprim17ROCPRIM_400000_NS6detail17trampoline_kernelINS0_14default_configENS1_25partition_config_selectorILNS1_17partition_subalgoE9EllbEEZZNS1_14partition_implILS5_9ELb0ES3_jPlS8_PNS0_10empty_typeENS0_5tupleIJS8_S9_EEENSB_IJS8_SA_EEENS0_18inequality_wrapperIZN2at6native12_GLOBAL__N_124unique_dim_cuda_templateIdEESt5tupleIJNSF_6TensorESK_SK_EERKSK_lbbbEUlllE0_EEPmJS9_EEE10hipError_tPvRmT3_T4_T5_T6_T7_T9_mT8_P12ihipStream_tbDpT10_ENKUlT_T0_E_clISt17integral_constantIbLb0EES1A_EEDaS15_S16_EUlS15_E_NS1_11comp_targetILNS1_3genE10ELNS1_11target_archE1200ELNS1_3gpuE4ELNS1_3repE0EEENS1_30default_config_static_selectorELNS0_4arch9wavefront6targetE0EEEvT1_ ; -- Begin function _ZN7rocprim17ROCPRIM_400000_NS6detail17trampoline_kernelINS0_14default_configENS1_25partition_config_selectorILNS1_17partition_subalgoE9EllbEEZZNS1_14partition_implILS5_9ELb0ES3_jPlS8_PNS0_10empty_typeENS0_5tupleIJS8_S9_EEENSB_IJS8_SA_EEENS0_18inequality_wrapperIZN2at6native12_GLOBAL__N_124unique_dim_cuda_templateIdEESt5tupleIJNSF_6TensorESK_SK_EERKSK_lbbbEUlllE0_EEPmJS9_EEE10hipError_tPvRmT3_T4_T5_T6_T7_T9_mT8_P12ihipStream_tbDpT10_ENKUlT_T0_E_clISt17integral_constantIbLb0EES1A_EEDaS15_S16_EUlS15_E_NS1_11comp_targetILNS1_3genE10ELNS1_11target_archE1200ELNS1_3gpuE4ELNS1_3repE0EEENS1_30default_config_static_selectorELNS0_4arch9wavefront6targetE0EEEvT1_
	.p2align	8
	.type	_ZN7rocprim17ROCPRIM_400000_NS6detail17trampoline_kernelINS0_14default_configENS1_25partition_config_selectorILNS1_17partition_subalgoE9EllbEEZZNS1_14partition_implILS5_9ELb0ES3_jPlS8_PNS0_10empty_typeENS0_5tupleIJS8_S9_EEENSB_IJS8_SA_EEENS0_18inequality_wrapperIZN2at6native12_GLOBAL__N_124unique_dim_cuda_templateIdEESt5tupleIJNSF_6TensorESK_SK_EERKSK_lbbbEUlllE0_EEPmJS9_EEE10hipError_tPvRmT3_T4_T5_T6_T7_T9_mT8_P12ihipStream_tbDpT10_ENKUlT_T0_E_clISt17integral_constantIbLb0EES1A_EEDaS15_S16_EUlS15_E_NS1_11comp_targetILNS1_3genE10ELNS1_11target_archE1200ELNS1_3gpuE4ELNS1_3repE0EEENS1_30default_config_static_selectorELNS0_4arch9wavefront6targetE0EEEvT1_,@function
_ZN7rocprim17ROCPRIM_400000_NS6detail17trampoline_kernelINS0_14default_configENS1_25partition_config_selectorILNS1_17partition_subalgoE9EllbEEZZNS1_14partition_implILS5_9ELb0ES3_jPlS8_PNS0_10empty_typeENS0_5tupleIJS8_S9_EEENSB_IJS8_SA_EEENS0_18inequality_wrapperIZN2at6native12_GLOBAL__N_124unique_dim_cuda_templateIdEESt5tupleIJNSF_6TensorESK_SK_EERKSK_lbbbEUlllE0_EEPmJS9_EEE10hipError_tPvRmT3_T4_T5_T6_T7_T9_mT8_P12ihipStream_tbDpT10_ENKUlT_T0_E_clISt17integral_constantIbLb0EES1A_EEDaS15_S16_EUlS15_E_NS1_11comp_targetILNS1_3genE10ELNS1_11target_archE1200ELNS1_3gpuE4ELNS1_3repE0EEENS1_30default_config_static_selectorELNS0_4arch9wavefront6targetE0EEEvT1_: ; @_ZN7rocprim17ROCPRIM_400000_NS6detail17trampoline_kernelINS0_14default_configENS1_25partition_config_selectorILNS1_17partition_subalgoE9EllbEEZZNS1_14partition_implILS5_9ELb0ES3_jPlS8_PNS0_10empty_typeENS0_5tupleIJS8_S9_EEENSB_IJS8_SA_EEENS0_18inequality_wrapperIZN2at6native12_GLOBAL__N_124unique_dim_cuda_templateIdEESt5tupleIJNSF_6TensorESK_SK_EERKSK_lbbbEUlllE0_EEPmJS9_EEE10hipError_tPvRmT3_T4_T5_T6_T7_T9_mT8_P12ihipStream_tbDpT10_ENKUlT_T0_E_clISt17integral_constantIbLb0EES1A_EEDaS15_S16_EUlS15_E_NS1_11comp_targetILNS1_3genE10ELNS1_11target_archE1200ELNS1_3gpuE4ELNS1_3repE0EEENS1_30default_config_static_selectorELNS0_4arch9wavefront6targetE0EEEvT1_
; %bb.0:
	.section	.rodata,"a",@progbits
	.p2align	6, 0x0
	.amdhsa_kernel _ZN7rocprim17ROCPRIM_400000_NS6detail17trampoline_kernelINS0_14default_configENS1_25partition_config_selectorILNS1_17partition_subalgoE9EllbEEZZNS1_14partition_implILS5_9ELb0ES3_jPlS8_PNS0_10empty_typeENS0_5tupleIJS8_S9_EEENSB_IJS8_SA_EEENS0_18inequality_wrapperIZN2at6native12_GLOBAL__N_124unique_dim_cuda_templateIdEESt5tupleIJNSF_6TensorESK_SK_EERKSK_lbbbEUlllE0_EEPmJS9_EEE10hipError_tPvRmT3_T4_T5_T6_T7_T9_mT8_P12ihipStream_tbDpT10_ENKUlT_T0_E_clISt17integral_constantIbLb0EES1A_EEDaS15_S16_EUlS15_E_NS1_11comp_targetILNS1_3genE10ELNS1_11target_archE1200ELNS1_3gpuE4ELNS1_3repE0EEENS1_30default_config_static_selectorELNS0_4arch9wavefront6targetE0EEEvT1_
		.amdhsa_group_segment_fixed_size 0
		.amdhsa_private_segment_fixed_size 0
		.amdhsa_kernarg_size 120
		.amdhsa_user_sgpr_count 15
		.amdhsa_user_sgpr_dispatch_ptr 0
		.amdhsa_user_sgpr_queue_ptr 0
		.amdhsa_user_sgpr_kernarg_segment_ptr 1
		.amdhsa_user_sgpr_dispatch_id 0
		.amdhsa_user_sgpr_private_segment_size 0
		.amdhsa_wavefront_size32 1
		.amdhsa_uses_dynamic_stack 0
		.amdhsa_enable_private_segment 0
		.amdhsa_system_sgpr_workgroup_id_x 1
		.amdhsa_system_sgpr_workgroup_id_y 0
		.amdhsa_system_sgpr_workgroup_id_z 0
		.amdhsa_system_sgpr_workgroup_info 0
		.amdhsa_system_vgpr_workitem_id 0
		.amdhsa_next_free_vgpr 1
		.amdhsa_next_free_sgpr 1
		.amdhsa_reserve_vcc 0
		.amdhsa_float_round_mode_32 0
		.amdhsa_float_round_mode_16_64 0
		.amdhsa_float_denorm_mode_32 3
		.amdhsa_float_denorm_mode_16_64 3
		.amdhsa_dx10_clamp 1
		.amdhsa_ieee_mode 1
		.amdhsa_fp16_overflow 0
		.amdhsa_workgroup_processor_mode 1
		.amdhsa_memory_ordered 1
		.amdhsa_forward_progress 0
		.amdhsa_shared_vgpr_count 0
		.amdhsa_exception_fp_ieee_invalid_op 0
		.amdhsa_exception_fp_denorm_src 0
		.amdhsa_exception_fp_ieee_div_zero 0
		.amdhsa_exception_fp_ieee_overflow 0
		.amdhsa_exception_fp_ieee_underflow 0
		.amdhsa_exception_fp_ieee_inexact 0
		.amdhsa_exception_int_div_zero 0
	.end_amdhsa_kernel
	.section	.text._ZN7rocprim17ROCPRIM_400000_NS6detail17trampoline_kernelINS0_14default_configENS1_25partition_config_selectorILNS1_17partition_subalgoE9EllbEEZZNS1_14partition_implILS5_9ELb0ES3_jPlS8_PNS0_10empty_typeENS0_5tupleIJS8_S9_EEENSB_IJS8_SA_EEENS0_18inequality_wrapperIZN2at6native12_GLOBAL__N_124unique_dim_cuda_templateIdEESt5tupleIJNSF_6TensorESK_SK_EERKSK_lbbbEUlllE0_EEPmJS9_EEE10hipError_tPvRmT3_T4_T5_T6_T7_T9_mT8_P12ihipStream_tbDpT10_ENKUlT_T0_E_clISt17integral_constantIbLb0EES1A_EEDaS15_S16_EUlS15_E_NS1_11comp_targetILNS1_3genE10ELNS1_11target_archE1200ELNS1_3gpuE4ELNS1_3repE0EEENS1_30default_config_static_selectorELNS0_4arch9wavefront6targetE0EEEvT1_,"axG",@progbits,_ZN7rocprim17ROCPRIM_400000_NS6detail17trampoline_kernelINS0_14default_configENS1_25partition_config_selectorILNS1_17partition_subalgoE9EllbEEZZNS1_14partition_implILS5_9ELb0ES3_jPlS8_PNS0_10empty_typeENS0_5tupleIJS8_S9_EEENSB_IJS8_SA_EEENS0_18inequality_wrapperIZN2at6native12_GLOBAL__N_124unique_dim_cuda_templateIdEESt5tupleIJNSF_6TensorESK_SK_EERKSK_lbbbEUlllE0_EEPmJS9_EEE10hipError_tPvRmT3_T4_T5_T6_T7_T9_mT8_P12ihipStream_tbDpT10_ENKUlT_T0_E_clISt17integral_constantIbLb0EES1A_EEDaS15_S16_EUlS15_E_NS1_11comp_targetILNS1_3genE10ELNS1_11target_archE1200ELNS1_3gpuE4ELNS1_3repE0EEENS1_30default_config_static_selectorELNS0_4arch9wavefront6targetE0EEEvT1_,comdat
.Lfunc_end844:
	.size	_ZN7rocprim17ROCPRIM_400000_NS6detail17trampoline_kernelINS0_14default_configENS1_25partition_config_selectorILNS1_17partition_subalgoE9EllbEEZZNS1_14partition_implILS5_9ELb0ES3_jPlS8_PNS0_10empty_typeENS0_5tupleIJS8_S9_EEENSB_IJS8_SA_EEENS0_18inequality_wrapperIZN2at6native12_GLOBAL__N_124unique_dim_cuda_templateIdEESt5tupleIJNSF_6TensorESK_SK_EERKSK_lbbbEUlllE0_EEPmJS9_EEE10hipError_tPvRmT3_T4_T5_T6_T7_T9_mT8_P12ihipStream_tbDpT10_ENKUlT_T0_E_clISt17integral_constantIbLb0EES1A_EEDaS15_S16_EUlS15_E_NS1_11comp_targetILNS1_3genE10ELNS1_11target_archE1200ELNS1_3gpuE4ELNS1_3repE0EEENS1_30default_config_static_selectorELNS0_4arch9wavefront6targetE0EEEvT1_, .Lfunc_end844-_ZN7rocprim17ROCPRIM_400000_NS6detail17trampoline_kernelINS0_14default_configENS1_25partition_config_selectorILNS1_17partition_subalgoE9EllbEEZZNS1_14partition_implILS5_9ELb0ES3_jPlS8_PNS0_10empty_typeENS0_5tupleIJS8_S9_EEENSB_IJS8_SA_EEENS0_18inequality_wrapperIZN2at6native12_GLOBAL__N_124unique_dim_cuda_templateIdEESt5tupleIJNSF_6TensorESK_SK_EERKSK_lbbbEUlllE0_EEPmJS9_EEE10hipError_tPvRmT3_T4_T5_T6_T7_T9_mT8_P12ihipStream_tbDpT10_ENKUlT_T0_E_clISt17integral_constantIbLb0EES1A_EEDaS15_S16_EUlS15_E_NS1_11comp_targetILNS1_3genE10ELNS1_11target_archE1200ELNS1_3gpuE4ELNS1_3repE0EEENS1_30default_config_static_selectorELNS0_4arch9wavefront6targetE0EEEvT1_
                                        ; -- End function
	.section	.AMDGPU.csdata,"",@progbits
; Kernel info:
; codeLenInByte = 0
; NumSgprs: 0
; NumVgprs: 0
; ScratchSize: 0
; MemoryBound: 0
; FloatMode: 240
; IeeeMode: 1
; LDSByteSize: 0 bytes/workgroup (compile time only)
; SGPRBlocks: 0
; VGPRBlocks: 0
; NumSGPRsForWavesPerEU: 1
; NumVGPRsForWavesPerEU: 1
; Occupancy: 15
; WaveLimiterHint : 0
; COMPUTE_PGM_RSRC2:SCRATCH_EN: 0
; COMPUTE_PGM_RSRC2:USER_SGPR: 15
; COMPUTE_PGM_RSRC2:TRAP_HANDLER: 0
; COMPUTE_PGM_RSRC2:TGID_X_EN: 1
; COMPUTE_PGM_RSRC2:TGID_Y_EN: 0
; COMPUTE_PGM_RSRC2:TGID_Z_EN: 0
; COMPUTE_PGM_RSRC2:TIDIG_COMP_CNT: 0
	.section	.text._ZN7rocprim17ROCPRIM_400000_NS6detail17trampoline_kernelINS0_14default_configENS1_25partition_config_selectorILNS1_17partition_subalgoE9EllbEEZZNS1_14partition_implILS5_9ELb0ES3_jPlS8_PNS0_10empty_typeENS0_5tupleIJS8_S9_EEENSB_IJS8_SA_EEENS0_18inequality_wrapperIZN2at6native12_GLOBAL__N_124unique_dim_cuda_templateIdEESt5tupleIJNSF_6TensorESK_SK_EERKSK_lbbbEUlllE0_EEPmJS9_EEE10hipError_tPvRmT3_T4_T5_T6_T7_T9_mT8_P12ihipStream_tbDpT10_ENKUlT_T0_E_clISt17integral_constantIbLb0EES1A_EEDaS15_S16_EUlS15_E_NS1_11comp_targetILNS1_3genE9ELNS1_11target_archE1100ELNS1_3gpuE3ELNS1_3repE0EEENS1_30default_config_static_selectorELNS0_4arch9wavefront6targetE0EEEvT1_,"axG",@progbits,_ZN7rocprim17ROCPRIM_400000_NS6detail17trampoline_kernelINS0_14default_configENS1_25partition_config_selectorILNS1_17partition_subalgoE9EllbEEZZNS1_14partition_implILS5_9ELb0ES3_jPlS8_PNS0_10empty_typeENS0_5tupleIJS8_S9_EEENSB_IJS8_SA_EEENS0_18inequality_wrapperIZN2at6native12_GLOBAL__N_124unique_dim_cuda_templateIdEESt5tupleIJNSF_6TensorESK_SK_EERKSK_lbbbEUlllE0_EEPmJS9_EEE10hipError_tPvRmT3_T4_T5_T6_T7_T9_mT8_P12ihipStream_tbDpT10_ENKUlT_T0_E_clISt17integral_constantIbLb0EES1A_EEDaS15_S16_EUlS15_E_NS1_11comp_targetILNS1_3genE9ELNS1_11target_archE1100ELNS1_3gpuE3ELNS1_3repE0EEENS1_30default_config_static_selectorELNS0_4arch9wavefront6targetE0EEEvT1_,comdat
	.globl	_ZN7rocprim17ROCPRIM_400000_NS6detail17trampoline_kernelINS0_14default_configENS1_25partition_config_selectorILNS1_17partition_subalgoE9EllbEEZZNS1_14partition_implILS5_9ELb0ES3_jPlS8_PNS0_10empty_typeENS0_5tupleIJS8_S9_EEENSB_IJS8_SA_EEENS0_18inequality_wrapperIZN2at6native12_GLOBAL__N_124unique_dim_cuda_templateIdEESt5tupleIJNSF_6TensorESK_SK_EERKSK_lbbbEUlllE0_EEPmJS9_EEE10hipError_tPvRmT3_T4_T5_T6_T7_T9_mT8_P12ihipStream_tbDpT10_ENKUlT_T0_E_clISt17integral_constantIbLb0EES1A_EEDaS15_S16_EUlS15_E_NS1_11comp_targetILNS1_3genE9ELNS1_11target_archE1100ELNS1_3gpuE3ELNS1_3repE0EEENS1_30default_config_static_selectorELNS0_4arch9wavefront6targetE0EEEvT1_ ; -- Begin function _ZN7rocprim17ROCPRIM_400000_NS6detail17trampoline_kernelINS0_14default_configENS1_25partition_config_selectorILNS1_17partition_subalgoE9EllbEEZZNS1_14partition_implILS5_9ELb0ES3_jPlS8_PNS0_10empty_typeENS0_5tupleIJS8_S9_EEENSB_IJS8_SA_EEENS0_18inequality_wrapperIZN2at6native12_GLOBAL__N_124unique_dim_cuda_templateIdEESt5tupleIJNSF_6TensorESK_SK_EERKSK_lbbbEUlllE0_EEPmJS9_EEE10hipError_tPvRmT3_T4_T5_T6_T7_T9_mT8_P12ihipStream_tbDpT10_ENKUlT_T0_E_clISt17integral_constantIbLb0EES1A_EEDaS15_S16_EUlS15_E_NS1_11comp_targetILNS1_3genE9ELNS1_11target_archE1100ELNS1_3gpuE3ELNS1_3repE0EEENS1_30default_config_static_selectorELNS0_4arch9wavefront6targetE0EEEvT1_
	.p2align	8
	.type	_ZN7rocprim17ROCPRIM_400000_NS6detail17trampoline_kernelINS0_14default_configENS1_25partition_config_selectorILNS1_17partition_subalgoE9EllbEEZZNS1_14partition_implILS5_9ELb0ES3_jPlS8_PNS0_10empty_typeENS0_5tupleIJS8_S9_EEENSB_IJS8_SA_EEENS0_18inequality_wrapperIZN2at6native12_GLOBAL__N_124unique_dim_cuda_templateIdEESt5tupleIJNSF_6TensorESK_SK_EERKSK_lbbbEUlllE0_EEPmJS9_EEE10hipError_tPvRmT3_T4_T5_T6_T7_T9_mT8_P12ihipStream_tbDpT10_ENKUlT_T0_E_clISt17integral_constantIbLb0EES1A_EEDaS15_S16_EUlS15_E_NS1_11comp_targetILNS1_3genE9ELNS1_11target_archE1100ELNS1_3gpuE3ELNS1_3repE0EEENS1_30default_config_static_selectorELNS0_4arch9wavefront6targetE0EEEvT1_,@function
_ZN7rocprim17ROCPRIM_400000_NS6detail17trampoline_kernelINS0_14default_configENS1_25partition_config_selectorILNS1_17partition_subalgoE9EllbEEZZNS1_14partition_implILS5_9ELb0ES3_jPlS8_PNS0_10empty_typeENS0_5tupleIJS8_S9_EEENSB_IJS8_SA_EEENS0_18inequality_wrapperIZN2at6native12_GLOBAL__N_124unique_dim_cuda_templateIdEESt5tupleIJNSF_6TensorESK_SK_EERKSK_lbbbEUlllE0_EEPmJS9_EEE10hipError_tPvRmT3_T4_T5_T6_T7_T9_mT8_P12ihipStream_tbDpT10_ENKUlT_T0_E_clISt17integral_constantIbLb0EES1A_EEDaS15_S16_EUlS15_E_NS1_11comp_targetILNS1_3genE9ELNS1_11target_archE1100ELNS1_3gpuE3ELNS1_3repE0EEENS1_30default_config_static_selectorELNS0_4arch9wavefront6targetE0EEEvT1_: ; @_ZN7rocprim17ROCPRIM_400000_NS6detail17trampoline_kernelINS0_14default_configENS1_25partition_config_selectorILNS1_17partition_subalgoE9EllbEEZZNS1_14partition_implILS5_9ELb0ES3_jPlS8_PNS0_10empty_typeENS0_5tupleIJS8_S9_EEENSB_IJS8_SA_EEENS0_18inequality_wrapperIZN2at6native12_GLOBAL__N_124unique_dim_cuda_templateIdEESt5tupleIJNSF_6TensorESK_SK_EERKSK_lbbbEUlllE0_EEPmJS9_EEE10hipError_tPvRmT3_T4_T5_T6_T7_T9_mT8_P12ihipStream_tbDpT10_ENKUlT_T0_E_clISt17integral_constantIbLb0EES1A_EEDaS15_S16_EUlS15_E_NS1_11comp_targetILNS1_3genE9ELNS1_11target_archE1100ELNS1_3gpuE3ELNS1_3repE0EEENS1_30default_config_static_selectorELNS0_4arch9wavefront6targetE0EEEvT1_
; %bb.0:
	s_clause 0x3
	s_load_b128 s[4:7], s[0:1], 0x8
	s_load_b32 s8, s[0:1], 0x70
	s_load_b256 s[16:23], s[0:1], 0x40
	s_load_b64 s[24:25], s[0:1], 0x18
	s_mov_b32 s3, 0
	v_lshlrev_b32_e32 v55, 3, v0
	v_lshrrev_b32_e32 v33, 2, v0
	v_or_b32_e32 v38, 0x200, v0
	v_or_b32_e32 v36, 0x400, v0
	;; [unrolled: 1-line block ×7, first 2 shown]
	s_waitcnt lgkmcnt(0)
	s_lshl_b64 s[26:27], s[6:7], 3
	s_delay_alu instid0(SALU_CYCLE_1)
	s_add_u32 s9, s4, s26
	s_addc_u32 s10, s5, s27
	s_add_i32 s11, s8, -1
	s_load_b64 s[12:13], s[18:19], 0x0
	s_lshl_b32 s4, s11, 12
	s_lshl_b32 s5, s8, 12
	s_add_i32 s4, s6, s4
	s_lshl_b32 s2, s15, 12
	s_sub_i32 s28, s20, s4
	s_add_u32 s4, s6, s5
	s_addc_u32 s5, s7, 0
	s_cmp_eq_u32 s15, s11
	v_cmp_ge_u64_e64 s4, s[4:5], s[20:21]
	s_cselect_b32 s14, -1, 0
	s_lshl_b64 s[18:19], s[2:3], 3
	s_mov_b32 s3, -1
	s_delay_alu instid0(VALU_DEP_1) | instskip(NEXT) | instid1(SALU_CYCLE_1)
	s_and_b32 s21, s14, s4
	s_xor_b32 s20, s21, -1
	s_add_u32 s4, s9, s18
	s_addc_u32 s5, s10, s19
	s_and_b32 vcc_lo, exec_lo, s20
	s_cbranch_vccz .LBB845_2
; %bb.1:
	v_add_co_u32 v9, s2, s4, v55
	s_delay_alu instid0(VALU_DEP_1)
	v_add_co_ci_u32_e64 v10, null, s5, 0, s2
	global_load_b64 v[1:2], v55, s[4:5]
	v_add_co_u32 v3, vcc_lo, v9, 0x2000
	v_add_co_ci_u32_e32 v4, vcc_lo, 0, v10, vcc_lo
	v_add_co_u32 v5, vcc_lo, v9, 0x4000
	v_add_co_ci_u32_e32 v6, vcc_lo, 0, v10, vcc_lo
	;; [unrolled: 2-line block ×4, first 2 shown]
	s_clause 0x6
	global_load_b64 v[11:12], v[3:4], off offset:-4096
	global_load_b64 v[3:4], v[3:4], off
	global_load_b64 v[13:14], v[5:6], off offset:-4096
	global_load_b64 v[5:6], v[5:6], off
	;; [unrolled: 2-line block ×3, first 2 shown]
	global_load_b64 v[9:10], v[9:10], off
	v_lshrrev_b32_e32 v18, 2, v38
	v_lshrrev_b32_e32 v19, 2, v36
	;; [unrolled: 1-line block ×4, first 2 shown]
	v_and_b32_e32 v17, 0x78, v33
	v_lshrrev_b32_e32 v22, 2, v37
	v_lshrrev_b32_e32 v23, 2, v34
	;; [unrolled: 1-line block ×3, first 2 shown]
	v_and_b32_e32 v18, 0xf8, v18
	v_and_b32_e32 v19, 0x178, v19
	;; [unrolled: 1-line block ×4, first 2 shown]
	v_add_nc_u32_e32 v17, v17, v55
	v_and_b32_e32 v22, 0x2f8, v22
	v_and_b32_e32 v23, 0x378, v23
	;; [unrolled: 1-line block ×3, first 2 shown]
	v_add_nc_u32_e32 v18, v18, v55
	v_add_nc_u32_e32 v19, v19, v55
	;; [unrolled: 1-line block ×4, first 2 shown]
	s_mov_b32 s3, 0
	v_add_nc_u32_e32 v22, v22, v55
	v_add_nc_u32_e32 v23, v23, v55
	;; [unrolled: 1-line block ×3, first 2 shown]
	s_waitcnt vmcnt(7)
	ds_store_b64 v17, v[1:2]
	s_waitcnt vmcnt(6)
	ds_store_b64 v18, v[11:12] offset:4096
	s_waitcnt vmcnt(5)
	ds_store_b64 v19, v[3:4] offset:8192
	;; [unrolled: 2-line block ×7, first 2 shown]
	s_waitcnt lgkmcnt(0)
	s_barrier
.LBB845_2:
	s_load_b128 s[8:11], s[0:1], 0x60
	v_cmp_gt_u32_e64 s2, s28, v0
	s_and_not1_b32 vcc_lo, exec_lo, s3
	s_cbranch_vccnz .LBB845_20
; %bb.3:
                                        ; implicit-def: $vgpr1_vgpr2_vgpr3_vgpr4_vgpr5_vgpr6_vgpr7_vgpr8_vgpr9_vgpr10_vgpr11_vgpr12_vgpr13_vgpr14_vgpr15_vgpr16
	s_delay_alu instid0(VALU_DEP_1)
	s_and_saveexec_b32 s3, s2
	s_cbranch_execz .LBB845_11
; %bb.4:
	global_load_b64 v[1:2], v55, s[4:5]
	s_or_b32 exec_lo, exec_lo, s3
	s_delay_alu instid0(SALU_CYCLE_1)
	s_mov_b32 s2, exec_lo
	v_cmpx_gt_u32_e64 s28, v38
	s_cbranch_execnz .LBB845_12
.LBB845_5:
	s_or_b32 exec_lo, exec_lo, s2
	s_delay_alu instid0(SALU_CYCLE_1)
	s_mov_b32 s2, exec_lo
	v_cmpx_gt_u32_e64 s28, v36
	s_cbranch_execz .LBB845_13
.LBB845_6:
	v_lshlrev_b32_e32 v5, 3, v36
	global_load_b64 v[5:6], v5, s[4:5]
	s_or_b32 exec_lo, exec_lo, s2
	s_delay_alu instid0(SALU_CYCLE_1)
	s_mov_b32 s2, exec_lo
	v_cmpx_gt_u32_e64 s28, v40
	s_cbranch_execnz .LBB845_14
.LBB845_7:
	s_or_b32 exec_lo, exec_lo, s2
	s_delay_alu instid0(SALU_CYCLE_1)
	s_mov_b32 s2, exec_lo
	v_cmpx_gt_u32_e64 s28, v39
	s_cbranch_execz .LBB845_15
.LBB845_8:
	v_lshlrev_b32_e32 v9, 3, v39
	global_load_b64 v[9:10], v9, s[4:5]
	s_or_b32 exec_lo, exec_lo, s2
	s_delay_alu instid0(SALU_CYCLE_1)
	s_mov_b32 s2, exec_lo
	v_cmpx_gt_u32_e64 s28, v37
	s_cbranch_execnz .LBB845_16
.LBB845_9:
	s_or_b32 exec_lo, exec_lo, s2
	s_delay_alu instid0(SALU_CYCLE_1)
	s_mov_b32 s2, exec_lo
	v_cmpx_gt_u32_e64 s28, v34
	s_cbranch_execz .LBB845_17
.LBB845_10:
	v_lshlrev_b32_e32 v13, 3, v34
	global_load_b64 v[13:14], v13, s[4:5]
	s_or_b32 exec_lo, exec_lo, s2
	s_delay_alu instid0(SALU_CYCLE_1)
	s_mov_b32 s2, exec_lo
	v_cmpx_gt_u32_e64 s28, v35
	s_cbranch_execnz .LBB845_18
	s_branch .LBB845_19
.LBB845_11:
	s_or_b32 exec_lo, exec_lo, s3
	s_delay_alu instid0(SALU_CYCLE_1)
	s_mov_b32 s2, exec_lo
	v_cmpx_gt_u32_e64 s28, v38
	s_cbranch_execz .LBB845_5
.LBB845_12:
	v_lshlrev_b32_e32 v3, 3, v38
	global_load_b64 v[3:4], v3, s[4:5]
	s_or_b32 exec_lo, exec_lo, s2
	s_delay_alu instid0(SALU_CYCLE_1)
	s_mov_b32 s2, exec_lo
	v_cmpx_gt_u32_e64 s28, v36
	s_cbranch_execnz .LBB845_6
.LBB845_13:
	s_or_b32 exec_lo, exec_lo, s2
	s_delay_alu instid0(SALU_CYCLE_1)
	s_mov_b32 s2, exec_lo
	v_cmpx_gt_u32_e64 s28, v40
	s_cbranch_execz .LBB845_7
.LBB845_14:
	v_lshlrev_b32_e32 v7, 3, v40
	global_load_b64 v[7:8], v7, s[4:5]
	s_or_b32 exec_lo, exec_lo, s2
	s_delay_alu instid0(SALU_CYCLE_1)
	s_mov_b32 s2, exec_lo
	v_cmpx_gt_u32_e64 s28, v39
	s_cbranch_execnz .LBB845_8
.LBB845_15:
	s_or_b32 exec_lo, exec_lo, s2
	s_delay_alu instid0(SALU_CYCLE_1)
	s_mov_b32 s2, exec_lo
	v_cmpx_gt_u32_e64 s28, v37
	s_cbranch_execz .LBB845_9
.LBB845_16:
	v_lshlrev_b32_e32 v11, 3, v37
	global_load_b64 v[11:12], v11, s[4:5]
	s_or_b32 exec_lo, exec_lo, s2
	s_delay_alu instid0(SALU_CYCLE_1)
	s_mov_b32 s2, exec_lo
	v_cmpx_gt_u32_e64 s28, v34
	s_cbranch_execnz .LBB845_10
.LBB845_17:
	s_or_b32 exec_lo, exec_lo, s2
	s_delay_alu instid0(SALU_CYCLE_1)
	s_mov_b32 s2, exec_lo
	v_cmpx_gt_u32_e64 s28, v35
	s_cbranch_execz .LBB845_19
.LBB845_18:
	v_lshlrev_b32_e32 v15, 3, v35
	global_load_b64 v[15:16], v15, s[4:5]
.LBB845_19:
	s_or_b32 exec_lo, exec_lo, s2
	v_lshrrev_b32_e32 v17, 2, v38
	v_lshrrev_b32_e32 v18, 2, v36
	;; [unrolled: 1-line block ×4, first 2 shown]
	v_and_b32_e32 v19, 0x78, v33
	v_lshrrev_b32_e32 v22, 2, v37
	v_lshrrev_b32_e32 v23, 2, v34
	;; [unrolled: 1-line block ×3, first 2 shown]
	v_and_b32_e32 v17, 0xf8, v17
	v_and_b32_e32 v18, 0x1f8, v18
	;; [unrolled: 1-line block ×4, first 2 shown]
	v_add_nc_u32_e32 v19, v19, v55
	v_and_b32_e32 v22, 0x3f8, v22
	v_and_b32_e32 v23, 0x3f8, v23
	;; [unrolled: 1-line block ×3, first 2 shown]
	v_add_nc_u32_e32 v17, v17, v55
	v_add_nc_u32_e32 v18, v18, v55
	v_add_nc_u32_e32 v20, v20, v55
	v_add_nc_u32_e32 v21, v21, v55
	v_add_nc_u32_e32 v22, v22, v55
	v_add_nc_u32_e32 v23, v23, v55
	v_add_nc_u32_e32 v24, v24, v55
	s_waitcnt vmcnt(0)
	ds_store_b64 v19, v[1:2]
	ds_store_b64 v17, v[3:4] offset:4096
	ds_store_b64 v18, v[5:6] offset:8192
	;; [unrolled: 1-line block ×7, first 2 shown]
	s_waitcnt lgkmcnt(0)
	s_barrier
.LBB845_20:
	v_add_lshl_u32 v41, v33, v55, 3
	s_waitcnt lgkmcnt(0)
	buffer_gl0_inv
	s_add_u32 s2, s24, s26
	s_addc_u32 s3, s25, s27
	s_add_u32 s2, s2, s18
	ds_load_2addr_b64 v[29:32], v41 offset1:1
	ds_load_2addr_b64 v[25:28], v41 offset0:2 offset1:3
	ds_load_2addr_b64 v[21:24], v41 offset0:4 offset1:5
	;; [unrolled: 1-line block ×3, first 2 shown]
	s_addc_u32 s3, s3, s19
	s_and_b32 vcc_lo, exec_lo, s20
	s_mov_b32 s18, -1
	s_waitcnt lgkmcnt(0)
	s_barrier
	buffer_gl0_inv
	s_cbranch_vccz .LBB845_22
; %bb.21:
	v_add_co_u32 v9, s18, s2, v55
	s_delay_alu instid0(VALU_DEP_1)
	v_add_co_ci_u32_e64 v10, null, s3, 0, s18
	global_load_b64 v[1:2], v55, s[2:3]
	v_add_co_u32 v3, vcc_lo, v9, 0x2000
	v_add_co_ci_u32_e32 v4, vcc_lo, 0, v10, vcc_lo
	v_add_co_u32 v5, vcc_lo, v9, 0x4000
	v_add_co_ci_u32_e32 v6, vcc_lo, 0, v10, vcc_lo
	;; [unrolled: 2-line block ×4, first 2 shown]
	s_clause 0x6
	global_load_b64 v[11:12], v[3:4], off offset:-4096
	global_load_b64 v[3:4], v[3:4], off
	global_load_b64 v[13:14], v[5:6], off offset:-4096
	global_load_b64 v[5:6], v[5:6], off
	global_load_b64 v[15:16], v[7:8], off offset:-4096
	global_load_b64 v[7:8], v[7:8], off
	global_load_b64 v[9:10], v[9:10], off
	v_lshrrev_b32_e32 v43, 2, v38
	v_lshrrev_b32_e32 v44, 2, v36
	;; [unrolled: 1-line block ×4, first 2 shown]
	v_and_b32_e32 v42, 0x78, v33
	v_lshrrev_b32_e32 v47, 2, v37
	v_lshrrev_b32_e32 v48, 2, v34
	;; [unrolled: 1-line block ×3, first 2 shown]
	v_and_b32_e32 v43, 0xf8, v43
	v_and_b32_e32 v44, 0x178, v44
	;; [unrolled: 1-line block ×4, first 2 shown]
	v_add_nc_u32_e32 v42, v42, v55
	v_and_b32_e32 v47, 0x2f8, v47
	v_and_b32_e32 v48, 0x378, v48
	;; [unrolled: 1-line block ×3, first 2 shown]
	v_add_nc_u32_e32 v43, v43, v55
	v_add_nc_u32_e32 v44, v44, v55
	;; [unrolled: 1-line block ×4, first 2 shown]
	s_mov_b32 s18, 0
	v_add_nc_u32_e32 v47, v47, v55
	v_add_nc_u32_e32 v48, v48, v55
	;; [unrolled: 1-line block ×3, first 2 shown]
	s_waitcnt vmcnt(7)
	ds_store_b64 v42, v[1:2]
	s_waitcnt vmcnt(6)
	ds_store_b64 v43, v[11:12] offset:4096
	s_waitcnt vmcnt(5)
	ds_store_b64 v44, v[3:4] offset:8192
	;; [unrolled: 2-line block ×7, first 2 shown]
	s_waitcnt lgkmcnt(0)
	s_barrier
.LBB845_22:
	s_and_not1_b32 vcc_lo, exec_lo, s18
	s_cbranch_vccnz .LBB845_40
; %bb.23:
	s_mov_b32 s18, exec_lo
                                        ; implicit-def: $vgpr1_vgpr2
	v_cmpx_gt_u32_e64 s28, v0
	s_cbranch_execz .LBB845_25
; %bb.24:
	global_load_b64 v[1:2], v55, s[2:3]
.LBB845_25:
	s_or_b32 exec_lo, exec_lo, s18
	s_delay_alu instid0(SALU_CYCLE_1)
	s_mov_b32 s18, exec_lo
                                        ; implicit-def: $vgpr3_vgpr4
	v_cmpx_gt_u32_e64 s28, v38
	s_cbranch_execz .LBB845_27
; %bb.26:
	v_lshlrev_b32_e32 v3, 3, v38
	global_load_b64 v[3:4], v3, s[2:3]
.LBB845_27:
	s_or_b32 exec_lo, exec_lo, s18
	s_delay_alu instid0(SALU_CYCLE_1)
	s_mov_b32 s18, exec_lo
                                        ; implicit-def: $vgpr5_vgpr6
	v_cmpx_gt_u32_e64 s28, v36
	s_cbranch_execz .LBB845_29
; %bb.28:
	v_lshlrev_b32_e32 v5, 3, v36
	global_load_b64 v[5:6], v5, s[2:3]
.LBB845_29:
	s_or_b32 exec_lo, exec_lo, s18
	s_delay_alu instid0(SALU_CYCLE_1)
	s_mov_b32 s18, exec_lo
                                        ; implicit-def: $vgpr7_vgpr8
	v_cmpx_gt_u32_e64 s28, v40
	s_cbranch_execz .LBB845_31
; %bb.30:
	v_lshlrev_b32_e32 v7, 3, v40
	global_load_b64 v[7:8], v7, s[2:3]
.LBB845_31:
	s_or_b32 exec_lo, exec_lo, s18
	s_delay_alu instid0(SALU_CYCLE_1)
	s_mov_b32 s18, exec_lo
                                        ; implicit-def: $vgpr9_vgpr10
	v_cmpx_gt_u32_e64 s28, v39
	s_cbranch_execz .LBB845_33
; %bb.32:
	v_lshlrev_b32_e32 v9, 3, v39
	global_load_b64 v[9:10], v9, s[2:3]
.LBB845_33:
	s_or_b32 exec_lo, exec_lo, s18
	s_delay_alu instid0(SALU_CYCLE_1)
	s_mov_b32 s18, exec_lo
                                        ; implicit-def: $vgpr11_vgpr12
	v_cmpx_gt_u32_e64 s28, v37
	s_cbranch_execz .LBB845_35
; %bb.34:
	v_lshlrev_b32_e32 v11, 3, v37
	global_load_b64 v[11:12], v11, s[2:3]
.LBB845_35:
	s_or_b32 exec_lo, exec_lo, s18
	s_delay_alu instid0(SALU_CYCLE_1)
	s_mov_b32 s18, exec_lo
                                        ; implicit-def: $vgpr13_vgpr14
	v_cmpx_gt_u32_e64 s28, v34
	s_cbranch_execz .LBB845_37
; %bb.36:
	v_lshlrev_b32_e32 v13, 3, v34
	global_load_b64 v[13:14], v13, s[2:3]
.LBB845_37:
	s_or_b32 exec_lo, exec_lo, s18
	s_delay_alu instid0(SALU_CYCLE_1)
	s_mov_b32 s18, exec_lo
                                        ; implicit-def: $vgpr15_vgpr16
	v_cmpx_gt_u32_e64 s28, v35
	s_cbranch_execz .LBB845_39
; %bb.38:
	v_lshlrev_b32_e32 v15, 3, v35
	global_load_b64 v[15:16], v15, s[2:3]
.LBB845_39:
	s_or_b32 exec_lo, exec_lo, s18
	v_lshrrev_b32_e32 v38, 2, v38
	v_lshrrev_b32_e32 v36, 2, v36
	;; [unrolled: 1-line block ×4, first 2 shown]
	v_and_b32_e32 v33, 0x78, v33
	v_lshrrev_b32_e32 v37, 2, v37
	v_lshrrev_b32_e32 v34, 2, v34
	;; [unrolled: 1-line block ×3, first 2 shown]
	v_and_b32_e32 v38, 0xf8, v38
	v_and_b32_e32 v36, 0x1f8, v36
	;; [unrolled: 1-line block ×4, first 2 shown]
	v_add_nc_u32_e32 v33, v33, v55
	v_and_b32_e32 v37, 0x3f8, v37
	v_and_b32_e32 v34, 0x3f8, v34
	;; [unrolled: 1-line block ×3, first 2 shown]
	v_add_nc_u32_e32 v38, v38, v55
	v_add_nc_u32_e32 v36, v36, v55
	;; [unrolled: 1-line block ×7, first 2 shown]
	s_waitcnt vmcnt(0)
	ds_store_b64 v33, v[1:2]
	ds_store_b64 v38, v[3:4] offset:4096
	ds_store_b64 v36, v[5:6] offset:8192
	ds_store_b64 v40, v[7:8] offset:12288
	ds_store_b64 v39, v[9:10] offset:16384
	ds_store_b64 v37, v[11:12] offset:20480
	ds_store_b64 v34, v[13:14] offset:24576
	ds_store_b64 v35, v[15:16] offset:28672
	s_waitcnt lgkmcnt(0)
	s_barrier
.LBB845_40:
	buffer_gl0_inv
	ds_load_2addr_b64 v[13:16], v41 offset1:1
	ds_load_2addr_b64 v[9:12], v41 offset0:2 offset1:3
	ds_load_2addr_b64 v[5:8], v41 offset0:4 offset1:5
	;; [unrolled: 1-line block ×3, first 2 shown]
	s_cmp_lg_u32 s15, 0
	v_cmp_gt_i64_e64 s25, s[22:23], 0
	s_cselect_b32 s24, -1, 0
	s_cmp_lg_u64 s[6:7], 0
	s_mov_b32 s3, 0
	s_cselect_b32 s2, -1, 0
	s_waitcnt lgkmcnt(0)
	s_or_b32 s2, s24, s2
	s_barrier
	s_and_b32 vcc_lo, exec_lo, s2
	buffer_gl0_inv
	s_cbranch_vccz .LBB845_49
; %bb.41:
	s_add_u32 s2, s4, -8
	s_addc_u32 s3, s5, -1
	v_cndmask_b32_e64 v41, 0, 1, s25
	s_load_b64 s[4:5], s[2:3], 0x0
	s_and_b32 vcc_lo, exec_lo, s20
	ds_store_b64 v55, v[19:20]
	v_cmp_ne_u32_e64 s2, 1, v41
	s_cbranch_vccz .LBB845_50
; %bb.42:
	v_mul_lo_u32 v35, v18, s22
	v_mul_lo_u32 v36, v17, s23
	v_mad_u64_u32 v[33:34], null, v17, s22, 0
	s_mov_b32 s3, 0
	s_and_b32 vcc_lo, exec_lo, s2
	s_mov_b32 s26, 0
	s_delay_alu instid0(VALU_DEP_1) | instskip(NEXT) | instid1(VALU_DEP_1)
	v_add3_u32 v34, v34, v36, v35
	v_lshlrev_b64 v[33:34], 3, v[33:34]
	s_cbranch_vccnz .LBB845_53
; %bb.43:
	v_mul_lo_u32 v37, v20, s22
	v_mul_lo_u32 v38, v19, s23
	v_mad_u64_u32 v[35:36], null, v19, s22, 0
	s_mov_b32 s26, -1
	s_mov_b32 s27, exec_lo
	s_delay_alu instid0(VALU_DEP_1) | instskip(SKIP_2) | instid1(VALU_DEP_3)
	v_add3_u32 v36, v36, v38, v37
	v_add_co_u32 v37, vcc_lo, s8, v33
	v_add_co_ci_u32_e32 v38, vcc_lo, s9, v34, vcc_lo
	v_lshlrev_b64 v[35:36], 3, v[35:36]
	s_delay_alu instid0(VALU_DEP_1) | instskip(NEXT) | instid1(VALU_DEP_2)
	v_add_co_u32 v35, vcc_lo, s8, v35
	v_add_co_ci_u32_e32 v36, vcc_lo, s9, v36, vcc_lo
	s_clause 0x1
	global_load_b64 v[39:40], v[37:38], off
	global_load_b64 v[42:43], v[35:36], off
	s_waitcnt vmcnt(0)
	v_cmpx_eq_f64_e32 v[39:40], v[42:43]
	s_cbranch_execz .LBB845_52
; %bb.44:
	v_add_co_u32 v35, vcc_lo, v35, 8
	v_add_co_ci_u32_e32 v36, vcc_lo, 0, v36, vcc_lo
	v_add_co_u32 v37, vcc_lo, v37, 8
	v_add_co_ci_u32_e32 v38, vcc_lo, 0, v38, vcc_lo
	s_add_u32 s6, s22, -1
	s_addc_u32 s7, s23, -1
	s_mov_b64 s[18:19], 0
	s_mov_b32 s26, 0
                                        ; implicit-def: $sgpr29
	s_set_inst_prefetch_distance 0x1
	s_branch .LBB845_47
	.p2align	6
.LBB845_45:                             ;   in Loop: Header=BB845_47 Depth=1
	global_load_b64 v[39:40], v[37:38], off
	global_load_b64 v[42:43], v[35:36], off
	v_add_co_u32 v35, s2, v35, 8
	s_delay_alu instid0(VALU_DEP_1) | instskip(SKIP_1) | instid1(VALU_DEP_1)
	v_add_co_ci_u32_e64 v36, s2, 0, v36, s2
	v_add_co_u32 v37, s2, v37, 8
	v_add_co_ci_u32_e64 v38, s2, 0, v38, s2
	s_add_u32 s18, s18, 1
	s_addc_u32 s19, s19, 0
	s_and_not1_b32 s2, s29, exec_lo
	s_waitcnt vmcnt(0)
	v_cmp_neq_f64_e32 vcc_lo, v[39:40], v[42:43]
	s_and_b32 s29, vcc_lo, exec_lo
	s_delay_alu instid0(SALU_CYCLE_1)
	s_or_b32 s29, s2, s29
.LBB845_46:                             ;   in Loop: Header=BB845_47 Depth=1
	v_dual_mov_b32 v40, s19 :: v_dual_mov_b32 v39, s18
	s_and_b32 s2, exec_lo, s29
	s_delay_alu instid0(SALU_CYCLE_1) | instskip(NEXT) | instid1(SALU_CYCLE_1)
	s_or_b32 s26, s2, s26
	s_and_not1_b32 exec_lo, exec_lo, s26
	s_cbranch_execz .LBB845_51
.LBB845_47:                             ; =>This Inner Loop Header: Depth=1
	s_or_b32 s29, s29, exec_lo
	s_cmp_eq_u64 s[6:7], s[18:19]
	s_cbranch_scc0 .LBB845_45
; %bb.48:                               ;   in Loop: Header=BB845_47 Depth=1
	s_mov_b64 s[18:19], s[22:23]
                                        ; implicit-def: $vgpr35_vgpr36
                                        ; implicit-def: $vgpr37_vgpr38
	s_branch .LBB845_46
.LBB845_49:
                                        ; implicit-def: $sgpr2
                                        ; implicit-def: $vgpr34
	s_branch .LBB845_211
.LBB845_50:
                                        ; implicit-def: $sgpr2
                                        ; implicit-def: $vgpr34
	s_cbranch_execnz .LBB845_119
	s_branch .LBB845_210
.LBB845_51:
	s_set_inst_prefetch_distance 0x2
	s_or_b32 exec_lo, exec_lo, s26
	v_cmp_gt_i64_e32 vcc_lo, s[22:23], v[39:40]
	s_or_not1_b32 s26, vcc_lo, exec_lo
.LBB845_52:
	s_or_b32 exec_lo, exec_lo, s27
.LBB845_53:
	v_mul_lo_u32 v37, v24, s22
	v_mul_lo_u32 v38, v23, s23
	v_mad_u64_u32 v[35:36], null, v23, s22, 0
	s_and_not1_b32 vcc_lo, exec_lo, s25
	s_delay_alu instid0(VALU_DEP_1) | instskip(NEXT) | instid1(VALU_DEP_1)
	v_add3_u32 v36, v36, v38, v37
	v_lshlrev_b64 v[35:36], 3, v[35:36]
	s_cbranch_vccnz .LBB845_62
; %bb.54:
	s_delay_alu instid0(VALU_DEP_1) | instskip(NEXT) | instid1(VALU_DEP_2)
	v_add_co_u32 v37, vcc_lo, s8, v35
	v_add_co_ci_u32_e32 v38, vcc_lo, s9, v36, vcc_lo
	v_add_co_u32 v33, vcc_lo, s8, v33
	v_add_co_ci_u32_e32 v34, vcc_lo, s9, v34, vcc_lo
	s_mov_b32 s3, -1
	s_clause 0x1
	global_load_b64 v[39:40], v[37:38], off
	global_load_b64 v[42:43], v[33:34], off
	s_mov_b32 s27, exec_lo
	s_waitcnt vmcnt(0)
	v_cmpx_eq_f64_e32 v[39:40], v[42:43]
	s_cbranch_execz .LBB845_61
; %bb.55:
	v_add_co_u32 v33, vcc_lo, v33, 8
	v_add_co_ci_u32_e32 v34, vcc_lo, 0, v34, vcc_lo
	v_add_co_u32 v37, vcc_lo, v37, 8
	v_add_co_ci_u32_e32 v38, vcc_lo, 0, v38, vcc_lo
	s_add_u32 s6, s22, -1
	s_addc_u32 s7, s23, -1
	s_mov_b64 s[18:19], 0
	s_mov_b32 s3, 0
                                        ; implicit-def: $sgpr29
	s_set_inst_prefetch_distance 0x1
	s_branch .LBB845_58
	.p2align	6
.LBB845_56:                             ;   in Loop: Header=BB845_58 Depth=1
	global_load_b64 v[39:40], v[37:38], off
	global_load_b64 v[42:43], v[33:34], off
	v_add_co_u32 v33, s2, v33, 8
	s_delay_alu instid0(VALU_DEP_1) | instskip(SKIP_1) | instid1(VALU_DEP_1)
	v_add_co_ci_u32_e64 v34, s2, 0, v34, s2
	v_add_co_u32 v37, s2, v37, 8
	v_add_co_ci_u32_e64 v38, s2, 0, v38, s2
	s_add_u32 s18, s18, 1
	s_addc_u32 s19, s19, 0
	s_and_not1_b32 s2, s29, exec_lo
	s_waitcnt vmcnt(0)
	v_cmp_neq_f64_e32 vcc_lo, v[39:40], v[42:43]
	s_and_b32 s29, vcc_lo, exec_lo
	s_delay_alu instid0(SALU_CYCLE_1)
	s_or_b32 s29, s2, s29
.LBB845_57:                             ;   in Loop: Header=BB845_58 Depth=1
	v_dual_mov_b32 v40, s19 :: v_dual_mov_b32 v39, s18
	s_and_b32 s2, exec_lo, s29
	s_delay_alu instid0(SALU_CYCLE_1) | instskip(NEXT) | instid1(SALU_CYCLE_1)
	s_or_b32 s3, s2, s3
	s_and_not1_b32 exec_lo, exec_lo, s3
	s_cbranch_execz .LBB845_60
.LBB845_58:                             ; =>This Inner Loop Header: Depth=1
	s_or_b32 s29, s29, exec_lo
	s_cmp_eq_u64 s[6:7], s[18:19]
	s_cbranch_scc0 .LBB845_56
; %bb.59:                               ;   in Loop: Header=BB845_58 Depth=1
	s_mov_b64 s[18:19], s[22:23]
                                        ; implicit-def: $vgpr33_vgpr34
                                        ; implicit-def: $vgpr37_vgpr38
	s_branch .LBB845_57
.LBB845_60:
	s_set_inst_prefetch_distance 0x2
	s_or_b32 exec_lo, exec_lo, s3
	v_cmp_gt_i64_e32 vcc_lo, s[22:23], v[39:40]
	s_or_not1_b32 s3, vcc_lo, exec_lo
.LBB845_61:
	s_or_b32 exec_lo, exec_lo, s27
.LBB845_62:
	v_mul_lo_u32 v37, v22, s22
	v_mul_lo_u32 v38, v21, s23
	v_mad_u64_u32 v[33:34], null, v21, s22, 0
	s_mov_b32 s27, 0
	s_and_not1_b32 vcc_lo, exec_lo, s25
	s_mov_b32 s29, 0
	s_delay_alu instid0(VALU_DEP_1) | instskip(NEXT) | instid1(VALU_DEP_1)
	v_add3_u32 v34, v34, v38, v37
	v_lshlrev_b64 v[37:38], 3, v[33:34]
	s_cbranch_vccnz .LBB845_71
; %bb.63:
	s_delay_alu instid0(VALU_DEP_1) | instskip(NEXT) | instid1(VALU_DEP_2)
	v_add_co_u32 v39, vcc_lo, s8, v37
	v_add_co_ci_u32_e32 v40, vcc_lo, s9, v38, vcc_lo
	v_add_co_u32 v33, vcc_lo, s8, v35
	v_add_co_ci_u32_e32 v34, vcc_lo, s9, v36, vcc_lo
	s_mov_b32 s29, -1
	s_clause 0x1
	global_load_b64 v[35:36], v[39:40], off
	global_load_b64 v[42:43], v[33:34], off
	s_mov_b32 s30, exec_lo
	s_waitcnt vmcnt(0)
	v_cmpx_eq_f64_e32 v[35:36], v[42:43]
	s_cbranch_execz .LBB845_70
; %bb.64:
	v_add_co_u32 v33, vcc_lo, v33, 8
	v_add_co_ci_u32_e32 v34, vcc_lo, 0, v34, vcc_lo
	v_add_co_u32 v35, vcc_lo, v39, 8
	v_add_co_ci_u32_e32 v36, vcc_lo, 0, v40, vcc_lo
	s_add_u32 s6, s22, -1
	s_addc_u32 s7, s23, -1
	s_mov_b64 s[18:19], 0
	s_mov_b32 s29, 0
                                        ; implicit-def: $sgpr31
	s_set_inst_prefetch_distance 0x1
	s_branch .LBB845_67
	.p2align	6
.LBB845_65:                             ;   in Loop: Header=BB845_67 Depth=1
	global_load_b64 v[39:40], v[35:36], off
	global_load_b64 v[42:43], v[33:34], off
	v_add_co_u32 v33, s2, v33, 8
	s_delay_alu instid0(VALU_DEP_1) | instskip(SKIP_1) | instid1(VALU_DEP_1)
	v_add_co_ci_u32_e64 v34, s2, 0, v34, s2
	v_add_co_u32 v35, s2, v35, 8
	v_add_co_ci_u32_e64 v36, s2, 0, v36, s2
	s_add_u32 s18, s18, 1
	s_addc_u32 s19, s19, 0
	s_and_not1_b32 s2, s31, exec_lo
	s_waitcnt vmcnt(0)
	v_cmp_neq_f64_e32 vcc_lo, v[39:40], v[42:43]
	s_and_b32 s31, vcc_lo, exec_lo
	s_delay_alu instid0(SALU_CYCLE_1)
	s_or_b32 s31, s2, s31
.LBB845_66:                             ;   in Loop: Header=BB845_67 Depth=1
	v_dual_mov_b32 v40, s19 :: v_dual_mov_b32 v39, s18
	s_and_b32 s2, exec_lo, s31
	s_delay_alu instid0(SALU_CYCLE_1) | instskip(NEXT) | instid1(SALU_CYCLE_1)
	s_or_b32 s29, s2, s29
	s_and_not1_b32 exec_lo, exec_lo, s29
	s_cbranch_execz .LBB845_69
.LBB845_67:                             ; =>This Inner Loop Header: Depth=1
	s_or_b32 s31, s31, exec_lo
	s_cmp_eq_u64 s[6:7], s[18:19]
	s_cbranch_scc0 .LBB845_65
; %bb.68:                               ;   in Loop: Header=BB845_67 Depth=1
	s_mov_b64 s[18:19], s[22:23]
                                        ; implicit-def: $vgpr33_vgpr34
                                        ; implicit-def: $vgpr35_vgpr36
	s_branch .LBB845_66
.LBB845_69:
	s_set_inst_prefetch_distance 0x2
	s_or_b32 exec_lo, exec_lo, s29
	v_cmp_gt_i64_e32 vcc_lo, s[22:23], v[39:40]
	s_or_not1_b32 s29, vcc_lo, exec_lo
.LBB845_70:
	s_or_b32 exec_lo, exec_lo, s30
.LBB845_71:
	v_mul_lo_u32 v35, v28, s22
	v_mul_lo_u32 v36, v27, s23
	v_mad_u64_u32 v[33:34], null, v27, s22, 0
	s_and_not1_b32 vcc_lo, exec_lo, s25
	s_delay_alu instid0(VALU_DEP_1) | instskip(NEXT) | instid1(VALU_DEP_1)
	v_add3_u32 v34, v34, v36, v35
	v_lshlrev_b64 v[33:34], 3, v[33:34]
	s_cbranch_vccnz .LBB845_80
; %bb.72:
	s_delay_alu instid0(VALU_DEP_1) | instskip(NEXT) | instid1(VALU_DEP_2)
	v_add_co_u32 v39, vcc_lo, s8, v33
	v_add_co_ci_u32_e32 v40, vcc_lo, s9, v34, vcc_lo
	v_add_co_u32 v35, vcc_lo, s8, v37
	v_add_co_ci_u32_e32 v36, vcc_lo, s9, v38, vcc_lo
	s_mov_b32 s27, -1
	s_clause 0x1
	global_load_b64 v[37:38], v[39:40], off
	global_load_b64 v[42:43], v[35:36], off
	s_mov_b32 s30, exec_lo
	s_waitcnt vmcnt(0)
	v_cmpx_eq_f64_e32 v[37:38], v[42:43]
	s_cbranch_execz .LBB845_79
; %bb.73:
	v_add_co_u32 v35, vcc_lo, v35, 8
	v_add_co_ci_u32_e32 v36, vcc_lo, 0, v36, vcc_lo
	v_add_co_u32 v37, vcc_lo, v39, 8
	v_add_co_ci_u32_e32 v38, vcc_lo, 0, v40, vcc_lo
	s_add_u32 s6, s22, -1
	s_addc_u32 s7, s23, -1
	s_mov_b64 s[18:19], 0
	s_mov_b32 s27, 0
                                        ; implicit-def: $sgpr31
	s_set_inst_prefetch_distance 0x1
	s_branch .LBB845_76
	.p2align	6
.LBB845_74:                             ;   in Loop: Header=BB845_76 Depth=1
	global_load_b64 v[39:40], v[37:38], off
	global_load_b64 v[42:43], v[35:36], off
	v_add_co_u32 v35, s2, v35, 8
	s_delay_alu instid0(VALU_DEP_1) | instskip(SKIP_1) | instid1(VALU_DEP_1)
	v_add_co_ci_u32_e64 v36, s2, 0, v36, s2
	v_add_co_u32 v37, s2, v37, 8
	v_add_co_ci_u32_e64 v38, s2, 0, v38, s2
	s_add_u32 s18, s18, 1
	s_addc_u32 s19, s19, 0
	s_and_not1_b32 s2, s31, exec_lo
	s_waitcnt vmcnt(0)
	v_cmp_neq_f64_e32 vcc_lo, v[39:40], v[42:43]
	s_and_b32 s31, vcc_lo, exec_lo
	s_delay_alu instid0(SALU_CYCLE_1)
	s_or_b32 s31, s2, s31
.LBB845_75:                             ;   in Loop: Header=BB845_76 Depth=1
	v_dual_mov_b32 v40, s19 :: v_dual_mov_b32 v39, s18
	s_and_b32 s2, exec_lo, s31
	s_delay_alu instid0(SALU_CYCLE_1) | instskip(NEXT) | instid1(SALU_CYCLE_1)
	s_or_b32 s27, s2, s27
	s_and_not1_b32 exec_lo, exec_lo, s27
	s_cbranch_execz .LBB845_78
.LBB845_76:                             ; =>This Inner Loop Header: Depth=1
	s_or_b32 s31, s31, exec_lo
	s_cmp_eq_u64 s[6:7], s[18:19]
	s_cbranch_scc0 .LBB845_74
; %bb.77:                               ;   in Loop: Header=BB845_76 Depth=1
	s_mov_b64 s[18:19], s[22:23]
                                        ; implicit-def: $vgpr35_vgpr36
                                        ; implicit-def: $vgpr37_vgpr38
	s_branch .LBB845_75
.LBB845_78:
	s_set_inst_prefetch_distance 0x2
	s_or_b32 exec_lo, exec_lo, s27
	v_cmp_gt_i64_e32 vcc_lo, s[22:23], v[39:40]
	s_or_not1_b32 s27, vcc_lo, exec_lo
.LBB845_79:
	s_or_b32 exec_lo, exec_lo, s30
.LBB845_80:
	v_mul_lo_u32 v37, v26, s22
	v_mul_lo_u32 v38, v25, s23
	v_mad_u64_u32 v[35:36], null, v25, s22, 0
	s_mov_b32 s30, 0
	s_and_not1_b32 vcc_lo, exec_lo, s25
	s_mov_b32 s31, 0
	s_delay_alu instid0(VALU_DEP_1) | instskip(NEXT) | instid1(VALU_DEP_1)
	v_add3_u32 v36, v36, v38, v37
	v_lshlrev_b64 v[37:38], 3, v[35:36]
	s_cbranch_vccnz .LBB845_89
; %bb.81:
	s_delay_alu instid0(VALU_DEP_1) | instskip(NEXT) | instid1(VALU_DEP_2)
	v_add_co_u32 v35, vcc_lo, s8, v37
	v_add_co_ci_u32_e32 v36, vcc_lo, s9, v38, vcc_lo
	v_add_co_u32 v33, vcc_lo, s8, v33
	v_add_co_ci_u32_e32 v34, vcc_lo, s9, v34, vcc_lo
	s_mov_b32 s31, -1
	s_clause 0x1
	global_load_b64 v[39:40], v[35:36], off
	global_load_b64 v[42:43], v[33:34], off
	s_mov_b32 s33, exec_lo
	s_waitcnt vmcnt(0)
	v_cmpx_eq_f64_e32 v[39:40], v[42:43]
	s_cbranch_execz .LBB845_88
; %bb.82:
	v_add_co_u32 v33, vcc_lo, v33, 8
	v_add_co_ci_u32_e32 v34, vcc_lo, 0, v34, vcc_lo
	v_add_co_u32 v35, vcc_lo, v35, 8
	v_add_co_ci_u32_e32 v36, vcc_lo, 0, v36, vcc_lo
	s_add_u32 s6, s22, -1
	s_addc_u32 s7, s23, -1
	s_mov_b64 s[18:19], 0
	s_mov_b32 s31, 0
                                        ; implicit-def: $sgpr34
	s_set_inst_prefetch_distance 0x1
	s_branch .LBB845_85
	.p2align	6
.LBB845_83:                             ;   in Loop: Header=BB845_85 Depth=1
	global_load_b64 v[39:40], v[35:36], off
	global_load_b64 v[42:43], v[33:34], off
	v_add_co_u32 v33, s2, v33, 8
	s_delay_alu instid0(VALU_DEP_1) | instskip(SKIP_1) | instid1(VALU_DEP_1)
	v_add_co_ci_u32_e64 v34, s2, 0, v34, s2
	v_add_co_u32 v35, s2, v35, 8
	v_add_co_ci_u32_e64 v36, s2, 0, v36, s2
	s_add_u32 s18, s18, 1
	s_addc_u32 s19, s19, 0
	s_and_not1_b32 s2, s34, exec_lo
	s_waitcnt vmcnt(0)
	v_cmp_neq_f64_e32 vcc_lo, v[39:40], v[42:43]
	s_and_b32 s34, vcc_lo, exec_lo
	s_delay_alu instid0(SALU_CYCLE_1)
	s_or_b32 s34, s2, s34
.LBB845_84:                             ;   in Loop: Header=BB845_85 Depth=1
	v_dual_mov_b32 v40, s19 :: v_dual_mov_b32 v39, s18
	s_and_b32 s2, exec_lo, s34
	s_delay_alu instid0(SALU_CYCLE_1) | instskip(NEXT) | instid1(SALU_CYCLE_1)
	s_or_b32 s31, s2, s31
	s_and_not1_b32 exec_lo, exec_lo, s31
	s_cbranch_execz .LBB845_87
.LBB845_85:                             ; =>This Inner Loop Header: Depth=1
	s_or_b32 s34, s34, exec_lo
	s_cmp_eq_u64 s[6:7], s[18:19]
	s_cbranch_scc0 .LBB845_83
; %bb.86:                               ;   in Loop: Header=BB845_85 Depth=1
	s_mov_b64 s[18:19], s[22:23]
                                        ; implicit-def: $vgpr33_vgpr34
                                        ; implicit-def: $vgpr35_vgpr36
	s_branch .LBB845_84
.LBB845_87:
	s_set_inst_prefetch_distance 0x2
	s_or_b32 exec_lo, exec_lo, s31
	v_cmp_gt_i64_e32 vcc_lo, s[22:23], v[39:40]
	s_or_not1_b32 s31, vcc_lo, exec_lo
.LBB845_88:
	s_or_b32 exec_lo, exec_lo, s33
.LBB845_89:
	v_mul_lo_u32 v35, v32, s22
	v_mul_lo_u32 v36, v31, s23
	v_mad_u64_u32 v[33:34], null, v31, s22, 0
	s_and_not1_b32 vcc_lo, exec_lo, s25
	s_delay_alu instid0(VALU_DEP_1) | instskip(NEXT) | instid1(VALU_DEP_1)
	v_add3_u32 v34, v34, v36, v35
	v_lshlrev_b64 v[35:36], 3, v[33:34]
	s_cbranch_vccnz .LBB845_98
; %bb.90:
	s_delay_alu instid0(VALU_DEP_1) | instskip(NEXT) | instid1(VALU_DEP_2)
	v_add_co_u32 v39, vcc_lo, s8, v35
	v_add_co_ci_u32_e32 v40, vcc_lo, s9, v36, vcc_lo
	v_add_co_u32 v33, vcc_lo, s8, v37
	v_add_co_ci_u32_e32 v34, vcc_lo, s9, v38, vcc_lo
	s_mov_b32 s30, -1
	s_clause 0x1
	global_load_b64 v[37:38], v[39:40], off
	global_load_b64 v[42:43], v[33:34], off
	s_mov_b32 s33, exec_lo
	s_waitcnt vmcnt(0)
	v_cmpx_eq_f64_e32 v[37:38], v[42:43]
	s_cbranch_execz .LBB845_97
; %bb.91:
	v_add_co_u32 v33, vcc_lo, v33, 8
	v_add_co_ci_u32_e32 v34, vcc_lo, 0, v34, vcc_lo
	v_add_co_u32 v37, vcc_lo, v39, 8
	v_add_co_ci_u32_e32 v38, vcc_lo, 0, v40, vcc_lo
	s_add_u32 s6, s22, -1
	s_addc_u32 s7, s23, -1
	s_mov_b64 s[18:19], 0
	s_mov_b32 s30, 0
                                        ; implicit-def: $sgpr34
	s_set_inst_prefetch_distance 0x1
	s_branch .LBB845_94
	.p2align	6
.LBB845_92:                             ;   in Loop: Header=BB845_94 Depth=1
	global_load_b64 v[39:40], v[37:38], off
	global_load_b64 v[42:43], v[33:34], off
	v_add_co_u32 v33, s2, v33, 8
	s_delay_alu instid0(VALU_DEP_1) | instskip(SKIP_1) | instid1(VALU_DEP_1)
	v_add_co_ci_u32_e64 v34, s2, 0, v34, s2
	v_add_co_u32 v37, s2, v37, 8
	v_add_co_ci_u32_e64 v38, s2, 0, v38, s2
	s_add_u32 s18, s18, 1
	s_addc_u32 s19, s19, 0
	s_and_not1_b32 s2, s34, exec_lo
	s_waitcnt vmcnt(0)
	v_cmp_neq_f64_e32 vcc_lo, v[39:40], v[42:43]
	s_and_b32 s34, vcc_lo, exec_lo
	s_delay_alu instid0(SALU_CYCLE_1)
	s_or_b32 s34, s2, s34
.LBB845_93:                             ;   in Loop: Header=BB845_94 Depth=1
	v_dual_mov_b32 v40, s19 :: v_dual_mov_b32 v39, s18
	s_and_b32 s2, exec_lo, s34
	s_delay_alu instid0(SALU_CYCLE_1) | instskip(NEXT) | instid1(SALU_CYCLE_1)
	s_or_b32 s30, s2, s30
	s_and_not1_b32 exec_lo, exec_lo, s30
	s_cbranch_execz .LBB845_96
.LBB845_94:                             ; =>This Inner Loop Header: Depth=1
	s_or_b32 s34, s34, exec_lo
	s_cmp_eq_u64 s[6:7], s[18:19]
	s_cbranch_scc0 .LBB845_92
; %bb.95:                               ;   in Loop: Header=BB845_94 Depth=1
	s_mov_b64 s[18:19], s[22:23]
                                        ; implicit-def: $vgpr33_vgpr34
                                        ; implicit-def: $vgpr37_vgpr38
	s_branch .LBB845_93
.LBB845_96:
	s_set_inst_prefetch_distance 0x2
	s_or_b32 exec_lo, exec_lo, s30
	v_cmp_gt_i64_e32 vcc_lo, s[22:23], v[39:40]
	s_or_not1_b32 s30, vcc_lo, exec_lo
.LBB845_97:
	s_or_b32 exec_lo, exec_lo, s33
.LBB845_98:
	v_mul_lo_u32 v37, v30, s22
	v_mul_lo_u32 v38, v29, s23
	v_mad_u64_u32 v[33:34], null, v29, s22, 0
	s_and_not1_b32 vcc_lo, exec_lo, s25
	s_mov_b32 s2, 0
	s_delay_alu instid0(VALU_DEP_1) | instskip(NEXT) | instid1(VALU_DEP_1)
	v_add3_u32 v34, v34, v38, v37
	v_lshlrev_b64 v[33:34], 3, v[33:34]
	s_cbranch_vccnz .LBB845_107
; %bb.99:
	s_delay_alu instid0(VALU_DEP_1) | instskip(NEXT) | instid1(VALU_DEP_2)
	v_add_co_u32 v37, vcc_lo, s8, v33
	v_add_co_ci_u32_e32 v38, vcc_lo, s9, v34, vcc_lo
	v_add_co_u32 v35, vcc_lo, s8, v35
	v_add_co_ci_u32_e32 v36, vcc_lo, s9, v36, vcc_lo
	s_mov_b32 s2, -1
	s_clause 0x1
	global_load_b64 v[39:40], v[37:38], off
	global_load_b64 v[42:43], v[35:36], off
	s_mov_b32 s33, exec_lo
	s_waitcnt vmcnt(0)
	v_cmpx_eq_f64_e32 v[39:40], v[42:43]
	s_cbranch_execz .LBB845_106
; %bb.100:
	v_add_co_u32 v35, vcc_lo, v35, 8
	v_add_co_ci_u32_e32 v36, vcc_lo, 0, v36, vcc_lo
	v_add_co_u32 v37, vcc_lo, v37, 8
	v_add_co_ci_u32_e32 v38, vcc_lo, 0, v38, vcc_lo
	s_add_u32 s6, s22, -1
	s_addc_u32 s7, s23, -1
	s_mov_b64 s[18:19], 0
	s_mov_b32 s34, 0
                                        ; implicit-def: $sgpr35
	s_set_inst_prefetch_distance 0x1
	s_branch .LBB845_103
	.p2align	6
.LBB845_101:                            ;   in Loop: Header=BB845_103 Depth=1
	global_load_b64 v[39:40], v[37:38], off
	global_load_b64 v[42:43], v[35:36], off
	v_add_co_u32 v35, s2, v35, 8
	s_delay_alu instid0(VALU_DEP_1) | instskip(SKIP_1) | instid1(VALU_DEP_1)
	v_add_co_ci_u32_e64 v36, s2, 0, v36, s2
	v_add_co_u32 v37, s2, v37, 8
	v_add_co_ci_u32_e64 v38, s2, 0, v38, s2
	s_add_u32 s18, s18, 1
	s_addc_u32 s19, s19, 0
	s_and_not1_b32 s2, s35, exec_lo
	s_waitcnt vmcnt(0)
	v_cmp_neq_f64_e32 vcc_lo, v[39:40], v[42:43]
	s_and_b32 s35, vcc_lo, exec_lo
	s_delay_alu instid0(SALU_CYCLE_1)
	s_or_b32 s35, s2, s35
.LBB845_102:                            ;   in Loop: Header=BB845_103 Depth=1
	v_dual_mov_b32 v40, s19 :: v_dual_mov_b32 v39, s18
	s_and_b32 s2, exec_lo, s35
	s_delay_alu instid0(SALU_CYCLE_1) | instskip(NEXT) | instid1(SALU_CYCLE_1)
	s_or_b32 s34, s2, s34
	s_and_not1_b32 exec_lo, exec_lo, s34
	s_cbranch_execz .LBB845_105
.LBB845_103:                            ; =>This Inner Loop Header: Depth=1
	s_or_b32 s35, s35, exec_lo
	s_cmp_eq_u64 s[6:7], s[18:19]
	s_cbranch_scc0 .LBB845_101
; %bb.104:                              ;   in Loop: Header=BB845_103 Depth=1
	s_mov_b64 s[18:19], s[22:23]
                                        ; implicit-def: $vgpr35_vgpr36
                                        ; implicit-def: $vgpr37_vgpr38
	s_branch .LBB845_102
.LBB845_105:
	s_set_inst_prefetch_distance 0x2
	s_or_b32 exec_lo, exec_lo, s34
	v_cmp_gt_i64_e32 vcc_lo, s[22:23], v[39:40]
	s_or_not1_b32 s2, vcc_lo, exec_lo
.LBB845_106:
	s_or_b32 exec_lo, exec_lo, s33
.LBB845_107:
	s_waitcnt lgkmcnt(0)
	v_dual_mov_b32 v36, s5 :: v_dual_mov_b32 v35, s4
	s_mov_b32 s6, exec_lo
	s_barrier
	buffer_gl0_inv
	v_cmpx_ne_u32_e32 0, v0
	s_cbranch_execz .LBB845_109
; %bb.108:
	v_add_nc_u32_e32 v35, -8, v55
	ds_load_b64 v[35:36], v35
.LBB845_109:
	s_or_b32 exec_lo, exec_lo, s6
	v_cndmask_b32_e64 v38, 0, 1, s31
	v_cndmask_b32_e64 v40, 0, 1, s29
	;; [unrolled: 1-line block ×7, first 2 shown]
	v_lshlrev_b16 v38, 8, v38
	v_lshlrev_b16 v40, 8, v40
	;; [unrolled: 1-line block ×4, first 2 shown]
	s_mov_b32 s3, 0
	v_or_b32_e32 v37, v37, v38
	v_or_b32_e32 v38, v39, v40
	;; [unrolled: 1-line block ×3, first 2 shown]
	v_and_b32_e32 v39, 0xffff, v43
	s_and_not1_b32 vcc_lo, exec_lo, s25
	v_lshlrev_b32_e32 v40, 16, v37
	v_and_b32_e32 v42, 0xffff, v38
	v_lshlrev_b32_e32 v43, 16, v44
	s_mov_b32 s2, 0
	s_cbranch_vccnz .LBB845_118
; %bb.110:
	s_waitcnt lgkmcnt(0)
	v_mul_lo_u32 v38, v36, s22
	v_mul_lo_u32 v44, v35, s23
	v_mad_u64_u32 v[36:37], null, v35, s22, 0
	s_mov_b32 s2, -1
	s_mov_b32 s26, exec_lo
	s_delay_alu instid0(VALU_DEP_1) | instskip(NEXT) | instid1(VALU_DEP_1)
	v_add3_u32 v37, v37, v44, v38
	v_lshlrev_b64 v[35:36], 3, v[36:37]
	s_delay_alu instid0(VALU_DEP_1) | instskip(NEXT) | instid1(VALU_DEP_2)
	v_add_co_u32 v35, vcc_lo, s8, v35
	v_add_co_ci_u32_e32 v36, vcc_lo, s9, v36, vcc_lo
	v_add_co_u32 v33, vcc_lo, s8, v33
	v_add_co_ci_u32_e32 v34, vcc_lo, s9, v34, vcc_lo
	s_clause 0x1
	global_load_b64 v[37:38], v[35:36], off
	global_load_b64 v[44:45], v[33:34], off
	s_waitcnt vmcnt(0)
	v_cmpx_eq_f64_e32 v[37:38], v[44:45]
	s_cbranch_execz .LBB845_117
; %bb.111:
	v_add_co_u32 v33, vcc_lo, v33, 8
	v_add_co_ci_u32_e32 v34, vcc_lo, 0, v34, vcc_lo
	v_add_co_u32 v35, vcc_lo, v35, 8
	v_add_co_ci_u32_e32 v36, vcc_lo, 0, v36, vcc_lo
	s_add_u32 s6, s22, -1
	s_addc_u32 s7, s23, -1
	s_mov_b64 s[18:19], 0
	s_mov_b32 s27, 0
                                        ; implicit-def: $sgpr29
	s_set_inst_prefetch_distance 0x1
	s_branch .LBB845_114
	.p2align	6
.LBB845_112:                            ;   in Loop: Header=BB845_114 Depth=1
	global_load_b64 v[37:38], v[35:36], off
	global_load_b64 v[44:45], v[33:34], off
	v_add_co_u32 v33, s2, v33, 8
	s_delay_alu instid0(VALU_DEP_1) | instskip(SKIP_1) | instid1(VALU_DEP_1)
	v_add_co_ci_u32_e64 v34, s2, 0, v34, s2
	v_add_co_u32 v35, s2, v35, 8
	v_add_co_ci_u32_e64 v36, s2, 0, v36, s2
	s_add_u32 s18, s18, 1
	s_addc_u32 s19, s19, 0
	s_and_not1_b32 s2, s29, exec_lo
	s_waitcnt vmcnt(0)
	v_cmp_neq_f64_e32 vcc_lo, v[37:38], v[44:45]
	s_and_b32 s29, vcc_lo, exec_lo
	s_delay_alu instid0(SALU_CYCLE_1)
	s_or_b32 s29, s2, s29
.LBB845_113:                            ;   in Loop: Header=BB845_114 Depth=1
	v_dual_mov_b32 v38, s19 :: v_dual_mov_b32 v37, s18
	s_and_b32 s2, exec_lo, s29
	s_delay_alu instid0(SALU_CYCLE_1) | instskip(NEXT) | instid1(SALU_CYCLE_1)
	s_or_b32 s27, s2, s27
	s_and_not1_b32 exec_lo, exec_lo, s27
	s_cbranch_execz .LBB845_116
.LBB845_114:                            ; =>This Inner Loop Header: Depth=1
	s_or_b32 s29, s29, exec_lo
	s_cmp_eq_u64 s[6:7], s[18:19]
	s_cbranch_scc0 .LBB845_112
; %bb.115:                              ;   in Loop: Header=BB845_114 Depth=1
	s_mov_b64 s[18:19], s[22:23]
                                        ; implicit-def: $vgpr33_vgpr34
                                        ; implicit-def: $vgpr35_vgpr36
	s_branch .LBB845_113
.LBB845_116:
	s_set_inst_prefetch_distance 0x2
	s_or_b32 exec_lo, exec_lo, s27
	v_cmp_gt_i64_e32 vcc_lo, s[22:23], v[37:38]
	s_or_not1_b32 s2, vcc_lo, exec_lo
.LBB845_117:
	s_or_b32 exec_lo, exec_lo, s26
.LBB845_118:
	v_or_b32_e32 v33, v39, v40
	s_delay_alu instid0(VALU_DEP_2)
	v_or_b32_e32 v34, v42, v43
	s_and_b32 vcc_lo, exec_lo, s3
	s_cbranch_vccz .LBB845_210
.LBB845_119:
	v_or_b32_e32 v33, 7, v55
	s_mov_b32 s3, 0
	s_mov_b32 s26, 0
	s_mov_b32 s27, exec_lo
	s_delay_alu instid0(VALU_DEP_1)
	v_cmpx_gt_u32_e64 s28, v33
	s_cbranch_execz .LBB845_130
; %bb.120:
	s_and_not1_b32 vcc_lo, exec_lo, s25
	s_mov_b32 s2, 0
	s_cbranch_vccnz .LBB845_129
; %bb.121:
	v_mul_lo_u32 v37, v18, s22
	v_mul_lo_u32 v38, v17, s23
	v_mad_u64_u32 v[33:34], null, v17, s22, 0
	v_mul_lo_u32 v39, v20, s22
	v_mul_lo_u32 v40, v19, s23
	s_waitcnt lgkmcnt(0)
	v_mad_u64_u32 v[35:36], null, v19, s22, 0
	s_mov_b32 s2, -1
	s_mov_b32 s25, exec_lo
	s_delay_alu instid0(VALU_DEP_4) | instskip(NEXT) | instid1(VALU_DEP_2)
	v_add3_u32 v34, v34, v38, v37
	v_add3_u32 v36, v36, v40, v39
	s_delay_alu instid0(VALU_DEP_2) | instskip(NEXT) | instid1(VALU_DEP_2)
	v_lshlrev_b64 v[33:34], 3, v[33:34]
	v_lshlrev_b64 v[37:38], 3, v[35:36]
	s_delay_alu instid0(VALU_DEP_2) | instskip(NEXT) | instid1(VALU_DEP_3)
	v_add_co_u32 v35, vcc_lo, s8, v33
	v_add_co_ci_u32_e32 v36, vcc_lo, s9, v34, vcc_lo
	s_delay_alu instid0(VALU_DEP_3) | instskip(NEXT) | instid1(VALU_DEP_4)
	v_add_co_u32 v33, vcc_lo, s8, v37
	v_add_co_ci_u32_e32 v34, vcc_lo, s9, v38, vcc_lo
	s_clause 0x1
	global_load_b64 v[37:38], v[35:36], off
	global_load_b64 v[39:40], v[33:34], off
	s_waitcnt vmcnt(0)
	v_cmpx_eq_f64_e32 v[37:38], v[39:40]
	s_cbranch_execz .LBB845_128
; %bb.122:
	v_add_co_u32 v33, vcc_lo, v33, 8
	v_add_co_ci_u32_e32 v34, vcc_lo, 0, v34, vcc_lo
	v_add_co_u32 v35, vcc_lo, v35, 8
	v_add_co_ci_u32_e32 v36, vcc_lo, 0, v36, vcc_lo
	s_add_u32 s6, s22, -1
	s_addc_u32 s7, s23, -1
	s_mov_b64 s[18:19], 0
                                        ; implicit-def: $sgpr29
	s_set_inst_prefetch_distance 0x1
	s_branch .LBB845_125
	.p2align	6
.LBB845_123:                            ;   in Loop: Header=BB845_125 Depth=1
	global_load_b64 v[37:38], v[35:36], off
	global_load_b64 v[39:40], v[33:34], off
	v_add_co_u32 v33, s2, v33, 8
	s_delay_alu instid0(VALU_DEP_1) | instskip(SKIP_1) | instid1(VALU_DEP_1)
	v_add_co_ci_u32_e64 v34, s2, 0, v34, s2
	v_add_co_u32 v35, s2, v35, 8
	v_add_co_ci_u32_e64 v36, s2, 0, v36, s2
	s_add_u32 s18, s18, 1
	s_addc_u32 s19, s19, 0
	s_and_not1_b32 s2, s29, exec_lo
	s_waitcnt vmcnt(0)
	v_cmp_neq_f64_e32 vcc_lo, v[37:38], v[39:40]
	s_and_b32 s29, vcc_lo, exec_lo
	s_delay_alu instid0(SALU_CYCLE_1)
	s_or_b32 s29, s2, s29
.LBB845_124:                            ;   in Loop: Header=BB845_125 Depth=1
	v_dual_mov_b32 v38, s19 :: v_dual_mov_b32 v37, s18
	s_and_b32 s2, exec_lo, s29
	s_delay_alu instid0(SALU_CYCLE_1) | instskip(NEXT) | instid1(SALU_CYCLE_1)
	s_or_b32 s26, s2, s26
	s_and_not1_b32 exec_lo, exec_lo, s26
	s_cbranch_execz .LBB845_127
.LBB845_125:                            ; =>This Inner Loop Header: Depth=1
	s_or_b32 s29, s29, exec_lo
	s_cmp_eq_u64 s[6:7], s[18:19]
	s_cbranch_scc0 .LBB845_123
; %bb.126:                              ;   in Loop: Header=BB845_125 Depth=1
	s_mov_b64 s[18:19], s[22:23]
                                        ; implicit-def: $vgpr33_vgpr34
                                        ; implicit-def: $vgpr35_vgpr36
	s_branch .LBB845_124
.LBB845_127:
	s_set_inst_prefetch_distance 0x2
	s_or_b32 exec_lo, exec_lo, s26
	v_cmp_gt_i64_e32 vcc_lo, s[22:23], v[37:38]
	s_or_not1_b32 s2, vcc_lo, exec_lo
.LBB845_128:
	s_or_b32 exec_lo, exec_lo, s25
.LBB845_129:
	s_delay_alu instid0(SALU_CYCLE_1)
	s_and_b32 s26, s2, exec_lo
.LBB845_130:
	s_or_b32 exec_lo, exec_lo, s27
	v_or_b32_e32 v33, 6, v55
	s_mov_b32 s25, exec_lo
	s_delay_alu instid0(VALU_DEP_1)
	v_cmpx_gt_u32_e64 s28, v33
	s_cbranch_execz .LBB845_141
; %bb.131:
	v_cmp_ne_u32_e32 vcc_lo, 1, v41
	s_mov_b32 s2, 0
	s_cbranch_vccnz .LBB845_140
; %bb.132:
	v_mul_lo_u32 v37, v24, s22
	v_mul_lo_u32 v38, v23, s23
	v_mad_u64_u32 v[33:34], null, v23, s22, 0
	v_mul_lo_u32 v39, v18, s22
	v_mul_lo_u32 v40, v17, s23
	s_waitcnt lgkmcnt(0)
	v_mad_u64_u32 v[35:36], null, v17, s22, 0
	s_mov_b32 s2, -1
	s_mov_b32 s3, exec_lo
	s_delay_alu instid0(VALU_DEP_4) | instskip(NEXT) | instid1(VALU_DEP_2)
	v_add3_u32 v34, v34, v38, v37
	v_add3_u32 v36, v36, v40, v39
	s_delay_alu instid0(VALU_DEP_2) | instskip(NEXT) | instid1(VALU_DEP_2)
	v_lshlrev_b64 v[33:34], 3, v[33:34]
	v_lshlrev_b64 v[37:38], 3, v[35:36]
	s_delay_alu instid0(VALU_DEP_2) | instskip(NEXT) | instid1(VALU_DEP_3)
	v_add_co_u32 v35, vcc_lo, s8, v33
	v_add_co_ci_u32_e32 v36, vcc_lo, s9, v34, vcc_lo
	s_delay_alu instid0(VALU_DEP_3) | instskip(NEXT) | instid1(VALU_DEP_4)
	v_add_co_u32 v33, vcc_lo, s8, v37
	v_add_co_ci_u32_e32 v34, vcc_lo, s9, v38, vcc_lo
	s_clause 0x1
	global_load_b64 v[37:38], v[35:36], off
	global_load_b64 v[39:40], v[33:34], off
	s_waitcnt vmcnt(0)
	v_cmpx_eq_f64_e32 v[37:38], v[39:40]
	s_cbranch_execz .LBB845_139
; %bb.133:
	v_add_co_u32 v33, vcc_lo, v33, 8
	v_add_co_ci_u32_e32 v34, vcc_lo, 0, v34, vcc_lo
	v_add_co_u32 v35, vcc_lo, v35, 8
	v_add_co_ci_u32_e32 v36, vcc_lo, 0, v36, vcc_lo
	s_add_u32 s6, s22, -1
	s_addc_u32 s7, s23, -1
	s_mov_b64 s[18:19], 0
	s_mov_b32 s27, 0
                                        ; implicit-def: $sgpr29
	s_set_inst_prefetch_distance 0x1
	s_branch .LBB845_136
	.p2align	6
.LBB845_134:                            ;   in Loop: Header=BB845_136 Depth=1
	global_load_b64 v[37:38], v[35:36], off
	global_load_b64 v[39:40], v[33:34], off
	v_add_co_u32 v33, s2, v33, 8
	s_delay_alu instid0(VALU_DEP_1) | instskip(SKIP_1) | instid1(VALU_DEP_1)
	v_add_co_ci_u32_e64 v34, s2, 0, v34, s2
	v_add_co_u32 v35, s2, v35, 8
	v_add_co_ci_u32_e64 v36, s2, 0, v36, s2
	s_add_u32 s18, s18, 1
	s_addc_u32 s19, s19, 0
	s_and_not1_b32 s2, s29, exec_lo
	s_waitcnt vmcnt(0)
	v_cmp_neq_f64_e32 vcc_lo, v[37:38], v[39:40]
	s_and_b32 s29, vcc_lo, exec_lo
	s_delay_alu instid0(SALU_CYCLE_1)
	s_or_b32 s29, s2, s29
.LBB845_135:                            ;   in Loop: Header=BB845_136 Depth=1
	v_dual_mov_b32 v38, s19 :: v_dual_mov_b32 v37, s18
	s_and_b32 s2, exec_lo, s29
	s_delay_alu instid0(SALU_CYCLE_1) | instskip(NEXT) | instid1(SALU_CYCLE_1)
	s_or_b32 s27, s2, s27
	s_and_not1_b32 exec_lo, exec_lo, s27
	s_cbranch_execz .LBB845_138
.LBB845_136:                            ; =>This Inner Loop Header: Depth=1
	s_or_b32 s29, s29, exec_lo
	s_cmp_eq_u64 s[6:7], s[18:19]
	s_cbranch_scc0 .LBB845_134
; %bb.137:                              ;   in Loop: Header=BB845_136 Depth=1
	s_mov_b64 s[18:19], s[22:23]
                                        ; implicit-def: $vgpr33_vgpr34
                                        ; implicit-def: $vgpr35_vgpr36
	s_branch .LBB845_135
.LBB845_138:
	s_set_inst_prefetch_distance 0x2
	s_or_b32 exec_lo, exec_lo, s27
	v_cmp_gt_i64_e32 vcc_lo, s[22:23], v[37:38]
	s_or_not1_b32 s2, vcc_lo, exec_lo
.LBB845_139:
	s_or_b32 exec_lo, exec_lo, s3
.LBB845_140:
	s_delay_alu instid0(SALU_CYCLE_1)
	s_and_b32 s3, s2, exec_lo
.LBB845_141:
	s_or_b32 exec_lo, exec_lo, s25
	v_or_b32_e32 v33, 5, v55
	s_mov_b32 s27, 0
	s_mov_b32 s25, 0
	s_mov_b32 s29, exec_lo
	s_delay_alu instid0(VALU_DEP_1)
	v_cmpx_gt_u32_e64 s28, v33
	s_cbranch_execz .LBB845_152
; %bb.142:
	v_cmp_ne_u32_e32 vcc_lo, 1, v41
	s_mov_b32 s2, 0
	s_cbranch_vccnz .LBB845_151
; %bb.143:
	v_mul_lo_u32 v37, v22, s22
	v_mul_lo_u32 v38, v21, s23
	v_mad_u64_u32 v[33:34], null, v21, s22, 0
	v_mul_lo_u32 v39, v24, s22
	v_mul_lo_u32 v40, v23, s23
	s_waitcnt lgkmcnt(0)
	v_mad_u64_u32 v[35:36], null, v23, s22, 0
	s_mov_b32 s2, -1
	s_mov_b32 s25, exec_lo
	s_delay_alu instid0(VALU_DEP_4) | instskip(NEXT) | instid1(VALU_DEP_2)
	v_add3_u32 v34, v34, v38, v37
	v_add3_u32 v36, v36, v40, v39
	s_delay_alu instid0(VALU_DEP_2) | instskip(NEXT) | instid1(VALU_DEP_2)
	v_lshlrev_b64 v[33:34], 3, v[33:34]
	v_lshlrev_b64 v[37:38], 3, v[35:36]
	s_delay_alu instid0(VALU_DEP_2) | instskip(NEXT) | instid1(VALU_DEP_3)
	v_add_co_u32 v35, vcc_lo, s8, v33
	v_add_co_ci_u32_e32 v36, vcc_lo, s9, v34, vcc_lo
	s_delay_alu instid0(VALU_DEP_3) | instskip(NEXT) | instid1(VALU_DEP_4)
	v_add_co_u32 v33, vcc_lo, s8, v37
	v_add_co_ci_u32_e32 v34, vcc_lo, s9, v38, vcc_lo
	s_clause 0x1
	global_load_b64 v[37:38], v[35:36], off
	global_load_b64 v[39:40], v[33:34], off
	s_waitcnt vmcnt(0)
	v_cmpx_eq_f64_e32 v[37:38], v[39:40]
	s_cbranch_execz .LBB845_150
; %bb.144:
	v_add_co_u32 v33, vcc_lo, v33, 8
	v_add_co_ci_u32_e32 v34, vcc_lo, 0, v34, vcc_lo
	v_add_co_u32 v35, vcc_lo, v35, 8
	v_add_co_ci_u32_e32 v36, vcc_lo, 0, v36, vcc_lo
	s_add_u32 s6, s22, -1
	s_addc_u32 s7, s23, -1
	s_mov_b64 s[18:19], 0
	s_mov_b32 s30, 0
                                        ; implicit-def: $sgpr31
	s_set_inst_prefetch_distance 0x1
	s_branch .LBB845_147
	.p2align	6
.LBB845_145:                            ;   in Loop: Header=BB845_147 Depth=1
	global_load_b64 v[37:38], v[35:36], off
	global_load_b64 v[39:40], v[33:34], off
	v_add_co_u32 v33, s2, v33, 8
	s_delay_alu instid0(VALU_DEP_1) | instskip(SKIP_1) | instid1(VALU_DEP_1)
	v_add_co_ci_u32_e64 v34, s2, 0, v34, s2
	v_add_co_u32 v35, s2, v35, 8
	v_add_co_ci_u32_e64 v36, s2, 0, v36, s2
	s_add_u32 s18, s18, 1
	s_addc_u32 s19, s19, 0
	s_and_not1_b32 s2, s31, exec_lo
	s_waitcnt vmcnt(0)
	v_cmp_neq_f64_e32 vcc_lo, v[37:38], v[39:40]
	s_and_b32 s31, vcc_lo, exec_lo
	s_delay_alu instid0(SALU_CYCLE_1)
	s_or_b32 s31, s2, s31
.LBB845_146:                            ;   in Loop: Header=BB845_147 Depth=1
	v_dual_mov_b32 v38, s19 :: v_dual_mov_b32 v37, s18
	s_and_b32 s2, exec_lo, s31
	s_delay_alu instid0(SALU_CYCLE_1) | instskip(NEXT) | instid1(SALU_CYCLE_1)
	s_or_b32 s30, s2, s30
	s_and_not1_b32 exec_lo, exec_lo, s30
	s_cbranch_execz .LBB845_149
.LBB845_147:                            ; =>This Inner Loop Header: Depth=1
	s_or_b32 s31, s31, exec_lo
	s_cmp_eq_u64 s[6:7], s[18:19]
	s_cbranch_scc0 .LBB845_145
; %bb.148:                              ;   in Loop: Header=BB845_147 Depth=1
	s_mov_b64 s[18:19], s[22:23]
                                        ; implicit-def: $vgpr33_vgpr34
                                        ; implicit-def: $vgpr35_vgpr36
	s_branch .LBB845_146
.LBB845_149:
	s_set_inst_prefetch_distance 0x2
	s_or_b32 exec_lo, exec_lo, s30
	v_cmp_gt_i64_e32 vcc_lo, s[22:23], v[37:38]
	s_or_not1_b32 s2, vcc_lo, exec_lo
.LBB845_150:
	s_or_b32 exec_lo, exec_lo, s25
.LBB845_151:
	s_delay_alu instid0(SALU_CYCLE_1)
	s_and_b32 s25, s2, exec_lo
.LBB845_152:
	s_or_b32 exec_lo, exec_lo, s29
	v_or_b32_e32 v33, 4, v55
	s_mov_b32 s29, exec_lo
	s_delay_alu instid0(VALU_DEP_1)
	v_cmpx_gt_u32_e64 s28, v33
	s_cbranch_execz .LBB845_163
; %bb.153:
	v_cmp_ne_u32_e32 vcc_lo, 1, v41
	s_mov_b32 s2, 0
	s_cbranch_vccnz .LBB845_162
; %bb.154:
	v_mul_lo_u32 v37, v28, s22
	v_mul_lo_u32 v38, v27, s23
	v_mad_u64_u32 v[33:34], null, v27, s22, 0
	v_mul_lo_u32 v39, v22, s22
	v_mul_lo_u32 v40, v21, s23
	s_waitcnt lgkmcnt(0)
	v_mad_u64_u32 v[35:36], null, v21, s22, 0
	s_mov_b32 s2, -1
	s_mov_b32 s27, exec_lo
	s_delay_alu instid0(VALU_DEP_4) | instskip(NEXT) | instid1(VALU_DEP_2)
	v_add3_u32 v34, v34, v38, v37
	v_add3_u32 v36, v36, v40, v39
	s_delay_alu instid0(VALU_DEP_2) | instskip(NEXT) | instid1(VALU_DEP_2)
	v_lshlrev_b64 v[33:34], 3, v[33:34]
	v_lshlrev_b64 v[37:38], 3, v[35:36]
	s_delay_alu instid0(VALU_DEP_2) | instskip(NEXT) | instid1(VALU_DEP_3)
	v_add_co_u32 v35, vcc_lo, s8, v33
	v_add_co_ci_u32_e32 v36, vcc_lo, s9, v34, vcc_lo
	s_delay_alu instid0(VALU_DEP_3) | instskip(NEXT) | instid1(VALU_DEP_4)
	v_add_co_u32 v33, vcc_lo, s8, v37
	v_add_co_ci_u32_e32 v34, vcc_lo, s9, v38, vcc_lo
	s_clause 0x1
	global_load_b64 v[37:38], v[35:36], off
	global_load_b64 v[39:40], v[33:34], off
	s_waitcnt vmcnt(0)
	v_cmpx_eq_f64_e32 v[37:38], v[39:40]
	s_cbranch_execz .LBB845_161
; %bb.155:
	v_add_co_u32 v33, vcc_lo, v33, 8
	v_add_co_ci_u32_e32 v34, vcc_lo, 0, v34, vcc_lo
	v_add_co_u32 v35, vcc_lo, v35, 8
	v_add_co_ci_u32_e32 v36, vcc_lo, 0, v36, vcc_lo
	s_add_u32 s6, s22, -1
	s_addc_u32 s7, s23, -1
	s_mov_b64 s[18:19], 0
	s_mov_b32 s30, 0
                                        ; implicit-def: $sgpr31
	s_set_inst_prefetch_distance 0x1
	s_branch .LBB845_158
	.p2align	6
.LBB845_156:                            ;   in Loop: Header=BB845_158 Depth=1
	global_load_b64 v[37:38], v[35:36], off
	global_load_b64 v[39:40], v[33:34], off
	v_add_co_u32 v33, s2, v33, 8
	s_delay_alu instid0(VALU_DEP_1) | instskip(SKIP_1) | instid1(VALU_DEP_1)
	v_add_co_ci_u32_e64 v34, s2, 0, v34, s2
	v_add_co_u32 v35, s2, v35, 8
	v_add_co_ci_u32_e64 v36, s2, 0, v36, s2
	s_add_u32 s18, s18, 1
	s_addc_u32 s19, s19, 0
	s_and_not1_b32 s2, s31, exec_lo
	s_waitcnt vmcnt(0)
	v_cmp_neq_f64_e32 vcc_lo, v[37:38], v[39:40]
	s_and_b32 s31, vcc_lo, exec_lo
	s_delay_alu instid0(SALU_CYCLE_1)
	s_or_b32 s31, s2, s31
.LBB845_157:                            ;   in Loop: Header=BB845_158 Depth=1
	v_dual_mov_b32 v38, s19 :: v_dual_mov_b32 v37, s18
	s_and_b32 s2, exec_lo, s31
	s_delay_alu instid0(SALU_CYCLE_1) | instskip(NEXT) | instid1(SALU_CYCLE_1)
	s_or_b32 s30, s2, s30
	s_and_not1_b32 exec_lo, exec_lo, s30
	s_cbranch_execz .LBB845_160
.LBB845_158:                            ; =>This Inner Loop Header: Depth=1
	s_or_b32 s31, s31, exec_lo
	s_cmp_eq_u64 s[6:7], s[18:19]
	s_cbranch_scc0 .LBB845_156
; %bb.159:                              ;   in Loop: Header=BB845_158 Depth=1
	s_mov_b64 s[18:19], s[22:23]
                                        ; implicit-def: $vgpr33_vgpr34
                                        ; implicit-def: $vgpr35_vgpr36
	s_branch .LBB845_157
.LBB845_160:
	s_set_inst_prefetch_distance 0x2
	s_or_b32 exec_lo, exec_lo, s30
	v_cmp_gt_i64_e32 vcc_lo, s[22:23], v[37:38]
	s_or_not1_b32 s2, vcc_lo, exec_lo
.LBB845_161:
	s_or_b32 exec_lo, exec_lo, s27
.LBB845_162:
	s_delay_alu instid0(SALU_CYCLE_1)
	s_and_b32 s27, s2, exec_lo
.LBB845_163:
	s_or_b32 exec_lo, exec_lo, s29
	v_or_b32_e32 v33, 3, v55
	s_mov_b32 s30, 0
	s_mov_b32 s29, 0
	s_mov_b32 s31, exec_lo
	s_delay_alu instid0(VALU_DEP_1)
	v_cmpx_gt_u32_e64 s28, v33
	s_cbranch_execz .LBB845_174
; %bb.164:
	v_cmp_ne_u32_e32 vcc_lo, 1, v41
	s_mov_b32 s2, 0
	s_cbranch_vccnz .LBB845_173
; %bb.165:
	v_mul_lo_u32 v37, v26, s22
	v_mul_lo_u32 v38, v25, s23
	v_mad_u64_u32 v[33:34], null, v25, s22, 0
	v_mul_lo_u32 v39, v28, s22
	v_mul_lo_u32 v40, v27, s23
	s_waitcnt lgkmcnt(0)
	v_mad_u64_u32 v[35:36], null, v27, s22, 0
	s_mov_b32 s2, -1
	s_mov_b32 s29, exec_lo
	s_delay_alu instid0(VALU_DEP_4) | instskip(NEXT) | instid1(VALU_DEP_2)
	v_add3_u32 v34, v34, v38, v37
	v_add3_u32 v36, v36, v40, v39
	s_delay_alu instid0(VALU_DEP_2) | instskip(NEXT) | instid1(VALU_DEP_2)
	v_lshlrev_b64 v[33:34], 3, v[33:34]
	v_lshlrev_b64 v[37:38], 3, v[35:36]
	s_delay_alu instid0(VALU_DEP_2) | instskip(NEXT) | instid1(VALU_DEP_3)
	v_add_co_u32 v35, vcc_lo, s8, v33
	v_add_co_ci_u32_e32 v36, vcc_lo, s9, v34, vcc_lo
	s_delay_alu instid0(VALU_DEP_3) | instskip(NEXT) | instid1(VALU_DEP_4)
	v_add_co_u32 v33, vcc_lo, s8, v37
	v_add_co_ci_u32_e32 v34, vcc_lo, s9, v38, vcc_lo
	s_clause 0x1
	global_load_b64 v[37:38], v[35:36], off
	global_load_b64 v[39:40], v[33:34], off
	s_waitcnt vmcnt(0)
	v_cmpx_eq_f64_e32 v[37:38], v[39:40]
	s_cbranch_execz .LBB845_172
; %bb.166:
	v_add_co_u32 v33, vcc_lo, v33, 8
	v_add_co_ci_u32_e32 v34, vcc_lo, 0, v34, vcc_lo
	v_add_co_u32 v35, vcc_lo, v35, 8
	v_add_co_ci_u32_e32 v36, vcc_lo, 0, v36, vcc_lo
	s_add_u32 s6, s22, -1
	s_addc_u32 s7, s23, -1
	s_mov_b64 s[18:19], 0
	s_mov_b32 s33, 0
                                        ; implicit-def: $sgpr34
	s_set_inst_prefetch_distance 0x1
	s_branch .LBB845_169
	.p2align	6
.LBB845_167:                            ;   in Loop: Header=BB845_169 Depth=1
	global_load_b64 v[37:38], v[35:36], off
	global_load_b64 v[39:40], v[33:34], off
	v_add_co_u32 v33, s2, v33, 8
	s_delay_alu instid0(VALU_DEP_1) | instskip(SKIP_1) | instid1(VALU_DEP_1)
	v_add_co_ci_u32_e64 v34, s2, 0, v34, s2
	v_add_co_u32 v35, s2, v35, 8
	v_add_co_ci_u32_e64 v36, s2, 0, v36, s2
	s_add_u32 s18, s18, 1
	s_addc_u32 s19, s19, 0
	s_and_not1_b32 s2, s34, exec_lo
	s_waitcnt vmcnt(0)
	v_cmp_neq_f64_e32 vcc_lo, v[37:38], v[39:40]
	s_and_b32 s34, vcc_lo, exec_lo
	s_delay_alu instid0(SALU_CYCLE_1)
	s_or_b32 s34, s2, s34
.LBB845_168:                            ;   in Loop: Header=BB845_169 Depth=1
	v_dual_mov_b32 v38, s19 :: v_dual_mov_b32 v37, s18
	s_and_b32 s2, exec_lo, s34
	s_delay_alu instid0(SALU_CYCLE_1) | instskip(NEXT) | instid1(SALU_CYCLE_1)
	s_or_b32 s33, s2, s33
	s_and_not1_b32 exec_lo, exec_lo, s33
	s_cbranch_execz .LBB845_171
.LBB845_169:                            ; =>This Inner Loop Header: Depth=1
	s_or_b32 s34, s34, exec_lo
	s_cmp_eq_u64 s[6:7], s[18:19]
	s_cbranch_scc0 .LBB845_167
; %bb.170:                              ;   in Loop: Header=BB845_169 Depth=1
	s_mov_b64 s[18:19], s[22:23]
                                        ; implicit-def: $vgpr33_vgpr34
                                        ; implicit-def: $vgpr35_vgpr36
	s_branch .LBB845_168
.LBB845_171:
	s_set_inst_prefetch_distance 0x2
	s_or_b32 exec_lo, exec_lo, s33
	v_cmp_gt_i64_e32 vcc_lo, s[22:23], v[37:38]
	s_or_not1_b32 s2, vcc_lo, exec_lo
.LBB845_172:
	s_or_b32 exec_lo, exec_lo, s29
.LBB845_173:
	s_delay_alu instid0(SALU_CYCLE_1)
	s_and_b32 s29, s2, exec_lo
.LBB845_174:
	s_or_b32 exec_lo, exec_lo, s31
	v_or_b32_e32 v33, 2, v55
	s_mov_b32 s31, exec_lo
	s_delay_alu instid0(VALU_DEP_1)
	v_cmpx_gt_u32_e64 s28, v33
	s_cbranch_execz .LBB845_185
; %bb.175:
	v_cmp_ne_u32_e32 vcc_lo, 1, v41
	s_mov_b32 s2, 0
	s_cbranch_vccnz .LBB845_184
; %bb.176:
	v_mul_lo_u32 v37, v32, s22
	v_mul_lo_u32 v38, v31, s23
	v_mad_u64_u32 v[33:34], null, v31, s22, 0
	v_mul_lo_u32 v39, v26, s22
	v_mul_lo_u32 v40, v25, s23
	s_waitcnt lgkmcnt(0)
	v_mad_u64_u32 v[35:36], null, v25, s22, 0
	s_mov_b32 s2, -1
	s_mov_b32 s30, exec_lo
	s_delay_alu instid0(VALU_DEP_4) | instskip(NEXT) | instid1(VALU_DEP_2)
	v_add3_u32 v34, v34, v38, v37
	v_add3_u32 v36, v36, v40, v39
	s_delay_alu instid0(VALU_DEP_2) | instskip(NEXT) | instid1(VALU_DEP_2)
	v_lshlrev_b64 v[33:34], 3, v[33:34]
	v_lshlrev_b64 v[37:38], 3, v[35:36]
	s_delay_alu instid0(VALU_DEP_2) | instskip(NEXT) | instid1(VALU_DEP_3)
	v_add_co_u32 v35, vcc_lo, s8, v33
	v_add_co_ci_u32_e32 v36, vcc_lo, s9, v34, vcc_lo
	s_delay_alu instid0(VALU_DEP_3) | instskip(NEXT) | instid1(VALU_DEP_4)
	v_add_co_u32 v33, vcc_lo, s8, v37
	v_add_co_ci_u32_e32 v34, vcc_lo, s9, v38, vcc_lo
	s_clause 0x1
	global_load_b64 v[37:38], v[35:36], off
	global_load_b64 v[39:40], v[33:34], off
	s_waitcnt vmcnt(0)
	v_cmpx_eq_f64_e32 v[37:38], v[39:40]
	s_cbranch_execz .LBB845_183
; %bb.177:
	v_add_co_u32 v33, vcc_lo, v33, 8
	v_add_co_ci_u32_e32 v34, vcc_lo, 0, v34, vcc_lo
	v_add_co_u32 v35, vcc_lo, v35, 8
	v_add_co_ci_u32_e32 v36, vcc_lo, 0, v36, vcc_lo
	s_add_u32 s6, s22, -1
	s_addc_u32 s7, s23, -1
	s_mov_b64 s[18:19], 0
	s_mov_b32 s33, 0
                                        ; implicit-def: $sgpr34
	s_set_inst_prefetch_distance 0x1
	s_branch .LBB845_180
	.p2align	6
.LBB845_178:                            ;   in Loop: Header=BB845_180 Depth=1
	global_load_b64 v[37:38], v[35:36], off
	global_load_b64 v[39:40], v[33:34], off
	v_add_co_u32 v33, s2, v33, 8
	s_delay_alu instid0(VALU_DEP_1) | instskip(SKIP_1) | instid1(VALU_DEP_1)
	v_add_co_ci_u32_e64 v34, s2, 0, v34, s2
	v_add_co_u32 v35, s2, v35, 8
	v_add_co_ci_u32_e64 v36, s2, 0, v36, s2
	s_add_u32 s18, s18, 1
	s_addc_u32 s19, s19, 0
	s_and_not1_b32 s2, s34, exec_lo
	s_waitcnt vmcnt(0)
	v_cmp_neq_f64_e32 vcc_lo, v[37:38], v[39:40]
	s_and_b32 s34, vcc_lo, exec_lo
	s_delay_alu instid0(SALU_CYCLE_1)
	s_or_b32 s34, s2, s34
.LBB845_179:                            ;   in Loop: Header=BB845_180 Depth=1
	v_dual_mov_b32 v38, s19 :: v_dual_mov_b32 v37, s18
	s_and_b32 s2, exec_lo, s34
	s_delay_alu instid0(SALU_CYCLE_1) | instskip(NEXT) | instid1(SALU_CYCLE_1)
	s_or_b32 s33, s2, s33
	s_and_not1_b32 exec_lo, exec_lo, s33
	s_cbranch_execz .LBB845_182
.LBB845_180:                            ; =>This Inner Loop Header: Depth=1
	s_or_b32 s34, s34, exec_lo
	s_cmp_eq_u64 s[6:7], s[18:19]
	s_cbranch_scc0 .LBB845_178
; %bb.181:                              ;   in Loop: Header=BB845_180 Depth=1
	s_mov_b64 s[18:19], s[22:23]
                                        ; implicit-def: $vgpr33_vgpr34
                                        ; implicit-def: $vgpr35_vgpr36
	s_branch .LBB845_179
.LBB845_182:
	s_set_inst_prefetch_distance 0x2
	s_or_b32 exec_lo, exec_lo, s33
	v_cmp_gt_i64_e32 vcc_lo, s[22:23], v[37:38]
	s_or_not1_b32 s2, vcc_lo, exec_lo
.LBB845_183:
	s_or_b32 exec_lo, exec_lo, s30
.LBB845_184:
	s_delay_alu instid0(SALU_CYCLE_1)
	s_and_b32 s30, s2, exec_lo
.LBB845_185:
	s_or_b32 exec_lo, exec_lo, s31
	v_or_b32_e32 v33, 1, v55
	s_mov_b32 s2, 0
	s_mov_b32 s31, exec_lo
	s_delay_alu instid0(VALU_DEP_1)
	v_cmpx_gt_u32_e64 s28, v33
	s_cbranch_execz .LBB845_196
; %bb.186:
	v_cmp_ne_u32_e32 vcc_lo, 1, v41
	s_cbranch_vccnz .LBB845_195
; %bb.187:
	v_mul_lo_u32 v37, v30, s22
	v_mul_lo_u32 v38, v29, s23
	v_mad_u64_u32 v[33:34], null, v29, s22, 0
	v_mul_lo_u32 v39, v32, s22
	v_mul_lo_u32 v40, v31, s23
	s_waitcnt lgkmcnt(0)
	v_mad_u64_u32 v[35:36], null, v31, s22, 0
	s_mov_b32 s2, -1
	s_mov_b32 s33, exec_lo
	s_delay_alu instid0(VALU_DEP_4) | instskip(NEXT) | instid1(VALU_DEP_2)
	v_add3_u32 v34, v34, v38, v37
	v_add3_u32 v36, v36, v40, v39
	s_delay_alu instid0(VALU_DEP_2) | instskip(NEXT) | instid1(VALU_DEP_2)
	v_lshlrev_b64 v[33:34], 3, v[33:34]
	v_lshlrev_b64 v[37:38], 3, v[35:36]
	s_delay_alu instid0(VALU_DEP_2) | instskip(NEXT) | instid1(VALU_DEP_3)
	v_add_co_u32 v35, vcc_lo, s8, v33
	v_add_co_ci_u32_e32 v36, vcc_lo, s9, v34, vcc_lo
	s_delay_alu instid0(VALU_DEP_3) | instskip(NEXT) | instid1(VALU_DEP_4)
	v_add_co_u32 v33, vcc_lo, s8, v37
	v_add_co_ci_u32_e32 v34, vcc_lo, s9, v38, vcc_lo
	s_clause 0x1
	global_load_b64 v[37:38], v[35:36], off
	global_load_b64 v[39:40], v[33:34], off
	s_waitcnt vmcnt(0)
	v_cmpx_eq_f64_e32 v[37:38], v[39:40]
	s_cbranch_execz .LBB845_194
; %bb.188:
	v_add_co_u32 v33, vcc_lo, v33, 8
	v_add_co_ci_u32_e32 v34, vcc_lo, 0, v34, vcc_lo
	v_add_co_u32 v35, vcc_lo, v35, 8
	v_add_co_ci_u32_e32 v36, vcc_lo, 0, v36, vcc_lo
	s_add_u32 s6, s22, -1
	s_addc_u32 s7, s23, -1
	s_mov_b64 s[18:19], 0
	s_mov_b32 s34, 0
                                        ; implicit-def: $sgpr35
	s_set_inst_prefetch_distance 0x1
	s_branch .LBB845_191
	.p2align	6
.LBB845_189:                            ;   in Loop: Header=BB845_191 Depth=1
	global_load_b64 v[37:38], v[35:36], off
	global_load_b64 v[39:40], v[33:34], off
	v_add_co_u32 v33, s2, v33, 8
	s_delay_alu instid0(VALU_DEP_1) | instskip(SKIP_1) | instid1(VALU_DEP_1)
	v_add_co_ci_u32_e64 v34, s2, 0, v34, s2
	v_add_co_u32 v35, s2, v35, 8
	v_add_co_ci_u32_e64 v36, s2, 0, v36, s2
	s_add_u32 s18, s18, 1
	s_addc_u32 s19, s19, 0
	s_and_not1_b32 s2, s35, exec_lo
	s_waitcnt vmcnt(0)
	v_cmp_neq_f64_e32 vcc_lo, v[37:38], v[39:40]
	s_and_b32 s35, vcc_lo, exec_lo
	s_delay_alu instid0(SALU_CYCLE_1)
	s_or_b32 s35, s2, s35
.LBB845_190:                            ;   in Loop: Header=BB845_191 Depth=1
	v_dual_mov_b32 v38, s19 :: v_dual_mov_b32 v37, s18
	s_and_b32 s2, exec_lo, s35
	s_delay_alu instid0(SALU_CYCLE_1) | instskip(NEXT) | instid1(SALU_CYCLE_1)
	s_or_b32 s34, s2, s34
	s_and_not1_b32 exec_lo, exec_lo, s34
	s_cbranch_execz .LBB845_193
.LBB845_191:                            ; =>This Inner Loop Header: Depth=1
	s_or_b32 s35, s35, exec_lo
	s_cmp_eq_u64 s[6:7], s[18:19]
	s_cbranch_scc0 .LBB845_189
; %bb.192:                              ;   in Loop: Header=BB845_191 Depth=1
	s_mov_b64 s[18:19], s[22:23]
                                        ; implicit-def: $vgpr33_vgpr34
                                        ; implicit-def: $vgpr35_vgpr36
	s_branch .LBB845_190
.LBB845_193:
	s_set_inst_prefetch_distance 0x2
	s_or_b32 exec_lo, exec_lo, s34
	v_cmp_gt_i64_e32 vcc_lo, s[22:23], v[37:38]
	s_or_not1_b32 s2, vcc_lo, exec_lo
.LBB845_194:
	s_or_b32 exec_lo, exec_lo, s33
.LBB845_195:
	s_delay_alu instid0(SALU_CYCLE_1)
	s_and_b32 s2, s2, exec_lo
.LBB845_196:
	s_or_b32 exec_lo, exec_lo, s31
	s_waitcnt lgkmcnt(0)
	v_dual_mov_b32 v34, s5 :: v_dual_mov_b32 v33, s4
	s_mov_b32 s4, exec_lo
	s_barrier
	buffer_gl0_inv
	v_cmpx_ne_u32_e32 0, v0
	s_cbranch_execz .LBB845_198
; %bb.197:
	v_add_nc_u32_e32 v33, -8, v55
	ds_load_b64 v[33:34], v33
.LBB845_198:
	s_or_b32 exec_lo, exec_lo, s4
	v_cndmask_b32_e64 v36, 0, 1, s29
	v_cndmask_b32_e64 v38, 0, 1, s25
	;; [unrolled: 1-line block ×7, first 2 shown]
	v_lshlrev_b16 v36, 8, v36
	v_lshlrev_b16 v38, 8, v38
	;; [unrolled: 1-line block ×3, first 2 shown]
	s_mov_b32 s2, 0
	v_lshlrev_b16 v42, 8, v42
	v_or_b32_e32 v35, v35, v36
	v_or_b32_e32 v36, v37, v38
	;; [unrolled: 1-line block ×3, first 2 shown]
	s_mov_b32 s3, exec_lo
	v_and_b32_e32 v39, 0xffff, v42
	v_lshlrev_b32_e32 v40, 16, v35
	v_and_b32_e32 v42, 0xffff, v36
	v_lshlrev_b32_e32 v43, 16, v37
	v_cmpx_gt_u32_e64 s28, v55
	s_cbranch_execz .LBB845_209
; %bb.199:
	v_cmp_ne_u32_e32 vcc_lo, 1, v41
	s_cbranch_vccnz .LBB845_208
; %bb.200:
	s_waitcnt lgkmcnt(0)
	v_mul_lo_u32 v38, v34, s22
	v_mul_lo_u32 v41, v33, s23
	v_mad_u64_u32 v[34:35], null, v33, s22, 0
	v_mul_lo_u32 v33, v30, s22
	v_mul_lo_u32 v44, v29, s23
	v_mad_u64_u32 v[36:37], null, v29, s22, 0
	s_mov_b32 s2, -1
	s_mov_b32 s18, exec_lo
	s_delay_alu instid0(VALU_DEP_4) | instskip(NEXT) | instid1(VALU_DEP_2)
	v_add3_u32 v35, v35, v41, v38
	v_add3_u32 v37, v37, v44, v33
	s_delay_alu instid0(VALU_DEP_2) | instskip(NEXT) | instid1(VALU_DEP_2)
	v_lshlrev_b64 v[33:34], 3, v[34:35]
	v_lshlrev_b64 v[37:38], 3, v[36:37]
	s_delay_alu instid0(VALU_DEP_2) | instskip(NEXT) | instid1(VALU_DEP_3)
	v_add_co_u32 v35, vcc_lo, s8, v33
	v_add_co_ci_u32_e32 v36, vcc_lo, s9, v34, vcc_lo
	s_delay_alu instid0(VALU_DEP_3) | instskip(NEXT) | instid1(VALU_DEP_4)
	v_add_co_u32 v33, vcc_lo, s8, v37
	v_add_co_ci_u32_e32 v34, vcc_lo, s9, v38, vcc_lo
	s_clause 0x1
	global_load_b64 v[37:38], v[35:36], off
	global_load_b64 v[44:45], v[33:34], off
	s_waitcnt vmcnt(0)
	v_cmpx_eq_f64_e32 v[37:38], v[44:45]
	s_cbranch_execz .LBB845_207
; %bb.201:
	v_add_co_u32 v33, vcc_lo, v33, 8
	v_add_co_ci_u32_e32 v34, vcc_lo, 0, v34, vcc_lo
	v_add_co_u32 v35, vcc_lo, v35, 8
	v_add_co_ci_u32_e32 v36, vcc_lo, 0, v36, vcc_lo
	s_add_u32 s4, s22, -1
	s_addc_u32 s5, s23, -1
	s_mov_b64 s[6:7], 0
	s_mov_b32 s19, 0
                                        ; implicit-def: $sgpr25
	s_set_inst_prefetch_distance 0x1
	s_branch .LBB845_204
	.p2align	6
.LBB845_202:                            ;   in Loop: Header=BB845_204 Depth=1
	global_load_b64 v[37:38], v[35:36], off
	global_load_b64 v[44:45], v[33:34], off
	v_add_co_u32 v33, s2, v33, 8
	s_delay_alu instid0(VALU_DEP_1) | instskip(SKIP_1) | instid1(VALU_DEP_1)
	v_add_co_ci_u32_e64 v34, s2, 0, v34, s2
	v_add_co_u32 v35, s2, v35, 8
	v_add_co_ci_u32_e64 v36, s2, 0, v36, s2
	s_add_u32 s6, s6, 1
	s_addc_u32 s7, s7, 0
	s_and_not1_b32 s2, s25, exec_lo
	s_waitcnt vmcnt(0)
	v_cmp_neq_f64_e32 vcc_lo, v[37:38], v[44:45]
	s_and_b32 s25, vcc_lo, exec_lo
	s_delay_alu instid0(SALU_CYCLE_1)
	s_or_b32 s25, s2, s25
.LBB845_203:                            ;   in Loop: Header=BB845_204 Depth=1
	v_dual_mov_b32 v38, s7 :: v_dual_mov_b32 v37, s6
	s_and_b32 s2, exec_lo, s25
	s_delay_alu instid0(SALU_CYCLE_1) | instskip(NEXT) | instid1(SALU_CYCLE_1)
	s_or_b32 s19, s2, s19
	s_and_not1_b32 exec_lo, exec_lo, s19
	s_cbranch_execz .LBB845_206
.LBB845_204:                            ; =>This Inner Loop Header: Depth=1
	s_or_b32 s25, s25, exec_lo
	s_cmp_eq_u64 s[4:5], s[6:7]
	s_cbranch_scc0 .LBB845_202
; %bb.205:                              ;   in Loop: Header=BB845_204 Depth=1
	s_mov_b64 s[6:7], s[22:23]
                                        ; implicit-def: $vgpr33_vgpr34
                                        ; implicit-def: $vgpr35_vgpr36
	s_branch .LBB845_203
.LBB845_206:
	s_set_inst_prefetch_distance 0x2
	s_or_b32 exec_lo, exec_lo, s19
	v_cmp_gt_i64_e32 vcc_lo, s[22:23], v[37:38]
	s_or_not1_b32 s2, vcc_lo, exec_lo
.LBB845_207:
	s_or_b32 exec_lo, exec_lo, s18
.LBB845_208:
	s_delay_alu instid0(SALU_CYCLE_1)
	s_and_b32 s2, s2, exec_lo
.LBB845_209:
	s_or_b32 exec_lo, exec_lo, s3
	s_waitcnt lgkmcnt(0)
	v_or_b32_e32 v33, v39, v40
	v_or_b32_e32 v34, v42, v43
.LBB845_210:
	s_waitcnt lgkmcnt(0)
	s_mov_b32 s3, -1
	s_cbranch_execnz .LBB845_379
.LBB845_211:
	v_cmp_gt_i64_e64 s18, s[22:23], 0
	s_and_b32 vcc_lo, exec_lo, s20
	ds_store_b64 v55, v[19:20]
	s_cbranch_vccz .LBB845_219
; %bb.212:
	v_mul_lo_u32 v35, v18, s22
	v_mul_lo_u32 v36, v17, s23
	v_mad_u64_u32 v[33:34], null, v17, s22, 0
	s_mov_b32 s19, 0
	s_and_not1_b32 vcc_lo, exec_lo, s18
	s_mov_b32 s25, 0
	s_delay_alu instid0(VALU_DEP_1) | instskip(NEXT) | instid1(VALU_DEP_1)
	v_add3_u32 v34, v34, v36, v35
	v_lshlrev_b64 v[33:34], 3, v[33:34]
	s_cbranch_vccnz .LBB845_222
; %bb.213:
	v_mul_lo_u32 v37, v20, s22
	v_mul_lo_u32 v38, v19, s23
	v_mad_u64_u32 v[35:36], null, v19, s22, 0
	s_mov_b32 s25, -1
	s_mov_b32 s26, exec_lo
	s_delay_alu instid0(VALU_DEP_1) | instskip(SKIP_2) | instid1(VALU_DEP_3)
	v_add3_u32 v36, v36, v38, v37
	v_add_co_u32 v37, vcc_lo, s8, v33
	v_add_co_ci_u32_e32 v38, vcc_lo, s9, v34, vcc_lo
	v_lshlrev_b64 v[35:36], 3, v[35:36]
	s_delay_alu instid0(VALU_DEP_1) | instskip(NEXT) | instid1(VALU_DEP_2)
	v_add_co_u32 v35, vcc_lo, s8, v35
	v_add_co_ci_u32_e32 v36, vcc_lo, s9, v36, vcc_lo
	s_clause 0x1
	global_load_b64 v[39:40], v[37:38], off
	global_load_b64 v[41:42], v[35:36], off
	s_waitcnt vmcnt(0)
	v_cmpx_eq_f64_e32 v[39:40], v[41:42]
	s_cbranch_execz .LBB845_221
; %bb.214:
	v_add_co_u32 v35, vcc_lo, v35, 8
	v_add_co_ci_u32_e32 v36, vcc_lo, 0, v36, vcc_lo
	v_add_co_u32 v37, vcc_lo, v37, 8
	v_add_co_ci_u32_e32 v38, vcc_lo, 0, v38, vcc_lo
	s_add_u32 s4, s22, -1
	s_addc_u32 s5, s23, -1
	s_mov_b64 s[6:7], 0
	s_mov_b32 s25, 0
                                        ; implicit-def: $sgpr27
	s_set_inst_prefetch_distance 0x1
	s_branch .LBB845_217
	.p2align	6
.LBB845_215:                            ;   in Loop: Header=BB845_217 Depth=1
	global_load_b64 v[39:40], v[37:38], off
	global_load_b64 v[41:42], v[35:36], off
	v_add_co_u32 v35, s2, v35, 8
	s_delay_alu instid0(VALU_DEP_1) | instskip(SKIP_1) | instid1(VALU_DEP_1)
	v_add_co_ci_u32_e64 v36, s2, 0, v36, s2
	v_add_co_u32 v37, s2, v37, 8
	v_add_co_ci_u32_e64 v38, s2, 0, v38, s2
	s_add_u32 s6, s6, 1
	s_addc_u32 s7, s7, 0
	s_and_not1_b32 s2, s27, exec_lo
	s_waitcnt vmcnt(0)
	v_cmp_neq_f64_e32 vcc_lo, v[39:40], v[41:42]
	s_and_b32 s27, vcc_lo, exec_lo
	s_delay_alu instid0(SALU_CYCLE_1)
	s_or_b32 s27, s2, s27
.LBB845_216:                            ;   in Loop: Header=BB845_217 Depth=1
	v_dual_mov_b32 v40, s7 :: v_dual_mov_b32 v39, s6
	s_and_b32 s2, exec_lo, s27
	s_delay_alu instid0(SALU_CYCLE_1) | instskip(NEXT) | instid1(SALU_CYCLE_1)
	s_or_b32 s25, s2, s25
	s_and_not1_b32 exec_lo, exec_lo, s25
	s_cbranch_execz .LBB845_220
.LBB845_217:                            ; =>This Inner Loop Header: Depth=1
	s_or_b32 s27, s27, exec_lo
	s_cmp_eq_u64 s[4:5], s[6:7]
	s_cbranch_scc0 .LBB845_215
; %bb.218:                              ;   in Loop: Header=BB845_217 Depth=1
	s_mov_b64 s[6:7], s[22:23]
                                        ; implicit-def: $vgpr35_vgpr36
                                        ; implicit-def: $vgpr37_vgpr38
	s_branch .LBB845_216
.LBB845_219:
                                        ; implicit-def: $sgpr2
                                        ; implicit-def: $vgpr34
	s_cbranch_execnz .LBB845_288
	s_branch .LBB845_379
.LBB845_220:
	s_set_inst_prefetch_distance 0x2
	s_or_b32 exec_lo, exec_lo, s25
	v_cmp_gt_i64_e32 vcc_lo, s[22:23], v[39:40]
	s_or_not1_b32 s25, vcc_lo, exec_lo
.LBB845_221:
	s_or_b32 exec_lo, exec_lo, s26
.LBB845_222:
	v_mul_lo_u32 v37, v24, s22
	v_mul_lo_u32 v38, v23, s23
	v_mad_u64_u32 v[35:36], null, v23, s22, 0
	s_and_not1_b32 vcc_lo, exec_lo, s18
	s_delay_alu instid0(VALU_DEP_1) | instskip(NEXT) | instid1(VALU_DEP_1)
	v_add3_u32 v36, v36, v38, v37
	v_lshlrev_b64 v[35:36], 3, v[35:36]
	s_cbranch_vccnz .LBB845_231
; %bb.223:
	s_delay_alu instid0(VALU_DEP_1) | instskip(NEXT) | instid1(VALU_DEP_2)
	v_add_co_u32 v37, vcc_lo, s8, v35
	v_add_co_ci_u32_e32 v38, vcc_lo, s9, v36, vcc_lo
	v_add_co_u32 v33, vcc_lo, s8, v33
	v_add_co_ci_u32_e32 v34, vcc_lo, s9, v34, vcc_lo
	s_mov_b32 s19, -1
	s_clause 0x1
	global_load_b64 v[39:40], v[37:38], off
	global_load_b64 v[41:42], v[33:34], off
	s_mov_b32 s26, exec_lo
	s_waitcnt vmcnt(0)
	v_cmpx_eq_f64_e32 v[39:40], v[41:42]
	s_cbranch_execz .LBB845_230
; %bb.224:
	v_add_co_u32 v33, vcc_lo, v33, 8
	v_add_co_ci_u32_e32 v34, vcc_lo, 0, v34, vcc_lo
	v_add_co_u32 v37, vcc_lo, v37, 8
	v_add_co_ci_u32_e32 v38, vcc_lo, 0, v38, vcc_lo
	s_add_u32 s4, s22, -1
	s_addc_u32 s5, s23, -1
	s_mov_b64 s[6:7], 0
	s_mov_b32 s19, 0
                                        ; implicit-def: $sgpr27
	s_set_inst_prefetch_distance 0x1
	s_branch .LBB845_227
	.p2align	6
.LBB845_225:                            ;   in Loop: Header=BB845_227 Depth=1
	global_load_b64 v[39:40], v[37:38], off
	global_load_b64 v[41:42], v[33:34], off
	v_add_co_u32 v33, s2, v33, 8
	s_delay_alu instid0(VALU_DEP_1) | instskip(SKIP_1) | instid1(VALU_DEP_1)
	v_add_co_ci_u32_e64 v34, s2, 0, v34, s2
	v_add_co_u32 v37, s2, v37, 8
	v_add_co_ci_u32_e64 v38, s2, 0, v38, s2
	s_add_u32 s6, s6, 1
	s_addc_u32 s7, s7, 0
	s_and_not1_b32 s2, s27, exec_lo
	s_waitcnt vmcnt(0)
	v_cmp_neq_f64_e32 vcc_lo, v[39:40], v[41:42]
	s_and_b32 s27, vcc_lo, exec_lo
	s_delay_alu instid0(SALU_CYCLE_1)
	s_or_b32 s27, s2, s27
.LBB845_226:                            ;   in Loop: Header=BB845_227 Depth=1
	v_dual_mov_b32 v40, s7 :: v_dual_mov_b32 v39, s6
	s_and_b32 s2, exec_lo, s27
	s_delay_alu instid0(SALU_CYCLE_1) | instskip(NEXT) | instid1(SALU_CYCLE_1)
	s_or_b32 s19, s2, s19
	s_and_not1_b32 exec_lo, exec_lo, s19
	s_cbranch_execz .LBB845_229
.LBB845_227:                            ; =>This Inner Loop Header: Depth=1
	s_or_b32 s27, s27, exec_lo
	s_cmp_eq_u64 s[4:5], s[6:7]
	s_cbranch_scc0 .LBB845_225
; %bb.228:                              ;   in Loop: Header=BB845_227 Depth=1
	s_mov_b64 s[6:7], s[22:23]
                                        ; implicit-def: $vgpr33_vgpr34
                                        ; implicit-def: $vgpr37_vgpr38
	s_branch .LBB845_226
.LBB845_229:
	s_set_inst_prefetch_distance 0x2
	s_or_b32 exec_lo, exec_lo, s19
	v_cmp_gt_i64_e32 vcc_lo, s[22:23], v[39:40]
	s_or_not1_b32 s19, vcc_lo, exec_lo
.LBB845_230:
	s_or_b32 exec_lo, exec_lo, s26
.LBB845_231:
	v_mul_lo_u32 v37, v22, s22
	v_mul_lo_u32 v38, v21, s23
	v_mad_u64_u32 v[33:34], null, v21, s22, 0
	s_mov_b32 s26, 0
	s_and_not1_b32 vcc_lo, exec_lo, s18
	s_mov_b32 s27, 0
	s_delay_alu instid0(VALU_DEP_1) | instskip(NEXT) | instid1(VALU_DEP_1)
	v_add3_u32 v34, v34, v38, v37
	v_lshlrev_b64 v[37:38], 3, v[33:34]
	s_cbranch_vccnz .LBB845_240
; %bb.232:
	s_delay_alu instid0(VALU_DEP_1) | instskip(NEXT) | instid1(VALU_DEP_2)
	v_add_co_u32 v39, vcc_lo, s8, v37
	v_add_co_ci_u32_e32 v40, vcc_lo, s9, v38, vcc_lo
	v_add_co_u32 v33, vcc_lo, s8, v35
	v_add_co_ci_u32_e32 v34, vcc_lo, s9, v36, vcc_lo
	s_mov_b32 s27, -1
	s_clause 0x1
	global_load_b64 v[35:36], v[39:40], off
	global_load_b64 v[41:42], v[33:34], off
	s_mov_b32 s29, exec_lo
	s_waitcnt vmcnt(0)
	v_cmpx_eq_f64_e32 v[35:36], v[41:42]
	s_cbranch_execz .LBB845_239
; %bb.233:
	v_add_co_u32 v33, vcc_lo, v33, 8
	v_add_co_ci_u32_e32 v34, vcc_lo, 0, v34, vcc_lo
	v_add_co_u32 v35, vcc_lo, v39, 8
	v_add_co_ci_u32_e32 v36, vcc_lo, 0, v40, vcc_lo
	s_add_u32 s4, s22, -1
	s_addc_u32 s5, s23, -1
	s_mov_b64 s[6:7], 0
	s_mov_b32 s27, 0
                                        ; implicit-def: $sgpr30
	s_set_inst_prefetch_distance 0x1
	s_branch .LBB845_236
	.p2align	6
.LBB845_234:                            ;   in Loop: Header=BB845_236 Depth=1
	global_load_b64 v[39:40], v[35:36], off
	global_load_b64 v[41:42], v[33:34], off
	v_add_co_u32 v33, s2, v33, 8
	s_delay_alu instid0(VALU_DEP_1) | instskip(SKIP_1) | instid1(VALU_DEP_1)
	v_add_co_ci_u32_e64 v34, s2, 0, v34, s2
	v_add_co_u32 v35, s2, v35, 8
	v_add_co_ci_u32_e64 v36, s2, 0, v36, s2
	s_add_u32 s6, s6, 1
	s_addc_u32 s7, s7, 0
	s_and_not1_b32 s2, s30, exec_lo
	s_waitcnt vmcnt(0)
	v_cmp_neq_f64_e32 vcc_lo, v[39:40], v[41:42]
	s_and_b32 s30, vcc_lo, exec_lo
	s_delay_alu instid0(SALU_CYCLE_1)
	s_or_b32 s30, s2, s30
.LBB845_235:                            ;   in Loop: Header=BB845_236 Depth=1
	v_dual_mov_b32 v40, s7 :: v_dual_mov_b32 v39, s6
	s_and_b32 s2, exec_lo, s30
	s_delay_alu instid0(SALU_CYCLE_1) | instskip(NEXT) | instid1(SALU_CYCLE_1)
	s_or_b32 s27, s2, s27
	s_and_not1_b32 exec_lo, exec_lo, s27
	s_cbranch_execz .LBB845_238
.LBB845_236:                            ; =>This Inner Loop Header: Depth=1
	s_or_b32 s30, s30, exec_lo
	s_cmp_eq_u64 s[4:5], s[6:7]
	s_cbranch_scc0 .LBB845_234
; %bb.237:                              ;   in Loop: Header=BB845_236 Depth=1
	s_mov_b64 s[6:7], s[22:23]
                                        ; implicit-def: $vgpr33_vgpr34
                                        ; implicit-def: $vgpr35_vgpr36
	s_branch .LBB845_235
.LBB845_238:
	s_set_inst_prefetch_distance 0x2
	s_or_b32 exec_lo, exec_lo, s27
	v_cmp_gt_i64_e32 vcc_lo, s[22:23], v[39:40]
	s_or_not1_b32 s27, vcc_lo, exec_lo
.LBB845_239:
	s_or_b32 exec_lo, exec_lo, s29
.LBB845_240:
	v_mul_lo_u32 v35, v28, s22
	v_mul_lo_u32 v36, v27, s23
	v_mad_u64_u32 v[33:34], null, v27, s22, 0
	s_and_not1_b32 vcc_lo, exec_lo, s18
	s_delay_alu instid0(VALU_DEP_1) | instskip(NEXT) | instid1(VALU_DEP_1)
	v_add3_u32 v34, v34, v36, v35
	v_lshlrev_b64 v[33:34], 3, v[33:34]
	s_cbranch_vccnz .LBB845_249
; %bb.241:
	s_delay_alu instid0(VALU_DEP_1) | instskip(NEXT) | instid1(VALU_DEP_2)
	v_add_co_u32 v39, vcc_lo, s8, v33
	v_add_co_ci_u32_e32 v40, vcc_lo, s9, v34, vcc_lo
	v_add_co_u32 v35, vcc_lo, s8, v37
	v_add_co_ci_u32_e32 v36, vcc_lo, s9, v38, vcc_lo
	s_mov_b32 s26, -1
	s_clause 0x1
	global_load_b64 v[37:38], v[39:40], off
	global_load_b64 v[41:42], v[35:36], off
	s_mov_b32 s29, exec_lo
	s_waitcnt vmcnt(0)
	v_cmpx_eq_f64_e32 v[37:38], v[41:42]
	s_cbranch_execz .LBB845_248
; %bb.242:
	v_add_co_u32 v35, vcc_lo, v35, 8
	v_add_co_ci_u32_e32 v36, vcc_lo, 0, v36, vcc_lo
	v_add_co_u32 v37, vcc_lo, v39, 8
	v_add_co_ci_u32_e32 v38, vcc_lo, 0, v40, vcc_lo
	s_add_u32 s4, s22, -1
	s_addc_u32 s5, s23, -1
	s_mov_b64 s[6:7], 0
	s_mov_b32 s26, 0
                                        ; implicit-def: $sgpr30
	s_set_inst_prefetch_distance 0x1
	s_branch .LBB845_245
	.p2align	6
.LBB845_243:                            ;   in Loop: Header=BB845_245 Depth=1
	global_load_b64 v[39:40], v[37:38], off
	global_load_b64 v[41:42], v[35:36], off
	v_add_co_u32 v35, s2, v35, 8
	s_delay_alu instid0(VALU_DEP_1) | instskip(SKIP_1) | instid1(VALU_DEP_1)
	v_add_co_ci_u32_e64 v36, s2, 0, v36, s2
	v_add_co_u32 v37, s2, v37, 8
	v_add_co_ci_u32_e64 v38, s2, 0, v38, s2
	s_add_u32 s6, s6, 1
	s_addc_u32 s7, s7, 0
	s_and_not1_b32 s2, s30, exec_lo
	s_waitcnt vmcnt(0)
	v_cmp_neq_f64_e32 vcc_lo, v[39:40], v[41:42]
	s_and_b32 s30, vcc_lo, exec_lo
	s_delay_alu instid0(SALU_CYCLE_1)
	s_or_b32 s30, s2, s30
.LBB845_244:                            ;   in Loop: Header=BB845_245 Depth=1
	v_dual_mov_b32 v40, s7 :: v_dual_mov_b32 v39, s6
	s_and_b32 s2, exec_lo, s30
	s_delay_alu instid0(SALU_CYCLE_1) | instskip(NEXT) | instid1(SALU_CYCLE_1)
	s_or_b32 s26, s2, s26
	s_and_not1_b32 exec_lo, exec_lo, s26
	s_cbranch_execz .LBB845_247
.LBB845_245:                            ; =>This Inner Loop Header: Depth=1
	s_or_b32 s30, s30, exec_lo
	s_cmp_eq_u64 s[4:5], s[6:7]
	s_cbranch_scc0 .LBB845_243
; %bb.246:                              ;   in Loop: Header=BB845_245 Depth=1
	s_mov_b64 s[6:7], s[22:23]
                                        ; implicit-def: $vgpr35_vgpr36
                                        ; implicit-def: $vgpr37_vgpr38
	s_branch .LBB845_244
.LBB845_247:
	s_set_inst_prefetch_distance 0x2
	s_or_b32 exec_lo, exec_lo, s26
	v_cmp_gt_i64_e32 vcc_lo, s[22:23], v[39:40]
	s_or_not1_b32 s26, vcc_lo, exec_lo
.LBB845_248:
	s_or_b32 exec_lo, exec_lo, s29
.LBB845_249:
	v_mul_lo_u32 v37, v26, s22
	v_mul_lo_u32 v38, v25, s23
	v_mad_u64_u32 v[35:36], null, v25, s22, 0
	s_mov_b32 s29, 0
	s_and_not1_b32 vcc_lo, exec_lo, s18
	s_mov_b32 s30, 0
	s_delay_alu instid0(VALU_DEP_1) | instskip(NEXT) | instid1(VALU_DEP_1)
	v_add3_u32 v36, v36, v38, v37
	v_lshlrev_b64 v[35:36], 3, v[35:36]
	s_cbranch_vccnz .LBB845_258
; %bb.250:
	s_delay_alu instid0(VALU_DEP_1) | instskip(NEXT) | instid1(VALU_DEP_2)
	v_add_co_u32 v37, vcc_lo, s8, v35
	v_add_co_ci_u32_e32 v38, vcc_lo, s9, v36, vcc_lo
	v_add_co_u32 v33, vcc_lo, s8, v33
	v_add_co_ci_u32_e32 v34, vcc_lo, s9, v34, vcc_lo
	s_mov_b32 s30, -1
	s_clause 0x1
	global_load_b64 v[39:40], v[37:38], off
	global_load_b64 v[41:42], v[33:34], off
	s_mov_b32 s31, exec_lo
	s_waitcnt vmcnt(0)
	v_cmpx_eq_f64_e32 v[39:40], v[41:42]
	s_cbranch_execz .LBB845_257
; %bb.251:
	v_add_co_u32 v33, vcc_lo, v33, 8
	v_add_co_ci_u32_e32 v34, vcc_lo, 0, v34, vcc_lo
	v_add_co_u32 v37, vcc_lo, v37, 8
	v_add_co_ci_u32_e32 v38, vcc_lo, 0, v38, vcc_lo
	s_add_u32 s4, s22, -1
	s_addc_u32 s5, s23, -1
	s_mov_b64 s[6:7], 0
	s_mov_b32 s30, 0
                                        ; implicit-def: $sgpr33
	s_set_inst_prefetch_distance 0x1
	s_branch .LBB845_254
	.p2align	6
.LBB845_252:                            ;   in Loop: Header=BB845_254 Depth=1
	global_load_b64 v[39:40], v[37:38], off
	global_load_b64 v[41:42], v[33:34], off
	v_add_co_u32 v33, s2, v33, 8
	s_delay_alu instid0(VALU_DEP_1) | instskip(SKIP_1) | instid1(VALU_DEP_1)
	v_add_co_ci_u32_e64 v34, s2, 0, v34, s2
	v_add_co_u32 v37, s2, v37, 8
	v_add_co_ci_u32_e64 v38, s2, 0, v38, s2
	s_add_u32 s6, s6, 1
	s_addc_u32 s7, s7, 0
	s_and_not1_b32 s2, s33, exec_lo
	s_waitcnt vmcnt(0)
	v_cmp_neq_f64_e32 vcc_lo, v[39:40], v[41:42]
	s_and_b32 s33, vcc_lo, exec_lo
	s_delay_alu instid0(SALU_CYCLE_1)
	s_or_b32 s33, s2, s33
.LBB845_253:                            ;   in Loop: Header=BB845_254 Depth=1
	v_dual_mov_b32 v40, s7 :: v_dual_mov_b32 v39, s6
	s_and_b32 s2, exec_lo, s33
	s_delay_alu instid0(SALU_CYCLE_1) | instskip(NEXT) | instid1(SALU_CYCLE_1)
	s_or_b32 s30, s2, s30
	s_and_not1_b32 exec_lo, exec_lo, s30
	s_cbranch_execz .LBB845_256
.LBB845_254:                            ; =>This Inner Loop Header: Depth=1
	s_or_b32 s33, s33, exec_lo
	s_cmp_eq_u64 s[4:5], s[6:7]
	s_cbranch_scc0 .LBB845_252
; %bb.255:                              ;   in Loop: Header=BB845_254 Depth=1
	s_mov_b64 s[6:7], s[22:23]
                                        ; implicit-def: $vgpr33_vgpr34
                                        ; implicit-def: $vgpr37_vgpr38
	s_branch .LBB845_253
.LBB845_256:
	s_set_inst_prefetch_distance 0x2
	s_or_b32 exec_lo, exec_lo, s30
	v_cmp_gt_i64_e32 vcc_lo, s[22:23], v[39:40]
	s_or_not1_b32 s30, vcc_lo, exec_lo
.LBB845_257:
	s_or_b32 exec_lo, exec_lo, s31
.LBB845_258:
	v_mul_lo_u32 v37, v32, s22
	v_mul_lo_u32 v38, v31, s23
	v_mad_u64_u32 v[33:34], null, v31, s22, 0
	s_and_not1_b32 vcc_lo, exec_lo, s18
	s_delay_alu instid0(VALU_DEP_1) | instskip(NEXT) | instid1(VALU_DEP_1)
	v_add3_u32 v34, v34, v38, v37
	v_lshlrev_b64 v[33:34], 3, v[33:34]
	s_cbranch_vccnz .LBB845_267
; %bb.259:
	s_delay_alu instid0(VALU_DEP_1) | instskip(NEXT) | instid1(VALU_DEP_2)
	v_add_co_u32 v37, vcc_lo, s8, v33
	v_add_co_ci_u32_e32 v38, vcc_lo, s9, v34, vcc_lo
	v_add_co_u32 v35, vcc_lo, s8, v35
	v_add_co_ci_u32_e32 v36, vcc_lo, s9, v36, vcc_lo
	s_mov_b32 s29, -1
	s_clause 0x1
	global_load_b64 v[39:40], v[37:38], off
	global_load_b64 v[41:42], v[35:36], off
	s_mov_b32 s31, exec_lo
	s_waitcnt vmcnt(0)
	v_cmpx_eq_f64_e32 v[39:40], v[41:42]
	s_cbranch_execz .LBB845_266
; %bb.260:
	v_add_co_u32 v35, vcc_lo, v35, 8
	v_add_co_ci_u32_e32 v36, vcc_lo, 0, v36, vcc_lo
	v_add_co_u32 v37, vcc_lo, v37, 8
	v_add_co_ci_u32_e32 v38, vcc_lo, 0, v38, vcc_lo
	s_add_u32 s4, s22, -1
	s_addc_u32 s5, s23, -1
	s_mov_b64 s[6:7], 0
	s_mov_b32 s29, 0
                                        ; implicit-def: $sgpr33
	s_set_inst_prefetch_distance 0x1
	s_branch .LBB845_263
	.p2align	6
.LBB845_261:                            ;   in Loop: Header=BB845_263 Depth=1
	global_load_b64 v[39:40], v[37:38], off
	global_load_b64 v[41:42], v[35:36], off
	v_add_co_u32 v35, s2, v35, 8
	s_delay_alu instid0(VALU_DEP_1) | instskip(SKIP_1) | instid1(VALU_DEP_1)
	v_add_co_ci_u32_e64 v36, s2, 0, v36, s2
	v_add_co_u32 v37, s2, v37, 8
	v_add_co_ci_u32_e64 v38, s2, 0, v38, s2
	s_add_u32 s6, s6, 1
	s_addc_u32 s7, s7, 0
	s_and_not1_b32 s2, s33, exec_lo
	s_waitcnt vmcnt(0)
	v_cmp_neq_f64_e32 vcc_lo, v[39:40], v[41:42]
	s_and_b32 s33, vcc_lo, exec_lo
	s_delay_alu instid0(SALU_CYCLE_1)
	s_or_b32 s33, s2, s33
.LBB845_262:                            ;   in Loop: Header=BB845_263 Depth=1
	v_dual_mov_b32 v40, s7 :: v_dual_mov_b32 v39, s6
	s_and_b32 s2, exec_lo, s33
	s_delay_alu instid0(SALU_CYCLE_1) | instskip(NEXT) | instid1(SALU_CYCLE_1)
	s_or_b32 s29, s2, s29
	s_and_not1_b32 exec_lo, exec_lo, s29
	s_cbranch_execz .LBB845_265
.LBB845_263:                            ; =>This Inner Loop Header: Depth=1
	s_or_b32 s33, s33, exec_lo
	s_cmp_eq_u64 s[4:5], s[6:7]
	s_cbranch_scc0 .LBB845_261
; %bb.264:                              ;   in Loop: Header=BB845_263 Depth=1
	s_mov_b64 s[6:7], s[22:23]
                                        ; implicit-def: $vgpr35_vgpr36
                                        ; implicit-def: $vgpr37_vgpr38
	s_branch .LBB845_262
.LBB845_265:
	s_set_inst_prefetch_distance 0x2
	s_or_b32 exec_lo, exec_lo, s29
	v_cmp_gt_i64_e32 vcc_lo, s[22:23], v[39:40]
	s_or_not1_b32 s29, vcc_lo, exec_lo
.LBB845_266:
	s_or_b32 exec_lo, exec_lo, s31
.LBB845_267:
	v_mul_lo_u32 v37, v30, s22
	v_mul_lo_u32 v38, v29, s23
	v_mad_u64_u32 v[35:36], null, v29, s22, 0
	s_and_not1_b32 vcc_lo, exec_lo, s18
	s_mov_b32 s2, 0
	s_delay_alu instid0(VALU_DEP_1)
	v_add3_u32 v36, v36, v38, v37
	s_cbranch_vccnz .LBB845_276
; %bb.268:
	s_delay_alu instid0(VALU_DEP_1) | instskip(SKIP_2) | instid1(VALU_DEP_1)
	v_lshlrev_b64 v[37:38], 3, v[35:36]
	s_mov_b32 s2, -1
	s_mov_b32 s31, exec_lo
	v_add_co_u32 v37, vcc_lo, s8, v37
	s_delay_alu instid0(VALU_DEP_2)
	v_add_co_ci_u32_e32 v38, vcc_lo, s9, v38, vcc_lo
	v_add_co_u32 v33, vcc_lo, s8, v33
	v_add_co_ci_u32_e32 v34, vcc_lo, s9, v34, vcc_lo
	s_clause 0x1
	global_load_b64 v[39:40], v[37:38], off
	global_load_b64 v[41:42], v[33:34], off
	s_waitcnt vmcnt(0)
	v_cmpx_eq_f64_e32 v[39:40], v[41:42]
	s_cbranch_execz .LBB845_275
; %bb.269:
	v_add_co_u32 v33, vcc_lo, v33, 8
	v_add_co_ci_u32_e32 v34, vcc_lo, 0, v34, vcc_lo
	v_add_co_u32 v37, vcc_lo, v37, 8
	v_add_co_ci_u32_e32 v38, vcc_lo, 0, v38, vcc_lo
	s_add_u32 s4, s22, -1
	s_addc_u32 s5, s23, -1
	s_mov_b64 s[6:7], 0
	s_mov_b32 s33, 0
                                        ; implicit-def: $sgpr34
	s_set_inst_prefetch_distance 0x1
	s_branch .LBB845_272
	.p2align	6
.LBB845_270:                            ;   in Loop: Header=BB845_272 Depth=1
	global_load_b64 v[39:40], v[37:38], off
	global_load_b64 v[41:42], v[33:34], off
	v_add_co_u32 v33, s2, v33, 8
	s_delay_alu instid0(VALU_DEP_1) | instskip(SKIP_1) | instid1(VALU_DEP_1)
	v_add_co_ci_u32_e64 v34, s2, 0, v34, s2
	v_add_co_u32 v37, s2, v37, 8
	v_add_co_ci_u32_e64 v38, s2, 0, v38, s2
	s_add_u32 s6, s6, 1
	s_addc_u32 s7, s7, 0
	s_and_not1_b32 s2, s34, exec_lo
	s_waitcnt vmcnt(0)
	v_cmp_neq_f64_e32 vcc_lo, v[39:40], v[41:42]
	s_and_b32 s34, vcc_lo, exec_lo
	s_delay_alu instid0(SALU_CYCLE_1)
	s_or_b32 s34, s2, s34
.LBB845_271:                            ;   in Loop: Header=BB845_272 Depth=1
	v_dual_mov_b32 v40, s7 :: v_dual_mov_b32 v39, s6
	s_and_b32 s2, exec_lo, s34
	s_delay_alu instid0(SALU_CYCLE_1) | instskip(NEXT) | instid1(SALU_CYCLE_1)
	s_or_b32 s33, s2, s33
	s_and_not1_b32 exec_lo, exec_lo, s33
	s_cbranch_execz .LBB845_274
.LBB845_272:                            ; =>This Inner Loop Header: Depth=1
	s_or_b32 s34, s34, exec_lo
	s_cmp_eq_u64 s[4:5], s[6:7]
	s_cbranch_scc0 .LBB845_270
; %bb.273:                              ;   in Loop: Header=BB845_272 Depth=1
	s_mov_b64 s[6:7], s[22:23]
                                        ; implicit-def: $vgpr33_vgpr34
                                        ; implicit-def: $vgpr37_vgpr38
	s_branch .LBB845_271
.LBB845_274:
	s_set_inst_prefetch_distance 0x2
	s_or_b32 exec_lo, exec_lo, s33
	v_cmp_gt_i64_e32 vcc_lo, s[22:23], v[39:40]
	s_or_not1_b32 s2, vcc_lo, exec_lo
.LBB845_275:
	s_or_b32 exec_lo, exec_lo, s31
.LBB845_276:
	v_cndmask_b32_e64 v34, 0, 1, s30
	v_cndmask_b32_e64 v37, 0, 1, s27
	;; [unrolled: 1-line block ×7, first 2 shown]
	v_lshlrev_b16 v37, 8, v37
	v_lshlrev_b16 v38, 8, v38
	;; [unrolled: 1-line block ×4, first 2 shown]
	s_waitcnt lgkmcnt(0)
	v_or_b32_e32 v37, v40, v37
	v_or_b32_e32 v38, v41, v38
	;; [unrolled: 1-line block ×4, first 2 shown]
	s_barrier
	v_and_b32_e32 v34, 0xffff, v37
	v_lshlrev_b32_e32 v37, 16, v38
	v_and_b32_e32 v38, 0xffff, v39
	v_lshlrev_b32_e32 v33, 16, v33
	buffer_gl0_inv
                                        ; implicit-def: $sgpr2
	s_mov_b32 s4, exec_lo
	v_or_b32_e32 v34, v34, v37
	v_or_b32_e32 v33, v38, v33
	v_cmpx_ne_u32_e32 0, v0
	s_xor_b32 s19, exec_lo, s4
	s_cbranch_execz .LBB845_287
; %bb.277:
	s_and_not1_b32 vcc_lo, exec_lo, s18
	s_mov_b32 s2, 0
	s_cbranch_vccnz .LBB845_286
; %bb.278:
	v_add_nc_u32_e32 v37, -8, v55
	v_lshlrev_b64 v[35:36], 3, v[35:36]
	s_mov_b32 s2, -1
	s_mov_b32 s25, exec_lo
	ds_load_b64 v[37:38], v37
	s_waitcnt lgkmcnt(0)
	v_mul_lo_u32 v40, v38, s22
	v_mul_lo_u32 v41, v37, s23
	v_mad_u64_u32 v[38:39], null, v37, s22, 0
	s_delay_alu instid0(VALU_DEP_1) | instskip(NEXT) | instid1(VALU_DEP_1)
	v_add3_u32 v39, v39, v41, v40
	v_lshlrev_b64 v[37:38], 3, v[38:39]
	s_delay_alu instid0(VALU_DEP_1) | instskip(NEXT) | instid1(VALU_DEP_2)
	v_add_co_u32 v37, vcc_lo, s8, v37
	v_add_co_ci_u32_e32 v38, vcc_lo, s9, v38, vcc_lo
	v_add_co_u32 v35, vcc_lo, s8, v35
	v_add_co_ci_u32_e32 v36, vcc_lo, s9, v36, vcc_lo
	s_clause 0x1
	global_load_b64 v[39:40], v[37:38], off
	global_load_b64 v[41:42], v[35:36], off
	s_waitcnt vmcnt(0)
	v_cmpx_eq_f64_e32 v[39:40], v[41:42]
	s_cbranch_execz .LBB845_285
; %bb.279:
	v_add_co_u32 v35, vcc_lo, v35, 8
	v_add_co_ci_u32_e32 v36, vcc_lo, 0, v36, vcc_lo
	v_add_co_u32 v37, vcc_lo, v37, 8
	v_add_co_ci_u32_e32 v38, vcc_lo, 0, v38, vcc_lo
	s_add_u32 s4, s22, -1
	s_addc_u32 s5, s23, -1
	s_mov_b64 s[6:7], 0
	s_mov_b32 s26, 0
                                        ; implicit-def: $sgpr27
	s_set_inst_prefetch_distance 0x1
	s_branch .LBB845_282
	.p2align	6
.LBB845_280:                            ;   in Loop: Header=BB845_282 Depth=1
	global_load_b64 v[39:40], v[37:38], off
	global_load_b64 v[41:42], v[35:36], off
	v_add_co_u32 v35, s2, v35, 8
	s_delay_alu instid0(VALU_DEP_1) | instskip(SKIP_1) | instid1(VALU_DEP_1)
	v_add_co_ci_u32_e64 v36, s2, 0, v36, s2
	v_add_co_u32 v37, s2, v37, 8
	v_add_co_ci_u32_e64 v38, s2, 0, v38, s2
	s_add_u32 s6, s6, 1
	s_addc_u32 s7, s7, 0
	s_and_not1_b32 s2, s27, exec_lo
	s_waitcnt vmcnt(0)
	v_cmp_neq_f64_e32 vcc_lo, v[39:40], v[41:42]
	s_and_b32 s27, vcc_lo, exec_lo
	s_delay_alu instid0(SALU_CYCLE_1)
	s_or_b32 s27, s2, s27
.LBB845_281:                            ;   in Loop: Header=BB845_282 Depth=1
	v_dual_mov_b32 v40, s7 :: v_dual_mov_b32 v39, s6
	s_and_b32 s2, exec_lo, s27
	s_delay_alu instid0(SALU_CYCLE_1) | instskip(NEXT) | instid1(SALU_CYCLE_1)
	s_or_b32 s26, s2, s26
	s_and_not1_b32 exec_lo, exec_lo, s26
	s_cbranch_execz .LBB845_284
.LBB845_282:                            ; =>This Inner Loop Header: Depth=1
	s_or_b32 s27, s27, exec_lo
	s_cmp_eq_u64 s[4:5], s[6:7]
	s_cbranch_scc0 .LBB845_280
; %bb.283:                              ;   in Loop: Header=BB845_282 Depth=1
	s_mov_b64 s[6:7], s[22:23]
                                        ; implicit-def: $vgpr35_vgpr36
                                        ; implicit-def: $vgpr37_vgpr38
	s_branch .LBB845_281
.LBB845_284:
	s_set_inst_prefetch_distance 0x2
	s_or_b32 exec_lo, exec_lo, s26
	v_cmp_gt_i64_e32 vcc_lo, s[22:23], v[39:40]
	s_or_not1_b32 s2, vcc_lo, exec_lo
.LBB845_285:
	s_or_b32 exec_lo, exec_lo, s25
.LBB845_286:
	s_delay_alu instid0(SALU_CYCLE_1)
	s_and_b32 s2, s2, exec_lo
	s_or_b32 s3, s3, exec_lo
.LBB845_287:
	s_or_b32 exec_lo, exec_lo, s19
	s_branch .LBB845_379
.LBB845_288:
	v_or_b32_e32 v33, 7, v55
	s_mov_b32 s19, 0
	s_mov_b32 s25, 0
	s_mov_b32 s26, exec_lo
	s_delay_alu instid0(VALU_DEP_1)
	v_cmpx_gt_u32_e64 s28, v33
	s_cbranch_execz .LBB845_299
; %bb.289:
	s_and_not1_b32 vcc_lo, exec_lo, s18
	s_mov_b32 s2, 0
	s_cbranch_vccnz .LBB845_298
; %bb.290:
	v_mul_lo_u32 v37, v18, s22
	v_mul_lo_u32 v38, v17, s23
	v_mad_u64_u32 v[33:34], null, v17, s22, 0
	v_mul_lo_u32 v39, v20, s22
	v_mul_lo_u32 v40, v19, s23
	v_mad_u64_u32 v[35:36], null, v19, s22, 0
	s_mov_b32 s2, -1
	s_mov_b32 s25, exec_lo
	s_delay_alu instid0(VALU_DEP_4) | instskip(NEXT) | instid1(VALU_DEP_2)
	v_add3_u32 v34, v34, v38, v37
	v_add3_u32 v36, v36, v40, v39
	s_delay_alu instid0(VALU_DEP_2) | instskip(NEXT) | instid1(VALU_DEP_2)
	v_lshlrev_b64 v[33:34], 3, v[33:34]
	v_lshlrev_b64 v[37:38], 3, v[35:36]
	s_delay_alu instid0(VALU_DEP_2) | instskip(NEXT) | instid1(VALU_DEP_3)
	v_add_co_u32 v35, vcc_lo, s8, v33
	v_add_co_ci_u32_e32 v36, vcc_lo, s9, v34, vcc_lo
	s_delay_alu instid0(VALU_DEP_3) | instskip(NEXT) | instid1(VALU_DEP_4)
	v_add_co_u32 v33, vcc_lo, s8, v37
	v_add_co_ci_u32_e32 v34, vcc_lo, s9, v38, vcc_lo
	s_clause 0x1
	global_load_b64 v[37:38], v[35:36], off
	global_load_b64 v[39:40], v[33:34], off
	s_waitcnt vmcnt(0)
	v_cmpx_eq_f64_e32 v[37:38], v[39:40]
	s_cbranch_execz .LBB845_297
; %bb.291:
	v_add_co_u32 v33, vcc_lo, v33, 8
	v_add_co_ci_u32_e32 v34, vcc_lo, 0, v34, vcc_lo
	v_add_co_u32 v35, vcc_lo, v35, 8
	v_add_co_ci_u32_e32 v36, vcc_lo, 0, v36, vcc_lo
	s_add_u32 s4, s22, -1
	s_addc_u32 s5, s23, -1
	s_mov_b64 s[6:7], 0
	s_mov_b32 s27, 0
                                        ; implicit-def: $sgpr29
	s_set_inst_prefetch_distance 0x1
	s_branch .LBB845_294
	.p2align	6
.LBB845_292:                            ;   in Loop: Header=BB845_294 Depth=1
	global_load_b64 v[37:38], v[35:36], off
	global_load_b64 v[39:40], v[33:34], off
	v_add_co_u32 v33, s2, v33, 8
	s_delay_alu instid0(VALU_DEP_1) | instskip(SKIP_1) | instid1(VALU_DEP_1)
	v_add_co_ci_u32_e64 v34, s2, 0, v34, s2
	v_add_co_u32 v35, s2, v35, 8
	v_add_co_ci_u32_e64 v36, s2, 0, v36, s2
	s_add_u32 s6, s6, 1
	s_addc_u32 s7, s7, 0
	s_and_not1_b32 s2, s29, exec_lo
	s_waitcnt vmcnt(0)
	v_cmp_neq_f64_e32 vcc_lo, v[37:38], v[39:40]
	s_and_b32 s29, vcc_lo, exec_lo
	s_delay_alu instid0(SALU_CYCLE_1)
	s_or_b32 s29, s2, s29
.LBB845_293:                            ;   in Loop: Header=BB845_294 Depth=1
	v_dual_mov_b32 v38, s7 :: v_dual_mov_b32 v37, s6
	s_and_b32 s2, exec_lo, s29
	s_delay_alu instid0(SALU_CYCLE_1) | instskip(NEXT) | instid1(SALU_CYCLE_1)
	s_or_b32 s27, s2, s27
	s_and_not1_b32 exec_lo, exec_lo, s27
	s_cbranch_execz .LBB845_296
.LBB845_294:                            ; =>This Inner Loop Header: Depth=1
	s_or_b32 s29, s29, exec_lo
	s_cmp_eq_u64 s[4:5], s[6:7]
	s_cbranch_scc0 .LBB845_292
; %bb.295:                              ;   in Loop: Header=BB845_294 Depth=1
	s_mov_b64 s[6:7], s[22:23]
                                        ; implicit-def: $vgpr33_vgpr34
                                        ; implicit-def: $vgpr35_vgpr36
	s_branch .LBB845_293
.LBB845_296:
	s_set_inst_prefetch_distance 0x2
	s_or_b32 exec_lo, exec_lo, s27
	v_cmp_gt_i64_e32 vcc_lo, s[22:23], v[37:38]
	s_or_not1_b32 s2, vcc_lo, exec_lo
.LBB845_297:
	s_or_b32 exec_lo, exec_lo, s25
.LBB845_298:
	s_delay_alu instid0(SALU_CYCLE_1)
	s_and_b32 s25, s2, exec_lo
.LBB845_299:
	s_or_b32 exec_lo, exec_lo, s26
	v_or_b32_e32 v33, 6, v55
	s_mov_b32 s26, exec_lo
	s_delay_alu instid0(VALU_DEP_1)
	v_cmpx_gt_u32_e64 s28, v33
	s_cbranch_execz .LBB845_310
; %bb.300:
	s_and_not1_b32 vcc_lo, exec_lo, s18
	s_mov_b32 s2, 0
	s_cbranch_vccnz .LBB845_309
; %bb.301:
	v_mul_lo_u32 v37, v24, s22
	v_mul_lo_u32 v38, v23, s23
	v_mad_u64_u32 v[33:34], null, v23, s22, 0
	v_mul_lo_u32 v39, v18, s22
	v_mul_lo_u32 v40, v17, s23
	v_mad_u64_u32 v[35:36], null, v17, s22, 0
	s_mov_b32 s2, -1
	s_mov_b32 s19, exec_lo
	s_delay_alu instid0(VALU_DEP_4) | instskip(NEXT) | instid1(VALU_DEP_2)
	v_add3_u32 v34, v34, v38, v37
	v_add3_u32 v36, v36, v40, v39
	s_delay_alu instid0(VALU_DEP_2) | instskip(NEXT) | instid1(VALU_DEP_2)
	v_lshlrev_b64 v[33:34], 3, v[33:34]
	v_lshlrev_b64 v[37:38], 3, v[35:36]
	s_delay_alu instid0(VALU_DEP_2) | instskip(NEXT) | instid1(VALU_DEP_3)
	v_add_co_u32 v35, vcc_lo, s8, v33
	v_add_co_ci_u32_e32 v36, vcc_lo, s9, v34, vcc_lo
	s_delay_alu instid0(VALU_DEP_3) | instskip(NEXT) | instid1(VALU_DEP_4)
	v_add_co_u32 v33, vcc_lo, s8, v37
	v_add_co_ci_u32_e32 v34, vcc_lo, s9, v38, vcc_lo
	s_clause 0x1
	global_load_b64 v[37:38], v[35:36], off
	global_load_b64 v[39:40], v[33:34], off
	s_waitcnt vmcnt(0)
	v_cmpx_eq_f64_e32 v[37:38], v[39:40]
	s_cbranch_execz .LBB845_308
; %bb.302:
	v_add_co_u32 v33, vcc_lo, v33, 8
	v_add_co_ci_u32_e32 v34, vcc_lo, 0, v34, vcc_lo
	v_add_co_u32 v35, vcc_lo, v35, 8
	v_add_co_ci_u32_e32 v36, vcc_lo, 0, v36, vcc_lo
	s_add_u32 s4, s22, -1
	s_addc_u32 s5, s23, -1
	s_mov_b64 s[6:7], 0
	s_mov_b32 s27, 0
                                        ; implicit-def: $sgpr29
	s_set_inst_prefetch_distance 0x1
	s_branch .LBB845_305
	.p2align	6
.LBB845_303:                            ;   in Loop: Header=BB845_305 Depth=1
	global_load_b64 v[37:38], v[35:36], off
	global_load_b64 v[39:40], v[33:34], off
	v_add_co_u32 v33, s2, v33, 8
	s_delay_alu instid0(VALU_DEP_1) | instskip(SKIP_1) | instid1(VALU_DEP_1)
	v_add_co_ci_u32_e64 v34, s2, 0, v34, s2
	v_add_co_u32 v35, s2, v35, 8
	v_add_co_ci_u32_e64 v36, s2, 0, v36, s2
	s_add_u32 s6, s6, 1
	s_addc_u32 s7, s7, 0
	s_and_not1_b32 s2, s29, exec_lo
	s_waitcnt vmcnt(0)
	v_cmp_neq_f64_e32 vcc_lo, v[37:38], v[39:40]
	s_and_b32 s29, vcc_lo, exec_lo
	s_delay_alu instid0(SALU_CYCLE_1)
	s_or_b32 s29, s2, s29
.LBB845_304:                            ;   in Loop: Header=BB845_305 Depth=1
	v_dual_mov_b32 v38, s7 :: v_dual_mov_b32 v37, s6
	s_and_b32 s2, exec_lo, s29
	s_delay_alu instid0(SALU_CYCLE_1) | instskip(NEXT) | instid1(SALU_CYCLE_1)
	s_or_b32 s27, s2, s27
	s_and_not1_b32 exec_lo, exec_lo, s27
	s_cbranch_execz .LBB845_307
.LBB845_305:                            ; =>This Inner Loop Header: Depth=1
	s_or_b32 s29, s29, exec_lo
	s_cmp_eq_u64 s[4:5], s[6:7]
	s_cbranch_scc0 .LBB845_303
; %bb.306:                              ;   in Loop: Header=BB845_305 Depth=1
	s_mov_b64 s[6:7], s[22:23]
                                        ; implicit-def: $vgpr33_vgpr34
                                        ; implicit-def: $vgpr35_vgpr36
	s_branch .LBB845_304
.LBB845_307:
	s_set_inst_prefetch_distance 0x2
	s_or_b32 exec_lo, exec_lo, s27
	v_cmp_gt_i64_e32 vcc_lo, s[22:23], v[37:38]
	s_or_not1_b32 s2, vcc_lo, exec_lo
.LBB845_308:
	s_or_b32 exec_lo, exec_lo, s19
.LBB845_309:
	s_delay_alu instid0(SALU_CYCLE_1)
	s_and_b32 s19, s2, exec_lo
.LBB845_310:
	s_or_b32 exec_lo, exec_lo, s26
	v_or_b32_e32 v33, 5, v55
	s_mov_b32 s26, 0
	s_mov_b32 s27, 0
	s_mov_b32 s29, exec_lo
	s_delay_alu instid0(VALU_DEP_1)
	v_cmpx_gt_u32_e64 s28, v33
	s_cbranch_execz .LBB845_321
; %bb.311:
	s_and_not1_b32 vcc_lo, exec_lo, s18
	s_mov_b32 s2, 0
	s_cbranch_vccnz .LBB845_320
; %bb.312:
	v_mul_lo_u32 v37, v22, s22
	v_mul_lo_u32 v38, v21, s23
	v_mad_u64_u32 v[33:34], null, v21, s22, 0
	v_mul_lo_u32 v39, v24, s22
	v_mul_lo_u32 v40, v23, s23
	v_mad_u64_u32 v[35:36], null, v23, s22, 0
	s_mov_b32 s2, -1
	s_mov_b32 s27, exec_lo
	s_delay_alu instid0(VALU_DEP_4) | instskip(NEXT) | instid1(VALU_DEP_2)
	v_add3_u32 v34, v34, v38, v37
	v_add3_u32 v36, v36, v40, v39
	s_delay_alu instid0(VALU_DEP_2) | instskip(NEXT) | instid1(VALU_DEP_2)
	v_lshlrev_b64 v[33:34], 3, v[33:34]
	v_lshlrev_b64 v[37:38], 3, v[35:36]
	s_delay_alu instid0(VALU_DEP_2) | instskip(NEXT) | instid1(VALU_DEP_3)
	v_add_co_u32 v35, vcc_lo, s8, v33
	v_add_co_ci_u32_e32 v36, vcc_lo, s9, v34, vcc_lo
	s_delay_alu instid0(VALU_DEP_3) | instskip(NEXT) | instid1(VALU_DEP_4)
	v_add_co_u32 v33, vcc_lo, s8, v37
	v_add_co_ci_u32_e32 v34, vcc_lo, s9, v38, vcc_lo
	s_clause 0x1
	global_load_b64 v[37:38], v[35:36], off
	global_load_b64 v[39:40], v[33:34], off
	s_waitcnt vmcnt(0)
	v_cmpx_eq_f64_e32 v[37:38], v[39:40]
	s_cbranch_execz .LBB845_319
; %bb.313:
	v_add_co_u32 v33, vcc_lo, v33, 8
	v_add_co_ci_u32_e32 v34, vcc_lo, 0, v34, vcc_lo
	v_add_co_u32 v35, vcc_lo, v35, 8
	v_add_co_ci_u32_e32 v36, vcc_lo, 0, v36, vcc_lo
	s_add_u32 s4, s22, -1
	s_addc_u32 s5, s23, -1
	s_mov_b64 s[6:7], 0
	s_mov_b32 s30, 0
                                        ; implicit-def: $sgpr31
	s_set_inst_prefetch_distance 0x1
	s_branch .LBB845_316
	.p2align	6
.LBB845_314:                            ;   in Loop: Header=BB845_316 Depth=1
	global_load_b64 v[37:38], v[35:36], off
	global_load_b64 v[39:40], v[33:34], off
	v_add_co_u32 v33, s2, v33, 8
	s_delay_alu instid0(VALU_DEP_1) | instskip(SKIP_1) | instid1(VALU_DEP_1)
	v_add_co_ci_u32_e64 v34, s2, 0, v34, s2
	v_add_co_u32 v35, s2, v35, 8
	v_add_co_ci_u32_e64 v36, s2, 0, v36, s2
	s_add_u32 s6, s6, 1
	s_addc_u32 s7, s7, 0
	s_and_not1_b32 s2, s31, exec_lo
	s_waitcnt vmcnt(0)
	v_cmp_neq_f64_e32 vcc_lo, v[37:38], v[39:40]
	s_and_b32 s31, vcc_lo, exec_lo
	s_delay_alu instid0(SALU_CYCLE_1)
	s_or_b32 s31, s2, s31
.LBB845_315:                            ;   in Loop: Header=BB845_316 Depth=1
	v_dual_mov_b32 v38, s7 :: v_dual_mov_b32 v37, s6
	s_and_b32 s2, exec_lo, s31
	s_delay_alu instid0(SALU_CYCLE_1) | instskip(NEXT) | instid1(SALU_CYCLE_1)
	s_or_b32 s30, s2, s30
	s_and_not1_b32 exec_lo, exec_lo, s30
	s_cbranch_execz .LBB845_318
.LBB845_316:                            ; =>This Inner Loop Header: Depth=1
	s_or_b32 s31, s31, exec_lo
	s_cmp_eq_u64 s[4:5], s[6:7]
	s_cbranch_scc0 .LBB845_314
; %bb.317:                              ;   in Loop: Header=BB845_316 Depth=1
	s_mov_b64 s[6:7], s[22:23]
                                        ; implicit-def: $vgpr33_vgpr34
                                        ; implicit-def: $vgpr35_vgpr36
	s_branch .LBB845_315
.LBB845_318:
	s_set_inst_prefetch_distance 0x2
	s_or_b32 exec_lo, exec_lo, s30
	v_cmp_gt_i64_e32 vcc_lo, s[22:23], v[37:38]
	s_or_not1_b32 s2, vcc_lo, exec_lo
.LBB845_319:
	s_or_b32 exec_lo, exec_lo, s27
.LBB845_320:
	s_delay_alu instid0(SALU_CYCLE_1)
	s_and_b32 s27, s2, exec_lo
.LBB845_321:
	s_or_b32 exec_lo, exec_lo, s29
	v_or_b32_e32 v33, 4, v55
	s_mov_b32 s29, exec_lo
	s_delay_alu instid0(VALU_DEP_1)
	v_cmpx_gt_u32_e64 s28, v33
	s_cbranch_execz .LBB845_332
; %bb.322:
	s_and_not1_b32 vcc_lo, exec_lo, s18
	s_mov_b32 s2, 0
	s_cbranch_vccnz .LBB845_331
; %bb.323:
	v_mul_lo_u32 v37, v28, s22
	v_mul_lo_u32 v38, v27, s23
	v_mad_u64_u32 v[33:34], null, v27, s22, 0
	v_mul_lo_u32 v39, v22, s22
	v_mul_lo_u32 v40, v21, s23
	v_mad_u64_u32 v[35:36], null, v21, s22, 0
	s_mov_b32 s2, -1
	s_mov_b32 s26, exec_lo
	s_delay_alu instid0(VALU_DEP_4) | instskip(NEXT) | instid1(VALU_DEP_2)
	v_add3_u32 v34, v34, v38, v37
	v_add3_u32 v36, v36, v40, v39
	s_delay_alu instid0(VALU_DEP_2) | instskip(NEXT) | instid1(VALU_DEP_2)
	v_lshlrev_b64 v[33:34], 3, v[33:34]
	v_lshlrev_b64 v[37:38], 3, v[35:36]
	s_delay_alu instid0(VALU_DEP_2) | instskip(NEXT) | instid1(VALU_DEP_3)
	v_add_co_u32 v35, vcc_lo, s8, v33
	v_add_co_ci_u32_e32 v36, vcc_lo, s9, v34, vcc_lo
	s_delay_alu instid0(VALU_DEP_3) | instskip(NEXT) | instid1(VALU_DEP_4)
	v_add_co_u32 v33, vcc_lo, s8, v37
	v_add_co_ci_u32_e32 v34, vcc_lo, s9, v38, vcc_lo
	s_clause 0x1
	global_load_b64 v[37:38], v[35:36], off
	global_load_b64 v[39:40], v[33:34], off
	s_waitcnt vmcnt(0)
	v_cmpx_eq_f64_e32 v[37:38], v[39:40]
	s_cbranch_execz .LBB845_330
; %bb.324:
	v_add_co_u32 v33, vcc_lo, v33, 8
	v_add_co_ci_u32_e32 v34, vcc_lo, 0, v34, vcc_lo
	v_add_co_u32 v35, vcc_lo, v35, 8
	v_add_co_ci_u32_e32 v36, vcc_lo, 0, v36, vcc_lo
	s_add_u32 s4, s22, -1
	s_addc_u32 s5, s23, -1
	s_mov_b64 s[6:7], 0
	s_mov_b32 s30, 0
                                        ; implicit-def: $sgpr31
	s_set_inst_prefetch_distance 0x1
	s_branch .LBB845_327
	.p2align	6
.LBB845_325:                            ;   in Loop: Header=BB845_327 Depth=1
	global_load_b64 v[37:38], v[35:36], off
	global_load_b64 v[39:40], v[33:34], off
	v_add_co_u32 v33, s2, v33, 8
	s_delay_alu instid0(VALU_DEP_1) | instskip(SKIP_1) | instid1(VALU_DEP_1)
	v_add_co_ci_u32_e64 v34, s2, 0, v34, s2
	v_add_co_u32 v35, s2, v35, 8
	v_add_co_ci_u32_e64 v36, s2, 0, v36, s2
	s_add_u32 s6, s6, 1
	s_addc_u32 s7, s7, 0
	s_and_not1_b32 s2, s31, exec_lo
	s_waitcnt vmcnt(0)
	v_cmp_neq_f64_e32 vcc_lo, v[37:38], v[39:40]
	s_and_b32 s31, vcc_lo, exec_lo
	s_delay_alu instid0(SALU_CYCLE_1)
	s_or_b32 s31, s2, s31
.LBB845_326:                            ;   in Loop: Header=BB845_327 Depth=1
	v_dual_mov_b32 v38, s7 :: v_dual_mov_b32 v37, s6
	s_and_b32 s2, exec_lo, s31
	s_delay_alu instid0(SALU_CYCLE_1) | instskip(NEXT) | instid1(SALU_CYCLE_1)
	s_or_b32 s30, s2, s30
	s_and_not1_b32 exec_lo, exec_lo, s30
	s_cbranch_execz .LBB845_329
.LBB845_327:                            ; =>This Inner Loop Header: Depth=1
	s_or_b32 s31, s31, exec_lo
	s_cmp_eq_u64 s[4:5], s[6:7]
	s_cbranch_scc0 .LBB845_325
; %bb.328:                              ;   in Loop: Header=BB845_327 Depth=1
	s_mov_b64 s[6:7], s[22:23]
                                        ; implicit-def: $vgpr33_vgpr34
                                        ; implicit-def: $vgpr35_vgpr36
	s_branch .LBB845_326
.LBB845_329:
	s_set_inst_prefetch_distance 0x2
	s_or_b32 exec_lo, exec_lo, s30
	v_cmp_gt_i64_e32 vcc_lo, s[22:23], v[37:38]
	s_or_not1_b32 s2, vcc_lo, exec_lo
.LBB845_330:
	s_or_b32 exec_lo, exec_lo, s26
.LBB845_331:
	s_delay_alu instid0(SALU_CYCLE_1)
	s_and_b32 s26, s2, exec_lo
.LBB845_332:
	s_or_b32 exec_lo, exec_lo, s29
	v_or_b32_e32 v33, 3, v55
	s_mov_b32 s30, 0
	s_mov_b32 s29, 0
	s_mov_b32 s31, exec_lo
	s_delay_alu instid0(VALU_DEP_1)
	v_cmpx_gt_u32_e64 s28, v33
	s_cbranch_execz .LBB845_343
; %bb.333:
	s_and_not1_b32 vcc_lo, exec_lo, s18
	s_mov_b32 s2, 0
	s_cbranch_vccnz .LBB845_342
; %bb.334:
	v_mul_lo_u32 v37, v26, s22
	v_mul_lo_u32 v38, v25, s23
	v_mad_u64_u32 v[33:34], null, v25, s22, 0
	v_mul_lo_u32 v39, v28, s22
	v_mul_lo_u32 v40, v27, s23
	v_mad_u64_u32 v[35:36], null, v27, s22, 0
	s_mov_b32 s2, -1
	s_mov_b32 s29, exec_lo
	s_delay_alu instid0(VALU_DEP_4) | instskip(NEXT) | instid1(VALU_DEP_2)
	v_add3_u32 v34, v34, v38, v37
	v_add3_u32 v36, v36, v40, v39
	s_delay_alu instid0(VALU_DEP_2) | instskip(NEXT) | instid1(VALU_DEP_2)
	v_lshlrev_b64 v[33:34], 3, v[33:34]
	v_lshlrev_b64 v[37:38], 3, v[35:36]
	s_delay_alu instid0(VALU_DEP_2) | instskip(NEXT) | instid1(VALU_DEP_3)
	v_add_co_u32 v35, vcc_lo, s8, v33
	v_add_co_ci_u32_e32 v36, vcc_lo, s9, v34, vcc_lo
	s_delay_alu instid0(VALU_DEP_3) | instskip(NEXT) | instid1(VALU_DEP_4)
	v_add_co_u32 v33, vcc_lo, s8, v37
	v_add_co_ci_u32_e32 v34, vcc_lo, s9, v38, vcc_lo
	s_clause 0x1
	global_load_b64 v[37:38], v[35:36], off
	global_load_b64 v[39:40], v[33:34], off
	s_waitcnt vmcnt(0)
	v_cmpx_eq_f64_e32 v[37:38], v[39:40]
	s_cbranch_execz .LBB845_341
; %bb.335:
	v_add_co_u32 v33, vcc_lo, v33, 8
	v_add_co_ci_u32_e32 v34, vcc_lo, 0, v34, vcc_lo
	v_add_co_u32 v35, vcc_lo, v35, 8
	v_add_co_ci_u32_e32 v36, vcc_lo, 0, v36, vcc_lo
	s_add_u32 s4, s22, -1
	s_addc_u32 s5, s23, -1
	s_mov_b64 s[6:7], 0
	s_mov_b32 s33, 0
                                        ; implicit-def: $sgpr34
	s_set_inst_prefetch_distance 0x1
	s_branch .LBB845_338
	.p2align	6
.LBB845_336:                            ;   in Loop: Header=BB845_338 Depth=1
	global_load_b64 v[37:38], v[35:36], off
	global_load_b64 v[39:40], v[33:34], off
	v_add_co_u32 v33, s2, v33, 8
	s_delay_alu instid0(VALU_DEP_1) | instskip(SKIP_1) | instid1(VALU_DEP_1)
	v_add_co_ci_u32_e64 v34, s2, 0, v34, s2
	v_add_co_u32 v35, s2, v35, 8
	v_add_co_ci_u32_e64 v36, s2, 0, v36, s2
	s_add_u32 s6, s6, 1
	s_addc_u32 s7, s7, 0
	s_and_not1_b32 s2, s34, exec_lo
	s_waitcnt vmcnt(0)
	v_cmp_neq_f64_e32 vcc_lo, v[37:38], v[39:40]
	s_and_b32 s34, vcc_lo, exec_lo
	s_delay_alu instid0(SALU_CYCLE_1)
	s_or_b32 s34, s2, s34
.LBB845_337:                            ;   in Loop: Header=BB845_338 Depth=1
	v_dual_mov_b32 v38, s7 :: v_dual_mov_b32 v37, s6
	s_and_b32 s2, exec_lo, s34
	s_delay_alu instid0(SALU_CYCLE_1) | instskip(NEXT) | instid1(SALU_CYCLE_1)
	s_or_b32 s33, s2, s33
	s_and_not1_b32 exec_lo, exec_lo, s33
	s_cbranch_execz .LBB845_340
.LBB845_338:                            ; =>This Inner Loop Header: Depth=1
	s_or_b32 s34, s34, exec_lo
	s_cmp_eq_u64 s[4:5], s[6:7]
	s_cbranch_scc0 .LBB845_336
; %bb.339:                              ;   in Loop: Header=BB845_338 Depth=1
	s_mov_b64 s[6:7], s[22:23]
                                        ; implicit-def: $vgpr33_vgpr34
                                        ; implicit-def: $vgpr35_vgpr36
	s_branch .LBB845_337
.LBB845_340:
	s_set_inst_prefetch_distance 0x2
	s_or_b32 exec_lo, exec_lo, s33
	v_cmp_gt_i64_e32 vcc_lo, s[22:23], v[37:38]
	s_or_not1_b32 s2, vcc_lo, exec_lo
.LBB845_341:
	s_or_b32 exec_lo, exec_lo, s29
.LBB845_342:
	s_delay_alu instid0(SALU_CYCLE_1)
	s_and_b32 s29, s2, exec_lo
.LBB845_343:
	s_or_b32 exec_lo, exec_lo, s31
	v_or_b32_e32 v33, 2, v55
	s_mov_b32 s31, exec_lo
	s_delay_alu instid0(VALU_DEP_1)
	v_cmpx_gt_u32_e64 s28, v33
	s_cbranch_execz .LBB845_354
; %bb.344:
	s_and_not1_b32 vcc_lo, exec_lo, s18
	s_mov_b32 s2, 0
	s_cbranch_vccnz .LBB845_353
; %bb.345:
	v_mul_lo_u32 v37, v32, s22
	v_mul_lo_u32 v38, v31, s23
	v_mad_u64_u32 v[33:34], null, v31, s22, 0
	v_mul_lo_u32 v39, v26, s22
	v_mul_lo_u32 v40, v25, s23
	v_mad_u64_u32 v[35:36], null, v25, s22, 0
	s_mov_b32 s2, -1
	s_mov_b32 s30, exec_lo
	s_delay_alu instid0(VALU_DEP_4) | instskip(NEXT) | instid1(VALU_DEP_2)
	v_add3_u32 v34, v34, v38, v37
	v_add3_u32 v36, v36, v40, v39
	s_delay_alu instid0(VALU_DEP_2) | instskip(NEXT) | instid1(VALU_DEP_2)
	v_lshlrev_b64 v[33:34], 3, v[33:34]
	v_lshlrev_b64 v[37:38], 3, v[35:36]
	s_delay_alu instid0(VALU_DEP_2) | instskip(NEXT) | instid1(VALU_DEP_3)
	v_add_co_u32 v35, vcc_lo, s8, v33
	v_add_co_ci_u32_e32 v36, vcc_lo, s9, v34, vcc_lo
	s_delay_alu instid0(VALU_DEP_3) | instskip(NEXT) | instid1(VALU_DEP_4)
	v_add_co_u32 v33, vcc_lo, s8, v37
	v_add_co_ci_u32_e32 v34, vcc_lo, s9, v38, vcc_lo
	s_clause 0x1
	global_load_b64 v[37:38], v[35:36], off
	global_load_b64 v[39:40], v[33:34], off
	s_waitcnt vmcnt(0)
	v_cmpx_eq_f64_e32 v[37:38], v[39:40]
	s_cbranch_execz .LBB845_352
; %bb.346:
	v_add_co_u32 v33, vcc_lo, v33, 8
	v_add_co_ci_u32_e32 v34, vcc_lo, 0, v34, vcc_lo
	v_add_co_u32 v35, vcc_lo, v35, 8
	v_add_co_ci_u32_e32 v36, vcc_lo, 0, v36, vcc_lo
	s_add_u32 s4, s22, -1
	s_addc_u32 s5, s23, -1
	s_mov_b64 s[6:7], 0
	s_mov_b32 s33, 0
                                        ; implicit-def: $sgpr34
	s_set_inst_prefetch_distance 0x1
	s_branch .LBB845_349
	.p2align	6
.LBB845_347:                            ;   in Loop: Header=BB845_349 Depth=1
	global_load_b64 v[37:38], v[35:36], off
	global_load_b64 v[39:40], v[33:34], off
	v_add_co_u32 v33, s2, v33, 8
	s_delay_alu instid0(VALU_DEP_1) | instskip(SKIP_1) | instid1(VALU_DEP_1)
	v_add_co_ci_u32_e64 v34, s2, 0, v34, s2
	v_add_co_u32 v35, s2, v35, 8
	v_add_co_ci_u32_e64 v36, s2, 0, v36, s2
	s_add_u32 s6, s6, 1
	s_addc_u32 s7, s7, 0
	s_and_not1_b32 s2, s34, exec_lo
	s_waitcnt vmcnt(0)
	v_cmp_neq_f64_e32 vcc_lo, v[37:38], v[39:40]
	s_and_b32 s34, vcc_lo, exec_lo
	s_delay_alu instid0(SALU_CYCLE_1)
	s_or_b32 s34, s2, s34
.LBB845_348:                            ;   in Loop: Header=BB845_349 Depth=1
	v_dual_mov_b32 v38, s7 :: v_dual_mov_b32 v37, s6
	s_and_b32 s2, exec_lo, s34
	s_delay_alu instid0(SALU_CYCLE_1) | instskip(NEXT) | instid1(SALU_CYCLE_1)
	s_or_b32 s33, s2, s33
	s_and_not1_b32 exec_lo, exec_lo, s33
	s_cbranch_execz .LBB845_351
.LBB845_349:                            ; =>This Inner Loop Header: Depth=1
	s_or_b32 s34, s34, exec_lo
	s_cmp_eq_u64 s[4:5], s[6:7]
	s_cbranch_scc0 .LBB845_347
; %bb.350:                              ;   in Loop: Header=BB845_349 Depth=1
	s_mov_b64 s[6:7], s[22:23]
                                        ; implicit-def: $vgpr33_vgpr34
                                        ; implicit-def: $vgpr35_vgpr36
	s_branch .LBB845_348
.LBB845_351:
	s_set_inst_prefetch_distance 0x2
	s_or_b32 exec_lo, exec_lo, s33
	v_cmp_gt_i64_e32 vcc_lo, s[22:23], v[37:38]
	s_or_not1_b32 s2, vcc_lo, exec_lo
.LBB845_352:
	s_or_b32 exec_lo, exec_lo, s30
.LBB845_353:
	s_delay_alu instid0(SALU_CYCLE_1)
	s_and_b32 s30, s2, exec_lo
.LBB845_354:
	s_or_b32 exec_lo, exec_lo, s31
	v_or_b32_e32 v33, 1, v55
	s_mov_b32 s2, 0
	s_mov_b32 s31, exec_lo
	s_delay_alu instid0(VALU_DEP_1)
	v_cmpx_gt_u32_e64 s28, v33
	s_cbranch_execz .LBB845_365
; %bb.355:
	s_and_not1_b32 vcc_lo, exec_lo, s18
	s_cbranch_vccnz .LBB845_364
; %bb.356:
	v_mul_lo_u32 v37, v30, s22
	v_mul_lo_u32 v38, v29, s23
	v_mad_u64_u32 v[33:34], null, v29, s22, 0
	v_mul_lo_u32 v39, v32, s22
	v_mul_lo_u32 v40, v31, s23
	v_mad_u64_u32 v[35:36], null, v31, s22, 0
	s_mov_b32 s2, -1
	s_mov_b32 s33, exec_lo
	s_delay_alu instid0(VALU_DEP_4) | instskip(NEXT) | instid1(VALU_DEP_2)
	v_add3_u32 v34, v34, v38, v37
	v_add3_u32 v36, v36, v40, v39
	s_delay_alu instid0(VALU_DEP_2) | instskip(NEXT) | instid1(VALU_DEP_2)
	v_lshlrev_b64 v[33:34], 3, v[33:34]
	v_lshlrev_b64 v[37:38], 3, v[35:36]
	s_delay_alu instid0(VALU_DEP_2) | instskip(NEXT) | instid1(VALU_DEP_3)
	v_add_co_u32 v35, vcc_lo, s8, v33
	v_add_co_ci_u32_e32 v36, vcc_lo, s9, v34, vcc_lo
	s_delay_alu instid0(VALU_DEP_3) | instskip(NEXT) | instid1(VALU_DEP_4)
	v_add_co_u32 v33, vcc_lo, s8, v37
	v_add_co_ci_u32_e32 v34, vcc_lo, s9, v38, vcc_lo
	s_clause 0x1
	global_load_b64 v[37:38], v[35:36], off
	global_load_b64 v[39:40], v[33:34], off
	s_waitcnt vmcnt(0)
	v_cmpx_eq_f64_e32 v[37:38], v[39:40]
	s_cbranch_execz .LBB845_363
; %bb.357:
	v_add_co_u32 v33, vcc_lo, v33, 8
	v_add_co_ci_u32_e32 v34, vcc_lo, 0, v34, vcc_lo
	v_add_co_u32 v35, vcc_lo, v35, 8
	v_add_co_ci_u32_e32 v36, vcc_lo, 0, v36, vcc_lo
	s_add_u32 s4, s22, -1
	s_addc_u32 s5, s23, -1
	s_mov_b64 s[6:7], 0
	s_mov_b32 s34, 0
                                        ; implicit-def: $sgpr35
	s_set_inst_prefetch_distance 0x1
	s_branch .LBB845_360
	.p2align	6
.LBB845_358:                            ;   in Loop: Header=BB845_360 Depth=1
	global_load_b64 v[37:38], v[35:36], off
	global_load_b64 v[39:40], v[33:34], off
	v_add_co_u32 v33, s2, v33, 8
	s_delay_alu instid0(VALU_DEP_1) | instskip(SKIP_1) | instid1(VALU_DEP_1)
	v_add_co_ci_u32_e64 v34, s2, 0, v34, s2
	v_add_co_u32 v35, s2, v35, 8
	v_add_co_ci_u32_e64 v36, s2, 0, v36, s2
	s_add_u32 s6, s6, 1
	s_addc_u32 s7, s7, 0
	s_and_not1_b32 s2, s35, exec_lo
	s_waitcnt vmcnt(0)
	v_cmp_neq_f64_e32 vcc_lo, v[37:38], v[39:40]
	s_and_b32 s35, vcc_lo, exec_lo
	s_delay_alu instid0(SALU_CYCLE_1)
	s_or_b32 s35, s2, s35
.LBB845_359:                            ;   in Loop: Header=BB845_360 Depth=1
	v_dual_mov_b32 v38, s7 :: v_dual_mov_b32 v37, s6
	s_and_b32 s2, exec_lo, s35
	s_delay_alu instid0(SALU_CYCLE_1) | instskip(NEXT) | instid1(SALU_CYCLE_1)
	s_or_b32 s34, s2, s34
	s_and_not1_b32 exec_lo, exec_lo, s34
	s_cbranch_execz .LBB845_362
.LBB845_360:                            ; =>This Inner Loop Header: Depth=1
	s_or_b32 s35, s35, exec_lo
	s_cmp_eq_u64 s[4:5], s[6:7]
	s_cbranch_scc0 .LBB845_358
; %bb.361:                              ;   in Loop: Header=BB845_360 Depth=1
	s_mov_b64 s[6:7], s[22:23]
                                        ; implicit-def: $vgpr33_vgpr34
                                        ; implicit-def: $vgpr35_vgpr36
	s_branch .LBB845_359
.LBB845_362:
	s_set_inst_prefetch_distance 0x2
	s_or_b32 exec_lo, exec_lo, s34
	v_cmp_gt_i64_e32 vcc_lo, s[22:23], v[37:38]
	s_or_not1_b32 s2, vcc_lo, exec_lo
.LBB845_363:
	s_or_b32 exec_lo, exec_lo, s33
.LBB845_364:
	s_delay_alu instid0(SALU_CYCLE_1)
	s_and_b32 s2, s2, exec_lo
.LBB845_365:
	s_or_b32 exec_lo, exec_lo, s31
	v_cndmask_b32_e64 v34, 0, 1, s29
	v_cndmask_b32_e64 v35, 0, 1, s27
	;; [unrolled: 1-line block ×7, first 2 shown]
	v_lshlrev_b16 v35, 8, v35
	v_lshlrev_b16 v36, 8, v36
	;; [unrolled: 1-line block ×4, first 2 shown]
	s_mov_b32 s19, exec_lo
	v_or_b32_e32 v35, v38, v35
	v_or_b32_e32 v36, v39, v36
	;; [unrolled: 1-line block ×4, first 2 shown]
	s_waitcnt lgkmcnt(0)
	v_and_b32_e32 v34, 0xffff, v35
	v_lshlrev_b32_e32 v35, 16, v36
	v_and_b32_e32 v36, 0xffff, v37
	v_lshlrev_b32_e32 v33, 16, v33
	s_barrier
	buffer_gl0_inv
	v_or_b32_e32 v34, v34, v35
                                        ; implicit-def: $sgpr2
	v_or_b32_e32 v33, v36, v33
	v_cmpx_ne_u32_e32 0, v0
	s_cbranch_execz .LBB845_378
; %bb.366:
	s_mov_b32 s2, 0
	s_mov_b32 s25, exec_lo
	v_cmpx_gt_u32_e64 s28, v55
	s_cbranch_execz .LBB845_377
; %bb.367:
	s_and_not1_b32 vcc_lo, exec_lo, s18
	s_cbranch_vccnz .LBB845_376
; %bb.368:
	v_add_nc_u32_e32 v35, -8, v55
	v_mul_lo_u32 v42, v29, s23
	v_mad_u64_u32 v[38:39], null, v29, s22, 0
	s_mov_b32 s2, -1
	ds_load_b64 v[35:36], v35
	s_waitcnt lgkmcnt(0)
	v_mul_lo_u32 v40, v36, s22
	v_mul_lo_u32 v41, v35, s23
	v_mad_u64_u32 v[36:37], null, v35, s22, 0
	v_mul_lo_u32 v35, v30, s22
	s_delay_alu instid0(VALU_DEP_2) | instskip(NEXT) | instid1(VALU_DEP_2)
	v_add3_u32 v37, v37, v41, v40
	v_add3_u32 v39, v39, v42, v35
	s_delay_alu instid0(VALU_DEP_2) | instskip(NEXT) | instid1(VALU_DEP_2)
	v_lshlrev_b64 v[35:36], 3, v[36:37]
	v_lshlrev_b64 v[39:40], 3, v[38:39]
	s_delay_alu instid0(VALU_DEP_2) | instskip(NEXT) | instid1(VALU_DEP_3)
	v_add_co_u32 v37, vcc_lo, s8, v35
	v_add_co_ci_u32_e32 v38, vcc_lo, s9, v36, vcc_lo
	s_delay_alu instid0(VALU_DEP_3) | instskip(NEXT) | instid1(VALU_DEP_4)
	v_add_co_u32 v35, vcc_lo, s8, v39
	v_add_co_ci_u32_e32 v36, vcc_lo, s9, v40, vcc_lo
	s_clause 0x1
	global_load_b64 v[39:40], v[37:38], off
	global_load_b64 v[41:42], v[35:36], off
	s_mov_b32 s8, exec_lo
	s_waitcnt vmcnt(0)
	v_cmpx_eq_f64_e32 v[39:40], v[41:42]
	s_cbranch_execz .LBB845_375
; %bb.369:
	v_add_co_u32 v35, vcc_lo, v35, 8
	v_add_co_ci_u32_e32 v36, vcc_lo, 0, v36, vcc_lo
	v_add_co_u32 v37, vcc_lo, v37, 8
	v_add_co_ci_u32_e32 v38, vcc_lo, 0, v38, vcc_lo
	s_add_u32 s4, s22, -1
	s_addc_u32 s5, s23, -1
	s_mov_b64 s[6:7], 0
	s_mov_b32 s9, 0
                                        ; implicit-def: $sgpr18
	s_set_inst_prefetch_distance 0x1
	s_branch .LBB845_372
	.p2align	6
.LBB845_370:                            ;   in Loop: Header=BB845_372 Depth=1
	global_load_b64 v[39:40], v[37:38], off
	global_load_b64 v[41:42], v[35:36], off
	v_add_co_u32 v35, s2, v35, 8
	s_delay_alu instid0(VALU_DEP_1) | instskip(SKIP_1) | instid1(VALU_DEP_1)
	v_add_co_ci_u32_e64 v36, s2, 0, v36, s2
	v_add_co_u32 v37, s2, v37, 8
	v_add_co_ci_u32_e64 v38, s2, 0, v38, s2
	s_add_u32 s6, s6, 1
	s_addc_u32 s7, s7, 0
	s_and_not1_b32 s2, s18, exec_lo
	s_waitcnt vmcnt(0)
	v_cmp_neq_f64_e32 vcc_lo, v[39:40], v[41:42]
	s_and_b32 s18, vcc_lo, exec_lo
	s_delay_alu instid0(SALU_CYCLE_1)
	s_or_b32 s18, s2, s18
.LBB845_371:                            ;   in Loop: Header=BB845_372 Depth=1
	v_dual_mov_b32 v40, s7 :: v_dual_mov_b32 v39, s6
	s_and_b32 s2, exec_lo, s18
	s_delay_alu instid0(SALU_CYCLE_1) | instskip(NEXT) | instid1(SALU_CYCLE_1)
	s_or_b32 s9, s2, s9
	s_and_not1_b32 exec_lo, exec_lo, s9
	s_cbranch_execz .LBB845_374
.LBB845_372:                            ; =>This Inner Loop Header: Depth=1
	s_or_b32 s18, s18, exec_lo
	s_cmp_eq_u64 s[4:5], s[6:7]
	s_cbranch_scc0 .LBB845_370
; %bb.373:                              ;   in Loop: Header=BB845_372 Depth=1
	s_mov_b64 s[6:7], s[22:23]
                                        ; implicit-def: $vgpr35_vgpr36
                                        ; implicit-def: $vgpr37_vgpr38
	s_branch .LBB845_371
.LBB845_374:
	s_set_inst_prefetch_distance 0x2
	s_or_b32 exec_lo, exec_lo, s9
	v_cmp_gt_i64_e32 vcc_lo, s[22:23], v[39:40]
	s_or_not1_b32 s2, vcc_lo, exec_lo
.LBB845_375:
	s_or_b32 exec_lo, exec_lo, s8
.LBB845_376:
	s_delay_alu instid0(SALU_CYCLE_1)
	s_and_b32 s2, s2, exec_lo
.LBB845_377:
	s_or_b32 exec_lo, exec_lo, s25
	s_delay_alu instid0(SALU_CYCLE_1)
	s_and_b32 s2, s2, exec_lo
	s_or_b32 s3, s3, exec_lo
.LBB845_378:
	s_or_b32 exec_lo, exec_lo, s19
.LBB845_379:
	s_and_saveexec_b32 s4, s3
; %bb.380:
	v_and_b32_e32 v35, 0xffffff00, v33
	v_cndmask_b32_e64 v36, 0, 1, s2
	s_delay_alu instid0(VALU_DEP_1) | instskip(NEXT) | instid1(VALU_DEP_1)
	v_or_b32_e32 v35, v36, v35
	v_and_b32_e32 v35, 0xffff, v35
	s_delay_alu instid0(VALU_DEP_1)
	v_and_or_b32 v33, 0xffff0000, v33, v35
; %bb.381:
	s_or_b32 exec_lo, exec_lo, s4
	s_delay_alu instid0(SALU_CYCLE_1)
	s_and_not1_b32 vcc_lo, exec_lo, s21
	s_cbranch_vccnz .LBB845_383
; %bb.382:
	v_cmp_gt_u32_e32 vcc_lo, s28, v55
	v_or_b32_e32 v36, 1, v55
	v_and_b32_e32 v37, 0xffffff00, v34
	v_or_b32_e32 v38, 2, v55
	v_cndmask_b32_e32 v35, 0, v33, vcc_lo
	s_delay_alu instid0(VALU_DEP_4) | instskip(SKIP_1) | instid1(VALU_DEP_4)
	v_cmp_gt_u32_e32 vcc_lo, s28, v36
	v_or_b32_e32 v36, 4, v55
	v_cmp_gt_u32_e64 s2, s28, v38
	v_or_b32_e32 v38, 3, v55
	v_and_b32_e32 v35, 0xff, v35
	s_delay_alu instid0(VALU_DEP_2) | instskip(NEXT) | instid1(VALU_DEP_2)
	v_cmp_gt_u32_e64 s3, s28, v38
	v_cndmask_b32_e32 v35, v35, v33, vcc_lo
	v_cmp_gt_u32_e32 vcc_lo, s28, v36
	v_cndmask_b32_e32 v36, v37, v34, vcc_lo
	v_or_b32_e32 v37, 5, v55
	s_delay_alu instid0(VALU_DEP_2) | instskip(SKIP_1) | instid1(VALU_DEP_1)
	v_and_b32_e32 v36, 0xffff00ff, v36
	v_and_b32_e32 v35, 0xffff, v35
	v_cndmask_b32_e64 v35, v35, v33, s2
	s_delay_alu instid0(VALU_DEP_4) | instskip(SKIP_1) | instid1(VALU_DEP_3)
	v_cmp_gt_u32_e64 s2, s28, v37
	v_or_b32_e32 v37, 6, v55
	v_and_b32_e32 v35, 0xffffff, v35
	s_delay_alu instid0(VALU_DEP_3) | instskip(NEXT) | instid1(VALU_DEP_2)
	v_cndmask_b32_e64 v36, v36, v34, s2
	v_cndmask_b32_e64 v35, v35, v33, s3
	s_delay_alu instid0(VALU_DEP_1) | instskip(SKIP_2) | instid1(VALU_DEP_3)
	v_dual_cndmask_b32 v35, v35, v33 :: v_dual_and_b32 v36, 0xff00ffff, v36
	v_cmp_gt_u32_e32 vcc_lo, s28, v37
	v_or_b32_e32 v37, 7, v55
	v_cndmask_b32_e64 v35, v35, v33, s2
	s_delay_alu instid0(VALU_DEP_1) | instskip(NEXT) | instid1(VALU_DEP_1)
	v_dual_cndmask_b32 v36, v36, v34 :: v_dual_cndmask_b32 v35, v35, v33
	v_and_b32_e32 v36, 0xffffff, v36
	s_delay_alu instid0(VALU_DEP_4) | instskip(NEXT) | instid1(VALU_DEP_2)
	v_cmp_gt_u32_e32 vcc_lo, s28, v37
	v_dual_cndmask_b32 v34, v36, v34 :: v_dual_cndmask_b32 v33, v35, v33
.LBB845_383:
	s_delay_alu instid0(VALU_DEP_1) | instskip(NEXT) | instid1(VALU_DEP_2)
	v_and_b32_e32 v42, 0xff, v33
	v_alignbit_b32 v35, v34, v33, 24
	v_bfe_u32 v44, v33, 8, 8
	v_bfe_u32 v46, v33, 16, 8
	v_and_b32_e32 v50, 0xff, v34
	v_bfe_u32 v52, v34, 8, 8
	v_and_b32_e32 v48, 0xff, v35
	v_add_nc_u32_e32 v35, v44, v42
	v_mbcnt_lo_u32_b32 v57, -1, 0
	v_bfe_u32 v54, v34, 16, 8
	v_lshrrev_b32_e32 v56, 24, v34
	v_lshrrev_b32_e32 v58, 5, v0
	v_add3_u32 v35, v35, v46, v48
	v_and_b32_e32 v36, 15, v57
	v_and_b32_e32 v37, 16, v57
	s_and_b32 vcc_lo, exec_lo, s24
	s_mov_b32 s9, -1
	v_add3_u32 v35, v35, v50, v52
	v_cmp_eq_u32_e64 s4, 0, v36
	v_cmp_lt_u32_e64 s2, 1, v36
	v_cmp_lt_u32_e64 s5, 3, v36
	v_cmp_lt_u32_e64 s3, 7, v36
	v_add3_u32 v59, v35, v54, v56
	v_or_b32_e32 v35, 31, v0
	v_cmp_eq_u32_e64 s7, 0, v37
	s_waitcnt lgkmcnt(0)
	s_barrier
	buffer_gl0_inv
	v_cmp_eq_u32_e64 s6, v35, v0
	s_cbranch_vccz .LBB845_409
; %bb.384:
	v_mov_b32_dpp v35, v59 row_shr:1 row_mask:0xf bank_mask:0xf
	s_delay_alu instid0(VALU_DEP_1) | instskip(NEXT) | instid1(VALU_DEP_1)
	v_cndmask_b32_e64 v35, v35, 0, s4
	v_add_nc_u32_e32 v35, v35, v59
	s_delay_alu instid0(VALU_DEP_1) | instskip(NEXT) | instid1(VALU_DEP_1)
	v_mov_b32_dpp v36, v35 row_shr:2 row_mask:0xf bank_mask:0xf
	v_cndmask_b32_e64 v36, 0, v36, s2
	s_delay_alu instid0(VALU_DEP_1) | instskip(NEXT) | instid1(VALU_DEP_1)
	v_add_nc_u32_e32 v35, v35, v36
	v_mov_b32_dpp v36, v35 row_shr:4 row_mask:0xf bank_mask:0xf
	s_delay_alu instid0(VALU_DEP_1) | instskip(NEXT) | instid1(VALU_DEP_1)
	v_cndmask_b32_e64 v36, 0, v36, s5
	v_add_nc_u32_e32 v35, v35, v36
	s_delay_alu instid0(VALU_DEP_1) | instskip(NEXT) | instid1(VALU_DEP_1)
	v_mov_b32_dpp v36, v35 row_shr:8 row_mask:0xf bank_mask:0xf
	v_cndmask_b32_e64 v36, 0, v36, s3
	s_delay_alu instid0(VALU_DEP_1) | instskip(SKIP_3) | instid1(VALU_DEP_1)
	v_add_nc_u32_e32 v35, v35, v36
	ds_swizzle_b32 v36, v35 offset:swizzle(BROADCAST,32,15)
	s_waitcnt lgkmcnt(0)
	v_cndmask_b32_e64 v36, v36, 0, s7
	v_add_nc_u32_e32 v35, v35, v36
	s_and_saveexec_b32 s8, s6
	s_cbranch_execz .LBB845_386
; %bb.385:
	v_lshlrev_b32_e32 v36, 2, v58
	ds_store_b32 v36, v35
.LBB845_386:
	s_or_b32 exec_lo, exec_lo, s8
	s_delay_alu instid0(SALU_CYCLE_1)
	s_mov_b32 s8, exec_lo
	s_waitcnt lgkmcnt(0)
	s_barrier
	buffer_gl0_inv
	v_cmpx_gt_u32_e32 16, v0
	s_cbranch_execz .LBB845_388
; %bb.387:
	v_lshlrev_b32_e32 v36, 2, v0
	ds_load_b32 v37, v36
	s_waitcnt lgkmcnt(0)
	v_mov_b32_dpp v38, v37 row_shr:1 row_mask:0xf bank_mask:0xf
	s_delay_alu instid0(VALU_DEP_1) | instskip(NEXT) | instid1(VALU_DEP_1)
	v_cndmask_b32_e64 v38, v38, 0, s4
	v_add_nc_u32_e32 v37, v38, v37
	s_delay_alu instid0(VALU_DEP_1) | instskip(NEXT) | instid1(VALU_DEP_1)
	v_mov_b32_dpp v38, v37 row_shr:2 row_mask:0xf bank_mask:0xf
	v_cndmask_b32_e64 v38, 0, v38, s2
	s_delay_alu instid0(VALU_DEP_1) | instskip(NEXT) | instid1(VALU_DEP_1)
	v_add_nc_u32_e32 v37, v37, v38
	v_mov_b32_dpp v38, v37 row_shr:4 row_mask:0xf bank_mask:0xf
	s_delay_alu instid0(VALU_DEP_1) | instskip(NEXT) | instid1(VALU_DEP_1)
	v_cndmask_b32_e64 v38, 0, v38, s5
	v_add_nc_u32_e32 v37, v37, v38
	s_delay_alu instid0(VALU_DEP_1) | instskip(NEXT) | instid1(VALU_DEP_1)
	v_mov_b32_dpp v38, v37 row_shr:8 row_mask:0xf bank_mask:0xf
	v_cndmask_b32_e64 v38, 0, v38, s3
	s_delay_alu instid0(VALU_DEP_1)
	v_add_nc_u32_e32 v37, v37, v38
	ds_store_b32 v36, v37
.LBB845_388:
	s_or_b32 exec_lo, exec_lo, s8
	v_cmp_gt_u32_e32 vcc_lo, 32, v0
	s_mov_b32 s9, exec_lo
	s_waitcnt lgkmcnt(0)
	s_barrier
	buffer_gl0_inv
                                        ; implicit-def: $vgpr43
	v_cmpx_lt_u32_e32 31, v0
	s_cbranch_execz .LBB845_390
; %bb.389:
	v_lshl_add_u32 v36, v58, 2, -4
	ds_load_b32 v43, v36
	s_waitcnt lgkmcnt(0)
	v_add_nc_u32_e32 v35, v43, v35
.LBB845_390:
	s_or_b32 exec_lo, exec_lo, s9
	v_add_nc_u32_e32 v36, -1, v57
	s_delay_alu instid0(VALU_DEP_1) | instskip(NEXT) | instid1(VALU_DEP_1)
	v_cmp_gt_i32_e64 s8, 0, v36
	v_cndmask_b32_e64 v36, v36, v57, s8
	v_cmp_eq_u32_e64 s8, 0, v57
	s_delay_alu instid0(VALU_DEP_2)
	v_lshlrev_b32_e32 v36, 2, v36
	ds_bpermute_b32 v45, v36, v35
	s_and_saveexec_b32 s9, vcc_lo
	s_cbranch_execz .LBB845_408
; %bb.391:
	v_mov_b32_e32 v38, 0
	ds_load_b32 v35, v38 offset:60
	s_and_saveexec_b32 s18, s8
	s_cbranch_execz .LBB845_393
; %bb.392:
	s_add_i32 s22, s15, 32
	s_mov_b32 s23, 0
	v_mov_b32_e32 v36, 1
	s_lshl_b64 s[22:23], s[22:23], 3
	s_delay_alu instid0(SALU_CYCLE_1)
	s_add_u32 s22, s10, s22
	s_addc_u32 s23, s11, s23
	s_waitcnt lgkmcnt(0)
	global_store_b64 v38, v[35:36], s[22:23]
.LBB845_393:
	s_or_b32 exec_lo, exec_lo, s18
	v_xad_u32 v36, v57, -1, s15
	s_mov_b32 s19, 0
	s_mov_b32 s18, exec_lo
	s_delay_alu instid0(VALU_DEP_1) | instskip(NEXT) | instid1(VALU_DEP_1)
	v_add_nc_u32_e32 v37, 32, v36
	v_lshlrev_b64 v[37:38], 3, v[37:38]
	s_delay_alu instid0(VALU_DEP_1) | instskip(NEXT) | instid1(VALU_DEP_2)
	v_add_co_u32 v40, vcc_lo, s10, v37
	v_add_co_ci_u32_e32 v41, vcc_lo, s11, v38, vcc_lo
	global_load_b64 v[38:39], v[40:41], off glc
	s_waitcnt vmcnt(0)
	v_and_b32_e32 v37, 0xff, v39
	s_delay_alu instid0(VALU_DEP_1)
	v_cmpx_eq_u16_e32 0, v37
	s_cbranch_execz .LBB845_396
.LBB845_394:                            ; =>This Inner Loop Header: Depth=1
	global_load_b64 v[38:39], v[40:41], off glc
	s_waitcnt vmcnt(0)
	v_and_b32_e32 v37, 0xff, v39
	s_delay_alu instid0(VALU_DEP_1) | instskip(SKIP_1) | instid1(SALU_CYCLE_1)
	v_cmp_ne_u16_e32 vcc_lo, 0, v37
	s_or_b32 s19, vcc_lo, s19
	s_and_not1_b32 exec_lo, exec_lo, s19
	s_cbranch_execnz .LBB845_394
; %bb.395:
	s_or_b32 exec_lo, exec_lo, s19
.LBB845_396:
	s_delay_alu instid0(SALU_CYCLE_1)
	s_or_b32 exec_lo, exec_lo, s18
	v_cmp_ne_u32_e32 vcc_lo, 31, v57
	v_lshlrev_b32_e64 v49, v57, -1
	v_add_nc_u32_e32 v53, 2, v57
	v_add_nc_u32_e32 v62, 4, v57
	;; [unrolled: 1-line block ×3, first 2 shown]
	v_add_co_ci_u32_e32 v37, vcc_lo, 0, v57, vcc_lo
	v_add_nc_u32_e32 v66, 16, v57
	s_delay_alu instid0(VALU_DEP_2)
	v_lshlrev_b32_e32 v47, 2, v37
	v_and_b32_e32 v37, 0xff, v39
	ds_bpermute_b32 v40, v47, v38
	v_cmp_eq_u16_e32 vcc_lo, 2, v37
	v_and_or_b32 v37, vcc_lo, v49, 0x80000000
	v_cmp_gt_u32_e32 vcc_lo, 30, v57
	s_delay_alu instid0(VALU_DEP_2) | instskip(SKIP_1) | instid1(VALU_DEP_2)
	v_ctz_i32_b32_e32 v37, v37
	v_cndmask_b32_e64 v41, 0, 1, vcc_lo
	v_cmp_lt_u32_e32 vcc_lo, v57, v37
	s_waitcnt lgkmcnt(0)
	s_delay_alu instid0(VALU_DEP_2) | instskip(NEXT) | instid1(VALU_DEP_1)
	v_dual_cndmask_b32 v40, 0, v40 :: v_dual_lshlrev_b32 v41, 1, v41
	v_add_lshl_u32 v51, v41, v57, 2
	v_cmp_gt_u32_e32 vcc_lo, 28, v57
	s_delay_alu instid0(VALU_DEP_3) | instskip(SKIP_4) | instid1(VALU_DEP_1)
	v_add_nc_u32_e32 v38, v40, v38
	v_cndmask_b32_e64 v41, 0, 1, vcc_lo
	v_cmp_le_u32_e32 vcc_lo, v53, v37
	ds_bpermute_b32 v40, v51, v38
	v_lshlrev_b32_e32 v41, 2, v41
	v_add_lshl_u32 v60, v41, v57, 2
	s_waitcnt lgkmcnt(0)
	v_cndmask_b32_e32 v40, 0, v40, vcc_lo
	v_cmp_gt_u32_e32 vcc_lo, 24, v57
	s_delay_alu instid0(VALU_DEP_2) | instskip(SKIP_4) | instid1(VALU_DEP_1)
	v_add_nc_u32_e32 v38, v38, v40
	v_cndmask_b32_e64 v41, 0, 1, vcc_lo
	v_cmp_le_u32_e32 vcc_lo, v62, v37
	ds_bpermute_b32 v40, v60, v38
	v_lshlrev_b32_e32 v41, 3, v41
	v_add_lshl_u32 v63, v41, v57, 2
	s_waitcnt lgkmcnt(0)
	v_cndmask_b32_e32 v40, 0, v40, vcc_lo
	v_cmp_gt_u32_e32 vcc_lo, 16, v57
	s_delay_alu instid0(VALU_DEP_2) | instskip(SKIP_4) | instid1(VALU_DEP_1)
	v_add_nc_u32_e32 v38, v38, v40
	v_cndmask_b32_e64 v41, 0, 1, vcc_lo
	v_cmp_le_u32_e32 vcc_lo, v64, v37
	ds_bpermute_b32 v40, v63, v38
	v_lshlrev_b32_e32 v41, 4, v41
	v_add_lshl_u32 v65, v41, v57, 2
	s_waitcnt lgkmcnt(0)
	v_cndmask_b32_e32 v40, 0, v40, vcc_lo
	v_cmp_le_u32_e32 vcc_lo, v66, v37
	s_delay_alu instid0(VALU_DEP_2) | instskip(SKIP_3) | instid1(VALU_DEP_1)
	v_add_nc_u32_e32 v38, v38, v40
	ds_bpermute_b32 v40, v65, v38
	s_waitcnt lgkmcnt(0)
	v_cndmask_b32_e32 v37, 0, v40, vcc_lo
	v_dual_mov_b32 v37, 0 :: v_dual_add_nc_u32 v38, v38, v37
	s_branch .LBB845_398
.LBB845_397:                            ;   in Loop: Header=BB845_398 Depth=1
	s_or_b32 exec_lo, exec_lo, s18
	ds_bpermute_b32 v41, v47, v38
	v_and_b32_e32 v40, 0xff, v39
	v_subrev_nc_u32_e32 v36, 32, v36
	s_delay_alu instid0(VALU_DEP_2) | instskip(SKIP_1) | instid1(VALU_DEP_1)
	v_cmp_eq_u16_e32 vcc_lo, 2, v40
	v_and_or_b32 v40, vcc_lo, v49, 0x80000000
	v_ctz_i32_b32_e32 v40, v40
	s_delay_alu instid0(VALU_DEP_1) | instskip(SKIP_3) | instid1(VALU_DEP_2)
	v_cmp_lt_u32_e32 vcc_lo, v57, v40
	s_waitcnt lgkmcnt(0)
	v_cndmask_b32_e32 v41, 0, v41, vcc_lo
	v_cmp_le_u32_e32 vcc_lo, v53, v40
	v_add_nc_u32_e32 v38, v41, v38
	ds_bpermute_b32 v41, v51, v38
	s_waitcnt lgkmcnt(0)
	v_cndmask_b32_e32 v41, 0, v41, vcc_lo
	v_cmp_le_u32_e32 vcc_lo, v62, v40
	s_delay_alu instid0(VALU_DEP_2) | instskip(SKIP_4) | instid1(VALU_DEP_2)
	v_add_nc_u32_e32 v38, v38, v41
	ds_bpermute_b32 v41, v60, v38
	s_waitcnt lgkmcnt(0)
	v_cndmask_b32_e32 v41, 0, v41, vcc_lo
	v_cmp_le_u32_e32 vcc_lo, v64, v40
	v_add_nc_u32_e32 v38, v38, v41
	ds_bpermute_b32 v41, v63, v38
	s_waitcnt lgkmcnt(0)
	v_cndmask_b32_e32 v41, 0, v41, vcc_lo
	v_cmp_le_u32_e32 vcc_lo, v66, v40
	s_delay_alu instid0(VALU_DEP_2) | instskip(SKIP_3) | instid1(VALU_DEP_1)
	v_add_nc_u32_e32 v38, v38, v41
	ds_bpermute_b32 v41, v65, v38
	s_waitcnt lgkmcnt(0)
	v_cndmask_b32_e32 v40, 0, v41, vcc_lo
	v_add3_u32 v38, v40, v61, v38
.LBB845_398:                            ; =>This Loop Header: Depth=1
                                        ;     Child Loop BB845_401 Depth 2
	v_and_b32_e32 v39, 0xff, v39
	s_delay_alu instid0(VALU_DEP_2) | instskip(NEXT) | instid1(VALU_DEP_2)
	v_mov_b32_e32 v61, v38
	v_cmp_ne_u16_e32 vcc_lo, 2, v39
	v_cndmask_b32_e64 v39, 0, 1, vcc_lo
	;;#ASMSTART
	;;#ASMEND
	s_delay_alu instid0(VALU_DEP_1)
	v_cmp_ne_u32_e32 vcc_lo, 0, v39
	s_cmp_lg_u32 vcc_lo, exec_lo
	s_cbranch_scc1 .LBB845_403
; %bb.399:                              ;   in Loop: Header=BB845_398 Depth=1
	v_lshlrev_b64 v[38:39], 3, v[36:37]
	s_mov_b32 s18, exec_lo
	s_delay_alu instid0(VALU_DEP_1) | instskip(NEXT) | instid1(VALU_DEP_2)
	v_add_co_u32 v40, vcc_lo, s10, v38
	v_add_co_ci_u32_e32 v41, vcc_lo, s11, v39, vcc_lo
	global_load_b64 v[38:39], v[40:41], off glc
	s_waitcnt vmcnt(0)
	v_and_b32_e32 v67, 0xff, v39
	s_delay_alu instid0(VALU_DEP_1)
	v_cmpx_eq_u16_e32 0, v67
	s_cbranch_execz .LBB845_397
; %bb.400:                              ;   in Loop: Header=BB845_398 Depth=1
	s_mov_b32 s19, 0
.LBB845_401:                            ;   Parent Loop BB845_398 Depth=1
                                        ; =>  This Inner Loop Header: Depth=2
	global_load_b64 v[38:39], v[40:41], off glc
	s_waitcnt vmcnt(0)
	v_and_b32_e32 v67, 0xff, v39
	s_delay_alu instid0(VALU_DEP_1) | instskip(SKIP_1) | instid1(SALU_CYCLE_1)
	v_cmp_ne_u16_e32 vcc_lo, 0, v67
	s_or_b32 s19, vcc_lo, s19
	s_and_not1_b32 exec_lo, exec_lo, s19
	s_cbranch_execnz .LBB845_401
; %bb.402:                              ;   in Loop: Header=BB845_398 Depth=1
	s_or_b32 exec_lo, exec_lo, s19
	s_branch .LBB845_397
.LBB845_403:                            ;   in Loop: Header=BB845_398 Depth=1
                                        ; implicit-def: $vgpr38
                                        ; implicit-def: $vgpr39
	s_cbranch_execz .LBB845_398
; %bb.404:
	s_and_saveexec_b32 s18, s8
	s_cbranch_execz .LBB845_406
; %bb.405:
	s_add_i32 s22, s15, 32
	s_mov_b32 s23, 0
	v_dual_mov_b32 v37, 2 :: v_dual_add_nc_u32 v36, v61, v35
	s_lshl_b64 s[22:23], s[22:23], 3
	v_mov_b32_e32 v38, 0
	v_add_nc_u32_e64 v39, 0x8400, 0
	s_add_u32 s22, s10, s22
	s_addc_u32 s23, s11, s23
	global_store_b64 v38, v[36:37], s[22:23]
	ds_store_2addr_b32 v39, v35, v61 offset1:2
.LBB845_406:
	s_or_b32 exec_lo, exec_lo, s18
	v_cmp_eq_u32_e32 vcc_lo, 0, v0
	s_and_b32 exec_lo, exec_lo, vcc_lo
	s_cbranch_execz .LBB845_408
; %bb.407:
	v_mov_b32_e32 v35, 0
	ds_store_b32 v35, v61 offset:60
.LBB845_408:
	s_or_b32 exec_lo, exec_lo, s9
	s_waitcnt lgkmcnt(0)
	v_cndmask_b32_e64 v36, v45, v43, s8
	v_cmp_ne_u32_e32 vcc_lo, 0, v0
	v_mov_b32_e32 v35, 0
	s_waitcnt_vscnt null, 0x0
	s_barrier
	buffer_gl0_inv
	v_cndmask_b32_e32 v36, 0, v36, vcc_lo
	ds_load_b32 v35, v35 offset:60
	s_waitcnt lgkmcnt(0)
	s_barrier
	buffer_gl0_inv
	v_add_nc_u32_e32 v53, v35, v36
	v_add_nc_u32_e64 v35, 0x8400, 0
	s_delay_alu instid0(VALU_DEP_2) | instskip(SKIP_2) | instid1(VALU_DEP_1)
	v_add_nc_u32_e32 v51, v53, v42
	ds_load_2addr_b32 v[35:36], v35 offset1:2
	v_add_nc_u32_e32 v49, v51, v44
	v_add_nc_u32_e32 v47, v49, v46
	s_delay_alu instid0(VALU_DEP_1) | instskip(NEXT) | instid1(VALU_DEP_1)
	v_add_nc_u32_e32 v45, v47, v48
	v_add_nc_u32_e32 v43, v45, v50
	s_waitcnt lgkmcnt(0)
	v_readfirstlane_b32 s8, v36
	s_delay_alu instid0(VALU_DEP_2) | instskip(NEXT) | instid1(VALU_DEP_1)
	v_add_nc_u32_e32 v41, v43, v52
	v_add_nc_u32_e32 v39, v41, v54
	v_lshrrev_b64 v[37:38], 24, v[33:34]
	s_branch .LBB845_419
.LBB845_409:
                                        ; implicit-def: $vgpr39
                                        ; implicit-def: $vgpr41
                                        ; implicit-def: $vgpr43
                                        ; implicit-def: $vgpr45
                                        ; implicit-def: $vgpr47
                                        ; implicit-def: $vgpr49
                                        ; implicit-def: $vgpr51
                                        ; implicit-def: $vgpr53
                                        ; implicit-def: $sgpr8
                                        ; implicit-def: $vgpr35
	v_lshrrev_b64 v[37:38], 24, v[33:34]
	s_and_b32 vcc_lo, exec_lo, s9
	s_cbranch_vccz .LBB845_419
; %bb.410:
	v_mov_b32_dpp v35, v59 row_shr:1 row_mask:0xf bank_mask:0xf
	s_delay_alu instid0(VALU_DEP_1) | instskip(NEXT) | instid1(VALU_DEP_1)
	v_cndmask_b32_e64 v35, v35, 0, s4
	v_add_nc_u32_e32 v35, v35, v59
	s_delay_alu instid0(VALU_DEP_1) | instskip(NEXT) | instid1(VALU_DEP_1)
	v_mov_b32_dpp v36, v35 row_shr:2 row_mask:0xf bank_mask:0xf
	v_cndmask_b32_e64 v36, 0, v36, s2
	s_delay_alu instid0(VALU_DEP_1) | instskip(NEXT) | instid1(VALU_DEP_1)
	v_add_nc_u32_e32 v35, v35, v36
	v_mov_b32_dpp v36, v35 row_shr:4 row_mask:0xf bank_mask:0xf
	s_delay_alu instid0(VALU_DEP_1) | instskip(NEXT) | instid1(VALU_DEP_1)
	v_cndmask_b32_e64 v36, 0, v36, s5
	v_add_nc_u32_e32 v35, v35, v36
	s_delay_alu instid0(VALU_DEP_1) | instskip(NEXT) | instid1(VALU_DEP_1)
	v_mov_b32_dpp v36, v35 row_shr:8 row_mask:0xf bank_mask:0xf
	v_cndmask_b32_e64 v36, 0, v36, s3
	s_delay_alu instid0(VALU_DEP_1) | instskip(SKIP_3) | instid1(VALU_DEP_1)
	v_add_nc_u32_e32 v35, v35, v36
	ds_swizzle_b32 v36, v35 offset:swizzle(BROADCAST,32,15)
	s_waitcnt lgkmcnt(0)
	v_cndmask_b32_e64 v36, v36, 0, s7
	v_add_nc_u32_e32 v35, v35, v36
	s_and_saveexec_b32 s7, s6
	s_cbranch_execz .LBB845_412
; %bb.411:
	v_lshlrev_b32_e32 v36, 2, v58
	ds_store_b32 v36, v35
.LBB845_412:
	s_or_b32 exec_lo, exec_lo, s7
	s_delay_alu instid0(SALU_CYCLE_1)
	s_mov_b32 s6, exec_lo
	s_waitcnt lgkmcnt(0)
	s_barrier
	buffer_gl0_inv
	v_cmpx_gt_u32_e32 16, v0
	s_cbranch_execz .LBB845_414
; %bb.413:
	v_lshlrev_b32_e32 v36, 2, v0
	ds_load_b32 v38, v36
	s_waitcnt lgkmcnt(0)
	v_mov_b32_dpp v39, v38 row_shr:1 row_mask:0xf bank_mask:0xf
	s_delay_alu instid0(VALU_DEP_1) | instskip(NEXT) | instid1(VALU_DEP_1)
	v_cndmask_b32_e64 v39, v39, 0, s4
	v_add_nc_u32_e32 v38, v39, v38
	s_delay_alu instid0(VALU_DEP_1) | instskip(NEXT) | instid1(VALU_DEP_1)
	v_mov_b32_dpp v39, v38 row_shr:2 row_mask:0xf bank_mask:0xf
	v_cndmask_b32_e64 v39, 0, v39, s2
	s_delay_alu instid0(VALU_DEP_1) | instskip(NEXT) | instid1(VALU_DEP_1)
	v_add_nc_u32_e32 v38, v38, v39
	v_mov_b32_dpp v39, v38 row_shr:4 row_mask:0xf bank_mask:0xf
	s_delay_alu instid0(VALU_DEP_1) | instskip(NEXT) | instid1(VALU_DEP_1)
	v_cndmask_b32_e64 v39, 0, v39, s5
	v_add_nc_u32_e32 v38, v38, v39
	s_delay_alu instid0(VALU_DEP_1) | instskip(NEXT) | instid1(VALU_DEP_1)
	v_mov_b32_dpp v39, v38 row_shr:8 row_mask:0xf bank_mask:0xf
	v_cndmask_b32_e64 v39, 0, v39, s3
	s_delay_alu instid0(VALU_DEP_1)
	v_add_nc_u32_e32 v38, v38, v39
	ds_store_b32 v36, v38
.LBB845_414:
	s_or_b32 exec_lo, exec_lo, s6
	v_mov_b32_e32 v36, 0
	v_mov_b32_e32 v38, 0
	s_mov_b32 s2, exec_lo
	s_waitcnt lgkmcnt(0)
	s_barrier
	buffer_gl0_inv
	v_cmpx_lt_u32_e32 31, v0
	s_cbranch_execz .LBB845_416
; %bb.415:
	v_lshl_add_u32 v38, v58, 2, -4
	ds_load_b32 v38, v38
.LBB845_416:
	s_or_b32 exec_lo, exec_lo, s2
	v_add_nc_u32_e32 v39, -1, v57
	s_waitcnt lgkmcnt(0)
	v_add_nc_u32_e32 v35, v38, v35
	s_mov_b32 s8, 0
	s_delay_alu instid0(VALU_DEP_2) | instskip(SKIP_2) | instid1(VALU_DEP_2)
	v_cmp_gt_i32_e32 vcc_lo, 0, v39
	v_cndmask_b32_e32 v39, v39, v57, vcc_lo
	v_cmp_eq_u32_e32 vcc_lo, 0, v0
	v_lshlrev_b32_e32 v39, 2, v39
	ds_bpermute_b32 v39, v39, v35
	ds_load_b32 v35, v36 offset:60
	s_and_saveexec_b32 s2, vcc_lo
	s_cbranch_execz .LBB845_418
; %bb.417:
	v_mov_b32_e32 v40, 0
	v_mov_b32_e32 v36, 2
	s_waitcnt lgkmcnt(0)
	global_store_b64 v40, v[35:36], s[10:11] offset:256
.LBB845_418:
	s_or_b32 exec_lo, exec_lo, s2
	v_cmp_eq_u32_e64 s2, 0, v57
	s_waitcnt lgkmcnt(0)
	s_waitcnt_vscnt null, 0x0
	s_barrier
	buffer_gl0_inv
	v_cndmask_b32_e64 v36, v39, v38, s2
	s_delay_alu instid0(VALU_DEP_1) | instskip(NEXT) | instid1(VALU_DEP_1)
	v_cndmask_b32_e64 v53, v36, 0, vcc_lo
	v_add_nc_u32_e32 v51, v53, v42
	s_delay_alu instid0(VALU_DEP_1) | instskip(NEXT) | instid1(VALU_DEP_1)
	v_add_nc_u32_e32 v49, v51, v44
	v_add_nc_u32_e32 v47, v49, v46
	s_delay_alu instid0(VALU_DEP_1) | instskip(NEXT) | instid1(VALU_DEP_1)
	v_add_nc_u32_e32 v45, v47, v48
	;; [unrolled: 3-line block ×3, first 2 shown]
	v_add_nc_u32_e32 v39, v41, v54
.LBB845_419:
	s_load_b128 s[4:7], s[0:1], 0x28
	v_add_nc_u32_e32 v59, s8, v35
	v_cmp_gt_u32_e64 s0, 0x201, v35
	v_lshrrev_b32_e32 v58, 8, v33
	v_lshrrev_b32_e32 v57, 16, v33
	;; [unrolled: 1-line block ×4, first 2 shown]
	v_cmp_lt_u32_e64 s1, v53, v59
	s_and_b32 vcc_lo, exec_lo, s0
	s_mov_b32 s2, -1
	s_cbranch_vccz .LBB845_445
; %bb.420:
	s_delay_alu instid0(VALU_DEP_1) | instskip(NEXT) | instid1(SALU_CYCLE_1)
	s_or_b32 s2, s20, s1
	s_and_saveexec_b32 s1, s2
	s_cbranch_execz .LBB845_423
; %bb.421:
	v_and_b32_e32 v40, 1, v33
	s_delay_alu instid0(VALU_DEP_1)
	v_cmp_eq_u32_e32 vcc_lo, 1, v40
	s_and_b32 exec_lo, exec_lo, vcc_lo
	s_cbranch_execz .LBB845_423
; %bb.422:
	v_mov_b32_e32 v54, 0
	s_lshl_b64 s[2:3], s[12:13], 3
	s_waitcnt lgkmcnt(0)
	s_add_u32 s2, s4, s2
	s_addc_u32 s3, s5, s3
	v_lshlrev_b64 v[60:61], 3, v[53:54]
	s_delay_alu instid0(VALU_DEP_1) | instskip(NEXT) | instid1(VALU_DEP_2)
	v_add_co_u32 v60, vcc_lo, s2, v60
	v_add_co_ci_u32_e32 v61, vcc_lo, s3, v61, vcc_lo
	global_store_b64 v[60:61], v[29:30], off
.LBB845_423:
	s_or_b32 exec_lo, exec_lo, s1
	v_cmp_lt_u32_e32 vcc_lo, v51, v59
	s_or_b32 s2, s20, vcc_lo
	s_delay_alu instid0(SALU_CYCLE_1)
	s_and_saveexec_b32 s1, s2
	s_cbranch_execz .LBB845_426
; %bb.424:
	v_and_b32_e32 v40, 1, v58
	s_delay_alu instid0(VALU_DEP_1)
	v_cmp_eq_u32_e32 vcc_lo, 1, v40
	s_and_b32 exec_lo, exec_lo, vcc_lo
	s_cbranch_execz .LBB845_426
; %bb.425:
	v_mov_b32_e32 v52, 0
	s_lshl_b64 s[2:3], s[12:13], 3
	s_waitcnt lgkmcnt(0)
	s_add_u32 s2, s4, s2
	s_addc_u32 s3, s5, s3
	v_lshlrev_b64 v[60:61], 3, v[51:52]
	s_delay_alu instid0(VALU_DEP_1) | instskip(NEXT) | instid1(VALU_DEP_2)
	v_add_co_u32 v60, vcc_lo, s2, v60
	v_add_co_ci_u32_e32 v61, vcc_lo, s3, v61, vcc_lo
	global_store_b64 v[60:61], v[31:32], off
.LBB845_426:
	s_or_b32 exec_lo, exec_lo, s1
	v_cmp_lt_u32_e32 vcc_lo, v49, v59
	s_or_b32 s2, s20, vcc_lo
	s_delay_alu instid0(SALU_CYCLE_1)
	;; [unrolled: 24-line block ×7, first 2 shown]
	s_and_saveexec_b32 s1, s2
	s_cbranch_execz .LBB845_444
; %bb.442:
	v_and_b32_e32 v40, 1, v56
	s_delay_alu instid0(VALU_DEP_1)
	v_cmp_eq_u32_e32 vcc_lo, 1, v40
	s_and_b32 exec_lo, exec_lo, vcc_lo
	s_cbranch_execz .LBB845_444
; %bb.443:
	v_mov_b32_e32 v40, 0
	s_lshl_b64 s[2:3], s[12:13], 3
	s_waitcnt lgkmcnt(0)
	s_add_u32 s2, s4, s2
	s_addc_u32 s3, s5, s3
	v_lshlrev_b64 v[60:61], 3, v[39:40]
	s_delay_alu instid0(VALU_DEP_1) | instskip(NEXT) | instid1(VALU_DEP_2)
	v_add_co_u32 v60, vcc_lo, s2, v60
	v_add_co_ci_u32_e32 v61, vcc_lo, s3, v61, vcc_lo
	global_store_b64 v[60:61], v[19:20], off
.LBB845_444:
	s_or_b32 exec_lo, exec_lo, s1
	s_mov_b32 s2, 0
.LBB845_445:
	v_and_b32_e32 v33, 1, v33
	s_and_b32 vcc_lo, exec_lo, s2
	s_delay_alu instid0(VALU_DEP_1)
	v_cmp_eq_u32_e64 s1, 1, v33
	s_cbranch_vccz .LBB845_466
; %bb.446:
	s_delay_alu instid0(VALU_DEP_1)
	s_and_saveexec_b32 s2, s1
	s_cbranch_execz .LBB845_448
; %bb.447:
	v_subrev_nc_u32_e32 v40, s8, v53
	s_delay_alu instid0(VALU_DEP_1)
	v_lshlrev_b32_e32 v40, 3, v40
	ds_store_b64 v40, v[29:30]
.LBB845_448:
	s_or_b32 exec_lo, exec_lo, s2
	v_and_b32_e32 v29, 1, v58
	s_mov_b32 s1, exec_lo
	s_delay_alu instid0(VALU_DEP_1)
	v_cmpx_eq_u32_e32 1, v29
	s_cbranch_execz .LBB845_450
; %bb.449:
	v_subrev_nc_u32_e32 v29, s8, v51
	s_delay_alu instid0(VALU_DEP_1)
	v_lshlrev_b32_e32 v29, 3, v29
	ds_store_b64 v29, v[31:32]
.LBB845_450:
	s_or_b32 exec_lo, exec_lo, s1
	v_and_b32_e32 v29, 1, v57
	s_mov_b32 s1, exec_lo
	s_delay_alu instid0(VALU_DEP_1)
	v_cmpx_eq_u32_e32 1, v29
	;; [unrolled: 12-line block ×7, first 2 shown]
	s_cbranch_execz .LBB845_462
; %bb.461:
	v_subrev_nc_u32_e32 v17, s8, v39
	s_delay_alu instid0(VALU_DEP_1)
	v_lshlrev_b32_e32 v17, 3, v17
	ds_store_b64 v17, v[19:20]
.LBB845_462:
	s_or_b32 exec_lo, exec_lo, s1
	s_delay_alu instid0(SALU_CYCLE_1)
	s_mov_b32 s2, exec_lo
	s_waitcnt lgkmcnt(0)
	s_waitcnt_vscnt null, 0x0
	s_barrier
	buffer_gl0_inv
	v_cmpx_lt_u32_e64 v0, v35
	s_cbranch_execz .LBB845_465
; %bb.463:
	s_mov_b32 s9, 0
	s_lshl_b64 s[10:11], s[12:13], 3
	s_lshl_b64 s[18:19], s[8:9], 3
	v_dual_mov_b32 v19, v55 :: v_dual_mov_b32 v20, v0
	s_add_u32 s1, s10, s18
	s_addc_u32 s3, s11, s19
	s_add_u32 s1, s4, s1
	s_addc_u32 s3, s5, s3
	v_add_co_u32 v17, s1, s1, v55
	s_delay_alu instid0(VALU_DEP_1)
	v_add_co_ci_u32_e64 v18, null, s3, 0, s1
	.p2align	6
.LBB845_464:                            ; =>This Inner Loop Header: Depth=1
	ds_load_b64 v[21:22], v19
	v_add_nc_u32_e32 v20, 0x200, v20
	v_add_nc_u32_e32 v19, 0x1000, v19
	s_delay_alu instid0(VALU_DEP_2) | instskip(SKIP_4) | instid1(VALU_DEP_1)
	v_cmp_ge_u32_e32 vcc_lo, v20, v35
	s_or_b32 s9, vcc_lo, s9
	s_waitcnt lgkmcnt(0)
	global_store_b64 v[17:18], v[21:22], off
	v_add_co_u32 v17, s1, 0x1000, v17
	v_add_co_ci_u32_e64 v18, s1, 0, v18, s1
	s_and_not1_b32 exec_lo, exec_lo, s9
	s_cbranch_execnz .LBB845_464
.LBB845_465:
	s_or_b32 exec_lo, exec_lo, s2
.LBB845_466:
	s_delay_alu instid0(SALU_CYCLE_1)
	s_and_b32 vcc_lo, exec_lo, s0
	s_mov_b32 s0, -1
	s_waitcnt lgkmcnt(0)
	s_waitcnt_vscnt null, 0x0
	s_barrier
	buffer_gl0_inv
	s_cbranch_vccz .LBB845_494
; %bb.467:
	v_cmp_lt_u32_e32 vcc_lo, v53, v59
	s_or_b32 s1, s20, vcc_lo
	s_delay_alu instid0(SALU_CYCLE_1)
	s_and_saveexec_b32 s0, s1
	s_cbranch_execz .LBB845_470
; %bb.468:
	v_cmp_eq_u32_e32 vcc_lo, 1, v33
	s_and_b32 exec_lo, exec_lo, vcc_lo
	s_cbranch_execz .LBB845_470
; %bb.469:
	v_mov_b32_e32 v54, 0
	s_lshl_b64 s[2:3], s[12:13], 3
	s_delay_alu instid0(SALU_CYCLE_1) | instskip(SKIP_1) | instid1(VALU_DEP_1)
	s_add_u32 s1, s6, s2
	s_addc_u32 s2, s7, s3
	v_lshlrev_b64 v[17:18], 3, v[53:54]
	s_delay_alu instid0(VALU_DEP_1) | instskip(NEXT) | instid1(VALU_DEP_2)
	v_add_co_u32 v17, vcc_lo, s1, v17
	v_add_co_ci_u32_e32 v18, vcc_lo, s2, v18, vcc_lo
	global_store_b64 v[17:18], v[13:14], off
.LBB845_470:
	s_or_b32 exec_lo, exec_lo, s0
	v_cmp_lt_u32_e32 vcc_lo, v51, v59
	s_or_b32 s1, s20, vcc_lo
	s_delay_alu instid0(SALU_CYCLE_1)
	s_and_saveexec_b32 s0, s1
	s_cbranch_execz .LBB845_473
; %bb.471:
	v_and_b32_e32 v17, 1, v58
	s_delay_alu instid0(VALU_DEP_1)
	v_cmp_eq_u32_e32 vcc_lo, 1, v17
	s_and_b32 exec_lo, exec_lo, vcc_lo
	s_cbranch_execz .LBB845_473
; %bb.472:
	v_mov_b32_e32 v52, 0
	s_lshl_b64 s[2:3], s[12:13], 3
	s_delay_alu instid0(SALU_CYCLE_1) | instskip(SKIP_1) | instid1(VALU_DEP_1)
	s_add_u32 s1, s6, s2
	s_addc_u32 s2, s7, s3
	v_lshlrev_b64 v[17:18], 3, v[51:52]
	s_delay_alu instid0(VALU_DEP_1) | instskip(NEXT) | instid1(VALU_DEP_2)
	v_add_co_u32 v17, vcc_lo, s1, v17
	v_add_co_ci_u32_e32 v18, vcc_lo, s2, v18, vcc_lo
	global_store_b64 v[17:18], v[15:16], off
.LBB845_473:
	s_or_b32 exec_lo, exec_lo, s0
	v_cmp_lt_u32_e32 vcc_lo, v49, v59
	s_or_b32 s1, s20, vcc_lo
	s_delay_alu instid0(SALU_CYCLE_1)
	s_and_saveexec_b32 s0, s1
	s_cbranch_execz .LBB845_476
; %bb.474:
	v_and_b32_e32 v17, 1, v57
	s_delay_alu instid0(VALU_DEP_1)
	v_cmp_eq_u32_e32 vcc_lo, 1, v17
	s_and_b32 exec_lo, exec_lo, vcc_lo
	s_cbranch_execz .LBB845_476
; %bb.475:
	v_mov_b32_e32 v50, 0
	s_lshl_b64 s[2:3], s[12:13], 3
	s_delay_alu instid0(SALU_CYCLE_1) | instskip(SKIP_1) | instid1(VALU_DEP_1)
	s_add_u32 s1, s6, s2
	s_addc_u32 s2, s7, s3
	v_lshlrev_b64 v[17:18], 3, v[49:50]
	s_delay_alu instid0(VALU_DEP_1) | instskip(NEXT) | instid1(VALU_DEP_2)
	v_add_co_u32 v17, vcc_lo, s1, v17
	v_add_co_ci_u32_e32 v18, vcc_lo, s2, v18, vcc_lo
	global_store_b64 v[17:18], v[9:10], off
.LBB845_476:
	;; [unrolled: 24-line block ×7, first 2 shown]
	s_or_b32 exec_lo, exec_lo, s0
.LBB845_492:
	v_cmp_eq_u32_e32 vcc_lo, 0, v0
	s_and_b32 s0, vcc_lo, s14
	s_delay_alu instid0(SALU_CYCLE_1)
	s_and_saveexec_b32 s1, s0
	s_cbranch_execz .LBB845_515
.LBB845_493:
	v_add_co_u32 v0, s0, s12, v35
	s_delay_alu instid0(VALU_DEP_1) | instskip(SKIP_1) | instid1(VALU_DEP_3)
	v_add_co_ci_u32_e64 v1, null, s13, 0, s0
	v_mov_b32_e32 v2, 0
	v_add_co_u32 v0, vcc_lo, v0, s8
	s_delay_alu instid0(VALU_DEP_3)
	v_add_co_ci_u32_e32 v1, vcc_lo, 0, v1, vcc_lo
	global_store_b64 v2, v[0:1], s[16:17]
	s_nop 0
	s_sendmsg sendmsg(MSG_DEALLOC_VGPRS)
	s_endpgm
.LBB845_494:
	s_and_b32 vcc_lo, exec_lo, s0
	s_cbranch_vccz .LBB845_492
; %bb.495:
	s_mov_b32 s0, exec_lo
	v_cmpx_eq_u32_e32 1, v33
	s_cbranch_execz .LBB845_497
; %bb.496:
	v_subrev_nc_u32_e32 v17, s8, v53
	s_delay_alu instid0(VALU_DEP_1)
	v_lshlrev_b32_e32 v17, 3, v17
	ds_store_b64 v17, v[13:14]
.LBB845_497:
	s_or_b32 exec_lo, exec_lo, s0
	v_and_b32_e32 v13, 1, v58
	s_mov_b32 s0, exec_lo
	s_delay_alu instid0(VALU_DEP_1)
	v_cmpx_eq_u32_e32 1, v13
	s_cbranch_execz .LBB845_499
; %bb.498:
	v_subrev_nc_u32_e32 v13, s8, v51
	s_delay_alu instid0(VALU_DEP_1)
	v_lshlrev_b32_e32 v13, 3, v13
	ds_store_b64 v13, v[15:16]
.LBB845_499:
	s_or_b32 exec_lo, exec_lo, s0
	v_and_b32_e32 v13, 1, v57
	s_mov_b32 s0, exec_lo
	s_delay_alu instid0(VALU_DEP_1)
	;; [unrolled: 12-line block ×7, first 2 shown]
	v_cmpx_eq_u32_e32 1, v1
	s_cbranch_execz .LBB845_511
; %bb.510:
	v_subrev_nc_u32_e32 v1, s8, v39
	s_delay_alu instid0(VALU_DEP_1)
	v_lshlrev_b32_e32 v1, 3, v1
	ds_store_b64 v1, v[3:4]
.LBB845_511:
	s_or_b32 exec_lo, exec_lo, s0
	s_delay_alu instid0(SALU_CYCLE_1)
	s_mov_b32 s1, exec_lo
	s_waitcnt lgkmcnt(0)
	s_waitcnt_vscnt null, 0x0
	s_barrier
	buffer_gl0_inv
	v_cmpx_lt_u32_e64 v0, v35
	s_cbranch_execz .LBB845_514
; %bb.512:
	s_mov_b32 s9, 0
	s_lshl_b64 s[2:3], s[12:13], 3
	s_lshl_b64 s[4:5], s[8:9], 3
	v_mov_b32_e32 v3, v0
	s_add_u32 s0, s2, s4
	s_addc_u32 s2, s3, s5
	s_add_u32 s0, s6, s0
	s_addc_u32 s2, s7, s2
	v_add_co_u32 v1, s0, s0, v55
	s_delay_alu instid0(VALU_DEP_1)
	v_add_co_ci_u32_e64 v2, null, s2, 0, s0
	.p2align	6
.LBB845_513:                            ; =>This Inner Loop Header: Depth=1
	ds_load_b64 v[4:5], v55
	v_add_nc_u32_e32 v3, 0x200, v3
	v_add_nc_u32_e32 v55, 0x1000, v55
	s_delay_alu instid0(VALU_DEP_2) | instskip(SKIP_4) | instid1(VALU_DEP_1)
	v_cmp_ge_u32_e32 vcc_lo, v3, v35
	s_or_b32 s9, vcc_lo, s9
	s_waitcnt lgkmcnt(0)
	global_store_b64 v[1:2], v[4:5], off
	v_add_co_u32 v1, s0, 0x1000, v1
	v_add_co_ci_u32_e64 v2, s0, 0, v2, s0
	s_and_not1_b32 exec_lo, exec_lo, s9
	s_cbranch_execnz .LBB845_513
.LBB845_514:
	s_or_b32 exec_lo, exec_lo, s1
	v_cmp_eq_u32_e32 vcc_lo, 0, v0
	s_and_b32 s0, vcc_lo, s14
	s_delay_alu instid0(SALU_CYCLE_1)
	s_and_saveexec_b32 s1, s0
	s_cbranch_execnz .LBB845_493
.LBB845_515:
	s_nop 0
	s_sendmsg sendmsg(MSG_DEALLOC_VGPRS)
	s_endpgm
	.section	.rodata,"a",@progbits
	.p2align	6, 0x0
	.amdhsa_kernel _ZN7rocprim17ROCPRIM_400000_NS6detail17trampoline_kernelINS0_14default_configENS1_25partition_config_selectorILNS1_17partition_subalgoE9EllbEEZZNS1_14partition_implILS5_9ELb0ES3_jPlS8_PNS0_10empty_typeENS0_5tupleIJS8_S9_EEENSB_IJS8_SA_EEENS0_18inequality_wrapperIZN2at6native12_GLOBAL__N_124unique_dim_cuda_templateIdEESt5tupleIJNSF_6TensorESK_SK_EERKSK_lbbbEUlllE0_EEPmJS9_EEE10hipError_tPvRmT3_T4_T5_T6_T7_T9_mT8_P12ihipStream_tbDpT10_ENKUlT_T0_E_clISt17integral_constantIbLb0EES1A_EEDaS15_S16_EUlS15_E_NS1_11comp_targetILNS1_3genE9ELNS1_11target_archE1100ELNS1_3gpuE3ELNS1_3repE0EEENS1_30default_config_static_selectorELNS0_4arch9wavefront6targetE0EEEvT1_
		.amdhsa_group_segment_fixed_size 33804
		.amdhsa_private_segment_fixed_size 0
		.amdhsa_kernarg_size 120
		.amdhsa_user_sgpr_count 15
		.amdhsa_user_sgpr_dispatch_ptr 0
		.amdhsa_user_sgpr_queue_ptr 0
		.amdhsa_user_sgpr_kernarg_segment_ptr 1
		.amdhsa_user_sgpr_dispatch_id 0
		.amdhsa_user_sgpr_private_segment_size 0
		.amdhsa_wavefront_size32 1
		.amdhsa_uses_dynamic_stack 0
		.amdhsa_enable_private_segment 0
		.amdhsa_system_sgpr_workgroup_id_x 1
		.amdhsa_system_sgpr_workgroup_id_y 0
		.amdhsa_system_sgpr_workgroup_id_z 0
		.amdhsa_system_sgpr_workgroup_info 0
		.amdhsa_system_vgpr_workitem_id 0
		.amdhsa_next_free_vgpr 68
		.amdhsa_next_free_sgpr 36
		.amdhsa_reserve_vcc 1
		.amdhsa_float_round_mode_32 0
		.amdhsa_float_round_mode_16_64 0
		.amdhsa_float_denorm_mode_32 3
		.amdhsa_float_denorm_mode_16_64 3
		.amdhsa_dx10_clamp 1
		.amdhsa_ieee_mode 1
		.amdhsa_fp16_overflow 0
		.amdhsa_workgroup_processor_mode 1
		.amdhsa_memory_ordered 1
		.amdhsa_forward_progress 0
		.amdhsa_shared_vgpr_count 0
		.amdhsa_exception_fp_ieee_invalid_op 0
		.amdhsa_exception_fp_denorm_src 0
		.amdhsa_exception_fp_ieee_div_zero 0
		.amdhsa_exception_fp_ieee_overflow 0
		.amdhsa_exception_fp_ieee_underflow 0
		.amdhsa_exception_fp_ieee_inexact 0
		.amdhsa_exception_int_div_zero 0
	.end_amdhsa_kernel
	.section	.text._ZN7rocprim17ROCPRIM_400000_NS6detail17trampoline_kernelINS0_14default_configENS1_25partition_config_selectorILNS1_17partition_subalgoE9EllbEEZZNS1_14partition_implILS5_9ELb0ES3_jPlS8_PNS0_10empty_typeENS0_5tupleIJS8_S9_EEENSB_IJS8_SA_EEENS0_18inequality_wrapperIZN2at6native12_GLOBAL__N_124unique_dim_cuda_templateIdEESt5tupleIJNSF_6TensorESK_SK_EERKSK_lbbbEUlllE0_EEPmJS9_EEE10hipError_tPvRmT3_T4_T5_T6_T7_T9_mT8_P12ihipStream_tbDpT10_ENKUlT_T0_E_clISt17integral_constantIbLb0EES1A_EEDaS15_S16_EUlS15_E_NS1_11comp_targetILNS1_3genE9ELNS1_11target_archE1100ELNS1_3gpuE3ELNS1_3repE0EEENS1_30default_config_static_selectorELNS0_4arch9wavefront6targetE0EEEvT1_,"axG",@progbits,_ZN7rocprim17ROCPRIM_400000_NS6detail17trampoline_kernelINS0_14default_configENS1_25partition_config_selectorILNS1_17partition_subalgoE9EllbEEZZNS1_14partition_implILS5_9ELb0ES3_jPlS8_PNS0_10empty_typeENS0_5tupleIJS8_S9_EEENSB_IJS8_SA_EEENS0_18inequality_wrapperIZN2at6native12_GLOBAL__N_124unique_dim_cuda_templateIdEESt5tupleIJNSF_6TensorESK_SK_EERKSK_lbbbEUlllE0_EEPmJS9_EEE10hipError_tPvRmT3_T4_T5_T6_T7_T9_mT8_P12ihipStream_tbDpT10_ENKUlT_T0_E_clISt17integral_constantIbLb0EES1A_EEDaS15_S16_EUlS15_E_NS1_11comp_targetILNS1_3genE9ELNS1_11target_archE1100ELNS1_3gpuE3ELNS1_3repE0EEENS1_30default_config_static_selectorELNS0_4arch9wavefront6targetE0EEEvT1_,comdat
.Lfunc_end845:
	.size	_ZN7rocprim17ROCPRIM_400000_NS6detail17trampoline_kernelINS0_14default_configENS1_25partition_config_selectorILNS1_17partition_subalgoE9EllbEEZZNS1_14partition_implILS5_9ELb0ES3_jPlS8_PNS0_10empty_typeENS0_5tupleIJS8_S9_EEENSB_IJS8_SA_EEENS0_18inequality_wrapperIZN2at6native12_GLOBAL__N_124unique_dim_cuda_templateIdEESt5tupleIJNSF_6TensorESK_SK_EERKSK_lbbbEUlllE0_EEPmJS9_EEE10hipError_tPvRmT3_T4_T5_T6_T7_T9_mT8_P12ihipStream_tbDpT10_ENKUlT_T0_E_clISt17integral_constantIbLb0EES1A_EEDaS15_S16_EUlS15_E_NS1_11comp_targetILNS1_3genE9ELNS1_11target_archE1100ELNS1_3gpuE3ELNS1_3repE0EEENS1_30default_config_static_selectorELNS0_4arch9wavefront6targetE0EEEvT1_, .Lfunc_end845-_ZN7rocprim17ROCPRIM_400000_NS6detail17trampoline_kernelINS0_14default_configENS1_25partition_config_selectorILNS1_17partition_subalgoE9EllbEEZZNS1_14partition_implILS5_9ELb0ES3_jPlS8_PNS0_10empty_typeENS0_5tupleIJS8_S9_EEENSB_IJS8_SA_EEENS0_18inequality_wrapperIZN2at6native12_GLOBAL__N_124unique_dim_cuda_templateIdEESt5tupleIJNSF_6TensorESK_SK_EERKSK_lbbbEUlllE0_EEPmJS9_EEE10hipError_tPvRmT3_T4_T5_T6_T7_T9_mT8_P12ihipStream_tbDpT10_ENKUlT_T0_E_clISt17integral_constantIbLb0EES1A_EEDaS15_S16_EUlS15_E_NS1_11comp_targetILNS1_3genE9ELNS1_11target_archE1100ELNS1_3gpuE3ELNS1_3repE0EEENS1_30default_config_static_selectorELNS0_4arch9wavefront6targetE0EEEvT1_
                                        ; -- End function
	.section	.AMDGPU.csdata,"",@progbits
; Kernel info:
; codeLenInByte = 20488
; NumSgprs: 38
; NumVgprs: 68
; ScratchSize: 0
; MemoryBound: 1
; FloatMode: 240
; IeeeMode: 1
; LDSByteSize: 33804 bytes/workgroup (compile time only)
; SGPRBlocks: 4
; VGPRBlocks: 8
; NumSGPRsForWavesPerEU: 38
; NumVGPRsForWavesPerEU: 68
; Occupancy: 12
; WaveLimiterHint : 1
; COMPUTE_PGM_RSRC2:SCRATCH_EN: 0
; COMPUTE_PGM_RSRC2:USER_SGPR: 15
; COMPUTE_PGM_RSRC2:TRAP_HANDLER: 0
; COMPUTE_PGM_RSRC2:TGID_X_EN: 1
; COMPUTE_PGM_RSRC2:TGID_Y_EN: 0
; COMPUTE_PGM_RSRC2:TGID_Z_EN: 0
; COMPUTE_PGM_RSRC2:TIDIG_COMP_CNT: 0
	.section	.text._ZN7rocprim17ROCPRIM_400000_NS6detail17trampoline_kernelINS0_14default_configENS1_25partition_config_selectorILNS1_17partition_subalgoE9EllbEEZZNS1_14partition_implILS5_9ELb0ES3_jPlS8_PNS0_10empty_typeENS0_5tupleIJS8_S9_EEENSB_IJS8_SA_EEENS0_18inequality_wrapperIZN2at6native12_GLOBAL__N_124unique_dim_cuda_templateIdEESt5tupleIJNSF_6TensorESK_SK_EERKSK_lbbbEUlllE0_EEPmJS9_EEE10hipError_tPvRmT3_T4_T5_T6_T7_T9_mT8_P12ihipStream_tbDpT10_ENKUlT_T0_E_clISt17integral_constantIbLb0EES1A_EEDaS15_S16_EUlS15_E_NS1_11comp_targetILNS1_3genE8ELNS1_11target_archE1030ELNS1_3gpuE2ELNS1_3repE0EEENS1_30default_config_static_selectorELNS0_4arch9wavefront6targetE0EEEvT1_,"axG",@progbits,_ZN7rocprim17ROCPRIM_400000_NS6detail17trampoline_kernelINS0_14default_configENS1_25partition_config_selectorILNS1_17partition_subalgoE9EllbEEZZNS1_14partition_implILS5_9ELb0ES3_jPlS8_PNS0_10empty_typeENS0_5tupleIJS8_S9_EEENSB_IJS8_SA_EEENS0_18inequality_wrapperIZN2at6native12_GLOBAL__N_124unique_dim_cuda_templateIdEESt5tupleIJNSF_6TensorESK_SK_EERKSK_lbbbEUlllE0_EEPmJS9_EEE10hipError_tPvRmT3_T4_T5_T6_T7_T9_mT8_P12ihipStream_tbDpT10_ENKUlT_T0_E_clISt17integral_constantIbLb0EES1A_EEDaS15_S16_EUlS15_E_NS1_11comp_targetILNS1_3genE8ELNS1_11target_archE1030ELNS1_3gpuE2ELNS1_3repE0EEENS1_30default_config_static_selectorELNS0_4arch9wavefront6targetE0EEEvT1_,comdat
	.globl	_ZN7rocprim17ROCPRIM_400000_NS6detail17trampoline_kernelINS0_14default_configENS1_25partition_config_selectorILNS1_17partition_subalgoE9EllbEEZZNS1_14partition_implILS5_9ELb0ES3_jPlS8_PNS0_10empty_typeENS0_5tupleIJS8_S9_EEENSB_IJS8_SA_EEENS0_18inequality_wrapperIZN2at6native12_GLOBAL__N_124unique_dim_cuda_templateIdEESt5tupleIJNSF_6TensorESK_SK_EERKSK_lbbbEUlllE0_EEPmJS9_EEE10hipError_tPvRmT3_T4_T5_T6_T7_T9_mT8_P12ihipStream_tbDpT10_ENKUlT_T0_E_clISt17integral_constantIbLb0EES1A_EEDaS15_S16_EUlS15_E_NS1_11comp_targetILNS1_3genE8ELNS1_11target_archE1030ELNS1_3gpuE2ELNS1_3repE0EEENS1_30default_config_static_selectorELNS0_4arch9wavefront6targetE0EEEvT1_ ; -- Begin function _ZN7rocprim17ROCPRIM_400000_NS6detail17trampoline_kernelINS0_14default_configENS1_25partition_config_selectorILNS1_17partition_subalgoE9EllbEEZZNS1_14partition_implILS5_9ELb0ES3_jPlS8_PNS0_10empty_typeENS0_5tupleIJS8_S9_EEENSB_IJS8_SA_EEENS0_18inequality_wrapperIZN2at6native12_GLOBAL__N_124unique_dim_cuda_templateIdEESt5tupleIJNSF_6TensorESK_SK_EERKSK_lbbbEUlllE0_EEPmJS9_EEE10hipError_tPvRmT3_T4_T5_T6_T7_T9_mT8_P12ihipStream_tbDpT10_ENKUlT_T0_E_clISt17integral_constantIbLb0EES1A_EEDaS15_S16_EUlS15_E_NS1_11comp_targetILNS1_3genE8ELNS1_11target_archE1030ELNS1_3gpuE2ELNS1_3repE0EEENS1_30default_config_static_selectorELNS0_4arch9wavefront6targetE0EEEvT1_
	.p2align	8
	.type	_ZN7rocprim17ROCPRIM_400000_NS6detail17trampoline_kernelINS0_14default_configENS1_25partition_config_selectorILNS1_17partition_subalgoE9EllbEEZZNS1_14partition_implILS5_9ELb0ES3_jPlS8_PNS0_10empty_typeENS0_5tupleIJS8_S9_EEENSB_IJS8_SA_EEENS0_18inequality_wrapperIZN2at6native12_GLOBAL__N_124unique_dim_cuda_templateIdEESt5tupleIJNSF_6TensorESK_SK_EERKSK_lbbbEUlllE0_EEPmJS9_EEE10hipError_tPvRmT3_T4_T5_T6_T7_T9_mT8_P12ihipStream_tbDpT10_ENKUlT_T0_E_clISt17integral_constantIbLb0EES1A_EEDaS15_S16_EUlS15_E_NS1_11comp_targetILNS1_3genE8ELNS1_11target_archE1030ELNS1_3gpuE2ELNS1_3repE0EEENS1_30default_config_static_selectorELNS0_4arch9wavefront6targetE0EEEvT1_,@function
_ZN7rocprim17ROCPRIM_400000_NS6detail17trampoline_kernelINS0_14default_configENS1_25partition_config_selectorILNS1_17partition_subalgoE9EllbEEZZNS1_14partition_implILS5_9ELb0ES3_jPlS8_PNS0_10empty_typeENS0_5tupleIJS8_S9_EEENSB_IJS8_SA_EEENS0_18inequality_wrapperIZN2at6native12_GLOBAL__N_124unique_dim_cuda_templateIdEESt5tupleIJNSF_6TensorESK_SK_EERKSK_lbbbEUlllE0_EEPmJS9_EEE10hipError_tPvRmT3_T4_T5_T6_T7_T9_mT8_P12ihipStream_tbDpT10_ENKUlT_T0_E_clISt17integral_constantIbLb0EES1A_EEDaS15_S16_EUlS15_E_NS1_11comp_targetILNS1_3genE8ELNS1_11target_archE1030ELNS1_3gpuE2ELNS1_3repE0EEENS1_30default_config_static_selectorELNS0_4arch9wavefront6targetE0EEEvT1_: ; @_ZN7rocprim17ROCPRIM_400000_NS6detail17trampoline_kernelINS0_14default_configENS1_25partition_config_selectorILNS1_17partition_subalgoE9EllbEEZZNS1_14partition_implILS5_9ELb0ES3_jPlS8_PNS0_10empty_typeENS0_5tupleIJS8_S9_EEENSB_IJS8_SA_EEENS0_18inequality_wrapperIZN2at6native12_GLOBAL__N_124unique_dim_cuda_templateIdEESt5tupleIJNSF_6TensorESK_SK_EERKSK_lbbbEUlllE0_EEPmJS9_EEE10hipError_tPvRmT3_T4_T5_T6_T7_T9_mT8_P12ihipStream_tbDpT10_ENKUlT_T0_E_clISt17integral_constantIbLb0EES1A_EEDaS15_S16_EUlS15_E_NS1_11comp_targetILNS1_3genE8ELNS1_11target_archE1030ELNS1_3gpuE2ELNS1_3repE0EEENS1_30default_config_static_selectorELNS0_4arch9wavefront6targetE0EEEvT1_
; %bb.0:
	.section	.rodata,"a",@progbits
	.p2align	6, 0x0
	.amdhsa_kernel _ZN7rocprim17ROCPRIM_400000_NS6detail17trampoline_kernelINS0_14default_configENS1_25partition_config_selectorILNS1_17partition_subalgoE9EllbEEZZNS1_14partition_implILS5_9ELb0ES3_jPlS8_PNS0_10empty_typeENS0_5tupleIJS8_S9_EEENSB_IJS8_SA_EEENS0_18inequality_wrapperIZN2at6native12_GLOBAL__N_124unique_dim_cuda_templateIdEESt5tupleIJNSF_6TensorESK_SK_EERKSK_lbbbEUlllE0_EEPmJS9_EEE10hipError_tPvRmT3_T4_T5_T6_T7_T9_mT8_P12ihipStream_tbDpT10_ENKUlT_T0_E_clISt17integral_constantIbLb0EES1A_EEDaS15_S16_EUlS15_E_NS1_11comp_targetILNS1_3genE8ELNS1_11target_archE1030ELNS1_3gpuE2ELNS1_3repE0EEENS1_30default_config_static_selectorELNS0_4arch9wavefront6targetE0EEEvT1_
		.amdhsa_group_segment_fixed_size 0
		.amdhsa_private_segment_fixed_size 0
		.amdhsa_kernarg_size 120
		.amdhsa_user_sgpr_count 15
		.amdhsa_user_sgpr_dispatch_ptr 0
		.amdhsa_user_sgpr_queue_ptr 0
		.amdhsa_user_sgpr_kernarg_segment_ptr 1
		.amdhsa_user_sgpr_dispatch_id 0
		.amdhsa_user_sgpr_private_segment_size 0
		.amdhsa_wavefront_size32 1
		.amdhsa_uses_dynamic_stack 0
		.amdhsa_enable_private_segment 0
		.amdhsa_system_sgpr_workgroup_id_x 1
		.amdhsa_system_sgpr_workgroup_id_y 0
		.amdhsa_system_sgpr_workgroup_id_z 0
		.amdhsa_system_sgpr_workgroup_info 0
		.amdhsa_system_vgpr_workitem_id 0
		.amdhsa_next_free_vgpr 1
		.amdhsa_next_free_sgpr 1
		.amdhsa_reserve_vcc 0
		.amdhsa_float_round_mode_32 0
		.amdhsa_float_round_mode_16_64 0
		.amdhsa_float_denorm_mode_32 3
		.amdhsa_float_denorm_mode_16_64 3
		.amdhsa_dx10_clamp 1
		.amdhsa_ieee_mode 1
		.amdhsa_fp16_overflow 0
		.amdhsa_workgroup_processor_mode 1
		.amdhsa_memory_ordered 1
		.amdhsa_forward_progress 0
		.amdhsa_shared_vgpr_count 0
		.amdhsa_exception_fp_ieee_invalid_op 0
		.amdhsa_exception_fp_denorm_src 0
		.amdhsa_exception_fp_ieee_div_zero 0
		.amdhsa_exception_fp_ieee_overflow 0
		.amdhsa_exception_fp_ieee_underflow 0
		.amdhsa_exception_fp_ieee_inexact 0
		.amdhsa_exception_int_div_zero 0
	.end_amdhsa_kernel
	.section	.text._ZN7rocprim17ROCPRIM_400000_NS6detail17trampoline_kernelINS0_14default_configENS1_25partition_config_selectorILNS1_17partition_subalgoE9EllbEEZZNS1_14partition_implILS5_9ELb0ES3_jPlS8_PNS0_10empty_typeENS0_5tupleIJS8_S9_EEENSB_IJS8_SA_EEENS0_18inequality_wrapperIZN2at6native12_GLOBAL__N_124unique_dim_cuda_templateIdEESt5tupleIJNSF_6TensorESK_SK_EERKSK_lbbbEUlllE0_EEPmJS9_EEE10hipError_tPvRmT3_T4_T5_T6_T7_T9_mT8_P12ihipStream_tbDpT10_ENKUlT_T0_E_clISt17integral_constantIbLb0EES1A_EEDaS15_S16_EUlS15_E_NS1_11comp_targetILNS1_3genE8ELNS1_11target_archE1030ELNS1_3gpuE2ELNS1_3repE0EEENS1_30default_config_static_selectorELNS0_4arch9wavefront6targetE0EEEvT1_,"axG",@progbits,_ZN7rocprim17ROCPRIM_400000_NS6detail17trampoline_kernelINS0_14default_configENS1_25partition_config_selectorILNS1_17partition_subalgoE9EllbEEZZNS1_14partition_implILS5_9ELb0ES3_jPlS8_PNS0_10empty_typeENS0_5tupleIJS8_S9_EEENSB_IJS8_SA_EEENS0_18inequality_wrapperIZN2at6native12_GLOBAL__N_124unique_dim_cuda_templateIdEESt5tupleIJNSF_6TensorESK_SK_EERKSK_lbbbEUlllE0_EEPmJS9_EEE10hipError_tPvRmT3_T4_T5_T6_T7_T9_mT8_P12ihipStream_tbDpT10_ENKUlT_T0_E_clISt17integral_constantIbLb0EES1A_EEDaS15_S16_EUlS15_E_NS1_11comp_targetILNS1_3genE8ELNS1_11target_archE1030ELNS1_3gpuE2ELNS1_3repE0EEENS1_30default_config_static_selectorELNS0_4arch9wavefront6targetE0EEEvT1_,comdat
.Lfunc_end846:
	.size	_ZN7rocprim17ROCPRIM_400000_NS6detail17trampoline_kernelINS0_14default_configENS1_25partition_config_selectorILNS1_17partition_subalgoE9EllbEEZZNS1_14partition_implILS5_9ELb0ES3_jPlS8_PNS0_10empty_typeENS0_5tupleIJS8_S9_EEENSB_IJS8_SA_EEENS0_18inequality_wrapperIZN2at6native12_GLOBAL__N_124unique_dim_cuda_templateIdEESt5tupleIJNSF_6TensorESK_SK_EERKSK_lbbbEUlllE0_EEPmJS9_EEE10hipError_tPvRmT3_T4_T5_T6_T7_T9_mT8_P12ihipStream_tbDpT10_ENKUlT_T0_E_clISt17integral_constantIbLb0EES1A_EEDaS15_S16_EUlS15_E_NS1_11comp_targetILNS1_3genE8ELNS1_11target_archE1030ELNS1_3gpuE2ELNS1_3repE0EEENS1_30default_config_static_selectorELNS0_4arch9wavefront6targetE0EEEvT1_, .Lfunc_end846-_ZN7rocprim17ROCPRIM_400000_NS6detail17trampoline_kernelINS0_14default_configENS1_25partition_config_selectorILNS1_17partition_subalgoE9EllbEEZZNS1_14partition_implILS5_9ELb0ES3_jPlS8_PNS0_10empty_typeENS0_5tupleIJS8_S9_EEENSB_IJS8_SA_EEENS0_18inequality_wrapperIZN2at6native12_GLOBAL__N_124unique_dim_cuda_templateIdEESt5tupleIJNSF_6TensorESK_SK_EERKSK_lbbbEUlllE0_EEPmJS9_EEE10hipError_tPvRmT3_T4_T5_T6_T7_T9_mT8_P12ihipStream_tbDpT10_ENKUlT_T0_E_clISt17integral_constantIbLb0EES1A_EEDaS15_S16_EUlS15_E_NS1_11comp_targetILNS1_3genE8ELNS1_11target_archE1030ELNS1_3gpuE2ELNS1_3repE0EEENS1_30default_config_static_selectorELNS0_4arch9wavefront6targetE0EEEvT1_
                                        ; -- End function
	.section	.AMDGPU.csdata,"",@progbits
; Kernel info:
; codeLenInByte = 0
; NumSgprs: 0
; NumVgprs: 0
; ScratchSize: 0
; MemoryBound: 0
; FloatMode: 240
; IeeeMode: 1
; LDSByteSize: 0 bytes/workgroup (compile time only)
; SGPRBlocks: 0
; VGPRBlocks: 0
; NumSGPRsForWavesPerEU: 1
; NumVGPRsForWavesPerEU: 1
; Occupancy: 16
; WaveLimiterHint : 0
; COMPUTE_PGM_RSRC2:SCRATCH_EN: 0
; COMPUTE_PGM_RSRC2:USER_SGPR: 15
; COMPUTE_PGM_RSRC2:TRAP_HANDLER: 0
; COMPUTE_PGM_RSRC2:TGID_X_EN: 1
; COMPUTE_PGM_RSRC2:TGID_Y_EN: 0
; COMPUTE_PGM_RSRC2:TGID_Z_EN: 0
; COMPUTE_PGM_RSRC2:TIDIG_COMP_CNT: 0
	.section	.text._ZN7rocprim17ROCPRIM_400000_NS6detail17trampoline_kernelINS0_14default_configENS1_25partition_config_selectorILNS1_17partition_subalgoE9EllbEEZZNS1_14partition_implILS5_9ELb0ES3_jPlS8_PNS0_10empty_typeENS0_5tupleIJS8_S9_EEENSB_IJS8_SA_EEENS0_18inequality_wrapperIZN2at6native12_GLOBAL__N_124unique_dim_cuda_templateIdEESt5tupleIJNSF_6TensorESK_SK_EERKSK_lbbbEUlllE0_EEPmJS9_EEE10hipError_tPvRmT3_T4_T5_T6_T7_T9_mT8_P12ihipStream_tbDpT10_ENKUlT_T0_E_clISt17integral_constantIbLb1EES1A_EEDaS15_S16_EUlS15_E_NS1_11comp_targetILNS1_3genE0ELNS1_11target_archE4294967295ELNS1_3gpuE0ELNS1_3repE0EEENS1_30default_config_static_selectorELNS0_4arch9wavefront6targetE0EEEvT1_,"axG",@progbits,_ZN7rocprim17ROCPRIM_400000_NS6detail17trampoline_kernelINS0_14default_configENS1_25partition_config_selectorILNS1_17partition_subalgoE9EllbEEZZNS1_14partition_implILS5_9ELb0ES3_jPlS8_PNS0_10empty_typeENS0_5tupleIJS8_S9_EEENSB_IJS8_SA_EEENS0_18inequality_wrapperIZN2at6native12_GLOBAL__N_124unique_dim_cuda_templateIdEESt5tupleIJNSF_6TensorESK_SK_EERKSK_lbbbEUlllE0_EEPmJS9_EEE10hipError_tPvRmT3_T4_T5_T6_T7_T9_mT8_P12ihipStream_tbDpT10_ENKUlT_T0_E_clISt17integral_constantIbLb1EES1A_EEDaS15_S16_EUlS15_E_NS1_11comp_targetILNS1_3genE0ELNS1_11target_archE4294967295ELNS1_3gpuE0ELNS1_3repE0EEENS1_30default_config_static_selectorELNS0_4arch9wavefront6targetE0EEEvT1_,comdat
	.globl	_ZN7rocprim17ROCPRIM_400000_NS6detail17trampoline_kernelINS0_14default_configENS1_25partition_config_selectorILNS1_17partition_subalgoE9EllbEEZZNS1_14partition_implILS5_9ELb0ES3_jPlS8_PNS0_10empty_typeENS0_5tupleIJS8_S9_EEENSB_IJS8_SA_EEENS0_18inequality_wrapperIZN2at6native12_GLOBAL__N_124unique_dim_cuda_templateIdEESt5tupleIJNSF_6TensorESK_SK_EERKSK_lbbbEUlllE0_EEPmJS9_EEE10hipError_tPvRmT3_T4_T5_T6_T7_T9_mT8_P12ihipStream_tbDpT10_ENKUlT_T0_E_clISt17integral_constantIbLb1EES1A_EEDaS15_S16_EUlS15_E_NS1_11comp_targetILNS1_3genE0ELNS1_11target_archE4294967295ELNS1_3gpuE0ELNS1_3repE0EEENS1_30default_config_static_selectorELNS0_4arch9wavefront6targetE0EEEvT1_ ; -- Begin function _ZN7rocprim17ROCPRIM_400000_NS6detail17trampoline_kernelINS0_14default_configENS1_25partition_config_selectorILNS1_17partition_subalgoE9EllbEEZZNS1_14partition_implILS5_9ELb0ES3_jPlS8_PNS0_10empty_typeENS0_5tupleIJS8_S9_EEENSB_IJS8_SA_EEENS0_18inequality_wrapperIZN2at6native12_GLOBAL__N_124unique_dim_cuda_templateIdEESt5tupleIJNSF_6TensorESK_SK_EERKSK_lbbbEUlllE0_EEPmJS9_EEE10hipError_tPvRmT3_T4_T5_T6_T7_T9_mT8_P12ihipStream_tbDpT10_ENKUlT_T0_E_clISt17integral_constantIbLb1EES1A_EEDaS15_S16_EUlS15_E_NS1_11comp_targetILNS1_3genE0ELNS1_11target_archE4294967295ELNS1_3gpuE0ELNS1_3repE0EEENS1_30default_config_static_selectorELNS0_4arch9wavefront6targetE0EEEvT1_
	.p2align	8
	.type	_ZN7rocprim17ROCPRIM_400000_NS6detail17trampoline_kernelINS0_14default_configENS1_25partition_config_selectorILNS1_17partition_subalgoE9EllbEEZZNS1_14partition_implILS5_9ELb0ES3_jPlS8_PNS0_10empty_typeENS0_5tupleIJS8_S9_EEENSB_IJS8_SA_EEENS0_18inequality_wrapperIZN2at6native12_GLOBAL__N_124unique_dim_cuda_templateIdEESt5tupleIJNSF_6TensorESK_SK_EERKSK_lbbbEUlllE0_EEPmJS9_EEE10hipError_tPvRmT3_T4_T5_T6_T7_T9_mT8_P12ihipStream_tbDpT10_ENKUlT_T0_E_clISt17integral_constantIbLb1EES1A_EEDaS15_S16_EUlS15_E_NS1_11comp_targetILNS1_3genE0ELNS1_11target_archE4294967295ELNS1_3gpuE0ELNS1_3repE0EEENS1_30default_config_static_selectorELNS0_4arch9wavefront6targetE0EEEvT1_,@function
_ZN7rocprim17ROCPRIM_400000_NS6detail17trampoline_kernelINS0_14default_configENS1_25partition_config_selectorILNS1_17partition_subalgoE9EllbEEZZNS1_14partition_implILS5_9ELb0ES3_jPlS8_PNS0_10empty_typeENS0_5tupleIJS8_S9_EEENSB_IJS8_SA_EEENS0_18inequality_wrapperIZN2at6native12_GLOBAL__N_124unique_dim_cuda_templateIdEESt5tupleIJNSF_6TensorESK_SK_EERKSK_lbbbEUlllE0_EEPmJS9_EEE10hipError_tPvRmT3_T4_T5_T6_T7_T9_mT8_P12ihipStream_tbDpT10_ENKUlT_T0_E_clISt17integral_constantIbLb1EES1A_EEDaS15_S16_EUlS15_E_NS1_11comp_targetILNS1_3genE0ELNS1_11target_archE4294967295ELNS1_3gpuE0ELNS1_3repE0EEENS1_30default_config_static_selectorELNS0_4arch9wavefront6targetE0EEEvT1_: ; @_ZN7rocprim17ROCPRIM_400000_NS6detail17trampoline_kernelINS0_14default_configENS1_25partition_config_selectorILNS1_17partition_subalgoE9EllbEEZZNS1_14partition_implILS5_9ELb0ES3_jPlS8_PNS0_10empty_typeENS0_5tupleIJS8_S9_EEENSB_IJS8_SA_EEENS0_18inequality_wrapperIZN2at6native12_GLOBAL__N_124unique_dim_cuda_templateIdEESt5tupleIJNSF_6TensorESK_SK_EERKSK_lbbbEUlllE0_EEPmJS9_EEE10hipError_tPvRmT3_T4_T5_T6_T7_T9_mT8_P12ihipStream_tbDpT10_ENKUlT_T0_E_clISt17integral_constantIbLb1EES1A_EEDaS15_S16_EUlS15_E_NS1_11comp_targetILNS1_3genE0ELNS1_11target_archE4294967295ELNS1_3gpuE0ELNS1_3repE0EEENS1_30default_config_static_selectorELNS0_4arch9wavefront6targetE0EEEvT1_
; %bb.0:
	.section	.rodata,"a",@progbits
	.p2align	6, 0x0
	.amdhsa_kernel _ZN7rocprim17ROCPRIM_400000_NS6detail17trampoline_kernelINS0_14default_configENS1_25partition_config_selectorILNS1_17partition_subalgoE9EllbEEZZNS1_14partition_implILS5_9ELb0ES3_jPlS8_PNS0_10empty_typeENS0_5tupleIJS8_S9_EEENSB_IJS8_SA_EEENS0_18inequality_wrapperIZN2at6native12_GLOBAL__N_124unique_dim_cuda_templateIdEESt5tupleIJNSF_6TensorESK_SK_EERKSK_lbbbEUlllE0_EEPmJS9_EEE10hipError_tPvRmT3_T4_T5_T6_T7_T9_mT8_P12ihipStream_tbDpT10_ENKUlT_T0_E_clISt17integral_constantIbLb1EES1A_EEDaS15_S16_EUlS15_E_NS1_11comp_targetILNS1_3genE0ELNS1_11target_archE4294967295ELNS1_3gpuE0ELNS1_3repE0EEENS1_30default_config_static_selectorELNS0_4arch9wavefront6targetE0EEEvT1_
		.amdhsa_group_segment_fixed_size 0
		.amdhsa_private_segment_fixed_size 0
		.amdhsa_kernarg_size 136
		.amdhsa_user_sgpr_count 15
		.amdhsa_user_sgpr_dispatch_ptr 0
		.amdhsa_user_sgpr_queue_ptr 0
		.amdhsa_user_sgpr_kernarg_segment_ptr 1
		.amdhsa_user_sgpr_dispatch_id 0
		.amdhsa_user_sgpr_private_segment_size 0
		.amdhsa_wavefront_size32 1
		.amdhsa_uses_dynamic_stack 0
		.amdhsa_enable_private_segment 0
		.amdhsa_system_sgpr_workgroup_id_x 1
		.amdhsa_system_sgpr_workgroup_id_y 0
		.amdhsa_system_sgpr_workgroup_id_z 0
		.amdhsa_system_sgpr_workgroup_info 0
		.amdhsa_system_vgpr_workitem_id 0
		.amdhsa_next_free_vgpr 1
		.amdhsa_next_free_sgpr 1
		.amdhsa_reserve_vcc 0
		.amdhsa_float_round_mode_32 0
		.amdhsa_float_round_mode_16_64 0
		.amdhsa_float_denorm_mode_32 3
		.amdhsa_float_denorm_mode_16_64 3
		.amdhsa_dx10_clamp 1
		.amdhsa_ieee_mode 1
		.amdhsa_fp16_overflow 0
		.amdhsa_workgroup_processor_mode 1
		.amdhsa_memory_ordered 1
		.amdhsa_forward_progress 0
		.amdhsa_shared_vgpr_count 0
		.amdhsa_exception_fp_ieee_invalid_op 0
		.amdhsa_exception_fp_denorm_src 0
		.amdhsa_exception_fp_ieee_div_zero 0
		.amdhsa_exception_fp_ieee_overflow 0
		.amdhsa_exception_fp_ieee_underflow 0
		.amdhsa_exception_fp_ieee_inexact 0
		.amdhsa_exception_int_div_zero 0
	.end_amdhsa_kernel
	.section	.text._ZN7rocprim17ROCPRIM_400000_NS6detail17trampoline_kernelINS0_14default_configENS1_25partition_config_selectorILNS1_17partition_subalgoE9EllbEEZZNS1_14partition_implILS5_9ELb0ES3_jPlS8_PNS0_10empty_typeENS0_5tupleIJS8_S9_EEENSB_IJS8_SA_EEENS0_18inequality_wrapperIZN2at6native12_GLOBAL__N_124unique_dim_cuda_templateIdEESt5tupleIJNSF_6TensorESK_SK_EERKSK_lbbbEUlllE0_EEPmJS9_EEE10hipError_tPvRmT3_T4_T5_T6_T7_T9_mT8_P12ihipStream_tbDpT10_ENKUlT_T0_E_clISt17integral_constantIbLb1EES1A_EEDaS15_S16_EUlS15_E_NS1_11comp_targetILNS1_3genE0ELNS1_11target_archE4294967295ELNS1_3gpuE0ELNS1_3repE0EEENS1_30default_config_static_selectorELNS0_4arch9wavefront6targetE0EEEvT1_,"axG",@progbits,_ZN7rocprim17ROCPRIM_400000_NS6detail17trampoline_kernelINS0_14default_configENS1_25partition_config_selectorILNS1_17partition_subalgoE9EllbEEZZNS1_14partition_implILS5_9ELb0ES3_jPlS8_PNS0_10empty_typeENS0_5tupleIJS8_S9_EEENSB_IJS8_SA_EEENS0_18inequality_wrapperIZN2at6native12_GLOBAL__N_124unique_dim_cuda_templateIdEESt5tupleIJNSF_6TensorESK_SK_EERKSK_lbbbEUlllE0_EEPmJS9_EEE10hipError_tPvRmT3_T4_T5_T6_T7_T9_mT8_P12ihipStream_tbDpT10_ENKUlT_T0_E_clISt17integral_constantIbLb1EES1A_EEDaS15_S16_EUlS15_E_NS1_11comp_targetILNS1_3genE0ELNS1_11target_archE4294967295ELNS1_3gpuE0ELNS1_3repE0EEENS1_30default_config_static_selectorELNS0_4arch9wavefront6targetE0EEEvT1_,comdat
.Lfunc_end847:
	.size	_ZN7rocprim17ROCPRIM_400000_NS6detail17trampoline_kernelINS0_14default_configENS1_25partition_config_selectorILNS1_17partition_subalgoE9EllbEEZZNS1_14partition_implILS5_9ELb0ES3_jPlS8_PNS0_10empty_typeENS0_5tupleIJS8_S9_EEENSB_IJS8_SA_EEENS0_18inequality_wrapperIZN2at6native12_GLOBAL__N_124unique_dim_cuda_templateIdEESt5tupleIJNSF_6TensorESK_SK_EERKSK_lbbbEUlllE0_EEPmJS9_EEE10hipError_tPvRmT3_T4_T5_T6_T7_T9_mT8_P12ihipStream_tbDpT10_ENKUlT_T0_E_clISt17integral_constantIbLb1EES1A_EEDaS15_S16_EUlS15_E_NS1_11comp_targetILNS1_3genE0ELNS1_11target_archE4294967295ELNS1_3gpuE0ELNS1_3repE0EEENS1_30default_config_static_selectorELNS0_4arch9wavefront6targetE0EEEvT1_, .Lfunc_end847-_ZN7rocprim17ROCPRIM_400000_NS6detail17trampoline_kernelINS0_14default_configENS1_25partition_config_selectorILNS1_17partition_subalgoE9EllbEEZZNS1_14partition_implILS5_9ELb0ES3_jPlS8_PNS0_10empty_typeENS0_5tupleIJS8_S9_EEENSB_IJS8_SA_EEENS0_18inequality_wrapperIZN2at6native12_GLOBAL__N_124unique_dim_cuda_templateIdEESt5tupleIJNSF_6TensorESK_SK_EERKSK_lbbbEUlllE0_EEPmJS9_EEE10hipError_tPvRmT3_T4_T5_T6_T7_T9_mT8_P12ihipStream_tbDpT10_ENKUlT_T0_E_clISt17integral_constantIbLb1EES1A_EEDaS15_S16_EUlS15_E_NS1_11comp_targetILNS1_3genE0ELNS1_11target_archE4294967295ELNS1_3gpuE0ELNS1_3repE0EEENS1_30default_config_static_selectorELNS0_4arch9wavefront6targetE0EEEvT1_
                                        ; -- End function
	.section	.AMDGPU.csdata,"",@progbits
; Kernel info:
; codeLenInByte = 0
; NumSgprs: 0
; NumVgprs: 0
; ScratchSize: 0
; MemoryBound: 0
; FloatMode: 240
; IeeeMode: 1
; LDSByteSize: 0 bytes/workgroup (compile time only)
; SGPRBlocks: 0
; VGPRBlocks: 0
; NumSGPRsForWavesPerEU: 1
; NumVGPRsForWavesPerEU: 1
; Occupancy: 16
; WaveLimiterHint : 0
; COMPUTE_PGM_RSRC2:SCRATCH_EN: 0
; COMPUTE_PGM_RSRC2:USER_SGPR: 15
; COMPUTE_PGM_RSRC2:TRAP_HANDLER: 0
; COMPUTE_PGM_RSRC2:TGID_X_EN: 1
; COMPUTE_PGM_RSRC2:TGID_Y_EN: 0
; COMPUTE_PGM_RSRC2:TGID_Z_EN: 0
; COMPUTE_PGM_RSRC2:TIDIG_COMP_CNT: 0
	.section	.text._ZN7rocprim17ROCPRIM_400000_NS6detail17trampoline_kernelINS0_14default_configENS1_25partition_config_selectorILNS1_17partition_subalgoE9EllbEEZZNS1_14partition_implILS5_9ELb0ES3_jPlS8_PNS0_10empty_typeENS0_5tupleIJS8_S9_EEENSB_IJS8_SA_EEENS0_18inequality_wrapperIZN2at6native12_GLOBAL__N_124unique_dim_cuda_templateIdEESt5tupleIJNSF_6TensorESK_SK_EERKSK_lbbbEUlllE0_EEPmJS9_EEE10hipError_tPvRmT3_T4_T5_T6_T7_T9_mT8_P12ihipStream_tbDpT10_ENKUlT_T0_E_clISt17integral_constantIbLb1EES1A_EEDaS15_S16_EUlS15_E_NS1_11comp_targetILNS1_3genE5ELNS1_11target_archE942ELNS1_3gpuE9ELNS1_3repE0EEENS1_30default_config_static_selectorELNS0_4arch9wavefront6targetE0EEEvT1_,"axG",@progbits,_ZN7rocprim17ROCPRIM_400000_NS6detail17trampoline_kernelINS0_14default_configENS1_25partition_config_selectorILNS1_17partition_subalgoE9EllbEEZZNS1_14partition_implILS5_9ELb0ES3_jPlS8_PNS0_10empty_typeENS0_5tupleIJS8_S9_EEENSB_IJS8_SA_EEENS0_18inequality_wrapperIZN2at6native12_GLOBAL__N_124unique_dim_cuda_templateIdEESt5tupleIJNSF_6TensorESK_SK_EERKSK_lbbbEUlllE0_EEPmJS9_EEE10hipError_tPvRmT3_T4_T5_T6_T7_T9_mT8_P12ihipStream_tbDpT10_ENKUlT_T0_E_clISt17integral_constantIbLb1EES1A_EEDaS15_S16_EUlS15_E_NS1_11comp_targetILNS1_3genE5ELNS1_11target_archE942ELNS1_3gpuE9ELNS1_3repE0EEENS1_30default_config_static_selectorELNS0_4arch9wavefront6targetE0EEEvT1_,comdat
	.globl	_ZN7rocprim17ROCPRIM_400000_NS6detail17trampoline_kernelINS0_14default_configENS1_25partition_config_selectorILNS1_17partition_subalgoE9EllbEEZZNS1_14partition_implILS5_9ELb0ES3_jPlS8_PNS0_10empty_typeENS0_5tupleIJS8_S9_EEENSB_IJS8_SA_EEENS0_18inequality_wrapperIZN2at6native12_GLOBAL__N_124unique_dim_cuda_templateIdEESt5tupleIJNSF_6TensorESK_SK_EERKSK_lbbbEUlllE0_EEPmJS9_EEE10hipError_tPvRmT3_T4_T5_T6_T7_T9_mT8_P12ihipStream_tbDpT10_ENKUlT_T0_E_clISt17integral_constantIbLb1EES1A_EEDaS15_S16_EUlS15_E_NS1_11comp_targetILNS1_3genE5ELNS1_11target_archE942ELNS1_3gpuE9ELNS1_3repE0EEENS1_30default_config_static_selectorELNS0_4arch9wavefront6targetE0EEEvT1_ ; -- Begin function _ZN7rocprim17ROCPRIM_400000_NS6detail17trampoline_kernelINS0_14default_configENS1_25partition_config_selectorILNS1_17partition_subalgoE9EllbEEZZNS1_14partition_implILS5_9ELb0ES3_jPlS8_PNS0_10empty_typeENS0_5tupleIJS8_S9_EEENSB_IJS8_SA_EEENS0_18inequality_wrapperIZN2at6native12_GLOBAL__N_124unique_dim_cuda_templateIdEESt5tupleIJNSF_6TensorESK_SK_EERKSK_lbbbEUlllE0_EEPmJS9_EEE10hipError_tPvRmT3_T4_T5_T6_T7_T9_mT8_P12ihipStream_tbDpT10_ENKUlT_T0_E_clISt17integral_constantIbLb1EES1A_EEDaS15_S16_EUlS15_E_NS1_11comp_targetILNS1_3genE5ELNS1_11target_archE942ELNS1_3gpuE9ELNS1_3repE0EEENS1_30default_config_static_selectorELNS0_4arch9wavefront6targetE0EEEvT1_
	.p2align	8
	.type	_ZN7rocprim17ROCPRIM_400000_NS6detail17trampoline_kernelINS0_14default_configENS1_25partition_config_selectorILNS1_17partition_subalgoE9EllbEEZZNS1_14partition_implILS5_9ELb0ES3_jPlS8_PNS0_10empty_typeENS0_5tupleIJS8_S9_EEENSB_IJS8_SA_EEENS0_18inequality_wrapperIZN2at6native12_GLOBAL__N_124unique_dim_cuda_templateIdEESt5tupleIJNSF_6TensorESK_SK_EERKSK_lbbbEUlllE0_EEPmJS9_EEE10hipError_tPvRmT3_T4_T5_T6_T7_T9_mT8_P12ihipStream_tbDpT10_ENKUlT_T0_E_clISt17integral_constantIbLb1EES1A_EEDaS15_S16_EUlS15_E_NS1_11comp_targetILNS1_3genE5ELNS1_11target_archE942ELNS1_3gpuE9ELNS1_3repE0EEENS1_30default_config_static_selectorELNS0_4arch9wavefront6targetE0EEEvT1_,@function
_ZN7rocprim17ROCPRIM_400000_NS6detail17trampoline_kernelINS0_14default_configENS1_25partition_config_selectorILNS1_17partition_subalgoE9EllbEEZZNS1_14partition_implILS5_9ELb0ES3_jPlS8_PNS0_10empty_typeENS0_5tupleIJS8_S9_EEENSB_IJS8_SA_EEENS0_18inequality_wrapperIZN2at6native12_GLOBAL__N_124unique_dim_cuda_templateIdEESt5tupleIJNSF_6TensorESK_SK_EERKSK_lbbbEUlllE0_EEPmJS9_EEE10hipError_tPvRmT3_T4_T5_T6_T7_T9_mT8_P12ihipStream_tbDpT10_ENKUlT_T0_E_clISt17integral_constantIbLb1EES1A_EEDaS15_S16_EUlS15_E_NS1_11comp_targetILNS1_3genE5ELNS1_11target_archE942ELNS1_3gpuE9ELNS1_3repE0EEENS1_30default_config_static_selectorELNS0_4arch9wavefront6targetE0EEEvT1_: ; @_ZN7rocprim17ROCPRIM_400000_NS6detail17trampoline_kernelINS0_14default_configENS1_25partition_config_selectorILNS1_17partition_subalgoE9EllbEEZZNS1_14partition_implILS5_9ELb0ES3_jPlS8_PNS0_10empty_typeENS0_5tupleIJS8_S9_EEENSB_IJS8_SA_EEENS0_18inequality_wrapperIZN2at6native12_GLOBAL__N_124unique_dim_cuda_templateIdEESt5tupleIJNSF_6TensorESK_SK_EERKSK_lbbbEUlllE0_EEPmJS9_EEE10hipError_tPvRmT3_T4_T5_T6_T7_T9_mT8_P12ihipStream_tbDpT10_ENKUlT_T0_E_clISt17integral_constantIbLb1EES1A_EEDaS15_S16_EUlS15_E_NS1_11comp_targetILNS1_3genE5ELNS1_11target_archE942ELNS1_3gpuE9ELNS1_3repE0EEENS1_30default_config_static_selectorELNS0_4arch9wavefront6targetE0EEEvT1_
; %bb.0:
	.section	.rodata,"a",@progbits
	.p2align	6, 0x0
	.amdhsa_kernel _ZN7rocprim17ROCPRIM_400000_NS6detail17trampoline_kernelINS0_14default_configENS1_25partition_config_selectorILNS1_17partition_subalgoE9EllbEEZZNS1_14partition_implILS5_9ELb0ES3_jPlS8_PNS0_10empty_typeENS0_5tupleIJS8_S9_EEENSB_IJS8_SA_EEENS0_18inequality_wrapperIZN2at6native12_GLOBAL__N_124unique_dim_cuda_templateIdEESt5tupleIJNSF_6TensorESK_SK_EERKSK_lbbbEUlllE0_EEPmJS9_EEE10hipError_tPvRmT3_T4_T5_T6_T7_T9_mT8_P12ihipStream_tbDpT10_ENKUlT_T0_E_clISt17integral_constantIbLb1EES1A_EEDaS15_S16_EUlS15_E_NS1_11comp_targetILNS1_3genE5ELNS1_11target_archE942ELNS1_3gpuE9ELNS1_3repE0EEENS1_30default_config_static_selectorELNS0_4arch9wavefront6targetE0EEEvT1_
		.amdhsa_group_segment_fixed_size 0
		.amdhsa_private_segment_fixed_size 0
		.amdhsa_kernarg_size 136
		.amdhsa_user_sgpr_count 15
		.amdhsa_user_sgpr_dispatch_ptr 0
		.amdhsa_user_sgpr_queue_ptr 0
		.amdhsa_user_sgpr_kernarg_segment_ptr 1
		.amdhsa_user_sgpr_dispatch_id 0
		.amdhsa_user_sgpr_private_segment_size 0
		.amdhsa_wavefront_size32 1
		.amdhsa_uses_dynamic_stack 0
		.amdhsa_enable_private_segment 0
		.amdhsa_system_sgpr_workgroup_id_x 1
		.amdhsa_system_sgpr_workgroup_id_y 0
		.amdhsa_system_sgpr_workgroup_id_z 0
		.amdhsa_system_sgpr_workgroup_info 0
		.amdhsa_system_vgpr_workitem_id 0
		.amdhsa_next_free_vgpr 1
		.amdhsa_next_free_sgpr 1
		.amdhsa_reserve_vcc 0
		.amdhsa_float_round_mode_32 0
		.amdhsa_float_round_mode_16_64 0
		.amdhsa_float_denorm_mode_32 3
		.amdhsa_float_denorm_mode_16_64 3
		.amdhsa_dx10_clamp 1
		.amdhsa_ieee_mode 1
		.amdhsa_fp16_overflow 0
		.amdhsa_workgroup_processor_mode 1
		.amdhsa_memory_ordered 1
		.amdhsa_forward_progress 0
		.amdhsa_shared_vgpr_count 0
		.amdhsa_exception_fp_ieee_invalid_op 0
		.amdhsa_exception_fp_denorm_src 0
		.amdhsa_exception_fp_ieee_div_zero 0
		.amdhsa_exception_fp_ieee_overflow 0
		.amdhsa_exception_fp_ieee_underflow 0
		.amdhsa_exception_fp_ieee_inexact 0
		.amdhsa_exception_int_div_zero 0
	.end_amdhsa_kernel
	.section	.text._ZN7rocprim17ROCPRIM_400000_NS6detail17trampoline_kernelINS0_14default_configENS1_25partition_config_selectorILNS1_17partition_subalgoE9EllbEEZZNS1_14partition_implILS5_9ELb0ES3_jPlS8_PNS0_10empty_typeENS0_5tupleIJS8_S9_EEENSB_IJS8_SA_EEENS0_18inequality_wrapperIZN2at6native12_GLOBAL__N_124unique_dim_cuda_templateIdEESt5tupleIJNSF_6TensorESK_SK_EERKSK_lbbbEUlllE0_EEPmJS9_EEE10hipError_tPvRmT3_T4_T5_T6_T7_T9_mT8_P12ihipStream_tbDpT10_ENKUlT_T0_E_clISt17integral_constantIbLb1EES1A_EEDaS15_S16_EUlS15_E_NS1_11comp_targetILNS1_3genE5ELNS1_11target_archE942ELNS1_3gpuE9ELNS1_3repE0EEENS1_30default_config_static_selectorELNS0_4arch9wavefront6targetE0EEEvT1_,"axG",@progbits,_ZN7rocprim17ROCPRIM_400000_NS6detail17trampoline_kernelINS0_14default_configENS1_25partition_config_selectorILNS1_17partition_subalgoE9EllbEEZZNS1_14partition_implILS5_9ELb0ES3_jPlS8_PNS0_10empty_typeENS0_5tupleIJS8_S9_EEENSB_IJS8_SA_EEENS0_18inequality_wrapperIZN2at6native12_GLOBAL__N_124unique_dim_cuda_templateIdEESt5tupleIJNSF_6TensorESK_SK_EERKSK_lbbbEUlllE0_EEPmJS9_EEE10hipError_tPvRmT3_T4_T5_T6_T7_T9_mT8_P12ihipStream_tbDpT10_ENKUlT_T0_E_clISt17integral_constantIbLb1EES1A_EEDaS15_S16_EUlS15_E_NS1_11comp_targetILNS1_3genE5ELNS1_11target_archE942ELNS1_3gpuE9ELNS1_3repE0EEENS1_30default_config_static_selectorELNS0_4arch9wavefront6targetE0EEEvT1_,comdat
.Lfunc_end848:
	.size	_ZN7rocprim17ROCPRIM_400000_NS6detail17trampoline_kernelINS0_14default_configENS1_25partition_config_selectorILNS1_17partition_subalgoE9EllbEEZZNS1_14partition_implILS5_9ELb0ES3_jPlS8_PNS0_10empty_typeENS0_5tupleIJS8_S9_EEENSB_IJS8_SA_EEENS0_18inequality_wrapperIZN2at6native12_GLOBAL__N_124unique_dim_cuda_templateIdEESt5tupleIJNSF_6TensorESK_SK_EERKSK_lbbbEUlllE0_EEPmJS9_EEE10hipError_tPvRmT3_T4_T5_T6_T7_T9_mT8_P12ihipStream_tbDpT10_ENKUlT_T0_E_clISt17integral_constantIbLb1EES1A_EEDaS15_S16_EUlS15_E_NS1_11comp_targetILNS1_3genE5ELNS1_11target_archE942ELNS1_3gpuE9ELNS1_3repE0EEENS1_30default_config_static_selectorELNS0_4arch9wavefront6targetE0EEEvT1_, .Lfunc_end848-_ZN7rocprim17ROCPRIM_400000_NS6detail17trampoline_kernelINS0_14default_configENS1_25partition_config_selectorILNS1_17partition_subalgoE9EllbEEZZNS1_14partition_implILS5_9ELb0ES3_jPlS8_PNS0_10empty_typeENS0_5tupleIJS8_S9_EEENSB_IJS8_SA_EEENS0_18inequality_wrapperIZN2at6native12_GLOBAL__N_124unique_dim_cuda_templateIdEESt5tupleIJNSF_6TensorESK_SK_EERKSK_lbbbEUlllE0_EEPmJS9_EEE10hipError_tPvRmT3_T4_T5_T6_T7_T9_mT8_P12ihipStream_tbDpT10_ENKUlT_T0_E_clISt17integral_constantIbLb1EES1A_EEDaS15_S16_EUlS15_E_NS1_11comp_targetILNS1_3genE5ELNS1_11target_archE942ELNS1_3gpuE9ELNS1_3repE0EEENS1_30default_config_static_selectorELNS0_4arch9wavefront6targetE0EEEvT1_
                                        ; -- End function
	.section	.AMDGPU.csdata,"",@progbits
; Kernel info:
; codeLenInByte = 0
; NumSgprs: 0
; NumVgprs: 0
; ScratchSize: 0
; MemoryBound: 0
; FloatMode: 240
; IeeeMode: 1
; LDSByteSize: 0 bytes/workgroup (compile time only)
; SGPRBlocks: 0
; VGPRBlocks: 0
; NumSGPRsForWavesPerEU: 1
; NumVGPRsForWavesPerEU: 1
; Occupancy: 16
; WaveLimiterHint : 0
; COMPUTE_PGM_RSRC2:SCRATCH_EN: 0
; COMPUTE_PGM_RSRC2:USER_SGPR: 15
; COMPUTE_PGM_RSRC2:TRAP_HANDLER: 0
; COMPUTE_PGM_RSRC2:TGID_X_EN: 1
; COMPUTE_PGM_RSRC2:TGID_Y_EN: 0
; COMPUTE_PGM_RSRC2:TGID_Z_EN: 0
; COMPUTE_PGM_RSRC2:TIDIG_COMP_CNT: 0
	.section	.text._ZN7rocprim17ROCPRIM_400000_NS6detail17trampoline_kernelINS0_14default_configENS1_25partition_config_selectorILNS1_17partition_subalgoE9EllbEEZZNS1_14partition_implILS5_9ELb0ES3_jPlS8_PNS0_10empty_typeENS0_5tupleIJS8_S9_EEENSB_IJS8_SA_EEENS0_18inequality_wrapperIZN2at6native12_GLOBAL__N_124unique_dim_cuda_templateIdEESt5tupleIJNSF_6TensorESK_SK_EERKSK_lbbbEUlllE0_EEPmJS9_EEE10hipError_tPvRmT3_T4_T5_T6_T7_T9_mT8_P12ihipStream_tbDpT10_ENKUlT_T0_E_clISt17integral_constantIbLb1EES1A_EEDaS15_S16_EUlS15_E_NS1_11comp_targetILNS1_3genE4ELNS1_11target_archE910ELNS1_3gpuE8ELNS1_3repE0EEENS1_30default_config_static_selectorELNS0_4arch9wavefront6targetE0EEEvT1_,"axG",@progbits,_ZN7rocprim17ROCPRIM_400000_NS6detail17trampoline_kernelINS0_14default_configENS1_25partition_config_selectorILNS1_17partition_subalgoE9EllbEEZZNS1_14partition_implILS5_9ELb0ES3_jPlS8_PNS0_10empty_typeENS0_5tupleIJS8_S9_EEENSB_IJS8_SA_EEENS0_18inequality_wrapperIZN2at6native12_GLOBAL__N_124unique_dim_cuda_templateIdEESt5tupleIJNSF_6TensorESK_SK_EERKSK_lbbbEUlllE0_EEPmJS9_EEE10hipError_tPvRmT3_T4_T5_T6_T7_T9_mT8_P12ihipStream_tbDpT10_ENKUlT_T0_E_clISt17integral_constantIbLb1EES1A_EEDaS15_S16_EUlS15_E_NS1_11comp_targetILNS1_3genE4ELNS1_11target_archE910ELNS1_3gpuE8ELNS1_3repE0EEENS1_30default_config_static_selectorELNS0_4arch9wavefront6targetE0EEEvT1_,comdat
	.globl	_ZN7rocprim17ROCPRIM_400000_NS6detail17trampoline_kernelINS0_14default_configENS1_25partition_config_selectorILNS1_17partition_subalgoE9EllbEEZZNS1_14partition_implILS5_9ELb0ES3_jPlS8_PNS0_10empty_typeENS0_5tupleIJS8_S9_EEENSB_IJS8_SA_EEENS0_18inequality_wrapperIZN2at6native12_GLOBAL__N_124unique_dim_cuda_templateIdEESt5tupleIJNSF_6TensorESK_SK_EERKSK_lbbbEUlllE0_EEPmJS9_EEE10hipError_tPvRmT3_T4_T5_T6_T7_T9_mT8_P12ihipStream_tbDpT10_ENKUlT_T0_E_clISt17integral_constantIbLb1EES1A_EEDaS15_S16_EUlS15_E_NS1_11comp_targetILNS1_3genE4ELNS1_11target_archE910ELNS1_3gpuE8ELNS1_3repE0EEENS1_30default_config_static_selectorELNS0_4arch9wavefront6targetE0EEEvT1_ ; -- Begin function _ZN7rocprim17ROCPRIM_400000_NS6detail17trampoline_kernelINS0_14default_configENS1_25partition_config_selectorILNS1_17partition_subalgoE9EllbEEZZNS1_14partition_implILS5_9ELb0ES3_jPlS8_PNS0_10empty_typeENS0_5tupleIJS8_S9_EEENSB_IJS8_SA_EEENS0_18inequality_wrapperIZN2at6native12_GLOBAL__N_124unique_dim_cuda_templateIdEESt5tupleIJNSF_6TensorESK_SK_EERKSK_lbbbEUlllE0_EEPmJS9_EEE10hipError_tPvRmT3_T4_T5_T6_T7_T9_mT8_P12ihipStream_tbDpT10_ENKUlT_T0_E_clISt17integral_constantIbLb1EES1A_EEDaS15_S16_EUlS15_E_NS1_11comp_targetILNS1_3genE4ELNS1_11target_archE910ELNS1_3gpuE8ELNS1_3repE0EEENS1_30default_config_static_selectorELNS0_4arch9wavefront6targetE0EEEvT1_
	.p2align	8
	.type	_ZN7rocprim17ROCPRIM_400000_NS6detail17trampoline_kernelINS0_14default_configENS1_25partition_config_selectorILNS1_17partition_subalgoE9EllbEEZZNS1_14partition_implILS5_9ELb0ES3_jPlS8_PNS0_10empty_typeENS0_5tupleIJS8_S9_EEENSB_IJS8_SA_EEENS0_18inequality_wrapperIZN2at6native12_GLOBAL__N_124unique_dim_cuda_templateIdEESt5tupleIJNSF_6TensorESK_SK_EERKSK_lbbbEUlllE0_EEPmJS9_EEE10hipError_tPvRmT3_T4_T5_T6_T7_T9_mT8_P12ihipStream_tbDpT10_ENKUlT_T0_E_clISt17integral_constantIbLb1EES1A_EEDaS15_S16_EUlS15_E_NS1_11comp_targetILNS1_3genE4ELNS1_11target_archE910ELNS1_3gpuE8ELNS1_3repE0EEENS1_30default_config_static_selectorELNS0_4arch9wavefront6targetE0EEEvT1_,@function
_ZN7rocprim17ROCPRIM_400000_NS6detail17trampoline_kernelINS0_14default_configENS1_25partition_config_selectorILNS1_17partition_subalgoE9EllbEEZZNS1_14partition_implILS5_9ELb0ES3_jPlS8_PNS0_10empty_typeENS0_5tupleIJS8_S9_EEENSB_IJS8_SA_EEENS0_18inequality_wrapperIZN2at6native12_GLOBAL__N_124unique_dim_cuda_templateIdEESt5tupleIJNSF_6TensorESK_SK_EERKSK_lbbbEUlllE0_EEPmJS9_EEE10hipError_tPvRmT3_T4_T5_T6_T7_T9_mT8_P12ihipStream_tbDpT10_ENKUlT_T0_E_clISt17integral_constantIbLb1EES1A_EEDaS15_S16_EUlS15_E_NS1_11comp_targetILNS1_3genE4ELNS1_11target_archE910ELNS1_3gpuE8ELNS1_3repE0EEENS1_30default_config_static_selectorELNS0_4arch9wavefront6targetE0EEEvT1_: ; @_ZN7rocprim17ROCPRIM_400000_NS6detail17trampoline_kernelINS0_14default_configENS1_25partition_config_selectorILNS1_17partition_subalgoE9EllbEEZZNS1_14partition_implILS5_9ELb0ES3_jPlS8_PNS0_10empty_typeENS0_5tupleIJS8_S9_EEENSB_IJS8_SA_EEENS0_18inequality_wrapperIZN2at6native12_GLOBAL__N_124unique_dim_cuda_templateIdEESt5tupleIJNSF_6TensorESK_SK_EERKSK_lbbbEUlllE0_EEPmJS9_EEE10hipError_tPvRmT3_T4_T5_T6_T7_T9_mT8_P12ihipStream_tbDpT10_ENKUlT_T0_E_clISt17integral_constantIbLb1EES1A_EEDaS15_S16_EUlS15_E_NS1_11comp_targetILNS1_3genE4ELNS1_11target_archE910ELNS1_3gpuE8ELNS1_3repE0EEENS1_30default_config_static_selectorELNS0_4arch9wavefront6targetE0EEEvT1_
; %bb.0:
	.section	.rodata,"a",@progbits
	.p2align	6, 0x0
	.amdhsa_kernel _ZN7rocprim17ROCPRIM_400000_NS6detail17trampoline_kernelINS0_14default_configENS1_25partition_config_selectorILNS1_17partition_subalgoE9EllbEEZZNS1_14partition_implILS5_9ELb0ES3_jPlS8_PNS0_10empty_typeENS0_5tupleIJS8_S9_EEENSB_IJS8_SA_EEENS0_18inequality_wrapperIZN2at6native12_GLOBAL__N_124unique_dim_cuda_templateIdEESt5tupleIJNSF_6TensorESK_SK_EERKSK_lbbbEUlllE0_EEPmJS9_EEE10hipError_tPvRmT3_T4_T5_T6_T7_T9_mT8_P12ihipStream_tbDpT10_ENKUlT_T0_E_clISt17integral_constantIbLb1EES1A_EEDaS15_S16_EUlS15_E_NS1_11comp_targetILNS1_3genE4ELNS1_11target_archE910ELNS1_3gpuE8ELNS1_3repE0EEENS1_30default_config_static_selectorELNS0_4arch9wavefront6targetE0EEEvT1_
		.amdhsa_group_segment_fixed_size 0
		.amdhsa_private_segment_fixed_size 0
		.amdhsa_kernarg_size 136
		.amdhsa_user_sgpr_count 15
		.amdhsa_user_sgpr_dispatch_ptr 0
		.amdhsa_user_sgpr_queue_ptr 0
		.amdhsa_user_sgpr_kernarg_segment_ptr 1
		.amdhsa_user_sgpr_dispatch_id 0
		.amdhsa_user_sgpr_private_segment_size 0
		.amdhsa_wavefront_size32 1
		.amdhsa_uses_dynamic_stack 0
		.amdhsa_enable_private_segment 0
		.amdhsa_system_sgpr_workgroup_id_x 1
		.amdhsa_system_sgpr_workgroup_id_y 0
		.amdhsa_system_sgpr_workgroup_id_z 0
		.amdhsa_system_sgpr_workgroup_info 0
		.amdhsa_system_vgpr_workitem_id 0
		.amdhsa_next_free_vgpr 1
		.amdhsa_next_free_sgpr 1
		.amdhsa_reserve_vcc 0
		.amdhsa_float_round_mode_32 0
		.amdhsa_float_round_mode_16_64 0
		.amdhsa_float_denorm_mode_32 3
		.amdhsa_float_denorm_mode_16_64 3
		.amdhsa_dx10_clamp 1
		.amdhsa_ieee_mode 1
		.amdhsa_fp16_overflow 0
		.amdhsa_workgroup_processor_mode 1
		.amdhsa_memory_ordered 1
		.amdhsa_forward_progress 0
		.amdhsa_shared_vgpr_count 0
		.amdhsa_exception_fp_ieee_invalid_op 0
		.amdhsa_exception_fp_denorm_src 0
		.amdhsa_exception_fp_ieee_div_zero 0
		.amdhsa_exception_fp_ieee_overflow 0
		.amdhsa_exception_fp_ieee_underflow 0
		.amdhsa_exception_fp_ieee_inexact 0
		.amdhsa_exception_int_div_zero 0
	.end_amdhsa_kernel
	.section	.text._ZN7rocprim17ROCPRIM_400000_NS6detail17trampoline_kernelINS0_14default_configENS1_25partition_config_selectorILNS1_17partition_subalgoE9EllbEEZZNS1_14partition_implILS5_9ELb0ES3_jPlS8_PNS0_10empty_typeENS0_5tupleIJS8_S9_EEENSB_IJS8_SA_EEENS0_18inequality_wrapperIZN2at6native12_GLOBAL__N_124unique_dim_cuda_templateIdEESt5tupleIJNSF_6TensorESK_SK_EERKSK_lbbbEUlllE0_EEPmJS9_EEE10hipError_tPvRmT3_T4_T5_T6_T7_T9_mT8_P12ihipStream_tbDpT10_ENKUlT_T0_E_clISt17integral_constantIbLb1EES1A_EEDaS15_S16_EUlS15_E_NS1_11comp_targetILNS1_3genE4ELNS1_11target_archE910ELNS1_3gpuE8ELNS1_3repE0EEENS1_30default_config_static_selectorELNS0_4arch9wavefront6targetE0EEEvT1_,"axG",@progbits,_ZN7rocprim17ROCPRIM_400000_NS6detail17trampoline_kernelINS0_14default_configENS1_25partition_config_selectorILNS1_17partition_subalgoE9EllbEEZZNS1_14partition_implILS5_9ELb0ES3_jPlS8_PNS0_10empty_typeENS0_5tupleIJS8_S9_EEENSB_IJS8_SA_EEENS0_18inequality_wrapperIZN2at6native12_GLOBAL__N_124unique_dim_cuda_templateIdEESt5tupleIJNSF_6TensorESK_SK_EERKSK_lbbbEUlllE0_EEPmJS9_EEE10hipError_tPvRmT3_T4_T5_T6_T7_T9_mT8_P12ihipStream_tbDpT10_ENKUlT_T0_E_clISt17integral_constantIbLb1EES1A_EEDaS15_S16_EUlS15_E_NS1_11comp_targetILNS1_3genE4ELNS1_11target_archE910ELNS1_3gpuE8ELNS1_3repE0EEENS1_30default_config_static_selectorELNS0_4arch9wavefront6targetE0EEEvT1_,comdat
.Lfunc_end849:
	.size	_ZN7rocprim17ROCPRIM_400000_NS6detail17trampoline_kernelINS0_14default_configENS1_25partition_config_selectorILNS1_17partition_subalgoE9EllbEEZZNS1_14partition_implILS5_9ELb0ES3_jPlS8_PNS0_10empty_typeENS0_5tupleIJS8_S9_EEENSB_IJS8_SA_EEENS0_18inequality_wrapperIZN2at6native12_GLOBAL__N_124unique_dim_cuda_templateIdEESt5tupleIJNSF_6TensorESK_SK_EERKSK_lbbbEUlllE0_EEPmJS9_EEE10hipError_tPvRmT3_T4_T5_T6_T7_T9_mT8_P12ihipStream_tbDpT10_ENKUlT_T0_E_clISt17integral_constantIbLb1EES1A_EEDaS15_S16_EUlS15_E_NS1_11comp_targetILNS1_3genE4ELNS1_11target_archE910ELNS1_3gpuE8ELNS1_3repE0EEENS1_30default_config_static_selectorELNS0_4arch9wavefront6targetE0EEEvT1_, .Lfunc_end849-_ZN7rocprim17ROCPRIM_400000_NS6detail17trampoline_kernelINS0_14default_configENS1_25partition_config_selectorILNS1_17partition_subalgoE9EllbEEZZNS1_14partition_implILS5_9ELb0ES3_jPlS8_PNS0_10empty_typeENS0_5tupleIJS8_S9_EEENSB_IJS8_SA_EEENS0_18inequality_wrapperIZN2at6native12_GLOBAL__N_124unique_dim_cuda_templateIdEESt5tupleIJNSF_6TensorESK_SK_EERKSK_lbbbEUlllE0_EEPmJS9_EEE10hipError_tPvRmT3_T4_T5_T6_T7_T9_mT8_P12ihipStream_tbDpT10_ENKUlT_T0_E_clISt17integral_constantIbLb1EES1A_EEDaS15_S16_EUlS15_E_NS1_11comp_targetILNS1_3genE4ELNS1_11target_archE910ELNS1_3gpuE8ELNS1_3repE0EEENS1_30default_config_static_selectorELNS0_4arch9wavefront6targetE0EEEvT1_
                                        ; -- End function
	.section	.AMDGPU.csdata,"",@progbits
; Kernel info:
; codeLenInByte = 0
; NumSgprs: 0
; NumVgprs: 0
; ScratchSize: 0
; MemoryBound: 0
; FloatMode: 240
; IeeeMode: 1
; LDSByteSize: 0 bytes/workgroup (compile time only)
; SGPRBlocks: 0
; VGPRBlocks: 0
; NumSGPRsForWavesPerEU: 1
; NumVGPRsForWavesPerEU: 1
; Occupancy: 16
; WaveLimiterHint : 0
; COMPUTE_PGM_RSRC2:SCRATCH_EN: 0
; COMPUTE_PGM_RSRC2:USER_SGPR: 15
; COMPUTE_PGM_RSRC2:TRAP_HANDLER: 0
; COMPUTE_PGM_RSRC2:TGID_X_EN: 1
; COMPUTE_PGM_RSRC2:TGID_Y_EN: 0
; COMPUTE_PGM_RSRC2:TGID_Z_EN: 0
; COMPUTE_PGM_RSRC2:TIDIG_COMP_CNT: 0
	.section	.text._ZN7rocprim17ROCPRIM_400000_NS6detail17trampoline_kernelINS0_14default_configENS1_25partition_config_selectorILNS1_17partition_subalgoE9EllbEEZZNS1_14partition_implILS5_9ELb0ES3_jPlS8_PNS0_10empty_typeENS0_5tupleIJS8_S9_EEENSB_IJS8_SA_EEENS0_18inequality_wrapperIZN2at6native12_GLOBAL__N_124unique_dim_cuda_templateIdEESt5tupleIJNSF_6TensorESK_SK_EERKSK_lbbbEUlllE0_EEPmJS9_EEE10hipError_tPvRmT3_T4_T5_T6_T7_T9_mT8_P12ihipStream_tbDpT10_ENKUlT_T0_E_clISt17integral_constantIbLb1EES1A_EEDaS15_S16_EUlS15_E_NS1_11comp_targetILNS1_3genE3ELNS1_11target_archE908ELNS1_3gpuE7ELNS1_3repE0EEENS1_30default_config_static_selectorELNS0_4arch9wavefront6targetE0EEEvT1_,"axG",@progbits,_ZN7rocprim17ROCPRIM_400000_NS6detail17trampoline_kernelINS0_14default_configENS1_25partition_config_selectorILNS1_17partition_subalgoE9EllbEEZZNS1_14partition_implILS5_9ELb0ES3_jPlS8_PNS0_10empty_typeENS0_5tupleIJS8_S9_EEENSB_IJS8_SA_EEENS0_18inequality_wrapperIZN2at6native12_GLOBAL__N_124unique_dim_cuda_templateIdEESt5tupleIJNSF_6TensorESK_SK_EERKSK_lbbbEUlllE0_EEPmJS9_EEE10hipError_tPvRmT3_T4_T5_T6_T7_T9_mT8_P12ihipStream_tbDpT10_ENKUlT_T0_E_clISt17integral_constantIbLb1EES1A_EEDaS15_S16_EUlS15_E_NS1_11comp_targetILNS1_3genE3ELNS1_11target_archE908ELNS1_3gpuE7ELNS1_3repE0EEENS1_30default_config_static_selectorELNS0_4arch9wavefront6targetE0EEEvT1_,comdat
	.globl	_ZN7rocprim17ROCPRIM_400000_NS6detail17trampoline_kernelINS0_14default_configENS1_25partition_config_selectorILNS1_17partition_subalgoE9EllbEEZZNS1_14partition_implILS5_9ELb0ES3_jPlS8_PNS0_10empty_typeENS0_5tupleIJS8_S9_EEENSB_IJS8_SA_EEENS0_18inequality_wrapperIZN2at6native12_GLOBAL__N_124unique_dim_cuda_templateIdEESt5tupleIJNSF_6TensorESK_SK_EERKSK_lbbbEUlllE0_EEPmJS9_EEE10hipError_tPvRmT3_T4_T5_T6_T7_T9_mT8_P12ihipStream_tbDpT10_ENKUlT_T0_E_clISt17integral_constantIbLb1EES1A_EEDaS15_S16_EUlS15_E_NS1_11comp_targetILNS1_3genE3ELNS1_11target_archE908ELNS1_3gpuE7ELNS1_3repE0EEENS1_30default_config_static_selectorELNS0_4arch9wavefront6targetE0EEEvT1_ ; -- Begin function _ZN7rocprim17ROCPRIM_400000_NS6detail17trampoline_kernelINS0_14default_configENS1_25partition_config_selectorILNS1_17partition_subalgoE9EllbEEZZNS1_14partition_implILS5_9ELb0ES3_jPlS8_PNS0_10empty_typeENS0_5tupleIJS8_S9_EEENSB_IJS8_SA_EEENS0_18inequality_wrapperIZN2at6native12_GLOBAL__N_124unique_dim_cuda_templateIdEESt5tupleIJNSF_6TensorESK_SK_EERKSK_lbbbEUlllE0_EEPmJS9_EEE10hipError_tPvRmT3_T4_T5_T6_T7_T9_mT8_P12ihipStream_tbDpT10_ENKUlT_T0_E_clISt17integral_constantIbLb1EES1A_EEDaS15_S16_EUlS15_E_NS1_11comp_targetILNS1_3genE3ELNS1_11target_archE908ELNS1_3gpuE7ELNS1_3repE0EEENS1_30default_config_static_selectorELNS0_4arch9wavefront6targetE0EEEvT1_
	.p2align	8
	.type	_ZN7rocprim17ROCPRIM_400000_NS6detail17trampoline_kernelINS0_14default_configENS1_25partition_config_selectorILNS1_17partition_subalgoE9EllbEEZZNS1_14partition_implILS5_9ELb0ES3_jPlS8_PNS0_10empty_typeENS0_5tupleIJS8_S9_EEENSB_IJS8_SA_EEENS0_18inequality_wrapperIZN2at6native12_GLOBAL__N_124unique_dim_cuda_templateIdEESt5tupleIJNSF_6TensorESK_SK_EERKSK_lbbbEUlllE0_EEPmJS9_EEE10hipError_tPvRmT3_T4_T5_T6_T7_T9_mT8_P12ihipStream_tbDpT10_ENKUlT_T0_E_clISt17integral_constantIbLb1EES1A_EEDaS15_S16_EUlS15_E_NS1_11comp_targetILNS1_3genE3ELNS1_11target_archE908ELNS1_3gpuE7ELNS1_3repE0EEENS1_30default_config_static_selectorELNS0_4arch9wavefront6targetE0EEEvT1_,@function
_ZN7rocprim17ROCPRIM_400000_NS6detail17trampoline_kernelINS0_14default_configENS1_25partition_config_selectorILNS1_17partition_subalgoE9EllbEEZZNS1_14partition_implILS5_9ELb0ES3_jPlS8_PNS0_10empty_typeENS0_5tupleIJS8_S9_EEENSB_IJS8_SA_EEENS0_18inequality_wrapperIZN2at6native12_GLOBAL__N_124unique_dim_cuda_templateIdEESt5tupleIJNSF_6TensorESK_SK_EERKSK_lbbbEUlllE0_EEPmJS9_EEE10hipError_tPvRmT3_T4_T5_T6_T7_T9_mT8_P12ihipStream_tbDpT10_ENKUlT_T0_E_clISt17integral_constantIbLb1EES1A_EEDaS15_S16_EUlS15_E_NS1_11comp_targetILNS1_3genE3ELNS1_11target_archE908ELNS1_3gpuE7ELNS1_3repE0EEENS1_30default_config_static_selectorELNS0_4arch9wavefront6targetE0EEEvT1_: ; @_ZN7rocprim17ROCPRIM_400000_NS6detail17trampoline_kernelINS0_14default_configENS1_25partition_config_selectorILNS1_17partition_subalgoE9EllbEEZZNS1_14partition_implILS5_9ELb0ES3_jPlS8_PNS0_10empty_typeENS0_5tupleIJS8_S9_EEENSB_IJS8_SA_EEENS0_18inequality_wrapperIZN2at6native12_GLOBAL__N_124unique_dim_cuda_templateIdEESt5tupleIJNSF_6TensorESK_SK_EERKSK_lbbbEUlllE0_EEPmJS9_EEE10hipError_tPvRmT3_T4_T5_T6_T7_T9_mT8_P12ihipStream_tbDpT10_ENKUlT_T0_E_clISt17integral_constantIbLb1EES1A_EEDaS15_S16_EUlS15_E_NS1_11comp_targetILNS1_3genE3ELNS1_11target_archE908ELNS1_3gpuE7ELNS1_3repE0EEENS1_30default_config_static_selectorELNS0_4arch9wavefront6targetE0EEEvT1_
; %bb.0:
	.section	.rodata,"a",@progbits
	.p2align	6, 0x0
	.amdhsa_kernel _ZN7rocprim17ROCPRIM_400000_NS6detail17trampoline_kernelINS0_14default_configENS1_25partition_config_selectorILNS1_17partition_subalgoE9EllbEEZZNS1_14partition_implILS5_9ELb0ES3_jPlS8_PNS0_10empty_typeENS0_5tupleIJS8_S9_EEENSB_IJS8_SA_EEENS0_18inequality_wrapperIZN2at6native12_GLOBAL__N_124unique_dim_cuda_templateIdEESt5tupleIJNSF_6TensorESK_SK_EERKSK_lbbbEUlllE0_EEPmJS9_EEE10hipError_tPvRmT3_T4_T5_T6_T7_T9_mT8_P12ihipStream_tbDpT10_ENKUlT_T0_E_clISt17integral_constantIbLb1EES1A_EEDaS15_S16_EUlS15_E_NS1_11comp_targetILNS1_3genE3ELNS1_11target_archE908ELNS1_3gpuE7ELNS1_3repE0EEENS1_30default_config_static_selectorELNS0_4arch9wavefront6targetE0EEEvT1_
		.amdhsa_group_segment_fixed_size 0
		.amdhsa_private_segment_fixed_size 0
		.amdhsa_kernarg_size 136
		.amdhsa_user_sgpr_count 15
		.amdhsa_user_sgpr_dispatch_ptr 0
		.amdhsa_user_sgpr_queue_ptr 0
		.amdhsa_user_sgpr_kernarg_segment_ptr 1
		.amdhsa_user_sgpr_dispatch_id 0
		.amdhsa_user_sgpr_private_segment_size 0
		.amdhsa_wavefront_size32 1
		.amdhsa_uses_dynamic_stack 0
		.amdhsa_enable_private_segment 0
		.amdhsa_system_sgpr_workgroup_id_x 1
		.amdhsa_system_sgpr_workgroup_id_y 0
		.amdhsa_system_sgpr_workgroup_id_z 0
		.amdhsa_system_sgpr_workgroup_info 0
		.amdhsa_system_vgpr_workitem_id 0
		.amdhsa_next_free_vgpr 1
		.amdhsa_next_free_sgpr 1
		.amdhsa_reserve_vcc 0
		.amdhsa_float_round_mode_32 0
		.amdhsa_float_round_mode_16_64 0
		.amdhsa_float_denorm_mode_32 3
		.amdhsa_float_denorm_mode_16_64 3
		.amdhsa_dx10_clamp 1
		.amdhsa_ieee_mode 1
		.amdhsa_fp16_overflow 0
		.amdhsa_workgroup_processor_mode 1
		.amdhsa_memory_ordered 1
		.amdhsa_forward_progress 0
		.amdhsa_shared_vgpr_count 0
		.amdhsa_exception_fp_ieee_invalid_op 0
		.amdhsa_exception_fp_denorm_src 0
		.amdhsa_exception_fp_ieee_div_zero 0
		.amdhsa_exception_fp_ieee_overflow 0
		.amdhsa_exception_fp_ieee_underflow 0
		.amdhsa_exception_fp_ieee_inexact 0
		.amdhsa_exception_int_div_zero 0
	.end_amdhsa_kernel
	.section	.text._ZN7rocprim17ROCPRIM_400000_NS6detail17trampoline_kernelINS0_14default_configENS1_25partition_config_selectorILNS1_17partition_subalgoE9EllbEEZZNS1_14partition_implILS5_9ELb0ES3_jPlS8_PNS0_10empty_typeENS0_5tupleIJS8_S9_EEENSB_IJS8_SA_EEENS0_18inequality_wrapperIZN2at6native12_GLOBAL__N_124unique_dim_cuda_templateIdEESt5tupleIJNSF_6TensorESK_SK_EERKSK_lbbbEUlllE0_EEPmJS9_EEE10hipError_tPvRmT3_T4_T5_T6_T7_T9_mT8_P12ihipStream_tbDpT10_ENKUlT_T0_E_clISt17integral_constantIbLb1EES1A_EEDaS15_S16_EUlS15_E_NS1_11comp_targetILNS1_3genE3ELNS1_11target_archE908ELNS1_3gpuE7ELNS1_3repE0EEENS1_30default_config_static_selectorELNS0_4arch9wavefront6targetE0EEEvT1_,"axG",@progbits,_ZN7rocprim17ROCPRIM_400000_NS6detail17trampoline_kernelINS0_14default_configENS1_25partition_config_selectorILNS1_17partition_subalgoE9EllbEEZZNS1_14partition_implILS5_9ELb0ES3_jPlS8_PNS0_10empty_typeENS0_5tupleIJS8_S9_EEENSB_IJS8_SA_EEENS0_18inequality_wrapperIZN2at6native12_GLOBAL__N_124unique_dim_cuda_templateIdEESt5tupleIJNSF_6TensorESK_SK_EERKSK_lbbbEUlllE0_EEPmJS9_EEE10hipError_tPvRmT3_T4_T5_T6_T7_T9_mT8_P12ihipStream_tbDpT10_ENKUlT_T0_E_clISt17integral_constantIbLb1EES1A_EEDaS15_S16_EUlS15_E_NS1_11comp_targetILNS1_3genE3ELNS1_11target_archE908ELNS1_3gpuE7ELNS1_3repE0EEENS1_30default_config_static_selectorELNS0_4arch9wavefront6targetE0EEEvT1_,comdat
.Lfunc_end850:
	.size	_ZN7rocprim17ROCPRIM_400000_NS6detail17trampoline_kernelINS0_14default_configENS1_25partition_config_selectorILNS1_17partition_subalgoE9EllbEEZZNS1_14partition_implILS5_9ELb0ES3_jPlS8_PNS0_10empty_typeENS0_5tupleIJS8_S9_EEENSB_IJS8_SA_EEENS0_18inequality_wrapperIZN2at6native12_GLOBAL__N_124unique_dim_cuda_templateIdEESt5tupleIJNSF_6TensorESK_SK_EERKSK_lbbbEUlllE0_EEPmJS9_EEE10hipError_tPvRmT3_T4_T5_T6_T7_T9_mT8_P12ihipStream_tbDpT10_ENKUlT_T0_E_clISt17integral_constantIbLb1EES1A_EEDaS15_S16_EUlS15_E_NS1_11comp_targetILNS1_3genE3ELNS1_11target_archE908ELNS1_3gpuE7ELNS1_3repE0EEENS1_30default_config_static_selectorELNS0_4arch9wavefront6targetE0EEEvT1_, .Lfunc_end850-_ZN7rocprim17ROCPRIM_400000_NS6detail17trampoline_kernelINS0_14default_configENS1_25partition_config_selectorILNS1_17partition_subalgoE9EllbEEZZNS1_14partition_implILS5_9ELb0ES3_jPlS8_PNS0_10empty_typeENS0_5tupleIJS8_S9_EEENSB_IJS8_SA_EEENS0_18inequality_wrapperIZN2at6native12_GLOBAL__N_124unique_dim_cuda_templateIdEESt5tupleIJNSF_6TensorESK_SK_EERKSK_lbbbEUlllE0_EEPmJS9_EEE10hipError_tPvRmT3_T4_T5_T6_T7_T9_mT8_P12ihipStream_tbDpT10_ENKUlT_T0_E_clISt17integral_constantIbLb1EES1A_EEDaS15_S16_EUlS15_E_NS1_11comp_targetILNS1_3genE3ELNS1_11target_archE908ELNS1_3gpuE7ELNS1_3repE0EEENS1_30default_config_static_selectorELNS0_4arch9wavefront6targetE0EEEvT1_
                                        ; -- End function
	.section	.AMDGPU.csdata,"",@progbits
; Kernel info:
; codeLenInByte = 0
; NumSgprs: 0
; NumVgprs: 0
; ScratchSize: 0
; MemoryBound: 0
; FloatMode: 240
; IeeeMode: 1
; LDSByteSize: 0 bytes/workgroup (compile time only)
; SGPRBlocks: 0
; VGPRBlocks: 0
; NumSGPRsForWavesPerEU: 1
; NumVGPRsForWavesPerEU: 1
; Occupancy: 16
; WaveLimiterHint : 0
; COMPUTE_PGM_RSRC2:SCRATCH_EN: 0
; COMPUTE_PGM_RSRC2:USER_SGPR: 15
; COMPUTE_PGM_RSRC2:TRAP_HANDLER: 0
; COMPUTE_PGM_RSRC2:TGID_X_EN: 1
; COMPUTE_PGM_RSRC2:TGID_Y_EN: 0
; COMPUTE_PGM_RSRC2:TGID_Z_EN: 0
; COMPUTE_PGM_RSRC2:TIDIG_COMP_CNT: 0
	.section	.text._ZN7rocprim17ROCPRIM_400000_NS6detail17trampoline_kernelINS0_14default_configENS1_25partition_config_selectorILNS1_17partition_subalgoE9EllbEEZZNS1_14partition_implILS5_9ELb0ES3_jPlS8_PNS0_10empty_typeENS0_5tupleIJS8_S9_EEENSB_IJS8_SA_EEENS0_18inequality_wrapperIZN2at6native12_GLOBAL__N_124unique_dim_cuda_templateIdEESt5tupleIJNSF_6TensorESK_SK_EERKSK_lbbbEUlllE0_EEPmJS9_EEE10hipError_tPvRmT3_T4_T5_T6_T7_T9_mT8_P12ihipStream_tbDpT10_ENKUlT_T0_E_clISt17integral_constantIbLb1EES1A_EEDaS15_S16_EUlS15_E_NS1_11comp_targetILNS1_3genE2ELNS1_11target_archE906ELNS1_3gpuE6ELNS1_3repE0EEENS1_30default_config_static_selectorELNS0_4arch9wavefront6targetE0EEEvT1_,"axG",@progbits,_ZN7rocprim17ROCPRIM_400000_NS6detail17trampoline_kernelINS0_14default_configENS1_25partition_config_selectorILNS1_17partition_subalgoE9EllbEEZZNS1_14partition_implILS5_9ELb0ES3_jPlS8_PNS0_10empty_typeENS0_5tupleIJS8_S9_EEENSB_IJS8_SA_EEENS0_18inequality_wrapperIZN2at6native12_GLOBAL__N_124unique_dim_cuda_templateIdEESt5tupleIJNSF_6TensorESK_SK_EERKSK_lbbbEUlllE0_EEPmJS9_EEE10hipError_tPvRmT3_T4_T5_T6_T7_T9_mT8_P12ihipStream_tbDpT10_ENKUlT_T0_E_clISt17integral_constantIbLb1EES1A_EEDaS15_S16_EUlS15_E_NS1_11comp_targetILNS1_3genE2ELNS1_11target_archE906ELNS1_3gpuE6ELNS1_3repE0EEENS1_30default_config_static_selectorELNS0_4arch9wavefront6targetE0EEEvT1_,comdat
	.globl	_ZN7rocprim17ROCPRIM_400000_NS6detail17trampoline_kernelINS0_14default_configENS1_25partition_config_selectorILNS1_17partition_subalgoE9EllbEEZZNS1_14partition_implILS5_9ELb0ES3_jPlS8_PNS0_10empty_typeENS0_5tupleIJS8_S9_EEENSB_IJS8_SA_EEENS0_18inequality_wrapperIZN2at6native12_GLOBAL__N_124unique_dim_cuda_templateIdEESt5tupleIJNSF_6TensorESK_SK_EERKSK_lbbbEUlllE0_EEPmJS9_EEE10hipError_tPvRmT3_T4_T5_T6_T7_T9_mT8_P12ihipStream_tbDpT10_ENKUlT_T0_E_clISt17integral_constantIbLb1EES1A_EEDaS15_S16_EUlS15_E_NS1_11comp_targetILNS1_3genE2ELNS1_11target_archE906ELNS1_3gpuE6ELNS1_3repE0EEENS1_30default_config_static_selectorELNS0_4arch9wavefront6targetE0EEEvT1_ ; -- Begin function _ZN7rocprim17ROCPRIM_400000_NS6detail17trampoline_kernelINS0_14default_configENS1_25partition_config_selectorILNS1_17partition_subalgoE9EllbEEZZNS1_14partition_implILS5_9ELb0ES3_jPlS8_PNS0_10empty_typeENS0_5tupleIJS8_S9_EEENSB_IJS8_SA_EEENS0_18inequality_wrapperIZN2at6native12_GLOBAL__N_124unique_dim_cuda_templateIdEESt5tupleIJNSF_6TensorESK_SK_EERKSK_lbbbEUlllE0_EEPmJS9_EEE10hipError_tPvRmT3_T4_T5_T6_T7_T9_mT8_P12ihipStream_tbDpT10_ENKUlT_T0_E_clISt17integral_constantIbLb1EES1A_EEDaS15_S16_EUlS15_E_NS1_11comp_targetILNS1_3genE2ELNS1_11target_archE906ELNS1_3gpuE6ELNS1_3repE0EEENS1_30default_config_static_selectorELNS0_4arch9wavefront6targetE0EEEvT1_
	.p2align	8
	.type	_ZN7rocprim17ROCPRIM_400000_NS6detail17trampoline_kernelINS0_14default_configENS1_25partition_config_selectorILNS1_17partition_subalgoE9EllbEEZZNS1_14partition_implILS5_9ELb0ES3_jPlS8_PNS0_10empty_typeENS0_5tupleIJS8_S9_EEENSB_IJS8_SA_EEENS0_18inequality_wrapperIZN2at6native12_GLOBAL__N_124unique_dim_cuda_templateIdEESt5tupleIJNSF_6TensorESK_SK_EERKSK_lbbbEUlllE0_EEPmJS9_EEE10hipError_tPvRmT3_T4_T5_T6_T7_T9_mT8_P12ihipStream_tbDpT10_ENKUlT_T0_E_clISt17integral_constantIbLb1EES1A_EEDaS15_S16_EUlS15_E_NS1_11comp_targetILNS1_3genE2ELNS1_11target_archE906ELNS1_3gpuE6ELNS1_3repE0EEENS1_30default_config_static_selectorELNS0_4arch9wavefront6targetE0EEEvT1_,@function
_ZN7rocprim17ROCPRIM_400000_NS6detail17trampoline_kernelINS0_14default_configENS1_25partition_config_selectorILNS1_17partition_subalgoE9EllbEEZZNS1_14partition_implILS5_9ELb0ES3_jPlS8_PNS0_10empty_typeENS0_5tupleIJS8_S9_EEENSB_IJS8_SA_EEENS0_18inequality_wrapperIZN2at6native12_GLOBAL__N_124unique_dim_cuda_templateIdEESt5tupleIJNSF_6TensorESK_SK_EERKSK_lbbbEUlllE0_EEPmJS9_EEE10hipError_tPvRmT3_T4_T5_T6_T7_T9_mT8_P12ihipStream_tbDpT10_ENKUlT_T0_E_clISt17integral_constantIbLb1EES1A_EEDaS15_S16_EUlS15_E_NS1_11comp_targetILNS1_3genE2ELNS1_11target_archE906ELNS1_3gpuE6ELNS1_3repE0EEENS1_30default_config_static_selectorELNS0_4arch9wavefront6targetE0EEEvT1_: ; @_ZN7rocprim17ROCPRIM_400000_NS6detail17trampoline_kernelINS0_14default_configENS1_25partition_config_selectorILNS1_17partition_subalgoE9EllbEEZZNS1_14partition_implILS5_9ELb0ES3_jPlS8_PNS0_10empty_typeENS0_5tupleIJS8_S9_EEENSB_IJS8_SA_EEENS0_18inequality_wrapperIZN2at6native12_GLOBAL__N_124unique_dim_cuda_templateIdEESt5tupleIJNSF_6TensorESK_SK_EERKSK_lbbbEUlllE0_EEPmJS9_EEE10hipError_tPvRmT3_T4_T5_T6_T7_T9_mT8_P12ihipStream_tbDpT10_ENKUlT_T0_E_clISt17integral_constantIbLb1EES1A_EEDaS15_S16_EUlS15_E_NS1_11comp_targetILNS1_3genE2ELNS1_11target_archE906ELNS1_3gpuE6ELNS1_3repE0EEENS1_30default_config_static_selectorELNS0_4arch9wavefront6targetE0EEEvT1_
; %bb.0:
	.section	.rodata,"a",@progbits
	.p2align	6, 0x0
	.amdhsa_kernel _ZN7rocprim17ROCPRIM_400000_NS6detail17trampoline_kernelINS0_14default_configENS1_25partition_config_selectorILNS1_17partition_subalgoE9EllbEEZZNS1_14partition_implILS5_9ELb0ES3_jPlS8_PNS0_10empty_typeENS0_5tupleIJS8_S9_EEENSB_IJS8_SA_EEENS0_18inequality_wrapperIZN2at6native12_GLOBAL__N_124unique_dim_cuda_templateIdEESt5tupleIJNSF_6TensorESK_SK_EERKSK_lbbbEUlllE0_EEPmJS9_EEE10hipError_tPvRmT3_T4_T5_T6_T7_T9_mT8_P12ihipStream_tbDpT10_ENKUlT_T0_E_clISt17integral_constantIbLb1EES1A_EEDaS15_S16_EUlS15_E_NS1_11comp_targetILNS1_3genE2ELNS1_11target_archE906ELNS1_3gpuE6ELNS1_3repE0EEENS1_30default_config_static_selectorELNS0_4arch9wavefront6targetE0EEEvT1_
		.amdhsa_group_segment_fixed_size 0
		.amdhsa_private_segment_fixed_size 0
		.amdhsa_kernarg_size 136
		.amdhsa_user_sgpr_count 15
		.amdhsa_user_sgpr_dispatch_ptr 0
		.amdhsa_user_sgpr_queue_ptr 0
		.amdhsa_user_sgpr_kernarg_segment_ptr 1
		.amdhsa_user_sgpr_dispatch_id 0
		.amdhsa_user_sgpr_private_segment_size 0
		.amdhsa_wavefront_size32 1
		.amdhsa_uses_dynamic_stack 0
		.amdhsa_enable_private_segment 0
		.amdhsa_system_sgpr_workgroup_id_x 1
		.amdhsa_system_sgpr_workgroup_id_y 0
		.amdhsa_system_sgpr_workgroup_id_z 0
		.amdhsa_system_sgpr_workgroup_info 0
		.amdhsa_system_vgpr_workitem_id 0
		.amdhsa_next_free_vgpr 1
		.amdhsa_next_free_sgpr 1
		.amdhsa_reserve_vcc 0
		.amdhsa_float_round_mode_32 0
		.amdhsa_float_round_mode_16_64 0
		.amdhsa_float_denorm_mode_32 3
		.amdhsa_float_denorm_mode_16_64 3
		.amdhsa_dx10_clamp 1
		.amdhsa_ieee_mode 1
		.amdhsa_fp16_overflow 0
		.amdhsa_workgroup_processor_mode 1
		.amdhsa_memory_ordered 1
		.amdhsa_forward_progress 0
		.amdhsa_shared_vgpr_count 0
		.amdhsa_exception_fp_ieee_invalid_op 0
		.amdhsa_exception_fp_denorm_src 0
		.amdhsa_exception_fp_ieee_div_zero 0
		.amdhsa_exception_fp_ieee_overflow 0
		.amdhsa_exception_fp_ieee_underflow 0
		.amdhsa_exception_fp_ieee_inexact 0
		.amdhsa_exception_int_div_zero 0
	.end_amdhsa_kernel
	.section	.text._ZN7rocprim17ROCPRIM_400000_NS6detail17trampoline_kernelINS0_14default_configENS1_25partition_config_selectorILNS1_17partition_subalgoE9EllbEEZZNS1_14partition_implILS5_9ELb0ES3_jPlS8_PNS0_10empty_typeENS0_5tupleIJS8_S9_EEENSB_IJS8_SA_EEENS0_18inequality_wrapperIZN2at6native12_GLOBAL__N_124unique_dim_cuda_templateIdEESt5tupleIJNSF_6TensorESK_SK_EERKSK_lbbbEUlllE0_EEPmJS9_EEE10hipError_tPvRmT3_T4_T5_T6_T7_T9_mT8_P12ihipStream_tbDpT10_ENKUlT_T0_E_clISt17integral_constantIbLb1EES1A_EEDaS15_S16_EUlS15_E_NS1_11comp_targetILNS1_3genE2ELNS1_11target_archE906ELNS1_3gpuE6ELNS1_3repE0EEENS1_30default_config_static_selectorELNS0_4arch9wavefront6targetE0EEEvT1_,"axG",@progbits,_ZN7rocprim17ROCPRIM_400000_NS6detail17trampoline_kernelINS0_14default_configENS1_25partition_config_selectorILNS1_17partition_subalgoE9EllbEEZZNS1_14partition_implILS5_9ELb0ES3_jPlS8_PNS0_10empty_typeENS0_5tupleIJS8_S9_EEENSB_IJS8_SA_EEENS0_18inequality_wrapperIZN2at6native12_GLOBAL__N_124unique_dim_cuda_templateIdEESt5tupleIJNSF_6TensorESK_SK_EERKSK_lbbbEUlllE0_EEPmJS9_EEE10hipError_tPvRmT3_T4_T5_T6_T7_T9_mT8_P12ihipStream_tbDpT10_ENKUlT_T0_E_clISt17integral_constantIbLb1EES1A_EEDaS15_S16_EUlS15_E_NS1_11comp_targetILNS1_3genE2ELNS1_11target_archE906ELNS1_3gpuE6ELNS1_3repE0EEENS1_30default_config_static_selectorELNS0_4arch9wavefront6targetE0EEEvT1_,comdat
.Lfunc_end851:
	.size	_ZN7rocprim17ROCPRIM_400000_NS6detail17trampoline_kernelINS0_14default_configENS1_25partition_config_selectorILNS1_17partition_subalgoE9EllbEEZZNS1_14partition_implILS5_9ELb0ES3_jPlS8_PNS0_10empty_typeENS0_5tupleIJS8_S9_EEENSB_IJS8_SA_EEENS0_18inequality_wrapperIZN2at6native12_GLOBAL__N_124unique_dim_cuda_templateIdEESt5tupleIJNSF_6TensorESK_SK_EERKSK_lbbbEUlllE0_EEPmJS9_EEE10hipError_tPvRmT3_T4_T5_T6_T7_T9_mT8_P12ihipStream_tbDpT10_ENKUlT_T0_E_clISt17integral_constantIbLb1EES1A_EEDaS15_S16_EUlS15_E_NS1_11comp_targetILNS1_3genE2ELNS1_11target_archE906ELNS1_3gpuE6ELNS1_3repE0EEENS1_30default_config_static_selectorELNS0_4arch9wavefront6targetE0EEEvT1_, .Lfunc_end851-_ZN7rocprim17ROCPRIM_400000_NS6detail17trampoline_kernelINS0_14default_configENS1_25partition_config_selectorILNS1_17partition_subalgoE9EllbEEZZNS1_14partition_implILS5_9ELb0ES3_jPlS8_PNS0_10empty_typeENS0_5tupleIJS8_S9_EEENSB_IJS8_SA_EEENS0_18inequality_wrapperIZN2at6native12_GLOBAL__N_124unique_dim_cuda_templateIdEESt5tupleIJNSF_6TensorESK_SK_EERKSK_lbbbEUlllE0_EEPmJS9_EEE10hipError_tPvRmT3_T4_T5_T6_T7_T9_mT8_P12ihipStream_tbDpT10_ENKUlT_T0_E_clISt17integral_constantIbLb1EES1A_EEDaS15_S16_EUlS15_E_NS1_11comp_targetILNS1_3genE2ELNS1_11target_archE906ELNS1_3gpuE6ELNS1_3repE0EEENS1_30default_config_static_selectorELNS0_4arch9wavefront6targetE0EEEvT1_
                                        ; -- End function
	.section	.AMDGPU.csdata,"",@progbits
; Kernel info:
; codeLenInByte = 0
; NumSgprs: 0
; NumVgprs: 0
; ScratchSize: 0
; MemoryBound: 0
; FloatMode: 240
; IeeeMode: 1
; LDSByteSize: 0 bytes/workgroup (compile time only)
; SGPRBlocks: 0
; VGPRBlocks: 0
; NumSGPRsForWavesPerEU: 1
; NumVGPRsForWavesPerEU: 1
; Occupancy: 15
; WaveLimiterHint : 0
; COMPUTE_PGM_RSRC2:SCRATCH_EN: 0
; COMPUTE_PGM_RSRC2:USER_SGPR: 15
; COMPUTE_PGM_RSRC2:TRAP_HANDLER: 0
; COMPUTE_PGM_RSRC2:TGID_X_EN: 1
; COMPUTE_PGM_RSRC2:TGID_Y_EN: 0
; COMPUTE_PGM_RSRC2:TGID_Z_EN: 0
; COMPUTE_PGM_RSRC2:TIDIG_COMP_CNT: 0
	.section	.text._ZN7rocprim17ROCPRIM_400000_NS6detail17trampoline_kernelINS0_14default_configENS1_25partition_config_selectorILNS1_17partition_subalgoE9EllbEEZZNS1_14partition_implILS5_9ELb0ES3_jPlS8_PNS0_10empty_typeENS0_5tupleIJS8_S9_EEENSB_IJS8_SA_EEENS0_18inequality_wrapperIZN2at6native12_GLOBAL__N_124unique_dim_cuda_templateIdEESt5tupleIJNSF_6TensorESK_SK_EERKSK_lbbbEUlllE0_EEPmJS9_EEE10hipError_tPvRmT3_T4_T5_T6_T7_T9_mT8_P12ihipStream_tbDpT10_ENKUlT_T0_E_clISt17integral_constantIbLb1EES1A_EEDaS15_S16_EUlS15_E_NS1_11comp_targetILNS1_3genE10ELNS1_11target_archE1200ELNS1_3gpuE4ELNS1_3repE0EEENS1_30default_config_static_selectorELNS0_4arch9wavefront6targetE0EEEvT1_,"axG",@progbits,_ZN7rocprim17ROCPRIM_400000_NS6detail17trampoline_kernelINS0_14default_configENS1_25partition_config_selectorILNS1_17partition_subalgoE9EllbEEZZNS1_14partition_implILS5_9ELb0ES3_jPlS8_PNS0_10empty_typeENS0_5tupleIJS8_S9_EEENSB_IJS8_SA_EEENS0_18inequality_wrapperIZN2at6native12_GLOBAL__N_124unique_dim_cuda_templateIdEESt5tupleIJNSF_6TensorESK_SK_EERKSK_lbbbEUlllE0_EEPmJS9_EEE10hipError_tPvRmT3_T4_T5_T6_T7_T9_mT8_P12ihipStream_tbDpT10_ENKUlT_T0_E_clISt17integral_constantIbLb1EES1A_EEDaS15_S16_EUlS15_E_NS1_11comp_targetILNS1_3genE10ELNS1_11target_archE1200ELNS1_3gpuE4ELNS1_3repE0EEENS1_30default_config_static_selectorELNS0_4arch9wavefront6targetE0EEEvT1_,comdat
	.globl	_ZN7rocprim17ROCPRIM_400000_NS6detail17trampoline_kernelINS0_14default_configENS1_25partition_config_selectorILNS1_17partition_subalgoE9EllbEEZZNS1_14partition_implILS5_9ELb0ES3_jPlS8_PNS0_10empty_typeENS0_5tupleIJS8_S9_EEENSB_IJS8_SA_EEENS0_18inequality_wrapperIZN2at6native12_GLOBAL__N_124unique_dim_cuda_templateIdEESt5tupleIJNSF_6TensorESK_SK_EERKSK_lbbbEUlllE0_EEPmJS9_EEE10hipError_tPvRmT3_T4_T5_T6_T7_T9_mT8_P12ihipStream_tbDpT10_ENKUlT_T0_E_clISt17integral_constantIbLb1EES1A_EEDaS15_S16_EUlS15_E_NS1_11comp_targetILNS1_3genE10ELNS1_11target_archE1200ELNS1_3gpuE4ELNS1_3repE0EEENS1_30default_config_static_selectorELNS0_4arch9wavefront6targetE0EEEvT1_ ; -- Begin function _ZN7rocprim17ROCPRIM_400000_NS6detail17trampoline_kernelINS0_14default_configENS1_25partition_config_selectorILNS1_17partition_subalgoE9EllbEEZZNS1_14partition_implILS5_9ELb0ES3_jPlS8_PNS0_10empty_typeENS0_5tupleIJS8_S9_EEENSB_IJS8_SA_EEENS0_18inequality_wrapperIZN2at6native12_GLOBAL__N_124unique_dim_cuda_templateIdEESt5tupleIJNSF_6TensorESK_SK_EERKSK_lbbbEUlllE0_EEPmJS9_EEE10hipError_tPvRmT3_T4_T5_T6_T7_T9_mT8_P12ihipStream_tbDpT10_ENKUlT_T0_E_clISt17integral_constantIbLb1EES1A_EEDaS15_S16_EUlS15_E_NS1_11comp_targetILNS1_3genE10ELNS1_11target_archE1200ELNS1_3gpuE4ELNS1_3repE0EEENS1_30default_config_static_selectorELNS0_4arch9wavefront6targetE0EEEvT1_
	.p2align	8
	.type	_ZN7rocprim17ROCPRIM_400000_NS6detail17trampoline_kernelINS0_14default_configENS1_25partition_config_selectorILNS1_17partition_subalgoE9EllbEEZZNS1_14partition_implILS5_9ELb0ES3_jPlS8_PNS0_10empty_typeENS0_5tupleIJS8_S9_EEENSB_IJS8_SA_EEENS0_18inequality_wrapperIZN2at6native12_GLOBAL__N_124unique_dim_cuda_templateIdEESt5tupleIJNSF_6TensorESK_SK_EERKSK_lbbbEUlllE0_EEPmJS9_EEE10hipError_tPvRmT3_T4_T5_T6_T7_T9_mT8_P12ihipStream_tbDpT10_ENKUlT_T0_E_clISt17integral_constantIbLb1EES1A_EEDaS15_S16_EUlS15_E_NS1_11comp_targetILNS1_3genE10ELNS1_11target_archE1200ELNS1_3gpuE4ELNS1_3repE0EEENS1_30default_config_static_selectorELNS0_4arch9wavefront6targetE0EEEvT1_,@function
_ZN7rocprim17ROCPRIM_400000_NS6detail17trampoline_kernelINS0_14default_configENS1_25partition_config_selectorILNS1_17partition_subalgoE9EllbEEZZNS1_14partition_implILS5_9ELb0ES3_jPlS8_PNS0_10empty_typeENS0_5tupleIJS8_S9_EEENSB_IJS8_SA_EEENS0_18inequality_wrapperIZN2at6native12_GLOBAL__N_124unique_dim_cuda_templateIdEESt5tupleIJNSF_6TensorESK_SK_EERKSK_lbbbEUlllE0_EEPmJS9_EEE10hipError_tPvRmT3_T4_T5_T6_T7_T9_mT8_P12ihipStream_tbDpT10_ENKUlT_T0_E_clISt17integral_constantIbLb1EES1A_EEDaS15_S16_EUlS15_E_NS1_11comp_targetILNS1_3genE10ELNS1_11target_archE1200ELNS1_3gpuE4ELNS1_3repE0EEENS1_30default_config_static_selectorELNS0_4arch9wavefront6targetE0EEEvT1_: ; @_ZN7rocprim17ROCPRIM_400000_NS6detail17trampoline_kernelINS0_14default_configENS1_25partition_config_selectorILNS1_17partition_subalgoE9EllbEEZZNS1_14partition_implILS5_9ELb0ES3_jPlS8_PNS0_10empty_typeENS0_5tupleIJS8_S9_EEENSB_IJS8_SA_EEENS0_18inequality_wrapperIZN2at6native12_GLOBAL__N_124unique_dim_cuda_templateIdEESt5tupleIJNSF_6TensorESK_SK_EERKSK_lbbbEUlllE0_EEPmJS9_EEE10hipError_tPvRmT3_T4_T5_T6_T7_T9_mT8_P12ihipStream_tbDpT10_ENKUlT_T0_E_clISt17integral_constantIbLb1EES1A_EEDaS15_S16_EUlS15_E_NS1_11comp_targetILNS1_3genE10ELNS1_11target_archE1200ELNS1_3gpuE4ELNS1_3repE0EEENS1_30default_config_static_selectorELNS0_4arch9wavefront6targetE0EEEvT1_
; %bb.0:
	.section	.rodata,"a",@progbits
	.p2align	6, 0x0
	.amdhsa_kernel _ZN7rocprim17ROCPRIM_400000_NS6detail17trampoline_kernelINS0_14default_configENS1_25partition_config_selectorILNS1_17partition_subalgoE9EllbEEZZNS1_14partition_implILS5_9ELb0ES3_jPlS8_PNS0_10empty_typeENS0_5tupleIJS8_S9_EEENSB_IJS8_SA_EEENS0_18inequality_wrapperIZN2at6native12_GLOBAL__N_124unique_dim_cuda_templateIdEESt5tupleIJNSF_6TensorESK_SK_EERKSK_lbbbEUlllE0_EEPmJS9_EEE10hipError_tPvRmT3_T4_T5_T6_T7_T9_mT8_P12ihipStream_tbDpT10_ENKUlT_T0_E_clISt17integral_constantIbLb1EES1A_EEDaS15_S16_EUlS15_E_NS1_11comp_targetILNS1_3genE10ELNS1_11target_archE1200ELNS1_3gpuE4ELNS1_3repE0EEENS1_30default_config_static_selectorELNS0_4arch9wavefront6targetE0EEEvT1_
		.amdhsa_group_segment_fixed_size 0
		.amdhsa_private_segment_fixed_size 0
		.amdhsa_kernarg_size 136
		.amdhsa_user_sgpr_count 15
		.amdhsa_user_sgpr_dispatch_ptr 0
		.amdhsa_user_sgpr_queue_ptr 0
		.amdhsa_user_sgpr_kernarg_segment_ptr 1
		.amdhsa_user_sgpr_dispatch_id 0
		.amdhsa_user_sgpr_private_segment_size 0
		.amdhsa_wavefront_size32 1
		.amdhsa_uses_dynamic_stack 0
		.amdhsa_enable_private_segment 0
		.amdhsa_system_sgpr_workgroup_id_x 1
		.amdhsa_system_sgpr_workgroup_id_y 0
		.amdhsa_system_sgpr_workgroup_id_z 0
		.amdhsa_system_sgpr_workgroup_info 0
		.amdhsa_system_vgpr_workitem_id 0
		.amdhsa_next_free_vgpr 1
		.amdhsa_next_free_sgpr 1
		.amdhsa_reserve_vcc 0
		.amdhsa_float_round_mode_32 0
		.amdhsa_float_round_mode_16_64 0
		.amdhsa_float_denorm_mode_32 3
		.amdhsa_float_denorm_mode_16_64 3
		.amdhsa_dx10_clamp 1
		.amdhsa_ieee_mode 1
		.amdhsa_fp16_overflow 0
		.amdhsa_workgroup_processor_mode 1
		.amdhsa_memory_ordered 1
		.amdhsa_forward_progress 0
		.amdhsa_shared_vgpr_count 0
		.amdhsa_exception_fp_ieee_invalid_op 0
		.amdhsa_exception_fp_denorm_src 0
		.amdhsa_exception_fp_ieee_div_zero 0
		.amdhsa_exception_fp_ieee_overflow 0
		.amdhsa_exception_fp_ieee_underflow 0
		.amdhsa_exception_fp_ieee_inexact 0
		.amdhsa_exception_int_div_zero 0
	.end_amdhsa_kernel
	.section	.text._ZN7rocprim17ROCPRIM_400000_NS6detail17trampoline_kernelINS0_14default_configENS1_25partition_config_selectorILNS1_17partition_subalgoE9EllbEEZZNS1_14partition_implILS5_9ELb0ES3_jPlS8_PNS0_10empty_typeENS0_5tupleIJS8_S9_EEENSB_IJS8_SA_EEENS0_18inequality_wrapperIZN2at6native12_GLOBAL__N_124unique_dim_cuda_templateIdEESt5tupleIJNSF_6TensorESK_SK_EERKSK_lbbbEUlllE0_EEPmJS9_EEE10hipError_tPvRmT3_T4_T5_T6_T7_T9_mT8_P12ihipStream_tbDpT10_ENKUlT_T0_E_clISt17integral_constantIbLb1EES1A_EEDaS15_S16_EUlS15_E_NS1_11comp_targetILNS1_3genE10ELNS1_11target_archE1200ELNS1_3gpuE4ELNS1_3repE0EEENS1_30default_config_static_selectorELNS0_4arch9wavefront6targetE0EEEvT1_,"axG",@progbits,_ZN7rocprim17ROCPRIM_400000_NS6detail17trampoline_kernelINS0_14default_configENS1_25partition_config_selectorILNS1_17partition_subalgoE9EllbEEZZNS1_14partition_implILS5_9ELb0ES3_jPlS8_PNS0_10empty_typeENS0_5tupleIJS8_S9_EEENSB_IJS8_SA_EEENS0_18inequality_wrapperIZN2at6native12_GLOBAL__N_124unique_dim_cuda_templateIdEESt5tupleIJNSF_6TensorESK_SK_EERKSK_lbbbEUlllE0_EEPmJS9_EEE10hipError_tPvRmT3_T4_T5_T6_T7_T9_mT8_P12ihipStream_tbDpT10_ENKUlT_T0_E_clISt17integral_constantIbLb1EES1A_EEDaS15_S16_EUlS15_E_NS1_11comp_targetILNS1_3genE10ELNS1_11target_archE1200ELNS1_3gpuE4ELNS1_3repE0EEENS1_30default_config_static_selectorELNS0_4arch9wavefront6targetE0EEEvT1_,comdat
.Lfunc_end852:
	.size	_ZN7rocprim17ROCPRIM_400000_NS6detail17trampoline_kernelINS0_14default_configENS1_25partition_config_selectorILNS1_17partition_subalgoE9EllbEEZZNS1_14partition_implILS5_9ELb0ES3_jPlS8_PNS0_10empty_typeENS0_5tupleIJS8_S9_EEENSB_IJS8_SA_EEENS0_18inequality_wrapperIZN2at6native12_GLOBAL__N_124unique_dim_cuda_templateIdEESt5tupleIJNSF_6TensorESK_SK_EERKSK_lbbbEUlllE0_EEPmJS9_EEE10hipError_tPvRmT3_T4_T5_T6_T7_T9_mT8_P12ihipStream_tbDpT10_ENKUlT_T0_E_clISt17integral_constantIbLb1EES1A_EEDaS15_S16_EUlS15_E_NS1_11comp_targetILNS1_3genE10ELNS1_11target_archE1200ELNS1_3gpuE4ELNS1_3repE0EEENS1_30default_config_static_selectorELNS0_4arch9wavefront6targetE0EEEvT1_, .Lfunc_end852-_ZN7rocprim17ROCPRIM_400000_NS6detail17trampoline_kernelINS0_14default_configENS1_25partition_config_selectorILNS1_17partition_subalgoE9EllbEEZZNS1_14partition_implILS5_9ELb0ES3_jPlS8_PNS0_10empty_typeENS0_5tupleIJS8_S9_EEENSB_IJS8_SA_EEENS0_18inequality_wrapperIZN2at6native12_GLOBAL__N_124unique_dim_cuda_templateIdEESt5tupleIJNSF_6TensorESK_SK_EERKSK_lbbbEUlllE0_EEPmJS9_EEE10hipError_tPvRmT3_T4_T5_T6_T7_T9_mT8_P12ihipStream_tbDpT10_ENKUlT_T0_E_clISt17integral_constantIbLb1EES1A_EEDaS15_S16_EUlS15_E_NS1_11comp_targetILNS1_3genE10ELNS1_11target_archE1200ELNS1_3gpuE4ELNS1_3repE0EEENS1_30default_config_static_selectorELNS0_4arch9wavefront6targetE0EEEvT1_
                                        ; -- End function
	.section	.AMDGPU.csdata,"",@progbits
; Kernel info:
; codeLenInByte = 0
; NumSgprs: 0
; NumVgprs: 0
; ScratchSize: 0
; MemoryBound: 0
; FloatMode: 240
; IeeeMode: 1
; LDSByteSize: 0 bytes/workgroup (compile time only)
; SGPRBlocks: 0
; VGPRBlocks: 0
; NumSGPRsForWavesPerEU: 1
; NumVGPRsForWavesPerEU: 1
; Occupancy: 15
; WaveLimiterHint : 0
; COMPUTE_PGM_RSRC2:SCRATCH_EN: 0
; COMPUTE_PGM_RSRC2:USER_SGPR: 15
; COMPUTE_PGM_RSRC2:TRAP_HANDLER: 0
; COMPUTE_PGM_RSRC2:TGID_X_EN: 1
; COMPUTE_PGM_RSRC2:TGID_Y_EN: 0
; COMPUTE_PGM_RSRC2:TGID_Z_EN: 0
; COMPUTE_PGM_RSRC2:TIDIG_COMP_CNT: 0
	.section	.text._ZN7rocprim17ROCPRIM_400000_NS6detail17trampoline_kernelINS0_14default_configENS1_25partition_config_selectorILNS1_17partition_subalgoE9EllbEEZZNS1_14partition_implILS5_9ELb0ES3_jPlS8_PNS0_10empty_typeENS0_5tupleIJS8_S9_EEENSB_IJS8_SA_EEENS0_18inequality_wrapperIZN2at6native12_GLOBAL__N_124unique_dim_cuda_templateIdEESt5tupleIJNSF_6TensorESK_SK_EERKSK_lbbbEUlllE0_EEPmJS9_EEE10hipError_tPvRmT3_T4_T5_T6_T7_T9_mT8_P12ihipStream_tbDpT10_ENKUlT_T0_E_clISt17integral_constantIbLb1EES1A_EEDaS15_S16_EUlS15_E_NS1_11comp_targetILNS1_3genE9ELNS1_11target_archE1100ELNS1_3gpuE3ELNS1_3repE0EEENS1_30default_config_static_selectorELNS0_4arch9wavefront6targetE0EEEvT1_,"axG",@progbits,_ZN7rocprim17ROCPRIM_400000_NS6detail17trampoline_kernelINS0_14default_configENS1_25partition_config_selectorILNS1_17partition_subalgoE9EllbEEZZNS1_14partition_implILS5_9ELb0ES3_jPlS8_PNS0_10empty_typeENS0_5tupleIJS8_S9_EEENSB_IJS8_SA_EEENS0_18inequality_wrapperIZN2at6native12_GLOBAL__N_124unique_dim_cuda_templateIdEESt5tupleIJNSF_6TensorESK_SK_EERKSK_lbbbEUlllE0_EEPmJS9_EEE10hipError_tPvRmT3_T4_T5_T6_T7_T9_mT8_P12ihipStream_tbDpT10_ENKUlT_T0_E_clISt17integral_constantIbLb1EES1A_EEDaS15_S16_EUlS15_E_NS1_11comp_targetILNS1_3genE9ELNS1_11target_archE1100ELNS1_3gpuE3ELNS1_3repE0EEENS1_30default_config_static_selectorELNS0_4arch9wavefront6targetE0EEEvT1_,comdat
	.globl	_ZN7rocprim17ROCPRIM_400000_NS6detail17trampoline_kernelINS0_14default_configENS1_25partition_config_selectorILNS1_17partition_subalgoE9EllbEEZZNS1_14partition_implILS5_9ELb0ES3_jPlS8_PNS0_10empty_typeENS0_5tupleIJS8_S9_EEENSB_IJS8_SA_EEENS0_18inequality_wrapperIZN2at6native12_GLOBAL__N_124unique_dim_cuda_templateIdEESt5tupleIJNSF_6TensorESK_SK_EERKSK_lbbbEUlllE0_EEPmJS9_EEE10hipError_tPvRmT3_T4_T5_T6_T7_T9_mT8_P12ihipStream_tbDpT10_ENKUlT_T0_E_clISt17integral_constantIbLb1EES1A_EEDaS15_S16_EUlS15_E_NS1_11comp_targetILNS1_3genE9ELNS1_11target_archE1100ELNS1_3gpuE3ELNS1_3repE0EEENS1_30default_config_static_selectorELNS0_4arch9wavefront6targetE0EEEvT1_ ; -- Begin function _ZN7rocprim17ROCPRIM_400000_NS6detail17trampoline_kernelINS0_14default_configENS1_25partition_config_selectorILNS1_17partition_subalgoE9EllbEEZZNS1_14partition_implILS5_9ELb0ES3_jPlS8_PNS0_10empty_typeENS0_5tupleIJS8_S9_EEENSB_IJS8_SA_EEENS0_18inequality_wrapperIZN2at6native12_GLOBAL__N_124unique_dim_cuda_templateIdEESt5tupleIJNSF_6TensorESK_SK_EERKSK_lbbbEUlllE0_EEPmJS9_EEE10hipError_tPvRmT3_T4_T5_T6_T7_T9_mT8_P12ihipStream_tbDpT10_ENKUlT_T0_E_clISt17integral_constantIbLb1EES1A_EEDaS15_S16_EUlS15_E_NS1_11comp_targetILNS1_3genE9ELNS1_11target_archE1100ELNS1_3gpuE3ELNS1_3repE0EEENS1_30default_config_static_selectorELNS0_4arch9wavefront6targetE0EEEvT1_
	.p2align	8
	.type	_ZN7rocprim17ROCPRIM_400000_NS6detail17trampoline_kernelINS0_14default_configENS1_25partition_config_selectorILNS1_17partition_subalgoE9EllbEEZZNS1_14partition_implILS5_9ELb0ES3_jPlS8_PNS0_10empty_typeENS0_5tupleIJS8_S9_EEENSB_IJS8_SA_EEENS0_18inequality_wrapperIZN2at6native12_GLOBAL__N_124unique_dim_cuda_templateIdEESt5tupleIJNSF_6TensorESK_SK_EERKSK_lbbbEUlllE0_EEPmJS9_EEE10hipError_tPvRmT3_T4_T5_T6_T7_T9_mT8_P12ihipStream_tbDpT10_ENKUlT_T0_E_clISt17integral_constantIbLb1EES1A_EEDaS15_S16_EUlS15_E_NS1_11comp_targetILNS1_3genE9ELNS1_11target_archE1100ELNS1_3gpuE3ELNS1_3repE0EEENS1_30default_config_static_selectorELNS0_4arch9wavefront6targetE0EEEvT1_,@function
_ZN7rocprim17ROCPRIM_400000_NS6detail17trampoline_kernelINS0_14default_configENS1_25partition_config_selectorILNS1_17partition_subalgoE9EllbEEZZNS1_14partition_implILS5_9ELb0ES3_jPlS8_PNS0_10empty_typeENS0_5tupleIJS8_S9_EEENSB_IJS8_SA_EEENS0_18inequality_wrapperIZN2at6native12_GLOBAL__N_124unique_dim_cuda_templateIdEESt5tupleIJNSF_6TensorESK_SK_EERKSK_lbbbEUlllE0_EEPmJS9_EEE10hipError_tPvRmT3_T4_T5_T6_T7_T9_mT8_P12ihipStream_tbDpT10_ENKUlT_T0_E_clISt17integral_constantIbLb1EES1A_EEDaS15_S16_EUlS15_E_NS1_11comp_targetILNS1_3genE9ELNS1_11target_archE1100ELNS1_3gpuE3ELNS1_3repE0EEENS1_30default_config_static_selectorELNS0_4arch9wavefront6targetE0EEEvT1_: ; @_ZN7rocprim17ROCPRIM_400000_NS6detail17trampoline_kernelINS0_14default_configENS1_25partition_config_selectorILNS1_17partition_subalgoE9EllbEEZZNS1_14partition_implILS5_9ELb0ES3_jPlS8_PNS0_10empty_typeENS0_5tupleIJS8_S9_EEENSB_IJS8_SA_EEENS0_18inequality_wrapperIZN2at6native12_GLOBAL__N_124unique_dim_cuda_templateIdEESt5tupleIJNSF_6TensorESK_SK_EERKSK_lbbbEUlllE0_EEPmJS9_EEE10hipError_tPvRmT3_T4_T5_T6_T7_T9_mT8_P12ihipStream_tbDpT10_ENKUlT_T0_E_clISt17integral_constantIbLb1EES1A_EEDaS15_S16_EUlS15_E_NS1_11comp_targetILNS1_3genE9ELNS1_11target_archE1100ELNS1_3gpuE3ELNS1_3repE0EEENS1_30default_config_static_selectorELNS0_4arch9wavefront6targetE0EEEvT1_
; %bb.0:
	s_clause 0x3
	s_load_b128 s[4:7], s[0:1], 0x8
	s_load_b64 s[24:25], s[0:1], 0x18
	s_load_b256 s[8:15], s[0:1], 0x40
	s_load_b128 s[20:23], s[0:1], 0x60
	v_cmp_ne_u32_e64 s3, 0, v0
	v_cmp_eq_u32_e64 s2, 0, v0
	s_delay_alu instid0(VALU_DEP_1)
	s_and_saveexec_b32 s16, s2
	s_cbranch_execz .LBB853_4
; %bb.1:
	s_mov_b32 s18, exec_lo
	s_mov_b32 s17, exec_lo
	v_mbcnt_lo_u32_b32 v1, s18, 0
                                        ; implicit-def: $vgpr2
	s_delay_alu instid0(VALU_DEP_1)
	v_cmpx_eq_u32_e32 0, v1
	s_cbranch_execz .LBB853_3
; %bb.2:
	s_load_b64 s[26:27], s[0:1], 0x78
	s_bcnt1_i32_b32 s18, s18
	s_delay_alu instid0(SALU_CYCLE_1)
	v_dual_mov_b32 v2, 0 :: v_dual_mov_b32 v3, s18
	s_waitcnt lgkmcnt(0)
	global_atomic_add_u32 v2, v2, v3, s[26:27] glc
.LBB853_3:
	s_or_b32 exec_lo, exec_lo, s17
	s_waitcnt vmcnt(0)
	v_readfirstlane_b32 s17, v2
	s_delay_alu instid0(VALU_DEP_1)
	v_dual_mov_b32 v2, 0 :: v_dual_add_nc_u32 v1, s17, v1
	ds_store_b32 v2, v1
.LBB853_4:
	s_or_b32 exec_lo, exec_lo, s16
	v_mov_b32_e32 v1, 0
	s_clause 0x1
	s_load_b128 s[16:19], s[0:1], 0x28
	s_load_b32 s0, s[0:1], 0x70
	s_waitcnt lgkmcnt(0)
	s_barrier
	buffer_gl0_inv
	ds_load_b32 v3, v1
	s_waitcnt lgkmcnt(0)
	s_barrier
	buffer_gl0_inv
	global_load_b64 v[1:2], v1, s[10:11]
	s_lshl_b64 s[26:27], s[6:7], 3
	s_mov_b32 s1, 0
	s_add_u32 s10, s4, s26
	s_addc_u32 s11, s5, s27
	v_lshlrev_b32_e32 v55, 3, v0
	v_lshrrev_b32_e32 v34, 2, v0
	v_or_b32_e32 v39, 0x200, v0
	v_or_b32_e32 v38, 0x400, v0
	;; [unrolled: 1-line block ×5, first 2 shown]
	s_add_i32 s28, s0, -1
	s_lshl_b32 s5, s0, 12
	s_lshl_b32 s4, s28, 12
	v_or_b32_e32 v33, 0xc00, v0
	v_readfirstlane_b32 s30, v3
	s_add_i32 s4, s6, s4
	v_or_b32_e32 v36, 0xe00, v0
	s_sub_i32 s31, s12, s4
	s_delay_alu instid0(VALU_DEP_2)
	s_lshl_b32 s0, s30, 12
	s_add_u32 s4, s6, s5
	s_addc_u32 s5, s7, 0
	s_cmp_eq_u32 s30, s28
	v_cmp_ge_u64_e64 s4, s[4:5], s[12:13]
	s_cselect_b32 s28, -1, 0
	s_lshl_b64 s[12:13], s[0:1], 3
	s_mov_b32 s1, -1
	s_delay_alu instid0(VALU_DEP_1) | instskip(NEXT) | instid1(SALU_CYCLE_1)
	s_and_b32 s33, s4, s28
	s_xor_b32 s29, s33, -1
	s_add_u32 s4, s10, s12
	s_addc_u32 s5, s11, s13
	s_and_b32 vcc_lo, exec_lo, s29
	s_waitcnt vmcnt(0)
	v_readfirstlane_b32 s10, v1
	v_readfirstlane_b32 s11, v2
	s_cbranch_vccz .LBB853_6
; %bb.5:
	v_add_co_u32 v9, s0, s4, v55
	s_delay_alu instid0(VALU_DEP_1)
	v_add_co_ci_u32_e64 v10, null, s5, 0, s0
	global_load_b64 v[1:2], v55, s[4:5]
	v_add_co_u32 v3, vcc_lo, v9, 0x2000
	v_add_co_ci_u32_e32 v4, vcc_lo, 0, v10, vcc_lo
	v_add_co_u32 v5, vcc_lo, v9, 0x4000
	v_add_co_ci_u32_e32 v6, vcc_lo, 0, v10, vcc_lo
	;; [unrolled: 2-line block ×4, first 2 shown]
	s_clause 0x6
	global_load_b64 v[11:12], v[3:4], off offset:-4096
	global_load_b64 v[3:4], v[3:4], off
	global_load_b64 v[13:14], v[5:6], off offset:-4096
	global_load_b64 v[5:6], v[5:6], off
	;; [unrolled: 2-line block ×3, first 2 shown]
	global_load_b64 v[9:10], v[9:10], off
	v_lshrrev_b32_e32 v18, 2, v39
	v_lshrrev_b32_e32 v19, 2, v38
	;; [unrolled: 1-line block ×4, first 2 shown]
	v_and_b32_e32 v17, 0x78, v34
	v_lshrrev_b32_e32 v22, 2, v35
	v_lshrrev_b32_e32 v23, 2, v33
	;; [unrolled: 1-line block ×3, first 2 shown]
	v_and_b32_e32 v18, 0xf8, v18
	v_and_b32_e32 v19, 0x178, v19
	;; [unrolled: 1-line block ×4, first 2 shown]
	v_add_nc_u32_e32 v17, v17, v55
	v_and_b32_e32 v22, 0x2f8, v22
	v_and_b32_e32 v23, 0x378, v23
	;; [unrolled: 1-line block ×3, first 2 shown]
	v_add_nc_u32_e32 v18, v18, v55
	v_add_nc_u32_e32 v19, v19, v55
	;; [unrolled: 1-line block ×4, first 2 shown]
	s_mov_b32 s1, 0
	v_add_nc_u32_e32 v22, v22, v55
	v_add_nc_u32_e32 v23, v23, v55
	;; [unrolled: 1-line block ×3, first 2 shown]
	s_waitcnt vmcnt(7)
	ds_store_b64 v17, v[1:2]
	s_waitcnt vmcnt(6)
	ds_store_b64 v18, v[11:12] offset:4096
	s_waitcnt vmcnt(5)
	ds_store_b64 v19, v[3:4] offset:8192
	;; [unrolled: 2-line block ×7, first 2 shown]
	s_waitcnt lgkmcnt(0)
	s_barrier
.LBB853_6:
	v_cmp_gt_u32_e64 s0, s31, v0
	s_and_not1_b32 vcc_lo, exec_lo, s1
	s_cbranch_vccnz .LBB853_24
; %bb.7:
                                        ; implicit-def: $vgpr1_vgpr2_vgpr3_vgpr4_vgpr5_vgpr6_vgpr7_vgpr8_vgpr9_vgpr10_vgpr11_vgpr12_vgpr13_vgpr14_vgpr15_vgpr16
	s_delay_alu instid0(VALU_DEP_1)
	s_and_saveexec_b32 s1, s0
	s_cbranch_execz .LBB853_15
; %bb.8:
	global_load_b64 v[1:2], v55, s[4:5]
	s_or_b32 exec_lo, exec_lo, s1
	s_delay_alu instid0(SALU_CYCLE_1)
	s_mov_b32 s0, exec_lo
	v_cmpx_gt_u32_e64 s31, v39
	s_cbranch_execnz .LBB853_16
.LBB853_9:
	s_or_b32 exec_lo, exec_lo, s0
	s_delay_alu instid0(SALU_CYCLE_1)
	s_mov_b32 s0, exec_lo
	v_cmpx_gt_u32_e64 s31, v38
	s_cbranch_execz .LBB853_17
.LBB853_10:
	v_lshlrev_b32_e32 v5, 3, v38
	global_load_b64 v[5:6], v5, s[4:5]
	s_or_b32 exec_lo, exec_lo, s0
	s_delay_alu instid0(SALU_CYCLE_1)
	s_mov_b32 s0, exec_lo
	v_cmpx_gt_u32_e64 s31, v40
	s_cbranch_execnz .LBB853_18
.LBB853_11:
	s_or_b32 exec_lo, exec_lo, s0
	s_delay_alu instid0(SALU_CYCLE_1)
	s_mov_b32 s0, exec_lo
	v_cmpx_gt_u32_e64 s31, v37
	s_cbranch_execz .LBB853_19
.LBB853_12:
	v_lshlrev_b32_e32 v9, 3, v37
	global_load_b64 v[9:10], v9, s[4:5]
	s_or_b32 exec_lo, exec_lo, s0
	s_delay_alu instid0(SALU_CYCLE_1)
	s_mov_b32 s0, exec_lo
	v_cmpx_gt_u32_e64 s31, v35
	s_cbranch_execnz .LBB853_20
.LBB853_13:
	s_or_b32 exec_lo, exec_lo, s0
	s_delay_alu instid0(SALU_CYCLE_1)
	s_mov_b32 s0, exec_lo
	v_cmpx_gt_u32_e64 s31, v33
	s_cbranch_execz .LBB853_21
.LBB853_14:
	v_lshlrev_b32_e32 v13, 3, v33
	global_load_b64 v[13:14], v13, s[4:5]
	s_or_b32 exec_lo, exec_lo, s0
	s_delay_alu instid0(SALU_CYCLE_1)
	s_mov_b32 s0, exec_lo
	v_cmpx_gt_u32_e64 s31, v36
	s_cbranch_execnz .LBB853_22
	s_branch .LBB853_23
.LBB853_15:
	s_or_b32 exec_lo, exec_lo, s1
	s_delay_alu instid0(SALU_CYCLE_1)
	s_mov_b32 s0, exec_lo
	v_cmpx_gt_u32_e64 s31, v39
	s_cbranch_execz .LBB853_9
.LBB853_16:
	v_lshlrev_b32_e32 v3, 3, v39
	global_load_b64 v[3:4], v3, s[4:5]
	s_or_b32 exec_lo, exec_lo, s0
	s_delay_alu instid0(SALU_CYCLE_1)
	s_mov_b32 s0, exec_lo
	v_cmpx_gt_u32_e64 s31, v38
	s_cbranch_execnz .LBB853_10
.LBB853_17:
	s_or_b32 exec_lo, exec_lo, s0
	s_delay_alu instid0(SALU_CYCLE_1)
	s_mov_b32 s0, exec_lo
	v_cmpx_gt_u32_e64 s31, v40
	s_cbranch_execz .LBB853_11
.LBB853_18:
	v_lshlrev_b32_e32 v7, 3, v40
	global_load_b64 v[7:8], v7, s[4:5]
	s_or_b32 exec_lo, exec_lo, s0
	s_delay_alu instid0(SALU_CYCLE_1)
	s_mov_b32 s0, exec_lo
	v_cmpx_gt_u32_e64 s31, v37
	s_cbranch_execnz .LBB853_12
.LBB853_19:
	s_or_b32 exec_lo, exec_lo, s0
	s_delay_alu instid0(SALU_CYCLE_1)
	s_mov_b32 s0, exec_lo
	v_cmpx_gt_u32_e64 s31, v35
	s_cbranch_execz .LBB853_13
.LBB853_20:
	v_lshlrev_b32_e32 v11, 3, v35
	global_load_b64 v[11:12], v11, s[4:5]
	s_or_b32 exec_lo, exec_lo, s0
	s_delay_alu instid0(SALU_CYCLE_1)
	s_mov_b32 s0, exec_lo
	v_cmpx_gt_u32_e64 s31, v33
	s_cbranch_execnz .LBB853_14
.LBB853_21:
	s_or_b32 exec_lo, exec_lo, s0
	s_delay_alu instid0(SALU_CYCLE_1)
	s_mov_b32 s0, exec_lo
	v_cmpx_gt_u32_e64 s31, v36
	s_cbranch_execz .LBB853_23
.LBB853_22:
	v_lshlrev_b32_e32 v15, 3, v36
	global_load_b64 v[15:16], v15, s[4:5]
.LBB853_23:
	s_or_b32 exec_lo, exec_lo, s0
	v_lshrrev_b32_e32 v17, 2, v39
	v_lshrrev_b32_e32 v18, 2, v38
	;; [unrolled: 1-line block ×4, first 2 shown]
	v_and_b32_e32 v19, 0x78, v34
	v_lshrrev_b32_e32 v22, 2, v35
	v_lshrrev_b32_e32 v23, 2, v33
	;; [unrolled: 1-line block ×3, first 2 shown]
	v_and_b32_e32 v17, 0xf8, v17
	v_and_b32_e32 v18, 0x1f8, v18
	;; [unrolled: 1-line block ×4, first 2 shown]
	v_add_nc_u32_e32 v19, v19, v55
	v_and_b32_e32 v22, 0x3f8, v22
	v_and_b32_e32 v23, 0x3f8, v23
	;; [unrolled: 1-line block ×3, first 2 shown]
	v_add_nc_u32_e32 v17, v17, v55
	v_add_nc_u32_e32 v18, v18, v55
	;; [unrolled: 1-line block ×7, first 2 shown]
	s_waitcnt vmcnt(0)
	ds_store_b64 v19, v[1:2]
	ds_store_b64 v17, v[3:4] offset:4096
	ds_store_b64 v18, v[5:6] offset:8192
	ds_store_b64 v20, v[7:8] offset:12288
	ds_store_b64 v21, v[9:10] offset:16384
	ds_store_b64 v22, v[11:12] offset:20480
	ds_store_b64 v23, v[13:14] offset:24576
	ds_store_b64 v24, v[15:16] offset:28672
	s_waitcnt lgkmcnt(0)
	s_barrier
.LBB853_24:
	v_add_lshl_u32 v41, v34, v55, 3
	buffer_gl0_inv
	s_add_u32 s0, s24, s26
	s_addc_u32 s1, s25, s27
	s_add_u32 s0, s0, s12
	ds_load_2addr_b64 v[29:32], v41 offset1:1
	ds_load_2addr_b64 v[25:28], v41 offset0:2 offset1:3
	ds_load_2addr_b64 v[21:24], v41 offset0:4 offset1:5
	;; [unrolled: 1-line block ×3, first 2 shown]
	s_addc_u32 s1, s1, s13
	s_and_b32 vcc_lo, exec_lo, s29
	s_mov_b32 s12, -1
	s_waitcnt lgkmcnt(0)
	s_barrier
	buffer_gl0_inv
	s_cbranch_vccz .LBB853_26
; %bb.25:
	v_add_co_u32 v9, s12, s0, v55
	s_delay_alu instid0(VALU_DEP_1)
	v_add_co_ci_u32_e64 v10, null, s1, 0, s12
	global_load_b64 v[1:2], v55, s[0:1]
	v_add_co_u32 v3, vcc_lo, v9, 0x2000
	v_add_co_ci_u32_e32 v4, vcc_lo, 0, v10, vcc_lo
	v_add_co_u32 v5, vcc_lo, v9, 0x4000
	v_add_co_ci_u32_e32 v6, vcc_lo, 0, v10, vcc_lo
	;; [unrolled: 2-line block ×4, first 2 shown]
	s_clause 0x6
	global_load_b64 v[11:12], v[3:4], off offset:-4096
	global_load_b64 v[3:4], v[3:4], off
	global_load_b64 v[13:14], v[5:6], off offset:-4096
	global_load_b64 v[5:6], v[5:6], off
	;; [unrolled: 2-line block ×3, first 2 shown]
	global_load_b64 v[9:10], v[9:10], off
	v_lshrrev_b32_e32 v43, 2, v39
	v_lshrrev_b32_e32 v44, 2, v38
	;; [unrolled: 1-line block ×4, first 2 shown]
	v_and_b32_e32 v42, 0x78, v34
	v_lshrrev_b32_e32 v47, 2, v35
	v_lshrrev_b32_e32 v48, 2, v33
	;; [unrolled: 1-line block ×3, first 2 shown]
	v_and_b32_e32 v43, 0xf8, v43
	v_and_b32_e32 v44, 0x178, v44
	;; [unrolled: 1-line block ×4, first 2 shown]
	v_add_nc_u32_e32 v42, v42, v55
	v_and_b32_e32 v47, 0x2f8, v47
	v_and_b32_e32 v48, 0x378, v48
	;; [unrolled: 1-line block ×3, first 2 shown]
	v_add_nc_u32_e32 v43, v43, v55
	v_add_nc_u32_e32 v44, v44, v55
	;; [unrolled: 1-line block ×4, first 2 shown]
	s_mov_b32 s12, 0
	v_add_nc_u32_e32 v47, v47, v55
	v_add_nc_u32_e32 v48, v48, v55
	;; [unrolled: 1-line block ×3, first 2 shown]
	s_waitcnt vmcnt(7)
	ds_store_b64 v42, v[1:2]
	s_waitcnt vmcnt(6)
	ds_store_b64 v43, v[11:12] offset:4096
	s_waitcnt vmcnt(5)
	ds_store_b64 v44, v[3:4] offset:8192
	;; [unrolled: 2-line block ×7, first 2 shown]
	s_waitcnt lgkmcnt(0)
	s_barrier
.LBB853_26:
	s_and_not1_b32 vcc_lo, exec_lo, s12
	s_cbranch_vccnz .LBB853_44
; %bb.27:
	s_mov_b32 s12, exec_lo
                                        ; implicit-def: $vgpr1_vgpr2
	v_cmpx_gt_u32_e64 s31, v0
	s_cbranch_execz .LBB853_29
; %bb.28:
	global_load_b64 v[1:2], v55, s[0:1]
.LBB853_29:
	s_or_b32 exec_lo, exec_lo, s12
	s_delay_alu instid0(SALU_CYCLE_1)
	s_mov_b32 s12, exec_lo
                                        ; implicit-def: $vgpr3_vgpr4
	v_cmpx_gt_u32_e64 s31, v39
	s_cbranch_execz .LBB853_31
; %bb.30:
	v_lshlrev_b32_e32 v3, 3, v39
	global_load_b64 v[3:4], v3, s[0:1]
.LBB853_31:
	s_or_b32 exec_lo, exec_lo, s12
	s_delay_alu instid0(SALU_CYCLE_1)
	s_mov_b32 s12, exec_lo
                                        ; implicit-def: $vgpr5_vgpr6
	v_cmpx_gt_u32_e64 s31, v38
	s_cbranch_execz .LBB853_33
; %bb.32:
	v_lshlrev_b32_e32 v5, 3, v38
	global_load_b64 v[5:6], v5, s[0:1]
.LBB853_33:
	s_or_b32 exec_lo, exec_lo, s12
	s_delay_alu instid0(SALU_CYCLE_1)
	s_mov_b32 s12, exec_lo
                                        ; implicit-def: $vgpr7_vgpr8
	v_cmpx_gt_u32_e64 s31, v40
	s_cbranch_execz .LBB853_35
; %bb.34:
	v_lshlrev_b32_e32 v7, 3, v40
	global_load_b64 v[7:8], v7, s[0:1]
.LBB853_35:
	s_or_b32 exec_lo, exec_lo, s12
	s_delay_alu instid0(SALU_CYCLE_1)
	s_mov_b32 s12, exec_lo
                                        ; implicit-def: $vgpr9_vgpr10
	v_cmpx_gt_u32_e64 s31, v37
	s_cbranch_execz .LBB853_37
; %bb.36:
	v_lshlrev_b32_e32 v9, 3, v37
	global_load_b64 v[9:10], v9, s[0:1]
.LBB853_37:
	s_or_b32 exec_lo, exec_lo, s12
	s_delay_alu instid0(SALU_CYCLE_1)
	s_mov_b32 s12, exec_lo
                                        ; implicit-def: $vgpr11_vgpr12
	v_cmpx_gt_u32_e64 s31, v35
	s_cbranch_execz .LBB853_39
; %bb.38:
	v_lshlrev_b32_e32 v11, 3, v35
	global_load_b64 v[11:12], v11, s[0:1]
.LBB853_39:
	s_or_b32 exec_lo, exec_lo, s12
	s_delay_alu instid0(SALU_CYCLE_1)
	s_mov_b32 s12, exec_lo
                                        ; implicit-def: $vgpr13_vgpr14
	v_cmpx_gt_u32_e64 s31, v33
	s_cbranch_execz .LBB853_41
; %bb.40:
	v_lshlrev_b32_e32 v13, 3, v33
	global_load_b64 v[13:14], v13, s[0:1]
.LBB853_41:
	s_or_b32 exec_lo, exec_lo, s12
	s_delay_alu instid0(SALU_CYCLE_1)
	s_mov_b32 s12, exec_lo
                                        ; implicit-def: $vgpr15_vgpr16
	v_cmpx_gt_u32_e64 s31, v36
	s_cbranch_execz .LBB853_43
; %bb.42:
	v_lshlrev_b32_e32 v15, 3, v36
	global_load_b64 v[15:16], v15, s[0:1]
.LBB853_43:
	s_or_b32 exec_lo, exec_lo, s12
	v_lshrrev_b32_e32 v39, 2, v39
	v_lshrrev_b32_e32 v38, 2, v38
	;; [unrolled: 1-line block ×4, first 2 shown]
	v_and_b32_e32 v34, 0x78, v34
	v_lshrrev_b32_e32 v35, 2, v35
	v_lshrrev_b32_e32 v33, 2, v33
	;; [unrolled: 1-line block ×3, first 2 shown]
	v_and_b32_e32 v39, 0xf8, v39
	v_and_b32_e32 v38, 0x1f8, v38
	;; [unrolled: 1-line block ×4, first 2 shown]
	v_add_nc_u32_e32 v34, v34, v55
	v_and_b32_e32 v35, 0x3f8, v35
	v_and_b32_e32 v33, 0x3f8, v33
	;; [unrolled: 1-line block ×3, first 2 shown]
	v_add_nc_u32_e32 v39, v39, v55
	v_add_nc_u32_e32 v38, v38, v55
	;; [unrolled: 1-line block ×7, first 2 shown]
	s_waitcnt vmcnt(0)
	ds_store_b64 v34, v[1:2]
	ds_store_b64 v39, v[3:4] offset:4096
	ds_store_b64 v38, v[5:6] offset:8192
	;; [unrolled: 1-line block ×7, first 2 shown]
	s_waitcnt lgkmcnt(0)
	s_barrier
.LBB853_44:
	buffer_gl0_inv
	ds_load_2addr_b64 v[13:16], v41 offset1:1
	ds_load_2addr_b64 v[9:12], v41 offset0:2 offset1:3
	ds_load_2addr_b64 v[5:8], v41 offset0:4 offset1:5
	;; [unrolled: 1-line block ×3, first 2 shown]
	s_cmp_lg_u32 s30, 0
	v_cmp_gt_i64_e64 s13, s[14:15], 0
	s_cselect_b32 s12, -1, 0
	s_cmp_lg_u64 s[6:7], 0
	s_mov_b32 s1, 0
	s_cselect_b32 s0, -1, 0
	s_waitcnt lgkmcnt(0)
	s_or_b32 s0, s0, s12
	s_barrier
	s_and_b32 vcc_lo, exec_lo, s0
	buffer_gl0_inv
	s_cbranch_vccz .LBB853_53
; %bb.45:
	v_mov_b32_e32 v33, 0
	v_cndmask_b32_e64 v43, 0, 1, s13
	s_and_b32 vcc_lo, exec_lo, s29
	ds_store_b64 v55, v[19:20]
	global_load_b64 v[33:34], v33, s[4:5] offset:-8
	v_cmp_ne_u32_e64 s0, 1, v43
	s_cbranch_vccz .LBB853_54
; %bb.46:
	v_mul_lo_u32 v37, v18, s14
	v_mul_lo_u32 v38, v17, s15
	v_mad_u64_u32 v[35:36], null, v17, s14, 0
	s_and_b32 vcc_lo, exec_lo, s0
	s_mov_b32 s24, 0
	s_delay_alu instid0(VALU_DEP_1) | instskip(NEXT) | instid1(VALU_DEP_1)
	v_add3_u32 v36, v36, v38, v37
	v_lshlrev_b64 v[35:36], 3, v[35:36]
	s_cbranch_vccnz .LBB853_57
; %bb.47:
	v_mul_lo_u32 v39, v20, s14
	v_mul_lo_u32 v40, v19, s15
	v_mad_u64_u32 v[37:38], null, v19, s14, 0
	s_mov_b32 s24, -1
	s_mov_b32 s25, exec_lo
	s_delay_alu instid0(VALU_DEP_1) | instskip(SKIP_2) | instid1(VALU_DEP_3)
	v_add3_u32 v38, v38, v40, v39
	v_add_co_u32 v39, vcc_lo, s20, v35
	v_add_co_ci_u32_e32 v40, vcc_lo, s21, v36, vcc_lo
	v_lshlrev_b64 v[37:38], 3, v[37:38]
	s_delay_alu instid0(VALU_DEP_1) | instskip(NEXT) | instid1(VALU_DEP_2)
	v_add_co_u32 v37, vcc_lo, s20, v37
	v_add_co_ci_u32_e32 v38, vcc_lo, s21, v38, vcc_lo
	s_clause 0x1
	global_load_b64 v[41:42], v[39:40], off
	global_load_b64 v[44:45], v[37:38], off
	s_waitcnt vmcnt(0)
	v_cmpx_eq_f64_e32 v[41:42], v[44:45]
	s_cbranch_execz .LBB853_56
; %bb.48:
	v_add_co_u32 v37, vcc_lo, v37, 8
	v_add_co_ci_u32_e32 v38, vcc_lo, 0, v38, vcc_lo
	v_add_co_u32 v39, vcc_lo, v39, 8
	v_add_co_ci_u32_e32 v40, vcc_lo, 0, v40, vcc_lo
	s_add_u32 s4, s14, -1
	s_addc_u32 s5, s15, -1
	s_mov_b64 s[6:7], 0
	s_mov_b32 s24, 0
                                        ; implicit-def: $sgpr26
	s_set_inst_prefetch_distance 0x1
	s_branch .LBB853_51
	.p2align	6
.LBB853_49:                             ;   in Loop: Header=BB853_51 Depth=1
	global_load_b64 v[41:42], v[39:40], off
	global_load_b64 v[44:45], v[37:38], off
	v_add_co_u32 v37, s0, v37, 8
	s_delay_alu instid0(VALU_DEP_1) | instskip(SKIP_1) | instid1(VALU_DEP_1)
	v_add_co_ci_u32_e64 v38, s0, 0, v38, s0
	v_add_co_u32 v39, s0, v39, 8
	v_add_co_ci_u32_e64 v40, s0, 0, v40, s0
	s_add_u32 s6, s6, 1
	s_addc_u32 s7, s7, 0
	s_and_not1_b32 s0, s26, exec_lo
	s_waitcnt vmcnt(0)
	v_cmp_neq_f64_e32 vcc_lo, v[41:42], v[44:45]
	s_and_b32 s26, vcc_lo, exec_lo
	s_delay_alu instid0(SALU_CYCLE_1)
	s_or_b32 s26, s0, s26
.LBB853_50:                             ;   in Loop: Header=BB853_51 Depth=1
	v_dual_mov_b32 v42, s7 :: v_dual_mov_b32 v41, s6
	s_and_b32 s0, exec_lo, s26
	s_delay_alu instid0(SALU_CYCLE_1) | instskip(NEXT) | instid1(SALU_CYCLE_1)
	s_or_b32 s24, s0, s24
	s_and_not1_b32 exec_lo, exec_lo, s24
	s_cbranch_execz .LBB853_55
.LBB853_51:                             ; =>This Inner Loop Header: Depth=1
	s_or_b32 s26, s26, exec_lo
	s_cmp_eq_u64 s[4:5], s[6:7]
	s_cbranch_scc0 .LBB853_49
; %bb.52:                               ;   in Loop: Header=BB853_51 Depth=1
	s_mov_b64 s[6:7], s[14:15]
                                        ; implicit-def: $vgpr37_vgpr38
                                        ; implicit-def: $vgpr39_vgpr40
	s_branch .LBB853_50
.LBB853_53:
                                        ; implicit-def: $sgpr0
                                        ; implicit-def: $vgpr36
	s_branch .LBB853_215
.LBB853_54:
                                        ; implicit-def: $sgpr0
                                        ; implicit-def: $vgpr36
	s_cbranch_execnz .LBB853_123
	s_branch .LBB853_214
.LBB853_55:
	s_set_inst_prefetch_distance 0x2
	s_or_b32 exec_lo, exec_lo, s24
	v_cmp_gt_i64_e32 vcc_lo, s[14:15], v[41:42]
	s_or_not1_b32 s24, vcc_lo, exec_lo
.LBB853_56:
	s_or_b32 exec_lo, exec_lo, s25
.LBB853_57:
	v_mul_lo_u32 v39, v24, s14
	v_mul_lo_u32 v40, v23, s15
	v_mad_u64_u32 v[37:38], null, v23, s14, 0
	s_and_not1_b32 vcc_lo, exec_lo, s13
	s_delay_alu instid0(VALU_DEP_1) | instskip(NEXT) | instid1(VALU_DEP_1)
	v_add3_u32 v38, v38, v40, v39
	v_lshlrev_b64 v[37:38], 3, v[37:38]
	s_cbranch_vccnz .LBB853_66
; %bb.58:
	s_delay_alu instid0(VALU_DEP_1) | instskip(NEXT) | instid1(VALU_DEP_2)
	v_add_co_u32 v39, vcc_lo, s20, v37
	v_add_co_ci_u32_e32 v40, vcc_lo, s21, v38, vcc_lo
	v_add_co_u32 v35, vcc_lo, s20, v35
	v_add_co_ci_u32_e32 v36, vcc_lo, s21, v36, vcc_lo
	s_mov_b32 s1, -1
	s_clause 0x1
	global_load_b64 v[41:42], v[39:40], off
	global_load_b64 v[44:45], v[35:36], off
	s_mov_b32 s25, exec_lo
	s_waitcnt vmcnt(0)
	v_cmpx_eq_f64_e32 v[41:42], v[44:45]
	s_cbranch_execz .LBB853_65
; %bb.59:
	v_add_co_u32 v35, vcc_lo, v35, 8
	v_add_co_ci_u32_e32 v36, vcc_lo, 0, v36, vcc_lo
	v_add_co_u32 v39, vcc_lo, v39, 8
	v_add_co_ci_u32_e32 v40, vcc_lo, 0, v40, vcc_lo
	s_add_u32 s4, s14, -1
	s_addc_u32 s5, s15, -1
	s_mov_b64 s[6:7], 0
	s_mov_b32 s1, 0
                                        ; implicit-def: $sgpr26
	s_set_inst_prefetch_distance 0x1
	s_branch .LBB853_62
	.p2align	6
.LBB853_60:                             ;   in Loop: Header=BB853_62 Depth=1
	global_load_b64 v[41:42], v[39:40], off
	global_load_b64 v[44:45], v[35:36], off
	v_add_co_u32 v35, s0, v35, 8
	s_delay_alu instid0(VALU_DEP_1) | instskip(SKIP_1) | instid1(VALU_DEP_1)
	v_add_co_ci_u32_e64 v36, s0, 0, v36, s0
	v_add_co_u32 v39, s0, v39, 8
	v_add_co_ci_u32_e64 v40, s0, 0, v40, s0
	s_add_u32 s6, s6, 1
	s_addc_u32 s7, s7, 0
	s_and_not1_b32 s0, s26, exec_lo
	s_waitcnt vmcnt(0)
	v_cmp_neq_f64_e32 vcc_lo, v[41:42], v[44:45]
	s_and_b32 s26, vcc_lo, exec_lo
	s_delay_alu instid0(SALU_CYCLE_1)
	s_or_b32 s26, s0, s26
.LBB853_61:                             ;   in Loop: Header=BB853_62 Depth=1
	v_dual_mov_b32 v42, s7 :: v_dual_mov_b32 v41, s6
	s_and_b32 s0, exec_lo, s26
	s_delay_alu instid0(SALU_CYCLE_1) | instskip(NEXT) | instid1(SALU_CYCLE_1)
	s_or_b32 s1, s0, s1
	s_and_not1_b32 exec_lo, exec_lo, s1
	s_cbranch_execz .LBB853_64
.LBB853_62:                             ; =>This Inner Loop Header: Depth=1
	s_or_b32 s26, s26, exec_lo
	s_cmp_eq_u64 s[4:5], s[6:7]
	s_cbranch_scc0 .LBB853_60
; %bb.63:                               ;   in Loop: Header=BB853_62 Depth=1
	s_mov_b64 s[6:7], s[14:15]
                                        ; implicit-def: $vgpr35_vgpr36
                                        ; implicit-def: $vgpr39_vgpr40
	s_branch .LBB853_61
.LBB853_64:
	s_set_inst_prefetch_distance 0x2
	s_or_b32 exec_lo, exec_lo, s1
	v_cmp_gt_i64_e32 vcc_lo, s[14:15], v[41:42]
	s_or_not1_b32 s1, vcc_lo, exec_lo
.LBB853_65:
	s_or_b32 exec_lo, exec_lo, s25
.LBB853_66:
	v_mul_lo_u32 v39, v22, s14
	v_mul_lo_u32 v40, v21, s15
	v_mad_u64_u32 v[35:36], null, v21, s14, 0
	s_mov_b32 s25, 0
	s_and_not1_b32 vcc_lo, exec_lo, s13
	s_mov_b32 s26, 0
	s_delay_alu instid0(VALU_DEP_1) | instskip(NEXT) | instid1(VALU_DEP_1)
	v_add3_u32 v36, v36, v40, v39
	v_lshlrev_b64 v[39:40], 3, v[35:36]
	s_cbranch_vccnz .LBB853_75
; %bb.67:
	s_delay_alu instid0(VALU_DEP_1) | instskip(NEXT) | instid1(VALU_DEP_2)
	v_add_co_u32 v41, vcc_lo, s20, v39
	v_add_co_ci_u32_e32 v42, vcc_lo, s21, v40, vcc_lo
	v_add_co_u32 v35, vcc_lo, s20, v37
	v_add_co_ci_u32_e32 v36, vcc_lo, s21, v38, vcc_lo
	s_mov_b32 s26, -1
	s_clause 0x1
	global_load_b64 v[37:38], v[41:42], off
	global_load_b64 v[44:45], v[35:36], off
	s_mov_b32 s27, exec_lo
	s_waitcnt vmcnt(0)
	v_cmpx_eq_f64_e32 v[37:38], v[44:45]
	s_cbranch_execz .LBB853_74
; %bb.68:
	v_add_co_u32 v35, vcc_lo, v35, 8
	v_add_co_ci_u32_e32 v36, vcc_lo, 0, v36, vcc_lo
	v_add_co_u32 v37, vcc_lo, v41, 8
	v_add_co_ci_u32_e32 v38, vcc_lo, 0, v42, vcc_lo
	s_add_u32 s4, s14, -1
	s_addc_u32 s5, s15, -1
	s_mov_b64 s[6:7], 0
	s_mov_b32 s26, 0
                                        ; implicit-def: $sgpr34
	s_set_inst_prefetch_distance 0x1
	s_branch .LBB853_71
	.p2align	6
.LBB853_69:                             ;   in Loop: Header=BB853_71 Depth=1
	global_load_b64 v[41:42], v[37:38], off
	global_load_b64 v[44:45], v[35:36], off
	v_add_co_u32 v35, s0, v35, 8
	s_delay_alu instid0(VALU_DEP_1) | instskip(SKIP_1) | instid1(VALU_DEP_1)
	v_add_co_ci_u32_e64 v36, s0, 0, v36, s0
	v_add_co_u32 v37, s0, v37, 8
	v_add_co_ci_u32_e64 v38, s0, 0, v38, s0
	s_add_u32 s6, s6, 1
	s_addc_u32 s7, s7, 0
	s_and_not1_b32 s0, s34, exec_lo
	s_waitcnt vmcnt(0)
	v_cmp_neq_f64_e32 vcc_lo, v[41:42], v[44:45]
	s_and_b32 s34, vcc_lo, exec_lo
	s_delay_alu instid0(SALU_CYCLE_1)
	s_or_b32 s34, s0, s34
.LBB853_70:                             ;   in Loop: Header=BB853_71 Depth=1
	v_dual_mov_b32 v42, s7 :: v_dual_mov_b32 v41, s6
	s_and_b32 s0, exec_lo, s34
	s_delay_alu instid0(SALU_CYCLE_1) | instskip(NEXT) | instid1(SALU_CYCLE_1)
	s_or_b32 s26, s0, s26
	s_and_not1_b32 exec_lo, exec_lo, s26
	s_cbranch_execz .LBB853_73
.LBB853_71:                             ; =>This Inner Loop Header: Depth=1
	s_or_b32 s34, s34, exec_lo
	s_cmp_eq_u64 s[4:5], s[6:7]
	s_cbranch_scc0 .LBB853_69
; %bb.72:                               ;   in Loop: Header=BB853_71 Depth=1
	s_mov_b64 s[6:7], s[14:15]
                                        ; implicit-def: $vgpr35_vgpr36
                                        ; implicit-def: $vgpr37_vgpr38
	s_branch .LBB853_70
.LBB853_73:
	s_set_inst_prefetch_distance 0x2
	s_or_b32 exec_lo, exec_lo, s26
	v_cmp_gt_i64_e32 vcc_lo, s[14:15], v[41:42]
	s_or_not1_b32 s26, vcc_lo, exec_lo
.LBB853_74:
	s_or_b32 exec_lo, exec_lo, s27
.LBB853_75:
	v_mul_lo_u32 v37, v28, s14
	v_mul_lo_u32 v38, v27, s15
	v_mad_u64_u32 v[35:36], null, v27, s14, 0
	s_and_not1_b32 vcc_lo, exec_lo, s13
	s_delay_alu instid0(VALU_DEP_1) | instskip(NEXT) | instid1(VALU_DEP_1)
	v_add3_u32 v36, v36, v38, v37
	v_lshlrev_b64 v[35:36], 3, v[35:36]
	s_cbranch_vccnz .LBB853_84
; %bb.76:
	s_delay_alu instid0(VALU_DEP_1) | instskip(NEXT) | instid1(VALU_DEP_2)
	v_add_co_u32 v41, vcc_lo, s20, v35
	v_add_co_ci_u32_e32 v42, vcc_lo, s21, v36, vcc_lo
	v_add_co_u32 v37, vcc_lo, s20, v39
	v_add_co_ci_u32_e32 v38, vcc_lo, s21, v40, vcc_lo
	s_mov_b32 s25, -1
	s_clause 0x1
	global_load_b64 v[39:40], v[41:42], off
	global_load_b64 v[44:45], v[37:38], off
	s_mov_b32 s27, exec_lo
	s_waitcnt vmcnt(0)
	v_cmpx_eq_f64_e32 v[39:40], v[44:45]
	s_cbranch_execz .LBB853_83
; %bb.77:
	v_add_co_u32 v37, vcc_lo, v37, 8
	v_add_co_ci_u32_e32 v38, vcc_lo, 0, v38, vcc_lo
	v_add_co_u32 v39, vcc_lo, v41, 8
	v_add_co_ci_u32_e32 v40, vcc_lo, 0, v42, vcc_lo
	s_add_u32 s4, s14, -1
	s_addc_u32 s5, s15, -1
	s_mov_b64 s[6:7], 0
	s_mov_b32 s25, 0
                                        ; implicit-def: $sgpr34
	s_set_inst_prefetch_distance 0x1
	s_branch .LBB853_80
	.p2align	6
.LBB853_78:                             ;   in Loop: Header=BB853_80 Depth=1
	global_load_b64 v[41:42], v[39:40], off
	global_load_b64 v[44:45], v[37:38], off
	v_add_co_u32 v37, s0, v37, 8
	s_delay_alu instid0(VALU_DEP_1) | instskip(SKIP_1) | instid1(VALU_DEP_1)
	v_add_co_ci_u32_e64 v38, s0, 0, v38, s0
	v_add_co_u32 v39, s0, v39, 8
	v_add_co_ci_u32_e64 v40, s0, 0, v40, s0
	s_add_u32 s6, s6, 1
	s_addc_u32 s7, s7, 0
	s_and_not1_b32 s0, s34, exec_lo
	s_waitcnt vmcnt(0)
	v_cmp_neq_f64_e32 vcc_lo, v[41:42], v[44:45]
	s_and_b32 s34, vcc_lo, exec_lo
	s_delay_alu instid0(SALU_CYCLE_1)
	s_or_b32 s34, s0, s34
.LBB853_79:                             ;   in Loop: Header=BB853_80 Depth=1
	v_dual_mov_b32 v42, s7 :: v_dual_mov_b32 v41, s6
	s_and_b32 s0, exec_lo, s34
	s_delay_alu instid0(SALU_CYCLE_1) | instskip(NEXT) | instid1(SALU_CYCLE_1)
	s_or_b32 s25, s0, s25
	s_and_not1_b32 exec_lo, exec_lo, s25
	s_cbranch_execz .LBB853_82
.LBB853_80:                             ; =>This Inner Loop Header: Depth=1
	s_or_b32 s34, s34, exec_lo
	s_cmp_eq_u64 s[4:5], s[6:7]
	s_cbranch_scc0 .LBB853_78
; %bb.81:                               ;   in Loop: Header=BB853_80 Depth=1
	s_mov_b64 s[6:7], s[14:15]
                                        ; implicit-def: $vgpr37_vgpr38
                                        ; implicit-def: $vgpr39_vgpr40
	s_branch .LBB853_79
.LBB853_82:
	s_set_inst_prefetch_distance 0x2
	s_or_b32 exec_lo, exec_lo, s25
	v_cmp_gt_i64_e32 vcc_lo, s[14:15], v[41:42]
	s_or_not1_b32 s25, vcc_lo, exec_lo
.LBB853_83:
	s_or_b32 exec_lo, exec_lo, s27
.LBB853_84:
	v_mul_lo_u32 v39, v26, s14
	v_mul_lo_u32 v40, v25, s15
	v_mad_u64_u32 v[37:38], null, v25, s14, 0
	s_mov_b32 s27, 0
	s_and_not1_b32 vcc_lo, exec_lo, s13
	s_mov_b32 s34, 0
	s_delay_alu instid0(VALU_DEP_1) | instskip(NEXT) | instid1(VALU_DEP_1)
	v_add3_u32 v38, v38, v40, v39
	v_lshlrev_b64 v[39:40], 3, v[37:38]
	s_cbranch_vccnz .LBB853_93
; %bb.85:
	s_delay_alu instid0(VALU_DEP_1) | instskip(NEXT) | instid1(VALU_DEP_2)
	v_add_co_u32 v37, vcc_lo, s20, v39
	v_add_co_ci_u32_e32 v38, vcc_lo, s21, v40, vcc_lo
	v_add_co_u32 v35, vcc_lo, s20, v35
	v_add_co_ci_u32_e32 v36, vcc_lo, s21, v36, vcc_lo
	s_mov_b32 s34, -1
	s_clause 0x1
	global_load_b64 v[41:42], v[37:38], off
	global_load_b64 v[44:45], v[35:36], off
	s_mov_b32 s35, exec_lo
	s_waitcnt vmcnt(0)
	v_cmpx_eq_f64_e32 v[41:42], v[44:45]
	s_cbranch_execz .LBB853_92
; %bb.86:
	v_add_co_u32 v35, vcc_lo, v35, 8
	v_add_co_ci_u32_e32 v36, vcc_lo, 0, v36, vcc_lo
	v_add_co_u32 v37, vcc_lo, v37, 8
	v_add_co_ci_u32_e32 v38, vcc_lo, 0, v38, vcc_lo
	s_add_u32 s4, s14, -1
	s_addc_u32 s5, s15, -1
	s_mov_b64 s[6:7], 0
	s_mov_b32 s34, 0
                                        ; implicit-def: $sgpr36
	s_set_inst_prefetch_distance 0x1
	s_branch .LBB853_89
	.p2align	6
.LBB853_87:                             ;   in Loop: Header=BB853_89 Depth=1
	global_load_b64 v[41:42], v[37:38], off
	global_load_b64 v[44:45], v[35:36], off
	v_add_co_u32 v35, s0, v35, 8
	s_delay_alu instid0(VALU_DEP_1) | instskip(SKIP_1) | instid1(VALU_DEP_1)
	v_add_co_ci_u32_e64 v36, s0, 0, v36, s0
	v_add_co_u32 v37, s0, v37, 8
	v_add_co_ci_u32_e64 v38, s0, 0, v38, s0
	s_add_u32 s6, s6, 1
	s_addc_u32 s7, s7, 0
	s_and_not1_b32 s0, s36, exec_lo
	s_waitcnt vmcnt(0)
	v_cmp_neq_f64_e32 vcc_lo, v[41:42], v[44:45]
	s_and_b32 s36, vcc_lo, exec_lo
	s_delay_alu instid0(SALU_CYCLE_1)
	s_or_b32 s36, s0, s36
.LBB853_88:                             ;   in Loop: Header=BB853_89 Depth=1
	v_dual_mov_b32 v42, s7 :: v_dual_mov_b32 v41, s6
	s_and_b32 s0, exec_lo, s36
	s_delay_alu instid0(SALU_CYCLE_1) | instskip(NEXT) | instid1(SALU_CYCLE_1)
	s_or_b32 s34, s0, s34
	s_and_not1_b32 exec_lo, exec_lo, s34
	s_cbranch_execz .LBB853_91
.LBB853_89:                             ; =>This Inner Loop Header: Depth=1
	s_or_b32 s36, s36, exec_lo
	s_cmp_eq_u64 s[4:5], s[6:7]
	s_cbranch_scc0 .LBB853_87
; %bb.90:                               ;   in Loop: Header=BB853_89 Depth=1
	s_mov_b64 s[6:7], s[14:15]
                                        ; implicit-def: $vgpr35_vgpr36
                                        ; implicit-def: $vgpr37_vgpr38
	s_branch .LBB853_88
.LBB853_91:
	s_set_inst_prefetch_distance 0x2
	s_or_b32 exec_lo, exec_lo, s34
	v_cmp_gt_i64_e32 vcc_lo, s[14:15], v[41:42]
	s_or_not1_b32 s34, vcc_lo, exec_lo
.LBB853_92:
	s_or_b32 exec_lo, exec_lo, s35
.LBB853_93:
	v_mul_lo_u32 v37, v32, s14
	v_mul_lo_u32 v38, v31, s15
	v_mad_u64_u32 v[35:36], null, v31, s14, 0
	s_and_not1_b32 vcc_lo, exec_lo, s13
	s_delay_alu instid0(VALU_DEP_1) | instskip(NEXT) | instid1(VALU_DEP_1)
	v_add3_u32 v36, v36, v38, v37
	v_lshlrev_b64 v[37:38], 3, v[35:36]
	s_cbranch_vccnz .LBB853_102
; %bb.94:
	s_delay_alu instid0(VALU_DEP_1) | instskip(NEXT) | instid1(VALU_DEP_2)
	v_add_co_u32 v41, vcc_lo, s20, v37
	v_add_co_ci_u32_e32 v42, vcc_lo, s21, v38, vcc_lo
	v_add_co_u32 v35, vcc_lo, s20, v39
	v_add_co_ci_u32_e32 v36, vcc_lo, s21, v40, vcc_lo
	s_mov_b32 s27, -1
	s_clause 0x1
	global_load_b64 v[39:40], v[41:42], off
	global_load_b64 v[44:45], v[35:36], off
	s_mov_b32 s35, exec_lo
	s_waitcnt vmcnt(0)
	v_cmpx_eq_f64_e32 v[39:40], v[44:45]
	s_cbranch_execz .LBB853_101
; %bb.95:
	v_add_co_u32 v35, vcc_lo, v35, 8
	v_add_co_ci_u32_e32 v36, vcc_lo, 0, v36, vcc_lo
	v_add_co_u32 v39, vcc_lo, v41, 8
	v_add_co_ci_u32_e32 v40, vcc_lo, 0, v42, vcc_lo
	s_add_u32 s4, s14, -1
	s_addc_u32 s5, s15, -1
	s_mov_b64 s[6:7], 0
	s_mov_b32 s27, 0
                                        ; implicit-def: $sgpr36
	s_set_inst_prefetch_distance 0x1
	s_branch .LBB853_98
	.p2align	6
.LBB853_96:                             ;   in Loop: Header=BB853_98 Depth=1
	global_load_b64 v[41:42], v[39:40], off
	global_load_b64 v[44:45], v[35:36], off
	v_add_co_u32 v35, s0, v35, 8
	s_delay_alu instid0(VALU_DEP_1) | instskip(SKIP_1) | instid1(VALU_DEP_1)
	v_add_co_ci_u32_e64 v36, s0, 0, v36, s0
	v_add_co_u32 v39, s0, v39, 8
	v_add_co_ci_u32_e64 v40, s0, 0, v40, s0
	s_add_u32 s6, s6, 1
	s_addc_u32 s7, s7, 0
	s_and_not1_b32 s0, s36, exec_lo
	s_waitcnt vmcnt(0)
	v_cmp_neq_f64_e32 vcc_lo, v[41:42], v[44:45]
	s_and_b32 s36, vcc_lo, exec_lo
	s_delay_alu instid0(SALU_CYCLE_1)
	s_or_b32 s36, s0, s36
.LBB853_97:                             ;   in Loop: Header=BB853_98 Depth=1
	v_dual_mov_b32 v42, s7 :: v_dual_mov_b32 v41, s6
	s_and_b32 s0, exec_lo, s36
	s_delay_alu instid0(SALU_CYCLE_1) | instskip(NEXT) | instid1(SALU_CYCLE_1)
	s_or_b32 s27, s0, s27
	s_and_not1_b32 exec_lo, exec_lo, s27
	s_cbranch_execz .LBB853_100
.LBB853_98:                             ; =>This Inner Loop Header: Depth=1
	s_or_b32 s36, s36, exec_lo
	s_cmp_eq_u64 s[4:5], s[6:7]
	s_cbranch_scc0 .LBB853_96
; %bb.99:                               ;   in Loop: Header=BB853_98 Depth=1
	s_mov_b64 s[6:7], s[14:15]
                                        ; implicit-def: $vgpr35_vgpr36
                                        ; implicit-def: $vgpr39_vgpr40
	s_branch .LBB853_97
.LBB853_100:
	s_set_inst_prefetch_distance 0x2
	s_or_b32 exec_lo, exec_lo, s27
	v_cmp_gt_i64_e32 vcc_lo, s[14:15], v[41:42]
	s_or_not1_b32 s27, vcc_lo, exec_lo
.LBB853_101:
	s_or_b32 exec_lo, exec_lo, s35
.LBB853_102:
	v_mul_lo_u32 v39, v30, s14
	v_mul_lo_u32 v40, v29, s15
	v_mad_u64_u32 v[35:36], null, v29, s14, 0
	s_and_not1_b32 vcc_lo, exec_lo, s13
	s_mov_b32 s0, 0
	s_delay_alu instid0(VALU_DEP_1) | instskip(NEXT) | instid1(VALU_DEP_1)
	v_add3_u32 v36, v36, v40, v39
	v_lshlrev_b64 v[35:36], 3, v[35:36]
	s_cbranch_vccnz .LBB853_111
; %bb.103:
	s_delay_alu instid0(VALU_DEP_1) | instskip(NEXT) | instid1(VALU_DEP_2)
	v_add_co_u32 v39, vcc_lo, s20, v35
	v_add_co_ci_u32_e32 v40, vcc_lo, s21, v36, vcc_lo
	v_add_co_u32 v37, vcc_lo, s20, v37
	v_add_co_ci_u32_e32 v38, vcc_lo, s21, v38, vcc_lo
	s_mov_b32 s0, -1
	s_clause 0x1
	global_load_b64 v[41:42], v[39:40], off
	global_load_b64 v[44:45], v[37:38], off
	s_mov_b32 s35, exec_lo
	s_waitcnt vmcnt(0)
	v_cmpx_eq_f64_e32 v[41:42], v[44:45]
	s_cbranch_execz .LBB853_110
; %bb.104:
	v_add_co_u32 v37, vcc_lo, v37, 8
	v_add_co_ci_u32_e32 v38, vcc_lo, 0, v38, vcc_lo
	v_add_co_u32 v39, vcc_lo, v39, 8
	v_add_co_ci_u32_e32 v40, vcc_lo, 0, v40, vcc_lo
	s_add_u32 s4, s14, -1
	s_addc_u32 s5, s15, -1
	s_mov_b64 s[6:7], 0
	s_mov_b32 s36, 0
                                        ; implicit-def: $sgpr37
	s_set_inst_prefetch_distance 0x1
	s_branch .LBB853_107
	.p2align	6
.LBB853_105:                            ;   in Loop: Header=BB853_107 Depth=1
	global_load_b64 v[41:42], v[39:40], off
	global_load_b64 v[44:45], v[37:38], off
	v_add_co_u32 v37, s0, v37, 8
	s_delay_alu instid0(VALU_DEP_1) | instskip(SKIP_1) | instid1(VALU_DEP_1)
	v_add_co_ci_u32_e64 v38, s0, 0, v38, s0
	v_add_co_u32 v39, s0, v39, 8
	v_add_co_ci_u32_e64 v40, s0, 0, v40, s0
	s_add_u32 s6, s6, 1
	s_addc_u32 s7, s7, 0
	s_and_not1_b32 s0, s37, exec_lo
	s_waitcnt vmcnt(0)
	v_cmp_neq_f64_e32 vcc_lo, v[41:42], v[44:45]
	s_and_b32 s37, vcc_lo, exec_lo
	s_delay_alu instid0(SALU_CYCLE_1)
	s_or_b32 s37, s0, s37
.LBB853_106:                            ;   in Loop: Header=BB853_107 Depth=1
	v_dual_mov_b32 v42, s7 :: v_dual_mov_b32 v41, s6
	s_and_b32 s0, exec_lo, s37
	s_delay_alu instid0(SALU_CYCLE_1) | instskip(NEXT) | instid1(SALU_CYCLE_1)
	s_or_b32 s36, s0, s36
	s_and_not1_b32 exec_lo, exec_lo, s36
	s_cbranch_execz .LBB853_109
.LBB853_107:                            ; =>This Inner Loop Header: Depth=1
	s_or_b32 s37, s37, exec_lo
	s_cmp_eq_u64 s[4:5], s[6:7]
	s_cbranch_scc0 .LBB853_105
; %bb.108:                              ;   in Loop: Header=BB853_107 Depth=1
	s_mov_b64 s[6:7], s[14:15]
                                        ; implicit-def: $vgpr37_vgpr38
                                        ; implicit-def: $vgpr39_vgpr40
	s_branch .LBB853_106
.LBB853_109:
	s_set_inst_prefetch_distance 0x2
	s_or_b32 exec_lo, exec_lo, s36
	v_cmp_gt_i64_e32 vcc_lo, s[14:15], v[41:42]
	s_or_not1_b32 s0, vcc_lo, exec_lo
.LBB853_110:
	s_or_b32 exec_lo, exec_lo, s35
.LBB853_111:
	s_waitcnt vmcnt(0)
	v_dual_mov_b32 v38, v34 :: v_dual_mov_b32 v37, v33
	s_waitcnt lgkmcnt(0)
	s_barrier
	buffer_gl0_inv
	s_and_saveexec_b32 s4, s3
	s_cbranch_execz .LBB853_113
; %bb.112:
	v_add_nc_u32_e32 v37, -8, v55
	ds_load_b64 v[37:38], v37
.LBB853_113:
	s_or_b32 exec_lo, exec_lo, s4
	v_cndmask_b32_e64 v40, 0, 1, s34
	v_cndmask_b32_e64 v42, 0, 1, s26
	;; [unrolled: 1-line block ×7, first 2 shown]
	v_lshlrev_b16 v40, 8, v40
	v_lshlrev_b16 v42, 8, v42
	;; [unrolled: 1-line block ×4, first 2 shown]
	s_mov_b32 s1, 0
	v_or_b32_e32 v39, v39, v40
	v_or_b32_e32 v40, v41, v42
	;; [unrolled: 1-line block ×3, first 2 shown]
	v_and_b32_e32 v41, 0xffff, v45
	s_and_not1_b32 vcc_lo, exec_lo, s13
	v_lshlrev_b32_e32 v42, 16, v39
	v_and_b32_e32 v44, 0xffff, v40
	v_lshlrev_b32_e32 v45, 16, v46
	s_mov_b32 s0, 0
	s_cbranch_vccnz .LBB853_122
; %bb.114:
	s_waitcnt lgkmcnt(0)
	v_mul_lo_u32 v40, v38, s14
	v_mul_lo_u32 v46, v37, s15
	v_mad_u64_u32 v[38:39], null, v37, s14, 0
	s_mov_b32 s0, -1
	s_mov_b32 s24, exec_lo
	s_delay_alu instid0(VALU_DEP_1) | instskip(NEXT) | instid1(VALU_DEP_1)
	v_add3_u32 v39, v39, v46, v40
	v_lshlrev_b64 v[37:38], 3, v[38:39]
	s_delay_alu instid0(VALU_DEP_1) | instskip(NEXT) | instid1(VALU_DEP_2)
	v_add_co_u32 v37, vcc_lo, s20, v37
	v_add_co_ci_u32_e32 v38, vcc_lo, s21, v38, vcc_lo
	v_add_co_u32 v35, vcc_lo, s20, v35
	v_add_co_ci_u32_e32 v36, vcc_lo, s21, v36, vcc_lo
	s_clause 0x1
	global_load_b64 v[39:40], v[37:38], off
	global_load_b64 v[46:47], v[35:36], off
	s_waitcnt vmcnt(0)
	v_cmpx_eq_f64_e32 v[39:40], v[46:47]
	s_cbranch_execz .LBB853_121
; %bb.115:
	v_add_co_u32 v35, vcc_lo, v35, 8
	v_add_co_ci_u32_e32 v36, vcc_lo, 0, v36, vcc_lo
	v_add_co_u32 v37, vcc_lo, v37, 8
	v_add_co_ci_u32_e32 v38, vcc_lo, 0, v38, vcc_lo
	s_add_u32 s4, s14, -1
	s_addc_u32 s5, s15, -1
	s_mov_b64 s[6:7], 0
	s_mov_b32 s25, 0
                                        ; implicit-def: $sgpr26
	s_set_inst_prefetch_distance 0x1
	s_branch .LBB853_118
	.p2align	6
.LBB853_116:                            ;   in Loop: Header=BB853_118 Depth=1
	global_load_b64 v[39:40], v[37:38], off
	global_load_b64 v[46:47], v[35:36], off
	v_add_co_u32 v35, s0, v35, 8
	s_delay_alu instid0(VALU_DEP_1) | instskip(SKIP_1) | instid1(VALU_DEP_1)
	v_add_co_ci_u32_e64 v36, s0, 0, v36, s0
	v_add_co_u32 v37, s0, v37, 8
	v_add_co_ci_u32_e64 v38, s0, 0, v38, s0
	s_add_u32 s6, s6, 1
	s_addc_u32 s7, s7, 0
	s_and_not1_b32 s0, s26, exec_lo
	s_waitcnt vmcnt(0)
	v_cmp_neq_f64_e32 vcc_lo, v[39:40], v[46:47]
	s_and_b32 s26, vcc_lo, exec_lo
	s_delay_alu instid0(SALU_CYCLE_1)
	s_or_b32 s26, s0, s26
.LBB853_117:                            ;   in Loop: Header=BB853_118 Depth=1
	v_dual_mov_b32 v40, s7 :: v_dual_mov_b32 v39, s6
	s_and_b32 s0, exec_lo, s26
	s_delay_alu instid0(SALU_CYCLE_1) | instskip(NEXT) | instid1(SALU_CYCLE_1)
	s_or_b32 s25, s0, s25
	s_and_not1_b32 exec_lo, exec_lo, s25
	s_cbranch_execz .LBB853_120
.LBB853_118:                            ; =>This Inner Loop Header: Depth=1
	s_or_b32 s26, s26, exec_lo
	s_cmp_eq_u64 s[4:5], s[6:7]
	s_cbranch_scc0 .LBB853_116
; %bb.119:                              ;   in Loop: Header=BB853_118 Depth=1
	s_mov_b64 s[6:7], s[14:15]
                                        ; implicit-def: $vgpr35_vgpr36
                                        ; implicit-def: $vgpr37_vgpr38
	s_branch .LBB853_117
.LBB853_120:
	s_set_inst_prefetch_distance 0x2
	s_or_b32 exec_lo, exec_lo, s25
	v_cmp_gt_i64_e32 vcc_lo, s[14:15], v[39:40]
	s_or_not1_b32 s0, vcc_lo, exec_lo
.LBB853_121:
	s_or_b32 exec_lo, exec_lo, s24
.LBB853_122:
	v_or_b32_e32 v35, v41, v42
	s_delay_alu instid0(VALU_DEP_2)
	v_or_b32_e32 v36, v44, v45
	s_and_b32 vcc_lo, exec_lo, s1
	s_cbranch_vccz .LBB853_214
.LBB853_123:
	v_or_b32_e32 v35, 7, v55
	s_mov_b32 s1, 0
	s_mov_b32 s24, 0
	s_mov_b32 s25, exec_lo
	s_delay_alu instid0(VALU_DEP_1)
	v_cmpx_gt_u32_e64 s31, v35
	s_cbranch_execz .LBB853_134
; %bb.124:
	s_and_not1_b32 vcc_lo, exec_lo, s13
	s_mov_b32 s0, 0
	s_cbranch_vccnz .LBB853_133
; %bb.125:
	v_mul_lo_u32 v39, v18, s14
	v_mul_lo_u32 v40, v17, s15
	v_mad_u64_u32 v[35:36], null, v17, s14, 0
	v_mul_lo_u32 v41, v20, s14
	v_mul_lo_u32 v42, v19, s15
	s_waitcnt lgkmcnt(0)
	v_mad_u64_u32 v[37:38], null, v19, s14, 0
	s_mov_b32 s0, -1
	s_mov_b32 s13, exec_lo
	s_delay_alu instid0(VALU_DEP_4) | instskip(NEXT) | instid1(VALU_DEP_2)
	v_add3_u32 v36, v36, v40, v39
	v_add3_u32 v38, v38, v42, v41
	s_delay_alu instid0(VALU_DEP_2) | instskip(NEXT) | instid1(VALU_DEP_2)
	v_lshlrev_b64 v[35:36], 3, v[35:36]
	v_lshlrev_b64 v[39:40], 3, v[37:38]
	s_delay_alu instid0(VALU_DEP_2) | instskip(NEXT) | instid1(VALU_DEP_3)
	v_add_co_u32 v37, vcc_lo, s20, v35
	v_add_co_ci_u32_e32 v38, vcc_lo, s21, v36, vcc_lo
	s_delay_alu instid0(VALU_DEP_3) | instskip(NEXT) | instid1(VALU_DEP_4)
	v_add_co_u32 v35, vcc_lo, s20, v39
	v_add_co_ci_u32_e32 v36, vcc_lo, s21, v40, vcc_lo
	s_clause 0x1
	global_load_b64 v[39:40], v[37:38], off
	global_load_b64 v[41:42], v[35:36], off
	s_waitcnt vmcnt(0)
	v_cmpx_eq_f64_e32 v[39:40], v[41:42]
	s_cbranch_execz .LBB853_132
; %bb.126:
	v_add_co_u32 v35, vcc_lo, v35, 8
	v_add_co_ci_u32_e32 v36, vcc_lo, 0, v36, vcc_lo
	v_add_co_u32 v37, vcc_lo, v37, 8
	v_add_co_ci_u32_e32 v38, vcc_lo, 0, v38, vcc_lo
	s_add_u32 s4, s14, -1
	s_addc_u32 s5, s15, -1
	s_mov_b64 s[6:7], 0
                                        ; implicit-def: $sgpr26
	s_set_inst_prefetch_distance 0x1
	s_branch .LBB853_129
	.p2align	6
.LBB853_127:                            ;   in Loop: Header=BB853_129 Depth=1
	global_load_b64 v[39:40], v[37:38], off
	global_load_b64 v[41:42], v[35:36], off
	v_add_co_u32 v35, s0, v35, 8
	s_delay_alu instid0(VALU_DEP_1) | instskip(SKIP_1) | instid1(VALU_DEP_1)
	v_add_co_ci_u32_e64 v36, s0, 0, v36, s0
	v_add_co_u32 v37, s0, v37, 8
	v_add_co_ci_u32_e64 v38, s0, 0, v38, s0
	s_add_u32 s6, s6, 1
	s_addc_u32 s7, s7, 0
	s_and_not1_b32 s0, s26, exec_lo
	s_waitcnt vmcnt(0)
	v_cmp_neq_f64_e32 vcc_lo, v[39:40], v[41:42]
	s_and_b32 s26, vcc_lo, exec_lo
	s_delay_alu instid0(SALU_CYCLE_1)
	s_or_b32 s26, s0, s26
.LBB853_128:                            ;   in Loop: Header=BB853_129 Depth=1
	v_dual_mov_b32 v40, s7 :: v_dual_mov_b32 v39, s6
	s_and_b32 s0, exec_lo, s26
	s_delay_alu instid0(SALU_CYCLE_1) | instskip(NEXT) | instid1(SALU_CYCLE_1)
	s_or_b32 s24, s0, s24
	s_and_not1_b32 exec_lo, exec_lo, s24
	s_cbranch_execz .LBB853_131
.LBB853_129:                            ; =>This Inner Loop Header: Depth=1
	s_or_b32 s26, s26, exec_lo
	s_cmp_eq_u64 s[4:5], s[6:7]
	s_cbranch_scc0 .LBB853_127
; %bb.130:                              ;   in Loop: Header=BB853_129 Depth=1
	s_mov_b64 s[6:7], s[14:15]
                                        ; implicit-def: $vgpr35_vgpr36
                                        ; implicit-def: $vgpr37_vgpr38
	s_branch .LBB853_128
.LBB853_131:
	s_set_inst_prefetch_distance 0x2
	s_or_b32 exec_lo, exec_lo, s24
	v_cmp_gt_i64_e32 vcc_lo, s[14:15], v[39:40]
	s_or_not1_b32 s0, vcc_lo, exec_lo
.LBB853_132:
	s_or_b32 exec_lo, exec_lo, s13
.LBB853_133:
	s_delay_alu instid0(SALU_CYCLE_1)
	s_and_b32 s24, s0, exec_lo
.LBB853_134:
	s_or_b32 exec_lo, exec_lo, s25
	v_or_b32_e32 v35, 6, v55
	s_mov_b32 s13, exec_lo
	s_delay_alu instid0(VALU_DEP_1)
	v_cmpx_gt_u32_e64 s31, v35
	s_cbranch_execz .LBB853_145
; %bb.135:
	v_cmp_ne_u32_e32 vcc_lo, 1, v43
	s_mov_b32 s0, 0
	s_cbranch_vccnz .LBB853_144
; %bb.136:
	v_mul_lo_u32 v39, v24, s14
	v_mul_lo_u32 v40, v23, s15
	v_mad_u64_u32 v[35:36], null, v23, s14, 0
	v_mul_lo_u32 v41, v18, s14
	v_mul_lo_u32 v42, v17, s15
	s_waitcnt lgkmcnt(0)
	v_mad_u64_u32 v[37:38], null, v17, s14, 0
	s_mov_b32 s0, -1
	s_mov_b32 s1, exec_lo
	s_delay_alu instid0(VALU_DEP_4) | instskip(NEXT) | instid1(VALU_DEP_2)
	v_add3_u32 v36, v36, v40, v39
	v_add3_u32 v38, v38, v42, v41
	s_delay_alu instid0(VALU_DEP_2) | instskip(NEXT) | instid1(VALU_DEP_2)
	v_lshlrev_b64 v[35:36], 3, v[35:36]
	v_lshlrev_b64 v[39:40], 3, v[37:38]
	s_delay_alu instid0(VALU_DEP_2) | instskip(NEXT) | instid1(VALU_DEP_3)
	v_add_co_u32 v37, vcc_lo, s20, v35
	v_add_co_ci_u32_e32 v38, vcc_lo, s21, v36, vcc_lo
	s_delay_alu instid0(VALU_DEP_3) | instskip(NEXT) | instid1(VALU_DEP_4)
	v_add_co_u32 v35, vcc_lo, s20, v39
	v_add_co_ci_u32_e32 v36, vcc_lo, s21, v40, vcc_lo
	s_clause 0x1
	global_load_b64 v[39:40], v[37:38], off
	global_load_b64 v[41:42], v[35:36], off
	s_waitcnt vmcnt(0)
	v_cmpx_eq_f64_e32 v[39:40], v[41:42]
	s_cbranch_execz .LBB853_143
; %bb.137:
	v_add_co_u32 v35, vcc_lo, v35, 8
	v_add_co_ci_u32_e32 v36, vcc_lo, 0, v36, vcc_lo
	v_add_co_u32 v37, vcc_lo, v37, 8
	v_add_co_ci_u32_e32 v38, vcc_lo, 0, v38, vcc_lo
	s_add_u32 s4, s14, -1
	s_addc_u32 s5, s15, -1
	s_mov_b64 s[6:7], 0
	s_mov_b32 s25, 0
                                        ; implicit-def: $sgpr26
	s_set_inst_prefetch_distance 0x1
	s_branch .LBB853_140
	.p2align	6
.LBB853_138:                            ;   in Loop: Header=BB853_140 Depth=1
	global_load_b64 v[39:40], v[37:38], off
	global_load_b64 v[41:42], v[35:36], off
	v_add_co_u32 v35, s0, v35, 8
	s_delay_alu instid0(VALU_DEP_1) | instskip(SKIP_1) | instid1(VALU_DEP_1)
	v_add_co_ci_u32_e64 v36, s0, 0, v36, s0
	v_add_co_u32 v37, s0, v37, 8
	v_add_co_ci_u32_e64 v38, s0, 0, v38, s0
	s_add_u32 s6, s6, 1
	s_addc_u32 s7, s7, 0
	s_and_not1_b32 s0, s26, exec_lo
	s_waitcnt vmcnt(0)
	v_cmp_neq_f64_e32 vcc_lo, v[39:40], v[41:42]
	s_and_b32 s26, vcc_lo, exec_lo
	s_delay_alu instid0(SALU_CYCLE_1)
	s_or_b32 s26, s0, s26
.LBB853_139:                            ;   in Loop: Header=BB853_140 Depth=1
	v_dual_mov_b32 v40, s7 :: v_dual_mov_b32 v39, s6
	s_and_b32 s0, exec_lo, s26
	s_delay_alu instid0(SALU_CYCLE_1) | instskip(NEXT) | instid1(SALU_CYCLE_1)
	s_or_b32 s25, s0, s25
	s_and_not1_b32 exec_lo, exec_lo, s25
	s_cbranch_execz .LBB853_142
.LBB853_140:                            ; =>This Inner Loop Header: Depth=1
	s_or_b32 s26, s26, exec_lo
	s_cmp_eq_u64 s[4:5], s[6:7]
	s_cbranch_scc0 .LBB853_138
; %bb.141:                              ;   in Loop: Header=BB853_140 Depth=1
	s_mov_b64 s[6:7], s[14:15]
                                        ; implicit-def: $vgpr35_vgpr36
                                        ; implicit-def: $vgpr37_vgpr38
	s_branch .LBB853_139
.LBB853_142:
	s_set_inst_prefetch_distance 0x2
	s_or_b32 exec_lo, exec_lo, s25
	v_cmp_gt_i64_e32 vcc_lo, s[14:15], v[39:40]
	s_or_not1_b32 s0, vcc_lo, exec_lo
.LBB853_143:
	s_or_b32 exec_lo, exec_lo, s1
.LBB853_144:
	s_delay_alu instid0(SALU_CYCLE_1)
	s_and_b32 s1, s0, exec_lo
.LBB853_145:
	s_or_b32 exec_lo, exec_lo, s13
	v_or_b32_e32 v35, 5, v55
	s_mov_b32 s25, 0
	s_mov_b32 s13, 0
	s_mov_b32 s26, exec_lo
	s_delay_alu instid0(VALU_DEP_1)
	v_cmpx_gt_u32_e64 s31, v35
	s_cbranch_execz .LBB853_156
; %bb.146:
	v_cmp_ne_u32_e32 vcc_lo, 1, v43
	s_mov_b32 s0, 0
	s_cbranch_vccnz .LBB853_155
; %bb.147:
	v_mul_lo_u32 v39, v22, s14
	v_mul_lo_u32 v40, v21, s15
	v_mad_u64_u32 v[35:36], null, v21, s14, 0
	v_mul_lo_u32 v41, v24, s14
	v_mul_lo_u32 v42, v23, s15
	s_waitcnt lgkmcnt(0)
	v_mad_u64_u32 v[37:38], null, v23, s14, 0
	s_mov_b32 s0, -1
	s_mov_b32 s13, exec_lo
	s_delay_alu instid0(VALU_DEP_4) | instskip(NEXT) | instid1(VALU_DEP_2)
	v_add3_u32 v36, v36, v40, v39
	v_add3_u32 v38, v38, v42, v41
	s_delay_alu instid0(VALU_DEP_2) | instskip(NEXT) | instid1(VALU_DEP_2)
	v_lshlrev_b64 v[35:36], 3, v[35:36]
	v_lshlrev_b64 v[39:40], 3, v[37:38]
	s_delay_alu instid0(VALU_DEP_2) | instskip(NEXT) | instid1(VALU_DEP_3)
	v_add_co_u32 v37, vcc_lo, s20, v35
	v_add_co_ci_u32_e32 v38, vcc_lo, s21, v36, vcc_lo
	s_delay_alu instid0(VALU_DEP_3) | instskip(NEXT) | instid1(VALU_DEP_4)
	v_add_co_u32 v35, vcc_lo, s20, v39
	v_add_co_ci_u32_e32 v36, vcc_lo, s21, v40, vcc_lo
	s_clause 0x1
	global_load_b64 v[39:40], v[37:38], off
	global_load_b64 v[41:42], v[35:36], off
	s_waitcnt vmcnt(0)
	v_cmpx_eq_f64_e32 v[39:40], v[41:42]
	s_cbranch_execz .LBB853_154
; %bb.148:
	v_add_co_u32 v35, vcc_lo, v35, 8
	v_add_co_ci_u32_e32 v36, vcc_lo, 0, v36, vcc_lo
	v_add_co_u32 v37, vcc_lo, v37, 8
	v_add_co_ci_u32_e32 v38, vcc_lo, 0, v38, vcc_lo
	s_add_u32 s4, s14, -1
	s_addc_u32 s5, s15, -1
	s_mov_b64 s[6:7], 0
	s_mov_b32 s27, 0
                                        ; implicit-def: $sgpr34
	s_set_inst_prefetch_distance 0x1
	s_branch .LBB853_151
	.p2align	6
.LBB853_149:                            ;   in Loop: Header=BB853_151 Depth=1
	global_load_b64 v[39:40], v[37:38], off
	global_load_b64 v[41:42], v[35:36], off
	v_add_co_u32 v35, s0, v35, 8
	s_delay_alu instid0(VALU_DEP_1) | instskip(SKIP_1) | instid1(VALU_DEP_1)
	v_add_co_ci_u32_e64 v36, s0, 0, v36, s0
	v_add_co_u32 v37, s0, v37, 8
	v_add_co_ci_u32_e64 v38, s0, 0, v38, s0
	s_add_u32 s6, s6, 1
	s_addc_u32 s7, s7, 0
	s_and_not1_b32 s0, s34, exec_lo
	s_waitcnt vmcnt(0)
	v_cmp_neq_f64_e32 vcc_lo, v[39:40], v[41:42]
	s_and_b32 s34, vcc_lo, exec_lo
	s_delay_alu instid0(SALU_CYCLE_1)
	s_or_b32 s34, s0, s34
.LBB853_150:                            ;   in Loop: Header=BB853_151 Depth=1
	v_dual_mov_b32 v40, s7 :: v_dual_mov_b32 v39, s6
	s_and_b32 s0, exec_lo, s34
	s_delay_alu instid0(SALU_CYCLE_1) | instskip(NEXT) | instid1(SALU_CYCLE_1)
	s_or_b32 s27, s0, s27
	s_and_not1_b32 exec_lo, exec_lo, s27
	s_cbranch_execz .LBB853_153
.LBB853_151:                            ; =>This Inner Loop Header: Depth=1
	s_or_b32 s34, s34, exec_lo
	s_cmp_eq_u64 s[4:5], s[6:7]
	s_cbranch_scc0 .LBB853_149
; %bb.152:                              ;   in Loop: Header=BB853_151 Depth=1
	s_mov_b64 s[6:7], s[14:15]
                                        ; implicit-def: $vgpr35_vgpr36
                                        ; implicit-def: $vgpr37_vgpr38
	s_branch .LBB853_150
.LBB853_153:
	s_set_inst_prefetch_distance 0x2
	s_or_b32 exec_lo, exec_lo, s27
	v_cmp_gt_i64_e32 vcc_lo, s[14:15], v[39:40]
	s_or_not1_b32 s0, vcc_lo, exec_lo
.LBB853_154:
	s_or_b32 exec_lo, exec_lo, s13
.LBB853_155:
	s_delay_alu instid0(SALU_CYCLE_1)
	s_and_b32 s13, s0, exec_lo
.LBB853_156:
	s_or_b32 exec_lo, exec_lo, s26
	v_or_b32_e32 v35, 4, v55
	s_mov_b32 s26, exec_lo
	s_delay_alu instid0(VALU_DEP_1)
	v_cmpx_gt_u32_e64 s31, v35
	s_cbranch_execz .LBB853_167
; %bb.157:
	v_cmp_ne_u32_e32 vcc_lo, 1, v43
	s_mov_b32 s0, 0
	s_cbranch_vccnz .LBB853_166
; %bb.158:
	v_mul_lo_u32 v39, v28, s14
	v_mul_lo_u32 v40, v27, s15
	v_mad_u64_u32 v[35:36], null, v27, s14, 0
	v_mul_lo_u32 v41, v22, s14
	v_mul_lo_u32 v42, v21, s15
	s_waitcnt lgkmcnt(0)
	v_mad_u64_u32 v[37:38], null, v21, s14, 0
	s_mov_b32 s0, -1
	s_mov_b32 s25, exec_lo
	s_delay_alu instid0(VALU_DEP_4) | instskip(NEXT) | instid1(VALU_DEP_2)
	v_add3_u32 v36, v36, v40, v39
	v_add3_u32 v38, v38, v42, v41
	s_delay_alu instid0(VALU_DEP_2) | instskip(NEXT) | instid1(VALU_DEP_2)
	v_lshlrev_b64 v[35:36], 3, v[35:36]
	v_lshlrev_b64 v[39:40], 3, v[37:38]
	s_delay_alu instid0(VALU_DEP_2) | instskip(NEXT) | instid1(VALU_DEP_3)
	v_add_co_u32 v37, vcc_lo, s20, v35
	v_add_co_ci_u32_e32 v38, vcc_lo, s21, v36, vcc_lo
	s_delay_alu instid0(VALU_DEP_3) | instskip(NEXT) | instid1(VALU_DEP_4)
	v_add_co_u32 v35, vcc_lo, s20, v39
	v_add_co_ci_u32_e32 v36, vcc_lo, s21, v40, vcc_lo
	s_clause 0x1
	global_load_b64 v[39:40], v[37:38], off
	global_load_b64 v[41:42], v[35:36], off
	s_waitcnt vmcnt(0)
	v_cmpx_eq_f64_e32 v[39:40], v[41:42]
	s_cbranch_execz .LBB853_165
; %bb.159:
	v_add_co_u32 v35, vcc_lo, v35, 8
	v_add_co_ci_u32_e32 v36, vcc_lo, 0, v36, vcc_lo
	v_add_co_u32 v37, vcc_lo, v37, 8
	v_add_co_ci_u32_e32 v38, vcc_lo, 0, v38, vcc_lo
	s_add_u32 s4, s14, -1
	s_addc_u32 s5, s15, -1
	s_mov_b64 s[6:7], 0
	s_mov_b32 s27, 0
                                        ; implicit-def: $sgpr34
	s_set_inst_prefetch_distance 0x1
	s_branch .LBB853_162
	.p2align	6
.LBB853_160:                            ;   in Loop: Header=BB853_162 Depth=1
	global_load_b64 v[39:40], v[37:38], off
	global_load_b64 v[41:42], v[35:36], off
	v_add_co_u32 v35, s0, v35, 8
	s_delay_alu instid0(VALU_DEP_1) | instskip(SKIP_1) | instid1(VALU_DEP_1)
	v_add_co_ci_u32_e64 v36, s0, 0, v36, s0
	v_add_co_u32 v37, s0, v37, 8
	v_add_co_ci_u32_e64 v38, s0, 0, v38, s0
	s_add_u32 s6, s6, 1
	s_addc_u32 s7, s7, 0
	s_and_not1_b32 s0, s34, exec_lo
	s_waitcnt vmcnt(0)
	v_cmp_neq_f64_e32 vcc_lo, v[39:40], v[41:42]
	s_and_b32 s34, vcc_lo, exec_lo
	s_delay_alu instid0(SALU_CYCLE_1)
	s_or_b32 s34, s0, s34
.LBB853_161:                            ;   in Loop: Header=BB853_162 Depth=1
	v_dual_mov_b32 v40, s7 :: v_dual_mov_b32 v39, s6
	s_and_b32 s0, exec_lo, s34
	s_delay_alu instid0(SALU_CYCLE_1) | instskip(NEXT) | instid1(SALU_CYCLE_1)
	s_or_b32 s27, s0, s27
	s_and_not1_b32 exec_lo, exec_lo, s27
	s_cbranch_execz .LBB853_164
.LBB853_162:                            ; =>This Inner Loop Header: Depth=1
	s_or_b32 s34, s34, exec_lo
	s_cmp_eq_u64 s[4:5], s[6:7]
	s_cbranch_scc0 .LBB853_160
; %bb.163:                              ;   in Loop: Header=BB853_162 Depth=1
	s_mov_b64 s[6:7], s[14:15]
                                        ; implicit-def: $vgpr35_vgpr36
                                        ; implicit-def: $vgpr37_vgpr38
	s_branch .LBB853_161
.LBB853_164:
	s_set_inst_prefetch_distance 0x2
	s_or_b32 exec_lo, exec_lo, s27
	v_cmp_gt_i64_e32 vcc_lo, s[14:15], v[39:40]
	s_or_not1_b32 s0, vcc_lo, exec_lo
.LBB853_165:
	s_or_b32 exec_lo, exec_lo, s25
.LBB853_166:
	s_delay_alu instid0(SALU_CYCLE_1)
	s_and_b32 s25, s0, exec_lo
.LBB853_167:
	s_or_b32 exec_lo, exec_lo, s26
	v_or_b32_e32 v35, 3, v55
	s_mov_b32 s27, 0
	s_mov_b32 s26, 0
	s_mov_b32 s34, exec_lo
	s_delay_alu instid0(VALU_DEP_1)
	v_cmpx_gt_u32_e64 s31, v35
	s_cbranch_execz .LBB853_178
; %bb.168:
	v_cmp_ne_u32_e32 vcc_lo, 1, v43
	s_mov_b32 s0, 0
	s_cbranch_vccnz .LBB853_177
; %bb.169:
	v_mul_lo_u32 v39, v26, s14
	v_mul_lo_u32 v40, v25, s15
	v_mad_u64_u32 v[35:36], null, v25, s14, 0
	v_mul_lo_u32 v41, v28, s14
	v_mul_lo_u32 v42, v27, s15
	s_waitcnt lgkmcnt(0)
	v_mad_u64_u32 v[37:38], null, v27, s14, 0
	s_mov_b32 s0, -1
	s_mov_b32 s26, exec_lo
	s_delay_alu instid0(VALU_DEP_4) | instskip(NEXT) | instid1(VALU_DEP_2)
	v_add3_u32 v36, v36, v40, v39
	v_add3_u32 v38, v38, v42, v41
	s_delay_alu instid0(VALU_DEP_2) | instskip(NEXT) | instid1(VALU_DEP_2)
	v_lshlrev_b64 v[35:36], 3, v[35:36]
	v_lshlrev_b64 v[39:40], 3, v[37:38]
	s_delay_alu instid0(VALU_DEP_2) | instskip(NEXT) | instid1(VALU_DEP_3)
	v_add_co_u32 v37, vcc_lo, s20, v35
	v_add_co_ci_u32_e32 v38, vcc_lo, s21, v36, vcc_lo
	s_delay_alu instid0(VALU_DEP_3) | instskip(NEXT) | instid1(VALU_DEP_4)
	v_add_co_u32 v35, vcc_lo, s20, v39
	v_add_co_ci_u32_e32 v36, vcc_lo, s21, v40, vcc_lo
	s_clause 0x1
	global_load_b64 v[39:40], v[37:38], off
	global_load_b64 v[41:42], v[35:36], off
	s_waitcnt vmcnt(0)
	v_cmpx_eq_f64_e32 v[39:40], v[41:42]
	s_cbranch_execz .LBB853_176
; %bb.170:
	v_add_co_u32 v35, vcc_lo, v35, 8
	v_add_co_ci_u32_e32 v36, vcc_lo, 0, v36, vcc_lo
	v_add_co_u32 v37, vcc_lo, v37, 8
	v_add_co_ci_u32_e32 v38, vcc_lo, 0, v38, vcc_lo
	s_add_u32 s4, s14, -1
	s_addc_u32 s5, s15, -1
	s_mov_b64 s[6:7], 0
	s_mov_b32 s35, 0
                                        ; implicit-def: $sgpr36
	s_set_inst_prefetch_distance 0x1
	s_branch .LBB853_173
	.p2align	6
.LBB853_171:                            ;   in Loop: Header=BB853_173 Depth=1
	global_load_b64 v[39:40], v[37:38], off
	global_load_b64 v[41:42], v[35:36], off
	v_add_co_u32 v35, s0, v35, 8
	s_delay_alu instid0(VALU_DEP_1) | instskip(SKIP_1) | instid1(VALU_DEP_1)
	v_add_co_ci_u32_e64 v36, s0, 0, v36, s0
	v_add_co_u32 v37, s0, v37, 8
	v_add_co_ci_u32_e64 v38, s0, 0, v38, s0
	s_add_u32 s6, s6, 1
	s_addc_u32 s7, s7, 0
	s_and_not1_b32 s0, s36, exec_lo
	s_waitcnt vmcnt(0)
	v_cmp_neq_f64_e32 vcc_lo, v[39:40], v[41:42]
	s_and_b32 s36, vcc_lo, exec_lo
	s_delay_alu instid0(SALU_CYCLE_1)
	s_or_b32 s36, s0, s36
.LBB853_172:                            ;   in Loop: Header=BB853_173 Depth=1
	v_dual_mov_b32 v40, s7 :: v_dual_mov_b32 v39, s6
	s_and_b32 s0, exec_lo, s36
	s_delay_alu instid0(SALU_CYCLE_1) | instskip(NEXT) | instid1(SALU_CYCLE_1)
	s_or_b32 s35, s0, s35
	s_and_not1_b32 exec_lo, exec_lo, s35
	s_cbranch_execz .LBB853_175
.LBB853_173:                            ; =>This Inner Loop Header: Depth=1
	s_or_b32 s36, s36, exec_lo
	s_cmp_eq_u64 s[4:5], s[6:7]
	s_cbranch_scc0 .LBB853_171
; %bb.174:                              ;   in Loop: Header=BB853_173 Depth=1
	s_mov_b64 s[6:7], s[14:15]
                                        ; implicit-def: $vgpr35_vgpr36
                                        ; implicit-def: $vgpr37_vgpr38
	s_branch .LBB853_172
.LBB853_175:
	s_set_inst_prefetch_distance 0x2
	s_or_b32 exec_lo, exec_lo, s35
	v_cmp_gt_i64_e32 vcc_lo, s[14:15], v[39:40]
	s_or_not1_b32 s0, vcc_lo, exec_lo
.LBB853_176:
	s_or_b32 exec_lo, exec_lo, s26
.LBB853_177:
	s_delay_alu instid0(SALU_CYCLE_1)
	s_and_b32 s26, s0, exec_lo
.LBB853_178:
	s_or_b32 exec_lo, exec_lo, s34
	v_or_b32_e32 v35, 2, v55
	s_mov_b32 s34, exec_lo
	s_delay_alu instid0(VALU_DEP_1)
	v_cmpx_gt_u32_e64 s31, v35
	s_cbranch_execz .LBB853_189
; %bb.179:
	v_cmp_ne_u32_e32 vcc_lo, 1, v43
	s_mov_b32 s0, 0
	s_cbranch_vccnz .LBB853_188
; %bb.180:
	v_mul_lo_u32 v39, v32, s14
	v_mul_lo_u32 v40, v31, s15
	v_mad_u64_u32 v[35:36], null, v31, s14, 0
	v_mul_lo_u32 v41, v26, s14
	v_mul_lo_u32 v42, v25, s15
	s_waitcnt lgkmcnt(0)
	v_mad_u64_u32 v[37:38], null, v25, s14, 0
	s_mov_b32 s0, -1
	s_mov_b32 s27, exec_lo
	s_delay_alu instid0(VALU_DEP_4) | instskip(NEXT) | instid1(VALU_DEP_2)
	v_add3_u32 v36, v36, v40, v39
	v_add3_u32 v38, v38, v42, v41
	s_delay_alu instid0(VALU_DEP_2) | instskip(NEXT) | instid1(VALU_DEP_2)
	v_lshlrev_b64 v[35:36], 3, v[35:36]
	v_lshlrev_b64 v[39:40], 3, v[37:38]
	s_delay_alu instid0(VALU_DEP_2) | instskip(NEXT) | instid1(VALU_DEP_3)
	v_add_co_u32 v37, vcc_lo, s20, v35
	v_add_co_ci_u32_e32 v38, vcc_lo, s21, v36, vcc_lo
	s_delay_alu instid0(VALU_DEP_3) | instskip(NEXT) | instid1(VALU_DEP_4)
	v_add_co_u32 v35, vcc_lo, s20, v39
	v_add_co_ci_u32_e32 v36, vcc_lo, s21, v40, vcc_lo
	s_clause 0x1
	global_load_b64 v[39:40], v[37:38], off
	global_load_b64 v[41:42], v[35:36], off
	s_waitcnt vmcnt(0)
	v_cmpx_eq_f64_e32 v[39:40], v[41:42]
	s_cbranch_execz .LBB853_187
; %bb.181:
	v_add_co_u32 v35, vcc_lo, v35, 8
	v_add_co_ci_u32_e32 v36, vcc_lo, 0, v36, vcc_lo
	v_add_co_u32 v37, vcc_lo, v37, 8
	v_add_co_ci_u32_e32 v38, vcc_lo, 0, v38, vcc_lo
	s_add_u32 s4, s14, -1
	s_addc_u32 s5, s15, -1
	s_mov_b64 s[6:7], 0
	s_mov_b32 s35, 0
                                        ; implicit-def: $sgpr36
	s_set_inst_prefetch_distance 0x1
	s_branch .LBB853_184
	.p2align	6
.LBB853_182:                            ;   in Loop: Header=BB853_184 Depth=1
	global_load_b64 v[39:40], v[37:38], off
	global_load_b64 v[41:42], v[35:36], off
	v_add_co_u32 v35, s0, v35, 8
	s_delay_alu instid0(VALU_DEP_1) | instskip(SKIP_1) | instid1(VALU_DEP_1)
	v_add_co_ci_u32_e64 v36, s0, 0, v36, s0
	v_add_co_u32 v37, s0, v37, 8
	v_add_co_ci_u32_e64 v38, s0, 0, v38, s0
	s_add_u32 s6, s6, 1
	s_addc_u32 s7, s7, 0
	s_and_not1_b32 s0, s36, exec_lo
	s_waitcnt vmcnt(0)
	v_cmp_neq_f64_e32 vcc_lo, v[39:40], v[41:42]
	s_and_b32 s36, vcc_lo, exec_lo
	s_delay_alu instid0(SALU_CYCLE_1)
	s_or_b32 s36, s0, s36
.LBB853_183:                            ;   in Loop: Header=BB853_184 Depth=1
	v_dual_mov_b32 v40, s7 :: v_dual_mov_b32 v39, s6
	s_and_b32 s0, exec_lo, s36
	s_delay_alu instid0(SALU_CYCLE_1) | instskip(NEXT) | instid1(SALU_CYCLE_1)
	s_or_b32 s35, s0, s35
	s_and_not1_b32 exec_lo, exec_lo, s35
	s_cbranch_execz .LBB853_186
.LBB853_184:                            ; =>This Inner Loop Header: Depth=1
	s_or_b32 s36, s36, exec_lo
	s_cmp_eq_u64 s[4:5], s[6:7]
	s_cbranch_scc0 .LBB853_182
; %bb.185:                              ;   in Loop: Header=BB853_184 Depth=1
	s_mov_b64 s[6:7], s[14:15]
                                        ; implicit-def: $vgpr35_vgpr36
                                        ; implicit-def: $vgpr37_vgpr38
	s_branch .LBB853_183
.LBB853_186:
	s_set_inst_prefetch_distance 0x2
	s_or_b32 exec_lo, exec_lo, s35
	v_cmp_gt_i64_e32 vcc_lo, s[14:15], v[39:40]
	s_or_not1_b32 s0, vcc_lo, exec_lo
.LBB853_187:
	s_or_b32 exec_lo, exec_lo, s27
.LBB853_188:
	s_delay_alu instid0(SALU_CYCLE_1)
	s_and_b32 s27, s0, exec_lo
.LBB853_189:
	s_or_b32 exec_lo, exec_lo, s34
	v_or_b32_e32 v35, 1, v55
	s_mov_b32 s0, 0
	s_mov_b32 s34, exec_lo
	s_delay_alu instid0(VALU_DEP_1)
	v_cmpx_gt_u32_e64 s31, v35
	s_cbranch_execz .LBB853_200
; %bb.190:
	v_cmp_ne_u32_e32 vcc_lo, 1, v43
	s_cbranch_vccnz .LBB853_199
; %bb.191:
	v_mul_lo_u32 v39, v30, s14
	v_mul_lo_u32 v40, v29, s15
	v_mad_u64_u32 v[35:36], null, v29, s14, 0
	v_mul_lo_u32 v41, v32, s14
	v_mul_lo_u32 v42, v31, s15
	s_waitcnt lgkmcnt(0)
	v_mad_u64_u32 v[37:38], null, v31, s14, 0
	s_mov_b32 s0, -1
	s_mov_b32 s35, exec_lo
	s_delay_alu instid0(VALU_DEP_4) | instskip(NEXT) | instid1(VALU_DEP_2)
	v_add3_u32 v36, v36, v40, v39
	v_add3_u32 v38, v38, v42, v41
	s_delay_alu instid0(VALU_DEP_2) | instskip(NEXT) | instid1(VALU_DEP_2)
	v_lshlrev_b64 v[35:36], 3, v[35:36]
	v_lshlrev_b64 v[39:40], 3, v[37:38]
	s_delay_alu instid0(VALU_DEP_2) | instskip(NEXT) | instid1(VALU_DEP_3)
	v_add_co_u32 v37, vcc_lo, s20, v35
	v_add_co_ci_u32_e32 v38, vcc_lo, s21, v36, vcc_lo
	s_delay_alu instid0(VALU_DEP_3) | instskip(NEXT) | instid1(VALU_DEP_4)
	v_add_co_u32 v35, vcc_lo, s20, v39
	v_add_co_ci_u32_e32 v36, vcc_lo, s21, v40, vcc_lo
	s_clause 0x1
	global_load_b64 v[39:40], v[37:38], off
	global_load_b64 v[41:42], v[35:36], off
	s_waitcnt vmcnt(0)
	v_cmpx_eq_f64_e32 v[39:40], v[41:42]
	s_cbranch_execz .LBB853_198
; %bb.192:
	v_add_co_u32 v35, vcc_lo, v35, 8
	v_add_co_ci_u32_e32 v36, vcc_lo, 0, v36, vcc_lo
	v_add_co_u32 v37, vcc_lo, v37, 8
	v_add_co_ci_u32_e32 v38, vcc_lo, 0, v38, vcc_lo
	s_add_u32 s4, s14, -1
	s_addc_u32 s5, s15, -1
	s_mov_b64 s[6:7], 0
	s_mov_b32 s36, 0
                                        ; implicit-def: $sgpr37
	s_set_inst_prefetch_distance 0x1
	s_branch .LBB853_195
	.p2align	6
.LBB853_193:                            ;   in Loop: Header=BB853_195 Depth=1
	global_load_b64 v[39:40], v[37:38], off
	global_load_b64 v[41:42], v[35:36], off
	v_add_co_u32 v35, s0, v35, 8
	s_delay_alu instid0(VALU_DEP_1) | instskip(SKIP_1) | instid1(VALU_DEP_1)
	v_add_co_ci_u32_e64 v36, s0, 0, v36, s0
	v_add_co_u32 v37, s0, v37, 8
	v_add_co_ci_u32_e64 v38, s0, 0, v38, s0
	s_add_u32 s6, s6, 1
	s_addc_u32 s7, s7, 0
	s_and_not1_b32 s0, s37, exec_lo
	s_waitcnt vmcnt(0)
	v_cmp_neq_f64_e32 vcc_lo, v[39:40], v[41:42]
	s_and_b32 s37, vcc_lo, exec_lo
	s_delay_alu instid0(SALU_CYCLE_1)
	s_or_b32 s37, s0, s37
.LBB853_194:                            ;   in Loop: Header=BB853_195 Depth=1
	v_dual_mov_b32 v40, s7 :: v_dual_mov_b32 v39, s6
	s_and_b32 s0, exec_lo, s37
	s_delay_alu instid0(SALU_CYCLE_1) | instskip(NEXT) | instid1(SALU_CYCLE_1)
	s_or_b32 s36, s0, s36
	s_and_not1_b32 exec_lo, exec_lo, s36
	s_cbranch_execz .LBB853_197
.LBB853_195:                            ; =>This Inner Loop Header: Depth=1
	s_or_b32 s37, s37, exec_lo
	s_cmp_eq_u64 s[4:5], s[6:7]
	s_cbranch_scc0 .LBB853_193
; %bb.196:                              ;   in Loop: Header=BB853_195 Depth=1
	s_mov_b64 s[6:7], s[14:15]
                                        ; implicit-def: $vgpr35_vgpr36
                                        ; implicit-def: $vgpr37_vgpr38
	s_branch .LBB853_194
.LBB853_197:
	s_set_inst_prefetch_distance 0x2
	s_or_b32 exec_lo, exec_lo, s36
	v_cmp_gt_i64_e32 vcc_lo, s[14:15], v[39:40]
	s_or_not1_b32 s0, vcc_lo, exec_lo
.LBB853_198:
	s_or_b32 exec_lo, exec_lo, s35
.LBB853_199:
	s_delay_alu instid0(SALU_CYCLE_1)
	s_and_b32 s0, s0, exec_lo
.LBB853_200:
	s_or_b32 exec_lo, exec_lo, s34
	s_waitcnt vmcnt(0) lgkmcnt(0)
	s_barrier
	buffer_gl0_inv
	s_and_saveexec_b32 s4, s3
	s_cbranch_execz .LBB853_202
; %bb.201:
	v_add_nc_u32_e32 v33, -8, v55
	ds_load_b64 v[33:34], v33
.LBB853_202:
	s_or_b32 exec_lo, exec_lo, s4
	v_cndmask_b32_e64 v36, 0, 1, s26
	v_cndmask_b32_e64 v38, 0, 1, s13
	;; [unrolled: 1-line block ×7, first 2 shown]
	v_lshlrev_b16 v36, 8, v36
	v_lshlrev_b16 v38, 8, v38
	;; [unrolled: 1-line block ×3, first 2 shown]
	s_mov_b32 s0, 0
	v_lshlrev_b16 v41, 8, v41
	v_or_b32_e32 v35, v35, v36
	v_or_b32_e32 v36, v37, v38
	;; [unrolled: 1-line block ×3, first 2 shown]
	s_mov_b32 s1, exec_lo
	v_and_b32_e32 v39, 0xffff, v41
	v_lshlrev_b32_e32 v40, 16, v35
	v_and_b32_e32 v41, 0xffff, v36
	v_lshlrev_b32_e32 v42, 16, v37
	v_cmpx_gt_u32_e64 s31, v55
	s_cbranch_execz .LBB853_213
; %bb.203:
	v_cmp_ne_u32_e32 vcc_lo, 1, v43
	s_cbranch_vccnz .LBB853_212
; %bb.204:
	s_waitcnt lgkmcnt(0)
	v_mul_lo_u32 v38, v34, s14
	v_mul_lo_u32 v43, v33, s15
	v_mad_u64_u32 v[34:35], null, v33, s14, 0
	v_mul_lo_u32 v33, v30, s14
	v_mul_lo_u32 v44, v29, s15
	v_mad_u64_u32 v[36:37], null, v29, s14, 0
	s_mov_b32 s0, -1
	s_mov_b32 s13, exec_lo
	s_delay_alu instid0(VALU_DEP_4) | instskip(NEXT) | instid1(VALU_DEP_2)
	v_add3_u32 v35, v35, v43, v38
	v_add3_u32 v37, v37, v44, v33
	s_delay_alu instid0(VALU_DEP_2) | instskip(NEXT) | instid1(VALU_DEP_2)
	v_lshlrev_b64 v[33:34], 3, v[34:35]
	v_lshlrev_b64 v[37:38], 3, v[36:37]
	s_delay_alu instid0(VALU_DEP_2) | instskip(NEXT) | instid1(VALU_DEP_3)
	v_add_co_u32 v35, vcc_lo, s20, v33
	v_add_co_ci_u32_e32 v36, vcc_lo, s21, v34, vcc_lo
	s_delay_alu instid0(VALU_DEP_3) | instskip(NEXT) | instid1(VALU_DEP_4)
	v_add_co_u32 v33, vcc_lo, s20, v37
	v_add_co_ci_u32_e32 v34, vcc_lo, s21, v38, vcc_lo
	s_clause 0x1
	global_load_b64 v[37:38], v[35:36], off
	global_load_b64 v[43:44], v[33:34], off
	s_waitcnt vmcnt(0)
	v_cmpx_eq_f64_e32 v[37:38], v[43:44]
	s_cbranch_execz .LBB853_211
; %bb.205:
	v_add_co_u32 v33, vcc_lo, v33, 8
	v_add_co_ci_u32_e32 v34, vcc_lo, 0, v34, vcc_lo
	v_add_co_u32 v35, vcc_lo, v35, 8
	v_add_co_ci_u32_e32 v36, vcc_lo, 0, v36, vcc_lo
	s_add_u32 s4, s14, -1
	s_addc_u32 s5, s15, -1
	s_mov_b64 s[6:7], 0
	s_mov_b32 s24, 0
                                        ; implicit-def: $sgpr25
	s_set_inst_prefetch_distance 0x1
	s_branch .LBB853_208
	.p2align	6
.LBB853_206:                            ;   in Loop: Header=BB853_208 Depth=1
	global_load_b64 v[37:38], v[35:36], off
	global_load_b64 v[43:44], v[33:34], off
	v_add_co_u32 v33, s0, v33, 8
	s_delay_alu instid0(VALU_DEP_1) | instskip(SKIP_1) | instid1(VALU_DEP_1)
	v_add_co_ci_u32_e64 v34, s0, 0, v34, s0
	v_add_co_u32 v35, s0, v35, 8
	v_add_co_ci_u32_e64 v36, s0, 0, v36, s0
	s_add_u32 s6, s6, 1
	s_addc_u32 s7, s7, 0
	s_and_not1_b32 s0, s25, exec_lo
	s_waitcnt vmcnt(0)
	v_cmp_neq_f64_e32 vcc_lo, v[37:38], v[43:44]
	s_and_b32 s25, vcc_lo, exec_lo
	s_delay_alu instid0(SALU_CYCLE_1)
	s_or_b32 s25, s0, s25
.LBB853_207:                            ;   in Loop: Header=BB853_208 Depth=1
	v_dual_mov_b32 v38, s7 :: v_dual_mov_b32 v37, s6
	s_and_b32 s0, exec_lo, s25
	s_delay_alu instid0(SALU_CYCLE_1) | instskip(NEXT) | instid1(SALU_CYCLE_1)
	s_or_b32 s24, s0, s24
	s_and_not1_b32 exec_lo, exec_lo, s24
	s_cbranch_execz .LBB853_210
.LBB853_208:                            ; =>This Inner Loop Header: Depth=1
	s_or_b32 s25, s25, exec_lo
	s_cmp_eq_u64 s[4:5], s[6:7]
	s_cbranch_scc0 .LBB853_206
; %bb.209:                              ;   in Loop: Header=BB853_208 Depth=1
	s_mov_b64 s[6:7], s[14:15]
                                        ; implicit-def: $vgpr33_vgpr34
                                        ; implicit-def: $vgpr35_vgpr36
	s_branch .LBB853_207
.LBB853_210:
	s_set_inst_prefetch_distance 0x2
	s_or_b32 exec_lo, exec_lo, s24
	v_cmp_gt_i64_e32 vcc_lo, s[14:15], v[37:38]
	s_or_not1_b32 s0, vcc_lo, exec_lo
.LBB853_211:
	s_or_b32 exec_lo, exec_lo, s13
.LBB853_212:
	s_delay_alu instid0(SALU_CYCLE_1)
	s_and_b32 s0, s0, exec_lo
.LBB853_213:
	s_or_b32 exec_lo, exec_lo, s1
	v_or_b32_e32 v35, v39, v40
	v_or_b32_e32 v36, v41, v42
.LBB853_214:
	s_mov_b32 s1, -1
	s_cbranch_execnz .LBB853_383
.LBB853_215:
	v_cmp_gt_i64_e64 s13, s[14:15], 0
	s_and_b32 vcc_lo, exec_lo, s29
	ds_store_b64 v55, v[19:20]
	s_cbranch_vccz .LBB853_223
; %bb.216:
	v_mul_lo_u32 v35, v18, s14
	v_mul_lo_u32 v36, v17, s15
	s_waitcnt vmcnt(0) lgkmcnt(1)
	v_mad_u64_u32 v[33:34], null, v17, s14, 0
	s_mov_b32 s24, 0
	s_and_not1_b32 vcc_lo, exec_lo, s13
	s_mov_b32 s25, 0
	s_delay_alu instid0(VALU_DEP_1) | instskip(NEXT) | instid1(VALU_DEP_1)
	v_add3_u32 v34, v34, v36, v35
	v_lshlrev_b64 v[33:34], 3, v[33:34]
	s_cbranch_vccnz .LBB853_226
; %bb.217:
	v_mul_lo_u32 v37, v20, s14
	v_mul_lo_u32 v38, v19, s15
	v_mad_u64_u32 v[35:36], null, v19, s14, 0
	s_mov_b32 s25, -1
	s_mov_b32 s26, exec_lo
	s_delay_alu instid0(VALU_DEP_1) | instskip(SKIP_2) | instid1(VALU_DEP_3)
	v_add3_u32 v36, v36, v38, v37
	v_add_co_u32 v37, vcc_lo, s20, v33
	v_add_co_ci_u32_e32 v38, vcc_lo, s21, v34, vcc_lo
	v_lshlrev_b64 v[35:36], 3, v[35:36]
	s_delay_alu instid0(VALU_DEP_1) | instskip(NEXT) | instid1(VALU_DEP_2)
	v_add_co_u32 v35, vcc_lo, s20, v35
	v_add_co_ci_u32_e32 v36, vcc_lo, s21, v36, vcc_lo
	s_clause 0x1
	global_load_b64 v[39:40], v[37:38], off
	global_load_b64 v[41:42], v[35:36], off
	s_waitcnt vmcnt(0)
	v_cmpx_eq_f64_e32 v[39:40], v[41:42]
	s_cbranch_execz .LBB853_225
; %bb.218:
	v_add_co_u32 v35, vcc_lo, v35, 8
	v_add_co_ci_u32_e32 v36, vcc_lo, 0, v36, vcc_lo
	v_add_co_u32 v37, vcc_lo, v37, 8
	v_add_co_ci_u32_e32 v38, vcc_lo, 0, v38, vcc_lo
	s_add_u32 s4, s14, -1
	s_addc_u32 s5, s15, -1
	s_mov_b64 s[6:7], 0
	s_mov_b32 s25, 0
                                        ; implicit-def: $sgpr27
	s_set_inst_prefetch_distance 0x1
	s_branch .LBB853_221
	.p2align	6
.LBB853_219:                            ;   in Loop: Header=BB853_221 Depth=1
	global_load_b64 v[39:40], v[37:38], off
	global_load_b64 v[41:42], v[35:36], off
	v_add_co_u32 v35, s0, v35, 8
	s_delay_alu instid0(VALU_DEP_1) | instskip(SKIP_1) | instid1(VALU_DEP_1)
	v_add_co_ci_u32_e64 v36, s0, 0, v36, s0
	v_add_co_u32 v37, s0, v37, 8
	v_add_co_ci_u32_e64 v38, s0, 0, v38, s0
	s_add_u32 s6, s6, 1
	s_addc_u32 s7, s7, 0
	s_and_not1_b32 s0, s27, exec_lo
	s_waitcnt vmcnt(0)
	v_cmp_neq_f64_e32 vcc_lo, v[39:40], v[41:42]
	s_and_b32 s27, vcc_lo, exec_lo
	s_delay_alu instid0(SALU_CYCLE_1)
	s_or_b32 s27, s0, s27
.LBB853_220:                            ;   in Loop: Header=BB853_221 Depth=1
	v_dual_mov_b32 v40, s7 :: v_dual_mov_b32 v39, s6
	s_and_b32 s0, exec_lo, s27
	s_delay_alu instid0(SALU_CYCLE_1) | instskip(NEXT) | instid1(SALU_CYCLE_1)
	s_or_b32 s25, s0, s25
	s_and_not1_b32 exec_lo, exec_lo, s25
	s_cbranch_execz .LBB853_224
.LBB853_221:                            ; =>This Inner Loop Header: Depth=1
	s_or_b32 s27, s27, exec_lo
	s_cmp_eq_u64 s[4:5], s[6:7]
	s_cbranch_scc0 .LBB853_219
; %bb.222:                              ;   in Loop: Header=BB853_221 Depth=1
	s_mov_b64 s[6:7], s[14:15]
                                        ; implicit-def: $vgpr35_vgpr36
                                        ; implicit-def: $vgpr37_vgpr38
	s_branch .LBB853_220
.LBB853_223:
                                        ; implicit-def: $sgpr0
                                        ; implicit-def: $vgpr36
	s_cbranch_execnz .LBB853_292
	s_branch .LBB853_383
.LBB853_224:
	s_set_inst_prefetch_distance 0x2
	s_or_b32 exec_lo, exec_lo, s25
	v_cmp_gt_i64_e32 vcc_lo, s[14:15], v[39:40]
	s_or_not1_b32 s25, vcc_lo, exec_lo
.LBB853_225:
	s_or_b32 exec_lo, exec_lo, s26
.LBB853_226:
	v_mul_lo_u32 v37, v24, s14
	v_mul_lo_u32 v38, v23, s15
	v_mad_u64_u32 v[35:36], null, v23, s14, 0
	s_and_not1_b32 vcc_lo, exec_lo, s13
	s_delay_alu instid0(VALU_DEP_1) | instskip(NEXT) | instid1(VALU_DEP_1)
	v_add3_u32 v36, v36, v38, v37
	v_lshlrev_b64 v[35:36], 3, v[35:36]
	s_cbranch_vccnz .LBB853_235
; %bb.227:
	s_delay_alu instid0(VALU_DEP_1) | instskip(NEXT) | instid1(VALU_DEP_2)
	v_add_co_u32 v37, vcc_lo, s20, v35
	v_add_co_ci_u32_e32 v38, vcc_lo, s21, v36, vcc_lo
	v_add_co_u32 v33, vcc_lo, s20, v33
	v_add_co_ci_u32_e32 v34, vcc_lo, s21, v34, vcc_lo
	s_mov_b32 s24, -1
	s_clause 0x1
	global_load_b64 v[39:40], v[37:38], off
	global_load_b64 v[41:42], v[33:34], off
	s_mov_b32 s26, exec_lo
	s_waitcnt vmcnt(0)
	v_cmpx_eq_f64_e32 v[39:40], v[41:42]
	s_cbranch_execz .LBB853_234
; %bb.228:
	v_add_co_u32 v33, vcc_lo, v33, 8
	v_add_co_ci_u32_e32 v34, vcc_lo, 0, v34, vcc_lo
	v_add_co_u32 v37, vcc_lo, v37, 8
	v_add_co_ci_u32_e32 v38, vcc_lo, 0, v38, vcc_lo
	s_add_u32 s4, s14, -1
	s_addc_u32 s5, s15, -1
	s_mov_b64 s[6:7], 0
	s_mov_b32 s24, 0
                                        ; implicit-def: $sgpr27
	s_set_inst_prefetch_distance 0x1
	s_branch .LBB853_231
	.p2align	6
.LBB853_229:                            ;   in Loop: Header=BB853_231 Depth=1
	global_load_b64 v[39:40], v[37:38], off
	global_load_b64 v[41:42], v[33:34], off
	v_add_co_u32 v33, s0, v33, 8
	s_delay_alu instid0(VALU_DEP_1) | instskip(SKIP_1) | instid1(VALU_DEP_1)
	v_add_co_ci_u32_e64 v34, s0, 0, v34, s0
	v_add_co_u32 v37, s0, v37, 8
	v_add_co_ci_u32_e64 v38, s0, 0, v38, s0
	s_add_u32 s6, s6, 1
	s_addc_u32 s7, s7, 0
	s_and_not1_b32 s0, s27, exec_lo
	s_waitcnt vmcnt(0)
	v_cmp_neq_f64_e32 vcc_lo, v[39:40], v[41:42]
	s_and_b32 s27, vcc_lo, exec_lo
	s_delay_alu instid0(SALU_CYCLE_1)
	s_or_b32 s27, s0, s27
.LBB853_230:                            ;   in Loop: Header=BB853_231 Depth=1
	v_dual_mov_b32 v40, s7 :: v_dual_mov_b32 v39, s6
	s_and_b32 s0, exec_lo, s27
	s_delay_alu instid0(SALU_CYCLE_1) | instskip(NEXT) | instid1(SALU_CYCLE_1)
	s_or_b32 s24, s0, s24
	s_and_not1_b32 exec_lo, exec_lo, s24
	s_cbranch_execz .LBB853_233
.LBB853_231:                            ; =>This Inner Loop Header: Depth=1
	s_or_b32 s27, s27, exec_lo
	s_cmp_eq_u64 s[4:5], s[6:7]
	s_cbranch_scc0 .LBB853_229
; %bb.232:                              ;   in Loop: Header=BB853_231 Depth=1
	s_mov_b64 s[6:7], s[14:15]
                                        ; implicit-def: $vgpr33_vgpr34
                                        ; implicit-def: $vgpr37_vgpr38
	s_branch .LBB853_230
.LBB853_233:
	s_set_inst_prefetch_distance 0x2
	s_or_b32 exec_lo, exec_lo, s24
	v_cmp_gt_i64_e32 vcc_lo, s[14:15], v[39:40]
	s_or_not1_b32 s24, vcc_lo, exec_lo
.LBB853_234:
	s_or_b32 exec_lo, exec_lo, s26
.LBB853_235:
	v_mul_lo_u32 v37, v22, s14
	v_mul_lo_u32 v38, v21, s15
	v_mad_u64_u32 v[33:34], null, v21, s14, 0
	s_mov_b32 s26, 0
	s_and_not1_b32 vcc_lo, exec_lo, s13
	s_mov_b32 s27, 0
	s_delay_alu instid0(VALU_DEP_1) | instskip(NEXT) | instid1(VALU_DEP_1)
	v_add3_u32 v34, v34, v38, v37
	v_lshlrev_b64 v[37:38], 3, v[33:34]
	s_cbranch_vccnz .LBB853_244
; %bb.236:
	s_delay_alu instid0(VALU_DEP_1) | instskip(NEXT) | instid1(VALU_DEP_2)
	v_add_co_u32 v39, vcc_lo, s20, v37
	v_add_co_ci_u32_e32 v40, vcc_lo, s21, v38, vcc_lo
	v_add_co_u32 v33, vcc_lo, s20, v35
	v_add_co_ci_u32_e32 v34, vcc_lo, s21, v36, vcc_lo
	s_mov_b32 s27, -1
	s_clause 0x1
	global_load_b64 v[35:36], v[39:40], off
	global_load_b64 v[41:42], v[33:34], off
	s_mov_b32 s34, exec_lo
	s_waitcnt vmcnt(0)
	v_cmpx_eq_f64_e32 v[35:36], v[41:42]
	s_cbranch_execz .LBB853_243
; %bb.237:
	v_add_co_u32 v33, vcc_lo, v33, 8
	v_add_co_ci_u32_e32 v34, vcc_lo, 0, v34, vcc_lo
	v_add_co_u32 v35, vcc_lo, v39, 8
	v_add_co_ci_u32_e32 v36, vcc_lo, 0, v40, vcc_lo
	s_add_u32 s4, s14, -1
	s_addc_u32 s5, s15, -1
	s_mov_b64 s[6:7], 0
	s_mov_b32 s27, 0
                                        ; implicit-def: $sgpr35
	s_set_inst_prefetch_distance 0x1
	s_branch .LBB853_240
	.p2align	6
.LBB853_238:                            ;   in Loop: Header=BB853_240 Depth=1
	global_load_b64 v[39:40], v[35:36], off
	global_load_b64 v[41:42], v[33:34], off
	v_add_co_u32 v33, s0, v33, 8
	s_delay_alu instid0(VALU_DEP_1) | instskip(SKIP_1) | instid1(VALU_DEP_1)
	v_add_co_ci_u32_e64 v34, s0, 0, v34, s0
	v_add_co_u32 v35, s0, v35, 8
	v_add_co_ci_u32_e64 v36, s0, 0, v36, s0
	s_add_u32 s6, s6, 1
	s_addc_u32 s7, s7, 0
	s_and_not1_b32 s0, s35, exec_lo
	s_waitcnt vmcnt(0)
	v_cmp_neq_f64_e32 vcc_lo, v[39:40], v[41:42]
	s_and_b32 s35, vcc_lo, exec_lo
	s_delay_alu instid0(SALU_CYCLE_1)
	s_or_b32 s35, s0, s35
.LBB853_239:                            ;   in Loop: Header=BB853_240 Depth=1
	v_dual_mov_b32 v40, s7 :: v_dual_mov_b32 v39, s6
	s_and_b32 s0, exec_lo, s35
	s_delay_alu instid0(SALU_CYCLE_1) | instskip(NEXT) | instid1(SALU_CYCLE_1)
	s_or_b32 s27, s0, s27
	s_and_not1_b32 exec_lo, exec_lo, s27
	s_cbranch_execz .LBB853_242
.LBB853_240:                            ; =>This Inner Loop Header: Depth=1
	s_or_b32 s35, s35, exec_lo
	s_cmp_eq_u64 s[4:5], s[6:7]
	s_cbranch_scc0 .LBB853_238
; %bb.241:                              ;   in Loop: Header=BB853_240 Depth=1
	s_mov_b64 s[6:7], s[14:15]
                                        ; implicit-def: $vgpr33_vgpr34
                                        ; implicit-def: $vgpr35_vgpr36
	s_branch .LBB853_239
.LBB853_242:
	s_set_inst_prefetch_distance 0x2
	s_or_b32 exec_lo, exec_lo, s27
	v_cmp_gt_i64_e32 vcc_lo, s[14:15], v[39:40]
	s_or_not1_b32 s27, vcc_lo, exec_lo
.LBB853_243:
	s_or_b32 exec_lo, exec_lo, s34
.LBB853_244:
	v_mul_lo_u32 v35, v28, s14
	v_mul_lo_u32 v36, v27, s15
	v_mad_u64_u32 v[33:34], null, v27, s14, 0
	s_and_not1_b32 vcc_lo, exec_lo, s13
	s_delay_alu instid0(VALU_DEP_1) | instskip(NEXT) | instid1(VALU_DEP_1)
	v_add3_u32 v34, v34, v36, v35
	v_lshlrev_b64 v[33:34], 3, v[33:34]
	s_cbranch_vccnz .LBB853_253
; %bb.245:
	s_delay_alu instid0(VALU_DEP_1) | instskip(NEXT) | instid1(VALU_DEP_2)
	v_add_co_u32 v39, vcc_lo, s20, v33
	v_add_co_ci_u32_e32 v40, vcc_lo, s21, v34, vcc_lo
	v_add_co_u32 v35, vcc_lo, s20, v37
	v_add_co_ci_u32_e32 v36, vcc_lo, s21, v38, vcc_lo
	s_mov_b32 s26, -1
	s_clause 0x1
	global_load_b64 v[37:38], v[39:40], off
	global_load_b64 v[41:42], v[35:36], off
	s_mov_b32 s34, exec_lo
	s_waitcnt vmcnt(0)
	v_cmpx_eq_f64_e32 v[37:38], v[41:42]
	s_cbranch_execz .LBB853_252
; %bb.246:
	v_add_co_u32 v35, vcc_lo, v35, 8
	v_add_co_ci_u32_e32 v36, vcc_lo, 0, v36, vcc_lo
	v_add_co_u32 v37, vcc_lo, v39, 8
	v_add_co_ci_u32_e32 v38, vcc_lo, 0, v40, vcc_lo
	s_add_u32 s4, s14, -1
	s_addc_u32 s5, s15, -1
	s_mov_b64 s[6:7], 0
	s_mov_b32 s26, 0
                                        ; implicit-def: $sgpr35
	s_set_inst_prefetch_distance 0x1
	s_branch .LBB853_249
	.p2align	6
.LBB853_247:                            ;   in Loop: Header=BB853_249 Depth=1
	global_load_b64 v[39:40], v[37:38], off
	global_load_b64 v[41:42], v[35:36], off
	v_add_co_u32 v35, s0, v35, 8
	s_delay_alu instid0(VALU_DEP_1) | instskip(SKIP_1) | instid1(VALU_DEP_1)
	v_add_co_ci_u32_e64 v36, s0, 0, v36, s0
	v_add_co_u32 v37, s0, v37, 8
	v_add_co_ci_u32_e64 v38, s0, 0, v38, s0
	s_add_u32 s6, s6, 1
	s_addc_u32 s7, s7, 0
	s_and_not1_b32 s0, s35, exec_lo
	s_waitcnt vmcnt(0)
	v_cmp_neq_f64_e32 vcc_lo, v[39:40], v[41:42]
	s_and_b32 s35, vcc_lo, exec_lo
	s_delay_alu instid0(SALU_CYCLE_1)
	s_or_b32 s35, s0, s35
.LBB853_248:                            ;   in Loop: Header=BB853_249 Depth=1
	v_dual_mov_b32 v40, s7 :: v_dual_mov_b32 v39, s6
	s_and_b32 s0, exec_lo, s35
	s_delay_alu instid0(SALU_CYCLE_1) | instskip(NEXT) | instid1(SALU_CYCLE_1)
	s_or_b32 s26, s0, s26
	s_and_not1_b32 exec_lo, exec_lo, s26
	s_cbranch_execz .LBB853_251
.LBB853_249:                            ; =>This Inner Loop Header: Depth=1
	s_or_b32 s35, s35, exec_lo
	s_cmp_eq_u64 s[4:5], s[6:7]
	s_cbranch_scc0 .LBB853_247
; %bb.250:                              ;   in Loop: Header=BB853_249 Depth=1
	s_mov_b64 s[6:7], s[14:15]
                                        ; implicit-def: $vgpr35_vgpr36
                                        ; implicit-def: $vgpr37_vgpr38
	s_branch .LBB853_248
.LBB853_251:
	s_set_inst_prefetch_distance 0x2
	s_or_b32 exec_lo, exec_lo, s26
	v_cmp_gt_i64_e32 vcc_lo, s[14:15], v[39:40]
	s_or_not1_b32 s26, vcc_lo, exec_lo
.LBB853_252:
	s_or_b32 exec_lo, exec_lo, s34
.LBB853_253:
	v_mul_lo_u32 v37, v26, s14
	v_mul_lo_u32 v38, v25, s15
	v_mad_u64_u32 v[35:36], null, v25, s14, 0
	s_mov_b32 s34, 0
	s_and_not1_b32 vcc_lo, exec_lo, s13
	s_mov_b32 s35, 0
	s_delay_alu instid0(VALU_DEP_1) | instskip(NEXT) | instid1(VALU_DEP_1)
	v_add3_u32 v36, v36, v38, v37
	v_lshlrev_b64 v[37:38], 3, v[35:36]
	s_cbranch_vccnz .LBB853_262
; %bb.254:
	s_delay_alu instid0(VALU_DEP_1) | instskip(NEXT) | instid1(VALU_DEP_2)
	v_add_co_u32 v35, vcc_lo, s20, v37
	v_add_co_ci_u32_e32 v36, vcc_lo, s21, v38, vcc_lo
	v_add_co_u32 v33, vcc_lo, s20, v33
	v_add_co_ci_u32_e32 v34, vcc_lo, s21, v34, vcc_lo
	s_mov_b32 s35, -1
	s_clause 0x1
	global_load_b64 v[39:40], v[35:36], off
	global_load_b64 v[41:42], v[33:34], off
	s_mov_b32 s36, exec_lo
	s_waitcnt vmcnt(0)
	v_cmpx_eq_f64_e32 v[39:40], v[41:42]
	s_cbranch_execz .LBB853_261
; %bb.255:
	v_add_co_u32 v33, vcc_lo, v33, 8
	v_add_co_ci_u32_e32 v34, vcc_lo, 0, v34, vcc_lo
	v_add_co_u32 v35, vcc_lo, v35, 8
	v_add_co_ci_u32_e32 v36, vcc_lo, 0, v36, vcc_lo
	s_add_u32 s4, s14, -1
	s_addc_u32 s5, s15, -1
	s_mov_b64 s[6:7], 0
	s_mov_b32 s35, 0
                                        ; implicit-def: $sgpr37
	s_set_inst_prefetch_distance 0x1
	s_branch .LBB853_258
	.p2align	6
.LBB853_256:                            ;   in Loop: Header=BB853_258 Depth=1
	global_load_b64 v[39:40], v[35:36], off
	global_load_b64 v[41:42], v[33:34], off
	v_add_co_u32 v33, s0, v33, 8
	s_delay_alu instid0(VALU_DEP_1) | instskip(SKIP_1) | instid1(VALU_DEP_1)
	v_add_co_ci_u32_e64 v34, s0, 0, v34, s0
	v_add_co_u32 v35, s0, v35, 8
	v_add_co_ci_u32_e64 v36, s0, 0, v36, s0
	s_add_u32 s6, s6, 1
	s_addc_u32 s7, s7, 0
	s_and_not1_b32 s0, s37, exec_lo
	s_waitcnt vmcnt(0)
	v_cmp_neq_f64_e32 vcc_lo, v[39:40], v[41:42]
	s_and_b32 s37, vcc_lo, exec_lo
	s_delay_alu instid0(SALU_CYCLE_1)
	s_or_b32 s37, s0, s37
.LBB853_257:                            ;   in Loop: Header=BB853_258 Depth=1
	v_dual_mov_b32 v40, s7 :: v_dual_mov_b32 v39, s6
	s_and_b32 s0, exec_lo, s37
	s_delay_alu instid0(SALU_CYCLE_1) | instskip(NEXT) | instid1(SALU_CYCLE_1)
	s_or_b32 s35, s0, s35
	s_and_not1_b32 exec_lo, exec_lo, s35
	s_cbranch_execz .LBB853_260
.LBB853_258:                            ; =>This Inner Loop Header: Depth=1
	s_or_b32 s37, s37, exec_lo
	s_cmp_eq_u64 s[4:5], s[6:7]
	s_cbranch_scc0 .LBB853_256
; %bb.259:                              ;   in Loop: Header=BB853_258 Depth=1
	s_mov_b64 s[6:7], s[14:15]
                                        ; implicit-def: $vgpr33_vgpr34
                                        ; implicit-def: $vgpr35_vgpr36
	s_branch .LBB853_257
.LBB853_260:
	s_set_inst_prefetch_distance 0x2
	s_or_b32 exec_lo, exec_lo, s35
	v_cmp_gt_i64_e32 vcc_lo, s[14:15], v[39:40]
	s_or_not1_b32 s35, vcc_lo, exec_lo
.LBB853_261:
	s_or_b32 exec_lo, exec_lo, s36
.LBB853_262:
	v_mul_lo_u32 v35, v32, s14
	v_mul_lo_u32 v36, v31, s15
	v_mad_u64_u32 v[33:34], null, v31, s14, 0
	s_and_not1_b32 vcc_lo, exec_lo, s13
	s_delay_alu instid0(VALU_DEP_1) | instskip(NEXT) | instid1(VALU_DEP_1)
	v_add3_u32 v34, v34, v36, v35
	v_lshlrev_b64 v[35:36], 3, v[33:34]
	s_cbranch_vccnz .LBB853_271
; %bb.263:
	s_delay_alu instid0(VALU_DEP_1) | instskip(NEXT) | instid1(VALU_DEP_2)
	v_add_co_u32 v39, vcc_lo, s20, v35
	v_add_co_ci_u32_e32 v40, vcc_lo, s21, v36, vcc_lo
	v_add_co_u32 v33, vcc_lo, s20, v37
	v_add_co_ci_u32_e32 v34, vcc_lo, s21, v38, vcc_lo
	s_mov_b32 s34, -1
	s_clause 0x1
	global_load_b64 v[37:38], v[39:40], off
	global_load_b64 v[41:42], v[33:34], off
	s_mov_b32 s36, exec_lo
	s_waitcnt vmcnt(0)
	v_cmpx_eq_f64_e32 v[37:38], v[41:42]
	s_cbranch_execz .LBB853_270
; %bb.264:
	v_add_co_u32 v33, vcc_lo, v33, 8
	v_add_co_ci_u32_e32 v34, vcc_lo, 0, v34, vcc_lo
	v_add_co_u32 v37, vcc_lo, v39, 8
	v_add_co_ci_u32_e32 v38, vcc_lo, 0, v40, vcc_lo
	s_add_u32 s4, s14, -1
	s_addc_u32 s5, s15, -1
	s_mov_b64 s[6:7], 0
	s_mov_b32 s34, 0
                                        ; implicit-def: $sgpr37
	s_set_inst_prefetch_distance 0x1
	s_branch .LBB853_267
	.p2align	6
.LBB853_265:                            ;   in Loop: Header=BB853_267 Depth=1
	global_load_b64 v[39:40], v[37:38], off
	global_load_b64 v[41:42], v[33:34], off
	v_add_co_u32 v33, s0, v33, 8
	s_delay_alu instid0(VALU_DEP_1) | instskip(SKIP_1) | instid1(VALU_DEP_1)
	v_add_co_ci_u32_e64 v34, s0, 0, v34, s0
	v_add_co_u32 v37, s0, v37, 8
	v_add_co_ci_u32_e64 v38, s0, 0, v38, s0
	s_add_u32 s6, s6, 1
	s_addc_u32 s7, s7, 0
	s_and_not1_b32 s0, s37, exec_lo
	s_waitcnt vmcnt(0)
	v_cmp_neq_f64_e32 vcc_lo, v[39:40], v[41:42]
	s_and_b32 s37, vcc_lo, exec_lo
	s_delay_alu instid0(SALU_CYCLE_1)
	s_or_b32 s37, s0, s37
.LBB853_266:                            ;   in Loop: Header=BB853_267 Depth=1
	v_dual_mov_b32 v40, s7 :: v_dual_mov_b32 v39, s6
	s_and_b32 s0, exec_lo, s37
	s_delay_alu instid0(SALU_CYCLE_1) | instskip(NEXT) | instid1(SALU_CYCLE_1)
	s_or_b32 s34, s0, s34
	s_and_not1_b32 exec_lo, exec_lo, s34
	s_cbranch_execz .LBB853_269
.LBB853_267:                            ; =>This Inner Loop Header: Depth=1
	s_or_b32 s37, s37, exec_lo
	s_cmp_eq_u64 s[4:5], s[6:7]
	s_cbranch_scc0 .LBB853_265
; %bb.268:                              ;   in Loop: Header=BB853_267 Depth=1
	s_mov_b64 s[6:7], s[14:15]
                                        ; implicit-def: $vgpr33_vgpr34
                                        ; implicit-def: $vgpr37_vgpr38
	s_branch .LBB853_266
.LBB853_269:
	s_set_inst_prefetch_distance 0x2
	s_or_b32 exec_lo, exec_lo, s34
	v_cmp_gt_i64_e32 vcc_lo, s[14:15], v[39:40]
	s_or_not1_b32 s34, vcc_lo, exec_lo
.LBB853_270:
	s_or_b32 exec_lo, exec_lo, s36
.LBB853_271:
	v_mul_lo_u32 v37, v30, s14
	v_mul_lo_u32 v38, v29, s15
	v_mad_u64_u32 v[33:34], null, v29, s14, 0
	s_and_not1_b32 vcc_lo, exec_lo, s13
	s_mov_b32 s0, 0
	s_delay_alu instid0(VALU_DEP_1)
	v_add3_u32 v34, v34, v38, v37
	s_cbranch_vccnz .LBB853_280
; %bb.272:
	s_delay_alu instid0(VALU_DEP_1) | instskip(SKIP_2) | instid1(VALU_DEP_1)
	v_lshlrev_b64 v[37:38], 3, v[33:34]
	s_mov_b32 s0, -1
	s_mov_b32 s36, exec_lo
	v_add_co_u32 v37, vcc_lo, s20, v37
	s_delay_alu instid0(VALU_DEP_2)
	v_add_co_ci_u32_e32 v38, vcc_lo, s21, v38, vcc_lo
	v_add_co_u32 v35, vcc_lo, s20, v35
	v_add_co_ci_u32_e32 v36, vcc_lo, s21, v36, vcc_lo
	s_clause 0x1
	global_load_b64 v[39:40], v[37:38], off
	global_load_b64 v[41:42], v[35:36], off
	s_waitcnt vmcnt(0)
	v_cmpx_eq_f64_e32 v[39:40], v[41:42]
	s_cbranch_execz .LBB853_279
; %bb.273:
	v_add_co_u32 v35, vcc_lo, v35, 8
	v_add_co_ci_u32_e32 v36, vcc_lo, 0, v36, vcc_lo
	v_add_co_u32 v37, vcc_lo, v37, 8
	v_add_co_ci_u32_e32 v38, vcc_lo, 0, v38, vcc_lo
	s_add_u32 s4, s14, -1
	s_addc_u32 s5, s15, -1
	s_mov_b64 s[6:7], 0
	s_mov_b32 s37, 0
                                        ; implicit-def: $sgpr38
	s_set_inst_prefetch_distance 0x1
	s_branch .LBB853_276
	.p2align	6
.LBB853_274:                            ;   in Loop: Header=BB853_276 Depth=1
	global_load_b64 v[39:40], v[37:38], off
	global_load_b64 v[41:42], v[35:36], off
	v_add_co_u32 v35, s0, v35, 8
	s_delay_alu instid0(VALU_DEP_1) | instskip(SKIP_1) | instid1(VALU_DEP_1)
	v_add_co_ci_u32_e64 v36, s0, 0, v36, s0
	v_add_co_u32 v37, s0, v37, 8
	v_add_co_ci_u32_e64 v38, s0, 0, v38, s0
	s_add_u32 s6, s6, 1
	s_addc_u32 s7, s7, 0
	s_and_not1_b32 s0, s38, exec_lo
	s_waitcnt vmcnt(0)
	v_cmp_neq_f64_e32 vcc_lo, v[39:40], v[41:42]
	s_and_b32 s38, vcc_lo, exec_lo
	s_delay_alu instid0(SALU_CYCLE_1)
	s_or_b32 s38, s0, s38
.LBB853_275:                            ;   in Loop: Header=BB853_276 Depth=1
	v_dual_mov_b32 v40, s7 :: v_dual_mov_b32 v39, s6
	s_and_b32 s0, exec_lo, s38
	s_delay_alu instid0(SALU_CYCLE_1) | instskip(NEXT) | instid1(SALU_CYCLE_1)
	s_or_b32 s37, s0, s37
	s_and_not1_b32 exec_lo, exec_lo, s37
	s_cbranch_execz .LBB853_278
.LBB853_276:                            ; =>This Inner Loop Header: Depth=1
	s_or_b32 s38, s38, exec_lo
	s_cmp_eq_u64 s[4:5], s[6:7]
	s_cbranch_scc0 .LBB853_274
; %bb.277:                              ;   in Loop: Header=BB853_276 Depth=1
	s_mov_b64 s[6:7], s[14:15]
                                        ; implicit-def: $vgpr35_vgpr36
                                        ; implicit-def: $vgpr37_vgpr38
	s_branch .LBB853_275
.LBB853_278:
	s_set_inst_prefetch_distance 0x2
	s_or_b32 exec_lo, exec_lo, s37
	v_cmp_gt_i64_e32 vcc_lo, s[14:15], v[39:40]
	s_or_not1_b32 s0, vcc_lo, exec_lo
.LBB853_279:
	s_or_b32 exec_lo, exec_lo, s36
.LBB853_280:
	v_cndmask_b32_e64 v36, 0, 1, s35
	v_cndmask_b32_e64 v37, 0, 1, s27
	v_cndmask_b32_e64 v38, 0, 1, s25
	v_cndmask_b32_e64 v39, 0, 1, s0
	v_cndmask_b32_e64 v35, 0, 1, s34
	v_cndmask_b32_e64 v40, 0, 1, s26
	v_cndmask_b32_e64 v41, 0, 1, s24
	v_lshlrev_b16 v37, 8, v37
	v_lshlrev_b16 v38, 8, v38
	;; [unrolled: 1-line block ×4, first 2 shown]
	s_waitcnt lgkmcnt(0)
	v_or_b32_e32 v37, v40, v37
	v_or_b32_e32 v38, v41, v38
	;; [unrolled: 1-line block ×4, first 2 shown]
	s_barrier
	v_and_b32_e32 v36, 0xffff, v37
	v_lshlrev_b32_e32 v37, 16, v38
	v_and_b32_e32 v38, 0xffff, v39
	v_lshlrev_b32_e32 v35, 16, v35
	buffer_gl0_inv
                                        ; implicit-def: $sgpr0
	v_or_b32_e32 v36, v36, v37
	v_or_b32_e32 v35, v38, v35
	s_and_saveexec_b32 s4, s3
	s_delay_alu instid0(SALU_CYCLE_1)
	s_xor_b32 s24, exec_lo, s4
	s_cbranch_execz .LBB853_291
; %bb.281:
	s_and_not1_b32 vcc_lo, exec_lo, s13
	s_mov_b32 s0, 0
	s_cbranch_vccnz .LBB853_290
; %bb.282:
	v_add_nc_u32_e32 v37, -8, v55
	v_lshlrev_b64 v[33:34], 3, v[33:34]
	s_mov_b32 s0, -1
	s_mov_b32 s25, exec_lo
	ds_load_b64 v[37:38], v37
	s_waitcnt lgkmcnt(0)
	v_mul_lo_u32 v40, v38, s14
	v_mul_lo_u32 v41, v37, s15
	v_mad_u64_u32 v[38:39], null, v37, s14, 0
	s_delay_alu instid0(VALU_DEP_1) | instskip(NEXT) | instid1(VALU_DEP_1)
	v_add3_u32 v39, v39, v41, v40
	v_lshlrev_b64 v[37:38], 3, v[38:39]
	s_delay_alu instid0(VALU_DEP_1) | instskip(NEXT) | instid1(VALU_DEP_2)
	v_add_co_u32 v37, vcc_lo, s20, v37
	v_add_co_ci_u32_e32 v38, vcc_lo, s21, v38, vcc_lo
	v_add_co_u32 v33, vcc_lo, s20, v33
	v_add_co_ci_u32_e32 v34, vcc_lo, s21, v34, vcc_lo
	s_clause 0x1
	global_load_b64 v[39:40], v[37:38], off
	global_load_b64 v[41:42], v[33:34], off
	s_waitcnt vmcnt(0)
	v_cmpx_eq_f64_e32 v[39:40], v[41:42]
	s_cbranch_execz .LBB853_289
; %bb.283:
	v_add_co_u32 v33, vcc_lo, v33, 8
	v_add_co_ci_u32_e32 v34, vcc_lo, 0, v34, vcc_lo
	v_add_co_u32 v37, vcc_lo, v37, 8
	v_add_co_ci_u32_e32 v38, vcc_lo, 0, v38, vcc_lo
	s_add_u32 s4, s14, -1
	s_addc_u32 s5, s15, -1
	s_mov_b64 s[6:7], 0
	s_mov_b32 s26, 0
                                        ; implicit-def: $sgpr27
	s_set_inst_prefetch_distance 0x1
	s_branch .LBB853_286
	.p2align	6
.LBB853_284:                            ;   in Loop: Header=BB853_286 Depth=1
	global_load_b64 v[39:40], v[37:38], off
	global_load_b64 v[41:42], v[33:34], off
	v_add_co_u32 v33, s0, v33, 8
	s_delay_alu instid0(VALU_DEP_1) | instskip(SKIP_1) | instid1(VALU_DEP_1)
	v_add_co_ci_u32_e64 v34, s0, 0, v34, s0
	v_add_co_u32 v37, s0, v37, 8
	v_add_co_ci_u32_e64 v38, s0, 0, v38, s0
	s_add_u32 s6, s6, 1
	s_addc_u32 s7, s7, 0
	s_and_not1_b32 s0, s27, exec_lo
	s_waitcnt vmcnt(0)
	v_cmp_neq_f64_e32 vcc_lo, v[39:40], v[41:42]
	s_and_b32 s27, vcc_lo, exec_lo
	s_delay_alu instid0(SALU_CYCLE_1)
	s_or_b32 s27, s0, s27
.LBB853_285:                            ;   in Loop: Header=BB853_286 Depth=1
	v_dual_mov_b32 v40, s7 :: v_dual_mov_b32 v39, s6
	s_and_b32 s0, exec_lo, s27
	s_delay_alu instid0(SALU_CYCLE_1) | instskip(NEXT) | instid1(SALU_CYCLE_1)
	s_or_b32 s26, s0, s26
	s_and_not1_b32 exec_lo, exec_lo, s26
	s_cbranch_execz .LBB853_288
.LBB853_286:                            ; =>This Inner Loop Header: Depth=1
	s_or_b32 s27, s27, exec_lo
	s_cmp_eq_u64 s[4:5], s[6:7]
	s_cbranch_scc0 .LBB853_284
; %bb.287:                              ;   in Loop: Header=BB853_286 Depth=1
	s_mov_b64 s[6:7], s[14:15]
                                        ; implicit-def: $vgpr33_vgpr34
                                        ; implicit-def: $vgpr37_vgpr38
	s_branch .LBB853_285
.LBB853_288:
	s_set_inst_prefetch_distance 0x2
	s_or_b32 exec_lo, exec_lo, s26
	v_cmp_gt_i64_e32 vcc_lo, s[14:15], v[39:40]
	s_or_not1_b32 s0, vcc_lo, exec_lo
.LBB853_289:
	s_or_b32 exec_lo, exec_lo, s25
.LBB853_290:
	s_delay_alu instid0(SALU_CYCLE_1)
	s_and_b32 s0, s0, exec_lo
	s_or_b32 s1, s1, exec_lo
.LBB853_291:
	s_or_b32 exec_lo, exec_lo, s24
	s_branch .LBB853_383
.LBB853_292:
	s_waitcnt vmcnt(0) lgkmcnt(1)
	v_or_b32_e32 v33, 7, v55
	s_mov_b32 s24, 0
	s_mov_b32 s25, 0
	s_mov_b32 s26, exec_lo
	s_delay_alu instid0(VALU_DEP_1)
	v_cmpx_gt_u32_e64 s31, v33
	s_cbranch_execz .LBB853_303
; %bb.293:
	s_and_not1_b32 vcc_lo, exec_lo, s13
	s_mov_b32 s0, 0
	s_cbranch_vccnz .LBB853_302
; %bb.294:
	v_mul_lo_u32 v37, v18, s14
	v_mul_lo_u32 v38, v17, s15
	v_mad_u64_u32 v[33:34], null, v17, s14, 0
	v_mul_lo_u32 v39, v20, s14
	v_mul_lo_u32 v40, v19, s15
	v_mad_u64_u32 v[35:36], null, v19, s14, 0
	s_mov_b32 s0, -1
	s_mov_b32 s25, exec_lo
	s_delay_alu instid0(VALU_DEP_4) | instskip(NEXT) | instid1(VALU_DEP_2)
	v_add3_u32 v34, v34, v38, v37
	v_add3_u32 v36, v36, v40, v39
	s_delay_alu instid0(VALU_DEP_2) | instskip(NEXT) | instid1(VALU_DEP_2)
	v_lshlrev_b64 v[33:34], 3, v[33:34]
	v_lshlrev_b64 v[37:38], 3, v[35:36]
	s_delay_alu instid0(VALU_DEP_2) | instskip(NEXT) | instid1(VALU_DEP_3)
	v_add_co_u32 v35, vcc_lo, s20, v33
	v_add_co_ci_u32_e32 v36, vcc_lo, s21, v34, vcc_lo
	s_delay_alu instid0(VALU_DEP_3) | instskip(NEXT) | instid1(VALU_DEP_4)
	v_add_co_u32 v33, vcc_lo, s20, v37
	v_add_co_ci_u32_e32 v34, vcc_lo, s21, v38, vcc_lo
	s_clause 0x1
	global_load_b64 v[37:38], v[35:36], off
	global_load_b64 v[39:40], v[33:34], off
	s_waitcnt vmcnt(0)
	v_cmpx_eq_f64_e32 v[37:38], v[39:40]
	s_cbranch_execz .LBB853_301
; %bb.295:
	v_add_co_u32 v33, vcc_lo, v33, 8
	v_add_co_ci_u32_e32 v34, vcc_lo, 0, v34, vcc_lo
	v_add_co_u32 v35, vcc_lo, v35, 8
	v_add_co_ci_u32_e32 v36, vcc_lo, 0, v36, vcc_lo
	s_add_u32 s4, s14, -1
	s_addc_u32 s5, s15, -1
	s_mov_b64 s[6:7], 0
	s_mov_b32 s27, 0
                                        ; implicit-def: $sgpr34
	s_set_inst_prefetch_distance 0x1
	s_branch .LBB853_298
	.p2align	6
.LBB853_296:                            ;   in Loop: Header=BB853_298 Depth=1
	global_load_b64 v[37:38], v[35:36], off
	global_load_b64 v[39:40], v[33:34], off
	v_add_co_u32 v33, s0, v33, 8
	s_delay_alu instid0(VALU_DEP_1) | instskip(SKIP_1) | instid1(VALU_DEP_1)
	v_add_co_ci_u32_e64 v34, s0, 0, v34, s0
	v_add_co_u32 v35, s0, v35, 8
	v_add_co_ci_u32_e64 v36, s0, 0, v36, s0
	s_add_u32 s6, s6, 1
	s_addc_u32 s7, s7, 0
	s_and_not1_b32 s0, s34, exec_lo
	s_waitcnt vmcnt(0)
	v_cmp_neq_f64_e32 vcc_lo, v[37:38], v[39:40]
	s_and_b32 s34, vcc_lo, exec_lo
	s_delay_alu instid0(SALU_CYCLE_1)
	s_or_b32 s34, s0, s34
.LBB853_297:                            ;   in Loop: Header=BB853_298 Depth=1
	v_dual_mov_b32 v38, s7 :: v_dual_mov_b32 v37, s6
	s_and_b32 s0, exec_lo, s34
	s_delay_alu instid0(SALU_CYCLE_1) | instskip(NEXT) | instid1(SALU_CYCLE_1)
	s_or_b32 s27, s0, s27
	s_and_not1_b32 exec_lo, exec_lo, s27
	s_cbranch_execz .LBB853_300
.LBB853_298:                            ; =>This Inner Loop Header: Depth=1
	s_or_b32 s34, s34, exec_lo
	s_cmp_eq_u64 s[4:5], s[6:7]
	s_cbranch_scc0 .LBB853_296
; %bb.299:                              ;   in Loop: Header=BB853_298 Depth=1
	s_mov_b64 s[6:7], s[14:15]
                                        ; implicit-def: $vgpr33_vgpr34
                                        ; implicit-def: $vgpr35_vgpr36
	s_branch .LBB853_297
.LBB853_300:
	s_set_inst_prefetch_distance 0x2
	s_or_b32 exec_lo, exec_lo, s27
	v_cmp_gt_i64_e32 vcc_lo, s[14:15], v[37:38]
	s_or_not1_b32 s0, vcc_lo, exec_lo
.LBB853_301:
	s_or_b32 exec_lo, exec_lo, s25
.LBB853_302:
	s_delay_alu instid0(SALU_CYCLE_1)
	s_and_b32 s25, s0, exec_lo
.LBB853_303:
	s_or_b32 exec_lo, exec_lo, s26
	v_or_b32_e32 v33, 6, v55
	s_mov_b32 s26, exec_lo
	s_delay_alu instid0(VALU_DEP_1)
	v_cmpx_gt_u32_e64 s31, v33
	s_cbranch_execz .LBB853_314
; %bb.304:
	s_and_not1_b32 vcc_lo, exec_lo, s13
	s_mov_b32 s0, 0
	s_cbranch_vccnz .LBB853_313
; %bb.305:
	v_mul_lo_u32 v37, v24, s14
	v_mul_lo_u32 v38, v23, s15
	v_mad_u64_u32 v[33:34], null, v23, s14, 0
	v_mul_lo_u32 v39, v18, s14
	v_mul_lo_u32 v40, v17, s15
	v_mad_u64_u32 v[35:36], null, v17, s14, 0
	s_mov_b32 s0, -1
	s_mov_b32 s24, exec_lo
	s_delay_alu instid0(VALU_DEP_4) | instskip(NEXT) | instid1(VALU_DEP_2)
	v_add3_u32 v34, v34, v38, v37
	v_add3_u32 v36, v36, v40, v39
	s_delay_alu instid0(VALU_DEP_2) | instskip(NEXT) | instid1(VALU_DEP_2)
	v_lshlrev_b64 v[33:34], 3, v[33:34]
	v_lshlrev_b64 v[37:38], 3, v[35:36]
	s_delay_alu instid0(VALU_DEP_2) | instskip(NEXT) | instid1(VALU_DEP_3)
	v_add_co_u32 v35, vcc_lo, s20, v33
	v_add_co_ci_u32_e32 v36, vcc_lo, s21, v34, vcc_lo
	s_delay_alu instid0(VALU_DEP_3) | instskip(NEXT) | instid1(VALU_DEP_4)
	v_add_co_u32 v33, vcc_lo, s20, v37
	v_add_co_ci_u32_e32 v34, vcc_lo, s21, v38, vcc_lo
	s_clause 0x1
	global_load_b64 v[37:38], v[35:36], off
	global_load_b64 v[39:40], v[33:34], off
	s_waitcnt vmcnt(0)
	v_cmpx_eq_f64_e32 v[37:38], v[39:40]
	s_cbranch_execz .LBB853_312
; %bb.306:
	v_add_co_u32 v33, vcc_lo, v33, 8
	v_add_co_ci_u32_e32 v34, vcc_lo, 0, v34, vcc_lo
	v_add_co_u32 v35, vcc_lo, v35, 8
	v_add_co_ci_u32_e32 v36, vcc_lo, 0, v36, vcc_lo
	s_add_u32 s4, s14, -1
	s_addc_u32 s5, s15, -1
	s_mov_b64 s[6:7], 0
	s_mov_b32 s27, 0
                                        ; implicit-def: $sgpr34
	s_set_inst_prefetch_distance 0x1
	s_branch .LBB853_309
	.p2align	6
.LBB853_307:                            ;   in Loop: Header=BB853_309 Depth=1
	global_load_b64 v[37:38], v[35:36], off
	global_load_b64 v[39:40], v[33:34], off
	v_add_co_u32 v33, s0, v33, 8
	s_delay_alu instid0(VALU_DEP_1) | instskip(SKIP_1) | instid1(VALU_DEP_1)
	v_add_co_ci_u32_e64 v34, s0, 0, v34, s0
	v_add_co_u32 v35, s0, v35, 8
	v_add_co_ci_u32_e64 v36, s0, 0, v36, s0
	s_add_u32 s6, s6, 1
	s_addc_u32 s7, s7, 0
	s_and_not1_b32 s0, s34, exec_lo
	s_waitcnt vmcnt(0)
	v_cmp_neq_f64_e32 vcc_lo, v[37:38], v[39:40]
	s_and_b32 s34, vcc_lo, exec_lo
	s_delay_alu instid0(SALU_CYCLE_1)
	s_or_b32 s34, s0, s34
.LBB853_308:                            ;   in Loop: Header=BB853_309 Depth=1
	v_dual_mov_b32 v38, s7 :: v_dual_mov_b32 v37, s6
	s_and_b32 s0, exec_lo, s34
	s_delay_alu instid0(SALU_CYCLE_1) | instskip(NEXT) | instid1(SALU_CYCLE_1)
	s_or_b32 s27, s0, s27
	s_and_not1_b32 exec_lo, exec_lo, s27
	s_cbranch_execz .LBB853_311
.LBB853_309:                            ; =>This Inner Loop Header: Depth=1
	s_or_b32 s34, s34, exec_lo
	s_cmp_eq_u64 s[4:5], s[6:7]
	s_cbranch_scc0 .LBB853_307
; %bb.310:                              ;   in Loop: Header=BB853_309 Depth=1
	s_mov_b64 s[6:7], s[14:15]
                                        ; implicit-def: $vgpr33_vgpr34
                                        ; implicit-def: $vgpr35_vgpr36
	s_branch .LBB853_308
.LBB853_311:
	s_set_inst_prefetch_distance 0x2
	s_or_b32 exec_lo, exec_lo, s27
	v_cmp_gt_i64_e32 vcc_lo, s[14:15], v[37:38]
	s_or_not1_b32 s0, vcc_lo, exec_lo
.LBB853_312:
	s_or_b32 exec_lo, exec_lo, s24
.LBB853_313:
	s_delay_alu instid0(SALU_CYCLE_1)
	s_and_b32 s24, s0, exec_lo
.LBB853_314:
	s_or_b32 exec_lo, exec_lo, s26
	v_or_b32_e32 v33, 5, v55
	s_mov_b32 s26, 0
	s_mov_b32 s27, 0
	s_mov_b32 s34, exec_lo
	s_delay_alu instid0(VALU_DEP_1)
	v_cmpx_gt_u32_e64 s31, v33
	s_cbranch_execz .LBB853_325
; %bb.315:
	s_and_not1_b32 vcc_lo, exec_lo, s13
	s_mov_b32 s0, 0
	s_cbranch_vccnz .LBB853_324
; %bb.316:
	v_mul_lo_u32 v37, v22, s14
	v_mul_lo_u32 v38, v21, s15
	v_mad_u64_u32 v[33:34], null, v21, s14, 0
	v_mul_lo_u32 v39, v24, s14
	v_mul_lo_u32 v40, v23, s15
	v_mad_u64_u32 v[35:36], null, v23, s14, 0
	s_mov_b32 s0, -1
	s_mov_b32 s27, exec_lo
	s_delay_alu instid0(VALU_DEP_4) | instskip(NEXT) | instid1(VALU_DEP_2)
	v_add3_u32 v34, v34, v38, v37
	v_add3_u32 v36, v36, v40, v39
	s_delay_alu instid0(VALU_DEP_2) | instskip(NEXT) | instid1(VALU_DEP_2)
	v_lshlrev_b64 v[33:34], 3, v[33:34]
	v_lshlrev_b64 v[37:38], 3, v[35:36]
	s_delay_alu instid0(VALU_DEP_2) | instskip(NEXT) | instid1(VALU_DEP_3)
	v_add_co_u32 v35, vcc_lo, s20, v33
	v_add_co_ci_u32_e32 v36, vcc_lo, s21, v34, vcc_lo
	s_delay_alu instid0(VALU_DEP_3) | instskip(NEXT) | instid1(VALU_DEP_4)
	v_add_co_u32 v33, vcc_lo, s20, v37
	v_add_co_ci_u32_e32 v34, vcc_lo, s21, v38, vcc_lo
	s_clause 0x1
	global_load_b64 v[37:38], v[35:36], off
	global_load_b64 v[39:40], v[33:34], off
	s_waitcnt vmcnt(0)
	v_cmpx_eq_f64_e32 v[37:38], v[39:40]
	s_cbranch_execz .LBB853_323
; %bb.317:
	v_add_co_u32 v33, vcc_lo, v33, 8
	v_add_co_ci_u32_e32 v34, vcc_lo, 0, v34, vcc_lo
	v_add_co_u32 v35, vcc_lo, v35, 8
	v_add_co_ci_u32_e32 v36, vcc_lo, 0, v36, vcc_lo
	s_add_u32 s4, s14, -1
	s_addc_u32 s5, s15, -1
	s_mov_b64 s[6:7], 0
	s_mov_b32 s35, 0
                                        ; implicit-def: $sgpr36
	s_set_inst_prefetch_distance 0x1
	s_branch .LBB853_320
	.p2align	6
.LBB853_318:                            ;   in Loop: Header=BB853_320 Depth=1
	global_load_b64 v[37:38], v[35:36], off
	global_load_b64 v[39:40], v[33:34], off
	v_add_co_u32 v33, s0, v33, 8
	s_delay_alu instid0(VALU_DEP_1) | instskip(SKIP_1) | instid1(VALU_DEP_1)
	v_add_co_ci_u32_e64 v34, s0, 0, v34, s0
	v_add_co_u32 v35, s0, v35, 8
	v_add_co_ci_u32_e64 v36, s0, 0, v36, s0
	s_add_u32 s6, s6, 1
	s_addc_u32 s7, s7, 0
	s_and_not1_b32 s0, s36, exec_lo
	s_waitcnt vmcnt(0)
	v_cmp_neq_f64_e32 vcc_lo, v[37:38], v[39:40]
	s_and_b32 s36, vcc_lo, exec_lo
	s_delay_alu instid0(SALU_CYCLE_1)
	s_or_b32 s36, s0, s36
.LBB853_319:                            ;   in Loop: Header=BB853_320 Depth=1
	v_dual_mov_b32 v38, s7 :: v_dual_mov_b32 v37, s6
	s_and_b32 s0, exec_lo, s36
	s_delay_alu instid0(SALU_CYCLE_1) | instskip(NEXT) | instid1(SALU_CYCLE_1)
	s_or_b32 s35, s0, s35
	s_and_not1_b32 exec_lo, exec_lo, s35
	s_cbranch_execz .LBB853_322
.LBB853_320:                            ; =>This Inner Loop Header: Depth=1
	s_or_b32 s36, s36, exec_lo
	s_cmp_eq_u64 s[4:5], s[6:7]
	s_cbranch_scc0 .LBB853_318
; %bb.321:                              ;   in Loop: Header=BB853_320 Depth=1
	s_mov_b64 s[6:7], s[14:15]
                                        ; implicit-def: $vgpr33_vgpr34
                                        ; implicit-def: $vgpr35_vgpr36
	s_branch .LBB853_319
.LBB853_322:
	s_set_inst_prefetch_distance 0x2
	s_or_b32 exec_lo, exec_lo, s35
	v_cmp_gt_i64_e32 vcc_lo, s[14:15], v[37:38]
	s_or_not1_b32 s0, vcc_lo, exec_lo
.LBB853_323:
	s_or_b32 exec_lo, exec_lo, s27
.LBB853_324:
	s_delay_alu instid0(SALU_CYCLE_1)
	s_and_b32 s27, s0, exec_lo
.LBB853_325:
	s_or_b32 exec_lo, exec_lo, s34
	v_or_b32_e32 v33, 4, v55
	s_mov_b32 s34, exec_lo
	s_delay_alu instid0(VALU_DEP_1)
	v_cmpx_gt_u32_e64 s31, v33
	s_cbranch_execz .LBB853_336
; %bb.326:
	s_and_not1_b32 vcc_lo, exec_lo, s13
	s_mov_b32 s0, 0
	s_cbranch_vccnz .LBB853_335
; %bb.327:
	v_mul_lo_u32 v37, v28, s14
	v_mul_lo_u32 v38, v27, s15
	v_mad_u64_u32 v[33:34], null, v27, s14, 0
	v_mul_lo_u32 v39, v22, s14
	v_mul_lo_u32 v40, v21, s15
	v_mad_u64_u32 v[35:36], null, v21, s14, 0
	s_mov_b32 s0, -1
	s_mov_b32 s26, exec_lo
	s_delay_alu instid0(VALU_DEP_4) | instskip(NEXT) | instid1(VALU_DEP_2)
	v_add3_u32 v34, v34, v38, v37
	v_add3_u32 v36, v36, v40, v39
	s_delay_alu instid0(VALU_DEP_2) | instskip(NEXT) | instid1(VALU_DEP_2)
	v_lshlrev_b64 v[33:34], 3, v[33:34]
	v_lshlrev_b64 v[37:38], 3, v[35:36]
	s_delay_alu instid0(VALU_DEP_2) | instskip(NEXT) | instid1(VALU_DEP_3)
	v_add_co_u32 v35, vcc_lo, s20, v33
	v_add_co_ci_u32_e32 v36, vcc_lo, s21, v34, vcc_lo
	s_delay_alu instid0(VALU_DEP_3) | instskip(NEXT) | instid1(VALU_DEP_4)
	v_add_co_u32 v33, vcc_lo, s20, v37
	v_add_co_ci_u32_e32 v34, vcc_lo, s21, v38, vcc_lo
	s_clause 0x1
	global_load_b64 v[37:38], v[35:36], off
	global_load_b64 v[39:40], v[33:34], off
	s_waitcnt vmcnt(0)
	v_cmpx_eq_f64_e32 v[37:38], v[39:40]
	s_cbranch_execz .LBB853_334
; %bb.328:
	v_add_co_u32 v33, vcc_lo, v33, 8
	v_add_co_ci_u32_e32 v34, vcc_lo, 0, v34, vcc_lo
	v_add_co_u32 v35, vcc_lo, v35, 8
	v_add_co_ci_u32_e32 v36, vcc_lo, 0, v36, vcc_lo
	s_add_u32 s4, s14, -1
	s_addc_u32 s5, s15, -1
	s_mov_b64 s[6:7], 0
	s_mov_b32 s35, 0
                                        ; implicit-def: $sgpr36
	s_set_inst_prefetch_distance 0x1
	s_branch .LBB853_331
	.p2align	6
.LBB853_329:                            ;   in Loop: Header=BB853_331 Depth=1
	global_load_b64 v[37:38], v[35:36], off
	global_load_b64 v[39:40], v[33:34], off
	v_add_co_u32 v33, s0, v33, 8
	s_delay_alu instid0(VALU_DEP_1) | instskip(SKIP_1) | instid1(VALU_DEP_1)
	v_add_co_ci_u32_e64 v34, s0, 0, v34, s0
	v_add_co_u32 v35, s0, v35, 8
	v_add_co_ci_u32_e64 v36, s0, 0, v36, s0
	s_add_u32 s6, s6, 1
	s_addc_u32 s7, s7, 0
	s_and_not1_b32 s0, s36, exec_lo
	s_waitcnt vmcnt(0)
	v_cmp_neq_f64_e32 vcc_lo, v[37:38], v[39:40]
	s_and_b32 s36, vcc_lo, exec_lo
	s_delay_alu instid0(SALU_CYCLE_1)
	s_or_b32 s36, s0, s36
.LBB853_330:                            ;   in Loop: Header=BB853_331 Depth=1
	v_dual_mov_b32 v38, s7 :: v_dual_mov_b32 v37, s6
	s_and_b32 s0, exec_lo, s36
	s_delay_alu instid0(SALU_CYCLE_1) | instskip(NEXT) | instid1(SALU_CYCLE_1)
	s_or_b32 s35, s0, s35
	s_and_not1_b32 exec_lo, exec_lo, s35
	s_cbranch_execz .LBB853_333
.LBB853_331:                            ; =>This Inner Loop Header: Depth=1
	s_or_b32 s36, s36, exec_lo
	s_cmp_eq_u64 s[4:5], s[6:7]
	s_cbranch_scc0 .LBB853_329
; %bb.332:                              ;   in Loop: Header=BB853_331 Depth=1
	s_mov_b64 s[6:7], s[14:15]
                                        ; implicit-def: $vgpr33_vgpr34
                                        ; implicit-def: $vgpr35_vgpr36
	s_branch .LBB853_330
.LBB853_333:
	s_set_inst_prefetch_distance 0x2
	s_or_b32 exec_lo, exec_lo, s35
	v_cmp_gt_i64_e32 vcc_lo, s[14:15], v[37:38]
	s_or_not1_b32 s0, vcc_lo, exec_lo
.LBB853_334:
	s_or_b32 exec_lo, exec_lo, s26
.LBB853_335:
	s_delay_alu instid0(SALU_CYCLE_1)
	s_and_b32 s26, s0, exec_lo
.LBB853_336:
	s_or_b32 exec_lo, exec_lo, s34
	v_or_b32_e32 v33, 3, v55
	s_mov_b32 s35, 0
	s_mov_b32 s34, 0
	s_mov_b32 s36, exec_lo
	s_delay_alu instid0(VALU_DEP_1)
	v_cmpx_gt_u32_e64 s31, v33
	s_cbranch_execz .LBB853_347
; %bb.337:
	s_and_not1_b32 vcc_lo, exec_lo, s13
	s_mov_b32 s0, 0
	s_cbranch_vccnz .LBB853_346
; %bb.338:
	v_mul_lo_u32 v37, v26, s14
	v_mul_lo_u32 v38, v25, s15
	v_mad_u64_u32 v[33:34], null, v25, s14, 0
	v_mul_lo_u32 v39, v28, s14
	v_mul_lo_u32 v40, v27, s15
	v_mad_u64_u32 v[35:36], null, v27, s14, 0
	s_mov_b32 s0, -1
	s_mov_b32 s34, exec_lo
	s_delay_alu instid0(VALU_DEP_4) | instskip(NEXT) | instid1(VALU_DEP_2)
	v_add3_u32 v34, v34, v38, v37
	v_add3_u32 v36, v36, v40, v39
	s_delay_alu instid0(VALU_DEP_2) | instskip(NEXT) | instid1(VALU_DEP_2)
	v_lshlrev_b64 v[33:34], 3, v[33:34]
	v_lshlrev_b64 v[37:38], 3, v[35:36]
	s_delay_alu instid0(VALU_DEP_2) | instskip(NEXT) | instid1(VALU_DEP_3)
	v_add_co_u32 v35, vcc_lo, s20, v33
	v_add_co_ci_u32_e32 v36, vcc_lo, s21, v34, vcc_lo
	s_delay_alu instid0(VALU_DEP_3) | instskip(NEXT) | instid1(VALU_DEP_4)
	v_add_co_u32 v33, vcc_lo, s20, v37
	v_add_co_ci_u32_e32 v34, vcc_lo, s21, v38, vcc_lo
	s_clause 0x1
	global_load_b64 v[37:38], v[35:36], off
	global_load_b64 v[39:40], v[33:34], off
	s_waitcnt vmcnt(0)
	v_cmpx_eq_f64_e32 v[37:38], v[39:40]
	s_cbranch_execz .LBB853_345
; %bb.339:
	v_add_co_u32 v33, vcc_lo, v33, 8
	v_add_co_ci_u32_e32 v34, vcc_lo, 0, v34, vcc_lo
	v_add_co_u32 v35, vcc_lo, v35, 8
	v_add_co_ci_u32_e32 v36, vcc_lo, 0, v36, vcc_lo
	s_add_u32 s4, s14, -1
	s_addc_u32 s5, s15, -1
	s_mov_b64 s[6:7], 0
	s_mov_b32 s37, 0
                                        ; implicit-def: $sgpr38
	s_set_inst_prefetch_distance 0x1
	s_branch .LBB853_342
	.p2align	6
.LBB853_340:                            ;   in Loop: Header=BB853_342 Depth=1
	global_load_b64 v[37:38], v[35:36], off
	global_load_b64 v[39:40], v[33:34], off
	v_add_co_u32 v33, s0, v33, 8
	s_delay_alu instid0(VALU_DEP_1) | instskip(SKIP_1) | instid1(VALU_DEP_1)
	v_add_co_ci_u32_e64 v34, s0, 0, v34, s0
	v_add_co_u32 v35, s0, v35, 8
	v_add_co_ci_u32_e64 v36, s0, 0, v36, s0
	s_add_u32 s6, s6, 1
	s_addc_u32 s7, s7, 0
	s_and_not1_b32 s0, s38, exec_lo
	s_waitcnt vmcnt(0)
	v_cmp_neq_f64_e32 vcc_lo, v[37:38], v[39:40]
	s_and_b32 s38, vcc_lo, exec_lo
	s_delay_alu instid0(SALU_CYCLE_1)
	s_or_b32 s38, s0, s38
.LBB853_341:                            ;   in Loop: Header=BB853_342 Depth=1
	v_dual_mov_b32 v38, s7 :: v_dual_mov_b32 v37, s6
	s_and_b32 s0, exec_lo, s38
	s_delay_alu instid0(SALU_CYCLE_1) | instskip(NEXT) | instid1(SALU_CYCLE_1)
	s_or_b32 s37, s0, s37
	s_and_not1_b32 exec_lo, exec_lo, s37
	s_cbranch_execz .LBB853_344
.LBB853_342:                            ; =>This Inner Loop Header: Depth=1
	s_or_b32 s38, s38, exec_lo
	s_cmp_eq_u64 s[4:5], s[6:7]
	s_cbranch_scc0 .LBB853_340
; %bb.343:                              ;   in Loop: Header=BB853_342 Depth=1
	s_mov_b64 s[6:7], s[14:15]
                                        ; implicit-def: $vgpr33_vgpr34
                                        ; implicit-def: $vgpr35_vgpr36
	s_branch .LBB853_341
.LBB853_344:
	s_set_inst_prefetch_distance 0x2
	s_or_b32 exec_lo, exec_lo, s37
	v_cmp_gt_i64_e32 vcc_lo, s[14:15], v[37:38]
	s_or_not1_b32 s0, vcc_lo, exec_lo
.LBB853_345:
	s_or_b32 exec_lo, exec_lo, s34
.LBB853_346:
	s_delay_alu instid0(SALU_CYCLE_1)
	s_and_b32 s34, s0, exec_lo
.LBB853_347:
	s_or_b32 exec_lo, exec_lo, s36
	v_or_b32_e32 v33, 2, v55
	s_mov_b32 s36, exec_lo
	s_delay_alu instid0(VALU_DEP_1)
	v_cmpx_gt_u32_e64 s31, v33
	s_cbranch_execz .LBB853_358
; %bb.348:
	s_and_not1_b32 vcc_lo, exec_lo, s13
	s_mov_b32 s0, 0
	s_cbranch_vccnz .LBB853_357
; %bb.349:
	v_mul_lo_u32 v37, v32, s14
	v_mul_lo_u32 v38, v31, s15
	v_mad_u64_u32 v[33:34], null, v31, s14, 0
	v_mul_lo_u32 v39, v26, s14
	v_mul_lo_u32 v40, v25, s15
	v_mad_u64_u32 v[35:36], null, v25, s14, 0
	s_mov_b32 s0, -1
	s_mov_b32 s35, exec_lo
	s_delay_alu instid0(VALU_DEP_4) | instskip(NEXT) | instid1(VALU_DEP_2)
	v_add3_u32 v34, v34, v38, v37
	v_add3_u32 v36, v36, v40, v39
	s_delay_alu instid0(VALU_DEP_2) | instskip(NEXT) | instid1(VALU_DEP_2)
	v_lshlrev_b64 v[33:34], 3, v[33:34]
	v_lshlrev_b64 v[37:38], 3, v[35:36]
	s_delay_alu instid0(VALU_DEP_2) | instskip(NEXT) | instid1(VALU_DEP_3)
	v_add_co_u32 v35, vcc_lo, s20, v33
	v_add_co_ci_u32_e32 v36, vcc_lo, s21, v34, vcc_lo
	s_delay_alu instid0(VALU_DEP_3) | instskip(NEXT) | instid1(VALU_DEP_4)
	v_add_co_u32 v33, vcc_lo, s20, v37
	v_add_co_ci_u32_e32 v34, vcc_lo, s21, v38, vcc_lo
	s_clause 0x1
	global_load_b64 v[37:38], v[35:36], off
	global_load_b64 v[39:40], v[33:34], off
	s_waitcnt vmcnt(0)
	v_cmpx_eq_f64_e32 v[37:38], v[39:40]
	s_cbranch_execz .LBB853_356
; %bb.350:
	v_add_co_u32 v33, vcc_lo, v33, 8
	v_add_co_ci_u32_e32 v34, vcc_lo, 0, v34, vcc_lo
	v_add_co_u32 v35, vcc_lo, v35, 8
	v_add_co_ci_u32_e32 v36, vcc_lo, 0, v36, vcc_lo
	s_add_u32 s4, s14, -1
	s_addc_u32 s5, s15, -1
	s_mov_b64 s[6:7], 0
	s_mov_b32 s37, 0
                                        ; implicit-def: $sgpr38
	s_set_inst_prefetch_distance 0x1
	s_branch .LBB853_353
	.p2align	6
.LBB853_351:                            ;   in Loop: Header=BB853_353 Depth=1
	global_load_b64 v[37:38], v[35:36], off
	global_load_b64 v[39:40], v[33:34], off
	v_add_co_u32 v33, s0, v33, 8
	s_delay_alu instid0(VALU_DEP_1) | instskip(SKIP_1) | instid1(VALU_DEP_1)
	v_add_co_ci_u32_e64 v34, s0, 0, v34, s0
	v_add_co_u32 v35, s0, v35, 8
	v_add_co_ci_u32_e64 v36, s0, 0, v36, s0
	s_add_u32 s6, s6, 1
	s_addc_u32 s7, s7, 0
	s_and_not1_b32 s0, s38, exec_lo
	s_waitcnt vmcnt(0)
	v_cmp_neq_f64_e32 vcc_lo, v[37:38], v[39:40]
	s_and_b32 s38, vcc_lo, exec_lo
	s_delay_alu instid0(SALU_CYCLE_1)
	s_or_b32 s38, s0, s38
.LBB853_352:                            ;   in Loop: Header=BB853_353 Depth=1
	v_dual_mov_b32 v38, s7 :: v_dual_mov_b32 v37, s6
	s_and_b32 s0, exec_lo, s38
	s_delay_alu instid0(SALU_CYCLE_1) | instskip(NEXT) | instid1(SALU_CYCLE_1)
	s_or_b32 s37, s0, s37
	s_and_not1_b32 exec_lo, exec_lo, s37
	s_cbranch_execz .LBB853_355
.LBB853_353:                            ; =>This Inner Loop Header: Depth=1
	s_or_b32 s38, s38, exec_lo
	s_cmp_eq_u64 s[4:5], s[6:7]
	s_cbranch_scc0 .LBB853_351
; %bb.354:                              ;   in Loop: Header=BB853_353 Depth=1
	s_mov_b64 s[6:7], s[14:15]
                                        ; implicit-def: $vgpr33_vgpr34
                                        ; implicit-def: $vgpr35_vgpr36
	s_branch .LBB853_352
.LBB853_355:
	s_set_inst_prefetch_distance 0x2
	s_or_b32 exec_lo, exec_lo, s37
	v_cmp_gt_i64_e32 vcc_lo, s[14:15], v[37:38]
	s_or_not1_b32 s0, vcc_lo, exec_lo
.LBB853_356:
	s_or_b32 exec_lo, exec_lo, s35
.LBB853_357:
	s_delay_alu instid0(SALU_CYCLE_1)
	s_and_b32 s35, s0, exec_lo
.LBB853_358:
	s_or_b32 exec_lo, exec_lo, s36
	v_or_b32_e32 v33, 1, v55
	s_mov_b32 s0, 0
	s_mov_b32 s36, exec_lo
	s_delay_alu instid0(VALU_DEP_1)
	v_cmpx_gt_u32_e64 s31, v33
	s_cbranch_execz .LBB853_369
; %bb.359:
	s_and_not1_b32 vcc_lo, exec_lo, s13
	s_cbranch_vccnz .LBB853_368
; %bb.360:
	v_mul_lo_u32 v37, v30, s14
	v_mul_lo_u32 v38, v29, s15
	v_mad_u64_u32 v[33:34], null, v29, s14, 0
	v_mul_lo_u32 v39, v32, s14
	v_mul_lo_u32 v40, v31, s15
	v_mad_u64_u32 v[35:36], null, v31, s14, 0
	s_mov_b32 s0, -1
	s_mov_b32 s37, exec_lo
	s_delay_alu instid0(VALU_DEP_4) | instskip(NEXT) | instid1(VALU_DEP_2)
	v_add3_u32 v34, v34, v38, v37
	v_add3_u32 v36, v36, v40, v39
	s_delay_alu instid0(VALU_DEP_2) | instskip(NEXT) | instid1(VALU_DEP_2)
	v_lshlrev_b64 v[33:34], 3, v[33:34]
	v_lshlrev_b64 v[37:38], 3, v[35:36]
	s_delay_alu instid0(VALU_DEP_2) | instskip(NEXT) | instid1(VALU_DEP_3)
	v_add_co_u32 v35, vcc_lo, s20, v33
	v_add_co_ci_u32_e32 v36, vcc_lo, s21, v34, vcc_lo
	s_delay_alu instid0(VALU_DEP_3) | instskip(NEXT) | instid1(VALU_DEP_4)
	v_add_co_u32 v33, vcc_lo, s20, v37
	v_add_co_ci_u32_e32 v34, vcc_lo, s21, v38, vcc_lo
	s_clause 0x1
	global_load_b64 v[37:38], v[35:36], off
	global_load_b64 v[39:40], v[33:34], off
	s_waitcnt vmcnt(0)
	v_cmpx_eq_f64_e32 v[37:38], v[39:40]
	s_cbranch_execz .LBB853_367
; %bb.361:
	v_add_co_u32 v33, vcc_lo, v33, 8
	v_add_co_ci_u32_e32 v34, vcc_lo, 0, v34, vcc_lo
	v_add_co_u32 v35, vcc_lo, v35, 8
	v_add_co_ci_u32_e32 v36, vcc_lo, 0, v36, vcc_lo
	s_add_u32 s4, s14, -1
	s_addc_u32 s5, s15, -1
	s_mov_b64 s[6:7], 0
	s_mov_b32 s38, 0
                                        ; implicit-def: $sgpr39
	s_set_inst_prefetch_distance 0x1
	s_branch .LBB853_364
	.p2align	6
.LBB853_362:                            ;   in Loop: Header=BB853_364 Depth=1
	global_load_b64 v[37:38], v[35:36], off
	global_load_b64 v[39:40], v[33:34], off
	v_add_co_u32 v33, s0, v33, 8
	s_delay_alu instid0(VALU_DEP_1) | instskip(SKIP_1) | instid1(VALU_DEP_1)
	v_add_co_ci_u32_e64 v34, s0, 0, v34, s0
	v_add_co_u32 v35, s0, v35, 8
	v_add_co_ci_u32_e64 v36, s0, 0, v36, s0
	s_add_u32 s6, s6, 1
	s_addc_u32 s7, s7, 0
	s_and_not1_b32 s0, s39, exec_lo
	s_waitcnt vmcnt(0)
	v_cmp_neq_f64_e32 vcc_lo, v[37:38], v[39:40]
	s_and_b32 s39, vcc_lo, exec_lo
	s_delay_alu instid0(SALU_CYCLE_1)
	s_or_b32 s39, s0, s39
.LBB853_363:                            ;   in Loop: Header=BB853_364 Depth=1
	v_dual_mov_b32 v38, s7 :: v_dual_mov_b32 v37, s6
	s_and_b32 s0, exec_lo, s39
	s_delay_alu instid0(SALU_CYCLE_1) | instskip(NEXT) | instid1(SALU_CYCLE_1)
	s_or_b32 s38, s0, s38
	s_and_not1_b32 exec_lo, exec_lo, s38
	s_cbranch_execz .LBB853_366
.LBB853_364:                            ; =>This Inner Loop Header: Depth=1
	s_or_b32 s39, s39, exec_lo
	s_cmp_eq_u64 s[4:5], s[6:7]
	s_cbranch_scc0 .LBB853_362
; %bb.365:                              ;   in Loop: Header=BB853_364 Depth=1
	s_mov_b64 s[6:7], s[14:15]
                                        ; implicit-def: $vgpr33_vgpr34
                                        ; implicit-def: $vgpr35_vgpr36
	s_branch .LBB853_363
.LBB853_366:
	s_set_inst_prefetch_distance 0x2
	s_or_b32 exec_lo, exec_lo, s38
	v_cmp_gt_i64_e32 vcc_lo, s[14:15], v[37:38]
	s_or_not1_b32 s0, vcc_lo, exec_lo
.LBB853_367:
	s_or_b32 exec_lo, exec_lo, s37
.LBB853_368:
	s_delay_alu instid0(SALU_CYCLE_1)
	s_and_b32 s0, s0, exec_lo
.LBB853_369:
	s_or_b32 exec_lo, exec_lo, s36
	v_cndmask_b32_e64 v34, 0, 1, s34
	v_cndmask_b32_e64 v35, 0, 1, s27
	;; [unrolled: 1-line block ×7, first 2 shown]
	v_lshlrev_b16 v35, 8, v35
	v_lshlrev_b16 v36, 8, v36
	;; [unrolled: 1-line block ×4, first 2 shown]
	s_waitcnt lgkmcnt(0)
	v_or_b32_e32 v35, v38, v35
	v_or_b32_e32 v36, v39, v36
	;; [unrolled: 1-line block ×4, first 2 shown]
	s_barrier
	v_and_b32_e32 v34, 0xffff, v35
	v_lshlrev_b32_e32 v35, 16, v36
	v_and_b32_e32 v37, 0xffff, v37
	v_lshlrev_b32_e32 v33, 16, v33
	buffer_gl0_inv
                                        ; implicit-def: $sgpr0
	v_or_b32_e32 v36, v34, v35
	v_or_b32_e32 v35, v37, v33
	s_and_saveexec_b32 s24, s3
	s_cbranch_execz .LBB853_382
; %bb.370:
	s_mov_b32 s0, 0
	s_mov_b32 s3, exec_lo
	v_cmpx_gt_u32_e64 s31, v55
	s_cbranch_execz .LBB853_381
; %bb.371:
	s_and_not1_b32 vcc_lo, exec_lo, s13
	s_cbranch_vccnz .LBB853_380
; %bb.372:
	v_add_nc_u32_e32 v33, -8, v55
	v_mul_lo_u32 v41, v30, s14
	v_mul_lo_u32 v42, v29, s15
	s_mov_b32 s0, -1
	s_mov_b32 s13, exec_lo
	ds_load_b64 v[33:34], v33
	s_waitcnt lgkmcnt(0)
	v_mul_lo_u32 v39, v34, s14
	v_mul_lo_u32 v40, v33, s15
	v_mad_u64_u32 v[37:38], null, v33, s14, 0
	v_mad_u64_u32 v[33:34], null, v29, s14, 0
	s_delay_alu instid0(VALU_DEP_2) | instskip(NEXT) | instid1(VALU_DEP_2)
	v_add3_u32 v38, v38, v40, v39
	v_add3_u32 v34, v34, v42, v41
	s_delay_alu instid0(VALU_DEP_2) | instskip(NEXT) | instid1(VALU_DEP_2)
	v_lshlrev_b64 v[37:38], 3, v[37:38]
	v_lshlrev_b64 v[33:34], 3, v[33:34]
	s_delay_alu instid0(VALU_DEP_2) | instskip(NEXT) | instid1(VALU_DEP_3)
	v_add_co_u32 v37, vcc_lo, s20, v37
	v_add_co_ci_u32_e32 v38, vcc_lo, s21, v38, vcc_lo
	s_delay_alu instid0(VALU_DEP_3) | instskip(NEXT) | instid1(VALU_DEP_4)
	v_add_co_u32 v33, vcc_lo, s20, v33
	v_add_co_ci_u32_e32 v34, vcc_lo, s21, v34, vcc_lo
	s_clause 0x1
	global_load_b64 v[39:40], v[37:38], off
	global_load_b64 v[41:42], v[33:34], off
	s_waitcnt vmcnt(0)
	v_cmpx_eq_f64_e32 v[39:40], v[41:42]
	s_cbranch_execz .LBB853_379
; %bb.373:
	v_add_co_u32 v33, vcc_lo, v33, 8
	v_add_co_ci_u32_e32 v34, vcc_lo, 0, v34, vcc_lo
	v_add_co_u32 v37, vcc_lo, v37, 8
	v_add_co_ci_u32_e32 v38, vcc_lo, 0, v38, vcc_lo
	s_add_u32 s4, s14, -1
	s_addc_u32 s5, s15, -1
	s_mov_b64 s[6:7], 0
	s_mov_b32 s20, 0
                                        ; implicit-def: $sgpr21
	s_set_inst_prefetch_distance 0x1
	s_branch .LBB853_376
	.p2align	6
.LBB853_374:                            ;   in Loop: Header=BB853_376 Depth=1
	global_load_b64 v[39:40], v[37:38], off
	global_load_b64 v[41:42], v[33:34], off
	v_add_co_u32 v33, s0, v33, 8
	s_delay_alu instid0(VALU_DEP_1) | instskip(SKIP_1) | instid1(VALU_DEP_1)
	v_add_co_ci_u32_e64 v34, s0, 0, v34, s0
	v_add_co_u32 v37, s0, v37, 8
	v_add_co_ci_u32_e64 v38, s0, 0, v38, s0
	s_add_u32 s6, s6, 1
	s_addc_u32 s7, s7, 0
	s_and_not1_b32 s0, s21, exec_lo
	s_waitcnt vmcnt(0)
	v_cmp_neq_f64_e32 vcc_lo, v[39:40], v[41:42]
	s_and_b32 s21, vcc_lo, exec_lo
	s_delay_alu instid0(SALU_CYCLE_1)
	s_or_b32 s21, s0, s21
.LBB853_375:                            ;   in Loop: Header=BB853_376 Depth=1
	v_dual_mov_b32 v40, s7 :: v_dual_mov_b32 v39, s6
	s_and_b32 s0, exec_lo, s21
	s_delay_alu instid0(SALU_CYCLE_1) | instskip(NEXT) | instid1(SALU_CYCLE_1)
	s_or_b32 s20, s0, s20
	s_and_not1_b32 exec_lo, exec_lo, s20
	s_cbranch_execz .LBB853_378
.LBB853_376:                            ; =>This Inner Loop Header: Depth=1
	s_or_b32 s21, s21, exec_lo
	s_cmp_eq_u64 s[4:5], s[6:7]
	s_cbranch_scc0 .LBB853_374
; %bb.377:                              ;   in Loop: Header=BB853_376 Depth=1
	s_mov_b64 s[6:7], s[14:15]
                                        ; implicit-def: $vgpr33_vgpr34
                                        ; implicit-def: $vgpr37_vgpr38
	s_branch .LBB853_375
.LBB853_378:
	s_set_inst_prefetch_distance 0x2
	s_or_b32 exec_lo, exec_lo, s20
	v_cmp_gt_i64_e32 vcc_lo, s[14:15], v[39:40]
	s_or_not1_b32 s0, vcc_lo, exec_lo
.LBB853_379:
	s_or_b32 exec_lo, exec_lo, s13
.LBB853_380:
	s_delay_alu instid0(SALU_CYCLE_1)
	s_and_b32 s0, s0, exec_lo
.LBB853_381:
	s_or_b32 exec_lo, exec_lo, s3
	s_delay_alu instid0(SALU_CYCLE_1)
	s_and_b32 s0, s0, exec_lo
	s_or_b32 s1, s1, exec_lo
.LBB853_382:
	s_or_b32 exec_lo, exec_lo, s24
.LBB853_383:
	s_and_saveexec_b32 s3, s1
	s_cbranch_execz .LBB853_385
; %bb.384:
	s_waitcnt vmcnt(0) lgkmcnt(0)
	v_and_b32_e32 v33, 0xffffff00, v35
	v_cndmask_b32_e64 v34, 0, 1, s0
	s_delay_alu instid0(VALU_DEP_1) | instskip(NEXT) | instid1(VALU_DEP_1)
	v_or_b32_e32 v33, v34, v33
	v_and_b32_e32 v33, 0xffff, v33
	s_delay_alu instid0(VALU_DEP_1)
	v_and_or_b32 v35, 0xffff0000, v35, v33
.LBB853_385:
	s_or_b32 exec_lo, exec_lo, s3
	s_delay_alu instid0(SALU_CYCLE_1)
	s_and_not1_b32 vcc_lo, exec_lo, s33
	s_cbranch_vccnz .LBB853_387
; %bb.386:
	v_cmp_gt_u32_e32 vcc_lo, s31, v55
	s_waitcnt vmcnt(0) lgkmcnt(0)
	v_or_b32_e32 v34, 1, v55
	v_and_b32_e32 v37, 0xffffff00, v36
	v_or_b32_e32 v38, 2, v55
	v_cndmask_b32_e32 v33, 0, v35, vcc_lo
	s_delay_alu instid0(VALU_DEP_4) | instskip(SKIP_1) | instid1(VALU_DEP_4)
	v_cmp_gt_u32_e32 vcc_lo, s31, v34
	v_or_b32_e32 v34, 4, v55
	v_cmp_gt_u32_e64 s0, s31, v38
	v_or_b32_e32 v38, 3, v55
	v_and_b32_e32 v33, 0xff, v33
	s_delay_alu instid0(VALU_DEP_2) | instskip(NEXT) | instid1(VALU_DEP_2)
	v_cmp_gt_u32_e64 s1, s31, v38
	v_cndmask_b32_e32 v33, v33, v35, vcc_lo
	v_cmp_gt_u32_e32 vcc_lo, s31, v34
	v_cndmask_b32_e32 v34, v37, v36, vcc_lo
	v_or_b32_e32 v37, 5, v55
	s_delay_alu instid0(VALU_DEP_2) | instskip(SKIP_1) | instid1(VALU_DEP_1)
	v_and_b32_e32 v34, 0xffff00ff, v34
	v_and_b32_e32 v33, 0xffff, v33
	v_cndmask_b32_e64 v33, v33, v35, s0
	s_delay_alu instid0(VALU_DEP_4) | instskip(SKIP_1) | instid1(VALU_DEP_3)
	v_cmp_gt_u32_e64 s0, s31, v37
	v_or_b32_e32 v37, 6, v55
	v_and_b32_e32 v33, 0xffffff, v33
	s_delay_alu instid0(VALU_DEP_3) | instskip(NEXT) | instid1(VALU_DEP_2)
	v_cndmask_b32_e64 v34, v34, v36, s0
	v_cndmask_b32_e64 v33, v33, v35, s1
	s_delay_alu instid0(VALU_DEP_1) | instskip(SKIP_2) | instid1(VALU_DEP_3)
	v_dual_cndmask_b32 v33, v33, v35 :: v_dual_and_b32 v34, 0xff00ffff, v34
	v_cmp_gt_u32_e32 vcc_lo, s31, v37
	v_or_b32_e32 v37, 7, v55
	v_cndmask_b32_e64 v33, v33, v35, s0
	s_delay_alu instid0(VALU_DEP_1) | instskip(NEXT) | instid1(VALU_DEP_1)
	v_dual_cndmask_b32 v34, v34, v36 :: v_dual_cndmask_b32 v33, v33, v35
	v_and_b32_e32 v34, 0xffffff, v34
	s_delay_alu instid0(VALU_DEP_4) | instskip(NEXT) | instid1(VALU_DEP_2)
	v_cmp_gt_u32_e32 vcc_lo, s31, v37
	v_dual_cndmask_b32 v36, v34, v36 :: v_dual_cndmask_b32 v35, v33, v35
.LBB853_387:
	s_delay_alu instid0(VALU_DEP_1) | instskip(SKIP_1) | instid1(VALU_DEP_2)
	v_and_b32_e32 v44, 0xff, v35
	s_waitcnt vmcnt(0) lgkmcnt(0)
	v_alignbit_b32 v33, v36, v35, 24
	v_bfe_u32 v46, v35, 8, 8
	v_bfe_u32 v48, v35, 16, 8
	v_and_b32_e32 v52, 0xff, v36
	v_bfe_u32 v54, v36, 8, 8
	v_and_b32_e32 v50, 0xff, v33
	v_add_nc_u32_e32 v33, v46, v44
	v_mbcnt_lo_u32_b32 v58, -1, 0
	v_bfe_u32 v57, v36, 16, 8
	v_lshrrev_b32_e32 v56, 24, v36
	v_lshrrev_b32_e32 v59, 5, v0
	v_add3_u32 v33, v33, v48, v50
	v_and_b32_e32 v34, 15, v58
	v_and_b32_e32 v37, 16, v58
	s_and_b32 vcc_lo, exec_lo, s12
	s_mov_b32 s7, -1
	v_add3_u32 v33, v33, v52, v54
	v_cmp_eq_u32_e64 s3, 0, v34
	v_cmp_lt_u32_e64 s0, 1, v34
	v_cmp_lt_u32_e64 s4, 3, v34
	;; [unrolled: 1-line block ×3, first 2 shown]
	v_add3_u32 v60, v33, v57, v56
	v_or_b32_e32 v33, 31, v0
	v_cmp_eq_u32_e64 s6, 0, v37
	s_barrier
	buffer_gl0_inv
	v_cmp_eq_u32_e64 s5, v33, v0
	s_cbranch_vccz .LBB853_418
; %bb.388:
	v_mov_b32_dpp v33, v60 row_shr:1 row_mask:0xf bank_mask:0xf
	s_delay_alu instid0(VALU_DEP_1) | instskip(NEXT) | instid1(VALU_DEP_1)
	v_cndmask_b32_e64 v33, v33, 0, s3
	v_add_nc_u32_e32 v33, v33, v60
	s_delay_alu instid0(VALU_DEP_1) | instskip(NEXT) | instid1(VALU_DEP_1)
	v_mov_b32_dpp v34, v33 row_shr:2 row_mask:0xf bank_mask:0xf
	v_cndmask_b32_e64 v34, 0, v34, s0
	s_delay_alu instid0(VALU_DEP_1) | instskip(NEXT) | instid1(VALU_DEP_1)
	v_add_nc_u32_e32 v33, v33, v34
	v_mov_b32_dpp v34, v33 row_shr:4 row_mask:0xf bank_mask:0xf
	s_delay_alu instid0(VALU_DEP_1) | instskip(NEXT) | instid1(VALU_DEP_1)
	v_cndmask_b32_e64 v34, 0, v34, s4
	v_add_nc_u32_e32 v33, v33, v34
	s_delay_alu instid0(VALU_DEP_1) | instskip(NEXT) | instid1(VALU_DEP_1)
	v_mov_b32_dpp v34, v33 row_shr:8 row_mask:0xf bank_mask:0xf
	v_cndmask_b32_e64 v34, 0, v34, s1
	s_delay_alu instid0(VALU_DEP_1) | instskip(SKIP_3) | instid1(VALU_DEP_1)
	v_add_nc_u32_e32 v33, v33, v34
	ds_swizzle_b32 v34, v33 offset:swizzle(BROADCAST,32,15)
	s_waitcnt lgkmcnt(0)
	v_cndmask_b32_e64 v34, v34, 0, s6
	v_add_nc_u32_e32 v33, v33, v34
	s_and_saveexec_b32 s7, s5
	s_cbranch_execz .LBB853_390
; %bb.389:
	v_lshlrev_b32_e32 v34, 2, v59
	ds_store_b32 v34, v33
.LBB853_390:
	s_or_b32 exec_lo, exec_lo, s7
	s_delay_alu instid0(SALU_CYCLE_1)
	s_mov_b32 s7, exec_lo
	s_waitcnt lgkmcnt(0)
	s_barrier
	buffer_gl0_inv
	v_cmpx_gt_u32_e32 16, v0
	s_cbranch_execz .LBB853_392
; %bb.391:
	v_lshlrev_b32_e32 v34, 2, v0
	ds_load_b32 v37, v34
	s_waitcnt lgkmcnt(0)
	v_mov_b32_dpp v38, v37 row_shr:1 row_mask:0xf bank_mask:0xf
	s_delay_alu instid0(VALU_DEP_1) | instskip(NEXT) | instid1(VALU_DEP_1)
	v_cndmask_b32_e64 v38, v38, 0, s3
	v_add_nc_u32_e32 v37, v38, v37
	s_delay_alu instid0(VALU_DEP_1) | instskip(NEXT) | instid1(VALU_DEP_1)
	v_mov_b32_dpp v38, v37 row_shr:2 row_mask:0xf bank_mask:0xf
	v_cndmask_b32_e64 v38, 0, v38, s0
	s_delay_alu instid0(VALU_DEP_1) | instskip(NEXT) | instid1(VALU_DEP_1)
	v_add_nc_u32_e32 v37, v37, v38
	v_mov_b32_dpp v38, v37 row_shr:4 row_mask:0xf bank_mask:0xf
	s_delay_alu instid0(VALU_DEP_1) | instskip(NEXT) | instid1(VALU_DEP_1)
	v_cndmask_b32_e64 v38, 0, v38, s4
	v_add_nc_u32_e32 v37, v37, v38
	s_delay_alu instid0(VALU_DEP_1) | instskip(NEXT) | instid1(VALU_DEP_1)
	v_mov_b32_dpp v38, v37 row_shr:8 row_mask:0xf bank_mask:0xf
	v_cndmask_b32_e64 v38, 0, v38, s1
	s_delay_alu instid0(VALU_DEP_1)
	v_add_nc_u32_e32 v37, v37, v38
	ds_store_b32 v34, v37
.LBB853_392:
	s_or_b32 exec_lo, exec_lo, s7
	v_cmp_gt_u32_e32 vcc_lo, 32, v0
	s_mov_b32 s12, exec_lo
	s_waitcnt lgkmcnt(0)
	s_barrier
	buffer_gl0_inv
                                        ; implicit-def: $vgpr43
	v_cmpx_lt_u32_e32 31, v0
	s_cbranch_execz .LBB853_394
; %bb.393:
	v_lshl_add_u32 v34, v59, 2, -4
	ds_load_b32 v43, v34
	s_waitcnt lgkmcnt(0)
	v_add_nc_u32_e32 v33, v43, v33
.LBB853_394:
	s_or_b32 exec_lo, exec_lo, s12
	v_add_nc_u32_e32 v34, -1, v58
	s_delay_alu instid0(VALU_DEP_1) | instskip(NEXT) | instid1(VALU_DEP_1)
	v_cmp_gt_i32_e64 s7, 0, v34
	v_cndmask_b32_e64 v34, v34, v58, s7
	v_cmp_eq_u32_e64 s7, 0, v58
	s_delay_alu instid0(VALU_DEP_2)
	v_lshlrev_b32_e32 v34, 2, v34
	ds_bpermute_b32 v45, v34, v33
	s_and_saveexec_b32 s12, vcc_lo
	s_cbranch_execz .LBB853_417
; %bb.395:
	v_mov_b32_e32 v39, 0
	ds_load_b32 v33, v39 offset:60
	s_and_saveexec_b32 s13, s7
	s_cbranch_execz .LBB853_397
; %bb.396:
	s_add_i32 s14, s30, 32
	s_mov_b32 s15, 0
	v_mov_b32_e32 v34, 1
	s_lshl_b64 s[14:15], s[14:15], 3
	s_delay_alu instid0(SALU_CYCLE_1)
	s_add_u32 s14, s22, s14
	s_addc_u32 s15, s23, s15
	s_waitcnt lgkmcnt(0)
	global_store_b64 v39, v[33:34], s[14:15]
.LBB853_397:
	s_or_b32 exec_lo, exec_lo, s13
	v_xad_u32 v37, v58, -1, s30
	s_mov_b32 s14, 0
	s_mov_b32 s13, exec_lo
	s_delay_alu instid0(VALU_DEP_1) | instskip(NEXT) | instid1(VALU_DEP_1)
	v_add_nc_u32_e32 v38, 32, v37
	v_lshlrev_b64 v[38:39], 3, v[38:39]
	s_delay_alu instid0(VALU_DEP_1) | instskip(NEXT) | instid1(VALU_DEP_2)
	v_add_co_u32 v41, vcc_lo, s22, v38
	v_add_co_ci_u32_e32 v42, vcc_lo, s23, v39, vcc_lo
	global_load_b64 v[39:40], v[41:42], off glc
	s_waitcnt vmcnt(0)
	v_and_b32_e32 v34, 0xff, v40
	s_delay_alu instid0(VALU_DEP_1)
	v_cmpx_eq_u16_e32 0, v34
	s_cbranch_execz .LBB853_403
; %bb.398:
	s_mov_b32 s15, 1
	.p2align	6
.LBB853_399:                            ; =>This Loop Header: Depth=1
                                        ;     Child Loop BB853_400 Depth 2
	s_delay_alu instid0(SALU_CYCLE_1)
	s_max_u32 s20, s15, 1
.LBB853_400:                            ;   Parent Loop BB853_399 Depth=1
                                        ; =>  This Inner Loop Header: Depth=2
	s_delay_alu instid0(SALU_CYCLE_1)
	s_add_i32 s20, s20, -1
	s_sleep 1
	s_cmp_eq_u32 s20, 0
	s_cbranch_scc0 .LBB853_400
; %bb.401:                              ;   in Loop: Header=BB853_399 Depth=1
	global_load_b64 v[39:40], v[41:42], off glc
	s_cmp_lt_u32 s15, 32
	s_cselect_b32 s20, -1, 0
	s_delay_alu instid0(SALU_CYCLE_1) | instskip(SKIP_3) | instid1(VALU_DEP_1)
	s_cmp_lg_u32 s20, 0
	s_addc_u32 s15, s15, 0
	s_waitcnt vmcnt(0)
	v_and_b32_e32 v34, 0xff, v40
	v_cmp_ne_u16_e32 vcc_lo, 0, v34
	s_or_b32 s14, vcc_lo, s14
	s_delay_alu instid0(SALU_CYCLE_1)
	s_and_not1_b32 exec_lo, exec_lo, s14
	s_cbranch_execnz .LBB853_399
; %bb.402:
	s_or_b32 exec_lo, exec_lo, s14
.LBB853_403:
	s_delay_alu instid0(SALU_CYCLE_1)
	s_or_b32 exec_lo, exec_lo, s13
	v_cmp_ne_u32_e32 vcc_lo, 31, v58
	v_and_b32_e32 v38, 0xff, v40
	v_lshlrev_b32_e64 v47, v58, -1
	v_add_nc_u32_e32 v51, 2, v58
	v_add_nc_u32_e32 v61, 4, v58
	v_add_co_ci_u32_e32 v34, vcc_lo, 0, v58, vcc_lo
	v_cmp_eq_u16_e32 vcc_lo, 2, v38
	v_add_nc_u32_e32 v64, 8, v58
	v_add_nc_u32_e32 v66, 16, v58
	v_and_or_b32 v38, vcc_lo, v47, 0x80000000
	v_cmp_gt_u32_e32 vcc_lo, 30, v58
	s_delay_alu instid0(VALU_DEP_2) | instskip(SKIP_1) | instid1(VALU_DEP_2)
	v_ctz_i32_b32_e32 v38, v38
	v_cndmask_b32_e64 v42, 0, 1, vcc_lo
	v_cmp_lt_u32_e32 vcc_lo, v58, v38
	v_lshlrev_b32_e32 v34, 2, v34
	s_delay_alu instid0(VALU_DEP_3)
	v_lshlrev_b32_e32 v42, 1, v42
	ds_bpermute_b32 v41, v34, v39
	v_add_lshl_u32 v49, v42, v58, 2
	s_waitcnt lgkmcnt(0)
	v_cndmask_b32_e32 v41, 0, v41, vcc_lo
	v_cmp_gt_u32_e32 vcc_lo, 28, v58
	s_delay_alu instid0(VALU_DEP_2) | instskip(SKIP_4) | instid1(VALU_DEP_1)
	v_add_nc_u32_e32 v39, v41, v39
	v_cndmask_b32_e64 v42, 0, 1, vcc_lo
	v_cmp_le_u32_e32 vcc_lo, v51, v38
	ds_bpermute_b32 v41, v49, v39
	v_lshlrev_b32_e32 v42, 2, v42
	v_add_lshl_u32 v53, v42, v58, 2
	s_waitcnt lgkmcnt(0)
	v_cndmask_b32_e32 v41, 0, v41, vcc_lo
	v_cmp_gt_u32_e32 vcc_lo, 24, v58
	s_delay_alu instid0(VALU_DEP_2) | instskip(SKIP_4) | instid1(VALU_DEP_1)
	v_add_nc_u32_e32 v39, v39, v41
	v_cndmask_b32_e64 v42, 0, 1, vcc_lo
	v_cmp_le_u32_e32 vcc_lo, v61, v38
	ds_bpermute_b32 v41, v53, v39
	v_lshlrev_b32_e32 v42, 3, v42
	v_add_lshl_u32 v63, v42, v58, 2
	s_waitcnt lgkmcnt(0)
	v_cndmask_b32_e32 v41, 0, v41, vcc_lo
	v_cmp_gt_u32_e32 vcc_lo, 16, v58
	s_delay_alu instid0(VALU_DEP_2) | instskip(SKIP_4) | instid1(VALU_DEP_1)
	v_add_nc_u32_e32 v39, v39, v41
	v_cndmask_b32_e64 v42, 0, 1, vcc_lo
	v_cmp_le_u32_e32 vcc_lo, v64, v38
	ds_bpermute_b32 v41, v63, v39
	v_lshlrev_b32_e32 v42, 4, v42
	v_add_lshl_u32 v65, v42, v58, 2
	s_waitcnt lgkmcnt(0)
	v_cndmask_b32_e32 v41, 0, v41, vcc_lo
	v_cmp_le_u32_e32 vcc_lo, v66, v38
	s_delay_alu instid0(VALU_DEP_2) | instskip(SKIP_3) | instid1(VALU_DEP_1)
	v_add_nc_u32_e32 v39, v39, v41
	ds_bpermute_b32 v41, v65, v39
	s_waitcnt lgkmcnt(0)
	v_cndmask_b32_e32 v38, 0, v41, vcc_lo
	v_dual_mov_b32 v38, 0 :: v_dual_add_nc_u32 v39, v39, v38
	s_branch .LBB853_405
.LBB853_404:                            ;   in Loop: Header=BB853_405 Depth=1
	s_or_b32 exec_lo, exec_lo, s13
	ds_bpermute_b32 v42, v34, v39
	v_and_b32_e32 v41, 0xff, v40
	v_subrev_nc_u32_e32 v37, 32, v37
	s_delay_alu instid0(VALU_DEP_2) | instskip(SKIP_1) | instid1(VALU_DEP_1)
	v_cmp_eq_u16_e32 vcc_lo, 2, v41
	v_and_or_b32 v41, vcc_lo, v47, 0x80000000
	v_ctz_i32_b32_e32 v41, v41
	s_delay_alu instid0(VALU_DEP_1) | instskip(SKIP_3) | instid1(VALU_DEP_2)
	v_cmp_lt_u32_e32 vcc_lo, v58, v41
	s_waitcnt lgkmcnt(0)
	v_cndmask_b32_e32 v42, 0, v42, vcc_lo
	v_cmp_le_u32_e32 vcc_lo, v51, v41
	v_add_nc_u32_e32 v39, v42, v39
	ds_bpermute_b32 v42, v49, v39
	s_waitcnt lgkmcnt(0)
	v_cndmask_b32_e32 v42, 0, v42, vcc_lo
	v_cmp_le_u32_e32 vcc_lo, v61, v41
	s_delay_alu instid0(VALU_DEP_2) | instskip(SKIP_4) | instid1(VALU_DEP_2)
	v_add_nc_u32_e32 v39, v39, v42
	ds_bpermute_b32 v42, v53, v39
	s_waitcnt lgkmcnt(0)
	v_cndmask_b32_e32 v42, 0, v42, vcc_lo
	v_cmp_le_u32_e32 vcc_lo, v64, v41
	v_add_nc_u32_e32 v39, v39, v42
	ds_bpermute_b32 v42, v63, v39
	s_waitcnt lgkmcnt(0)
	v_cndmask_b32_e32 v42, 0, v42, vcc_lo
	v_cmp_le_u32_e32 vcc_lo, v66, v41
	s_delay_alu instid0(VALU_DEP_2) | instskip(SKIP_3) | instid1(VALU_DEP_1)
	v_add_nc_u32_e32 v39, v39, v42
	ds_bpermute_b32 v42, v65, v39
	s_waitcnt lgkmcnt(0)
	v_cndmask_b32_e32 v41, 0, v42, vcc_lo
	v_add3_u32 v39, v41, v62, v39
.LBB853_405:                            ; =>This Loop Header: Depth=1
                                        ;     Child Loop BB853_408 Depth 2
                                        ;       Child Loop BB853_409 Depth 3
	v_and_b32_e32 v40, 0xff, v40
	s_delay_alu instid0(VALU_DEP_2) | instskip(NEXT) | instid1(VALU_DEP_2)
	v_mov_b32_e32 v62, v39
	v_cmp_ne_u16_e32 vcc_lo, 2, v40
	v_cndmask_b32_e64 v40, 0, 1, vcc_lo
	;;#ASMSTART
	;;#ASMEND
	s_delay_alu instid0(VALU_DEP_1)
	v_cmp_ne_u32_e32 vcc_lo, 0, v40
	s_cmp_lg_u32 vcc_lo, exec_lo
	s_cbranch_scc1 .LBB853_412
; %bb.406:                              ;   in Loop: Header=BB853_405 Depth=1
	v_lshlrev_b64 v[39:40], 3, v[37:38]
	s_mov_b32 s13, exec_lo
	s_delay_alu instid0(VALU_DEP_1) | instskip(NEXT) | instid1(VALU_DEP_2)
	v_add_co_u32 v41, vcc_lo, s22, v39
	v_add_co_ci_u32_e32 v42, vcc_lo, s23, v40, vcc_lo
	global_load_b64 v[39:40], v[41:42], off glc
	s_waitcnt vmcnt(0)
	v_and_b32_e32 v67, 0xff, v40
	s_delay_alu instid0(VALU_DEP_1)
	v_cmpx_eq_u16_e32 0, v67
	s_cbranch_execz .LBB853_404
; %bb.407:                              ;   in Loop: Header=BB853_405 Depth=1
	s_mov_b32 s15, 1
	s_mov_b32 s14, 0
	.p2align	6
.LBB853_408:                            ;   Parent Loop BB853_405 Depth=1
                                        ; =>  This Loop Header: Depth=2
                                        ;       Child Loop BB853_409 Depth 3
	s_max_u32 s20, s15, 1
.LBB853_409:                            ;   Parent Loop BB853_405 Depth=1
                                        ;     Parent Loop BB853_408 Depth=2
                                        ; =>    This Inner Loop Header: Depth=3
	s_delay_alu instid0(SALU_CYCLE_1)
	s_add_i32 s20, s20, -1
	s_sleep 1
	s_cmp_eq_u32 s20, 0
	s_cbranch_scc0 .LBB853_409
; %bb.410:                              ;   in Loop: Header=BB853_408 Depth=2
	global_load_b64 v[39:40], v[41:42], off glc
	s_cmp_lt_u32 s15, 32
	s_cselect_b32 s20, -1, 0
	s_delay_alu instid0(SALU_CYCLE_1) | instskip(SKIP_3) | instid1(VALU_DEP_1)
	s_cmp_lg_u32 s20, 0
	s_addc_u32 s15, s15, 0
	s_waitcnt vmcnt(0)
	v_and_b32_e32 v67, 0xff, v40
	v_cmp_ne_u16_e32 vcc_lo, 0, v67
	s_or_b32 s14, vcc_lo, s14
	s_delay_alu instid0(SALU_CYCLE_1)
	s_and_not1_b32 exec_lo, exec_lo, s14
	s_cbranch_execnz .LBB853_408
; %bb.411:                              ;   in Loop: Header=BB853_405 Depth=1
	s_or_b32 exec_lo, exec_lo, s14
	s_branch .LBB853_404
.LBB853_412:                            ;   in Loop: Header=BB853_405 Depth=1
                                        ; implicit-def: $vgpr39
                                        ; implicit-def: $vgpr40
	s_cbranch_execz .LBB853_405
; %bb.413:
	s_and_saveexec_b32 s13, s7
	s_cbranch_execz .LBB853_415
; %bb.414:
	s_add_i32 s14, s30, 32
	s_mov_b32 s15, 0
	v_dual_mov_b32 v38, 2 :: v_dual_add_nc_u32 v37, v62, v33
	s_lshl_b64 s[14:15], s[14:15], 3
	v_mov_b32_e32 v34, 0
	v_add_nc_u32_e64 v39, 0x8400, 0
	s_add_u32 s14, s22, s14
	s_addc_u32 s15, s23, s15
	global_store_b64 v34, v[37:38], s[14:15]
	ds_store_2addr_b32 v39, v33, v62 offset1:2
.LBB853_415:
	s_or_b32 exec_lo, exec_lo, s13
	s_delay_alu instid0(SALU_CYCLE_1)
	s_and_b32 exec_lo, exec_lo, s2
	s_cbranch_execz .LBB853_417
; %bb.416:
	v_mov_b32_e32 v33, 0
	ds_store_b32 v33, v62 offset:60
.LBB853_417:
	s_or_b32 exec_lo, exec_lo, s12
	v_mov_b32_e32 v33, 0
	s_waitcnt lgkmcnt(0)
	s_waitcnt_vscnt null, 0x0
	s_barrier
	buffer_gl0_inv
	v_cndmask_b32_e64 v34, v45, v43, s7
	ds_load_b32 v33, v33 offset:60
	s_waitcnt lgkmcnt(0)
	s_barrier
	buffer_gl0_inv
	v_cndmask_b32_e64 v34, v34, 0, s2
	s_delay_alu instid0(VALU_DEP_1) | instskip(SKIP_1) | instid1(VALU_DEP_2)
	v_add_nc_u32_e32 v53, v33, v34
	v_add_nc_u32_e64 v33, 0x8400, 0
	v_add_nc_u32_e32 v51, v53, v44
	ds_load_2addr_b32 v[33:34], v33 offset1:2
	v_add_nc_u32_e32 v49, v51, v46
	s_delay_alu instid0(VALU_DEP_1) | instskip(NEXT) | instid1(VALU_DEP_1)
	v_add_nc_u32_e32 v47, v49, v48
	v_add_nc_u32_e32 v45, v47, v50
	s_delay_alu instid0(VALU_DEP_1) | instskip(SKIP_2) | instid1(VALU_DEP_2)
	v_add_nc_u32_e32 v43, v45, v52
	s_waitcnt lgkmcnt(0)
	v_readfirstlane_b32 s12, v34
	v_add_nc_u32_e32 v41, v43, v54
	s_delay_alu instid0(VALU_DEP_1)
	v_add_nc_u32_e32 v39, v41, v57
	v_lshrrev_b64 v[37:38], 24, v[35:36]
	s_branch .LBB853_428
.LBB853_418:
                                        ; implicit-def: $vgpr39
                                        ; implicit-def: $vgpr41
                                        ; implicit-def: $vgpr43
                                        ; implicit-def: $vgpr45
                                        ; implicit-def: $vgpr47
                                        ; implicit-def: $vgpr49
                                        ; implicit-def: $vgpr51
                                        ; implicit-def: $vgpr53
                                        ; implicit-def: $sgpr12
                                        ; implicit-def: $vgpr33
	v_lshrrev_b64 v[37:38], 24, v[35:36]
	s_and_b32 vcc_lo, exec_lo, s7
	s_cbranch_vccz .LBB853_428
; %bb.419:
	v_mov_b32_dpp v33, v60 row_shr:1 row_mask:0xf bank_mask:0xf
	s_delay_alu instid0(VALU_DEP_1) | instskip(NEXT) | instid1(VALU_DEP_1)
	v_cndmask_b32_e64 v33, v33, 0, s3
	v_add_nc_u32_e32 v33, v33, v60
	s_delay_alu instid0(VALU_DEP_1) | instskip(NEXT) | instid1(VALU_DEP_1)
	v_mov_b32_dpp v34, v33 row_shr:2 row_mask:0xf bank_mask:0xf
	v_cndmask_b32_e64 v34, 0, v34, s0
	s_delay_alu instid0(VALU_DEP_1) | instskip(NEXT) | instid1(VALU_DEP_1)
	v_add_nc_u32_e32 v33, v33, v34
	v_mov_b32_dpp v34, v33 row_shr:4 row_mask:0xf bank_mask:0xf
	s_delay_alu instid0(VALU_DEP_1) | instskip(NEXT) | instid1(VALU_DEP_1)
	v_cndmask_b32_e64 v34, 0, v34, s4
	v_add_nc_u32_e32 v33, v33, v34
	s_delay_alu instid0(VALU_DEP_1) | instskip(NEXT) | instid1(VALU_DEP_1)
	v_mov_b32_dpp v34, v33 row_shr:8 row_mask:0xf bank_mask:0xf
	v_cndmask_b32_e64 v34, 0, v34, s1
	s_delay_alu instid0(VALU_DEP_1) | instskip(SKIP_3) | instid1(VALU_DEP_1)
	v_add_nc_u32_e32 v33, v33, v34
	ds_swizzle_b32 v34, v33 offset:swizzle(BROADCAST,32,15)
	s_waitcnt lgkmcnt(0)
	v_cndmask_b32_e64 v34, v34, 0, s6
	v_add_nc_u32_e32 v33, v33, v34
	s_and_saveexec_b32 s6, s5
	s_cbranch_execz .LBB853_421
; %bb.420:
	v_lshlrev_b32_e32 v34, 2, v59
	ds_store_b32 v34, v33
.LBB853_421:
	s_or_b32 exec_lo, exec_lo, s6
	s_delay_alu instid0(SALU_CYCLE_1)
	s_mov_b32 s5, exec_lo
	s_waitcnt lgkmcnt(0)
	s_barrier
	buffer_gl0_inv
	v_cmpx_gt_u32_e32 16, v0
	s_cbranch_execz .LBB853_423
; %bb.422:
	v_lshlrev_b32_e32 v34, 2, v0
	ds_load_b32 v38, v34
	s_waitcnt lgkmcnt(0)
	v_mov_b32_dpp v39, v38 row_shr:1 row_mask:0xf bank_mask:0xf
	s_delay_alu instid0(VALU_DEP_1) | instskip(NEXT) | instid1(VALU_DEP_1)
	v_cndmask_b32_e64 v39, v39, 0, s3
	v_add_nc_u32_e32 v38, v39, v38
	s_delay_alu instid0(VALU_DEP_1) | instskip(NEXT) | instid1(VALU_DEP_1)
	v_mov_b32_dpp v39, v38 row_shr:2 row_mask:0xf bank_mask:0xf
	v_cndmask_b32_e64 v39, 0, v39, s0
	s_delay_alu instid0(VALU_DEP_1) | instskip(NEXT) | instid1(VALU_DEP_1)
	v_add_nc_u32_e32 v38, v38, v39
	v_mov_b32_dpp v39, v38 row_shr:4 row_mask:0xf bank_mask:0xf
	s_delay_alu instid0(VALU_DEP_1) | instskip(NEXT) | instid1(VALU_DEP_1)
	v_cndmask_b32_e64 v39, 0, v39, s4
	v_add_nc_u32_e32 v38, v38, v39
	s_delay_alu instid0(VALU_DEP_1) | instskip(NEXT) | instid1(VALU_DEP_1)
	v_mov_b32_dpp v39, v38 row_shr:8 row_mask:0xf bank_mask:0xf
	v_cndmask_b32_e64 v39, 0, v39, s1
	s_delay_alu instid0(VALU_DEP_1)
	v_add_nc_u32_e32 v38, v38, v39
	ds_store_b32 v34, v38
.LBB853_423:
	s_or_b32 exec_lo, exec_lo, s5
	v_mov_b32_e32 v34, 0
	v_mov_b32_e32 v38, 0
	s_mov_b32 s0, exec_lo
	s_waitcnt lgkmcnt(0)
	s_barrier
	buffer_gl0_inv
	v_cmpx_lt_u32_e32 31, v0
	s_cbranch_execz .LBB853_425
; %bb.424:
	v_lshl_add_u32 v38, v59, 2, -4
	ds_load_b32 v38, v38
.LBB853_425:
	s_or_b32 exec_lo, exec_lo, s0
	v_add_nc_u32_e32 v39, -1, v58
	s_waitcnt lgkmcnt(0)
	v_add_nc_u32_e32 v33, v38, v33
	s_mov_b32 s12, 0
	s_delay_alu instid0(VALU_DEP_2) | instskip(SKIP_1) | instid1(VALU_DEP_1)
	v_cmp_gt_i32_e32 vcc_lo, 0, v39
	v_cndmask_b32_e32 v39, v39, v58, vcc_lo
	v_lshlrev_b32_e32 v39, 2, v39
	ds_bpermute_b32 v39, v39, v33
	ds_load_b32 v33, v34 offset:60
	s_and_saveexec_b32 s0, s2
	s_cbranch_execz .LBB853_427
; %bb.426:
	v_mov_b32_e32 v40, 0
	v_mov_b32_e32 v34, 2
	s_waitcnt lgkmcnt(0)
	global_store_b64 v40, v[33:34], s[22:23] offset:256
.LBB853_427:
	s_or_b32 exec_lo, exec_lo, s0
	v_cmp_eq_u32_e32 vcc_lo, 0, v58
	s_waitcnt lgkmcnt(0)
	s_waitcnt_vscnt null, 0x0
	s_barrier
	buffer_gl0_inv
	v_cndmask_b32_e32 v34, v39, v38, vcc_lo
	s_delay_alu instid0(VALU_DEP_1) | instskip(NEXT) | instid1(VALU_DEP_1)
	v_cndmask_b32_e64 v53, v34, 0, s2
	v_add_nc_u32_e32 v51, v53, v44
	s_delay_alu instid0(VALU_DEP_1) | instskip(NEXT) | instid1(VALU_DEP_1)
	v_add_nc_u32_e32 v49, v51, v46
	v_add_nc_u32_e32 v47, v49, v48
	s_delay_alu instid0(VALU_DEP_1) | instskip(NEXT) | instid1(VALU_DEP_1)
	v_add_nc_u32_e32 v45, v47, v50
	;; [unrolled: 3-line block ×3, first 2 shown]
	v_add_nc_u32_e32 v39, v41, v57
.LBB853_428:
	v_add_nc_u32_e32 v59, s12, v33
	v_cmp_gt_u32_e64 s0, 0x201, v33
	v_lshrrev_b32_e32 v58, 8, v35
	v_lshrrev_b32_e32 v57, 16, v35
	;; [unrolled: 1-line block ×4, first 2 shown]
	v_cmp_lt_u32_e64 s1, v53, v59
	s_and_b32 vcc_lo, exec_lo, s0
	s_mov_b32 s3, -1
	s_cbranch_vccz .LBB853_454
; %bb.429:
	s_delay_alu instid0(VALU_DEP_1) | instskip(NEXT) | instid1(SALU_CYCLE_1)
	s_or_b32 s3, s29, s1
	s_and_saveexec_b32 s1, s3
	s_cbranch_execz .LBB853_432
; %bb.430:
	v_and_b32_e32 v40, 1, v35
	s_delay_alu instid0(VALU_DEP_1)
	v_cmp_eq_u32_e32 vcc_lo, 1, v40
	s_and_b32 exec_lo, exec_lo, vcc_lo
	s_cbranch_execz .LBB853_432
; %bb.431:
	v_mov_b32_e32 v54, 0
	s_lshl_b64 s[4:5], s[10:11], 3
	s_delay_alu instid0(SALU_CYCLE_1) | instskip(SKIP_1) | instid1(VALU_DEP_1)
	s_add_u32 s3, s16, s4
	s_addc_u32 s4, s17, s5
	v_lshlrev_b64 v[60:61], 3, v[53:54]
	s_delay_alu instid0(VALU_DEP_1) | instskip(NEXT) | instid1(VALU_DEP_2)
	v_add_co_u32 v60, vcc_lo, s3, v60
	v_add_co_ci_u32_e32 v61, vcc_lo, s4, v61, vcc_lo
	global_store_b64 v[60:61], v[29:30], off
.LBB853_432:
	s_or_b32 exec_lo, exec_lo, s1
	v_cmp_lt_u32_e32 vcc_lo, v51, v59
	s_or_b32 s3, s29, vcc_lo
	s_delay_alu instid0(SALU_CYCLE_1)
	s_and_saveexec_b32 s1, s3
	s_cbranch_execz .LBB853_435
; %bb.433:
	v_and_b32_e32 v40, 1, v58
	s_delay_alu instid0(VALU_DEP_1)
	v_cmp_eq_u32_e32 vcc_lo, 1, v40
	s_and_b32 exec_lo, exec_lo, vcc_lo
	s_cbranch_execz .LBB853_435
; %bb.434:
	v_mov_b32_e32 v52, 0
	s_lshl_b64 s[4:5], s[10:11], 3
	s_delay_alu instid0(SALU_CYCLE_1) | instskip(SKIP_1) | instid1(VALU_DEP_1)
	s_add_u32 s3, s16, s4
	s_addc_u32 s4, s17, s5
	v_lshlrev_b64 v[60:61], 3, v[51:52]
	s_delay_alu instid0(VALU_DEP_1) | instskip(NEXT) | instid1(VALU_DEP_2)
	v_add_co_u32 v60, vcc_lo, s3, v60
	v_add_co_ci_u32_e32 v61, vcc_lo, s4, v61, vcc_lo
	global_store_b64 v[60:61], v[31:32], off
.LBB853_435:
	s_or_b32 exec_lo, exec_lo, s1
	v_cmp_lt_u32_e32 vcc_lo, v49, v59
	s_or_b32 s3, s29, vcc_lo
	s_delay_alu instid0(SALU_CYCLE_1)
	;; [unrolled: 24-line block ×7, first 2 shown]
	s_and_saveexec_b32 s1, s3
	s_cbranch_execz .LBB853_453
; %bb.451:
	v_and_b32_e32 v40, 1, v56
	s_delay_alu instid0(VALU_DEP_1)
	v_cmp_eq_u32_e32 vcc_lo, 1, v40
	s_and_b32 exec_lo, exec_lo, vcc_lo
	s_cbranch_execz .LBB853_453
; %bb.452:
	v_mov_b32_e32 v40, 0
	s_lshl_b64 s[4:5], s[10:11], 3
	s_delay_alu instid0(SALU_CYCLE_1) | instskip(SKIP_1) | instid1(VALU_DEP_1)
	s_add_u32 s3, s16, s4
	s_addc_u32 s4, s17, s5
	v_lshlrev_b64 v[60:61], 3, v[39:40]
	s_delay_alu instid0(VALU_DEP_1) | instskip(NEXT) | instid1(VALU_DEP_2)
	v_add_co_u32 v60, vcc_lo, s3, v60
	v_add_co_ci_u32_e32 v61, vcc_lo, s4, v61, vcc_lo
	global_store_b64 v[60:61], v[19:20], off
.LBB853_453:
	s_or_b32 exec_lo, exec_lo, s1
	s_mov_b32 s3, 0
.LBB853_454:
	v_and_b32_e32 v35, 1, v35
	s_and_b32 vcc_lo, exec_lo, s3
	s_delay_alu instid0(VALU_DEP_1)
	v_cmp_eq_u32_e64 s1, 1, v35
	s_cbranch_vccz .LBB853_475
; %bb.455:
	s_delay_alu instid0(VALU_DEP_1)
	s_and_saveexec_b32 s3, s1
	s_cbranch_execz .LBB853_457
; %bb.456:
	v_subrev_nc_u32_e32 v40, s12, v53
	s_delay_alu instid0(VALU_DEP_1)
	v_lshlrev_b32_e32 v40, 3, v40
	ds_store_b64 v40, v[29:30]
.LBB853_457:
	s_or_b32 exec_lo, exec_lo, s3
	v_and_b32_e32 v29, 1, v58
	s_mov_b32 s1, exec_lo
	s_delay_alu instid0(VALU_DEP_1)
	v_cmpx_eq_u32_e32 1, v29
	s_cbranch_execz .LBB853_459
; %bb.458:
	v_subrev_nc_u32_e32 v29, s12, v51
	s_delay_alu instid0(VALU_DEP_1)
	v_lshlrev_b32_e32 v29, 3, v29
	ds_store_b64 v29, v[31:32]
.LBB853_459:
	s_or_b32 exec_lo, exec_lo, s1
	v_and_b32_e32 v29, 1, v57
	s_mov_b32 s1, exec_lo
	s_delay_alu instid0(VALU_DEP_1)
	v_cmpx_eq_u32_e32 1, v29
	;; [unrolled: 12-line block ×7, first 2 shown]
	s_cbranch_execz .LBB853_471
; %bb.470:
	v_subrev_nc_u32_e32 v17, s12, v39
	s_delay_alu instid0(VALU_DEP_1)
	v_lshlrev_b32_e32 v17, 3, v17
	ds_store_b64 v17, v[19:20]
.LBB853_471:
	s_or_b32 exec_lo, exec_lo, s1
	s_delay_alu instid0(SALU_CYCLE_1)
	s_mov_b32 s3, exec_lo
	s_waitcnt lgkmcnt(0)
	s_waitcnt_vscnt null, 0x0
	s_barrier
	buffer_gl0_inv
	v_cmpx_lt_u32_e64 v0, v33
	s_cbranch_execz .LBB853_474
; %bb.472:
	s_mov_b32 s13, 0
	s_lshl_b64 s[4:5], s[10:11], 3
	s_lshl_b64 s[6:7], s[12:13], 3
	v_dual_mov_b32 v19, v55 :: v_dual_mov_b32 v20, v0
	s_add_u32 s1, s4, s6
	s_addc_u32 s4, s5, s7
	s_add_u32 s1, s16, s1
	s_addc_u32 s4, s17, s4
	v_add_co_u32 v17, s1, s1, v55
	s_delay_alu instid0(VALU_DEP_1)
	v_add_co_ci_u32_e64 v18, null, s4, 0, s1
	.p2align	6
.LBB853_473:                            ; =>This Inner Loop Header: Depth=1
	ds_load_b64 v[21:22], v19
	v_add_nc_u32_e32 v20, 0x200, v20
	v_add_nc_u32_e32 v19, 0x1000, v19
	s_delay_alu instid0(VALU_DEP_2) | instskip(SKIP_4) | instid1(VALU_DEP_1)
	v_cmp_ge_u32_e32 vcc_lo, v20, v33
	s_or_b32 s13, vcc_lo, s13
	s_waitcnt lgkmcnt(0)
	global_store_b64 v[17:18], v[21:22], off
	v_add_co_u32 v17, s1, 0x1000, v17
	v_add_co_ci_u32_e64 v18, s1, 0, v18, s1
	s_and_not1_b32 exec_lo, exec_lo, s13
	s_cbranch_execnz .LBB853_473
.LBB853_474:
	s_or_b32 exec_lo, exec_lo, s3
.LBB853_475:
	s_delay_alu instid0(SALU_CYCLE_1)
	s_and_b32 vcc_lo, exec_lo, s0
	s_mov_b32 s0, -1
	s_waitcnt_vscnt null, 0x0
	s_barrier
	buffer_gl0_inv
	s_cbranch_vccz .LBB853_503
; %bb.476:
	v_cmp_lt_u32_e32 vcc_lo, v53, v59
	s_or_b32 s1, s29, vcc_lo
	s_delay_alu instid0(SALU_CYCLE_1)
	s_and_saveexec_b32 s0, s1
	s_cbranch_execz .LBB853_479
; %bb.477:
	v_cmp_eq_u32_e32 vcc_lo, 1, v35
	s_and_b32 exec_lo, exec_lo, vcc_lo
	s_cbranch_execz .LBB853_479
; %bb.478:
	v_mov_b32_e32 v54, 0
	s_lshl_b64 s[4:5], s[10:11], 3
	s_delay_alu instid0(SALU_CYCLE_1) | instskip(SKIP_1) | instid1(VALU_DEP_1)
	s_add_u32 s1, s18, s4
	s_addc_u32 s3, s19, s5
	v_lshlrev_b64 v[17:18], 3, v[53:54]
	s_delay_alu instid0(VALU_DEP_1) | instskip(NEXT) | instid1(VALU_DEP_2)
	v_add_co_u32 v17, vcc_lo, s1, v17
	v_add_co_ci_u32_e32 v18, vcc_lo, s3, v18, vcc_lo
	global_store_b64 v[17:18], v[13:14], off
.LBB853_479:
	s_or_b32 exec_lo, exec_lo, s0
	v_cmp_lt_u32_e32 vcc_lo, v51, v59
	s_or_b32 s1, s29, vcc_lo
	s_delay_alu instid0(SALU_CYCLE_1)
	s_and_saveexec_b32 s0, s1
	s_cbranch_execz .LBB853_482
; %bb.480:
	v_and_b32_e32 v17, 1, v58
	s_delay_alu instid0(VALU_DEP_1)
	v_cmp_eq_u32_e32 vcc_lo, 1, v17
	s_and_b32 exec_lo, exec_lo, vcc_lo
	s_cbranch_execz .LBB853_482
; %bb.481:
	v_mov_b32_e32 v52, 0
	s_lshl_b64 s[4:5], s[10:11], 3
	s_delay_alu instid0(SALU_CYCLE_1) | instskip(SKIP_1) | instid1(VALU_DEP_1)
	s_add_u32 s1, s18, s4
	s_addc_u32 s3, s19, s5
	v_lshlrev_b64 v[17:18], 3, v[51:52]
	s_delay_alu instid0(VALU_DEP_1) | instskip(NEXT) | instid1(VALU_DEP_2)
	v_add_co_u32 v17, vcc_lo, s1, v17
	v_add_co_ci_u32_e32 v18, vcc_lo, s3, v18, vcc_lo
	global_store_b64 v[17:18], v[15:16], off
.LBB853_482:
	s_or_b32 exec_lo, exec_lo, s0
	v_cmp_lt_u32_e32 vcc_lo, v49, v59
	s_or_b32 s1, s29, vcc_lo
	s_delay_alu instid0(SALU_CYCLE_1)
	s_and_saveexec_b32 s0, s1
	s_cbranch_execz .LBB853_485
; %bb.483:
	v_and_b32_e32 v17, 1, v57
	s_delay_alu instid0(VALU_DEP_1)
	v_cmp_eq_u32_e32 vcc_lo, 1, v17
	s_and_b32 exec_lo, exec_lo, vcc_lo
	s_cbranch_execz .LBB853_485
; %bb.484:
	v_mov_b32_e32 v50, 0
	s_lshl_b64 s[4:5], s[10:11], 3
	s_delay_alu instid0(SALU_CYCLE_1) | instskip(SKIP_1) | instid1(VALU_DEP_1)
	s_add_u32 s1, s18, s4
	s_addc_u32 s3, s19, s5
	v_lshlrev_b64 v[17:18], 3, v[49:50]
	s_delay_alu instid0(VALU_DEP_1) | instskip(NEXT) | instid1(VALU_DEP_2)
	v_add_co_u32 v17, vcc_lo, s1, v17
	v_add_co_ci_u32_e32 v18, vcc_lo, s3, v18, vcc_lo
	global_store_b64 v[17:18], v[9:10], off
.LBB853_485:
	;; [unrolled: 24-line block ×7, first 2 shown]
	s_or_b32 exec_lo, exec_lo, s0
.LBB853_501:
	s_and_b32 s0, s2, s28
	s_delay_alu instid0(SALU_CYCLE_1)
	s_and_saveexec_b32 s1, s0
	s_cbranch_execz .LBB853_524
.LBB853_502:
	v_add_co_u32 v0, s0, s10, v33
	s_delay_alu instid0(VALU_DEP_1) | instskip(SKIP_1) | instid1(VALU_DEP_3)
	v_add_co_ci_u32_e64 v1, null, s11, 0, s0
	v_mov_b32_e32 v2, 0
	v_add_co_u32 v0, vcc_lo, v0, s12
	s_delay_alu instid0(VALU_DEP_3)
	v_add_co_ci_u32_e32 v1, vcc_lo, 0, v1, vcc_lo
	global_store_b64 v2, v[0:1], s[8:9]
	s_nop 0
	s_sendmsg sendmsg(MSG_DEALLOC_VGPRS)
	s_endpgm
.LBB853_503:
	s_and_b32 vcc_lo, exec_lo, s0
	s_cbranch_vccz .LBB853_501
; %bb.504:
	s_mov_b32 s0, exec_lo
	v_cmpx_eq_u32_e32 1, v35
	s_cbranch_execz .LBB853_506
; %bb.505:
	v_subrev_nc_u32_e32 v17, s12, v53
	s_delay_alu instid0(VALU_DEP_1)
	v_lshlrev_b32_e32 v17, 3, v17
	ds_store_b64 v17, v[13:14]
.LBB853_506:
	s_or_b32 exec_lo, exec_lo, s0
	v_and_b32_e32 v13, 1, v58
	s_mov_b32 s0, exec_lo
	s_delay_alu instid0(VALU_DEP_1)
	v_cmpx_eq_u32_e32 1, v13
	s_cbranch_execz .LBB853_508
; %bb.507:
	v_subrev_nc_u32_e32 v13, s12, v51
	s_delay_alu instid0(VALU_DEP_1)
	v_lshlrev_b32_e32 v13, 3, v13
	ds_store_b64 v13, v[15:16]
.LBB853_508:
	s_or_b32 exec_lo, exec_lo, s0
	v_and_b32_e32 v13, 1, v57
	s_mov_b32 s0, exec_lo
	s_delay_alu instid0(VALU_DEP_1)
	;; [unrolled: 12-line block ×7, first 2 shown]
	v_cmpx_eq_u32_e32 1, v1
	s_cbranch_execz .LBB853_520
; %bb.519:
	v_subrev_nc_u32_e32 v1, s12, v39
	s_delay_alu instid0(VALU_DEP_1)
	v_lshlrev_b32_e32 v1, 3, v1
	ds_store_b64 v1, v[3:4]
.LBB853_520:
	s_or_b32 exec_lo, exec_lo, s0
	s_delay_alu instid0(SALU_CYCLE_1)
	s_mov_b32 s1, exec_lo
	s_waitcnt lgkmcnt(0)
	s_waitcnt_vscnt null, 0x0
	s_barrier
	buffer_gl0_inv
	v_cmpx_lt_u32_e64 v0, v33
	s_cbranch_execz .LBB853_523
; %bb.521:
	s_mov_b32 s13, 0
	s_lshl_b64 s[4:5], s[10:11], 3
	s_lshl_b64 s[6:7], s[12:13], 3
	s_delay_alu instid0(SALU_CYCLE_1) | instskip(SKIP_4) | instid1(VALU_DEP_1)
	s_add_u32 s0, s4, s6
	s_addc_u32 s3, s5, s7
	s_add_u32 s0, s18, s0
	s_addc_u32 s3, s19, s3
	v_add_co_u32 v1, s0, s0, v55
	v_add_co_ci_u32_e64 v2, null, s3, 0, s0
	.p2align	6
.LBB853_522:                            ; =>This Inner Loop Header: Depth=1
	ds_load_b64 v[3:4], v55
	v_add_nc_u32_e32 v0, 0x200, v0
	v_add_nc_u32_e32 v55, 0x1000, v55
	s_delay_alu instid0(VALU_DEP_2) | instskip(SKIP_4) | instid1(VALU_DEP_1)
	v_cmp_ge_u32_e32 vcc_lo, v0, v33
	s_or_b32 s13, vcc_lo, s13
	s_waitcnt lgkmcnt(0)
	global_store_b64 v[1:2], v[3:4], off
	v_add_co_u32 v1, s0, 0x1000, v1
	v_add_co_ci_u32_e64 v2, s0, 0, v2, s0
	s_and_not1_b32 exec_lo, exec_lo, s13
	s_cbranch_execnz .LBB853_522
.LBB853_523:
	s_or_b32 exec_lo, exec_lo, s1
	s_and_b32 s0, s2, s28
	s_delay_alu instid0(SALU_CYCLE_1)
	s_and_saveexec_b32 s1, s0
	s_cbranch_execnz .LBB853_502
.LBB853_524:
	s_nop 0
	s_sendmsg sendmsg(MSG_DEALLOC_VGPRS)
	s_endpgm
	.section	.rodata,"a",@progbits
	.p2align	6, 0x0
	.amdhsa_kernel _ZN7rocprim17ROCPRIM_400000_NS6detail17trampoline_kernelINS0_14default_configENS1_25partition_config_selectorILNS1_17partition_subalgoE9EllbEEZZNS1_14partition_implILS5_9ELb0ES3_jPlS8_PNS0_10empty_typeENS0_5tupleIJS8_S9_EEENSB_IJS8_SA_EEENS0_18inequality_wrapperIZN2at6native12_GLOBAL__N_124unique_dim_cuda_templateIdEESt5tupleIJNSF_6TensorESK_SK_EERKSK_lbbbEUlllE0_EEPmJS9_EEE10hipError_tPvRmT3_T4_T5_T6_T7_T9_mT8_P12ihipStream_tbDpT10_ENKUlT_T0_E_clISt17integral_constantIbLb1EES1A_EEDaS15_S16_EUlS15_E_NS1_11comp_targetILNS1_3genE9ELNS1_11target_archE1100ELNS1_3gpuE3ELNS1_3repE0EEENS1_30default_config_static_selectorELNS0_4arch9wavefront6targetE0EEEvT1_
		.amdhsa_group_segment_fixed_size 33804
		.amdhsa_private_segment_fixed_size 0
		.amdhsa_kernarg_size 136
		.amdhsa_user_sgpr_count 15
		.amdhsa_user_sgpr_dispatch_ptr 0
		.amdhsa_user_sgpr_queue_ptr 0
		.amdhsa_user_sgpr_kernarg_segment_ptr 1
		.amdhsa_user_sgpr_dispatch_id 0
		.amdhsa_user_sgpr_private_segment_size 0
		.amdhsa_wavefront_size32 1
		.amdhsa_uses_dynamic_stack 0
		.amdhsa_enable_private_segment 0
		.amdhsa_system_sgpr_workgroup_id_x 1
		.amdhsa_system_sgpr_workgroup_id_y 0
		.amdhsa_system_sgpr_workgroup_id_z 0
		.amdhsa_system_sgpr_workgroup_info 0
		.amdhsa_system_vgpr_workitem_id 0
		.amdhsa_next_free_vgpr 68
		.amdhsa_next_free_sgpr 40
		.amdhsa_reserve_vcc 1
		.amdhsa_float_round_mode_32 0
		.amdhsa_float_round_mode_16_64 0
		.amdhsa_float_denorm_mode_32 3
		.amdhsa_float_denorm_mode_16_64 3
		.amdhsa_dx10_clamp 1
		.amdhsa_ieee_mode 1
		.amdhsa_fp16_overflow 0
		.amdhsa_workgroup_processor_mode 1
		.amdhsa_memory_ordered 1
		.amdhsa_forward_progress 0
		.amdhsa_shared_vgpr_count 0
		.amdhsa_exception_fp_ieee_invalid_op 0
		.amdhsa_exception_fp_denorm_src 0
		.amdhsa_exception_fp_ieee_div_zero 0
		.amdhsa_exception_fp_ieee_overflow 0
		.amdhsa_exception_fp_ieee_underflow 0
		.amdhsa_exception_fp_ieee_inexact 0
		.amdhsa_exception_int_div_zero 0
	.end_amdhsa_kernel
	.section	.text._ZN7rocprim17ROCPRIM_400000_NS6detail17trampoline_kernelINS0_14default_configENS1_25partition_config_selectorILNS1_17partition_subalgoE9EllbEEZZNS1_14partition_implILS5_9ELb0ES3_jPlS8_PNS0_10empty_typeENS0_5tupleIJS8_S9_EEENSB_IJS8_SA_EEENS0_18inequality_wrapperIZN2at6native12_GLOBAL__N_124unique_dim_cuda_templateIdEESt5tupleIJNSF_6TensorESK_SK_EERKSK_lbbbEUlllE0_EEPmJS9_EEE10hipError_tPvRmT3_T4_T5_T6_T7_T9_mT8_P12ihipStream_tbDpT10_ENKUlT_T0_E_clISt17integral_constantIbLb1EES1A_EEDaS15_S16_EUlS15_E_NS1_11comp_targetILNS1_3genE9ELNS1_11target_archE1100ELNS1_3gpuE3ELNS1_3repE0EEENS1_30default_config_static_selectorELNS0_4arch9wavefront6targetE0EEEvT1_,"axG",@progbits,_ZN7rocprim17ROCPRIM_400000_NS6detail17trampoline_kernelINS0_14default_configENS1_25partition_config_selectorILNS1_17partition_subalgoE9EllbEEZZNS1_14partition_implILS5_9ELb0ES3_jPlS8_PNS0_10empty_typeENS0_5tupleIJS8_S9_EEENSB_IJS8_SA_EEENS0_18inequality_wrapperIZN2at6native12_GLOBAL__N_124unique_dim_cuda_templateIdEESt5tupleIJNSF_6TensorESK_SK_EERKSK_lbbbEUlllE0_EEPmJS9_EEE10hipError_tPvRmT3_T4_T5_T6_T7_T9_mT8_P12ihipStream_tbDpT10_ENKUlT_T0_E_clISt17integral_constantIbLb1EES1A_EEDaS15_S16_EUlS15_E_NS1_11comp_targetILNS1_3genE9ELNS1_11target_archE1100ELNS1_3gpuE3ELNS1_3repE0EEENS1_30default_config_static_selectorELNS0_4arch9wavefront6targetE0EEEvT1_,comdat
.Lfunc_end853:
	.size	_ZN7rocprim17ROCPRIM_400000_NS6detail17trampoline_kernelINS0_14default_configENS1_25partition_config_selectorILNS1_17partition_subalgoE9EllbEEZZNS1_14partition_implILS5_9ELb0ES3_jPlS8_PNS0_10empty_typeENS0_5tupleIJS8_S9_EEENSB_IJS8_SA_EEENS0_18inequality_wrapperIZN2at6native12_GLOBAL__N_124unique_dim_cuda_templateIdEESt5tupleIJNSF_6TensorESK_SK_EERKSK_lbbbEUlllE0_EEPmJS9_EEE10hipError_tPvRmT3_T4_T5_T6_T7_T9_mT8_P12ihipStream_tbDpT10_ENKUlT_T0_E_clISt17integral_constantIbLb1EES1A_EEDaS15_S16_EUlS15_E_NS1_11comp_targetILNS1_3genE9ELNS1_11target_archE1100ELNS1_3gpuE3ELNS1_3repE0EEENS1_30default_config_static_selectorELNS0_4arch9wavefront6targetE0EEEvT1_, .Lfunc_end853-_ZN7rocprim17ROCPRIM_400000_NS6detail17trampoline_kernelINS0_14default_configENS1_25partition_config_selectorILNS1_17partition_subalgoE9EllbEEZZNS1_14partition_implILS5_9ELb0ES3_jPlS8_PNS0_10empty_typeENS0_5tupleIJS8_S9_EEENSB_IJS8_SA_EEENS0_18inequality_wrapperIZN2at6native12_GLOBAL__N_124unique_dim_cuda_templateIdEESt5tupleIJNSF_6TensorESK_SK_EERKSK_lbbbEUlllE0_EEPmJS9_EEE10hipError_tPvRmT3_T4_T5_T6_T7_T9_mT8_P12ihipStream_tbDpT10_ENKUlT_T0_E_clISt17integral_constantIbLb1EES1A_EEDaS15_S16_EUlS15_E_NS1_11comp_targetILNS1_3genE9ELNS1_11target_archE1100ELNS1_3gpuE3ELNS1_3repE0EEENS1_30default_config_static_selectorELNS0_4arch9wavefront6targetE0EEEvT1_
                                        ; -- End function
	.section	.AMDGPU.csdata,"",@progbits
; Kernel info:
; codeLenInByte = 20732
; NumSgprs: 42
; NumVgprs: 68
; ScratchSize: 0
; MemoryBound: 1
; FloatMode: 240
; IeeeMode: 1
; LDSByteSize: 33804 bytes/workgroup (compile time only)
; SGPRBlocks: 5
; VGPRBlocks: 8
; NumSGPRsForWavesPerEU: 42
; NumVGPRsForWavesPerEU: 68
; Occupancy: 12
; WaveLimiterHint : 1
; COMPUTE_PGM_RSRC2:SCRATCH_EN: 0
; COMPUTE_PGM_RSRC2:USER_SGPR: 15
; COMPUTE_PGM_RSRC2:TRAP_HANDLER: 0
; COMPUTE_PGM_RSRC2:TGID_X_EN: 1
; COMPUTE_PGM_RSRC2:TGID_Y_EN: 0
; COMPUTE_PGM_RSRC2:TGID_Z_EN: 0
; COMPUTE_PGM_RSRC2:TIDIG_COMP_CNT: 0
	.section	.text._ZN7rocprim17ROCPRIM_400000_NS6detail17trampoline_kernelINS0_14default_configENS1_25partition_config_selectorILNS1_17partition_subalgoE9EllbEEZZNS1_14partition_implILS5_9ELb0ES3_jPlS8_PNS0_10empty_typeENS0_5tupleIJS8_S9_EEENSB_IJS8_SA_EEENS0_18inequality_wrapperIZN2at6native12_GLOBAL__N_124unique_dim_cuda_templateIdEESt5tupleIJNSF_6TensorESK_SK_EERKSK_lbbbEUlllE0_EEPmJS9_EEE10hipError_tPvRmT3_T4_T5_T6_T7_T9_mT8_P12ihipStream_tbDpT10_ENKUlT_T0_E_clISt17integral_constantIbLb1EES1A_EEDaS15_S16_EUlS15_E_NS1_11comp_targetILNS1_3genE8ELNS1_11target_archE1030ELNS1_3gpuE2ELNS1_3repE0EEENS1_30default_config_static_selectorELNS0_4arch9wavefront6targetE0EEEvT1_,"axG",@progbits,_ZN7rocprim17ROCPRIM_400000_NS6detail17trampoline_kernelINS0_14default_configENS1_25partition_config_selectorILNS1_17partition_subalgoE9EllbEEZZNS1_14partition_implILS5_9ELb0ES3_jPlS8_PNS0_10empty_typeENS0_5tupleIJS8_S9_EEENSB_IJS8_SA_EEENS0_18inequality_wrapperIZN2at6native12_GLOBAL__N_124unique_dim_cuda_templateIdEESt5tupleIJNSF_6TensorESK_SK_EERKSK_lbbbEUlllE0_EEPmJS9_EEE10hipError_tPvRmT3_T4_T5_T6_T7_T9_mT8_P12ihipStream_tbDpT10_ENKUlT_T0_E_clISt17integral_constantIbLb1EES1A_EEDaS15_S16_EUlS15_E_NS1_11comp_targetILNS1_3genE8ELNS1_11target_archE1030ELNS1_3gpuE2ELNS1_3repE0EEENS1_30default_config_static_selectorELNS0_4arch9wavefront6targetE0EEEvT1_,comdat
	.globl	_ZN7rocprim17ROCPRIM_400000_NS6detail17trampoline_kernelINS0_14default_configENS1_25partition_config_selectorILNS1_17partition_subalgoE9EllbEEZZNS1_14partition_implILS5_9ELb0ES3_jPlS8_PNS0_10empty_typeENS0_5tupleIJS8_S9_EEENSB_IJS8_SA_EEENS0_18inequality_wrapperIZN2at6native12_GLOBAL__N_124unique_dim_cuda_templateIdEESt5tupleIJNSF_6TensorESK_SK_EERKSK_lbbbEUlllE0_EEPmJS9_EEE10hipError_tPvRmT3_T4_T5_T6_T7_T9_mT8_P12ihipStream_tbDpT10_ENKUlT_T0_E_clISt17integral_constantIbLb1EES1A_EEDaS15_S16_EUlS15_E_NS1_11comp_targetILNS1_3genE8ELNS1_11target_archE1030ELNS1_3gpuE2ELNS1_3repE0EEENS1_30default_config_static_selectorELNS0_4arch9wavefront6targetE0EEEvT1_ ; -- Begin function _ZN7rocprim17ROCPRIM_400000_NS6detail17trampoline_kernelINS0_14default_configENS1_25partition_config_selectorILNS1_17partition_subalgoE9EllbEEZZNS1_14partition_implILS5_9ELb0ES3_jPlS8_PNS0_10empty_typeENS0_5tupleIJS8_S9_EEENSB_IJS8_SA_EEENS0_18inequality_wrapperIZN2at6native12_GLOBAL__N_124unique_dim_cuda_templateIdEESt5tupleIJNSF_6TensorESK_SK_EERKSK_lbbbEUlllE0_EEPmJS9_EEE10hipError_tPvRmT3_T4_T5_T6_T7_T9_mT8_P12ihipStream_tbDpT10_ENKUlT_T0_E_clISt17integral_constantIbLb1EES1A_EEDaS15_S16_EUlS15_E_NS1_11comp_targetILNS1_3genE8ELNS1_11target_archE1030ELNS1_3gpuE2ELNS1_3repE0EEENS1_30default_config_static_selectorELNS0_4arch9wavefront6targetE0EEEvT1_
	.p2align	8
	.type	_ZN7rocprim17ROCPRIM_400000_NS6detail17trampoline_kernelINS0_14default_configENS1_25partition_config_selectorILNS1_17partition_subalgoE9EllbEEZZNS1_14partition_implILS5_9ELb0ES3_jPlS8_PNS0_10empty_typeENS0_5tupleIJS8_S9_EEENSB_IJS8_SA_EEENS0_18inequality_wrapperIZN2at6native12_GLOBAL__N_124unique_dim_cuda_templateIdEESt5tupleIJNSF_6TensorESK_SK_EERKSK_lbbbEUlllE0_EEPmJS9_EEE10hipError_tPvRmT3_T4_T5_T6_T7_T9_mT8_P12ihipStream_tbDpT10_ENKUlT_T0_E_clISt17integral_constantIbLb1EES1A_EEDaS15_S16_EUlS15_E_NS1_11comp_targetILNS1_3genE8ELNS1_11target_archE1030ELNS1_3gpuE2ELNS1_3repE0EEENS1_30default_config_static_selectorELNS0_4arch9wavefront6targetE0EEEvT1_,@function
_ZN7rocprim17ROCPRIM_400000_NS6detail17trampoline_kernelINS0_14default_configENS1_25partition_config_selectorILNS1_17partition_subalgoE9EllbEEZZNS1_14partition_implILS5_9ELb0ES3_jPlS8_PNS0_10empty_typeENS0_5tupleIJS8_S9_EEENSB_IJS8_SA_EEENS0_18inequality_wrapperIZN2at6native12_GLOBAL__N_124unique_dim_cuda_templateIdEESt5tupleIJNSF_6TensorESK_SK_EERKSK_lbbbEUlllE0_EEPmJS9_EEE10hipError_tPvRmT3_T4_T5_T6_T7_T9_mT8_P12ihipStream_tbDpT10_ENKUlT_T0_E_clISt17integral_constantIbLb1EES1A_EEDaS15_S16_EUlS15_E_NS1_11comp_targetILNS1_3genE8ELNS1_11target_archE1030ELNS1_3gpuE2ELNS1_3repE0EEENS1_30default_config_static_selectorELNS0_4arch9wavefront6targetE0EEEvT1_: ; @_ZN7rocprim17ROCPRIM_400000_NS6detail17trampoline_kernelINS0_14default_configENS1_25partition_config_selectorILNS1_17partition_subalgoE9EllbEEZZNS1_14partition_implILS5_9ELb0ES3_jPlS8_PNS0_10empty_typeENS0_5tupleIJS8_S9_EEENSB_IJS8_SA_EEENS0_18inequality_wrapperIZN2at6native12_GLOBAL__N_124unique_dim_cuda_templateIdEESt5tupleIJNSF_6TensorESK_SK_EERKSK_lbbbEUlllE0_EEPmJS9_EEE10hipError_tPvRmT3_T4_T5_T6_T7_T9_mT8_P12ihipStream_tbDpT10_ENKUlT_T0_E_clISt17integral_constantIbLb1EES1A_EEDaS15_S16_EUlS15_E_NS1_11comp_targetILNS1_3genE8ELNS1_11target_archE1030ELNS1_3gpuE2ELNS1_3repE0EEENS1_30default_config_static_selectorELNS0_4arch9wavefront6targetE0EEEvT1_
; %bb.0:
	.section	.rodata,"a",@progbits
	.p2align	6, 0x0
	.amdhsa_kernel _ZN7rocprim17ROCPRIM_400000_NS6detail17trampoline_kernelINS0_14default_configENS1_25partition_config_selectorILNS1_17partition_subalgoE9EllbEEZZNS1_14partition_implILS5_9ELb0ES3_jPlS8_PNS0_10empty_typeENS0_5tupleIJS8_S9_EEENSB_IJS8_SA_EEENS0_18inequality_wrapperIZN2at6native12_GLOBAL__N_124unique_dim_cuda_templateIdEESt5tupleIJNSF_6TensorESK_SK_EERKSK_lbbbEUlllE0_EEPmJS9_EEE10hipError_tPvRmT3_T4_T5_T6_T7_T9_mT8_P12ihipStream_tbDpT10_ENKUlT_T0_E_clISt17integral_constantIbLb1EES1A_EEDaS15_S16_EUlS15_E_NS1_11comp_targetILNS1_3genE8ELNS1_11target_archE1030ELNS1_3gpuE2ELNS1_3repE0EEENS1_30default_config_static_selectorELNS0_4arch9wavefront6targetE0EEEvT1_
		.amdhsa_group_segment_fixed_size 0
		.amdhsa_private_segment_fixed_size 0
		.amdhsa_kernarg_size 136
		.amdhsa_user_sgpr_count 15
		.amdhsa_user_sgpr_dispatch_ptr 0
		.amdhsa_user_sgpr_queue_ptr 0
		.amdhsa_user_sgpr_kernarg_segment_ptr 1
		.amdhsa_user_sgpr_dispatch_id 0
		.amdhsa_user_sgpr_private_segment_size 0
		.amdhsa_wavefront_size32 1
		.amdhsa_uses_dynamic_stack 0
		.amdhsa_enable_private_segment 0
		.amdhsa_system_sgpr_workgroup_id_x 1
		.amdhsa_system_sgpr_workgroup_id_y 0
		.amdhsa_system_sgpr_workgroup_id_z 0
		.amdhsa_system_sgpr_workgroup_info 0
		.amdhsa_system_vgpr_workitem_id 0
		.amdhsa_next_free_vgpr 1
		.amdhsa_next_free_sgpr 1
		.amdhsa_reserve_vcc 0
		.amdhsa_float_round_mode_32 0
		.amdhsa_float_round_mode_16_64 0
		.amdhsa_float_denorm_mode_32 3
		.amdhsa_float_denorm_mode_16_64 3
		.amdhsa_dx10_clamp 1
		.amdhsa_ieee_mode 1
		.amdhsa_fp16_overflow 0
		.amdhsa_workgroup_processor_mode 1
		.amdhsa_memory_ordered 1
		.amdhsa_forward_progress 0
		.amdhsa_shared_vgpr_count 0
		.amdhsa_exception_fp_ieee_invalid_op 0
		.amdhsa_exception_fp_denorm_src 0
		.amdhsa_exception_fp_ieee_div_zero 0
		.amdhsa_exception_fp_ieee_overflow 0
		.amdhsa_exception_fp_ieee_underflow 0
		.amdhsa_exception_fp_ieee_inexact 0
		.amdhsa_exception_int_div_zero 0
	.end_amdhsa_kernel
	.section	.text._ZN7rocprim17ROCPRIM_400000_NS6detail17trampoline_kernelINS0_14default_configENS1_25partition_config_selectorILNS1_17partition_subalgoE9EllbEEZZNS1_14partition_implILS5_9ELb0ES3_jPlS8_PNS0_10empty_typeENS0_5tupleIJS8_S9_EEENSB_IJS8_SA_EEENS0_18inequality_wrapperIZN2at6native12_GLOBAL__N_124unique_dim_cuda_templateIdEESt5tupleIJNSF_6TensorESK_SK_EERKSK_lbbbEUlllE0_EEPmJS9_EEE10hipError_tPvRmT3_T4_T5_T6_T7_T9_mT8_P12ihipStream_tbDpT10_ENKUlT_T0_E_clISt17integral_constantIbLb1EES1A_EEDaS15_S16_EUlS15_E_NS1_11comp_targetILNS1_3genE8ELNS1_11target_archE1030ELNS1_3gpuE2ELNS1_3repE0EEENS1_30default_config_static_selectorELNS0_4arch9wavefront6targetE0EEEvT1_,"axG",@progbits,_ZN7rocprim17ROCPRIM_400000_NS6detail17trampoline_kernelINS0_14default_configENS1_25partition_config_selectorILNS1_17partition_subalgoE9EllbEEZZNS1_14partition_implILS5_9ELb0ES3_jPlS8_PNS0_10empty_typeENS0_5tupleIJS8_S9_EEENSB_IJS8_SA_EEENS0_18inequality_wrapperIZN2at6native12_GLOBAL__N_124unique_dim_cuda_templateIdEESt5tupleIJNSF_6TensorESK_SK_EERKSK_lbbbEUlllE0_EEPmJS9_EEE10hipError_tPvRmT3_T4_T5_T6_T7_T9_mT8_P12ihipStream_tbDpT10_ENKUlT_T0_E_clISt17integral_constantIbLb1EES1A_EEDaS15_S16_EUlS15_E_NS1_11comp_targetILNS1_3genE8ELNS1_11target_archE1030ELNS1_3gpuE2ELNS1_3repE0EEENS1_30default_config_static_selectorELNS0_4arch9wavefront6targetE0EEEvT1_,comdat
.Lfunc_end854:
	.size	_ZN7rocprim17ROCPRIM_400000_NS6detail17trampoline_kernelINS0_14default_configENS1_25partition_config_selectorILNS1_17partition_subalgoE9EllbEEZZNS1_14partition_implILS5_9ELb0ES3_jPlS8_PNS0_10empty_typeENS0_5tupleIJS8_S9_EEENSB_IJS8_SA_EEENS0_18inequality_wrapperIZN2at6native12_GLOBAL__N_124unique_dim_cuda_templateIdEESt5tupleIJNSF_6TensorESK_SK_EERKSK_lbbbEUlllE0_EEPmJS9_EEE10hipError_tPvRmT3_T4_T5_T6_T7_T9_mT8_P12ihipStream_tbDpT10_ENKUlT_T0_E_clISt17integral_constantIbLb1EES1A_EEDaS15_S16_EUlS15_E_NS1_11comp_targetILNS1_3genE8ELNS1_11target_archE1030ELNS1_3gpuE2ELNS1_3repE0EEENS1_30default_config_static_selectorELNS0_4arch9wavefront6targetE0EEEvT1_, .Lfunc_end854-_ZN7rocprim17ROCPRIM_400000_NS6detail17trampoline_kernelINS0_14default_configENS1_25partition_config_selectorILNS1_17partition_subalgoE9EllbEEZZNS1_14partition_implILS5_9ELb0ES3_jPlS8_PNS0_10empty_typeENS0_5tupleIJS8_S9_EEENSB_IJS8_SA_EEENS0_18inequality_wrapperIZN2at6native12_GLOBAL__N_124unique_dim_cuda_templateIdEESt5tupleIJNSF_6TensorESK_SK_EERKSK_lbbbEUlllE0_EEPmJS9_EEE10hipError_tPvRmT3_T4_T5_T6_T7_T9_mT8_P12ihipStream_tbDpT10_ENKUlT_T0_E_clISt17integral_constantIbLb1EES1A_EEDaS15_S16_EUlS15_E_NS1_11comp_targetILNS1_3genE8ELNS1_11target_archE1030ELNS1_3gpuE2ELNS1_3repE0EEENS1_30default_config_static_selectorELNS0_4arch9wavefront6targetE0EEEvT1_
                                        ; -- End function
	.section	.AMDGPU.csdata,"",@progbits
; Kernel info:
; codeLenInByte = 0
; NumSgprs: 0
; NumVgprs: 0
; ScratchSize: 0
; MemoryBound: 0
; FloatMode: 240
; IeeeMode: 1
; LDSByteSize: 0 bytes/workgroup (compile time only)
; SGPRBlocks: 0
; VGPRBlocks: 0
; NumSGPRsForWavesPerEU: 1
; NumVGPRsForWavesPerEU: 1
; Occupancy: 16
; WaveLimiterHint : 0
; COMPUTE_PGM_RSRC2:SCRATCH_EN: 0
; COMPUTE_PGM_RSRC2:USER_SGPR: 15
; COMPUTE_PGM_RSRC2:TRAP_HANDLER: 0
; COMPUTE_PGM_RSRC2:TGID_X_EN: 1
; COMPUTE_PGM_RSRC2:TGID_Y_EN: 0
; COMPUTE_PGM_RSRC2:TGID_Z_EN: 0
; COMPUTE_PGM_RSRC2:TIDIG_COMP_CNT: 0
	.section	.text._ZN7rocprim17ROCPRIM_400000_NS6detail17trampoline_kernelINS0_14default_configENS1_25partition_config_selectorILNS1_17partition_subalgoE9EllbEEZZNS1_14partition_implILS5_9ELb0ES3_jPlS8_PNS0_10empty_typeENS0_5tupleIJS8_S9_EEENSB_IJS8_SA_EEENS0_18inequality_wrapperIZN2at6native12_GLOBAL__N_124unique_dim_cuda_templateIdEESt5tupleIJNSF_6TensorESK_SK_EERKSK_lbbbEUlllE0_EEPmJS9_EEE10hipError_tPvRmT3_T4_T5_T6_T7_T9_mT8_P12ihipStream_tbDpT10_ENKUlT_T0_E_clISt17integral_constantIbLb1EES19_IbLb0EEEEDaS15_S16_EUlS15_E_NS1_11comp_targetILNS1_3genE0ELNS1_11target_archE4294967295ELNS1_3gpuE0ELNS1_3repE0EEENS1_30default_config_static_selectorELNS0_4arch9wavefront6targetE0EEEvT1_,"axG",@progbits,_ZN7rocprim17ROCPRIM_400000_NS6detail17trampoline_kernelINS0_14default_configENS1_25partition_config_selectorILNS1_17partition_subalgoE9EllbEEZZNS1_14partition_implILS5_9ELb0ES3_jPlS8_PNS0_10empty_typeENS0_5tupleIJS8_S9_EEENSB_IJS8_SA_EEENS0_18inequality_wrapperIZN2at6native12_GLOBAL__N_124unique_dim_cuda_templateIdEESt5tupleIJNSF_6TensorESK_SK_EERKSK_lbbbEUlllE0_EEPmJS9_EEE10hipError_tPvRmT3_T4_T5_T6_T7_T9_mT8_P12ihipStream_tbDpT10_ENKUlT_T0_E_clISt17integral_constantIbLb1EES19_IbLb0EEEEDaS15_S16_EUlS15_E_NS1_11comp_targetILNS1_3genE0ELNS1_11target_archE4294967295ELNS1_3gpuE0ELNS1_3repE0EEENS1_30default_config_static_selectorELNS0_4arch9wavefront6targetE0EEEvT1_,comdat
	.globl	_ZN7rocprim17ROCPRIM_400000_NS6detail17trampoline_kernelINS0_14default_configENS1_25partition_config_selectorILNS1_17partition_subalgoE9EllbEEZZNS1_14partition_implILS5_9ELb0ES3_jPlS8_PNS0_10empty_typeENS0_5tupleIJS8_S9_EEENSB_IJS8_SA_EEENS0_18inequality_wrapperIZN2at6native12_GLOBAL__N_124unique_dim_cuda_templateIdEESt5tupleIJNSF_6TensorESK_SK_EERKSK_lbbbEUlllE0_EEPmJS9_EEE10hipError_tPvRmT3_T4_T5_T6_T7_T9_mT8_P12ihipStream_tbDpT10_ENKUlT_T0_E_clISt17integral_constantIbLb1EES19_IbLb0EEEEDaS15_S16_EUlS15_E_NS1_11comp_targetILNS1_3genE0ELNS1_11target_archE4294967295ELNS1_3gpuE0ELNS1_3repE0EEENS1_30default_config_static_selectorELNS0_4arch9wavefront6targetE0EEEvT1_ ; -- Begin function _ZN7rocprim17ROCPRIM_400000_NS6detail17trampoline_kernelINS0_14default_configENS1_25partition_config_selectorILNS1_17partition_subalgoE9EllbEEZZNS1_14partition_implILS5_9ELb0ES3_jPlS8_PNS0_10empty_typeENS0_5tupleIJS8_S9_EEENSB_IJS8_SA_EEENS0_18inequality_wrapperIZN2at6native12_GLOBAL__N_124unique_dim_cuda_templateIdEESt5tupleIJNSF_6TensorESK_SK_EERKSK_lbbbEUlllE0_EEPmJS9_EEE10hipError_tPvRmT3_T4_T5_T6_T7_T9_mT8_P12ihipStream_tbDpT10_ENKUlT_T0_E_clISt17integral_constantIbLb1EES19_IbLb0EEEEDaS15_S16_EUlS15_E_NS1_11comp_targetILNS1_3genE0ELNS1_11target_archE4294967295ELNS1_3gpuE0ELNS1_3repE0EEENS1_30default_config_static_selectorELNS0_4arch9wavefront6targetE0EEEvT1_
	.p2align	8
	.type	_ZN7rocprim17ROCPRIM_400000_NS6detail17trampoline_kernelINS0_14default_configENS1_25partition_config_selectorILNS1_17partition_subalgoE9EllbEEZZNS1_14partition_implILS5_9ELb0ES3_jPlS8_PNS0_10empty_typeENS0_5tupleIJS8_S9_EEENSB_IJS8_SA_EEENS0_18inequality_wrapperIZN2at6native12_GLOBAL__N_124unique_dim_cuda_templateIdEESt5tupleIJNSF_6TensorESK_SK_EERKSK_lbbbEUlllE0_EEPmJS9_EEE10hipError_tPvRmT3_T4_T5_T6_T7_T9_mT8_P12ihipStream_tbDpT10_ENKUlT_T0_E_clISt17integral_constantIbLb1EES19_IbLb0EEEEDaS15_S16_EUlS15_E_NS1_11comp_targetILNS1_3genE0ELNS1_11target_archE4294967295ELNS1_3gpuE0ELNS1_3repE0EEENS1_30default_config_static_selectorELNS0_4arch9wavefront6targetE0EEEvT1_,@function
_ZN7rocprim17ROCPRIM_400000_NS6detail17trampoline_kernelINS0_14default_configENS1_25partition_config_selectorILNS1_17partition_subalgoE9EllbEEZZNS1_14partition_implILS5_9ELb0ES3_jPlS8_PNS0_10empty_typeENS0_5tupleIJS8_S9_EEENSB_IJS8_SA_EEENS0_18inequality_wrapperIZN2at6native12_GLOBAL__N_124unique_dim_cuda_templateIdEESt5tupleIJNSF_6TensorESK_SK_EERKSK_lbbbEUlllE0_EEPmJS9_EEE10hipError_tPvRmT3_T4_T5_T6_T7_T9_mT8_P12ihipStream_tbDpT10_ENKUlT_T0_E_clISt17integral_constantIbLb1EES19_IbLb0EEEEDaS15_S16_EUlS15_E_NS1_11comp_targetILNS1_3genE0ELNS1_11target_archE4294967295ELNS1_3gpuE0ELNS1_3repE0EEENS1_30default_config_static_selectorELNS0_4arch9wavefront6targetE0EEEvT1_: ; @_ZN7rocprim17ROCPRIM_400000_NS6detail17trampoline_kernelINS0_14default_configENS1_25partition_config_selectorILNS1_17partition_subalgoE9EllbEEZZNS1_14partition_implILS5_9ELb0ES3_jPlS8_PNS0_10empty_typeENS0_5tupleIJS8_S9_EEENSB_IJS8_SA_EEENS0_18inequality_wrapperIZN2at6native12_GLOBAL__N_124unique_dim_cuda_templateIdEESt5tupleIJNSF_6TensorESK_SK_EERKSK_lbbbEUlllE0_EEPmJS9_EEE10hipError_tPvRmT3_T4_T5_T6_T7_T9_mT8_P12ihipStream_tbDpT10_ENKUlT_T0_E_clISt17integral_constantIbLb1EES19_IbLb0EEEEDaS15_S16_EUlS15_E_NS1_11comp_targetILNS1_3genE0ELNS1_11target_archE4294967295ELNS1_3gpuE0ELNS1_3repE0EEENS1_30default_config_static_selectorELNS0_4arch9wavefront6targetE0EEEvT1_
; %bb.0:
	.section	.rodata,"a",@progbits
	.p2align	6, 0x0
	.amdhsa_kernel _ZN7rocprim17ROCPRIM_400000_NS6detail17trampoline_kernelINS0_14default_configENS1_25partition_config_selectorILNS1_17partition_subalgoE9EllbEEZZNS1_14partition_implILS5_9ELb0ES3_jPlS8_PNS0_10empty_typeENS0_5tupleIJS8_S9_EEENSB_IJS8_SA_EEENS0_18inequality_wrapperIZN2at6native12_GLOBAL__N_124unique_dim_cuda_templateIdEESt5tupleIJNSF_6TensorESK_SK_EERKSK_lbbbEUlllE0_EEPmJS9_EEE10hipError_tPvRmT3_T4_T5_T6_T7_T9_mT8_P12ihipStream_tbDpT10_ENKUlT_T0_E_clISt17integral_constantIbLb1EES19_IbLb0EEEEDaS15_S16_EUlS15_E_NS1_11comp_targetILNS1_3genE0ELNS1_11target_archE4294967295ELNS1_3gpuE0ELNS1_3repE0EEENS1_30default_config_static_selectorELNS0_4arch9wavefront6targetE0EEEvT1_
		.amdhsa_group_segment_fixed_size 0
		.amdhsa_private_segment_fixed_size 0
		.amdhsa_kernarg_size 120
		.amdhsa_user_sgpr_count 15
		.amdhsa_user_sgpr_dispatch_ptr 0
		.amdhsa_user_sgpr_queue_ptr 0
		.amdhsa_user_sgpr_kernarg_segment_ptr 1
		.amdhsa_user_sgpr_dispatch_id 0
		.amdhsa_user_sgpr_private_segment_size 0
		.amdhsa_wavefront_size32 1
		.amdhsa_uses_dynamic_stack 0
		.amdhsa_enable_private_segment 0
		.amdhsa_system_sgpr_workgroup_id_x 1
		.amdhsa_system_sgpr_workgroup_id_y 0
		.amdhsa_system_sgpr_workgroup_id_z 0
		.amdhsa_system_sgpr_workgroup_info 0
		.amdhsa_system_vgpr_workitem_id 0
		.amdhsa_next_free_vgpr 1
		.amdhsa_next_free_sgpr 1
		.amdhsa_reserve_vcc 0
		.amdhsa_float_round_mode_32 0
		.amdhsa_float_round_mode_16_64 0
		.amdhsa_float_denorm_mode_32 3
		.amdhsa_float_denorm_mode_16_64 3
		.amdhsa_dx10_clamp 1
		.amdhsa_ieee_mode 1
		.amdhsa_fp16_overflow 0
		.amdhsa_workgroup_processor_mode 1
		.amdhsa_memory_ordered 1
		.amdhsa_forward_progress 0
		.amdhsa_shared_vgpr_count 0
		.amdhsa_exception_fp_ieee_invalid_op 0
		.amdhsa_exception_fp_denorm_src 0
		.amdhsa_exception_fp_ieee_div_zero 0
		.amdhsa_exception_fp_ieee_overflow 0
		.amdhsa_exception_fp_ieee_underflow 0
		.amdhsa_exception_fp_ieee_inexact 0
		.amdhsa_exception_int_div_zero 0
	.end_amdhsa_kernel
	.section	.text._ZN7rocprim17ROCPRIM_400000_NS6detail17trampoline_kernelINS0_14default_configENS1_25partition_config_selectorILNS1_17partition_subalgoE9EllbEEZZNS1_14partition_implILS5_9ELb0ES3_jPlS8_PNS0_10empty_typeENS0_5tupleIJS8_S9_EEENSB_IJS8_SA_EEENS0_18inequality_wrapperIZN2at6native12_GLOBAL__N_124unique_dim_cuda_templateIdEESt5tupleIJNSF_6TensorESK_SK_EERKSK_lbbbEUlllE0_EEPmJS9_EEE10hipError_tPvRmT3_T4_T5_T6_T7_T9_mT8_P12ihipStream_tbDpT10_ENKUlT_T0_E_clISt17integral_constantIbLb1EES19_IbLb0EEEEDaS15_S16_EUlS15_E_NS1_11comp_targetILNS1_3genE0ELNS1_11target_archE4294967295ELNS1_3gpuE0ELNS1_3repE0EEENS1_30default_config_static_selectorELNS0_4arch9wavefront6targetE0EEEvT1_,"axG",@progbits,_ZN7rocprim17ROCPRIM_400000_NS6detail17trampoline_kernelINS0_14default_configENS1_25partition_config_selectorILNS1_17partition_subalgoE9EllbEEZZNS1_14partition_implILS5_9ELb0ES3_jPlS8_PNS0_10empty_typeENS0_5tupleIJS8_S9_EEENSB_IJS8_SA_EEENS0_18inequality_wrapperIZN2at6native12_GLOBAL__N_124unique_dim_cuda_templateIdEESt5tupleIJNSF_6TensorESK_SK_EERKSK_lbbbEUlllE0_EEPmJS9_EEE10hipError_tPvRmT3_T4_T5_T6_T7_T9_mT8_P12ihipStream_tbDpT10_ENKUlT_T0_E_clISt17integral_constantIbLb1EES19_IbLb0EEEEDaS15_S16_EUlS15_E_NS1_11comp_targetILNS1_3genE0ELNS1_11target_archE4294967295ELNS1_3gpuE0ELNS1_3repE0EEENS1_30default_config_static_selectorELNS0_4arch9wavefront6targetE0EEEvT1_,comdat
.Lfunc_end855:
	.size	_ZN7rocprim17ROCPRIM_400000_NS6detail17trampoline_kernelINS0_14default_configENS1_25partition_config_selectorILNS1_17partition_subalgoE9EllbEEZZNS1_14partition_implILS5_9ELb0ES3_jPlS8_PNS0_10empty_typeENS0_5tupleIJS8_S9_EEENSB_IJS8_SA_EEENS0_18inequality_wrapperIZN2at6native12_GLOBAL__N_124unique_dim_cuda_templateIdEESt5tupleIJNSF_6TensorESK_SK_EERKSK_lbbbEUlllE0_EEPmJS9_EEE10hipError_tPvRmT3_T4_T5_T6_T7_T9_mT8_P12ihipStream_tbDpT10_ENKUlT_T0_E_clISt17integral_constantIbLb1EES19_IbLb0EEEEDaS15_S16_EUlS15_E_NS1_11comp_targetILNS1_3genE0ELNS1_11target_archE4294967295ELNS1_3gpuE0ELNS1_3repE0EEENS1_30default_config_static_selectorELNS0_4arch9wavefront6targetE0EEEvT1_, .Lfunc_end855-_ZN7rocprim17ROCPRIM_400000_NS6detail17trampoline_kernelINS0_14default_configENS1_25partition_config_selectorILNS1_17partition_subalgoE9EllbEEZZNS1_14partition_implILS5_9ELb0ES3_jPlS8_PNS0_10empty_typeENS0_5tupleIJS8_S9_EEENSB_IJS8_SA_EEENS0_18inequality_wrapperIZN2at6native12_GLOBAL__N_124unique_dim_cuda_templateIdEESt5tupleIJNSF_6TensorESK_SK_EERKSK_lbbbEUlllE0_EEPmJS9_EEE10hipError_tPvRmT3_T4_T5_T6_T7_T9_mT8_P12ihipStream_tbDpT10_ENKUlT_T0_E_clISt17integral_constantIbLb1EES19_IbLb0EEEEDaS15_S16_EUlS15_E_NS1_11comp_targetILNS1_3genE0ELNS1_11target_archE4294967295ELNS1_3gpuE0ELNS1_3repE0EEENS1_30default_config_static_selectorELNS0_4arch9wavefront6targetE0EEEvT1_
                                        ; -- End function
	.section	.AMDGPU.csdata,"",@progbits
; Kernel info:
; codeLenInByte = 0
; NumSgprs: 0
; NumVgprs: 0
; ScratchSize: 0
; MemoryBound: 0
; FloatMode: 240
; IeeeMode: 1
; LDSByteSize: 0 bytes/workgroup (compile time only)
; SGPRBlocks: 0
; VGPRBlocks: 0
; NumSGPRsForWavesPerEU: 1
; NumVGPRsForWavesPerEU: 1
; Occupancy: 16
; WaveLimiterHint : 0
; COMPUTE_PGM_RSRC2:SCRATCH_EN: 0
; COMPUTE_PGM_RSRC2:USER_SGPR: 15
; COMPUTE_PGM_RSRC2:TRAP_HANDLER: 0
; COMPUTE_PGM_RSRC2:TGID_X_EN: 1
; COMPUTE_PGM_RSRC2:TGID_Y_EN: 0
; COMPUTE_PGM_RSRC2:TGID_Z_EN: 0
; COMPUTE_PGM_RSRC2:TIDIG_COMP_CNT: 0
	.section	.text._ZN7rocprim17ROCPRIM_400000_NS6detail17trampoline_kernelINS0_14default_configENS1_25partition_config_selectorILNS1_17partition_subalgoE9EllbEEZZNS1_14partition_implILS5_9ELb0ES3_jPlS8_PNS0_10empty_typeENS0_5tupleIJS8_S9_EEENSB_IJS8_SA_EEENS0_18inequality_wrapperIZN2at6native12_GLOBAL__N_124unique_dim_cuda_templateIdEESt5tupleIJNSF_6TensorESK_SK_EERKSK_lbbbEUlllE0_EEPmJS9_EEE10hipError_tPvRmT3_T4_T5_T6_T7_T9_mT8_P12ihipStream_tbDpT10_ENKUlT_T0_E_clISt17integral_constantIbLb1EES19_IbLb0EEEEDaS15_S16_EUlS15_E_NS1_11comp_targetILNS1_3genE5ELNS1_11target_archE942ELNS1_3gpuE9ELNS1_3repE0EEENS1_30default_config_static_selectorELNS0_4arch9wavefront6targetE0EEEvT1_,"axG",@progbits,_ZN7rocprim17ROCPRIM_400000_NS6detail17trampoline_kernelINS0_14default_configENS1_25partition_config_selectorILNS1_17partition_subalgoE9EllbEEZZNS1_14partition_implILS5_9ELb0ES3_jPlS8_PNS0_10empty_typeENS0_5tupleIJS8_S9_EEENSB_IJS8_SA_EEENS0_18inequality_wrapperIZN2at6native12_GLOBAL__N_124unique_dim_cuda_templateIdEESt5tupleIJNSF_6TensorESK_SK_EERKSK_lbbbEUlllE0_EEPmJS9_EEE10hipError_tPvRmT3_T4_T5_T6_T7_T9_mT8_P12ihipStream_tbDpT10_ENKUlT_T0_E_clISt17integral_constantIbLb1EES19_IbLb0EEEEDaS15_S16_EUlS15_E_NS1_11comp_targetILNS1_3genE5ELNS1_11target_archE942ELNS1_3gpuE9ELNS1_3repE0EEENS1_30default_config_static_selectorELNS0_4arch9wavefront6targetE0EEEvT1_,comdat
	.globl	_ZN7rocprim17ROCPRIM_400000_NS6detail17trampoline_kernelINS0_14default_configENS1_25partition_config_selectorILNS1_17partition_subalgoE9EllbEEZZNS1_14partition_implILS5_9ELb0ES3_jPlS8_PNS0_10empty_typeENS0_5tupleIJS8_S9_EEENSB_IJS8_SA_EEENS0_18inequality_wrapperIZN2at6native12_GLOBAL__N_124unique_dim_cuda_templateIdEESt5tupleIJNSF_6TensorESK_SK_EERKSK_lbbbEUlllE0_EEPmJS9_EEE10hipError_tPvRmT3_T4_T5_T6_T7_T9_mT8_P12ihipStream_tbDpT10_ENKUlT_T0_E_clISt17integral_constantIbLb1EES19_IbLb0EEEEDaS15_S16_EUlS15_E_NS1_11comp_targetILNS1_3genE5ELNS1_11target_archE942ELNS1_3gpuE9ELNS1_3repE0EEENS1_30default_config_static_selectorELNS0_4arch9wavefront6targetE0EEEvT1_ ; -- Begin function _ZN7rocprim17ROCPRIM_400000_NS6detail17trampoline_kernelINS0_14default_configENS1_25partition_config_selectorILNS1_17partition_subalgoE9EllbEEZZNS1_14partition_implILS5_9ELb0ES3_jPlS8_PNS0_10empty_typeENS0_5tupleIJS8_S9_EEENSB_IJS8_SA_EEENS0_18inequality_wrapperIZN2at6native12_GLOBAL__N_124unique_dim_cuda_templateIdEESt5tupleIJNSF_6TensorESK_SK_EERKSK_lbbbEUlllE0_EEPmJS9_EEE10hipError_tPvRmT3_T4_T5_T6_T7_T9_mT8_P12ihipStream_tbDpT10_ENKUlT_T0_E_clISt17integral_constantIbLb1EES19_IbLb0EEEEDaS15_S16_EUlS15_E_NS1_11comp_targetILNS1_3genE5ELNS1_11target_archE942ELNS1_3gpuE9ELNS1_3repE0EEENS1_30default_config_static_selectorELNS0_4arch9wavefront6targetE0EEEvT1_
	.p2align	8
	.type	_ZN7rocprim17ROCPRIM_400000_NS6detail17trampoline_kernelINS0_14default_configENS1_25partition_config_selectorILNS1_17partition_subalgoE9EllbEEZZNS1_14partition_implILS5_9ELb0ES3_jPlS8_PNS0_10empty_typeENS0_5tupleIJS8_S9_EEENSB_IJS8_SA_EEENS0_18inequality_wrapperIZN2at6native12_GLOBAL__N_124unique_dim_cuda_templateIdEESt5tupleIJNSF_6TensorESK_SK_EERKSK_lbbbEUlllE0_EEPmJS9_EEE10hipError_tPvRmT3_T4_T5_T6_T7_T9_mT8_P12ihipStream_tbDpT10_ENKUlT_T0_E_clISt17integral_constantIbLb1EES19_IbLb0EEEEDaS15_S16_EUlS15_E_NS1_11comp_targetILNS1_3genE5ELNS1_11target_archE942ELNS1_3gpuE9ELNS1_3repE0EEENS1_30default_config_static_selectorELNS0_4arch9wavefront6targetE0EEEvT1_,@function
_ZN7rocprim17ROCPRIM_400000_NS6detail17trampoline_kernelINS0_14default_configENS1_25partition_config_selectorILNS1_17partition_subalgoE9EllbEEZZNS1_14partition_implILS5_9ELb0ES3_jPlS8_PNS0_10empty_typeENS0_5tupleIJS8_S9_EEENSB_IJS8_SA_EEENS0_18inequality_wrapperIZN2at6native12_GLOBAL__N_124unique_dim_cuda_templateIdEESt5tupleIJNSF_6TensorESK_SK_EERKSK_lbbbEUlllE0_EEPmJS9_EEE10hipError_tPvRmT3_T4_T5_T6_T7_T9_mT8_P12ihipStream_tbDpT10_ENKUlT_T0_E_clISt17integral_constantIbLb1EES19_IbLb0EEEEDaS15_S16_EUlS15_E_NS1_11comp_targetILNS1_3genE5ELNS1_11target_archE942ELNS1_3gpuE9ELNS1_3repE0EEENS1_30default_config_static_selectorELNS0_4arch9wavefront6targetE0EEEvT1_: ; @_ZN7rocprim17ROCPRIM_400000_NS6detail17trampoline_kernelINS0_14default_configENS1_25partition_config_selectorILNS1_17partition_subalgoE9EllbEEZZNS1_14partition_implILS5_9ELb0ES3_jPlS8_PNS0_10empty_typeENS0_5tupleIJS8_S9_EEENSB_IJS8_SA_EEENS0_18inequality_wrapperIZN2at6native12_GLOBAL__N_124unique_dim_cuda_templateIdEESt5tupleIJNSF_6TensorESK_SK_EERKSK_lbbbEUlllE0_EEPmJS9_EEE10hipError_tPvRmT3_T4_T5_T6_T7_T9_mT8_P12ihipStream_tbDpT10_ENKUlT_T0_E_clISt17integral_constantIbLb1EES19_IbLb0EEEEDaS15_S16_EUlS15_E_NS1_11comp_targetILNS1_3genE5ELNS1_11target_archE942ELNS1_3gpuE9ELNS1_3repE0EEENS1_30default_config_static_selectorELNS0_4arch9wavefront6targetE0EEEvT1_
; %bb.0:
	.section	.rodata,"a",@progbits
	.p2align	6, 0x0
	.amdhsa_kernel _ZN7rocprim17ROCPRIM_400000_NS6detail17trampoline_kernelINS0_14default_configENS1_25partition_config_selectorILNS1_17partition_subalgoE9EllbEEZZNS1_14partition_implILS5_9ELb0ES3_jPlS8_PNS0_10empty_typeENS0_5tupleIJS8_S9_EEENSB_IJS8_SA_EEENS0_18inequality_wrapperIZN2at6native12_GLOBAL__N_124unique_dim_cuda_templateIdEESt5tupleIJNSF_6TensorESK_SK_EERKSK_lbbbEUlllE0_EEPmJS9_EEE10hipError_tPvRmT3_T4_T5_T6_T7_T9_mT8_P12ihipStream_tbDpT10_ENKUlT_T0_E_clISt17integral_constantIbLb1EES19_IbLb0EEEEDaS15_S16_EUlS15_E_NS1_11comp_targetILNS1_3genE5ELNS1_11target_archE942ELNS1_3gpuE9ELNS1_3repE0EEENS1_30default_config_static_selectorELNS0_4arch9wavefront6targetE0EEEvT1_
		.amdhsa_group_segment_fixed_size 0
		.amdhsa_private_segment_fixed_size 0
		.amdhsa_kernarg_size 120
		.amdhsa_user_sgpr_count 15
		.amdhsa_user_sgpr_dispatch_ptr 0
		.amdhsa_user_sgpr_queue_ptr 0
		.amdhsa_user_sgpr_kernarg_segment_ptr 1
		.amdhsa_user_sgpr_dispatch_id 0
		.amdhsa_user_sgpr_private_segment_size 0
		.amdhsa_wavefront_size32 1
		.amdhsa_uses_dynamic_stack 0
		.amdhsa_enable_private_segment 0
		.amdhsa_system_sgpr_workgroup_id_x 1
		.amdhsa_system_sgpr_workgroup_id_y 0
		.amdhsa_system_sgpr_workgroup_id_z 0
		.amdhsa_system_sgpr_workgroup_info 0
		.amdhsa_system_vgpr_workitem_id 0
		.amdhsa_next_free_vgpr 1
		.amdhsa_next_free_sgpr 1
		.amdhsa_reserve_vcc 0
		.amdhsa_float_round_mode_32 0
		.amdhsa_float_round_mode_16_64 0
		.amdhsa_float_denorm_mode_32 3
		.amdhsa_float_denorm_mode_16_64 3
		.amdhsa_dx10_clamp 1
		.amdhsa_ieee_mode 1
		.amdhsa_fp16_overflow 0
		.amdhsa_workgroup_processor_mode 1
		.amdhsa_memory_ordered 1
		.amdhsa_forward_progress 0
		.amdhsa_shared_vgpr_count 0
		.amdhsa_exception_fp_ieee_invalid_op 0
		.amdhsa_exception_fp_denorm_src 0
		.amdhsa_exception_fp_ieee_div_zero 0
		.amdhsa_exception_fp_ieee_overflow 0
		.amdhsa_exception_fp_ieee_underflow 0
		.amdhsa_exception_fp_ieee_inexact 0
		.amdhsa_exception_int_div_zero 0
	.end_amdhsa_kernel
	.section	.text._ZN7rocprim17ROCPRIM_400000_NS6detail17trampoline_kernelINS0_14default_configENS1_25partition_config_selectorILNS1_17partition_subalgoE9EllbEEZZNS1_14partition_implILS5_9ELb0ES3_jPlS8_PNS0_10empty_typeENS0_5tupleIJS8_S9_EEENSB_IJS8_SA_EEENS0_18inequality_wrapperIZN2at6native12_GLOBAL__N_124unique_dim_cuda_templateIdEESt5tupleIJNSF_6TensorESK_SK_EERKSK_lbbbEUlllE0_EEPmJS9_EEE10hipError_tPvRmT3_T4_T5_T6_T7_T9_mT8_P12ihipStream_tbDpT10_ENKUlT_T0_E_clISt17integral_constantIbLb1EES19_IbLb0EEEEDaS15_S16_EUlS15_E_NS1_11comp_targetILNS1_3genE5ELNS1_11target_archE942ELNS1_3gpuE9ELNS1_3repE0EEENS1_30default_config_static_selectorELNS0_4arch9wavefront6targetE0EEEvT1_,"axG",@progbits,_ZN7rocprim17ROCPRIM_400000_NS6detail17trampoline_kernelINS0_14default_configENS1_25partition_config_selectorILNS1_17partition_subalgoE9EllbEEZZNS1_14partition_implILS5_9ELb0ES3_jPlS8_PNS0_10empty_typeENS0_5tupleIJS8_S9_EEENSB_IJS8_SA_EEENS0_18inequality_wrapperIZN2at6native12_GLOBAL__N_124unique_dim_cuda_templateIdEESt5tupleIJNSF_6TensorESK_SK_EERKSK_lbbbEUlllE0_EEPmJS9_EEE10hipError_tPvRmT3_T4_T5_T6_T7_T9_mT8_P12ihipStream_tbDpT10_ENKUlT_T0_E_clISt17integral_constantIbLb1EES19_IbLb0EEEEDaS15_S16_EUlS15_E_NS1_11comp_targetILNS1_3genE5ELNS1_11target_archE942ELNS1_3gpuE9ELNS1_3repE0EEENS1_30default_config_static_selectorELNS0_4arch9wavefront6targetE0EEEvT1_,comdat
.Lfunc_end856:
	.size	_ZN7rocprim17ROCPRIM_400000_NS6detail17trampoline_kernelINS0_14default_configENS1_25partition_config_selectorILNS1_17partition_subalgoE9EllbEEZZNS1_14partition_implILS5_9ELb0ES3_jPlS8_PNS0_10empty_typeENS0_5tupleIJS8_S9_EEENSB_IJS8_SA_EEENS0_18inequality_wrapperIZN2at6native12_GLOBAL__N_124unique_dim_cuda_templateIdEESt5tupleIJNSF_6TensorESK_SK_EERKSK_lbbbEUlllE0_EEPmJS9_EEE10hipError_tPvRmT3_T4_T5_T6_T7_T9_mT8_P12ihipStream_tbDpT10_ENKUlT_T0_E_clISt17integral_constantIbLb1EES19_IbLb0EEEEDaS15_S16_EUlS15_E_NS1_11comp_targetILNS1_3genE5ELNS1_11target_archE942ELNS1_3gpuE9ELNS1_3repE0EEENS1_30default_config_static_selectorELNS0_4arch9wavefront6targetE0EEEvT1_, .Lfunc_end856-_ZN7rocprim17ROCPRIM_400000_NS6detail17trampoline_kernelINS0_14default_configENS1_25partition_config_selectorILNS1_17partition_subalgoE9EllbEEZZNS1_14partition_implILS5_9ELb0ES3_jPlS8_PNS0_10empty_typeENS0_5tupleIJS8_S9_EEENSB_IJS8_SA_EEENS0_18inequality_wrapperIZN2at6native12_GLOBAL__N_124unique_dim_cuda_templateIdEESt5tupleIJNSF_6TensorESK_SK_EERKSK_lbbbEUlllE0_EEPmJS9_EEE10hipError_tPvRmT3_T4_T5_T6_T7_T9_mT8_P12ihipStream_tbDpT10_ENKUlT_T0_E_clISt17integral_constantIbLb1EES19_IbLb0EEEEDaS15_S16_EUlS15_E_NS1_11comp_targetILNS1_3genE5ELNS1_11target_archE942ELNS1_3gpuE9ELNS1_3repE0EEENS1_30default_config_static_selectorELNS0_4arch9wavefront6targetE0EEEvT1_
                                        ; -- End function
	.section	.AMDGPU.csdata,"",@progbits
; Kernel info:
; codeLenInByte = 0
; NumSgprs: 0
; NumVgprs: 0
; ScratchSize: 0
; MemoryBound: 0
; FloatMode: 240
; IeeeMode: 1
; LDSByteSize: 0 bytes/workgroup (compile time only)
; SGPRBlocks: 0
; VGPRBlocks: 0
; NumSGPRsForWavesPerEU: 1
; NumVGPRsForWavesPerEU: 1
; Occupancy: 16
; WaveLimiterHint : 0
; COMPUTE_PGM_RSRC2:SCRATCH_EN: 0
; COMPUTE_PGM_RSRC2:USER_SGPR: 15
; COMPUTE_PGM_RSRC2:TRAP_HANDLER: 0
; COMPUTE_PGM_RSRC2:TGID_X_EN: 1
; COMPUTE_PGM_RSRC2:TGID_Y_EN: 0
; COMPUTE_PGM_RSRC2:TGID_Z_EN: 0
; COMPUTE_PGM_RSRC2:TIDIG_COMP_CNT: 0
	.section	.text._ZN7rocprim17ROCPRIM_400000_NS6detail17trampoline_kernelINS0_14default_configENS1_25partition_config_selectorILNS1_17partition_subalgoE9EllbEEZZNS1_14partition_implILS5_9ELb0ES3_jPlS8_PNS0_10empty_typeENS0_5tupleIJS8_S9_EEENSB_IJS8_SA_EEENS0_18inequality_wrapperIZN2at6native12_GLOBAL__N_124unique_dim_cuda_templateIdEESt5tupleIJNSF_6TensorESK_SK_EERKSK_lbbbEUlllE0_EEPmJS9_EEE10hipError_tPvRmT3_T4_T5_T6_T7_T9_mT8_P12ihipStream_tbDpT10_ENKUlT_T0_E_clISt17integral_constantIbLb1EES19_IbLb0EEEEDaS15_S16_EUlS15_E_NS1_11comp_targetILNS1_3genE4ELNS1_11target_archE910ELNS1_3gpuE8ELNS1_3repE0EEENS1_30default_config_static_selectorELNS0_4arch9wavefront6targetE0EEEvT1_,"axG",@progbits,_ZN7rocprim17ROCPRIM_400000_NS6detail17trampoline_kernelINS0_14default_configENS1_25partition_config_selectorILNS1_17partition_subalgoE9EllbEEZZNS1_14partition_implILS5_9ELb0ES3_jPlS8_PNS0_10empty_typeENS0_5tupleIJS8_S9_EEENSB_IJS8_SA_EEENS0_18inequality_wrapperIZN2at6native12_GLOBAL__N_124unique_dim_cuda_templateIdEESt5tupleIJNSF_6TensorESK_SK_EERKSK_lbbbEUlllE0_EEPmJS9_EEE10hipError_tPvRmT3_T4_T5_T6_T7_T9_mT8_P12ihipStream_tbDpT10_ENKUlT_T0_E_clISt17integral_constantIbLb1EES19_IbLb0EEEEDaS15_S16_EUlS15_E_NS1_11comp_targetILNS1_3genE4ELNS1_11target_archE910ELNS1_3gpuE8ELNS1_3repE0EEENS1_30default_config_static_selectorELNS0_4arch9wavefront6targetE0EEEvT1_,comdat
	.globl	_ZN7rocprim17ROCPRIM_400000_NS6detail17trampoline_kernelINS0_14default_configENS1_25partition_config_selectorILNS1_17partition_subalgoE9EllbEEZZNS1_14partition_implILS5_9ELb0ES3_jPlS8_PNS0_10empty_typeENS0_5tupleIJS8_S9_EEENSB_IJS8_SA_EEENS0_18inequality_wrapperIZN2at6native12_GLOBAL__N_124unique_dim_cuda_templateIdEESt5tupleIJNSF_6TensorESK_SK_EERKSK_lbbbEUlllE0_EEPmJS9_EEE10hipError_tPvRmT3_T4_T5_T6_T7_T9_mT8_P12ihipStream_tbDpT10_ENKUlT_T0_E_clISt17integral_constantIbLb1EES19_IbLb0EEEEDaS15_S16_EUlS15_E_NS1_11comp_targetILNS1_3genE4ELNS1_11target_archE910ELNS1_3gpuE8ELNS1_3repE0EEENS1_30default_config_static_selectorELNS0_4arch9wavefront6targetE0EEEvT1_ ; -- Begin function _ZN7rocprim17ROCPRIM_400000_NS6detail17trampoline_kernelINS0_14default_configENS1_25partition_config_selectorILNS1_17partition_subalgoE9EllbEEZZNS1_14partition_implILS5_9ELb0ES3_jPlS8_PNS0_10empty_typeENS0_5tupleIJS8_S9_EEENSB_IJS8_SA_EEENS0_18inequality_wrapperIZN2at6native12_GLOBAL__N_124unique_dim_cuda_templateIdEESt5tupleIJNSF_6TensorESK_SK_EERKSK_lbbbEUlllE0_EEPmJS9_EEE10hipError_tPvRmT3_T4_T5_T6_T7_T9_mT8_P12ihipStream_tbDpT10_ENKUlT_T0_E_clISt17integral_constantIbLb1EES19_IbLb0EEEEDaS15_S16_EUlS15_E_NS1_11comp_targetILNS1_3genE4ELNS1_11target_archE910ELNS1_3gpuE8ELNS1_3repE0EEENS1_30default_config_static_selectorELNS0_4arch9wavefront6targetE0EEEvT1_
	.p2align	8
	.type	_ZN7rocprim17ROCPRIM_400000_NS6detail17trampoline_kernelINS0_14default_configENS1_25partition_config_selectorILNS1_17partition_subalgoE9EllbEEZZNS1_14partition_implILS5_9ELb0ES3_jPlS8_PNS0_10empty_typeENS0_5tupleIJS8_S9_EEENSB_IJS8_SA_EEENS0_18inequality_wrapperIZN2at6native12_GLOBAL__N_124unique_dim_cuda_templateIdEESt5tupleIJNSF_6TensorESK_SK_EERKSK_lbbbEUlllE0_EEPmJS9_EEE10hipError_tPvRmT3_T4_T5_T6_T7_T9_mT8_P12ihipStream_tbDpT10_ENKUlT_T0_E_clISt17integral_constantIbLb1EES19_IbLb0EEEEDaS15_S16_EUlS15_E_NS1_11comp_targetILNS1_3genE4ELNS1_11target_archE910ELNS1_3gpuE8ELNS1_3repE0EEENS1_30default_config_static_selectorELNS0_4arch9wavefront6targetE0EEEvT1_,@function
_ZN7rocprim17ROCPRIM_400000_NS6detail17trampoline_kernelINS0_14default_configENS1_25partition_config_selectorILNS1_17partition_subalgoE9EllbEEZZNS1_14partition_implILS5_9ELb0ES3_jPlS8_PNS0_10empty_typeENS0_5tupleIJS8_S9_EEENSB_IJS8_SA_EEENS0_18inequality_wrapperIZN2at6native12_GLOBAL__N_124unique_dim_cuda_templateIdEESt5tupleIJNSF_6TensorESK_SK_EERKSK_lbbbEUlllE0_EEPmJS9_EEE10hipError_tPvRmT3_T4_T5_T6_T7_T9_mT8_P12ihipStream_tbDpT10_ENKUlT_T0_E_clISt17integral_constantIbLb1EES19_IbLb0EEEEDaS15_S16_EUlS15_E_NS1_11comp_targetILNS1_3genE4ELNS1_11target_archE910ELNS1_3gpuE8ELNS1_3repE0EEENS1_30default_config_static_selectorELNS0_4arch9wavefront6targetE0EEEvT1_: ; @_ZN7rocprim17ROCPRIM_400000_NS6detail17trampoline_kernelINS0_14default_configENS1_25partition_config_selectorILNS1_17partition_subalgoE9EllbEEZZNS1_14partition_implILS5_9ELb0ES3_jPlS8_PNS0_10empty_typeENS0_5tupleIJS8_S9_EEENSB_IJS8_SA_EEENS0_18inequality_wrapperIZN2at6native12_GLOBAL__N_124unique_dim_cuda_templateIdEESt5tupleIJNSF_6TensorESK_SK_EERKSK_lbbbEUlllE0_EEPmJS9_EEE10hipError_tPvRmT3_T4_T5_T6_T7_T9_mT8_P12ihipStream_tbDpT10_ENKUlT_T0_E_clISt17integral_constantIbLb1EES19_IbLb0EEEEDaS15_S16_EUlS15_E_NS1_11comp_targetILNS1_3genE4ELNS1_11target_archE910ELNS1_3gpuE8ELNS1_3repE0EEENS1_30default_config_static_selectorELNS0_4arch9wavefront6targetE0EEEvT1_
; %bb.0:
	.section	.rodata,"a",@progbits
	.p2align	6, 0x0
	.amdhsa_kernel _ZN7rocprim17ROCPRIM_400000_NS6detail17trampoline_kernelINS0_14default_configENS1_25partition_config_selectorILNS1_17partition_subalgoE9EllbEEZZNS1_14partition_implILS5_9ELb0ES3_jPlS8_PNS0_10empty_typeENS0_5tupleIJS8_S9_EEENSB_IJS8_SA_EEENS0_18inequality_wrapperIZN2at6native12_GLOBAL__N_124unique_dim_cuda_templateIdEESt5tupleIJNSF_6TensorESK_SK_EERKSK_lbbbEUlllE0_EEPmJS9_EEE10hipError_tPvRmT3_T4_T5_T6_T7_T9_mT8_P12ihipStream_tbDpT10_ENKUlT_T0_E_clISt17integral_constantIbLb1EES19_IbLb0EEEEDaS15_S16_EUlS15_E_NS1_11comp_targetILNS1_3genE4ELNS1_11target_archE910ELNS1_3gpuE8ELNS1_3repE0EEENS1_30default_config_static_selectorELNS0_4arch9wavefront6targetE0EEEvT1_
		.amdhsa_group_segment_fixed_size 0
		.amdhsa_private_segment_fixed_size 0
		.amdhsa_kernarg_size 120
		.amdhsa_user_sgpr_count 15
		.amdhsa_user_sgpr_dispatch_ptr 0
		.amdhsa_user_sgpr_queue_ptr 0
		.amdhsa_user_sgpr_kernarg_segment_ptr 1
		.amdhsa_user_sgpr_dispatch_id 0
		.amdhsa_user_sgpr_private_segment_size 0
		.amdhsa_wavefront_size32 1
		.amdhsa_uses_dynamic_stack 0
		.amdhsa_enable_private_segment 0
		.amdhsa_system_sgpr_workgroup_id_x 1
		.amdhsa_system_sgpr_workgroup_id_y 0
		.amdhsa_system_sgpr_workgroup_id_z 0
		.amdhsa_system_sgpr_workgroup_info 0
		.amdhsa_system_vgpr_workitem_id 0
		.amdhsa_next_free_vgpr 1
		.amdhsa_next_free_sgpr 1
		.amdhsa_reserve_vcc 0
		.amdhsa_float_round_mode_32 0
		.amdhsa_float_round_mode_16_64 0
		.amdhsa_float_denorm_mode_32 3
		.amdhsa_float_denorm_mode_16_64 3
		.amdhsa_dx10_clamp 1
		.amdhsa_ieee_mode 1
		.amdhsa_fp16_overflow 0
		.amdhsa_workgroup_processor_mode 1
		.amdhsa_memory_ordered 1
		.amdhsa_forward_progress 0
		.amdhsa_shared_vgpr_count 0
		.amdhsa_exception_fp_ieee_invalid_op 0
		.amdhsa_exception_fp_denorm_src 0
		.amdhsa_exception_fp_ieee_div_zero 0
		.amdhsa_exception_fp_ieee_overflow 0
		.amdhsa_exception_fp_ieee_underflow 0
		.amdhsa_exception_fp_ieee_inexact 0
		.amdhsa_exception_int_div_zero 0
	.end_amdhsa_kernel
	.section	.text._ZN7rocprim17ROCPRIM_400000_NS6detail17trampoline_kernelINS0_14default_configENS1_25partition_config_selectorILNS1_17partition_subalgoE9EllbEEZZNS1_14partition_implILS5_9ELb0ES3_jPlS8_PNS0_10empty_typeENS0_5tupleIJS8_S9_EEENSB_IJS8_SA_EEENS0_18inequality_wrapperIZN2at6native12_GLOBAL__N_124unique_dim_cuda_templateIdEESt5tupleIJNSF_6TensorESK_SK_EERKSK_lbbbEUlllE0_EEPmJS9_EEE10hipError_tPvRmT3_T4_T5_T6_T7_T9_mT8_P12ihipStream_tbDpT10_ENKUlT_T0_E_clISt17integral_constantIbLb1EES19_IbLb0EEEEDaS15_S16_EUlS15_E_NS1_11comp_targetILNS1_3genE4ELNS1_11target_archE910ELNS1_3gpuE8ELNS1_3repE0EEENS1_30default_config_static_selectorELNS0_4arch9wavefront6targetE0EEEvT1_,"axG",@progbits,_ZN7rocprim17ROCPRIM_400000_NS6detail17trampoline_kernelINS0_14default_configENS1_25partition_config_selectorILNS1_17partition_subalgoE9EllbEEZZNS1_14partition_implILS5_9ELb0ES3_jPlS8_PNS0_10empty_typeENS0_5tupleIJS8_S9_EEENSB_IJS8_SA_EEENS0_18inequality_wrapperIZN2at6native12_GLOBAL__N_124unique_dim_cuda_templateIdEESt5tupleIJNSF_6TensorESK_SK_EERKSK_lbbbEUlllE0_EEPmJS9_EEE10hipError_tPvRmT3_T4_T5_T6_T7_T9_mT8_P12ihipStream_tbDpT10_ENKUlT_T0_E_clISt17integral_constantIbLb1EES19_IbLb0EEEEDaS15_S16_EUlS15_E_NS1_11comp_targetILNS1_3genE4ELNS1_11target_archE910ELNS1_3gpuE8ELNS1_3repE0EEENS1_30default_config_static_selectorELNS0_4arch9wavefront6targetE0EEEvT1_,comdat
.Lfunc_end857:
	.size	_ZN7rocprim17ROCPRIM_400000_NS6detail17trampoline_kernelINS0_14default_configENS1_25partition_config_selectorILNS1_17partition_subalgoE9EllbEEZZNS1_14partition_implILS5_9ELb0ES3_jPlS8_PNS0_10empty_typeENS0_5tupleIJS8_S9_EEENSB_IJS8_SA_EEENS0_18inequality_wrapperIZN2at6native12_GLOBAL__N_124unique_dim_cuda_templateIdEESt5tupleIJNSF_6TensorESK_SK_EERKSK_lbbbEUlllE0_EEPmJS9_EEE10hipError_tPvRmT3_T4_T5_T6_T7_T9_mT8_P12ihipStream_tbDpT10_ENKUlT_T0_E_clISt17integral_constantIbLb1EES19_IbLb0EEEEDaS15_S16_EUlS15_E_NS1_11comp_targetILNS1_3genE4ELNS1_11target_archE910ELNS1_3gpuE8ELNS1_3repE0EEENS1_30default_config_static_selectorELNS0_4arch9wavefront6targetE0EEEvT1_, .Lfunc_end857-_ZN7rocprim17ROCPRIM_400000_NS6detail17trampoline_kernelINS0_14default_configENS1_25partition_config_selectorILNS1_17partition_subalgoE9EllbEEZZNS1_14partition_implILS5_9ELb0ES3_jPlS8_PNS0_10empty_typeENS0_5tupleIJS8_S9_EEENSB_IJS8_SA_EEENS0_18inequality_wrapperIZN2at6native12_GLOBAL__N_124unique_dim_cuda_templateIdEESt5tupleIJNSF_6TensorESK_SK_EERKSK_lbbbEUlllE0_EEPmJS9_EEE10hipError_tPvRmT3_T4_T5_T6_T7_T9_mT8_P12ihipStream_tbDpT10_ENKUlT_T0_E_clISt17integral_constantIbLb1EES19_IbLb0EEEEDaS15_S16_EUlS15_E_NS1_11comp_targetILNS1_3genE4ELNS1_11target_archE910ELNS1_3gpuE8ELNS1_3repE0EEENS1_30default_config_static_selectorELNS0_4arch9wavefront6targetE0EEEvT1_
                                        ; -- End function
	.section	.AMDGPU.csdata,"",@progbits
; Kernel info:
; codeLenInByte = 0
; NumSgprs: 0
; NumVgprs: 0
; ScratchSize: 0
; MemoryBound: 0
; FloatMode: 240
; IeeeMode: 1
; LDSByteSize: 0 bytes/workgroup (compile time only)
; SGPRBlocks: 0
; VGPRBlocks: 0
; NumSGPRsForWavesPerEU: 1
; NumVGPRsForWavesPerEU: 1
; Occupancy: 16
; WaveLimiterHint : 0
; COMPUTE_PGM_RSRC2:SCRATCH_EN: 0
; COMPUTE_PGM_RSRC2:USER_SGPR: 15
; COMPUTE_PGM_RSRC2:TRAP_HANDLER: 0
; COMPUTE_PGM_RSRC2:TGID_X_EN: 1
; COMPUTE_PGM_RSRC2:TGID_Y_EN: 0
; COMPUTE_PGM_RSRC2:TGID_Z_EN: 0
; COMPUTE_PGM_RSRC2:TIDIG_COMP_CNT: 0
	.section	.text._ZN7rocprim17ROCPRIM_400000_NS6detail17trampoline_kernelINS0_14default_configENS1_25partition_config_selectorILNS1_17partition_subalgoE9EllbEEZZNS1_14partition_implILS5_9ELb0ES3_jPlS8_PNS0_10empty_typeENS0_5tupleIJS8_S9_EEENSB_IJS8_SA_EEENS0_18inequality_wrapperIZN2at6native12_GLOBAL__N_124unique_dim_cuda_templateIdEESt5tupleIJNSF_6TensorESK_SK_EERKSK_lbbbEUlllE0_EEPmJS9_EEE10hipError_tPvRmT3_T4_T5_T6_T7_T9_mT8_P12ihipStream_tbDpT10_ENKUlT_T0_E_clISt17integral_constantIbLb1EES19_IbLb0EEEEDaS15_S16_EUlS15_E_NS1_11comp_targetILNS1_3genE3ELNS1_11target_archE908ELNS1_3gpuE7ELNS1_3repE0EEENS1_30default_config_static_selectorELNS0_4arch9wavefront6targetE0EEEvT1_,"axG",@progbits,_ZN7rocprim17ROCPRIM_400000_NS6detail17trampoline_kernelINS0_14default_configENS1_25partition_config_selectorILNS1_17partition_subalgoE9EllbEEZZNS1_14partition_implILS5_9ELb0ES3_jPlS8_PNS0_10empty_typeENS0_5tupleIJS8_S9_EEENSB_IJS8_SA_EEENS0_18inequality_wrapperIZN2at6native12_GLOBAL__N_124unique_dim_cuda_templateIdEESt5tupleIJNSF_6TensorESK_SK_EERKSK_lbbbEUlllE0_EEPmJS9_EEE10hipError_tPvRmT3_T4_T5_T6_T7_T9_mT8_P12ihipStream_tbDpT10_ENKUlT_T0_E_clISt17integral_constantIbLb1EES19_IbLb0EEEEDaS15_S16_EUlS15_E_NS1_11comp_targetILNS1_3genE3ELNS1_11target_archE908ELNS1_3gpuE7ELNS1_3repE0EEENS1_30default_config_static_selectorELNS0_4arch9wavefront6targetE0EEEvT1_,comdat
	.globl	_ZN7rocprim17ROCPRIM_400000_NS6detail17trampoline_kernelINS0_14default_configENS1_25partition_config_selectorILNS1_17partition_subalgoE9EllbEEZZNS1_14partition_implILS5_9ELb0ES3_jPlS8_PNS0_10empty_typeENS0_5tupleIJS8_S9_EEENSB_IJS8_SA_EEENS0_18inequality_wrapperIZN2at6native12_GLOBAL__N_124unique_dim_cuda_templateIdEESt5tupleIJNSF_6TensorESK_SK_EERKSK_lbbbEUlllE0_EEPmJS9_EEE10hipError_tPvRmT3_T4_T5_T6_T7_T9_mT8_P12ihipStream_tbDpT10_ENKUlT_T0_E_clISt17integral_constantIbLb1EES19_IbLb0EEEEDaS15_S16_EUlS15_E_NS1_11comp_targetILNS1_3genE3ELNS1_11target_archE908ELNS1_3gpuE7ELNS1_3repE0EEENS1_30default_config_static_selectorELNS0_4arch9wavefront6targetE0EEEvT1_ ; -- Begin function _ZN7rocprim17ROCPRIM_400000_NS6detail17trampoline_kernelINS0_14default_configENS1_25partition_config_selectorILNS1_17partition_subalgoE9EllbEEZZNS1_14partition_implILS5_9ELb0ES3_jPlS8_PNS0_10empty_typeENS0_5tupleIJS8_S9_EEENSB_IJS8_SA_EEENS0_18inequality_wrapperIZN2at6native12_GLOBAL__N_124unique_dim_cuda_templateIdEESt5tupleIJNSF_6TensorESK_SK_EERKSK_lbbbEUlllE0_EEPmJS9_EEE10hipError_tPvRmT3_T4_T5_T6_T7_T9_mT8_P12ihipStream_tbDpT10_ENKUlT_T0_E_clISt17integral_constantIbLb1EES19_IbLb0EEEEDaS15_S16_EUlS15_E_NS1_11comp_targetILNS1_3genE3ELNS1_11target_archE908ELNS1_3gpuE7ELNS1_3repE0EEENS1_30default_config_static_selectorELNS0_4arch9wavefront6targetE0EEEvT1_
	.p2align	8
	.type	_ZN7rocprim17ROCPRIM_400000_NS6detail17trampoline_kernelINS0_14default_configENS1_25partition_config_selectorILNS1_17partition_subalgoE9EllbEEZZNS1_14partition_implILS5_9ELb0ES3_jPlS8_PNS0_10empty_typeENS0_5tupleIJS8_S9_EEENSB_IJS8_SA_EEENS0_18inequality_wrapperIZN2at6native12_GLOBAL__N_124unique_dim_cuda_templateIdEESt5tupleIJNSF_6TensorESK_SK_EERKSK_lbbbEUlllE0_EEPmJS9_EEE10hipError_tPvRmT3_T4_T5_T6_T7_T9_mT8_P12ihipStream_tbDpT10_ENKUlT_T0_E_clISt17integral_constantIbLb1EES19_IbLb0EEEEDaS15_S16_EUlS15_E_NS1_11comp_targetILNS1_3genE3ELNS1_11target_archE908ELNS1_3gpuE7ELNS1_3repE0EEENS1_30default_config_static_selectorELNS0_4arch9wavefront6targetE0EEEvT1_,@function
_ZN7rocprim17ROCPRIM_400000_NS6detail17trampoline_kernelINS0_14default_configENS1_25partition_config_selectorILNS1_17partition_subalgoE9EllbEEZZNS1_14partition_implILS5_9ELb0ES3_jPlS8_PNS0_10empty_typeENS0_5tupleIJS8_S9_EEENSB_IJS8_SA_EEENS0_18inequality_wrapperIZN2at6native12_GLOBAL__N_124unique_dim_cuda_templateIdEESt5tupleIJNSF_6TensorESK_SK_EERKSK_lbbbEUlllE0_EEPmJS9_EEE10hipError_tPvRmT3_T4_T5_T6_T7_T9_mT8_P12ihipStream_tbDpT10_ENKUlT_T0_E_clISt17integral_constantIbLb1EES19_IbLb0EEEEDaS15_S16_EUlS15_E_NS1_11comp_targetILNS1_3genE3ELNS1_11target_archE908ELNS1_3gpuE7ELNS1_3repE0EEENS1_30default_config_static_selectorELNS0_4arch9wavefront6targetE0EEEvT1_: ; @_ZN7rocprim17ROCPRIM_400000_NS6detail17trampoline_kernelINS0_14default_configENS1_25partition_config_selectorILNS1_17partition_subalgoE9EllbEEZZNS1_14partition_implILS5_9ELb0ES3_jPlS8_PNS0_10empty_typeENS0_5tupleIJS8_S9_EEENSB_IJS8_SA_EEENS0_18inequality_wrapperIZN2at6native12_GLOBAL__N_124unique_dim_cuda_templateIdEESt5tupleIJNSF_6TensorESK_SK_EERKSK_lbbbEUlllE0_EEPmJS9_EEE10hipError_tPvRmT3_T4_T5_T6_T7_T9_mT8_P12ihipStream_tbDpT10_ENKUlT_T0_E_clISt17integral_constantIbLb1EES19_IbLb0EEEEDaS15_S16_EUlS15_E_NS1_11comp_targetILNS1_3genE3ELNS1_11target_archE908ELNS1_3gpuE7ELNS1_3repE0EEENS1_30default_config_static_selectorELNS0_4arch9wavefront6targetE0EEEvT1_
; %bb.0:
	.section	.rodata,"a",@progbits
	.p2align	6, 0x0
	.amdhsa_kernel _ZN7rocprim17ROCPRIM_400000_NS6detail17trampoline_kernelINS0_14default_configENS1_25partition_config_selectorILNS1_17partition_subalgoE9EllbEEZZNS1_14partition_implILS5_9ELb0ES3_jPlS8_PNS0_10empty_typeENS0_5tupleIJS8_S9_EEENSB_IJS8_SA_EEENS0_18inequality_wrapperIZN2at6native12_GLOBAL__N_124unique_dim_cuda_templateIdEESt5tupleIJNSF_6TensorESK_SK_EERKSK_lbbbEUlllE0_EEPmJS9_EEE10hipError_tPvRmT3_T4_T5_T6_T7_T9_mT8_P12ihipStream_tbDpT10_ENKUlT_T0_E_clISt17integral_constantIbLb1EES19_IbLb0EEEEDaS15_S16_EUlS15_E_NS1_11comp_targetILNS1_3genE3ELNS1_11target_archE908ELNS1_3gpuE7ELNS1_3repE0EEENS1_30default_config_static_selectorELNS0_4arch9wavefront6targetE0EEEvT1_
		.amdhsa_group_segment_fixed_size 0
		.amdhsa_private_segment_fixed_size 0
		.amdhsa_kernarg_size 120
		.amdhsa_user_sgpr_count 15
		.amdhsa_user_sgpr_dispatch_ptr 0
		.amdhsa_user_sgpr_queue_ptr 0
		.amdhsa_user_sgpr_kernarg_segment_ptr 1
		.amdhsa_user_sgpr_dispatch_id 0
		.amdhsa_user_sgpr_private_segment_size 0
		.amdhsa_wavefront_size32 1
		.amdhsa_uses_dynamic_stack 0
		.amdhsa_enable_private_segment 0
		.amdhsa_system_sgpr_workgroup_id_x 1
		.amdhsa_system_sgpr_workgroup_id_y 0
		.amdhsa_system_sgpr_workgroup_id_z 0
		.amdhsa_system_sgpr_workgroup_info 0
		.amdhsa_system_vgpr_workitem_id 0
		.amdhsa_next_free_vgpr 1
		.amdhsa_next_free_sgpr 1
		.amdhsa_reserve_vcc 0
		.amdhsa_float_round_mode_32 0
		.amdhsa_float_round_mode_16_64 0
		.amdhsa_float_denorm_mode_32 3
		.amdhsa_float_denorm_mode_16_64 3
		.amdhsa_dx10_clamp 1
		.amdhsa_ieee_mode 1
		.amdhsa_fp16_overflow 0
		.amdhsa_workgroup_processor_mode 1
		.amdhsa_memory_ordered 1
		.amdhsa_forward_progress 0
		.amdhsa_shared_vgpr_count 0
		.amdhsa_exception_fp_ieee_invalid_op 0
		.amdhsa_exception_fp_denorm_src 0
		.amdhsa_exception_fp_ieee_div_zero 0
		.amdhsa_exception_fp_ieee_overflow 0
		.amdhsa_exception_fp_ieee_underflow 0
		.amdhsa_exception_fp_ieee_inexact 0
		.amdhsa_exception_int_div_zero 0
	.end_amdhsa_kernel
	.section	.text._ZN7rocprim17ROCPRIM_400000_NS6detail17trampoline_kernelINS0_14default_configENS1_25partition_config_selectorILNS1_17partition_subalgoE9EllbEEZZNS1_14partition_implILS5_9ELb0ES3_jPlS8_PNS0_10empty_typeENS0_5tupleIJS8_S9_EEENSB_IJS8_SA_EEENS0_18inequality_wrapperIZN2at6native12_GLOBAL__N_124unique_dim_cuda_templateIdEESt5tupleIJNSF_6TensorESK_SK_EERKSK_lbbbEUlllE0_EEPmJS9_EEE10hipError_tPvRmT3_T4_T5_T6_T7_T9_mT8_P12ihipStream_tbDpT10_ENKUlT_T0_E_clISt17integral_constantIbLb1EES19_IbLb0EEEEDaS15_S16_EUlS15_E_NS1_11comp_targetILNS1_3genE3ELNS1_11target_archE908ELNS1_3gpuE7ELNS1_3repE0EEENS1_30default_config_static_selectorELNS0_4arch9wavefront6targetE0EEEvT1_,"axG",@progbits,_ZN7rocprim17ROCPRIM_400000_NS6detail17trampoline_kernelINS0_14default_configENS1_25partition_config_selectorILNS1_17partition_subalgoE9EllbEEZZNS1_14partition_implILS5_9ELb0ES3_jPlS8_PNS0_10empty_typeENS0_5tupleIJS8_S9_EEENSB_IJS8_SA_EEENS0_18inequality_wrapperIZN2at6native12_GLOBAL__N_124unique_dim_cuda_templateIdEESt5tupleIJNSF_6TensorESK_SK_EERKSK_lbbbEUlllE0_EEPmJS9_EEE10hipError_tPvRmT3_T4_T5_T6_T7_T9_mT8_P12ihipStream_tbDpT10_ENKUlT_T0_E_clISt17integral_constantIbLb1EES19_IbLb0EEEEDaS15_S16_EUlS15_E_NS1_11comp_targetILNS1_3genE3ELNS1_11target_archE908ELNS1_3gpuE7ELNS1_3repE0EEENS1_30default_config_static_selectorELNS0_4arch9wavefront6targetE0EEEvT1_,comdat
.Lfunc_end858:
	.size	_ZN7rocprim17ROCPRIM_400000_NS6detail17trampoline_kernelINS0_14default_configENS1_25partition_config_selectorILNS1_17partition_subalgoE9EllbEEZZNS1_14partition_implILS5_9ELb0ES3_jPlS8_PNS0_10empty_typeENS0_5tupleIJS8_S9_EEENSB_IJS8_SA_EEENS0_18inequality_wrapperIZN2at6native12_GLOBAL__N_124unique_dim_cuda_templateIdEESt5tupleIJNSF_6TensorESK_SK_EERKSK_lbbbEUlllE0_EEPmJS9_EEE10hipError_tPvRmT3_T4_T5_T6_T7_T9_mT8_P12ihipStream_tbDpT10_ENKUlT_T0_E_clISt17integral_constantIbLb1EES19_IbLb0EEEEDaS15_S16_EUlS15_E_NS1_11comp_targetILNS1_3genE3ELNS1_11target_archE908ELNS1_3gpuE7ELNS1_3repE0EEENS1_30default_config_static_selectorELNS0_4arch9wavefront6targetE0EEEvT1_, .Lfunc_end858-_ZN7rocprim17ROCPRIM_400000_NS6detail17trampoline_kernelINS0_14default_configENS1_25partition_config_selectorILNS1_17partition_subalgoE9EllbEEZZNS1_14partition_implILS5_9ELb0ES3_jPlS8_PNS0_10empty_typeENS0_5tupleIJS8_S9_EEENSB_IJS8_SA_EEENS0_18inequality_wrapperIZN2at6native12_GLOBAL__N_124unique_dim_cuda_templateIdEESt5tupleIJNSF_6TensorESK_SK_EERKSK_lbbbEUlllE0_EEPmJS9_EEE10hipError_tPvRmT3_T4_T5_T6_T7_T9_mT8_P12ihipStream_tbDpT10_ENKUlT_T0_E_clISt17integral_constantIbLb1EES19_IbLb0EEEEDaS15_S16_EUlS15_E_NS1_11comp_targetILNS1_3genE3ELNS1_11target_archE908ELNS1_3gpuE7ELNS1_3repE0EEENS1_30default_config_static_selectorELNS0_4arch9wavefront6targetE0EEEvT1_
                                        ; -- End function
	.section	.AMDGPU.csdata,"",@progbits
; Kernel info:
; codeLenInByte = 0
; NumSgprs: 0
; NumVgprs: 0
; ScratchSize: 0
; MemoryBound: 0
; FloatMode: 240
; IeeeMode: 1
; LDSByteSize: 0 bytes/workgroup (compile time only)
; SGPRBlocks: 0
; VGPRBlocks: 0
; NumSGPRsForWavesPerEU: 1
; NumVGPRsForWavesPerEU: 1
; Occupancy: 16
; WaveLimiterHint : 0
; COMPUTE_PGM_RSRC2:SCRATCH_EN: 0
; COMPUTE_PGM_RSRC2:USER_SGPR: 15
; COMPUTE_PGM_RSRC2:TRAP_HANDLER: 0
; COMPUTE_PGM_RSRC2:TGID_X_EN: 1
; COMPUTE_PGM_RSRC2:TGID_Y_EN: 0
; COMPUTE_PGM_RSRC2:TGID_Z_EN: 0
; COMPUTE_PGM_RSRC2:TIDIG_COMP_CNT: 0
	.section	.text._ZN7rocprim17ROCPRIM_400000_NS6detail17trampoline_kernelINS0_14default_configENS1_25partition_config_selectorILNS1_17partition_subalgoE9EllbEEZZNS1_14partition_implILS5_9ELb0ES3_jPlS8_PNS0_10empty_typeENS0_5tupleIJS8_S9_EEENSB_IJS8_SA_EEENS0_18inequality_wrapperIZN2at6native12_GLOBAL__N_124unique_dim_cuda_templateIdEESt5tupleIJNSF_6TensorESK_SK_EERKSK_lbbbEUlllE0_EEPmJS9_EEE10hipError_tPvRmT3_T4_T5_T6_T7_T9_mT8_P12ihipStream_tbDpT10_ENKUlT_T0_E_clISt17integral_constantIbLb1EES19_IbLb0EEEEDaS15_S16_EUlS15_E_NS1_11comp_targetILNS1_3genE2ELNS1_11target_archE906ELNS1_3gpuE6ELNS1_3repE0EEENS1_30default_config_static_selectorELNS0_4arch9wavefront6targetE0EEEvT1_,"axG",@progbits,_ZN7rocprim17ROCPRIM_400000_NS6detail17trampoline_kernelINS0_14default_configENS1_25partition_config_selectorILNS1_17partition_subalgoE9EllbEEZZNS1_14partition_implILS5_9ELb0ES3_jPlS8_PNS0_10empty_typeENS0_5tupleIJS8_S9_EEENSB_IJS8_SA_EEENS0_18inequality_wrapperIZN2at6native12_GLOBAL__N_124unique_dim_cuda_templateIdEESt5tupleIJNSF_6TensorESK_SK_EERKSK_lbbbEUlllE0_EEPmJS9_EEE10hipError_tPvRmT3_T4_T5_T6_T7_T9_mT8_P12ihipStream_tbDpT10_ENKUlT_T0_E_clISt17integral_constantIbLb1EES19_IbLb0EEEEDaS15_S16_EUlS15_E_NS1_11comp_targetILNS1_3genE2ELNS1_11target_archE906ELNS1_3gpuE6ELNS1_3repE0EEENS1_30default_config_static_selectorELNS0_4arch9wavefront6targetE0EEEvT1_,comdat
	.globl	_ZN7rocprim17ROCPRIM_400000_NS6detail17trampoline_kernelINS0_14default_configENS1_25partition_config_selectorILNS1_17partition_subalgoE9EllbEEZZNS1_14partition_implILS5_9ELb0ES3_jPlS8_PNS0_10empty_typeENS0_5tupleIJS8_S9_EEENSB_IJS8_SA_EEENS0_18inequality_wrapperIZN2at6native12_GLOBAL__N_124unique_dim_cuda_templateIdEESt5tupleIJNSF_6TensorESK_SK_EERKSK_lbbbEUlllE0_EEPmJS9_EEE10hipError_tPvRmT3_T4_T5_T6_T7_T9_mT8_P12ihipStream_tbDpT10_ENKUlT_T0_E_clISt17integral_constantIbLb1EES19_IbLb0EEEEDaS15_S16_EUlS15_E_NS1_11comp_targetILNS1_3genE2ELNS1_11target_archE906ELNS1_3gpuE6ELNS1_3repE0EEENS1_30default_config_static_selectorELNS0_4arch9wavefront6targetE0EEEvT1_ ; -- Begin function _ZN7rocprim17ROCPRIM_400000_NS6detail17trampoline_kernelINS0_14default_configENS1_25partition_config_selectorILNS1_17partition_subalgoE9EllbEEZZNS1_14partition_implILS5_9ELb0ES3_jPlS8_PNS0_10empty_typeENS0_5tupleIJS8_S9_EEENSB_IJS8_SA_EEENS0_18inequality_wrapperIZN2at6native12_GLOBAL__N_124unique_dim_cuda_templateIdEESt5tupleIJNSF_6TensorESK_SK_EERKSK_lbbbEUlllE0_EEPmJS9_EEE10hipError_tPvRmT3_T4_T5_T6_T7_T9_mT8_P12ihipStream_tbDpT10_ENKUlT_T0_E_clISt17integral_constantIbLb1EES19_IbLb0EEEEDaS15_S16_EUlS15_E_NS1_11comp_targetILNS1_3genE2ELNS1_11target_archE906ELNS1_3gpuE6ELNS1_3repE0EEENS1_30default_config_static_selectorELNS0_4arch9wavefront6targetE0EEEvT1_
	.p2align	8
	.type	_ZN7rocprim17ROCPRIM_400000_NS6detail17trampoline_kernelINS0_14default_configENS1_25partition_config_selectorILNS1_17partition_subalgoE9EllbEEZZNS1_14partition_implILS5_9ELb0ES3_jPlS8_PNS0_10empty_typeENS0_5tupleIJS8_S9_EEENSB_IJS8_SA_EEENS0_18inequality_wrapperIZN2at6native12_GLOBAL__N_124unique_dim_cuda_templateIdEESt5tupleIJNSF_6TensorESK_SK_EERKSK_lbbbEUlllE0_EEPmJS9_EEE10hipError_tPvRmT3_T4_T5_T6_T7_T9_mT8_P12ihipStream_tbDpT10_ENKUlT_T0_E_clISt17integral_constantIbLb1EES19_IbLb0EEEEDaS15_S16_EUlS15_E_NS1_11comp_targetILNS1_3genE2ELNS1_11target_archE906ELNS1_3gpuE6ELNS1_3repE0EEENS1_30default_config_static_selectorELNS0_4arch9wavefront6targetE0EEEvT1_,@function
_ZN7rocprim17ROCPRIM_400000_NS6detail17trampoline_kernelINS0_14default_configENS1_25partition_config_selectorILNS1_17partition_subalgoE9EllbEEZZNS1_14partition_implILS5_9ELb0ES3_jPlS8_PNS0_10empty_typeENS0_5tupleIJS8_S9_EEENSB_IJS8_SA_EEENS0_18inequality_wrapperIZN2at6native12_GLOBAL__N_124unique_dim_cuda_templateIdEESt5tupleIJNSF_6TensorESK_SK_EERKSK_lbbbEUlllE0_EEPmJS9_EEE10hipError_tPvRmT3_T4_T5_T6_T7_T9_mT8_P12ihipStream_tbDpT10_ENKUlT_T0_E_clISt17integral_constantIbLb1EES19_IbLb0EEEEDaS15_S16_EUlS15_E_NS1_11comp_targetILNS1_3genE2ELNS1_11target_archE906ELNS1_3gpuE6ELNS1_3repE0EEENS1_30default_config_static_selectorELNS0_4arch9wavefront6targetE0EEEvT1_: ; @_ZN7rocprim17ROCPRIM_400000_NS6detail17trampoline_kernelINS0_14default_configENS1_25partition_config_selectorILNS1_17partition_subalgoE9EllbEEZZNS1_14partition_implILS5_9ELb0ES3_jPlS8_PNS0_10empty_typeENS0_5tupleIJS8_S9_EEENSB_IJS8_SA_EEENS0_18inequality_wrapperIZN2at6native12_GLOBAL__N_124unique_dim_cuda_templateIdEESt5tupleIJNSF_6TensorESK_SK_EERKSK_lbbbEUlllE0_EEPmJS9_EEE10hipError_tPvRmT3_T4_T5_T6_T7_T9_mT8_P12ihipStream_tbDpT10_ENKUlT_T0_E_clISt17integral_constantIbLb1EES19_IbLb0EEEEDaS15_S16_EUlS15_E_NS1_11comp_targetILNS1_3genE2ELNS1_11target_archE906ELNS1_3gpuE6ELNS1_3repE0EEENS1_30default_config_static_selectorELNS0_4arch9wavefront6targetE0EEEvT1_
; %bb.0:
	.section	.rodata,"a",@progbits
	.p2align	6, 0x0
	.amdhsa_kernel _ZN7rocprim17ROCPRIM_400000_NS6detail17trampoline_kernelINS0_14default_configENS1_25partition_config_selectorILNS1_17partition_subalgoE9EllbEEZZNS1_14partition_implILS5_9ELb0ES3_jPlS8_PNS0_10empty_typeENS0_5tupleIJS8_S9_EEENSB_IJS8_SA_EEENS0_18inequality_wrapperIZN2at6native12_GLOBAL__N_124unique_dim_cuda_templateIdEESt5tupleIJNSF_6TensorESK_SK_EERKSK_lbbbEUlllE0_EEPmJS9_EEE10hipError_tPvRmT3_T4_T5_T6_T7_T9_mT8_P12ihipStream_tbDpT10_ENKUlT_T0_E_clISt17integral_constantIbLb1EES19_IbLb0EEEEDaS15_S16_EUlS15_E_NS1_11comp_targetILNS1_3genE2ELNS1_11target_archE906ELNS1_3gpuE6ELNS1_3repE0EEENS1_30default_config_static_selectorELNS0_4arch9wavefront6targetE0EEEvT1_
		.amdhsa_group_segment_fixed_size 0
		.amdhsa_private_segment_fixed_size 0
		.amdhsa_kernarg_size 120
		.amdhsa_user_sgpr_count 15
		.amdhsa_user_sgpr_dispatch_ptr 0
		.amdhsa_user_sgpr_queue_ptr 0
		.amdhsa_user_sgpr_kernarg_segment_ptr 1
		.amdhsa_user_sgpr_dispatch_id 0
		.amdhsa_user_sgpr_private_segment_size 0
		.amdhsa_wavefront_size32 1
		.amdhsa_uses_dynamic_stack 0
		.amdhsa_enable_private_segment 0
		.amdhsa_system_sgpr_workgroup_id_x 1
		.amdhsa_system_sgpr_workgroup_id_y 0
		.amdhsa_system_sgpr_workgroup_id_z 0
		.amdhsa_system_sgpr_workgroup_info 0
		.amdhsa_system_vgpr_workitem_id 0
		.amdhsa_next_free_vgpr 1
		.amdhsa_next_free_sgpr 1
		.amdhsa_reserve_vcc 0
		.amdhsa_float_round_mode_32 0
		.amdhsa_float_round_mode_16_64 0
		.amdhsa_float_denorm_mode_32 3
		.amdhsa_float_denorm_mode_16_64 3
		.amdhsa_dx10_clamp 1
		.amdhsa_ieee_mode 1
		.amdhsa_fp16_overflow 0
		.amdhsa_workgroup_processor_mode 1
		.amdhsa_memory_ordered 1
		.amdhsa_forward_progress 0
		.amdhsa_shared_vgpr_count 0
		.amdhsa_exception_fp_ieee_invalid_op 0
		.amdhsa_exception_fp_denorm_src 0
		.amdhsa_exception_fp_ieee_div_zero 0
		.amdhsa_exception_fp_ieee_overflow 0
		.amdhsa_exception_fp_ieee_underflow 0
		.amdhsa_exception_fp_ieee_inexact 0
		.amdhsa_exception_int_div_zero 0
	.end_amdhsa_kernel
	.section	.text._ZN7rocprim17ROCPRIM_400000_NS6detail17trampoline_kernelINS0_14default_configENS1_25partition_config_selectorILNS1_17partition_subalgoE9EllbEEZZNS1_14partition_implILS5_9ELb0ES3_jPlS8_PNS0_10empty_typeENS0_5tupleIJS8_S9_EEENSB_IJS8_SA_EEENS0_18inequality_wrapperIZN2at6native12_GLOBAL__N_124unique_dim_cuda_templateIdEESt5tupleIJNSF_6TensorESK_SK_EERKSK_lbbbEUlllE0_EEPmJS9_EEE10hipError_tPvRmT3_T4_T5_T6_T7_T9_mT8_P12ihipStream_tbDpT10_ENKUlT_T0_E_clISt17integral_constantIbLb1EES19_IbLb0EEEEDaS15_S16_EUlS15_E_NS1_11comp_targetILNS1_3genE2ELNS1_11target_archE906ELNS1_3gpuE6ELNS1_3repE0EEENS1_30default_config_static_selectorELNS0_4arch9wavefront6targetE0EEEvT1_,"axG",@progbits,_ZN7rocprim17ROCPRIM_400000_NS6detail17trampoline_kernelINS0_14default_configENS1_25partition_config_selectorILNS1_17partition_subalgoE9EllbEEZZNS1_14partition_implILS5_9ELb0ES3_jPlS8_PNS0_10empty_typeENS0_5tupleIJS8_S9_EEENSB_IJS8_SA_EEENS0_18inequality_wrapperIZN2at6native12_GLOBAL__N_124unique_dim_cuda_templateIdEESt5tupleIJNSF_6TensorESK_SK_EERKSK_lbbbEUlllE0_EEPmJS9_EEE10hipError_tPvRmT3_T4_T5_T6_T7_T9_mT8_P12ihipStream_tbDpT10_ENKUlT_T0_E_clISt17integral_constantIbLb1EES19_IbLb0EEEEDaS15_S16_EUlS15_E_NS1_11comp_targetILNS1_3genE2ELNS1_11target_archE906ELNS1_3gpuE6ELNS1_3repE0EEENS1_30default_config_static_selectorELNS0_4arch9wavefront6targetE0EEEvT1_,comdat
.Lfunc_end859:
	.size	_ZN7rocprim17ROCPRIM_400000_NS6detail17trampoline_kernelINS0_14default_configENS1_25partition_config_selectorILNS1_17partition_subalgoE9EllbEEZZNS1_14partition_implILS5_9ELb0ES3_jPlS8_PNS0_10empty_typeENS0_5tupleIJS8_S9_EEENSB_IJS8_SA_EEENS0_18inequality_wrapperIZN2at6native12_GLOBAL__N_124unique_dim_cuda_templateIdEESt5tupleIJNSF_6TensorESK_SK_EERKSK_lbbbEUlllE0_EEPmJS9_EEE10hipError_tPvRmT3_T4_T5_T6_T7_T9_mT8_P12ihipStream_tbDpT10_ENKUlT_T0_E_clISt17integral_constantIbLb1EES19_IbLb0EEEEDaS15_S16_EUlS15_E_NS1_11comp_targetILNS1_3genE2ELNS1_11target_archE906ELNS1_3gpuE6ELNS1_3repE0EEENS1_30default_config_static_selectorELNS0_4arch9wavefront6targetE0EEEvT1_, .Lfunc_end859-_ZN7rocprim17ROCPRIM_400000_NS6detail17trampoline_kernelINS0_14default_configENS1_25partition_config_selectorILNS1_17partition_subalgoE9EllbEEZZNS1_14partition_implILS5_9ELb0ES3_jPlS8_PNS0_10empty_typeENS0_5tupleIJS8_S9_EEENSB_IJS8_SA_EEENS0_18inequality_wrapperIZN2at6native12_GLOBAL__N_124unique_dim_cuda_templateIdEESt5tupleIJNSF_6TensorESK_SK_EERKSK_lbbbEUlllE0_EEPmJS9_EEE10hipError_tPvRmT3_T4_T5_T6_T7_T9_mT8_P12ihipStream_tbDpT10_ENKUlT_T0_E_clISt17integral_constantIbLb1EES19_IbLb0EEEEDaS15_S16_EUlS15_E_NS1_11comp_targetILNS1_3genE2ELNS1_11target_archE906ELNS1_3gpuE6ELNS1_3repE0EEENS1_30default_config_static_selectorELNS0_4arch9wavefront6targetE0EEEvT1_
                                        ; -- End function
	.section	.AMDGPU.csdata,"",@progbits
; Kernel info:
; codeLenInByte = 0
; NumSgprs: 0
; NumVgprs: 0
; ScratchSize: 0
; MemoryBound: 0
; FloatMode: 240
; IeeeMode: 1
; LDSByteSize: 0 bytes/workgroup (compile time only)
; SGPRBlocks: 0
; VGPRBlocks: 0
; NumSGPRsForWavesPerEU: 1
; NumVGPRsForWavesPerEU: 1
; Occupancy: 15
; WaveLimiterHint : 0
; COMPUTE_PGM_RSRC2:SCRATCH_EN: 0
; COMPUTE_PGM_RSRC2:USER_SGPR: 15
; COMPUTE_PGM_RSRC2:TRAP_HANDLER: 0
; COMPUTE_PGM_RSRC2:TGID_X_EN: 1
; COMPUTE_PGM_RSRC2:TGID_Y_EN: 0
; COMPUTE_PGM_RSRC2:TGID_Z_EN: 0
; COMPUTE_PGM_RSRC2:TIDIG_COMP_CNT: 0
	.section	.text._ZN7rocprim17ROCPRIM_400000_NS6detail17trampoline_kernelINS0_14default_configENS1_25partition_config_selectorILNS1_17partition_subalgoE9EllbEEZZNS1_14partition_implILS5_9ELb0ES3_jPlS8_PNS0_10empty_typeENS0_5tupleIJS8_S9_EEENSB_IJS8_SA_EEENS0_18inequality_wrapperIZN2at6native12_GLOBAL__N_124unique_dim_cuda_templateIdEESt5tupleIJNSF_6TensorESK_SK_EERKSK_lbbbEUlllE0_EEPmJS9_EEE10hipError_tPvRmT3_T4_T5_T6_T7_T9_mT8_P12ihipStream_tbDpT10_ENKUlT_T0_E_clISt17integral_constantIbLb1EES19_IbLb0EEEEDaS15_S16_EUlS15_E_NS1_11comp_targetILNS1_3genE10ELNS1_11target_archE1200ELNS1_3gpuE4ELNS1_3repE0EEENS1_30default_config_static_selectorELNS0_4arch9wavefront6targetE0EEEvT1_,"axG",@progbits,_ZN7rocprim17ROCPRIM_400000_NS6detail17trampoline_kernelINS0_14default_configENS1_25partition_config_selectorILNS1_17partition_subalgoE9EllbEEZZNS1_14partition_implILS5_9ELb0ES3_jPlS8_PNS0_10empty_typeENS0_5tupleIJS8_S9_EEENSB_IJS8_SA_EEENS0_18inequality_wrapperIZN2at6native12_GLOBAL__N_124unique_dim_cuda_templateIdEESt5tupleIJNSF_6TensorESK_SK_EERKSK_lbbbEUlllE0_EEPmJS9_EEE10hipError_tPvRmT3_T4_T5_T6_T7_T9_mT8_P12ihipStream_tbDpT10_ENKUlT_T0_E_clISt17integral_constantIbLb1EES19_IbLb0EEEEDaS15_S16_EUlS15_E_NS1_11comp_targetILNS1_3genE10ELNS1_11target_archE1200ELNS1_3gpuE4ELNS1_3repE0EEENS1_30default_config_static_selectorELNS0_4arch9wavefront6targetE0EEEvT1_,comdat
	.globl	_ZN7rocprim17ROCPRIM_400000_NS6detail17trampoline_kernelINS0_14default_configENS1_25partition_config_selectorILNS1_17partition_subalgoE9EllbEEZZNS1_14partition_implILS5_9ELb0ES3_jPlS8_PNS0_10empty_typeENS0_5tupleIJS8_S9_EEENSB_IJS8_SA_EEENS0_18inequality_wrapperIZN2at6native12_GLOBAL__N_124unique_dim_cuda_templateIdEESt5tupleIJNSF_6TensorESK_SK_EERKSK_lbbbEUlllE0_EEPmJS9_EEE10hipError_tPvRmT3_T4_T5_T6_T7_T9_mT8_P12ihipStream_tbDpT10_ENKUlT_T0_E_clISt17integral_constantIbLb1EES19_IbLb0EEEEDaS15_S16_EUlS15_E_NS1_11comp_targetILNS1_3genE10ELNS1_11target_archE1200ELNS1_3gpuE4ELNS1_3repE0EEENS1_30default_config_static_selectorELNS0_4arch9wavefront6targetE0EEEvT1_ ; -- Begin function _ZN7rocprim17ROCPRIM_400000_NS6detail17trampoline_kernelINS0_14default_configENS1_25partition_config_selectorILNS1_17partition_subalgoE9EllbEEZZNS1_14partition_implILS5_9ELb0ES3_jPlS8_PNS0_10empty_typeENS0_5tupleIJS8_S9_EEENSB_IJS8_SA_EEENS0_18inequality_wrapperIZN2at6native12_GLOBAL__N_124unique_dim_cuda_templateIdEESt5tupleIJNSF_6TensorESK_SK_EERKSK_lbbbEUlllE0_EEPmJS9_EEE10hipError_tPvRmT3_T4_T5_T6_T7_T9_mT8_P12ihipStream_tbDpT10_ENKUlT_T0_E_clISt17integral_constantIbLb1EES19_IbLb0EEEEDaS15_S16_EUlS15_E_NS1_11comp_targetILNS1_3genE10ELNS1_11target_archE1200ELNS1_3gpuE4ELNS1_3repE0EEENS1_30default_config_static_selectorELNS0_4arch9wavefront6targetE0EEEvT1_
	.p2align	8
	.type	_ZN7rocprim17ROCPRIM_400000_NS6detail17trampoline_kernelINS0_14default_configENS1_25partition_config_selectorILNS1_17partition_subalgoE9EllbEEZZNS1_14partition_implILS5_9ELb0ES3_jPlS8_PNS0_10empty_typeENS0_5tupleIJS8_S9_EEENSB_IJS8_SA_EEENS0_18inequality_wrapperIZN2at6native12_GLOBAL__N_124unique_dim_cuda_templateIdEESt5tupleIJNSF_6TensorESK_SK_EERKSK_lbbbEUlllE0_EEPmJS9_EEE10hipError_tPvRmT3_T4_T5_T6_T7_T9_mT8_P12ihipStream_tbDpT10_ENKUlT_T0_E_clISt17integral_constantIbLb1EES19_IbLb0EEEEDaS15_S16_EUlS15_E_NS1_11comp_targetILNS1_3genE10ELNS1_11target_archE1200ELNS1_3gpuE4ELNS1_3repE0EEENS1_30default_config_static_selectorELNS0_4arch9wavefront6targetE0EEEvT1_,@function
_ZN7rocprim17ROCPRIM_400000_NS6detail17trampoline_kernelINS0_14default_configENS1_25partition_config_selectorILNS1_17partition_subalgoE9EllbEEZZNS1_14partition_implILS5_9ELb0ES3_jPlS8_PNS0_10empty_typeENS0_5tupleIJS8_S9_EEENSB_IJS8_SA_EEENS0_18inequality_wrapperIZN2at6native12_GLOBAL__N_124unique_dim_cuda_templateIdEESt5tupleIJNSF_6TensorESK_SK_EERKSK_lbbbEUlllE0_EEPmJS9_EEE10hipError_tPvRmT3_T4_T5_T6_T7_T9_mT8_P12ihipStream_tbDpT10_ENKUlT_T0_E_clISt17integral_constantIbLb1EES19_IbLb0EEEEDaS15_S16_EUlS15_E_NS1_11comp_targetILNS1_3genE10ELNS1_11target_archE1200ELNS1_3gpuE4ELNS1_3repE0EEENS1_30default_config_static_selectorELNS0_4arch9wavefront6targetE0EEEvT1_: ; @_ZN7rocprim17ROCPRIM_400000_NS6detail17trampoline_kernelINS0_14default_configENS1_25partition_config_selectorILNS1_17partition_subalgoE9EllbEEZZNS1_14partition_implILS5_9ELb0ES3_jPlS8_PNS0_10empty_typeENS0_5tupleIJS8_S9_EEENSB_IJS8_SA_EEENS0_18inequality_wrapperIZN2at6native12_GLOBAL__N_124unique_dim_cuda_templateIdEESt5tupleIJNSF_6TensorESK_SK_EERKSK_lbbbEUlllE0_EEPmJS9_EEE10hipError_tPvRmT3_T4_T5_T6_T7_T9_mT8_P12ihipStream_tbDpT10_ENKUlT_T0_E_clISt17integral_constantIbLb1EES19_IbLb0EEEEDaS15_S16_EUlS15_E_NS1_11comp_targetILNS1_3genE10ELNS1_11target_archE1200ELNS1_3gpuE4ELNS1_3repE0EEENS1_30default_config_static_selectorELNS0_4arch9wavefront6targetE0EEEvT1_
; %bb.0:
	.section	.rodata,"a",@progbits
	.p2align	6, 0x0
	.amdhsa_kernel _ZN7rocprim17ROCPRIM_400000_NS6detail17trampoline_kernelINS0_14default_configENS1_25partition_config_selectorILNS1_17partition_subalgoE9EllbEEZZNS1_14partition_implILS5_9ELb0ES3_jPlS8_PNS0_10empty_typeENS0_5tupleIJS8_S9_EEENSB_IJS8_SA_EEENS0_18inequality_wrapperIZN2at6native12_GLOBAL__N_124unique_dim_cuda_templateIdEESt5tupleIJNSF_6TensorESK_SK_EERKSK_lbbbEUlllE0_EEPmJS9_EEE10hipError_tPvRmT3_T4_T5_T6_T7_T9_mT8_P12ihipStream_tbDpT10_ENKUlT_T0_E_clISt17integral_constantIbLb1EES19_IbLb0EEEEDaS15_S16_EUlS15_E_NS1_11comp_targetILNS1_3genE10ELNS1_11target_archE1200ELNS1_3gpuE4ELNS1_3repE0EEENS1_30default_config_static_selectorELNS0_4arch9wavefront6targetE0EEEvT1_
		.amdhsa_group_segment_fixed_size 0
		.amdhsa_private_segment_fixed_size 0
		.amdhsa_kernarg_size 120
		.amdhsa_user_sgpr_count 15
		.amdhsa_user_sgpr_dispatch_ptr 0
		.amdhsa_user_sgpr_queue_ptr 0
		.amdhsa_user_sgpr_kernarg_segment_ptr 1
		.amdhsa_user_sgpr_dispatch_id 0
		.amdhsa_user_sgpr_private_segment_size 0
		.amdhsa_wavefront_size32 1
		.amdhsa_uses_dynamic_stack 0
		.amdhsa_enable_private_segment 0
		.amdhsa_system_sgpr_workgroup_id_x 1
		.amdhsa_system_sgpr_workgroup_id_y 0
		.amdhsa_system_sgpr_workgroup_id_z 0
		.amdhsa_system_sgpr_workgroup_info 0
		.amdhsa_system_vgpr_workitem_id 0
		.amdhsa_next_free_vgpr 1
		.amdhsa_next_free_sgpr 1
		.amdhsa_reserve_vcc 0
		.amdhsa_float_round_mode_32 0
		.amdhsa_float_round_mode_16_64 0
		.amdhsa_float_denorm_mode_32 3
		.amdhsa_float_denorm_mode_16_64 3
		.amdhsa_dx10_clamp 1
		.amdhsa_ieee_mode 1
		.amdhsa_fp16_overflow 0
		.amdhsa_workgroup_processor_mode 1
		.amdhsa_memory_ordered 1
		.amdhsa_forward_progress 0
		.amdhsa_shared_vgpr_count 0
		.amdhsa_exception_fp_ieee_invalid_op 0
		.amdhsa_exception_fp_denorm_src 0
		.amdhsa_exception_fp_ieee_div_zero 0
		.amdhsa_exception_fp_ieee_overflow 0
		.amdhsa_exception_fp_ieee_underflow 0
		.amdhsa_exception_fp_ieee_inexact 0
		.amdhsa_exception_int_div_zero 0
	.end_amdhsa_kernel
	.section	.text._ZN7rocprim17ROCPRIM_400000_NS6detail17trampoline_kernelINS0_14default_configENS1_25partition_config_selectorILNS1_17partition_subalgoE9EllbEEZZNS1_14partition_implILS5_9ELb0ES3_jPlS8_PNS0_10empty_typeENS0_5tupleIJS8_S9_EEENSB_IJS8_SA_EEENS0_18inequality_wrapperIZN2at6native12_GLOBAL__N_124unique_dim_cuda_templateIdEESt5tupleIJNSF_6TensorESK_SK_EERKSK_lbbbEUlllE0_EEPmJS9_EEE10hipError_tPvRmT3_T4_T5_T6_T7_T9_mT8_P12ihipStream_tbDpT10_ENKUlT_T0_E_clISt17integral_constantIbLb1EES19_IbLb0EEEEDaS15_S16_EUlS15_E_NS1_11comp_targetILNS1_3genE10ELNS1_11target_archE1200ELNS1_3gpuE4ELNS1_3repE0EEENS1_30default_config_static_selectorELNS0_4arch9wavefront6targetE0EEEvT1_,"axG",@progbits,_ZN7rocprim17ROCPRIM_400000_NS6detail17trampoline_kernelINS0_14default_configENS1_25partition_config_selectorILNS1_17partition_subalgoE9EllbEEZZNS1_14partition_implILS5_9ELb0ES3_jPlS8_PNS0_10empty_typeENS0_5tupleIJS8_S9_EEENSB_IJS8_SA_EEENS0_18inequality_wrapperIZN2at6native12_GLOBAL__N_124unique_dim_cuda_templateIdEESt5tupleIJNSF_6TensorESK_SK_EERKSK_lbbbEUlllE0_EEPmJS9_EEE10hipError_tPvRmT3_T4_T5_T6_T7_T9_mT8_P12ihipStream_tbDpT10_ENKUlT_T0_E_clISt17integral_constantIbLb1EES19_IbLb0EEEEDaS15_S16_EUlS15_E_NS1_11comp_targetILNS1_3genE10ELNS1_11target_archE1200ELNS1_3gpuE4ELNS1_3repE0EEENS1_30default_config_static_selectorELNS0_4arch9wavefront6targetE0EEEvT1_,comdat
.Lfunc_end860:
	.size	_ZN7rocprim17ROCPRIM_400000_NS6detail17trampoline_kernelINS0_14default_configENS1_25partition_config_selectorILNS1_17partition_subalgoE9EllbEEZZNS1_14partition_implILS5_9ELb0ES3_jPlS8_PNS0_10empty_typeENS0_5tupleIJS8_S9_EEENSB_IJS8_SA_EEENS0_18inequality_wrapperIZN2at6native12_GLOBAL__N_124unique_dim_cuda_templateIdEESt5tupleIJNSF_6TensorESK_SK_EERKSK_lbbbEUlllE0_EEPmJS9_EEE10hipError_tPvRmT3_T4_T5_T6_T7_T9_mT8_P12ihipStream_tbDpT10_ENKUlT_T0_E_clISt17integral_constantIbLb1EES19_IbLb0EEEEDaS15_S16_EUlS15_E_NS1_11comp_targetILNS1_3genE10ELNS1_11target_archE1200ELNS1_3gpuE4ELNS1_3repE0EEENS1_30default_config_static_selectorELNS0_4arch9wavefront6targetE0EEEvT1_, .Lfunc_end860-_ZN7rocprim17ROCPRIM_400000_NS6detail17trampoline_kernelINS0_14default_configENS1_25partition_config_selectorILNS1_17partition_subalgoE9EllbEEZZNS1_14partition_implILS5_9ELb0ES3_jPlS8_PNS0_10empty_typeENS0_5tupleIJS8_S9_EEENSB_IJS8_SA_EEENS0_18inequality_wrapperIZN2at6native12_GLOBAL__N_124unique_dim_cuda_templateIdEESt5tupleIJNSF_6TensorESK_SK_EERKSK_lbbbEUlllE0_EEPmJS9_EEE10hipError_tPvRmT3_T4_T5_T6_T7_T9_mT8_P12ihipStream_tbDpT10_ENKUlT_T0_E_clISt17integral_constantIbLb1EES19_IbLb0EEEEDaS15_S16_EUlS15_E_NS1_11comp_targetILNS1_3genE10ELNS1_11target_archE1200ELNS1_3gpuE4ELNS1_3repE0EEENS1_30default_config_static_selectorELNS0_4arch9wavefront6targetE0EEEvT1_
                                        ; -- End function
	.section	.AMDGPU.csdata,"",@progbits
; Kernel info:
; codeLenInByte = 0
; NumSgprs: 0
; NumVgprs: 0
; ScratchSize: 0
; MemoryBound: 0
; FloatMode: 240
; IeeeMode: 1
; LDSByteSize: 0 bytes/workgroup (compile time only)
; SGPRBlocks: 0
; VGPRBlocks: 0
; NumSGPRsForWavesPerEU: 1
; NumVGPRsForWavesPerEU: 1
; Occupancy: 15
; WaveLimiterHint : 0
; COMPUTE_PGM_RSRC2:SCRATCH_EN: 0
; COMPUTE_PGM_RSRC2:USER_SGPR: 15
; COMPUTE_PGM_RSRC2:TRAP_HANDLER: 0
; COMPUTE_PGM_RSRC2:TGID_X_EN: 1
; COMPUTE_PGM_RSRC2:TGID_Y_EN: 0
; COMPUTE_PGM_RSRC2:TGID_Z_EN: 0
; COMPUTE_PGM_RSRC2:TIDIG_COMP_CNT: 0
	.section	.text._ZN7rocprim17ROCPRIM_400000_NS6detail17trampoline_kernelINS0_14default_configENS1_25partition_config_selectorILNS1_17partition_subalgoE9EllbEEZZNS1_14partition_implILS5_9ELb0ES3_jPlS8_PNS0_10empty_typeENS0_5tupleIJS8_S9_EEENSB_IJS8_SA_EEENS0_18inequality_wrapperIZN2at6native12_GLOBAL__N_124unique_dim_cuda_templateIdEESt5tupleIJNSF_6TensorESK_SK_EERKSK_lbbbEUlllE0_EEPmJS9_EEE10hipError_tPvRmT3_T4_T5_T6_T7_T9_mT8_P12ihipStream_tbDpT10_ENKUlT_T0_E_clISt17integral_constantIbLb1EES19_IbLb0EEEEDaS15_S16_EUlS15_E_NS1_11comp_targetILNS1_3genE9ELNS1_11target_archE1100ELNS1_3gpuE3ELNS1_3repE0EEENS1_30default_config_static_selectorELNS0_4arch9wavefront6targetE0EEEvT1_,"axG",@progbits,_ZN7rocprim17ROCPRIM_400000_NS6detail17trampoline_kernelINS0_14default_configENS1_25partition_config_selectorILNS1_17partition_subalgoE9EllbEEZZNS1_14partition_implILS5_9ELb0ES3_jPlS8_PNS0_10empty_typeENS0_5tupleIJS8_S9_EEENSB_IJS8_SA_EEENS0_18inequality_wrapperIZN2at6native12_GLOBAL__N_124unique_dim_cuda_templateIdEESt5tupleIJNSF_6TensorESK_SK_EERKSK_lbbbEUlllE0_EEPmJS9_EEE10hipError_tPvRmT3_T4_T5_T6_T7_T9_mT8_P12ihipStream_tbDpT10_ENKUlT_T0_E_clISt17integral_constantIbLb1EES19_IbLb0EEEEDaS15_S16_EUlS15_E_NS1_11comp_targetILNS1_3genE9ELNS1_11target_archE1100ELNS1_3gpuE3ELNS1_3repE0EEENS1_30default_config_static_selectorELNS0_4arch9wavefront6targetE0EEEvT1_,comdat
	.globl	_ZN7rocprim17ROCPRIM_400000_NS6detail17trampoline_kernelINS0_14default_configENS1_25partition_config_selectorILNS1_17partition_subalgoE9EllbEEZZNS1_14partition_implILS5_9ELb0ES3_jPlS8_PNS0_10empty_typeENS0_5tupleIJS8_S9_EEENSB_IJS8_SA_EEENS0_18inequality_wrapperIZN2at6native12_GLOBAL__N_124unique_dim_cuda_templateIdEESt5tupleIJNSF_6TensorESK_SK_EERKSK_lbbbEUlllE0_EEPmJS9_EEE10hipError_tPvRmT3_T4_T5_T6_T7_T9_mT8_P12ihipStream_tbDpT10_ENKUlT_T0_E_clISt17integral_constantIbLb1EES19_IbLb0EEEEDaS15_S16_EUlS15_E_NS1_11comp_targetILNS1_3genE9ELNS1_11target_archE1100ELNS1_3gpuE3ELNS1_3repE0EEENS1_30default_config_static_selectorELNS0_4arch9wavefront6targetE0EEEvT1_ ; -- Begin function _ZN7rocprim17ROCPRIM_400000_NS6detail17trampoline_kernelINS0_14default_configENS1_25partition_config_selectorILNS1_17partition_subalgoE9EllbEEZZNS1_14partition_implILS5_9ELb0ES3_jPlS8_PNS0_10empty_typeENS0_5tupleIJS8_S9_EEENSB_IJS8_SA_EEENS0_18inequality_wrapperIZN2at6native12_GLOBAL__N_124unique_dim_cuda_templateIdEESt5tupleIJNSF_6TensorESK_SK_EERKSK_lbbbEUlllE0_EEPmJS9_EEE10hipError_tPvRmT3_T4_T5_T6_T7_T9_mT8_P12ihipStream_tbDpT10_ENKUlT_T0_E_clISt17integral_constantIbLb1EES19_IbLb0EEEEDaS15_S16_EUlS15_E_NS1_11comp_targetILNS1_3genE9ELNS1_11target_archE1100ELNS1_3gpuE3ELNS1_3repE0EEENS1_30default_config_static_selectorELNS0_4arch9wavefront6targetE0EEEvT1_
	.p2align	8
	.type	_ZN7rocprim17ROCPRIM_400000_NS6detail17trampoline_kernelINS0_14default_configENS1_25partition_config_selectorILNS1_17partition_subalgoE9EllbEEZZNS1_14partition_implILS5_9ELb0ES3_jPlS8_PNS0_10empty_typeENS0_5tupleIJS8_S9_EEENSB_IJS8_SA_EEENS0_18inequality_wrapperIZN2at6native12_GLOBAL__N_124unique_dim_cuda_templateIdEESt5tupleIJNSF_6TensorESK_SK_EERKSK_lbbbEUlllE0_EEPmJS9_EEE10hipError_tPvRmT3_T4_T5_T6_T7_T9_mT8_P12ihipStream_tbDpT10_ENKUlT_T0_E_clISt17integral_constantIbLb1EES19_IbLb0EEEEDaS15_S16_EUlS15_E_NS1_11comp_targetILNS1_3genE9ELNS1_11target_archE1100ELNS1_3gpuE3ELNS1_3repE0EEENS1_30default_config_static_selectorELNS0_4arch9wavefront6targetE0EEEvT1_,@function
_ZN7rocprim17ROCPRIM_400000_NS6detail17trampoline_kernelINS0_14default_configENS1_25partition_config_selectorILNS1_17partition_subalgoE9EllbEEZZNS1_14partition_implILS5_9ELb0ES3_jPlS8_PNS0_10empty_typeENS0_5tupleIJS8_S9_EEENSB_IJS8_SA_EEENS0_18inequality_wrapperIZN2at6native12_GLOBAL__N_124unique_dim_cuda_templateIdEESt5tupleIJNSF_6TensorESK_SK_EERKSK_lbbbEUlllE0_EEPmJS9_EEE10hipError_tPvRmT3_T4_T5_T6_T7_T9_mT8_P12ihipStream_tbDpT10_ENKUlT_T0_E_clISt17integral_constantIbLb1EES19_IbLb0EEEEDaS15_S16_EUlS15_E_NS1_11comp_targetILNS1_3genE9ELNS1_11target_archE1100ELNS1_3gpuE3ELNS1_3repE0EEENS1_30default_config_static_selectorELNS0_4arch9wavefront6targetE0EEEvT1_: ; @_ZN7rocprim17ROCPRIM_400000_NS6detail17trampoline_kernelINS0_14default_configENS1_25partition_config_selectorILNS1_17partition_subalgoE9EllbEEZZNS1_14partition_implILS5_9ELb0ES3_jPlS8_PNS0_10empty_typeENS0_5tupleIJS8_S9_EEENSB_IJS8_SA_EEENS0_18inequality_wrapperIZN2at6native12_GLOBAL__N_124unique_dim_cuda_templateIdEESt5tupleIJNSF_6TensorESK_SK_EERKSK_lbbbEUlllE0_EEPmJS9_EEE10hipError_tPvRmT3_T4_T5_T6_T7_T9_mT8_P12ihipStream_tbDpT10_ENKUlT_T0_E_clISt17integral_constantIbLb1EES19_IbLb0EEEEDaS15_S16_EUlS15_E_NS1_11comp_targetILNS1_3genE9ELNS1_11target_archE1100ELNS1_3gpuE3ELNS1_3repE0EEENS1_30default_config_static_selectorELNS0_4arch9wavefront6targetE0EEEvT1_
; %bb.0:
	s_clause 0x3
	s_load_b128 s[4:7], s[0:1], 0x8
	s_load_b32 s8, s[0:1], 0x70
	s_load_b256 s[16:23], s[0:1], 0x40
	s_load_b64 s[24:25], s[0:1], 0x18
	s_mov_b32 s3, 0
	v_lshlrev_b32_e32 v55, 3, v0
	v_lshrrev_b32_e32 v33, 2, v0
	v_or_b32_e32 v38, 0x200, v0
	v_or_b32_e32 v36, 0x400, v0
	v_or_b32_e32 v40, 0x600, v0
	v_or_b32_e32 v39, 0x800, v0
	v_or_b32_e32 v37, 0xa00, v0
	v_or_b32_e32 v34, 0xc00, v0
	v_or_b32_e32 v35, 0xe00, v0
	s_waitcnt lgkmcnt(0)
	s_lshl_b64 s[26:27], s[6:7], 3
	s_delay_alu instid0(SALU_CYCLE_1)
	s_add_u32 s9, s4, s26
	s_addc_u32 s10, s5, s27
	s_add_i32 s11, s8, -1
	s_load_b64 s[12:13], s[18:19], 0x0
	s_lshl_b32 s4, s11, 12
	s_lshl_b32 s5, s8, 12
	s_add_i32 s4, s6, s4
	s_lshl_b32 s2, s15, 12
	s_sub_i32 s28, s20, s4
	s_add_u32 s4, s6, s5
	s_addc_u32 s5, s7, 0
	s_cmp_eq_u32 s15, s11
	v_cmp_ge_u64_e64 s4, s[4:5], s[20:21]
	s_cselect_b32 s14, -1, 0
	s_lshl_b64 s[18:19], s[2:3], 3
	s_mov_b32 s3, -1
	s_delay_alu instid0(VALU_DEP_1) | instskip(NEXT) | instid1(SALU_CYCLE_1)
	s_and_b32 s21, s14, s4
	s_xor_b32 s20, s21, -1
	s_add_u32 s4, s9, s18
	s_addc_u32 s5, s10, s19
	s_and_b32 vcc_lo, exec_lo, s20
	s_cbranch_vccz .LBB861_2
; %bb.1:
	v_add_co_u32 v9, s2, s4, v55
	s_delay_alu instid0(VALU_DEP_1)
	v_add_co_ci_u32_e64 v10, null, s5, 0, s2
	global_load_b64 v[1:2], v55, s[4:5]
	v_add_co_u32 v3, vcc_lo, v9, 0x2000
	v_add_co_ci_u32_e32 v4, vcc_lo, 0, v10, vcc_lo
	v_add_co_u32 v5, vcc_lo, v9, 0x4000
	v_add_co_ci_u32_e32 v6, vcc_lo, 0, v10, vcc_lo
	;; [unrolled: 2-line block ×4, first 2 shown]
	s_clause 0x6
	global_load_b64 v[11:12], v[3:4], off offset:-4096
	global_load_b64 v[3:4], v[3:4], off
	global_load_b64 v[13:14], v[5:6], off offset:-4096
	global_load_b64 v[5:6], v[5:6], off
	;; [unrolled: 2-line block ×3, first 2 shown]
	global_load_b64 v[9:10], v[9:10], off
	v_lshrrev_b32_e32 v18, 2, v38
	v_lshrrev_b32_e32 v19, 2, v36
	;; [unrolled: 1-line block ×4, first 2 shown]
	v_and_b32_e32 v17, 0x78, v33
	v_lshrrev_b32_e32 v22, 2, v37
	v_lshrrev_b32_e32 v23, 2, v34
	;; [unrolled: 1-line block ×3, first 2 shown]
	v_and_b32_e32 v18, 0xf8, v18
	v_and_b32_e32 v19, 0x178, v19
	;; [unrolled: 1-line block ×4, first 2 shown]
	v_add_nc_u32_e32 v17, v17, v55
	v_and_b32_e32 v22, 0x2f8, v22
	v_and_b32_e32 v23, 0x378, v23
	;; [unrolled: 1-line block ×3, first 2 shown]
	v_add_nc_u32_e32 v18, v18, v55
	v_add_nc_u32_e32 v19, v19, v55
	;; [unrolled: 1-line block ×4, first 2 shown]
	s_mov_b32 s3, 0
	v_add_nc_u32_e32 v22, v22, v55
	v_add_nc_u32_e32 v23, v23, v55
	;; [unrolled: 1-line block ×3, first 2 shown]
	s_waitcnt vmcnt(7)
	ds_store_b64 v17, v[1:2]
	s_waitcnt vmcnt(6)
	ds_store_b64 v18, v[11:12] offset:4096
	s_waitcnt vmcnt(5)
	ds_store_b64 v19, v[3:4] offset:8192
	;; [unrolled: 2-line block ×7, first 2 shown]
	s_waitcnt lgkmcnt(0)
	s_barrier
.LBB861_2:
	s_load_b128 s[8:11], s[0:1], 0x60
	v_cmp_gt_u32_e64 s2, s28, v0
	s_and_not1_b32 vcc_lo, exec_lo, s3
	s_cbranch_vccnz .LBB861_20
; %bb.3:
                                        ; implicit-def: $vgpr1_vgpr2_vgpr3_vgpr4_vgpr5_vgpr6_vgpr7_vgpr8_vgpr9_vgpr10_vgpr11_vgpr12_vgpr13_vgpr14_vgpr15_vgpr16
	s_delay_alu instid0(VALU_DEP_1)
	s_and_saveexec_b32 s3, s2
	s_cbranch_execz .LBB861_11
; %bb.4:
	global_load_b64 v[1:2], v55, s[4:5]
	s_or_b32 exec_lo, exec_lo, s3
	s_delay_alu instid0(SALU_CYCLE_1)
	s_mov_b32 s2, exec_lo
	v_cmpx_gt_u32_e64 s28, v38
	s_cbranch_execnz .LBB861_12
.LBB861_5:
	s_or_b32 exec_lo, exec_lo, s2
	s_delay_alu instid0(SALU_CYCLE_1)
	s_mov_b32 s2, exec_lo
	v_cmpx_gt_u32_e64 s28, v36
	s_cbranch_execz .LBB861_13
.LBB861_6:
	v_lshlrev_b32_e32 v5, 3, v36
	global_load_b64 v[5:6], v5, s[4:5]
	s_or_b32 exec_lo, exec_lo, s2
	s_delay_alu instid0(SALU_CYCLE_1)
	s_mov_b32 s2, exec_lo
	v_cmpx_gt_u32_e64 s28, v40
	s_cbranch_execnz .LBB861_14
.LBB861_7:
	s_or_b32 exec_lo, exec_lo, s2
	s_delay_alu instid0(SALU_CYCLE_1)
	s_mov_b32 s2, exec_lo
	v_cmpx_gt_u32_e64 s28, v39
	s_cbranch_execz .LBB861_15
.LBB861_8:
	v_lshlrev_b32_e32 v9, 3, v39
	global_load_b64 v[9:10], v9, s[4:5]
	s_or_b32 exec_lo, exec_lo, s2
	s_delay_alu instid0(SALU_CYCLE_1)
	s_mov_b32 s2, exec_lo
	v_cmpx_gt_u32_e64 s28, v37
	s_cbranch_execnz .LBB861_16
.LBB861_9:
	s_or_b32 exec_lo, exec_lo, s2
	s_delay_alu instid0(SALU_CYCLE_1)
	s_mov_b32 s2, exec_lo
	v_cmpx_gt_u32_e64 s28, v34
	s_cbranch_execz .LBB861_17
.LBB861_10:
	v_lshlrev_b32_e32 v13, 3, v34
	global_load_b64 v[13:14], v13, s[4:5]
	s_or_b32 exec_lo, exec_lo, s2
	s_delay_alu instid0(SALU_CYCLE_1)
	s_mov_b32 s2, exec_lo
	v_cmpx_gt_u32_e64 s28, v35
	s_cbranch_execnz .LBB861_18
	s_branch .LBB861_19
.LBB861_11:
	s_or_b32 exec_lo, exec_lo, s3
	s_delay_alu instid0(SALU_CYCLE_1)
	s_mov_b32 s2, exec_lo
	v_cmpx_gt_u32_e64 s28, v38
	s_cbranch_execz .LBB861_5
.LBB861_12:
	v_lshlrev_b32_e32 v3, 3, v38
	global_load_b64 v[3:4], v3, s[4:5]
	s_or_b32 exec_lo, exec_lo, s2
	s_delay_alu instid0(SALU_CYCLE_1)
	s_mov_b32 s2, exec_lo
	v_cmpx_gt_u32_e64 s28, v36
	s_cbranch_execnz .LBB861_6
.LBB861_13:
	s_or_b32 exec_lo, exec_lo, s2
	s_delay_alu instid0(SALU_CYCLE_1)
	s_mov_b32 s2, exec_lo
	v_cmpx_gt_u32_e64 s28, v40
	s_cbranch_execz .LBB861_7
.LBB861_14:
	v_lshlrev_b32_e32 v7, 3, v40
	global_load_b64 v[7:8], v7, s[4:5]
	s_or_b32 exec_lo, exec_lo, s2
	s_delay_alu instid0(SALU_CYCLE_1)
	s_mov_b32 s2, exec_lo
	v_cmpx_gt_u32_e64 s28, v39
	s_cbranch_execnz .LBB861_8
.LBB861_15:
	s_or_b32 exec_lo, exec_lo, s2
	s_delay_alu instid0(SALU_CYCLE_1)
	s_mov_b32 s2, exec_lo
	v_cmpx_gt_u32_e64 s28, v37
	s_cbranch_execz .LBB861_9
.LBB861_16:
	v_lshlrev_b32_e32 v11, 3, v37
	global_load_b64 v[11:12], v11, s[4:5]
	s_or_b32 exec_lo, exec_lo, s2
	s_delay_alu instid0(SALU_CYCLE_1)
	s_mov_b32 s2, exec_lo
	v_cmpx_gt_u32_e64 s28, v34
	s_cbranch_execnz .LBB861_10
.LBB861_17:
	s_or_b32 exec_lo, exec_lo, s2
	s_delay_alu instid0(SALU_CYCLE_1)
	s_mov_b32 s2, exec_lo
	v_cmpx_gt_u32_e64 s28, v35
	s_cbranch_execz .LBB861_19
.LBB861_18:
	v_lshlrev_b32_e32 v15, 3, v35
	global_load_b64 v[15:16], v15, s[4:5]
.LBB861_19:
	s_or_b32 exec_lo, exec_lo, s2
	v_lshrrev_b32_e32 v17, 2, v38
	v_lshrrev_b32_e32 v18, 2, v36
	;; [unrolled: 1-line block ×4, first 2 shown]
	v_and_b32_e32 v19, 0x78, v33
	v_lshrrev_b32_e32 v22, 2, v37
	v_lshrrev_b32_e32 v23, 2, v34
	;; [unrolled: 1-line block ×3, first 2 shown]
	v_and_b32_e32 v17, 0xf8, v17
	v_and_b32_e32 v18, 0x1f8, v18
	;; [unrolled: 1-line block ×4, first 2 shown]
	v_add_nc_u32_e32 v19, v19, v55
	v_and_b32_e32 v22, 0x3f8, v22
	v_and_b32_e32 v23, 0x3f8, v23
	v_and_b32_e32 v24, 0x3f8, v24
	v_add_nc_u32_e32 v17, v17, v55
	v_add_nc_u32_e32 v18, v18, v55
	;; [unrolled: 1-line block ×7, first 2 shown]
	s_waitcnt vmcnt(0)
	ds_store_b64 v19, v[1:2]
	ds_store_b64 v17, v[3:4] offset:4096
	ds_store_b64 v18, v[5:6] offset:8192
	;; [unrolled: 1-line block ×7, first 2 shown]
	s_waitcnt lgkmcnt(0)
	s_barrier
.LBB861_20:
	v_add_lshl_u32 v41, v33, v55, 3
	s_waitcnt lgkmcnt(0)
	buffer_gl0_inv
	s_add_u32 s2, s24, s26
	s_addc_u32 s3, s25, s27
	s_add_u32 s2, s2, s18
	ds_load_2addr_b64 v[29:32], v41 offset1:1
	ds_load_2addr_b64 v[25:28], v41 offset0:2 offset1:3
	ds_load_2addr_b64 v[21:24], v41 offset0:4 offset1:5
	;; [unrolled: 1-line block ×3, first 2 shown]
	s_addc_u32 s3, s3, s19
	s_and_b32 vcc_lo, exec_lo, s20
	s_mov_b32 s18, -1
	s_waitcnt lgkmcnt(0)
	s_barrier
	buffer_gl0_inv
	s_cbranch_vccz .LBB861_22
; %bb.21:
	v_add_co_u32 v9, s18, s2, v55
	s_delay_alu instid0(VALU_DEP_1)
	v_add_co_ci_u32_e64 v10, null, s3, 0, s18
	global_load_b64 v[1:2], v55, s[2:3]
	v_add_co_u32 v3, vcc_lo, v9, 0x2000
	v_add_co_ci_u32_e32 v4, vcc_lo, 0, v10, vcc_lo
	v_add_co_u32 v5, vcc_lo, v9, 0x4000
	v_add_co_ci_u32_e32 v6, vcc_lo, 0, v10, vcc_lo
	;; [unrolled: 2-line block ×4, first 2 shown]
	s_clause 0x6
	global_load_b64 v[11:12], v[3:4], off offset:-4096
	global_load_b64 v[3:4], v[3:4], off
	global_load_b64 v[13:14], v[5:6], off offset:-4096
	global_load_b64 v[5:6], v[5:6], off
	;; [unrolled: 2-line block ×3, first 2 shown]
	global_load_b64 v[9:10], v[9:10], off
	v_lshrrev_b32_e32 v43, 2, v38
	v_lshrrev_b32_e32 v44, 2, v36
	;; [unrolled: 1-line block ×4, first 2 shown]
	v_and_b32_e32 v42, 0x78, v33
	v_lshrrev_b32_e32 v47, 2, v37
	v_lshrrev_b32_e32 v48, 2, v34
	;; [unrolled: 1-line block ×3, first 2 shown]
	v_and_b32_e32 v43, 0xf8, v43
	v_and_b32_e32 v44, 0x178, v44
	;; [unrolled: 1-line block ×4, first 2 shown]
	v_add_nc_u32_e32 v42, v42, v55
	v_and_b32_e32 v47, 0x2f8, v47
	v_and_b32_e32 v48, 0x378, v48
	;; [unrolled: 1-line block ×3, first 2 shown]
	v_add_nc_u32_e32 v43, v43, v55
	v_add_nc_u32_e32 v44, v44, v55
	;; [unrolled: 1-line block ×4, first 2 shown]
	s_mov_b32 s18, 0
	v_add_nc_u32_e32 v47, v47, v55
	v_add_nc_u32_e32 v48, v48, v55
	;; [unrolled: 1-line block ×3, first 2 shown]
	s_waitcnt vmcnt(7)
	ds_store_b64 v42, v[1:2]
	s_waitcnt vmcnt(6)
	ds_store_b64 v43, v[11:12] offset:4096
	s_waitcnt vmcnt(5)
	ds_store_b64 v44, v[3:4] offset:8192
	;; [unrolled: 2-line block ×7, first 2 shown]
	s_waitcnt lgkmcnt(0)
	s_barrier
.LBB861_22:
	s_and_not1_b32 vcc_lo, exec_lo, s18
	s_cbranch_vccnz .LBB861_40
; %bb.23:
	s_mov_b32 s18, exec_lo
                                        ; implicit-def: $vgpr1_vgpr2
	v_cmpx_gt_u32_e64 s28, v0
	s_cbranch_execz .LBB861_25
; %bb.24:
	global_load_b64 v[1:2], v55, s[2:3]
.LBB861_25:
	s_or_b32 exec_lo, exec_lo, s18
	s_delay_alu instid0(SALU_CYCLE_1)
	s_mov_b32 s18, exec_lo
                                        ; implicit-def: $vgpr3_vgpr4
	v_cmpx_gt_u32_e64 s28, v38
	s_cbranch_execz .LBB861_27
; %bb.26:
	v_lshlrev_b32_e32 v3, 3, v38
	global_load_b64 v[3:4], v3, s[2:3]
.LBB861_27:
	s_or_b32 exec_lo, exec_lo, s18
	s_delay_alu instid0(SALU_CYCLE_1)
	s_mov_b32 s18, exec_lo
                                        ; implicit-def: $vgpr5_vgpr6
	v_cmpx_gt_u32_e64 s28, v36
	s_cbranch_execz .LBB861_29
; %bb.28:
	v_lshlrev_b32_e32 v5, 3, v36
	global_load_b64 v[5:6], v5, s[2:3]
.LBB861_29:
	s_or_b32 exec_lo, exec_lo, s18
	s_delay_alu instid0(SALU_CYCLE_1)
	s_mov_b32 s18, exec_lo
                                        ; implicit-def: $vgpr7_vgpr8
	v_cmpx_gt_u32_e64 s28, v40
	s_cbranch_execz .LBB861_31
; %bb.30:
	v_lshlrev_b32_e32 v7, 3, v40
	global_load_b64 v[7:8], v7, s[2:3]
.LBB861_31:
	s_or_b32 exec_lo, exec_lo, s18
	s_delay_alu instid0(SALU_CYCLE_1)
	s_mov_b32 s18, exec_lo
                                        ; implicit-def: $vgpr9_vgpr10
	v_cmpx_gt_u32_e64 s28, v39
	s_cbranch_execz .LBB861_33
; %bb.32:
	v_lshlrev_b32_e32 v9, 3, v39
	global_load_b64 v[9:10], v9, s[2:3]
.LBB861_33:
	s_or_b32 exec_lo, exec_lo, s18
	s_delay_alu instid0(SALU_CYCLE_1)
	s_mov_b32 s18, exec_lo
                                        ; implicit-def: $vgpr11_vgpr12
	v_cmpx_gt_u32_e64 s28, v37
	s_cbranch_execz .LBB861_35
; %bb.34:
	v_lshlrev_b32_e32 v11, 3, v37
	global_load_b64 v[11:12], v11, s[2:3]
.LBB861_35:
	s_or_b32 exec_lo, exec_lo, s18
	s_delay_alu instid0(SALU_CYCLE_1)
	s_mov_b32 s18, exec_lo
                                        ; implicit-def: $vgpr13_vgpr14
	v_cmpx_gt_u32_e64 s28, v34
	s_cbranch_execz .LBB861_37
; %bb.36:
	v_lshlrev_b32_e32 v13, 3, v34
	global_load_b64 v[13:14], v13, s[2:3]
.LBB861_37:
	s_or_b32 exec_lo, exec_lo, s18
	s_delay_alu instid0(SALU_CYCLE_1)
	s_mov_b32 s18, exec_lo
                                        ; implicit-def: $vgpr15_vgpr16
	v_cmpx_gt_u32_e64 s28, v35
	s_cbranch_execz .LBB861_39
; %bb.38:
	v_lshlrev_b32_e32 v15, 3, v35
	global_load_b64 v[15:16], v15, s[2:3]
.LBB861_39:
	s_or_b32 exec_lo, exec_lo, s18
	v_lshrrev_b32_e32 v38, 2, v38
	v_lshrrev_b32_e32 v36, 2, v36
	;; [unrolled: 1-line block ×4, first 2 shown]
	v_and_b32_e32 v33, 0x78, v33
	v_lshrrev_b32_e32 v37, 2, v37
	v_lshrrev_b32_e32 v34, 2, v34
	v_lshrrev_b32_e32 v35, 2, v35
	v_and_b32_e32 v38, 0xf8, v38
	v_and_b32_e32 v36, 0x1f8, v36
	;; [unrolled: 1-line block ×4, first 2 shown]
	v_add_nc_u32_e32 v33, v33, v55
	v_and_b32_e32 v37, 0x3f8, v37
	v_and_b32_e32 v34, 0x3f8, v34
	;; [unrolled: 1-line block ×3, first 2 shown]
	v_add_nc_u32_e32 v38, v38, v55
	v_add_nc_u32_e32 v36, v36, v55
	;; [unrolled: 1-line block ×7, first 2 shown]
	s_waitcnt vmcnt(0)
	ds_store_b64 v33, v[1:2]
	ds_store_b64 v38, v[3:4] offset:4096
	ds_store_b64 v36, v[5:6] offset:8192
	ds_store_b64 v40, v[7:8] offset:12288
	ds_store_b64 v39, v[9:10] offset:16384
	ds_store_b64 v37, v[11:12] offset:20480
	ds_store_b64 v34, v[13:14] offset:24576
	ds_store_b64 v35, v[15:16] offset:28672
	s_waitcnt lgkmcnt(0)
	s_barrier
.LBB861_40:
	buffer_gl0_inv
	ds_load_2addr_b64 v[13:16], v41 offset1:1
	ds_load_2addr_b64 v[9:12], v41 offset0:2 offset1:3
	ds_load_2addr_b64 v[5:8], v41 offset0:4 offset1:5
	;; [unrolled: 1-line block ×3, first 2 shown]
	s_cmp_lg_u32 s15, 0
	v_cmp_gt_i64_e64 s25, s[22:23], 0
	s_cselect_b32 s24, -1, 0
	s_cmp_lg_u64 s[6:7], 0
	s_mov_b32 s3, 0
	s_cselect_b32 s2, -1, 0
	s_waitcnt lgkmcnt(0)
	s_or_b32 s2, s24, s2
	s_barrier
	s_and_b32 vcc_lo, exec_lo, s2
	buffer_gl0_inv
	s_cbranch_vccz .LBB861_49
; %bb.41:
	s_add_u32 s2, s4, -8
	s_addc_u32 s3, s5, -1
	v_cndmask_b32_e64 v41, 0, 1, s25
	s_load_b64 s[4:5], s[2:3], 0x0
	s_and_b32 vcc_lo, exec_lo, s20
	ds_store_b64 v55, v[19:20]
	v_cmp_ne_u32_e64 s2, 1, v41
	s_cbranch_vccz .LBB861_50
; %bb.42:
	v_mul_lo_u32 v35, v18, s22
	v_mul_lo_u32 v36, v17, s23
	v_mad_u64_u32 v[33:34], null, v17, s22, 0
	s_mov_b32 s3, 0
	s_and_b32 vcc_lo, exec_lo, s2
	s_mov_b32 s26, 0
	s_delay_alu instid0(VALU_DEP_1) | instskip(NEXT) | instid1(VALU_DEP_1)
	v_add3_u32 v34, v34, v36, v35
	v_lshlrev_b64 v[33:34], 3, v[33:34]
	s_cbranch_vccnz .LBB861_53
; %bb.43:
	v_mul_lo_u32 v37, v20, s22
	v_mul_lo_u32 v38, v19, s23
	v_mad_u64_u32 v[35:36], null, v19, s22, 0
	s_mov_b32 s26, -1
	s_mov_b32 s27, exec_lo
	s_delay_alu instid0(VALU_DEP_1) | instskip(SKIP_2) | instid1(VALU_DEP_3)
	v_add3_u32 v36, v36, v38, v37
	v_add_co_u32 v37, vcc_lo, s8, v33
	v_add_co_ci_u32_e32 v38, vcc_lo, s9, v34, vcc_lo
	v_lshlrev_b64 v[35:36], 3, v[35:36]
	s_delay_alu instid0(VALU_DEP_1) | instskip(NEXT) | instid1(VALU_DEP_2)
	v_add_co_u32 v35, vcc_lo, s8, v35
	v_add_co_ci_u32_e32 v36, vcc_lo, s9, v36, vcc_lo
	s_clause 0x1
	global_load_b64 v[39:40], v[37:38], off
	global_load_b64 v[42:43], v[35:36], off
	s_waitcnt vmcnt(0)
	v_cmpx_eq_f64_e32 v[39:40], v[42:43]
	s_cbranch_execz .LBB861_52
; %bb.44:
	v_add_co_u32 v35, vcc_lo, v35, 8
	v_add_co_ci_u32_e32 v36, vcc_lo, 0, v36, vcc_lo
	v_add_co_u32 v37, vcc_lo, v37, 8
	v_add_co_ci_u32_e32 v38, vcc_lo, 0, v38, vcc_lo
	s_add_u32 s6, s22, -1
	s_addc_u32 s7, s23, -1
	s_mov_b64 s[18:19], 0
	s_mov_b32 s26, 0
                                        ; implicit-def: $sgpr29
	s_set_inst_prefetch_distance 0x1
	s_branch .LBB861_47
	.p2align	6
.LBB861_45:                             ;   in Loop: Header=BB861_47 Depth=1
	global_load_b64 v[39:40], v[37:38], off
	global_load_b64 v[42:43], v[35:36], off
	v_add_co_u32 v35, s2, v35, 8
	s_delay_alu instid0(VALU_DEP_1) | instskip(SKIP_1) | instid1(VALU_DEP_1)
	v_add_co_ci_u32_e64 v36, s2, 0, v36, s2
	v_add_co_u32 v37, s2, v37, 8
	v_add_co_ci_u32_e64 v38, s2, 0, v38, s2
	s_add_u32 s18, s18, 1
	s_addc_u32 s19, s19, 0
	s_and_not1_b32 s2, s29, exec_lo
	s_waitcnt vmcnt(0)
	v_cmp_neq_f64_e32 vcc_lo, v[39:40], v[42:43]
	s_and_b32 s29, vcc_lo, exec_lo
	s_delay_alu instid0(SALU_CYCLE_1)
	s_or_b32 s29, s2, s29
.LBB861_46:                             ;   in Loop: Header=BB861_47 Depth=1
	v_dual_mov_b32 v40, s19 :: v_dual_mov_b32 v39, s18
	s_and_b32 s2, exec_lo, s29
	s_delay_alu instid0(SALU_CYCLE_1) | instskip(NEXT) | instid1(SALU_CYCLE_1)
	s_or_b32 s26, s2, s26
	s_and_not1_b32 exec_lo, exec_lo, s26
	s_cbranch_execz .LBB861_51
.LBB861_47:                             ; =>This Inner Loop Header: Depth=1
	s_or_b32 s29, s29, exec_lo
	s_cmp_eq_u64 s[6:7], s[18:19]
	s_cbranch_scc0 .LBB861_45
; %bb.48:                               ;   in Loop: Header=BB861_47 Depth=1
	s_mov_b64 s[18:19], s[22:23]
                                        ; implicit-def: $vgpr35_vgpr36
                                        ; implicit-def: $vgpr37_vgpr38
	s_branch .LBB861_46
.LBB861_49:
                                        ; implicit-def: $sgpr2
                                        ; implicit-def: $vgpr34
	s_branch .LBB861_211
.LBB861_50:
                                        ; implicit-def: $sgpr2
                                        ; implicit-def: $vgpr34
	s_cbranch_execnz .LBB861_119
	s_branch .LBB861_210
.LBB861_51:
	s_set_inst_prefetch_distance 0x2
	s_or_b32 exec_lo, exec_lo, s26
	v_cmp_gt_i64_e32 vcc_lo, s[22:23], v[39:40]
	s_or_not1_b32 s26, vcc_lo, exec_lo
.LBB861_52:
	s_or_b32 exec_lo, exec_lo, s27
.LBB861_53:
	v_mul_lo_u32 v37, v24, s22
	v_mul_lo_u32 v38, v23, s23
	v_mad_u64_u32 v[35:36], null, v23, s22, 0
	s_and_not1_b32 vcc_lo, exec_lo, s25
	s_delay_alu instid0(VALU_DEP_1) | instskip(NEXT) | instid1(VALU_DEP_1)
	v_add3_u32 v36, v36, v38, v37
	v_lshlrev_b64 v[35:36], 3, v[35:36]
	s_cbranch_vccnz .LBB861_62
; %bb.54:
	s_delay_alu instid0(VALU_DEP_1) | instskip(NEXT) | instid1(VALU_DEP_2)
	v_add_co_u32 v37, vcc_lo, s8, v35
	v_add_co_ci_u32_e32 v38, vcc_lo, s9, v36, vcc_lo
	v_add_co_u32 v33, vcc_lo, s8, v33
	v_add_co_ci_u32_e32 v34, vcc_lo, s9, v34, vcc_lo
	s_mov_b32 s3, -1
	s_clause 0x1
	global_load_b64 v[39:40], v[37:38], off
	global_load_b64 v[42:43], v[33:34], off
	s_mov_b32 s27, exec_lo
	s_waitcnt vmcnt(0)
	v_cmpx_eq_f64_e32 v[39:40], v[42:43]
	s_cbranch_execz .LBB861_61
; %bb.55:
	v_add_co_u32 v33, vcc_lo, v33, 8
	v_add_co_ci_u32_e32 v34, vcc_lo, 0, v34, vcc_lo
	v_add_co_u32 v37, vcc_lo, v37, 8
	v_add_co_ci_u32_e32 v38, vcc_lo, 0, v38, vcc_lo
	s_add_u32 s6, s22, -1
	s_addc_u32 s7, s23, -1
	s_mov_b64 s[18:19], 0
	s_mov_b32 s3, 0
                                        ; implicit-def: $sgpr29
	s_set_inst_prefetch_distance 0x1
	s_branch .LBB861_58
	.p2align	6
.LBB861_56:                             ;   in Loop: Header=BB861_58 Depth=1
	global_load_b64 v[39:40], v[37:38], off
	global_load_b64 v[42:43], v[33:34], off
	v_add_co_u32 v33, s2, v33, 8
	s_delay_alu instid0(VALU_DEP_1) | instskip(SKIP_1) | instid1(VALU_DEP_1)
	v_add_co_ci_u32_e64 v34, s2, 0, v34, s2
	v_add_co_u32 v37, s2, v37, 8
	v_add_co_ci_u32_e64 v38, s2, 0, v38, s2
	s_add_u32 s18, s18, 1
	s_addc_u32 s19, s19, 0
	s_and_not1_b32 s2, s29, exec_lo
	s_waitcnt vmcnt(0)
	v_cmp_neq_f64_e32 vcc_lo, v[39:40], v[42:43]
	s_and_b32 s29, vcc_lo, exec_lo
	s_delay_alu instid0(SALU_CYCLE_1)
	s_or_b32 s29, s2, s29
.LBB861_57:                             ;   in Loop: Header=BB861_58 Depth=1
	v_dual_mov_b32 v40, s19 :: v_dual_mov_b32 v39, s18
	s_and_b32 s2, exec_lo, s29
	s_delay_alu instid0(SALU_CYCLE_1) | instskip(NEXT) | instid1(SALU_CYCLE_1)
	s_or_b32 s3, s2, s3
	s_and_not1_b32 exec_lo, exec_lo, s3
	s_cbranch_execz .LBB861_60
.LBB861_58:                             ; =>This Inner Loop Header: Depth=1
	s_or_b32 s29, s29, exec_lo
	s_cmp_eq_u64 s[6:7], s[18:19]
	s_cbranch_scc0 .LBB861_56
; %bb.59:                               ;   in Loop: Header=BB861_58 Depth=1
	s_mov_b64 s[18:19], s[22:23]
                                        ; implicit-def: $vgpr33_vgpr34
                                        ; implicit-def: $vgpr37_vgpr38
	s_branch .LBB861_57
.LBB861_60:
	s_set_inst_prefetch_distance 0x2
	s_or_b32 exec_lo, exec_lo, s3
	v_cmp_gt_i64_e32 vcc_lo, s[22:23], v[39:40]
	s_or_not1_b32 s3, vcc_lo, exec_lo
.LBB861_61:
	s_or_b32 exec_lo, exec_lo, s27
.LBB861_62:
	v_mul_lo_u32 v37, v22, s22
	v_mul_lo_u32 v38, v21, s23
	v_mad_u64_u32 v[33:34], null, v21, s22, 0
	s_mov_b32 s27, 0
	s_and_not1_b32 vcc_lo, exec_lo, s25
	s_mov_b32 s29, 0
	s_delay_alu instid0(VALU_DEP_1) | instskip(NEXT) | instid1(VALU_DEP_1)
	v_add3_u32 v34, v34, v38, v37
	v_lshlrev_b64 v[37:38], 3, v[33:34]
	s_cbranch_vccnz .LBB861_71
; %bb.63:
	s_delay_alu instid0(VALU_DEP_1) | instskip(NEXT) | instid1(VALU_DEP_2)
	v_add_co_u32 v39, vcc_lo, s8, v37
	v_add_co_ci_u32_e32 v40, vcc_lo, s9, v38, vcc_lo
	v_add_co_u32 v33, vcc_lo, s8, v35
	v_add_co_ci_u32_e32 v34, vcc_lo, s9, v36, vcc_lo
	s_mov_b32 s29, -1
	s_clause 0x1
	global_load_b64 v[35:36], v[39:40], off
	global_load_b64 v[42:43], v[33:34], off
	s_mov_b32 s30, exec_lo
	s_waitcnt vmcnt(0)
	v_cmpx_eq_f64_e32 v[35:36], v[42:43]
	s_cbranch_execz .LBB861_70
; %bb.64:
	v_add_co_u32 v33, vcc_lo, v33, 8
	v_add_co_ci_u32_e32 v34, vcc_lo, 0, v34, vcc_lo
	v_add_co_u32 v35, vcc_lo, v39, 8
	v_add_co_ci_u32_e32 v36, vcc_lo, 0, v40, vcc_lo
	s_add_u32 s6, s22, -1
	s_addc_u32 s7, s23, -1
	s_mov_b64 s[18:19], 0
	s_mov_b32 s29, 0
                                        ; implicit-def: $sgpr31
	s_set_inst_prefetch_distance 0x1
	s_branch .LBB861_67
	.p2align	6
.LBB861_65:                             ;   in Loop: Header=BB861_67 Depth=1
	global_load_b64 v[39:40], v[35:36], off
	global_load_b64 v[42:43], v[33:34], off
	v_add_co_u32 v33, s2, v33, 8
	s_delay_alu instid0(VALU_DEP_1) | instskip(SKIP_1) | instid1(VALU_DEP_1)
	v_add_co_ci_u32_e64 v34, s2, 0, v34, s2
	v_add_co_u32 v35, s2, v35, 8
	v_add_co_ci_u32_e64 v36, s2, 0, v36, s2
	s_add_u32 s18, s18, 1
	s_addc_u32 s19, s19, 0
	s_and_not1_b32 s2, s31, exec_lo
	s_waitcnt vmcnt(0)
	v_cmp_neq_f64_e32 vcc_lo, v[39:40], v[42:43]
	s_and_b32 s31, vcc_lo, exec_lo
	s_delay_alu instid0(SALU_CYCLE_1)
	s_or_b32 s31, s2, s31
.LBB861_66:                             ;   in Loop: Header=BB861_67 Depth=1
	v_dual_mov_b32 v40, s19 :: v_dual_mov_b32 v39, s18
	s_and_b32 s2, exec_lo, s31
	s_delay_alu instid0(SALU_CYCLE_1) | instskip(NEXT) | instid1(SALU_CYCLE_1)
	s_or_b32 s29, s2, s29
	s_and_not1_b32 exec_lo, exec_lo, s29
	s_cbranch_execz .LBB861_69
.LBB861_67:                             ; =>This Inner Loop Header: Depth=1
	s_or_b32 s31, s31, exec_lo
	s_cmp_eq_u64 s[6:7], s[18:19]
	s_cbranch_scc0 .LBB861_65
; %bb.68:                               ;   in Loop: Header=BB861_67 Depth=1
	s_mov_b64 s[18:19], s[22:23]
                                        ; implicit-def: $vgpr33_vgpr34
                                        ; implicit-def: $vgpr35_vgpr36
	s_branch .LBB861_66
.LBB861_69:
	s_set_inst_prefetch_distance 0x2
	s_or_b32 exec_lo, exec_lo, s29
	v_cmp_gt_i64_e32 vcc_lo, s[22:23], v[39:40]
	s_or_not1_b32 s29, vcc_lo, exec_lo
.LBB861_70:
	s_or_b32 exec_lo, exec_lo, s30
.LBB861_71:
	v_mul_lo_u32 v35, v28, s22
	v_mul_lo_u32 v36, v27, s23
	v_mad_u64_u32 v[33:34], null, v27, s22, 0
	s_and_not1_b32 vcc_lo, exec_lo, s25
	s_delay_alu instid0(VALU_DEP_1) | instskip(NEXT) | instid1(VALU_DEP_1)
	v_add3_u32 v34, v34, v36, v35
	v_lshlrev_b64 v[33:34], 3, v[33:34]
	s_cbranch_vccnz .LBB861_80
; %bb.72:
	s_delay_alu instid0(VALU_DEP_1) | instskip(NEXT) | instid1(VALU_DEP_2)
	v_add_co_u32 v39, vcc_lo, s8, v33
	v_add_co_ci_u32_e32 v40, vcc_lo, s9, v34, vcc_lo
	v_add_co_u32 v35, vcc_lo, s8, v37
	v_add_co_ci_u32_e32 v36, vcc_lo, s9, v38, vcc_lo
	s_mov_b32 s27, -1
	s_clause 0x1
	global_load_b64 v[37:38], v[39:40], off
	global_load_b64 v[42:43], v[35:36], off
	s_mov_b32 s30, exec_lo
	s_waitcnt vmcnt(0)
	v_cmpx_eq_f64_e32 v[37:38], v[42:43]
	s_cbranch_execz .LBB861_79
; %bb.73:
	v_add_co_u32 v35, vcc_lo, v35, 8
	v_add_co_ci_u32_e32 v36, vcc_lo, 0, v36, vcc_lo
	v_add_co_u32 v37, vcc_lo, v39, 8
	v_add_co_ci_u32_e32 v38, vcc_lo, 0, v40, vcc_lo
	s_add_u32 s6, s22, -1
	s_addc_u32 s7, s23, -1
	s_mov_b64 s[18:19], 0
	s_mov_b32 s27, 0
                                        ; implicit-def: $sgpr31
	s_set_inst_prefetch_distance 0x1
	s_branch .LBB861_76
	.p2align	6
.LBB861_74:                             ;   in Loop: Header=BB861_76 Depth=1
	global_load_b64 v[39:40], v[37:38], off
	global_load_b64 v[42:43], v[35:36], off
	v_add_co_u32 v35, s2, v35, 8
	s_delay_alu instid0(VALU_DEP_1) | instskip(SKIP_1) | instid1(VALU_DEP_1)
	v_add_co_ci_u32_e64 v36, s2, 0, v36, s2
	v_add_co_u32 v37, s2, v37, 8
	v_add_co_ci_u32_e64 v38, s2, 0, v38, s2
	s_add_u32 s18, s18, 1
	s_addc_u32 s19, s19, 0
	s_and_not1_b32 s2, s31, exec_lo
	s_waitcnt vmcnt(0)
	v_cmp_neq_f64_e32 vcc_lo, v[39:40], v[42:43]
	s_and_b32 s31, vcc_lo, exec_lo
	s_delay_alu instid0(SALU_CYCLE_1)
	s_or_b32 s31, s2, s31
.LBB861_75:                             ;   in Loop: Header=BB861_76 Depth=1
	v_dual_mov_b32 v40, s19 :: v_dual_mov_b32 v39, s18
	s_and_b32 s2, exec_lo, s31
	s_delay_alu instid0(SALU_CYCLE_1) | instskip(NEXT) | instid1(SALU_CYCLE_1)
	s_or_b32 s27, s2, s27
	s_and_not1_b32 exec_lo, exec_lo, s27
	s_cbranch_execz .LBB861_78
.LBB861_76:                             ; =>This Inner Loop Header: Depth=1
	s_or_b32 s31, s31, exec_lo
	s_cmp_eq_u64 s[6:7], s[18:19]
	s_cbranch_scc0 .LBB861_74
; %bb.77:                               ;   in Loop: Header=BB861_76 Depth=1
	s_mov_b64 s[18:19], s[22:23]
                                        ; implicit-def: $vgpr35_vgpr36
                                        ; implicit-def: $vgpr37_vgpr38
	s_branch .LBB861_75
.LBB861_78:
	s_set_inst_prefetch_distance 0x2
	s_or_b32 exec_lo, exec_lo, s27
	v_cmp_gt_i64_e32 vcc_lo, s[22:23], v[39:40]
	s_or_not1_b32 s27, vcc_lo, exec_lo
.LBB861_79:
	s_or_b32 exec_lo, exec_lo, s30
.LBB861_80:
	v_mul_lo_u32 v37, v26, s22
	v_mul_lo_u32 v38, v25, s23
	v_mad_u64_u32 v[35:36], null, v25, s22, 0
	s_mov_b32 s30, 0
	s_and_not1_b32 vcc_lo, exec_lo, s25
	s_mov_b32 s31, 0
	s_delay_alu instid0(VALU_DEP_1) | instskip(NEXT) | instid1(VALU_DEP_1)
	v_add3_u32 v36, v36, v38, v37
	v_lshlrev_b64 v[37:38], 3, v[35:36]
	s_cbranch_vccnz .LBB861_89
; %bb.81:
	s_delay_alu instid0(VALU_DEP_1) | instskip(NEXT) | instid1(VALU_DEP_2)
	v_add_co_u32 v35, vcc_lo, s8, v37
	v_add_co_ci_u32_e32 v36, vcc_lo, s9, v38, vcc_lo
	v_add_co_u32 v33, vcc_lo, s8, v33
	v_add_co_ci_u32_e32 v34, vcc_lo, s9, v34, vcc_lo
	s_mov_b32 s31, -1
	s_clause 0x1
	global_load_b64 v[39:40], v[35:36], off
	global_load_b64 v[42:43], v[33:34], off
	s_mov_b32 s33, exec_lo
	s_waitcnt vmcnt(0)
	v_cmpx_eq_f64_e32 v[39:40], v[42:43]
	s_cbranch_execz .LBB861_88
; %bb.82:
	v_add_co_u32 v33, vcc_lo, v33, 8
	v_add_co_ci_u32_e32 v34, vcc_lo, 0, v34, vcc_lo
	v_add_co_u32 v35, vcc_lo, v35, 8
	v_add_co_ci_u32_e32 v36, vcc_lo, 0, v36, vcc_lo
	s_add_u32 s6, s22, -1
	s_addc_u32 s7, s23, -1
	s_mov_b64 s[18:19], 0
	s_mov_b32 s31, 0
                                        ; implicit-def: $sgpr34
	s_set_inst_prefetch_distance 0x1
	s_branch .LBB861_85
	.p2align	6
.LBB861_83:                             ;   in Loop: Header=BB861_85 Depth=1
	global_load_b64 v[39:40], v[35:36], off
	global_load_b64 v[42:43], v[33:34], off
	v_add_co_u32 v33, s2, v33, 8
	s_delay_alu instid0(VALU_DEP_1) | instskip(SKIP_1) | instid1(VALU_DEP_1)
	v_add_co_ci_u32_e64 v34, s2, 0, v34, s2
	v_add_co_u32 v35, s2, v35, 8
	v_add_co_ci_u32_e64 v36, s2, 0, v36, s2
	s_add_u32 s18, s18, 1
	s_addc_u32 s19, s19, 0
	s_and_not1_b32 s2, s34, exec_lo
	s_waitcnt vmcnt(0)
	v_cmp_neq_f64_e32 vcc_lo, v[39:40], v[42:43]
	s_and_b32 s34, vcc_lo, exec_lo
	s_delay_alu instid0(SALU_CYCLE_1)
	s_or_b32 s34, s2, s34
.LBB861_84:                             ;   in Loop: Header=BB861_85 Depth=1
	v_dual_mov_b32 v40, s19 :: v_dual_mov_b32 v39, s18
	s_and_b32 s2, exec_lo, s34
	s_delay_alu instid0(SALU_CYCLE_1) | instskip(NEXT) | instid1(SALU_CYCLE_1)
	s_or_b32 s31, s2, s31
	s_and_not1_b32 exec_lo, exec_lo, s31
	s_cbranch_execz .LBB861_87
.LBB861_85:                             ; =>This Inner Loop Header: Depth=1
	s_or_b32 s34, s34, exec_lo
	s_cmp_eq_u64 s[6:7], s[18:19]
	s_cbranch_scc0 .LBB861_83
; %bb.86:                               ;   in Loop: Header=BB861_85 Depth=1
	s_mov_b64 s[18:19], s[22:23]
                                        ; implicit-def: $vgpr33_vgpr34
                                        ; implicit-def: $vgpr35_vgpr36
	s_branch .LBB861_84
.LBB861_87:
	s_set_inst_prefetch_distance 0x2
	s_or_b32 exec_lo, exec_lo, s31
	v_cmp_gt_i64_e32 vcc_lo, s[22:23], v[39:40]
	s_or_not1_b32 s31, vcc_lo, exec_lo
.LBB861_88:
	s_or_b32 exec_lo, exec_lo, s33
.LBB861_89:
	v_mul_lo_u32 v35, v32, s22
	v_mul_lo_u32 v36, v31, s23
	v_mad_u64_u32 v[33:34], null, v31, s22, 0
	s_and_not1_b32 vcc_lo, exec_lo, s25
	s_delay_alu instid0(VALU_DEP_1) | instskip(NEXT) | instid1(VALU_DEP_1)
	v_add3_u32 v34, v34, v36, v35
	v_lshlrev_b64 v[35:36], 3, v[33:34]
	s_cbranch_vccnz .LBB861_98
; %bb.90:
	s_delay_alu instid0(VALU_DEP_1) | instskip(NEXT) | instid1(VALU_DEP_2)
	v_add_co_u32 v39, vcc_lo, s8, v35
	v_add_co_ci_u32_e32 v40, vcc_lo, s9, v36, vcc_lo
	v_add_co_u32 v33, vcc_lo, s8, v37
	v_add_co_ci_u32_e32 v34, vcc_lo, s9, v38, vcc_lo
	s_mov_b32 s30, -1
	s_clause 0x1
	global_load_b64 v[37:38], v[39:40], off
	global_load_b64 v[42:43], v[33:34], off
	s_mov_b32 s33, exec_lo
	s_waitcnt vmcnt(0)
	v_cmpx_eq_f64_e32 v[37:38], v[42:43]
	s_cbranch_execz .LBB861_97
; %bb.91:
	v_add_co_u32 v33, vcc_lo, v33, 8
	v_add_co_ci_u32_e32 v34, vcc_lo, 0, v34, vcc_lo
	v_add_co_u32 v37, vcc_lo, v39, 8
	v_add_co_ci_u32_e32 v38, vcc_lo, 0, v40, vcc_lo
	s_add_u32 s6, s22, -1
	s_addc_u32 s7, s23, -1
	s_mov_b64 s[18:19], 0
	s_mov_b32 s30, 0
                                        ; implicit-def: $sgpr34
	s_set_inst_prefetch_distance 0x1
	s_branch .LBB861_94
	.p2align	6
.LBB861_92:                             ;   in Loop: Header=BB861_94 Depth=1
	global_load_b64 v[39:40], v[37:38], off
	global_load_b64 v[42:43], v[33:34], off
	v_add_co_u32 v33, s2, v33, 8
	s_delay_alu instid0(VALU_DEP_1) | instskip(SKIP_1) | instid1(VALU_DEP_1)
	v_add_co_ci_u32_e64 v34, s2, 0, v34, s2
	v_add_co_u32 v37, s2, v37, 8
	v_add_co_ci_u32_e64 v38, s2, 0, v38, s2
	s_add_u32 s18, s18, 1
	s_addc_u32 s19, s19, 0
	s_and_not1_b32 s2, s34, exec_lo
	s_waitcnt vmcnt(0)
	v_cmp_neq_f64_e32 vcc_lo, v[39:40], v[42:43]
	s_and_b32 s34, vcc_lo, exec_lo
	s_delay_alu instid0(SALU_CYCLE_1)
	s_or_b32 s34, s2, s34
.LBB861_93:                             ;   in Loop: Header=BB861_94 Depth=1
	v_dual_mov_b32 v40, s19 :: v_dual_mov_b32 v39, s18
	s_and_b32 s2, exec_lo, s34
	s_delay_alu instid0(SALU_CYCLE_1) | instskip(NEXT) | instid1(SALU_CYCLE_1)
	s_or_b32 s30, s2, s30
	s_and_not1_b32 exec_lo, exec_lo, s30
	s_cbranch_execz .LBB861_96
.LBB861_94:                             ; =>This Inner Loop Header: Depth=1
	s_or_b32 s34, s34, exec_lo
	s_cmp_eq_u64 s[6:7], s[18:19]
	s_cbranch_scc0 .LBB861_92
; %bb.95:                               ;   in Loop: Header=BB861_94 Depth=1
	s_mov_b64 s[18:19], s[22:23]
                                        ; implicit-def: $vgpr33_vgpr34
                                        ; implicit-def: $vgpr37_vgpr38
	s_branch .LBB861_93
.LBB861_96:
	s_set_inst_prefetch_distance 0x2
	s_or_b32 exec_lo, exec_lo, s30
	v_cmp_gt_i64_e32 vcc_lo, s[22:23], v[39:40]
	s_or_not1_b32 s30, vcc_lo, exec_lo
.LBB861_97:
	s_or_b32 exec_lo, exec_lo, s33
.LBB861_98:
	v_mul_lo_u32 v37, v30, s22
	v_mul_lo_u32 v38, v29, s23
	v_mad_u64_u32 v[33:34], null, v29, s22, 0
	s_and_not1_b32 vcc_lo, exec_lo, s25
	s_mov_b32 s2, 0
	s_delay_alu instid0(VALU_DEP_1) | instskip(NEXT) | instid1(VALU_DEP_1)
	v_add3_u32 v34, v34, v38, v37
	v_lshlrev_b64 v[33:34], 3, v[33:34]
	s_cbranch_vccnz .LBB861_107
; %bb.99:
	s_delay_alu instid0(VALU_DEP_1) | instskip(NEXT) | instid1(VALU_DEP_2)
	v_add_co_u32 v37, vcc_lo, s8, v33
	v_add_co_ci_u32_e32 v38, vcc_lo, s9, v34, vcc_lo
	v_add_co_u32 v35, vcc_lo, s8, v35
	v_add_co_ci_u32_e32 v36, vcc_lo, s9, v36, vcc_lo
	s_mov_b32 s2, -1
	s_clause 0x1
	global_load_b64 v[39:40], v[37:38], off
	global_load_b64 v[42:43], v[35:36], off
	s_mov_b32 s33, exec_lo
	s_waitcnt vmcnt(0)
	v_cmpx_eq_f64_e32 v[39:40], v[42:43]
	s_cbranch_execz .LBB861_106
; %bb.100:
	v_add_co_u32 v35, vcc_lo, v35, 8
	v_add_co_ci_u32_e32 v36, vcc_lo, 0, v36, vcc_lo
	v_add_co_u32 v37, vcc_lo, v37, 8
	v_add_co_ci_u32_e32 v38, vcc_lo, 0, v38, vcc_lo
	s_add_u32 s6, s22, -1
	s_addc_u32 s7, s23, -1
	s_mov_b64 s[18:19], 0
	s_mov_b32 s34, 0
                                        ; implicit-def: $sgpr35
	s_set_inst_prefetch_distance 0x1
	s_branch .LBB861_103
	.p2align	6
.LBB861_101:                            ;   in Loop: Header=BB861_103 Depth=1
	global_load_b64 v[39:40], v[37:38], off
	global_load_b64 v[42:43], v[35:36], off
	v_add_co_u32 v35, s2, v35, 8
	s_delay_alu instid0(VALU_DEP_1) | instskip(SKIP_1) | instid1(VALU_DEP_1)
	v_add_co_ci_u32_e64 v36, s2, 0, v36, s2
	v_add_co_u32 v37, s2, v37, 8
	v_add_co_ci_u32_e64 v38, s2, 0, v38, s2
	s_add_u32 s18, s18, 1
	s_addc_u32 s19, s19, 0
	s_and_not1_b32 s2, s35, exec_lo
	s_waitcnt vmcnt(0)
	v_cmp_neq_f64_e32 vcc_lo, v[39:40], v[42:43]
	s_and_b32 s35, vcc_lo, exec_lo
	s_delay_alu instid0(SALU_CYCLE_1)
	s_or_b32 s35, s2, s35
.LBB861_102:                            ;   in Loop: Header=BB861_103 Depth=1
	v_dual_mov_b32 v40, s19 :: v_dual_mov_b32 v39, s18
	s_and_b32 s2, exec_lo, s35
	s_delay_alu instid0(SALU_CYCLE_1) | instskip(NEXT) | instid1(SALU_CYCLE_1)
	s_or_b32 s34, s2, s34
	s_and_not1_b32 exec_lo, exec_lo, s34
	s_cbranch_execz .LBB861_105
.LBB861_103:                            ; =>This Inner Loop Header: Depth=1
	s_or_b32 s35, s35, exec_lo
	s_cmp_eq_u64 s[6:7], s[18:19]
	s_cbranch_scc0 .LBB861_101
; %bb.104:                              ;   in Loop: Header=BB861_103 Depth=1
	s_mov_b64 s[18:19], s[22:23]
                                        ; implicit-def: $vgpr35_vgpr36
                                        ; implicit-def: $vgpr37_vgpr38
	s_branch .LBB861_102
.LBB861_105:
	s_set_inst_prefetch_distance 0x2
	s_or_b32 exec_lo, exec_lo, s34
	v_cmp_gt_i64_e32 vcc_lo, s[22:23], v[39:40]
	s_or_not1_b32 s2, vcc_lo, exec_lo
.LBB861_106:
	s_or_b32 exec_lo, exec_lo, s33
.LBB861_107:
	s_waitcnt lgkmcnt(0)
	v_dual_mov_b32 v36, s5 :: v_dual_mov_b32 v35, s4
	s_mov_b32 s6, exec_lo
	s_barrier
	buffer_gl0_inv
	v_cmpx_ne_u32_e32 0, v0
	s_cbranch_execz .LBB861_109
; %bb.108:
	v_add_nc_u32_e32 v35, -8, v55
	ds_load_b64 v[35:36], v35
.LBB861_109:
	s_or_b32 exec_lo, exec_lo, s6
	v_cndmask_b32_e64 v38, 0, 1, s31
	v_cndmask_b32_e64 v40, 0, 1, s29
	;; [unrolled: 1-line block ×7, first 2 shown]
	v_lshlrev_b16 v38, 8, v38
	v_lshlrev_b16 v40, 8, v40
	;; [unrolled: 1-line block ×4, first 2 shown]
	s_mov_b32 s3, 0
	v_or_b32_e32 v37, v37, v38
	v_or_b32_e32 v38, v39, v40
	;; [unrolled: 1-line block ×3, first 2 shown]
	v_and_b32_e32 v39, 0xffff, v43
	s_and_not1_b32 vcc_lo, exec_lo, s25
	v_lshlrev_b32_e32 v40, 16, v37
	v_and_b32_e32 v42, 0xffff, v38
	v_lshlrev_b32_e32 v43, 16, v44
	s_mov_b32 s2, 0
	s_cbranch_vccnz .LBB861_118
; %bb.110:
	s_waitcnt lgkmcnt(0)
	v_mul_lo_u32 v38, v36, s22
	v_mul_lo_u32 v44, v35, s23
	v_mad_u64_u32 v[36:37], null, v35, s22, 0
	s_mov_b32 s2, -1
	s_mov_b32 s26, exec_lo
	s_delay_alu instid0(VALU_DEP_1) | instskip(NEXT) | instid1(VALU_DEP_1)
	v_add3_u32 v37, v37, v44, v38
	v_lshlrev_b64 v[35:36], 3, v[36:37]
	s_delay_alu instid0(VALU_DEP_1) | instskip(NEXT) | instid1(VALU_DEP_2)
	v_add_co_u32 v35, vcc_lo, s8, v35
	v_add_co_ci_u32_e32 v36, vcc_lo, s9, v36, vcc_lo
	v_add_co_u32 v33, vcc_lo, s8, v33
	v_add_co_ci_u32_e32 v34, vcc_lo, s9, v34, vcc_lo
	s_clause 0x1
	global_load_b64 v[37:38], v[35:36], off
	global_load_b64 v[44:45], v[33:34], off
	s_waitcnt vmcnt(0)
	v_cmpx_eq_f64_e32 v[37:38], v[44:45]
	s_cbranch_execz .LBB861_117
; %bb.111:
	v_add_co_u32 v33, vcc_lo, v33, 8
	v_add_co_ci_u32_e32 v34, vcc_lo, 0, v34, vcc_lo
	v_add_co_u32 v35, vcc_lo, v35, 8
	v_add_co_ci_u32_e32 v36, vcc_lo, 0, v36, vcc_lo
	s_add_u32 s6, s22, -1
	s_addc_u32 s7, s23, -1
	s_mov_b64 s[18:19], 0
	s_mov_b32 s27, 0
                                        ; implicit-def: $sgpr29
	s_set_inst_prefetch_distance 0x1
	s_branch .LBB861_114
	.p2align	6
.LBB861_112:                            ;   in Loop: Header=BB861_114 Depth=1
	global_load_b64 v[37:38], v[35:36], off
	global_load_b64 v[44:45], v[33:34], off
	v_add_co_u32 v33, s2, v33, 8
	s_delay_alu instid0(VALU_DEP_1) | instskip(SKIP_1) | instid1(VALU_DEP_1)
	v_add_co_ci_u32_e64 v34, s2, 0, v34, s2
	v_add_co_u32 v35, s2, v35, 8
	v_add_co_ci_u32_e64 v36, s2, 0, v36, s2
	s_add_u32 s18, s18, 1
	s_addc_u32 s19, s19, 0
	s_and_not1_b32 s2, s29, exec_lo
	s_waitcnt vmcnt(0)
	v_cmp_neq_f64_e32 vcc_lo, v[37:38], v[44:45]
	s_and_b32 s29, vcc_lo, exec_lo
	s_delay_alu instid0(SALU_CYCLE_1)
	s_or_b32 s29, s2, s29
.LBB861_113:                            ;   in Loop: Header=BB861_114 Depth=1
	v_dual_mov_b32 v38, s19 :: v_dual_mov_b32 v37, s18
	s_and_b32 s2, exec_lo, s29
	s_delay_alu instid0(SALU_CYCLE_1) | instskip(NEXT) | instid1(SALU_CYCLE_1)
	s_or_b32 s27, s2, s27
	s_and_not1_b32 exec_lo, exec_lo, s27
	s_cbranch_execz .LBB861_116
.LBB861_114:                            ; =>This Inner Loop Header: Depth=1
	s_or_b32 s29, s29, exec_lo
	s_cmp_eq_u64 s[6:7], s[18:19]
	s_cbranch_scc0 .LBB861_112
; %bb.115:                              ;   in Loop: Header=BB861_114 Depth=1
	s_mov_b64 s[18:19], s[22:23]
                                        ; implicit-def: $vgpr33_vgpr34
                                        ; implicit-def: $vgpr35_vgpr36
	s_branch .LBB861_113
.LBB861_116:
	s_set_inst_prefetch_distance 0x2
	s_or_b32 exec_lo, exec_lo, s27
	v_cmp_gt_i64_e32 vcc_lo, s[22:23], v[37:38]
	s_or_not1_b32 s2, vcc_lo, exec_lo
.LBB861_117:
	s_or_b32 exec_lo, exec_lo, s26
.LBB861_118:
	v_or_b32_e32 v33, v39, v40
	s_delay_alu instid0(VALU_DEP_2)
	v_or_b32_e32 v34, v42, v43
	s_and_b32 vcc_lo, exec_lo, s3
	s_cbranch_vccz .LBB861_210
.LBB861_119:
	v_or_b32_e32 v33, 7, v55
	s_mov_b32 s3, 0
	s_mov_b32 s26, 0
	s_mov_b32 s27, exec_lo
	s_delay_alu instid0(VALU_DEP_1)
	v_cmpx_gt_u32_e64 s28, v33
	s_cbranch_execz .LBB861_130
; %bb.120:
	s_and_not1_b32 vcc_lo, exec_lo, s25
	s_mov_b32 s2, 0
	s_cbranch_vccnz .LBB861_129
; %bb.121:
	v_mul_lo_u32 v37, v18, s22
	v_mul_lo_u32 v38, v17, s23
	v_mad_u64_u32 v[33:34], null, v17, s22, 0
	v_mul_lo_u32 v39, v20, s22
	v_mul_lo_u32 v40, v19, s23
	s_waitcnt lgkmcnt(0)
	v_mad_u64_u32 v[35:36], null, v19, s22, 0
	s_mov_b32 s2, -1
	s_mov_b32 s25, exec_lo
	s_delay_alu instid0(VALU_DEP_4) | instskip(NEXT) | instid1(VALU_DEP_2)
	v_add3_u32 v34, v34, v38, v37
	v_add3_u32 v36, v36, v40, v39
	s_delay_alu instid0(VALU_DEP_2) | instskip(NEXT) | instid1(VALU_DEP_2)
	v_lshlrev_b64 v[33:34], 3, v[33:34]
	v_lshlrev_b64 v[37:38], 3, v[35:36]
	s_delay_alu instid0(VALU_DEP_2) | instskip(NEXT) | instid1(VALU_DEP_3)
	v_add_co_u32 v35, vcc_lo, s8, v33
	v_add_co_ci_u32_e32 v36, vcc_lo, s9, v34, vcc_lo
	s_delay_alu instid0(VALU_DEP_3) | instskip(NEXT) | instid1(VALU_DEP_4)
	v_add_co_u32 v33, vcc_lo, s8, v37
	v_add_co_ci_u32_e32 v34, vcc_lo, s9, v38, vcc_lo
	s_clause 0x1
	global_load_b64 v[37:38], v[35:36], off
	global_load_b64 v[39:40], v[33:34], off
	s_waitcnt vmcnt(0)
	v_cmpx_eq_f64_e32 v[37:38], v[39:40]
	s_cbranch_execz .LBB861_128
; %bb.122:
	v_add_co_u32 v33, vcc_lo, v33, 8
	v_add_co_ci_u32_e32 v34, vcc_lo, 0, v34, vcc_lo
	v_add_co_u32 v35, vcc_lo, v35, 8
	v_add_co_ci_u32_e32 v36, vcc_lo, 0, v36, vcc_lo
	s_add_u32 s6, s22, -1
	s_addc_u32 s7, s23, -1
	s_mov_b64 s[18:19], 0
                                        ; implicit-def: $sgpr29
	s_set_inst_prefetch_distance 0x1
	s_branch .LBB861_125
	.p2align	6
.LBB861_123:                            ;   in Loop: Header=BB861_125 Depth=1
	global_load_b64 v[37:38], v[35:36], off
	global_load_b64 v[39:40], v[33:34], off
	v_add_co_u32 v33, s2, v33, 8
	s_delay_alu instid0(VALU_DEP_1) | instskip(SKIP_1) | instid1(VALU_DEP_1)
	v_add_co_ci_u32_e64 v34, s2, 0, v34, s2
	v_add_co_u32 v35, s2, v35, 8
	v_add_co_ci_u32_e64 v36, s2, 0, v36, s2
	s_add_u32 s18, s18, 1
	s_addc_u32 s19, s19, 0
	s_and_not1_b32 s2, s29, exec_lo
	s_waitcnt vmcnt(0)
	v_cmp_neq_f64_e32 vcc_lo, v[37:38], v[39:40]
	s_and_b32 s29, vcc_lo, exec_lo
	s_delay_alu instid0(SALU_CYCLE_1)
	s_or_b32 s29, s2, s29
.LBB861_124:                            ;   in Loop: Header=BB861_125 Depth=1
	v_dual_mov_b32 v38, s19 :: v_dual_mov_b32 v37, s18
	s_and_b32 s2, exec_lo, s29
	s_delay_alu instid0(SALU_CYCLE_1) | instskip(NEXT) | instid1(SALU_CYCLE_1)
	s_or_b32 s26, s2, s26
	s_and_not1_b32 exec_lo, exec_lo, s26
	s_cbranch_execz .LBB861_127
.LBB861_125:                            ; =>This Inner Loop Header: Depth=1
	s_or_b32 s29, s29, exec_lo
	s_cmp_eq_u64 s[6:7], s[18:19]
	s_cbranch_scc0 .LBB861_123
; %bb.126:                              ;   in Loop: Header=BB861_125 Depth=1
	s_mov_b64 s[18:19], s[22:23]
                                        ; implicit-def: $vgpr33_vgpr34
                                        ; implicit-def: $vgpr35_vgpr36
	s_branch .LBB861_124
.LBB861_127:
	s_set_inst_prefetch_distance 0x2
	s_or_b32 exec_lo, exec_lo, s26
	v_cmp_gt_i64_e32 vcc_lo, s[22:23], v[37:38]
	s_or_not1_b32 s2, vcc_lo, exec_lo
.LBB861_128:
	s_or_b32 exec_lo, exec_lo, s25
.LBB861_129:
	s_delay_alu instid0(SALU_CYCLE_1)
	s_and_b32 s26, s2, exec_lo
.LBB861_130:
	s_or_b32 exec_lo, exec_lo, s27
	v_or_b32_e32 v33, 6, v55
	s_mov_b32 s25, exec_lo
	s_delay_alu instid0(VALU_DEP_1)
	v_cmpx_gt_u32_e64 s28, v33
	s_cbranch_execz .LBB861_141
; %bb.131:
	v_cmp_ne_u32_e32 vcc_lo, 1, v41
	s_mov_b32 s2, 0
	s_cbranch_vccnz .LBB861_140
; %bb.132:
	v_mul_lo_u32 v37, v24, s22
	v_mul_lo_u32 v38, v23, s23
	v_mad_u64_u32 v[33:34], null, v23, s22, 0
	v_mul_lo_u32 v39, v18, s22
	v_mul_lo_u32 v40, v17, s23
	s_waitcnt lgkmcnt(0)
	v_mad_u64_u32 v[35:36], null, v17, s22, 0
	s_mov_b32 s2, -1
	s_mov_b32 s3, exec_lo
	s_delay_alu instid0(VALU_DEP_4) | instskip(NEXT) | instid1(VALU_DEP_2)
	v_add3_u32 v34, v34, v38, v37
	v_add3_u32 v36, v36, v40, v39
	s_delay_alu instid0(VALU_DEP_2) | instskip(NEXT) | instid1(VALU_DEP_2)
	v_lshlrev_b64 v[33:34], 3, v[33:34]
	v_lshlrev_b64 v[37:38], 3, v[35:36]
	s_delay_alu instid0(VALU_DEP_2) | instskip(NEXT) | instid1(VALU_DEP_3)
	v_add_co_u32 v35, vcc_lo, s8, v33
	v_add_co_ci_u32_e32 v36, vcc_lo, s9, v34, vcc_lo
	s_delay_alu instid0(VALU_DEP_3) | instskip(NEXT) | instid1(VALU_DEP_4)
	v_add_co_u32 v33, vcc_lo, s8, v37
	v_add_co_ci_u32_e32 v34, vcc_lo, s9, v38, vcc_lo
	s_clause 0x1
	global_load_b64 v[37:38], v[35:36], off
	global_load_b64 v[39:40], v[33:34], off
	s_waitcnt vmcnt(0)
	v_cmpx_eq_f64_e32 v[37:38], v[39:40]
	s_cbranch_execz .LBB861_139
; %bb.133:
	v_add_co_u32 v33, vcc_lo, v33, 8
	v_add_co_ci_u32_e32 v34, vcc_lo, 0, v34, vcc_lo
	v_add_co_u32 v35, vcc_lo, v35, 8
	v_add_co_ci_u32_e32 v36, vcc_lo, 0, v36, vcc_lo
	s_add_u32 s6, s22, -1
	s_addc_u32 s7, s23, -1
	s_mov_b64 s[18:19], 0
	s_mov_b32 s27, 0
                                        ; implicit-def: $sgpr29
	s_set_inst_prefetch_distance 0x1
	s_branch .LBB861_136
	.p2align	6
.LBB861_134:                            ;   in Loop: Header=BB861_136 Depth=1
	global_load_b64 v[37:38], v[35:36], off
	global_load_b64 v[39:40], v[33:34], off
	v_add_co_u32 v33, s2, v33, 8
	s_delay_alu instid0(VALU_DEP_1) | instskip(SKIP_1) | instid1(VALU_DEP_1)
	v_add_co_ci_u32_e64 v34, s2, 0, v34, s2
	v_add_co_u32 v35, s2, v35, 8
	v_add_co_ci_u32_e64 v36, s2, 0, v36, s2
	s_add_u32 s18, s18, 1
	s_addc_u32 s19, s19, 0
	s_and_not1_b32 s2, s29, exec_lo
	s_waitcnt vmcnt(0)
	v_cmp_neq_f64_e32 vcc_lo, v[37:38], v[39:40]
	s_and_b32 s29, vcc_lo, exec_lo
	s_delay_alu instid0(SALU_CYCLE_1)
	s_or_b32 s29, s2, s29
.LBB861_135:                            ;   in Loop: Header=BB861_136 Depth=1
	v_dual_mov_b32 v38, s19 :: v_dual_mov_b32 v37, s18
	s_and_b32 s2, exec_lo, s29
	s_delay_alu instid0(SALU_CYCLE_1) | instskip(NEXT) | instid1(SALU_CYCLE_1)
	s_or_b32 s27, s2, s27
	s_and_not1_b32 exec_lo, exec_lo, s27
	s_cbranch_execz .LBB861_138
.LBB861_136:                            ; =>This Inner Loop Header: Depth=1
	s_or_b32 s29, s29, exec_lo
	s_cmp_eq_u64 s[6:7], s[18:19]
	s_cbranch_scc0 .LBB861_134
; %bb.137:                              ;   in Loop: Header=BB861_136 Depth=1
	s_mov_b64 s[18:19], s[22:23]
                                        ; implicit-def: $vgpr33_vgpr34
                                        ; implicit-def: $vgpr35_vgpr36
	s_branch .LBB861_135
.LBB861_138:
	s_set_inst_prefetch_distance 0x2
	s_or_b32 exec_lo, exec_lo, s27
	v_cmp_gt_i64_e32 vcc_lo, s[22:23], v[37:38]
	s_or_not1_b32 s2, vcc_lo, exec_lo
.LBB861_139:
	s_or_b32 exec_lo, exec_lo, s3
.LBB861_140:
	s_delay_alu instid0(SALU_CYCLE_1)
	s_and_b32 s3, s2, exec_lo
.LBB861_141:
	s_or_b32 exec_lo, exec_lo, s25
	v_or_b32_e32 v33, 5, v55
	s_mov_b32 s27, 0
	s_mov_b32 s25, 0
	s_mov_b32 s29, exec_lo
	s_delay_alu instid0(VALU_DEP_1)
	v_cmpx_gt_u32_e64 s28, v33
	s_cbranch_execz .LBB861_152
; %bb.142:
	v_cmp_ne_u32_e32 vcc_lo, 1, v41
	s_mov_b32 s2, 0
	s_cbranch_vccnz .LBB861_151
; %bb.143:
	v_mul_lo_u32 v37, v22, s22
	v_mul_lo_u32 v38, v21, s23
	v_mad_u64_u32 v[33:34], null, v21, s22, 0
	v_mul_lo_u32 v39, v24, s22
	v_mul_lo_u32 v40, v23, s23
	s_waitcnt lgkmcnt(0)
	v_mad_u64_u32 v[35:36], null, v23, s22, 0
	s_mov_b32 s2, -1
	s_mov_b32 s25, exec_lo
	s_delay_alu instid0(VALU_DEP_4) | instskip(NEXT) | instid1(VALU_DEP_2)
	v_add3_u32 v34, v34, v38, v37
	v_add3_u32 v36, v36, v40, v39
	s_delay_alu instid0(VALU_DEP_2) | instskip(NEXT) | instid1(VALU_DEP_2)
	v_lshlrev_b64 v[33:34], 3, v[33:34]
	v_lshlrev_b64 v[37:38], 3, v[35:36]
	s_delay_alu instid0(VALU_DEP_2) | instskip(NEXT) | instid1(VALU_DEP_3)
	v_add_co_u32 v35, vcc_lo, s8, v33
	v_add_co_ci_u32_e32 v36, vcc_lo, s9, v34, vcc_lo
	s_delay_alu instid0(VALU_DEP_3) | instskip(NEXT) | instid1(VALU_DEP_4)
	v_add_co_u32 v33, vcc_lo, s8, v37
	v_add_co_ci_u32_e32 v34, vcc_lo, s9, v38, vcc_lo
	s_clause 0x1
	global_load_b64 v[37:38], v[35:36], off
	global_load_b64 v[39:40], v[33:34], off
	s_waitcnt vmcnt(0)
	v_cmpx_eq_f64_e32 v[37:38], v[39:40]
	s_cbranch_execz .LBB861_150
; %bb.144:
	v_add_co_u32 v33, vcc_lo, v33, 8
	v_add_co_ci_u32_e32 v34, vcc_lo, 0, v34, vcc_lo
	v_add_co_u32 v35, vcc_lo, v35, 8
	v_add_co_ci_u32_e32 v36, vcc_lo, 0, v36, vcc_lo
	s_add_u32 s6, s22, -1
	s_addc_u32 s7, s23, -1
	s_mov_b64 s[18:19], 0
	s_mov_b32 s30, 0
                                        ; implicit-def: $sgpr31
	s_set_inst_prefetch_distance 0x1
	s_branch .LBB861_147
	.p2align	6
.LBB861_145:                            ;   in Loop: Header=BB861_147 Depth=1
	global_load_b64 v[37:38], v[35:36], off
	global_load_b64 v[39:40], v[33:34], off
	v_add_co_u32 v33, s2, v33, 8
	s_delay_alu instid0(VALU_DEP_1) | instskip(SKIP_1) | instid1(VALU_DEP_1)
	v_add_co_ci_u32_e64 v34, s2, 0, v34, s2
	v_add_co_u32 v35, s2, v35, 8
	v_add_co_ci_u32_e64 v36, s2, 0, v36, s2
	s_add_u32 s18, s18, 1
	s_addc_u32 s19, s19, 0
	s_and_not1_b32 s2, s31, exec_lo
	s_waitcnt vmcnt(0)
	v_cmp_neq_f64_e32 vcc_lo, v[37:38], v[39:40]
	s_and_b32 s31, vcc_lo, exec_lo
	s_delay_alu instid0(SALU_CYCLE_1)
	s_or_b32 s31, s2, s31
.LBB861_146:                            ;   in Loop: Header=BB861_147 Depth=1
	v_dual_mov_b32 v38, s19 :: v_dual_mov_b32 v37, s18
	s_and_b32 s2, exec_lo, s31
	s_delay_alu instid0(SALU_CYCLE_1) | instskip(NEXT) | instid1(SALU_CYCLE_1)
	s_or_b32 s30, s2, s30
	s_and_not1_b32 exec_lo, exec_lo, s30
	s_cbranch_execz .LBB861_149
.LBB861_147:                            ; =>This Inner Loop Header: Depth=1
	s_or_b32 s31, s31, exec_lo
	s_cmp_eq_u64 s[6:7], s[18:19]
	s_cbranch_scc0 .LBB861_145
; %bb.148:                              ;   in Loop: Header=BB861_147 Depth=1
	s_mov_b64 s[18:19], s[22:23]
                                        ; implicit-def: $vgpr33_vgpr34
                                        ; implicit-def: $vgpr35_vgpr36
	s_branch .LBB861_146
.LBB861_149:
	s_set_inst_prefetch_distance 0x2
	s_or_b32 exec_lo, exec_lo, s30
	v_cmp_gt_i64_e32 vcc_lo, s[22:23], v[37:38]
	s_or_not1_b32 s2, vcc_lo, exec_lo
.LBB861_150:
	s_or_b32 exec_lo, exec_lo, s25
.LBB861_151:
	s_delay_alu instid0(SALU_CYCLE_1)
	s_and_b32 s25, s2, exec_lo
.LBB861_152:
	s_or_b32 exec_lo, exec_lo, s29
	v_or_b32_e32 v33, 4, v55
	s_mov_b32 s29, exec_lo
	s_delay_alu instid0(VALU_DEP_1)
	v_cmpx_gt_u32_e64 s28, v33
	s_cbranch_execz .LBB861_163
; %bb.153:
	v_cmp_ne_u32_e32 vcc_lo, 1, v41
	s_mov_b32 s2, 0
	s_cbranch_vccnz .LBB861_162
; %bb.154:
	v_mul_lo_u32 v37, v28, s22
	v_mul_lo_u32 v38, v27, s23
	v_mad_u64_u32 v[33:34], null, v27, s22, 0
	v_mul_lo_u32 v39, v22, s22
	v_mul_lo_u32 v40, v21, s23
	s_waitcnt lgkmcnt(0)
	v_mad_u64_u32 v[35:36], null, v21, s22, 0
	s_mov_b32 s2, -1
	s_mov_b32 s27, exec_lo
	s_delay_alu instid0(VALU_DEP_4) | instskip(NEXT) | instid1(VALU_DEP_2)
	v_add3_u32 v34, v34, v38, v37
	v_add3_u32 v36, v36, v40, v39
	s_delay_alu instid0(VALU_DEP_2) | instskip(NEXT) | instid1(VALU_DEP_2)
	v_lshlrev_b64 v[33:34], 3, v[33:34]
	v_lshlrev_b64 v[37:38], 3, v[35:36]
	s_delay_alu instid0(VALU_DEP_2) | instskip(NEXT) | instid1(VALU_DEP_3)
	v_add_co_u32 v35, vcc_lo, s8, v33
	v_add_co_ci_u32_e32 v36, vcc_lo, s9, v34, vcc_lo
	s_delay_alu instid0(VALU_DEP_3) | instskip(NEXT) | instid1(VALU_DEP_4)
	v_add_co_u32 v33, vcc_lo, s8, v37
	v_add_co_ci_u32_e32 v34, vcc_lo, s9, v38, vcc_lo
	s_clause 0x1
	global_load_b64 v[37:38], v[35:36], off
	global_load_b64 v[39:40], v[33:34], off
	s_waitcnt vmcnt(0)
	v_cmpx_eq_f64_e32 v[37:38], v[39:40]
	s_cbranch_execz .LBB861_161
; %bb.155:
	v_add_co_u32 v33, vcc_lo, v33, 8
	v_add_co_ci_u32_e32 v34, vcc_lo, 0, v34, vcc_lo
	v_add_co_u32 v35, vcc_lo, v35, 8
	v_add_co_ci_u32_e32 v36, vcc_lo, 0, v36, vcc_lo
	s_add_u32 s6, s22, -1
	s_addc_u32 s7, s23, -1
	s_mov_b64 s[18:19], 0
	s_mov_b32 s30, 0
                                        ; implicit-def: $sgpr31
	s_set_inst_prefetch_distance 0x1
	s_branch .LBB861_158
	.p2align	6
.LBB861_156:                            ;   in Loop: Header=BB861_158 Depth=1
	global_load_b64 v[37:38], v[35:36], off
	global_load_b64 v[39:40], v[33:34], off
	v_add_co_u32 v33, s2, v33, 8
	s_delay_alu instid0(VALU_DEP_1) | instskip(SKIP_1) | instid1(VALU_DEP_1)
	v_add_co_ci_u32_e64 v34, s2, 0, v34, s2
	v_add_co_u32 v35, s2, v35, 8
	v_add_co_ci_u32_e64 v36, s2, 0, v36, s2
	s_add_u32 s18, s18, 1
	s_addc_u32 s19, s19, 0
	s_and_not1_b32 s2, s31, exec_lo
	s_waitcnt vmcnt(0)
	v_cmp_neq_f64_e32 vcc_lo, v[37:38], v[39:40]
	s_and_b32 s31, vcc_lo, exec_lo
	s_delay_alu instid0(SALU_CYCLE_1)
	s_or_b32 s31, s2, s31
.LBB861_157:                            ;   in Loop: Header=BB861_158 Depth=1
	v_dual_mov_b32 v38, s19 :: v_dual_mov_b32 v37, s18
	s_and_b32 s2, exec_lo, s31
	s_delay_alu instid0(SALU_CYCLE_1) | instskip(NEXT) | instid1(SALU_CYCLE_1)
	s_or_b32 s30, s2, s30
	s_and_not1_b32 exec_lo, exec_lo, s30
	s_cbranch_execz .LBB861_160
.LBB861_158:                            ; =>This Inner Loop Header: Depth=1
	s_or_b32 s31, s31, exec_lo
	s_cmp_eq_u64 s[6:7], s[18:19]
	s_cbranch_scc0 .LBB861_156
; %bb.159:                              ;   in Loop: Header=BB861_158 Depth=1
	s_mov_b64 s[18:19], s[22:23]
                                        ; implicit-def: $vgpr33_vgpr34
                                        ; implicit-def: $vgpr35_vgpr36
	s_branch .LBB861_157
.LBB861_160:
	s_set_inst_prefetch_distance 0x2
	s_or_b32 exec_lo, exec_lo, s30
	v_cmp_gt_i64_e32 vcc_lo, s[22:23], v[37:38]
	s_or_not1_b32 s2, vcc_lo, exec_lo
.LBB861_161:
	s_or_b32 exec_lo, exec_lo, s27
.LBB861_162:
	s_delay_alu instid0(SALU_CYCLE_1)
	s_and_b32 s27, s2, exec_lo
.LBB861_163:
	s_or_b32 exec_lo, exec_lo, s29
	v_or_b32_e32 v33, 3, v55
	s_mov_b32 s30, 0
	s_mov_b32 s29, 0
	s_mov_b32 s31, exec_lo
	s_delay_alu instid0(VALU_DEP_1)
	v_cmpx_gt_u32_e64 s28, v33
	s_cbranch_execz .LBB861_174
; %bb.164:
	v_cmp_ne_u32_e32 vcc_lo, 1, v41
	s_mov_b32 s2, 0
	s_cbranch_vccnz .LBB861_173
; %bb.165:
	v_mul_lo_u32 v37, v26, s22
	v_mul_lo_u32 v38, v25, s23
	v_mad_u64_u32 v[33:34], null, v25, s22, 0
	v_mul_lo_u32 v39, v28, s22
	v_mul_lo_u32 v40, v27, s23
	s_waitcnt lgkmcnt(0)
	v_mad_u64_u32 v[35:36], null, v27, s22, 0
	s_mov_b32 s2, -1
	s_mov_b32 s29, exec_lo
	s_delay_alu instid0(VALU_DEP_4) | instskip(NEXT) | instid1(VALU_DEP_2)
	v_add3_u32 v34, v34, v38, v37
	v_add3_u32 v36, v36, v40, v39
	s_delay_alu instid0(VALU_DEP_2) | instskip(NEXT) | instid1(VALU_DEP_2)
	v_lshlrev_b64 v[33:34], 3, v[33:34]
	v_lshlrev_b64 v[37:38], 3, v[35:36]
	s_delay_alu instid0(VALU_DEP_2) | instskip(NEXT) | instid1(VALU_DEP_3)
	v_add_co_u32 v35, vcc_lo, s8, v33
	v_add_co_ci_u32_e32 v36, vcc_lo, s9, v34, vcc_lo
	s_delay_alu instid0(VALU_DEP_3) | instskip(NEXT) | instid1(VALU_DEP_4)
	v_add_co_u32 v33, vcc_lo, s8, v37
	v_add_co_ci_u32_e32 v34, vcc_lo, s9, v38, vcc_lo
	s_clause 0x1
	global_load_b64 v[37:38], v[35:36], off
	global_load_b64 v[39:40], v[33:34], off
	s_waitcnt vmcnt(0)
	v_cmpx_eq_f64_e32 v[37:38], v[39:40]
	s_cbranch_execz .LBB861_172
; %bb.166:
	v_add_co_u32 v33, vcc_lo, v33, 8
	v_add_co_ci_u32_e32 v34, vcc_lo, 0, v34, vcc_lo
	v_add_co_u32 v35, vcc_lo, v35, 8
	v_add_co_ci_u32_e32 v36, vcc_lo, 0, v36, vcc_lo
	s_add_u32 s6, s22, -1
	s_addc_u32 s7, s23, -1
	s_mov_b64 s[18:19], 0
	s_mov_b32 s33, 0
                                        ; implicit-def: $sgpr34
	s_set_inst_prefetch_distance 0x1
	s_branch .LBB861_169
	.p2align	6
.LBB861_167:                            ;   in Loop: Header=BB861_169 Depth=1
	global_load_b64 v[37:38], v[35:36], off
	global_load_b64 v[39:40], v[33:34], off
	v_add_co_u32 v33, s2, v33, 8
	s_delay_alu instid0(VALU_DEP_1) | instskip(SKIP_1) | instid1(VALU_DEP_1)
	v_add_co_ci_u32_e64 v34, s2, 0, v34, s2
	v_add_co_u32 v35, s2, v35, 8
	v_add_co_ci_u32_e64 v36, s2, 0, v36, s2
	s_add_u32 s18, s18, 1
	s_addc_u32 s19, s19, 0
	s_and_not1_b32 s2, s34, exec_lo
	s_waitcnt vmcnt(0)
	v_cmp_neq_f64_e32 vcc_lo, v[37:38], v[39:40]
	s_and_b32 s34, vcc_lo, exec_lo
	s_delay_alu instid0(SALU_CYCLE_1)
	s_or_b32 s34, s2, s34
.LBB861_168:                            ;   in Loop: Header=BB861_169 Depth=1
	v_dual_mov_b32 v38, s19 :: v_dual_mov_b32 v37, s18
	s_and_b32 s2, exec_lo, s34
	s_delay_alu instid0(SALU_CYCLE_1) | instskip(NEXT) | instid1(SALU_CYCLE_1)
	s_or_b32 s33, s2, s33
	s_and_not1_b32 exec_lo, exec_lo, s33
	s_cbranch_execz .LBB861_171
.LBB861_169:                            ; =>This Inner Loop Header: Depth=1
	s_or_b32 s34, s34, exec_lo
	s_cmp_eq_u64 s[6:7], s[18:19]
	s_cbranch_scc0 .LBB861_167
; %bb.170:                              ;   in Loop: Header=BB861_169 Depth=1
	s_mov_b64 s[18:19], s[22:23]
                                        ; implicit-def: $vgpr33_vgpr34
                                        ; implicit-def: $vgpr35_vgpr36
	s_branch .LBB861_168
.LBB861_171:
	s_set_inst_prefetch_distance 0x2
	s_or_b32 exec_lo, exec_lo, s33
	v_cmp_gt_i64_e32 vcc_lo, s[22:23], v[37:38]
	s_or_not1_b32 s2, vcc_lo, exec_lo
.LBB861_172:
	s_or_b32 exec_lo, exec_lo, s29
.LBB861_173:
	s_delay_alu instid0(SALU_CYCLE_1)
	s_and_b32 s29, s2, exec_lo
.LBB861_174:
	s_or_b32 exec_lo, exec_lo, s31
	v_or_b32_e32 v33, 2, v55
	s_mov_b32 s31, exec_lo
	s_delay_alu instid0(VALU_DEP_1)
	v_cmpx_gt_u32_e64 s28, v33
	s_cbranch_execz .LBB861_185
; %bb.175:
	v_cmp_ne_u32_e32 vcc_lo, 1, v41
	s_mov_b32 s2, 0
	s_cbranch_vccnz .LBB861_184
; %bb.176:
	v_mul_lo_u32 v37, v32, s22
	v_mul_lo_u32 v38, v31, s23
	v_mad_u64_u32 v[33:34], null, v31, s22, 0
	v_mul_lo_u32 v39, v26, s22
	v_mul_lo_u32 v40, v25, s23
	s_waitcnt lgkmcnt(0)
	v_mad_u64_u32 v[35:36], null, v25, s22, 0
	s_mov_b32 s2, -1
	s_mov_b32 s30, exec_lo
	s_delay_alu instid0(VALU_DEP_4) | instskip(NEXT) | instid1(VALU_DEP_2)
	v_add3_u32 v34, v34, v38, v37
	v_add3_u32 v36, v36, v40, v39
	s_delay_alu instid0(VALU_DEP_2) | instskip(NEXT) | instid1(VALU_DEP_2)
	v_lshlrev_b64 v[33:34], 3, v[33:34]
	v_lshlrev_b64 v[37:38], 3, v[35:36]
	s_delay_alu instid0(VALU_DEP_2) | instskip(NEXT) | instid1(VALU_DEP_3)
	v_add_co_u32 v35, vcc_lo, s8, v33
	v_add_co_ci_u32_e32 v36, vcc_lo, s9, v34, vcc_lo
	s_delay_alu instid0(VALU_DEP_3) | instskip(NEXT) | instid1(VALU_DEP_4)
	v_add_co_u32 v33, vcc_lo, s8, v37
	v_add_co_ci_u32_e32 v34, vcc_lo, s9, v38, vcc_lo
	s_clause 0x1
	global_load_b64 v[37:38], v[35:36], off
	global_load_b64 v[39:40], v[33:34], off
	s_waitcnt vmcnt(0)
	v_cmpx_eq_f64_e32 v[37:38], v[39:40]
	s_cbranch_execz .LBB861_183
; %bb.177:
	v_add_co_u32 v33, vcc_lo, v33, 8
	v_add_co_ci_u32_e32 v34, vcc_lo, 0, v34, vcc_lo
	v_add_co_u32 v35, vcc_lo, v35, 8
	v_add_co_ci_u32_e32 v36, vcc_lo, 0, v36, vcc_lo
	s_add_u32 s6, s22, -1
	s_addc_u32 s7, s23, -1
	s_mov_b64 s[18:19], 0
	s_mov_b32 s33, 0
                                        ; implicit-def: $sgpr34
	s_set_inst_prefetch_distance 0x1
	s_branch .LBB861_180
	.p2align	6
.LBB861_178:                            ;   in Loop: Header=BB861_180 Depth=1
	global_load_b64 v[37:38], v[35:36], off
	global_load_b64 v[39:40], v[33:34], off
	v_add_co_u32 v33, s2, v33, 8
	s_delay_alu instid0(VALU_DEP_1) | instskip(SKIP_1) | instid1(VALU_DEP_1)
	v_add_co_ci_u32_e64 v34, s2, 0, v34, s2
	v_add_co_u32 v35, s2, v35, 8
	v_add_co_ci_u32_e64 v36, s2, 0, v36, s2
	s_add_u32 s18, s18, 1
	s_addc_u32 s19, s19, 0
	s_and_not1_b32 s2, s34, exec_lo
	s_waitcnt vmcnt(0)
	v_cmp_neq_f64_e32 vcc_lo, v[37:38], v[39:40]
	s_and_b32 s34, vcc_lo, exec_lo
	s_delay_alu instid0(SALU_CYCLE_1)
	s_or_b32 s34, s2, s34
.LBB861_179:                            ;   in Loop: Header=BB861_180 Depth=1
	v_dual_mov_b32 v38, s19 :: v_dual_mov_b32 v37, s18
	s_and_b32 s2, exec_lo, s34
	s_delay_alu instid0(SALU_CYCLE_1) | instskip(NEXT) | instid1(SALU_CYCLE_1)
	s_or_b32 s33, s2, s33
	s_and_not1_b32 exec_lo, exec_lo, s33
	s_cbranch_execz .LBB861_182
.LBB861_180:                            ; =>This Inner Loop Header: Depth=1
	s_or_b32 s34, s34, exec_lo
	s_cmp_eq_u64 s[6:7], s[18:19]
	s_cbranch_scc0 .LBB861_178
; %bb.181:                              ;   in Loop: Header=BB861_180 Depth=1
	s_mov_b64 s[18:19], s[22:23]
                                        ; implicit-def: $vgpr33_vgpr34
                                        ; implicit-def: $vgpr35_vgpr36
	s_branch .LBB861_179
.LBB861_182:
	s_set_inst_prefetch_distance 0x2
	s_or_b32 exec_lo, exec_lo, s33
	v_cmp_gt_i64_e32 vcc_lo, s[22:23], v[37:38]
	s_or_not1_b32 s2, vcc_lo, exec_lo
.LBB861_183:
	s_or_b32 exec_lo, exec_lo, s30
.LBB861_184:
	s_delay_alu instid0(SALU_CYCLE_1)
	s_and_b32 s30, s2, exec_lo
.LBB861_185:
	s_or_b32 exec_lo, exec_lo, s31
	v_or_b32_e32 v33, 1, v55
	s_mov_b32 s2, 0
	s_mov_b32 s31, exec_lo
	s_delay_alu instid0(VALU_DEP_1)
	v_cmpx_gt_u32_e64 s28, v33
	s_cbranch_execz .LBB861_196
; %bb.186:
	v_cmp_ne_u32_e32 vcc_lo, 1, v41
	s_cbranch_vccnz .LBB861_195
; %bb.187:
	v_mul_lo_u32 v37, v30, s22
	v_mul_lo_u32 v38, v29, s23
	v_mad_u64_u32 v[33:34], null, v29, s22, 0
	v_mul_lo_u32 v39, v32, s22
	v_mul_lo_u32 v40, v31, s23
	s_waitcnt lgkmcnt(0)
	v_mad_u64_u32 v[35:36], null, v31, s22, 0
	s_mov_b32 s2, -1
	s_mov_b32 s33, exec_lo
	s_delay_alu instid0(VALU_DEP_4) | instskip(NEXT) | instid1(VALU_DEP_2)
	v_add3_u32 v34, v34, v38, v37
	v_add3_u32 v36, v36, v40, v39
	s_delay_alu instid0(VALU_DEP_2) | instskip(NEXT) | instid1(VALU_DEP_2)
	v_lshlrev_b64 v[33:34], 3, v[33:34]
	v_lshlrev_b64 v[37:38], 3, v[35:36]
	s_delay_alu instid0(VALU_DEP_2) | instskip(NEXT) | instid1(VALU_DEP_3)
	v_add_co_u32 v35, vcc_lo, s8, v33
	v_add_co_ci_u32_e32 v36, vcc_lo, s9, v34, vcc_lo
	s_delay_alu instid0(VALU_DEP_3) | instskip(NEXT) | instid1(VALU_DEP_4)
	v_add_co_u32 v33, vcc_lo, s8, v37
	v_add_co_ci_u32_e32 v34, vcc_lo, s9, v38, vcc_lo
	s_clause 0x1
	global_load_b64 v[37:38], v[35:36], off
	global_load_b64 v[39:40], v[33:34], off
	s_waitcnt vmcnt(0)
	v_cmpx_eq_f64_e32 v[37:38], v[39:40]
	s_cbranch_execz .LBB861_194
; %bb.188:
	v_add_co_u32 v33, vcc_lo, v33, 8
	v_add_co_ci_u32_e32 v34, vcc_lo, 0, v34, vcc_lo
	v_add_co_u32 v35, vcc_lo, v35, 8
	v_add_co_ci_u32_e32 v36, vcc_lo, 0, v36, vcc_lo
	s_add_u32 s6, s22, -1
	s_addc_u32 s7, s23, -1
	s_mov_b64 s[18:19], 0
	s_mov_b32 s34, 0
                                        ; implicit-def: $sgpr35
	s_set_inst_prefetch_distance 0x1
	s_branch .LBB861_191
	.p2align	6
.LBB861_189:                            ;   in Loop: Header=BB861_191 Depth=1
	global_load_b64 v[37:38], v[35:36], off
	global_load_b64 v[39:40], v[33:34], off
	v_add_co_u32 v33, s2, v33, 8
	s_delay_alu instid0(VALU_DEP_1) | instskip(SKIP_1) | instid1(VALU_DEP_1)
	v_add_co_ci_u32_e64 v34, s2, 0, v34, s2
	v_add_co_u32 v35, s2, v35, 8
	v_add_co_ci_u32_e64 v36, s2, 0, v36, s2
	s_add_u32 s18, s18, 1
	s_addc_u32 s19, s19, 0
	s_and_not1_b32 s2, s35, exec_lo
	s_waitcnt vmcnt(0)
	v_cmp_neq_f64_e32 vcc_lo, v[37:38], v[39:40]
	s_and_b32 s35, vcc_lo, exec_lo
	s_delay_alu instid0(SALU_CYCLE_1)
	s_or_b32 s35, s2, s35
.LBB861_190:                            ;   in Loop: Header=BB861_191 Depth=1
	v_dual_mov_b32 v38, s19 :: v_dual_mov_b32 v37, s18
	s_and_b32 s2, exec_lo, s35
	s_delay_alu instid0(SALU_CYCLE_1) | instskip(NEXT) | instid1(SALU_CYCLE_1)
	s_or_b32 s34, s2, s34
	s_and_not1_b32 exec_lo, exec_lo, s34
	s_cbranch_execz .LBB861_193
.LBB861_191:                            ; =>This Inner Loop Header: Depth=1
	s_or_b32 s35, s35, exec_lo
	s_cmp_eq_u64 s[6:7], s[18:19]
	s_cbranch_scc0 .LBB861_189
; %bb.192:                              ;   in Loop: Header=BB861_191 Depth=1
	s_mov_b64 s[18:19], s[22:23]
                                        ; implicit-def: $vgpr33_vgpr34
                                        ; implicit-def: $vgpr35_vgpr36
	s_branch .LBB861_190
.LBB861_193:
	s_set_inst_prefetch_distance 0x2
	s_or_b32 exec_lo, exec_lo, s34
	v_cmp_gt_i64_e32 vcc_lo, s[22:23], v[37:38]
	s_or_not1_b32 s2, vcc_lo, exec_lo
.LBB861_194:
	s_or_b32 exec_lo, exec_lo, s33
.LBB861_195:
	s_delay_alu instid0(SALU_CYCLE_1)
	s_and_b32 s2, s2, exec_lo
.LBB861_196:
	s_or_b32 exec_lo, exec_lo, s31
	s_waitcnt lgkmcnt(0)
	v_dual_mov_b32 v34, s5 :: v_dual_mov_b32 v33, s4
	s_mov_b32 s4, exec_lo
	s_barrier
	buffer_gl0_inv
	v_cmpx_ne_u32_e32 0, v0
	s_cbranch_execz .LBB861_198
; %bb.197:
	v_add_nc_u32_e32 v33, -8, v55
	ds_load_b64 v[33:34], v33
.LBB861_198:
	s_or_b32 exec_lo, exec_lo, s4
	v_cndmask_b32_e64 v36, 0, 1, s29
	v_cndmask_b32_e64 v38, 0, 1, s25
	;; [unrolled: 1-line block ×7, first 2 shown]
	v_lshlrev_b16 v36, 8, v36
	v_lshlrev_b16 v38, 8, v38
	;; [unrolled: 1-line block ×3, first 2 shown]
	s_mov_b32 s2, 0
	v_lshlrev_b16 v42, 8, v42
	v_or_b32_e32 v35, v35, v36
	v_or_b32_e32 v36, v37, v38
	;; [unrolled: 1-line block ×3, first 2 shown]
	s_mov_b32 s3, exec_lo
	v_and_b32_e32 v39, 0xffff, v42
	v_lshlrev_b32_e32 v40, 16, v35
	v_and_b32_e32 v42, 0xffff, v36
	v_lshlrev_b32_e32 v43, 16, v37
	v_cmpx_gt_u32_e64 s28, v55
	s_cbranch_execz .LBB861_209
; %bb.199:
	v_cmp_ne_u32_e32 vcc_lo, 1, v41
	s_cbranch_vccnz .LBB861_208
; %bb.200:
	s_waitcnt lgkmcnt(0)
	v_mul_lo_u32 v38, v34, s22
	v_mul_lo_u32 v41, v33, s23
	v_mad_u64_u32 v[34:35], null, v33, s22, 0
	v_mul_lo_u32 v33, v30, s22
	v_mul_lo_u32 v44, v29, s23
	v_mad_u64_u32 v[36:37], null, v29, s22, 0
	s_mov_b32 s2, -1
	s_mov_b32 s18, exec_lo
	s_delay_alu instid0(VALU_DEP_4) | instskip(NEXT) | instid1(VALU_DEP_2)
	v_add3_u32 v35, v35, v41, v38
	v_add3_u32 v37, v37, v44, v33
	s_delay_alu instid0(VALU_DEP_2) | instskip(NEXT) | instid1(VALU_DEP_2)
	v_lshlrev_b64 v[33:34], 3, v[34:35]
	v_lshlrev_b64 v[37:38], 3, v[36:37]
	s_delay_alu instid0(VALU_DEP_2) | instskip(NEXT) | instid1(VALU_DEP_3)
	v_add_co_u32 v35, vcc_lo, s8, v33
	v_add_co_ci_u32_e32 v36, vcc_lo, s9, v34, vcc_lo
	s_delay_alu instid0(VALU_DEP_3) | instskip(NEXT) | instid1(VALU_DEP_4)
	v_add_co_u32 v33, vcc_lo, s8, v37
	v_add_co_ci_u32_e32 v34, vcc_lo, s9, v38, vcc_lo
	s_clause 0x1
	global_load_b64 v[37:38], v[35:36], off
	global_load_b64 v[44:45], v[33:34], off
	s_waitcnt vmcnt(0)
	v_cmpx_eq_f64_e32 v[37:38], v[44:45]
	s_cbranch_execz .LBB861_207
; %bb.201:
	v_add_co_u32 v33, vcc_lo, v33, 8
	v_add_co_ci_u32_e32 v34, vcc_lo, 0, v34, vcc_lo
	v_add_co_u32 v35, vcc_lo, v35, 8
	v_add_co_ci_u32_e32 v36, vcc_lo, 0, v36, vcc_lo
	s_add_u32 s4, s22, -1
	s_addc_u32 s5, s23, -1
	s_mov_b64 s[6:7], 0
	s_mov_b32 s19, 0
                                        ; implicit-def: $sgpr25
	s_set_inst_prefetch_distance 0x1
	s_branch .LBB861_204
	.p2align	6
.LBB861_202:                            ;   in Loop: Header=BB861_204 Depth=1
	global_load_b64 v[37:38], v[35:36], off
	global_load_b64 v[44:45], v[33:34], off
	v_add_co_u32 v33, s2, v33, 8
	s_delay_alu instid0(VALU_DEP_1) | instskip(SKIP_1) | instid1(VALU_DEP_1)
	v_add_co_ci_u32_e64 v34, s2, 0, v34, s2
	v_add_co_u32 v35, s2, v35, 8
	v_add_co_ci_u32_e64 v36, s2, 0, v36, s2
	s_add_u32 s6, s6, 1
	s_addc_u32 s7, s7, 0
	s_and_not1_b32 s2, s25, exec_lo
	s_waitcnt vmcnt(0)
	v_cmp_neq_f64_e32 vcc_lo, v[37:38], v[44:45]
	s_and_b32 s25, vcc_lo, exec_lo
	s_delay_alu instid0(SALU_CYCLE_1)
	s_or_b32 s25, s2, s25
.LBB861_203:                            ;   in Loop: Header=BB861_204 Depth=1
	v_dual_mov_b32 v38, s7 :: v_dual_mov_b32 v37, s6
	s_and_b32 s2, exec_lo, s25
	s_delay_alu instid0(SALU_CYCLE_1) | instskip(NEXT) | instid1(SALU_CYCLE_1)
	s_or_b32 s19, s2, s19
	s_and_not1_b32 exec_lo, exec_lo, s19
	s_cbranch_execz .LBB861_206
.LBB861_204:                            ; =>This Inner Loop Header: Depth=1
	s_or_b32 s25, s25, exec_lo
	s_cmp_eq_u64 s[4:5], s[6:7]
	s_cbranch_scc0 .LBB861_202
; %bb.205:                              ;   in Loop: Header=BB861_204 Depth=1
	s_mov_b64 s[6:7], s[22:23]
                                        ; implicit-def: $vgpr33_vgpr34
                                        ; implicit-def: $vgpr35_vgpr36
	s_branch .LBB861_203
.LBB861_206:
	s_set_inst_prefetch_distance 0x2
	s_or_b32 exec_lo, exec_lo, s19
	v_cmp_gt_i64_e32 vcc_lo, s[22:23], v[37:38]
	s_or_not1_b32 s2, vcc_lo, exec_lo
.LBB861_207:
	s_or_b32 exec_lo, exec_lo, s18
.LBB861_208:
	s_delay_alu instid0(SALU_CYCLE_1)
	s_and_b32 s2, s2, exec_lo
.LBB861_209:
	s_or_b32 exec_lo, exec_lo, s3
	s_waitcnt lgkmcnt(0)
	v_or_b32_e32 v33, v39, v40
	v_or_b32_e32 v34, v42, v43
.LBB861_210:
	s_waitcnt lgkmcnt(0)
	s_mov_b32 s3, -1
	s_cbranch_execnz .LBB861_379
.LBB861_211:
	v_cmp_gt_i64_e64 s18, s[22:23], 0
	s_and_b32 vcc_lo, exec_lo, s20
	ds_store_b64 v55, v[19:20]
	s_cbranch_vccz .LBB861_219
; %bb.212:
	v_mul_lo_u32 v35, v18, s22
	v_mul_lo_u32 v36, v17, s23
	v_mad_u64_u32 v[33:34], null, v17, s22, 0
	s_mov_b32 s19, 0
	s_and_not1_b32 vcc_lo, exec_lo, s18
	s_mov_b32 s25, 0
	s_delay_alu instid0(VALU_DEP_1) | instskip(NEXT) | instid1(VALU_DEP_1)
	v_add3_u32 v34, v34, v36, v35
	v_lshlrev_b64 v[33:34], 3, v[33:34]
	s_cbranch_vccnz .LBB861_222
; %bb.213:
	v_mul_lo_u32 v37, v20, s22
	v_mul_lo_u32 v38, v19, s23
	v_mad_u64_u32 v[35:36], null, v19, s22, 0
	s_mov_b32 s25, -1
	s_mov_b32 s26, exec_lo
	s_delay_alu instid0(VALU_DEP_1) | instskip(SKIP_2) | instid1(VALU_DEP_3)
	v_add3_u32 v36, v36, v38, v37
	v_add_co_u32 v37, vcc_lo, s8, v33
	v_add_co_ci_u32_e32 v38, vcc_lo, s9, v34, vcc_lo
	v_lshlrev_b64 v[35:36], 3, v[35:36]
	s_delay_alu instid0(VALU_DEP_1) | instskip(NEXT) | instid1(VALU_DEP_2)
	v_add_co_u32 v35, vcc_lo, s8, v35
	v_add_co_ci_u32_e32 v36, vcc_lo, s9, v36, vcc_lo
	s_clause 0x1
	global_load_b64 v[39:40], v[37:38], off
	global_load_b64 v[41:42], v[35:36], off
	s_waitcnt vmcnt(0)
	v_cmpx_eq_f64_e32 v[39:40], v[41:42]
	s_cbranch_execz .LBB861_221
; %bb.214:
	v_add_co_u32 v35, vcc_lo, v35, 8
	v_add_co_ci_u32_e32 v36, vcc_lo, 0, v36, vcc_lo
	v_add_co_u32 v37, vcc_lo, v37, 8
	v_add_co_ci_u32_e32 v38, vcc_lo, 0, v38, vcc_lo
	s_add_u32 s4, s22, -1
	s_addc_u32 s5, s23, -1
	s_mov_b64 s[6:7], 0
	s_mov_b32 s25, 0
                                        ; implicit-def: $sgpr27
	s_set_inst_prefetch_distance 0x1
	s_branch .LBB861_217
	.p2align	6
.LBB861_215:                            ;   in Loop: Header=BB861_217 Depth=1
	global_load_b64 v[39:40], v[37:38], off
	global_load_b64 v[41:42], v[35:36], off
	v_add_co_u32 v35, s2, v35, 8
	s_delay_alu instid0(VALU_DEP_1) | instskip(SKIP_1) | instid1(VALU_DEP_1)
	v_add_co_ci_u32_e64 v36, s2, 0, v36, s2
	v_add_co_u32 v37, s2, v37, 8
	v_add_co_ci_u32_e64 v38, s2, 0, v38, s2
	s_add_u32 s6, s6, 1
	s_addc_u32 s7, s7, 0
	s_and_not1_b32 s2, s27, exec_lo
	s_waitcnt vmcnt(0)
	v_cmp_neq_f64_e32 vcc_lo, v[39:40], v[41:42]
	s_and_b32 s27, vcc_lo, exec_lo
	s_delay_alu instid0(SALU_CYCLE_1)
	s_or_b32 s27, s2, s27
.LBB861_216:                            ;   in Loop: Header=BB861_217 Depth=1
	v_dual_mov_b32 v40, s7 :: v_dual_mov_b32 v39, s6
	s_and_b32 s2, exec_lo, s27
	s_delay_alu instid0(SALU_CYCLE_1) | instskip(NEXT) | instid1(SALU_CYCLE_1)
	s_or_b32 s25, s2, s25
	s_and_not1_b32 exec_lo, exec_lo, s25
	s_cbranch_execz .LBB861_220
.LBB861_217:                            ; =>This Inner Loop Header: Depth=1
	s_or_b32 s27, s27, exec_lo
	s_cmp_eq_u64 s[4:5], s[6:7]
	s_cbranch_scc0 .LBB861_215
; %bb.218:                              ;   in Loop: Header=BB861_217 Depth=1
	s_mov_b64 s[6:7], s[22:23]
                                        ; implicit-def: $vgpr35_vgpr36
                                        ; implicit-def: $vgpr37_vgpr38
	s_branch .LBB861_216
.LBB861_219:
                                        ; implicit-def: $sgpr2
                                        ; implicit-def: $vgpr34
	s_cbranch_execnz .LBB861_288
	s_branch .LBB861_379
.LBB861_220:
	s_set_inst_prefetch_distance 0x2
	s_or_b32 exec_lo, exec_lo, s25
	v_cmp_gt_i64_e32 vcc_lo, s[22:23], v[39:40]
	s_or_not1_b32 s25, vcc_lo, exec_lo
.LBB861_221:
	s_or_b32 exec_lo, exec_lo, s26
.LBB861_222:
	v_mul_lo_u32 v37, v24, s22
	v_mul_lo_u32 v38, v23, s23
	v_mad_u64_u32 v[35:36], null, v23, s22, 0
	s_and_not1_b32 vcc_lo, exec_lo, s18
	s_delay_alu instid0(VALU_DEP_1) | instskip(NEXT) | instid1(VALU_DEP_1)
	v_add3_u32 v36, v36, v38, v37
	v_lshlrev_b64 v[35:36], 3, v[35:36]
	s_cbranch_vccnz .LBB861_231
; %bb.223:
	s_delay_alu instid0(VALU_DEP_1) | instskip(NEXT) | instid1(VALU_DEP_2)
	v_add_co_u32 v37, vcc_lo, s8, v35
	v_add_co_ci_u32_e32 v38, vcc_lo, s9, v36, vcc_lo
	v_add_co_u32 v33, vcc_lo, s8, v33
	v_add_co_ci_u32_e32 v34, vcc_lo, s9, v34, vcc_lo
	s_mov_b32 s19, -1
	s_clause 0x1
	global_load_b64 v[39:40], v[37:38], off
	global_load_b64 v[41:42], v[33:34], off
	s_mov_b32 s26, exec_lo
	s_waitcnt vmcnt(0)
	v_cmpx_eq_f64_e32 v[39:40], v[41:42]
	s_cbranch_execz .LBB861_230
; %bb.224:
	v_add_co_u32 v33, vcc_lo, v33, 8
	v_add_co_ci_u32_e32 v34, vcc_lo, 0, v34, vcc_lo
	v_add_co_u32 v37, vcc_lo, v37, 8
	v_add_co_ci_u32_e32 v38, vcc_lo, 0, v38, vcc_lo
	s_add_u32 s4, s22, -1
	s_addc_u32 s5, s23, -1
	s_mov_b64 s[6:7], 0
	s_mov_b32 s19, 0
                                        ; implicit-def: $sgpr27
	s_set_inst_prefetch_distance 0x1
	s_branch .LBB861_227
	.p2align	6
.LBB861_225:                            ;   in Loop: Header=BB861_227 Depth=1
	global_load_b64 v[39:40], v[37:38], off
	global_load_b64 v[41:42], v[33:34], off
	v_add_co_u32 v33, s2, v33, 8
	s_delay_alu instid0(VALU_DEP_1) | instskip(SKIP_1) | instid1(VALU_DEP_1)
	v_add_co_ci_u32_e64 v34, s2, 0, v34, s2
	v_add_co_u32 v37, s2, v37, 8
	v_add_co_ci_u32_e64 v38, s2, 0, v38, s2
	s_add_u32 s6, s6, 1
	s_addc_u32 s7, s7, 0
	s_and_not1_b32 s2, s27, exec_lo
	s_waitcnt vmcnt(0)
	v_cmp_neq_f64_e32 vcc_lo, v[39:40], v[41:42]
	s_and_b32 s27, vcc_lo, exec_lo
	s_delay_alu instid0(SALU_CYCLE_1)
	s_or_b32 s27, s2, s27
.LBB861_226:                            ;   in Loop: Header=BB861_227 Depth=1
	v_dual_mov_b32 v40, s7 :: v_dual_mov_b32 v39, s6
	s_and_b32 s2, exec_lo, s27
	s_delay_alu instid0(SALU_CYCLE_1) | instskip(NEXT) | instid1(SALU_CYCLE_1)
	s_or_b32 s19, s2, s19
	s_and_not1_b32 exec_lo, exec_lo, s19
	s_cbranch_execz .LBB861_229
.LBB861_227:                            ; =>This Inner Loop Header: Depth=1
	s_or_b32 s27, s27, exec_lo
	s_cmp_eq_u64 s[4:5], s[6:7]
	s_cbranch_scc0 .LBB861_225
; %bb.228:                              ;   in Loop: Header=BB861_227 Depth=1
	s_mov_b64 s[6:7], s[22:23]
                                        ; implicit-def: $vgpr33_vgpr34
                                        ; implicit-def: $vgpr37_vgpr38
	s_branch .LBB861_226
.LBB861_229:
	s_set_inst_prefetch_distance 0x2
	s_or_b32 exec_lo, exec_lo, s19
	v_cmp_gt_i64_e32 vcc_lo, s[22:23], v[39:40]
	s_or_not1_b32 s19, vcc_lo, exec_lo
.LBB861_230:
	s_or_b32 exec_lo, exec_lo, s26
.LBB861_231:
	v_mul_lo_u32 v37, v22, s22
	v_mul_lo_u32 v38, v21, s23
	v_mad_u64_u32 v[33:34], null, v21, s22, 0
	s_mov_b32 s26, 0
	s_and_not1_b32 vcc_lo, exec_lo, s18
	s_mov_b32 s27, 0
	s_delay_alu instid0(VALU_DEP_1) | instskip(NEXT) | instid1(VALU_DEP_1)
	v_add3_u32 v34, v34, v38, v37
	v_lshlrev_b64 v[37:38], 3, v[33:34]
	s_cbranch_vccnz .LBB861_240
; %bb.232:
	s_delay_alu instid0(VALU_DEP_1) | instskip(NEXT) | instid1(VALU_DEP_2)
	v_add_co_u32 v39, vcc_lo, s8, v37
	v_add_co_ci_u32_e32 v40, vcc_lo, s9, v38, vcc_lo
	v_add_co_u32 v33, vcc_lo, s8, v35
	v_add_co_ci_u32_e32 v34, vcc_lo, s9, v36, vcc_lo
	s_mov_b32 s27, -1
	s_clause 0x1
	global_load_b64 v[35:36], v[39:40], off
	global_load_b64 v[41:42], v[33:34], off
	s_mov_b32 s29, exec_lo
	s_waitcnt vmcnt(0)
	v_cmpx_eq_f64_e32 v[35:36], v[41:42]
	s_cbranch_execz .LBB861_239
; %bb.233:
	v_add_co_u32 v33, vcc_lo, v33, 8
	v_add_co_ci_u32_e32 v34, vcc_lo, 0, v34, vcc_lo
	v_add_co_u32 v35, vcc_lo, v39, 8
	v_add_co_ci_u32_e32 v36, vcc_lo, 0, v40, vcc_lo
	s_add_u32 s4, s22, -1
	s_addc_u32 s5, s23, -1
	s_mov_b64 s[6:7], 0
	s_mov_b32 s27, 0
                                        ; implicit-def: $sgpr30
	s_set_inst_prefetch_distance 0x1
	s_branch .LBB861_236
	.p2align	6
.LBB861_234:                            ;   in Loop: Header=BB861_236 Depth=1
	global_load_b64 v[39:40], v[35:36], off
	global_load_b64 v[41:42], v[33:34], off
	v_add_co_u32 v33, s2, v33, 8
	s_delay_alu instid0(VALU_DEP_1) | instskip(SKIP_1) | instid1(VALU_DEP_1)
	v_add_co_ci_u32_e64 v34, s2, 0, v34, s2
	v_add_co_u32 v35, s2, v35, 8
	v_add_co_ci_u32_e64 v36, s2, 0, v36, s2
	s_add_u32 s6, s6, 1
	s_addc_u32 s7, s7, 0
	s_and_not1_b32 s2, s30, exec_lo
	s_waitcnt vmcnt(0)
	v_cmp_neq_f64_e32 vcc_lo, v[39:40], v[41:42]
	s_and_b32 s30, vcc_lo, exec_lo
	s_delay_alu instid0(SALU_CYCLE_1)
	s_or_b32 s30, s2, s30
.LBB861_235:                            ;   in Loop: Header=BB861_236 Depth=1
	v_dual_mov_b32 v40, s7 :: v_dual_mov_b32 v39, s6
	s_and_b32 s2, exec_lo, s30
	s_delay_alu instid0(SALU_CYCLE_1) | instskip(NEXT) | instid1(SALU_CYCLE_1)
	s_or_b32 s27, s2, s27
	s_and_not1_b32 exec_lo, exec_lo, s27
	s_cbranch_execz .LBB861_238
.LBB861_236:                            ; =>This Inner Loop Header: Depth=1
	s_or_b32 s30, s30, exec_lo
	s_cmp_eq_u64 s[4:5], s[6:7]
	s_cbranch_scc0 .LBB861_234
; %bb.237:                              ;   in Loop: Header=BB861_236 Depth=1
	s_mov_b64 s[6:7], s[22:23]
                                        ; implicit-def: $vgpr33_vgpr34
                                        ; implicit-def: $vgpr35_vgpr36
	s_branch .LBB861_235
.LBB861_238:
	s_set_inst_prefetch_distance 0x2
	s_or_b32 exec_lo, exec_lo, s27
	v_cmp_gt_i64_e32 vcc_lo, s[22:23], v[39:40]
	s_or_not1_b32 s27, vcc_lo, exec_lo
.LBB861_239:
	s_or_b32 exec_lo, exec_lo, s29
.LBB861_240:
	v_mul_lo_u32 v35, v28, s22
	v_mul_lo_u32 v36, v27, s23
	v_mad_u64_u32 v[33:34], null, v27, s22, 0
	s_and_not1_b32 vcc_lo, exec_lo, s18
	s_delay_alu instid0(VALU_DEP_1) | instskip(NEXT) | instid1(VALU_DEP_1)
	v_add3_u32 v34, v34, v36, v35
	v_lshlrev_b64 v[33:34], 3, v[33:34]
	s_cbranch_vccnz .LBB861_249
; %bb.241:
	s_delay_alu instid0(VALU_DEP_1) | instskip(NEXT) | instid1(VALU_DEP_2)
	v_add_co_u32 v39, vcc_lo, s8, v33
	v_add_co_ci_u32_e32 v40, vcc_lo, s9, v34, vcc_lo
	v_add_co_u32 v35, vcc_lo, s8, v37
	v_add_co_ci_u32_e32 v36, vcc_lo, s9, v38, vcc_lo
	s_mov_b32 s26, -1
	s_clause 0x1
	global_load_b64 v[37:38], v[39:40], off
	global_load_b64 v[41:42], v[35:36], off
	s_mov_b32 s29, exec_lo
	s_waitcnt vmcnt(0)
	v_cmpx_eq_f64_e32 v[37:38], v[41:42]
	s_cbranch_execz .LBB861_248
; %bb.242:
	v_add_co_u32 v35, vcc_lo, v35, 8
	v_add_co_ci_u32_e32 v36, vcc_lo, 0, v36, vcc_lo
	v_add_co_u32 v37, vcc_lo, v39, 8
	v_add_co_ci_u32_e32 v38, vcc_lo, 0, v40, vcc_lo
	s_add_u32 s4, s22, -1
	s_addc_u32 s5, s23, -1
	s_mov_b64 s[6:7], 0
	s_mov_b32 s26, 0
                                        ; implicit-def: $sgpr30
	s_set_inst_prefetch_distance 0x1
	s_branch .LBB861_245
	.p2align	6
.LBB861_243:                            ;   in Loop: Header=BB861_245 Depth=1
	global_load_b64 v[39:40], v[37:38], off
	global_load_b64 v[41:42], v[35:36], off
	v_add_co_u32 v35, s2, v35, 8
	s_delay_alu instid0(VALU_DEP_1) | instskip(SKIP_1) | instid1(VALU_DEP_1)
	v_add_co_ci_u32_e64 v36, s2, 0, v36, s2
	v_add_co_u32 v37, s2, v37, 8
	v_add_co_ci_u32_e64 v38, s2, 0, v38, s2
	s_add_u32 s6, s6, 1
	s_addc_u32 s7, s7, 0
	s_and_not1_b32 s2, s30, exec_lo
	s_waitcnt vmcnt(0)
	v_cmp_neq_f64_e32 vcc_lo, v[39:40], v[41:42]
	s_and_b32 s30, vcc_lo, exec_lo
	s_delay_alu instid0(SALU_CYCLE_1)
	s_or_b32 s30, s2, s30
.LBB861_244:                            ;   in Loop: Header=BB861_245 Depth=1
	v_dual_mov_b32 v40, s7 :: v_dual_mov_b32 v39, s6
	s_and_b32 s2, exec_lo, s30
	s_delay_alu instid0(SALU_CYCLE_1) | instskip(NEXT) | instid1(SALU_CYCLE_1)
	s_or_b32 s26, s2, s26
	s_and_not1_b32 exec_lo, exec_lo, s26
	s_cbranch_execz .LBB861_247
.LBB861_245:                            ; =>This Inner Loop Header: Depth=1
	s_or_b32 s30, s30, exec_lo
	s_cmp_eq_u64 s[4:5], s[6:7]
	s_cbranch_scc0 .LBB861_243
; %bb.246:                              ;   in Loop: Header=BB861_245 Depth=1
	s_mov_b64 s[6:7], s[22:23]
                                        ; implicit-def: $vgpr35_vgpr36
                                        ; implicit-def: $vgpr37_vgpr38
	s_branch .LBB861_244
.LBB861_247:
	s_set_inst_prefetch_distance 0x2
	s_or_b32 exec_lo, exec_lo, s26
	v_cmp_gt_i64_e32 vcc_lo, s[22:23], v[39:40]
	s_or_not1_b32 s26, vcc_lo, exec_lo
.LBB861_248:
	s_or_b32 exec_lo, exec_lo, s29
.LBB861_249:
	v_mul_lo_u32 v37, v26, s22
	v_mul_lo_u32 v38, v25, s23
	v_mad_u64_u32 v[35:36], null, v25, s22, 0
	s_mov_b32 s29, 0
	s_and_not1_b32 vcc_lo, exec_lo, s18
	s_mov_b32 s30, 0
	s_delay_alu instid0(VALU_DEP_1) | instskip(NEXT) | instid1(VALU_DEP_1)
	v_add3_u32 v36, v36, v38, v37
	v_lshlrev_b64 v[35:36], 3, v[35:36]
	s_cbranch_vccnz .LBB861_258
; %bb.250:
	s_delay_alu instid0(VALU_DEP_1) | instskip(NEXT) | instid1(VALU_DEP_2)
	v_add_co_u32 v37, vcc_lo, s8, v35
	v_add_co_ci_u32_e32 v38, vcc_lo, s9, v36, vcc_lo
	v_add_co_u32 v33, vcc_lo, s8, v33
	v_add_co_ci_u32_e32 v34, vcc_lo, s9, v34, vcc_lo
	s_mov_b32 s30, -1
	s_clause 0x1
	global_load_b64 v[39:40], v[37:38], off
	global_load_b64 v[41:42], v[33:34], off
	s_mov_b32 s31, exec_lo
	s_waitcnt vmcnt(0)
	v_cmpx_eq_f64_e32 v[39:40], v[41:42]
	s_cbranch_execz .LBB861_257
; %bb.251:
	v_add_co_u32 v33, vcc_lo, v33, 8
	v_add_co_ci_u32_e32 v34, vcc_lo, 0, v34, vcc_lo
	v_add_co_u32 v37, vcc_lo, v37, 8
	v_add_co_ci_u32_e32 v38, vcc_lo, 0, v38, vcc_lo
	s_add_u32 s4, s22, -1
	s_addc_u32 s5, s23, -1
	s_mov_b64 s[6:7], 0
	s_mov_b32 s30, 0
                                        ; implicit-def: $sgpr33
	s_set_inst_prefetch_distance 0x1
	s_branch .LBB861_254
	.p2align	6
.LBB861_252:                            ;   in Loop: Header=BB861_254 Depth=1
	global_load_b64 v[39:40], v[37:38], off
	global_load_b64 v[41:42], v[33:34], off
	v_add_co_u32 v33, s2, v33, 8
	s_delay_alu instid0(VALU_DEP_1) | instskip(SKIP_1) | instid1(VALU_DEP_1)
	v_add_co_ci_u32_e64 v34, s2, 0, v34, s2
	v_add_co_u32 v37, s2, v37, 8
	v_add_co_ci_u32_e64 v38, s2, 0, v38, s2
	s_add_u32 s6, s6, 1
	s_addc_u32 s7, s7, 0
	s_and_not1_b32 s2, s33, exec_lo
	s_waitcnt vmcnt(0)
	v_cmp_neq_f64_e32 vcc_lo, v[39:40], v[41:42]
	s_and_b32 s33, vcc_lo, exec_lo
	s_delay_alu instid0(SALU_CYCLE_1)
	s_or_b32 s33, s2, s33
.LBB861_253:                            ;   in Loop: Header=BB861_254 Depth=1
	v_dual_mov_b32 v40, s7 :: v_dual_mov_b32 v39, s6
	s_and_b32 s2, exec_lo, s33
	s_delay_alu instid0(SALU_CYCLE_1) | instskip(NEXT) | instid1(SALU_CYCLE_1)
	s_or_b32 s30, s2, s30
	s_and_not1_b32 exec_lo, exec_lo, s30
	s_cbranch_execz .LBB861_256
.LBB861_254:                            ; =>This Inner Loop Header: Depth=1
	s_or_b32 s33, s33, exec_lo
	s_cmp_eq_u64 s[4:5], s[6:7]
	s_cbranch_scc0 .LBB861_252
; %bb.255:                              ;   in Loop: Header=BB861_254 Depth=1
	s_mov_b64 s[6:7], s[22:23]
                                        ; implicit-def: $vgpr33_vgpr34
                                        ; implicit-def: $vgpr37_vgpr38
	s_branch .LBB861_253
.LBB861_256:
	s_set_inst_prefetch_distance 0x2
	s_or_b32 exec_lo, exec_lo, s30
	v_cmp_gt_i64_e32 vcc_lo, s[22:23], v[39:40]
	s_or_not1_b32 s30, vcc_lo, exec_lo
.LBB861_257:
	s_or_b32 exec_lo, exec_lo, s31
.LBB861_258:
	v_mul_lo_u32 v37, v32, s22
	v_mul_lo_u32 v38, v31, s23
	v_mad_u64_u32 v[33:34], null, v31, s22, 0
	s_and_not1_b32 vcc_lo, exec_lo, s18
	s_delay_alu instid0(VALU_DEP_1) | instskip(NEXT) | instid1(VALU_DEP_1)
	v_add3_u32 v34, v34, v38, v37
	v_lshlrev_b64 v[33:34], 3, v[33:34]
	s_cbranch_vccnz .LBB861_267
; %bb.259:
	s_delay_alu instid0(VALU_DEP_1) | instskip(NEXT) | instid1(VALU_DEP_2)
	v_add_co_u32 v37, vcc_lo, s8, v33
	v_add_co_ci_u32_e32 v38, vcc_lo, s9, v34, vcc_lo
	v_add_co_u32 v35, vcc_lo, s8, v35
	v_add_co_ci_u32_e32 v36, vcc_lo, s9, v36, vcc_lo
	s_mov_b32 s29, -1
	s_clause 0x1
	global_load_b64 v[39:40], v[37:38], off
	global_load_b64 v[41:42], v[35:36], off
	s_mov_b32 s31, exec_lo
	s_waitcnt vmcnt(0)
	v_cmpx_eq_f64_e32 v[39:40], v[41:42]
	s_cbranch_execz .LBB861_266
; %bb.260:
	v_add_co_u32 v35, vcc_lo, v35, 8
	v_add_co_ci_u32_e32 v36, vcc_lo, 0, v36, vcc_lo
	v_add_co_u32 v37, vcc_lo, v37, 8
	v_add_co_ci_u32_e32 v38, vcc_lo, 0, v38, vcc_lo
	s_add_u32 s4, s22, -1
	s_addc_u32 s5, s23, -1
	s_mov_b64 s[6:7], 0
	s_mov_b32 s29, 0
                                        ; implicit-def: $sgpr33
	s_set_inst_prefetch_distance 0x1
	s_branch .LBB861_263
	.p2align	6
.LBB861_261:                            ;   in Loop: Header=BB861_263 Depth=1
	global_load_b64 v[39:40], v[37:38], off
	global_load_b64 v[41:42], v[35:36], off
	v_add_co_u32 v35, s2, v35, 8
	s_delay_alu instid0(VALU_DEP_1) | instskip(SKIP_1) | instid1(VALU_DEP_1)
	v_add_co_ci_u32_e64 v36, s2, 0, v36, s2
	v_add_co_u32 v37, s2, v37, 8
	v_add_co_ci_u32_e64 v38, s2, 0, v38, s2
	s_add_u32 s6, s6, 1
	s_addc_u32 s7, s7, 0
	s_and_not1_b32 s2, s33, exec_lo
	s_waitcnt vmcnt(0)
	v_cmp_neq_f64_e32 vcc_lo, v[39:40], v[41:42]
	s_and_b32 s33, vcc_lo, exec_lo
	s_delay_alu instid0(SALU_CYCLE_1)
	s_or_b32 s33, s2, s33
.LBB861_262:                            ;   in Loop: Header=BB861_263 Depth=1
	v_dual_mov_b32 v40, s7 :: v_dual_mov_b32 v39, s6
	s_and_b32 s2, exec_lo, s33
	s_delay_alu instid0(SALU_CYCLE_1) | instskip(NEXT) | instid1(SALU_CYCLE_1)
	s_or_b32 s29, s2, s29
	s_and_not1_b32 exec_lo, exec_lo, s29
	s_cbranch_execz .LBB861_265
.LBB861_263:                            ; =>This Inner Loop Header: Depth=1
	s_or_b32 s33, s33, exec_lo
	s_cmp_eq_u64 s[4:5], s[6:7]
	s_cbranch_scc0 .LBB861_261
; %bb.264:                              ;   in Loop: Header=BB861_263 Depth=1
	s_mov_b64 s[6:7], s[22:23]
                                        ; implicit-def: $vgpr35_vgpr36
                                        ; implicit-def: $vgpr37_vgpr38
	s_branch .LBB861_262
.LBB861_265:
	s_set_inst_prefetch_distance 0x2
	s_or_b32 exec_lo, exec_lo, s29
	v_cmp_gt_i64_e32 vcc_lo, s[22:23], v[39:40]
	s_or_not1_b32 s29, vcc_lo, exec_lo
.LBB861_266:
	s_or_b32 exec_lo, exec_lo, s31
.LBB861_267:
	v_mul_lo_u32 v37, v30, s22
	v_mul_lo_u32 v38, v29, s23
	v_mad_u64_u32 v[35:36], null, v29, s22, 0
	s_and_not1_b32 vcc_lo, exec_lo, s18
	s_mov_b32 s2, 0
	s_delay_alu instid0(VALU_DEP_1)
	v_add3_u32 v36, v36, v38, v37
	s_cbranch_vccnz .LBB861_276
; %bb.268:
	s_delay_alu instid0(VALU_DEP_1) | instskip(SKIP_2) | instid1(VALU_DEP_1)
	v_lshlrev_b64 v[37:38], 3, v[35:36]
	s_mov_b32 s2, -1
	s_mov_b32 s31, exec_lo
	v_add_co_u32 v37, vcc_lo, s8, v37
	s_delay_alu instid0(VALU_DEP_2)
	v_add_co_ci_u32_e32 v38, vcc_lo, s9, v38, vcc_lo
	v_add_co_u32 v33, vcc_lo, s8, v33
	v_add_co_ci_u32_e32 v34, vcc_lo, s9, v34, vcc_lo
	s_clause 0x1
	global_load_b64 v[39:40], v[37:38], off
	global_load_b64 v[41:42], v[33:34], off
	s_waitcnt vmcnt(0)
	v_cmpx_eq_f64_e32 v[39:40], v[41:42]
	s_cbranch_execz .LBB861_275
; %bb.269:
	v_add_co_u32 v33, vcc_lo, v33, 8
	v_add_co_ci_u32_e32 v34, vcc_lo, 0, v34, vcc_lo
	v_add_co_u32 v37, vcc_lo, v37, 8
	v_add_co_ci_u32_e32 v38, vcc_lo, 0, v38, vcc_lo
	s_add_u32 s4, s22, -1
	s_addc_u32 s5, s23, -1
	s_mov_b64 s[6:7], 0
	s_mov_b32 s33, 0
                                        ; implicit-def: $sgpr34
	s_set_inst_prefetch_distance 0x1
	s_branch .LBB861_272
	.p2align	6
.LBB861_270:                            ;   in Loop: Header=BB861_272 Depth=1
	global_load_b64 v[39:40], v[37:38], off
	global_load_b64 v[41:42], v[33:34], off
	v_add_co_u32 v33, s2, v33, 8
	s_delay_alu instid0(VALU_DEP_1) | instskip(SKIP_1) | instid1(VALU_DEP_1)
	v_add_co_ci_u32_e64 v34, s2, 0, v34, s2
	v_add_co_u32 v37, s2, v37, 8
	v_add_co_ci_u32_e64 v38, s2, 0, v38, s2
	s_add_u32 s6, s6, 1
	s_addc_u32 s7, s7, 0
	s_and_not1_b32 s2, s34, exec_lo
	s_waitcnt vmcnt(0)
	v_cmp_neq_f64_e32 vcc_lo, v[39:40], v[41:42]
	s_and_b32 s34, vcc_lo, exec_lo
	s_delay_alu instid0(SALU_CYCLE_1)
	s_or_b32 s34, s2, s34
.LBB861_271:                            ;   in Loop: Header=BB861_272 Depth=1
	v_dual_mov_b32 v40, s7 :: v_dual_mov_b32 v39, s6
	s_and_b32 s2, exec_lo, s34
	s_delay_alu instid0(SALU_CYCLE_1) | instskip(NEXT) | instid1(SALU_CYCLE_1)
	s_or_b32 s33, s2, s33
	s_and_not1_b32 exec_lo, exec_lo, s33
	s_cbranch_execz .LBB861_274
.LBB861_272:                            ; =>This Inner Loop Header: Depth=1
	s_or_b32 s34, s34, exec_lo
	s_cmp_eq_u64 s[4:5], s[6:7]
	s_cbranch_scc0 .LBB861_270
; %bb.273:                              ;   in Loop: Header=BB861_272 Depth=1
	s_mov_b64 s[6:7], s[22:23]
                                        ; implicit-def: $vgpr33_vgpr34
                                        ; implicit-def: $vgpr37_vgpr38
	s_branch .LBB861_271
.LBB861_274:
	s_set_inst_prefetch_distance 0x2
	s_or_b32 exec_lo, exec_lo, s33
	v_cmp_gt_i64_e32 vcc_lo, s[22:23], v[39:40]
	s_or_not1_b32 s2, vcc_lo, exec_lo
.LBB861_275:
	s_or_b32 exec_lo, exec_lo, s31
.LBB861_276:
	v_cndmask_b32_e64 v34, 0, 1, s30
	v_cndmask_b32_e64 v37, 0, 1, s27
	;; [unrolled: 1-line block ×7, first 2 shown]
	v_lshlrev_b16 v37, 8, v37
	v_lshlrev_b16 v38, 8, v38
	;; [unrolled: 1-line block ×4, first 2 shown]
	s_waitcnt lgkmcnt(0)
	v_or_b32_e32 v37, v40, v37
	v_or_b32_e32 v38, v41, v38
	;; [unrolled: 1-line block ×4, first 2 shown]
	s_barrier
	v_and_b32_e32 v34, 0xffff, v37
	v_lshlrev_b32_e32 v37, 16, v38
	v_and_b32_e32 v38, 0xffff, v39
	v_lshlrev_b32_e32 v33, 16, v33
	buffer_gl0_inv
                                        ; implicit-def: $sgpr2
	s_mov_b32 s4, exec_lo
	v_or_b32_e32 v34, v34, v37
	v_or_b32_e32 v33, v38, v33
	v_cmpx_ne_u32_e32 0, v0
	s_xor_b32 s19, exec_lo, s4
	s_cbranch_execz .LBB861_287
; %bb.277:
	s_and_not1_b32 vcc_lo, exec_lo, s18
	s_mov_b32 s2, 0
	s_cbranch_vccnz .LBB861_286
; %bb.278:
	v_add_nc_u32_e32 v37, -8, v55
	v_lshlrev_b64 v[35:36], 3, v[35:36]
	s_mov_b32 s2, -1
	s_mov_b32 s25, exec_lo
	ds_load_b64 v[37:38], v37
	s_waitcnt lgkmcnt(0)
	v_mul_lo_u32 v40, v38, s22
	v_mul_lo_u32 v41, v37, s23
	v_mad_u64_u32 v[38:39], null, v37, s22, 0
	s_delay_alu instid0(VALU_DEP_1) | instskip(NEXT) | instid1(VALU_DEP_1)
	v_add3_u32 v39, v39, v41, v40
	v_lshlrev_b64 v[37:38], 3, v[38:39]
	s_delay_alu instid0(VALU_DEP_1) | instskip(NEXT) | instid1(VALU_DEP_2)
	v_add_co_u32 v37, vcc_lo, s8, v37
	v_add_co_ci_u32_e32 v38, vcc_lo, s9, v38, vcc_lo
	v_add_co_u32 v35, vcc_lo, s8, v35
	v_add_co_ci_u32_e32 v36, vcc_lo, s9, v36, vcc_lo
	s_clause 0x1
	global_load_b64 v[39:40], v[37:38], off
	global_load_b64 v[41:42], v[35:36], off
	s_waitcnt vmcnt(0)
	v_cmpx_eq_f64_e32 v[39:40], v[41:42]
	s_cbranch_execz .LBB861_285
; %bb.279:
	v_add_co_u32 v35, vcc_lo, v35, 8
	v_add_co_ci_u32_e32 v36, vcc_lo, 0, v36, vcc_lo
	v_add_co_u32 v37, vcc_lo, v37, 8
	v_add_co_ci_u32_e32 v38, vcc_lo, 0, v38, vcc_lo
	s_add_u32 s4, s22, -1
	s_addc_u32 s5, s23, -1
	s_mov_b64 s[6:7], 0
	s_mov_b32 s26, 0
                                        ; implicit-def: $sgpr27
	s_set_inst_prefetch_distance 0x1
	s_branch .LBB861_282
	.p2align	6
.LBB861_280:                            ;   in Loop: Header=BB861_282 Depth=1
	global_load_b64 v[39:40], v[37:38], off
	global_load_b64 v[41:42], v[35:36], off
	v_add_co_u32 v35, s2, v35, 8
	s_delay_alu instid0(VALU_DEP_1) | instskip(SKIP_1) | instid1(VALU_DEP_1)
	v_add_co_ci_u32_e64 v36, s2, 0, v36, s2
	v_add_co_u32 v37, s2, v37, 8
	v_add_co_ci_u32_e64 v38, s2, 0, v38, s2
	s_add_u32 s6, s6, 1
	s_addc_u32 s7, s7, 0
	s_and_not1_b32 s2, s27, exec_lo
	s_waitcnt vmcnt(0)
	v_cmp_neq_f64_e32 vcc_lo, v[39:40], v[41:42]
	s_and_b32 s27, vcc_lo, exec_lo
	s_delay_alu instid0(SALU_CYCLE_1)
	s_or_b32 s27, s2, s27
.LBB861_281:                            ;   in Loop: Header=BB861_282 Depth=1
	v_dual_mov_b32 v40, s7 :: v_dual_mov_b32 v39, s6
	s_and_b32 s2, exec_lo, s27
	s_delay_alu instid0(SALU_CYCLE_1) | instskip(NEXT) | instid1(SALU_CYCLE_1)
	s_or_b32 s26, s2, s26
	s_and_not1_b32 exec_lo, exec_lo, s26
	s_cbranch_execz .LBB861_284
.LBB861_282:                            ; =>This Inner Loop Header: Depth=1
	s_or_b32 s27, s27, exec_lo
	s_cmp_eq_u64 s[4:5], s[6:7]
	s_cbranch_scc0 .LBB861_280
; %bb.283:                              ;   in Loop: Header=BB861_282 Depth=1
	s_mov_b64 s[6:7], s[22:23]
                                        ; implicit-def: $vgpr35_vgpr36
                                        ; implicit-def: $vgpr37_vgpr38
	s_branch .LBB861_281
.LBB861_284:
	s_set_inst_prefetch_distance 0x2
	s_or_b32 exec_lo, exec_lo, s26
	v_cmp_gt_i64_e32 vcc_lo, s[22:23], v[39:40]
	s_or_not1_b32 s2, vcc_lo, exec_lo
.LBB861_285:
	s_or_b32 exec_lo, exec_lo, s25
.LBB861_286:
	s_delay_alu instid0(SALU_CYCLE_1)
	s_and_b32 s2, s2, exec_lo
	s_or_b32 s3, s3, exec_lo
.LBB861_287:
	s_or_b32 exec_lo, exec_lo, s19
	s_branch .LBB861_379
.LBB861_288:
	v_or_b32_e32 v33, 7, v55
	s_mov_b32 s19, 0
	s_mov_b32 s25, 0
	s_mov_b32 s26, exec_lo
	s_delay_alu instid0(VALU_DEP_1)
	v_cmpx_gt_u32_e64 s28, v33
	s_cbranch_execz .LBB861_299
; %bb.289:
	s_and_not1_b32 vcc_lo, exec_lo, s18
	s_mov_b32 s2, 0
	s_cbranch_vccnz .LBB861_298
; %bb.290:
	v_mul_lo_u32 v37, v18, s22
	v_mul_lo_u32 v38, v17, s23
	v_mad_u64_u32 v[33:34], null, v17, s22, 0
	v_mul_lo_u32 v39, v20, s22
	v_mul_lo_u32 v40, v19, s23
	v_mad_u64_u32 v[35:36], null, v19, s22, 0
	s_mov_b32 s2, -1
	s_mov_b32 s25, exec_lo
	s_delay_alu instid0(VALU_DEP_4) | instskip(NEXT) | instid1(VALU_DEP_2)
	v_add3_u32 v34, v34, v38, v37
	v_add3_u32 v36, v36, v40, v39
	s_delay_alu instid0(VALU_DEP_2) | instskip(NEXT) | instid1(VALU_DEP_2)
	v_lshlrev_b64 v[33:34], 3, v[33:34]
	v_lshlrev_b64 v[37:38], 3, v[35:36]
	s_delay_alu instid0(VALU_DEP_2) | instskip(NEXT) | instid1(VALU_DEP_3)
	v_add_co_u32 v35, vcc_lo, s8, v33
	v_add_co_ci_u32_e32 v36, vcc_lo, s9, v34, vcc_lo
	s_delay_alu instid0(VALU_DEP_3) | instskip(NEXT) | instid1(VALU_DEP_4)
	v_add_co_u32 v33, vcc_lo, s8, v37
	v_add_co_ci_u32_e32 v34, vcc_lo, s9, v38, vcc_lo
	s_clause 0x1
	global_load_b64 v[37:38], v[35:36], off
	global_load_b64 v[39:40], v[33:34], off
	s_waitcnt vmcnt(0)
	v_cmpx_eq_f64_e32 v[37:38], v[39:40]
	s_cbranch_execz .LBB861_297
; %bb.291:
	v_add_co_u32 v33, vcc_lo, v33, 8
	v_add_co_ci_u32_e32 v34, vcc_lo, 0, v34, vcc_lo
	v_add_co_u32 v35, vcc_lo, v35, 8
	v_add_co_ci_u32_e32 v36, vcc_lo, 0, v36, vcc_lo
	s_add_u32 s4, s22, -1
	s_addc_u32 s5, s23, -1
	s_mov_b64 s[6:7], 0
	s_mov_b32 s27, 0
                                        ; implicit-def: $sgpr29
	s_set_inst_prefetch_distance 0x1
	s_branch .LBB861_294
	.p2align	6
.LBB861_292:                            ;   in Loop: Header=BB861_294 Depth=1
	global_load_b64 v[37:38], v[35:36], off
	global_load_b64 v[39:40], v[33:34], off
	v_add_co_u32 v33, s2, v33, 8
	s_delay_alu instid0(VALU_DEP_1) | instskip(SKIP_1) | instid1(VALU_DEP_1)
	v_add_co_ci_u32_e64 v34, s2, 0, v34, s2
	v_add_co_u32 v35, s2, v35, 8
	v_add_co_ci_u32_e64 v36, s2, 0, v36, s2
	s_add_u32 s6, s6, 1
	s_addc_u32 s7, s7, 0
	s_and_not1_b32 s2, s29, exec_lo
	s_waitcnt vmcnt(0)
	v_cmp_neq_f64_e32 vcc_lo, v[37:38], v[39:40]
	s_and_b32 s29, vcc_lo, exec_lo
	s_delay_alu instid0(SALU_CYCLE_1)
	s_or_b32 s29, s2, s29
.LBB861_293:                            ;   in Loop: Header=BB861_294 Depth=1
	v_dual_mov_b32 v38, s7 :: v_dual_mov_b32 v37, s6
	s_and_b32 s2, exec_lo, s29
	s_delay_alu instid0(SALU_CYCLE_1) | instskip(NEXT) | instid1(SALU_CYCLE_1)
	s_or_b32 s27, s2, s27
	s_and_not1_b32 exec_lo, exec_lo, s27
	s_cbranch_execz .LBB861_296
.LBB861_294:                            ; =>This Inner Loop Header: Depth=1
	s_or_b32 s29, s29, exec_lo
	s_cmp_eq_u64 s[4:5], s[6:7]
	s_cbranch_scc0 .LBB861_292
; %bb.295:                              ;   in Loop: Header=BB861_294 Depth=1
	s_mov_b64 s[6:7], s[22:23]
                                        ; implicit-def: $vgpr33_vgpr34
                                        ; implicit-def: $vgpr35_vgpr36
	s_branch .LBB861_293
.LBB861_296:
	s_set_inst_prefetch_distance 0x2
	s_or_b32 exec_lo, exec_lo, s27
	v_cmp_gt_i64_e32 vcc_lo, s[22:23], v[37:38]
	s_or_not1_b32 s2, vcc_lo, exec_lo
.LBB861_297:
	s_or_b32 exec_lo, exec_lo, s25
.LBB861_298:
	s_delay_alu instid0(SALU_CYCLE_1)
	s_and_b32 s25, s2, exec_lo
.LBB861_299:
	s_or_b32 exec_lo, exec_lo, s26
	v_or_b32_e32 v33, 6, v55
	s_mov_b32 s26, exec_lo
	s_delay_alu instid0(VALU_DEP_1)
	v_cmpx_gt_u32_e64 s28, v33
	s_cbranch_execz .LBB861_310
; %bb.300:
	s_and_not1_b32 vcc_lo, exec_lo, s18
	s_mov_b32 s2, 0
	s_cbranch_vccnz .LBB861_309
; %bb.301:
	v_mul_lo_u32 v37, v24, s22
	v_mul_lo_u32 v38, v23, s23
	v_mad_u64_u32 v[33:34], null, v23, s22, 0
	v_mul_lo_u32 v39, v18, s22
	v_mul_lo_u32 v40, v17, s23
	v_mad_u64_u32 v[35:36], null, v17, s22, 0
	s_mov_b32 s2, -1
	s_mov_b32 s19, exec_lo
	s_delay_alu instid0(VALU_DEP_4) | instskip(NEXT) | instid1(VALU_DEP_2)
	v_add3_u32 v34, v34, v38, v37
	v_add3_u32 v36, v36, v40, v39
	s_delay_alu instid0(VALU_DEP_2) | instskip(NEXT) | instid1(VALU_DEP_2)
	v_lshlrev_b64 v[33:34], 3, v[33:34]
	v_lshlrev_b64 v[37:38], 3, v[35:36]
	s_delay_alu instid0(VALU_DEP_2) | instskip(NEXT) | instid1(VALU_DEP_3)
	v_add_co_u32 v35, vcc_lo, s8, v33
	v_add_co_ci_u32_e32 v36, vcc_lo, s9, v34, vcc_lo
	s_delay_alu instid0(VALU_DEP_3) | instskip(NEXT) | instid1(VALU_DEP_4)
	v_add_co_u32 v33, vcc_lo, s8, v37
	v_add_co_ci_u32_e32 v34, vcc_lo, s9, v38, vcc_lo
	s_clause 0x1
	global_load_b64 v[37:38], v[35:36], off
	global_load_b64 v[39:40], v[33:34], off
	s_waitcnt vmcnt(0)
	v_cmpx_eq_f64_e32 v[37:38], v[39:40]
	s_cbranch_execz .LBB861_308
; %bb.302:
	v_add_co_u32 v33, vcc_lo, v33, 8
	v_add_co_ci_u32_e32 v34, vcc_lo, 0, v34, vcc_lo
	v_add_co_u32 v35, vcc_lo, v35, 8
	v_add_co_ci_u32_e32 v36, vcc_lo, 0, v36, vcc_lo
	s_add_u32 s4, s22, -1
	s_addc_u32 s5, s23, -1
	s_mov_b64 s[6:7], 0
	s_mov_b32 s27, 0
                                        ; implicit-def: $sgpr29
	s_set_inst_prefetch_distance 0x1
	s_branch .LBB861_305
	.p2align	6
.LBB861_303:                            ;   in Loop: Header=BB861_305 Depth=1
	global_load_b64 v[37:38], v[35:36], off
	global_load_b64 v[39:40], v[33:34], off
	v_add_co_u32 v33, s2, v33, 8
	s_delay_alu instid0(VALU_DEP_1) | instskip(SKIP_1) | instid1(VALU_DEP_1)
	v_add_co_ci_u32_e64 v34, s2, 0, v34, s2
	v_add_co_u32 v35, s2, v35, 8
	v_add_co_ci_u32_e64 v36, s2, 0, v36, s2
	s_add_u32 s6, s6, 1
	s_addc_u32 s7, s7, 0
	s_and_not1_b32 s2, s29, exec_lo
	s_waitcnt vmcnt(0)
	v_cmp_neq_f64_e32 vcc_lo, v[37:38], v[39:40]
	s_and_b32 s29, vcc_lo, exec_lo
	s_delay_alu instid0(SALU_CYCLE_1)
	s_or_b32 s29, s2, s29
.LBB861_304:                            ;   in Loop: Header=BB861_305 Depth=1
	v_dual_mov_b32 v38, s7 :: v_dual_mov_b32 v37, s6
	s_and_b32 s2, exec_lo, s29
	s_delay_alu instid0(SALU_CYCLE_1) | instskip(NEXT) | instid1(SALU_CYCLE_1)
	s_or_b32 s27, s2, s27
	s_and_not1_b32 exec_lo, exec_lo, s27
	s_cbranch_execz .LBB861_307
.LBB861_305:                            ; =>This Inner Loop Header: Depth=1
	s_or_b32 s29, s29, exec_lo
	s_cmp_eq_u64 s[4:5], s[6:7]
	s_cbranch_scc0 .LBB861_303
; %bb.306:                              ;   in Loop: Header=BB861_305 Depth=1
	s_mov_b64 s[6:7], s[22:23]
                                        ; implicit-def: $vgpr33_vgpr34
                                        ; implicit-def: $vgpr35_vgpr36
	s_branch .LBB861_304
.LBB861_307:
	s_set_inst_prefetch_distance 0x2
	s_or_b32 exec_lo, exec_lo, s27
	v_cmp_gt_i64_e32 vcc_lo, s[22:23], v[37:38]
	s_or_not1_b32 s2, vcc_lo, exec_lo
.LBB861_308:
	s_or_b32 exec_lo, exec_lo, s19
.LBB861_309:
	s_delay_alu instid0(SALU_CYCLE_1)
	s_and_b32 s19, s2, exec_lo
.LBB861_310:
	s_or_b32 exec_lo, exec_lo, s26
	v_or_b32_e32 v33, 5, v55
	s_mov_b32 s26, 0
	s_mov_b32 s27, 0
	s_mov_b32 s29, exec_lo
	s_delay_alu instid0(VALU_DEP_1)
	v_cmpx_gt_u32_e64 s28, v33
	s_cbranch_execz .LBB861_321
; %bb.311:
	s_and_not1_b32 vcc_lo, exec_lo, s18
	s_mov_b32 s2, 0
	s_cbranch_vccnz .LBB861_320
; %bb.312:
	v_mul_lo_u32 v37, v22, s22
	v_mul_lo_u32 v38, v21, s23
	v_mad_u64_u32 v[33:34], null, v21, s22, 0
	v_mul_lo_u32 v39, v24, s22
	v_mul_lo_u32 v40, v23, s23
	v_mad_u64_u32 v[35:36], null, v23, s22, 0
	s_mov_b32 s2, -1
	s_mov_b32 s27, exec_lo
	s_delay_alu instid0(VALU_DEP_4) | instskip(NEXT) | instid1(VALU_DEP_2)
	v_add3_u32 v34, v34, v38, v37
	v_add3_u32 v36, v36, v40, v39
	s_delay_alu instid0(VALU_DEP_2) | instskip(NEXT) | instid1(VALU_DEP_2)
	v_lshlrev_b64 v[33:34], 3, v[33:34]
	v_lshlrev_b64 v[37:38], 3, v[35:36]
	s_delay_alu instid0(VALU_DEP_2) | instskip(NEXT) | instid1(VALU_DEP_3)
	v_add_co_u32 v35, vcc_lo, s8, v33
	v_add_co_ci_u32_e32 v36, vcc_lo, s9, v34, vcc_lo
	s_delay_alu instid0(VALU_DEP_3) | instskip(NEXT) | instid1(VALU_DEP_4)
	v_add_co_u32 v33, vcc_lo, s8, v37
	v_add_co_ci_u32_e32 v34, vcc_lo, s9, v38, vcc_lo
	s_clause 0x1
	global_load_b64 v[37:38], v[35:36], off
	global_load_b64 v[39:40], v[33:34], off
	s_waitcnt vmcnt(0)
	v_cmpx_eq_f64_e32 v[37:38], v[39:40]
	s_cbranch_execz .LBB861_319
; %bb.313:
	v_add_co_u32 v33, vcc_lo, v33, 8
	v_add_co_ci_u32_e32 v34, vcc_lo, 0, v34, vcc_lo
	v_add_co_u32 v35, vcc_lo, v35, 8
	v_add_co_ci_u32_e32 v36, vcc_lo, 0, v36, vcc_lo
	s_add_u32 s4, s22, -1
	s_addc_u32 s5, s23, -1
	s_mov_b64 s[6:7], 0
	s_mov_b32 s30, 0
                                        ; implicit-def: $sgpr31
	s_set_inst_prefetch_distance 0x1
	s_branch .LBB861_316
	.p2align	6
.LBB861_314:                            ;   in Loop: Header=BB861_316 Depth=1
	global_load_b64 v[37:38], v[35:36], off
	global_load_b64 v[39:40], v[33:34], off
	v_add_co_u32 v33, s2, v33, 8
	s_delay_alu instid0(VALU_DEP_1) | instskip(SKIP_1) | instid1(VALU_DEP_1)
	v_add_co_ci_u32_e64 v34, s2, 0, v34, s2
	v_add_co_u32 v35, s2, v35, 8
	v_add_co_ci_u32_e64 v36, s2, 0, v36, s2
	s_add_u32 s6, s6, 1
	s_addc_u32 s7, s7, 0
	s_and_not1_b32 s2, s31, exec_lo
	s_waitcnt vmcnt(0)
	v_cmp_neq_f64_e32 vcc_lo, v[37:38], v[39:40]
	s_and_b32 s31, vcc_lo, exec_lo
	s_delay_alu instid0(SALU_CYCLE_1)
	s_or_b32 s31, s2, s31
.LBB861_315:                            ;   in Loop: Header=BB861_316 Depth=1
	v_dual_mov_b32 v38, s7 :: v_dual_mov_b32 v37, s6
	s_and_b32 s2, exec_lo, s31
	s_delay_alu instid0(SALU_CYCLE_1) | instskip(NEXT) | instid1(SALU_CYCLE_1)
	s_or_b32 s30, s2, s30
	s_and_not1_b32 exec_lo, exec_lo, s30
	s_cbranch_execz .LBB861_318
.LBB861_316:                            ; =>This Inner Loop Header: Depth=1
	s_or_b32 s31, s31, exec_lo
	s_cmp_eq_u64 s[4:5], s[6:7]
	s_cbranch_scc0 .LBB861_314
; %bb.317:                              ;   in Loop: Header=BB861_316 Depth=1
	s_mov_b64 s[6:7], s[22:23]
                                        ; implicit-def: $vgpr33_vgpr34
                                        ; implicit-def: $vgpr35_vgpr36
	s_branch .LBB861_315
.LBB861_318:
	s_set_inst_prefetch_distance 0x2
	s_or_b32 exec_lo, exec_lo, s30
	v_cmp_gt_i64_e32 vcc_lo, s[22:23], v[37:38]
	s_or_not1_b32 s2, vcc_lo, exec_lo
.LBB861_319:
	s_or_b32 exec_lo, exec_lo, s27
.LBB861_320:
	s_delay_alu instid0(SALU_CYCLE_1)
	s_and_b32 s27, s2, exec_lo
.LBB861_321:
	s_or_b32 exec_lo, exec_lo, s29
	v_or_b32_e32 v33, 4, v55
	s_mov_b32 s29, exec_lo
	s_delay_alu instid0(VALU_DEP_1)
	v_cmpx_gt_u32_e64 s28, v33
	s_cbranch_execz .LBB861_332
; %bb.322:
	s_and_not1_b32 vcc_lo, exec_lo, s18
	s_mov_b32 s2, 0
	s_cbranch_vccnz .LBB861_331
; %bb.323:
	v_mul_lo_u32 v37, v28, s22
	v_mul_lo_u32 v38, v27, s23
	v_mad_u64_u32 v[33:34], null, v27, s22, 0
	v_mul_lo_u32 v39, v22, s22
	v_mul_lo_u32 v40, v21, s23
	v_mad_u64_u32 v[35:36], null, v21, s22, 0
	s_mov_b32 s2, -1
	s_mov_b32 s26, exec_lo
	s_delay_alu instid0(VALU_DEP_4) | instskip(NEXT) | instid1(VALU_DEP_2)
	v_add3_u32 v34, v34, v38, v37
	v_add3_u32 v36, v36, v40, v39
	s_delay_alu instid0(VALU_DEP_2) | instskip(NEXT) | instid1(VALU_DEP_2)
	v_lshlrev_b64 v[33:34], 3, v[33:34]
	v_lshlrev_b64 v[37:38], 3, v[35:36]
	s_delay_alu instid0(VALU_DEP_2) | instskip(NEXT) | instid1(VALU_DEP_3)
	v_add_co_u32 v35, vcc_lo, s8, v33
	v_add_co_ci_u32_e32 v36, vcc_lo, s9, v34, vcc_lo
	s_delay_alu instid0(VALU_DEP_3) | instskip(NEXT) | instid1(VALU_DEP_4)
	v_add_co_u32 v33, vcc_lo, s8, v37
	v_add_co_ci_u32_e32 v34, vcc_lo, s9, v38, vcc_lo
	s_clause 0x1
	global_load_b64 v[37:38], v[35:36], off
	global_load_b64 v[39:40], v[33:34], off
	s_waitcnt vmcnt(0)
	v_cmpx_eq_f64_e32 v[37:38], v[39:40]
	s_cbranch_execz .LBB861_330
; %bb.324:
	v_add_co_u32 v33, vcc_lo, v33, 8
	v_add_co_ci_u32_e32 v34, vcc_lo, 0, v34, vcc_lo
	v_add_co_u32 v35, vcc_lo, v35, 8
	v_add_co_ci_u32_e32 v36, vcc_lo, 0, v36, vcc_lo
	s_add_u32 s4, s22, -1
	s_addc_u32 s5, s23, -1
	s_mov_b64 s[6:7], 0
	s_mov_b32 s30, 0
                                        ; implicit-def: $sgpr31
	s_set_inst_prefetch_distance 0x1
	s_branch .LBB861_327
	.p2align	6
.LBB861_325:                            ;   in Loop: Header=BB861_327 Depth=1
	global_load_b64 v[37:38], v[35:36], off
	global_load_b64 v[39:40], v[33:34], off
	v_add_co_u32 v33, s2, v33, 8
	s_delay_alu instid0(VALU_DEP_1) | instskip(SKIP_1) | instid1(VALU_DEP_1)
	v_add_co_ci_u32_e64 v34, s2, 0, v34, s2
	v_add_co_u32 v35, s2, v35, 8
	v_add_co_ci_u32_e64 v36, s2, 0, v36, s2
	s_add_u32 s6, s6, 1
	s_addc_u32 s7, s7, 0
	s_and_not1_b32 s2, s31, exec_lo
	s_waitcnt vmcnt(0)
	v_cmp_neq_f64_e32 vcc_lo, v[37:38], v[39:40]
	s_and_b32 s31, vcc_lo, exec_lo
	s_delay_alu instid0(SALU_CYCLE_1)
	s_or_b32 s31, s2, s31
.LBB861_326:                            ;   in Loop: Header=BB861_327 Depth=1
	v_dual_mov_b32 v38, s7 :: v_dual_mov_b32 v37, s6
	s_and_b32 s2, exec_lo, s31
	s_delay_alu instid0(SALU_CYCLE_1) | instskip(NEXT) | instid1(SALU_CYCLE_1)
	s_or_b32 s30, s2, s30
	s_and_not1_b32 exec_lo, exec_lo, s30
	s_cbranch_execz .LBB861_329
.LBB861_327:                            ; =>This Inner Loop Header: Depth=1
	s_or_b32 s31, s31, exec_lo
	s_cmp_eq_u64 s[4:5], s[6:7]
	s_cbranch_scc0 .LBB861_325
; %bb.328:                              ;   in Loop: Header=BB861_327 Depth=1
	s_mov_b64 s[6:7], s[22:23]
                                        ; implicit-def: $vgpr33_vgpr34
                                        ; implicit-def: $vgpr35_vgpr36
	s_branch .LBB861_326
.LBB861_329:
	s_set_inst_prefetch_distance 0x2
	s_or_b32 exec_lo, exec_lo, s30
	v_cmp_gt_i64_e32 vcc_lo, s[22:23], v[37:38]
	s_or_not1_b32 s2, vcc_lo, exec_lo
.LBB861_330:
	s_or_b32 exec_lo, exec_lo, s26
.LBB861_331:
	s_delay_alu instid0(SALU_CYCLE_1)
	s_and_b32 s26, s2, exec_lo
.LBB861_332:
	s_or_b32 exec_lo, exec_lo, s29
	v_or_b32_e32 v33, 3, v55
	s_mov_b32 s30, 0
	s_mov_b32 s29, 0
	s_mov_b32 s31, exec_lo
	s_delay_alu instid0(VALU_DEP_1)
	v_cmpx_gt_u32_e64 s28, v33
	s_cbranch_execz .LBB861_343
; %bb.333:
	s_and_not1_b32 vcc_lo, exec_lo, s18
	s_mov_b32 s2, 0
	s_cbranch_vccnz .LBB861_342
; %bb.334:
	v_mul_lo_u32 v37, v26, s22
	v_mul_lo_u32 v38, v25, s23
	v_mad_u64_u32 v[33:34], null, v25, s22, 0
	v_mul_lo_u32 v39, v28, s22
	v_mul_lo_u32 v40, v27, s23
	v_mad_u64_u32 v[35:36], null, v27, s22, 0
	s_mov_b32 s2, -1
	s_mov_b32 s29, exec_lo
	s_delay_alu instid0(VALU_DEP_4) | instskip(NEXT) | instid1(VALU_DEP_2)
	v_add3_u32 v34, v34, v38, v37
	v_add3_u32 v36, v36, v40, v39
	s_delay_alu instid0(VALU_DEP_2) | instskip(NEXT) | instid1(VALU_DEP_2)
	v_lshlrev_b64 v[33:34], 3, v[33:34]
	v_lshlrev_b64 v[37:38], 3, v[35:36]
	s_delay_alu instid0(VALU_DEP_2) | instskip(NEXT) | instid1(VALU_DEP_3)
	v_add_co_u32 v35, vcc_lo, s8, v33
	v_add_co_ci_u32_e32 v36, vcc_lo, s9, v34, vcc_lo
	s_delay_alu instid0(VALU_DEP_3) | instskip(NEXT) | instid1(VALU_DEP_4)
	v_add_co_u32 v33, vcc_lo, s8, v37
	v_add_co_ci_u32_e32 v34, vcc_lo, s9, v38, vcc_lo
	s_clause 0x1
	global_load_b64 v[37:38], v[35:36], off
	global_load_b64 v[39:40], v[33:34], off
	s_waitcnt vmcnt(0)
	v_cmpx_eq_f64_e32 v[37:38], v[39:40]
	s_cbranch_execz .LBB861_341
; %bb.335:
	v_add_co_u32 v33, vcc_lo, v33, 8
	v_add_co_ci_u32_e32 v34, vcc_lo, 0, v34, vcc_lo
	v_add_co_u32 v35, vcc_lo, v35, 8
	v_add_co_ci_u32_e32 v36, vcc_lo, 0, v36, vcc_lo
	s_add_u32 s4, s22, -1
	s_addc_u32 s5, s23, -1
	s_mov_b64 s[6:7], 0
	s_mov_b32 s33, 0
                                        ; implicit-def: $sgpr34
	s_set_inst_prefetch_distance 0x1
	s_branch .LBB861_338
	.p2align	6
.LBB861_336:                            ;   in Loop: Header=BB861_338 Depth=1
	global_load_b64 v[37:38], v[35:36], off
	global_load_b64 v[39:40], v[33:34], off
	v_add_co_u32 v33, s2, v33, 8
	s_delay_alu instid0(VALU_DEP_1) | instskip(SKIP_1) | instid1(VALU_DEP_1)
	v_add_co_ci_u32_e64 v34, s2, 0, v34, s2
	v_add_co_u32 v35, s2, v35, 8
	v_add_co_ci_u32_e64 v36, s2, 0, v36, s2
	s_add_u32 s6, s6, 1
	s_addc_u32 s7, s7, 0
	s_and_not1_b32 s2, s34, exec_lo
	s_waitcnt vmcnt(0)
	v_cmp_neq_f64_e32 vcc_lo, v[37:38], v[39:40]
	s_and_b32 s34, vcc_lo, exec_lo
	s_delay_alu instid0(SALU_CYCLE_1)
	s_or_b32 s34, s2, s34
.LBB861_337:                            ;   in Loop: Header=BB861_338 Depth=1
	v_dual_mov_b32 v38, s7 :: v_dual_mov_b32 v37, s6
	s_and_b32 s2, exec_lo, s34
	s_delay_alu instid0(SALU_CYCLE_1) | instskip(NEXT) | instid1(SALU_CYCLE_1)
	s_or_b32 s33, s2, s33
	s_and_not1_b32 exec_lo, exec_lo, s33
	s_cbranch_execz .LBB861_340
.LBB861_338:                            ; =>This Inner Loop Header: Depth=1
	s_or_b32 s34, s34, exec_lo
	s_cmp_eq_u64 s[4:5], s[6:7]
	s_cbranch_scc0 .LBB861_336
; %bb.339:                              ;   in Loop: Header=BB861_338 Depth=1
	s_mov_b64 s[6:7], s[22:23]
                                        ; implicit-def: $vgpr33_vgpr34
                                        ; implicit-def: $vgpr35_vgpr36
	s_branch .LBB861_337
.LBB861_340:
	s_set_inst_prefetch_distance 0x2
	s_or_b32 exec_lo, exec_lo, s33
	v_cmp_gt_i64_e32 vcc_lo, s[22:23], v[37:38]
	s_or_not1_b32 s2, vcc_lo, exec_lo
.LBB861_341:
	s_or_b32 exec_lo, exec_lo, s29
.LBB861_342:
	s_delay_alu instid0(SALU_CYCLE_1)
	s_and_b32 s29, s2, exec_lo
.LBB861_343:
	s_or_b32 exec_lo, exec_lo, s31
	v_or_b32_e32 v33, 2, v55
	s_mov_b32 s31, exec_lo
	s_delay_alu instid0(VALU_DEP_1)
	v_cmpx_gt_u32_e64 s28, v33
	s_cbranch_execz .LBB861_354
; %bb.344:
	s_and_not1_b32 vcc_lo, exec_lo, s18
	s_mov_b32 s2, 0
	s_cbranch_vccnz .LBB861_353
; %bb.345:
	v_mul_lo_u32 v37, v32, s22
	v_mul_lo_u32 v38, v31, s23
	v_mad_u64_u32 v[33:34], null, v31, s22, 0
	v_mul_lo_u32 v39, v26, s22
	v_mul_lo_u32 v40, v25, s23
	v_mad_u64_u32 v[35:36], null, v25, s22, 0
	s_mov_b32 s2, -1
	s_mov_b32 s30, exec_lo
	s_delay_alu instid0(VALU_DEP_4) | instskip(NEXT) | instid1(VALU_DEP_2)
	v_add3_u32 v34, v34, v38, v37
	v_add3_u32 v36, v36, v40, v39
	s_delay_alu instid0(VALU_DEP_2) | instskip(NEXT) | instid1(VALU_DEP_2)
	v_lshlrev_b64 v[33:34], 3, v[33:34]
	v_lshlrev_b64 v[37:38], 3, v[35:36]
	s_delay_alu instid0(VALU_DEP_2) | instskip(NEXT) | instid1(VALU_DEP_3)
	v_add_co_u32 v35, vcc_lo, s8, v33
	v_add_co_ci_u32_e32 v36, vcc_lo, s9, v34, vcc_lo
	s_delay_alu instid0(VALU_DEP_3) | instskip(NEXT) | instid1(VALU_DEP_4)
	v_add_co_u32 v33, vcc_lo, s8, v37
	v_add_co_ci_u32_e32 v34, vcc_lo, s9, v38, vcc_lo
	s_clause 0x1
	global_load_b64 v[37:38], v[35:36], off
	global_load_b64 v[39:40], v[33:34], off
	s_waitcnt vmcnt(0)
	v_cmpx_eq_f64_e32 v[37:38], v[39:40]
	s_cbranch_execz .LBB861_352
; %bb.346:
	v_add_co_u32 v33, vcc_lo, v33, 8
	v_add_co_ci_u32_e32 v34, vcc_lo, 0, v34, vcc_lo
	v_add_co_u32 v35, vcc_lo, v35, 8
	v_add_co_ci_u32_e32 v36, vcc_lo, 0, v36, vcc_lo
	s_add_u32 s4, s22, -1
	s_addc_u32 s5, s23, -1
	s_mov_b64 s[6:7], 0
	s_mov_b32 s33, 0
                                        ; implicit-def: $sgpr34
	s_set_inst_prefetch_distance 0x1
	s_branch .LBB861_349
	.p2align	6
.LBB861_347:                            ;   in Loop: Header=BB861_349 Depth=1
	global_load_b64 v[37:38], v[35:36], off
	global_load_b64 v[39:40], v[33:34], off
	v_add_co_u32 v33, s2, v33, 8
	s_delay_alu instid0(VALU_DEP_1) | instskip(SKIP_1) | instid1(VALU_DEP_1)
	v_add_co_ci_u32_e64 v34, s2, 0, v34, s2
	v_add_co_u32 v35, s2, v35, 8
	v_add_co_ci_u32_e64 v36, s2, 0, v36, s2
	s_add_u32 s6, s6, 1
	s_addc_u32 s7, s7, 0
	s_and_not1_b32 s2, s34, exec_lo
	s_waitcnt vmcnt(0)
	v_cmp_neq_f64_e32 vcc_lo, v[37:38], v[39:40]
	s_and_b32 s34, vcc_lo, exec_lo
	s_delay_alu instid0(SALU_CYCLE_1)
	s_or_b32 s34, s2, s34
.LBB861_348:                            ;   in Loop: Header=BB861_349 Depth=1
	v_dual_mov_b32 v38, s7 :: v_dual_mov_b32 v37, s6
	s_and_b32 s2, exec_lo, s34
	s_delay_alu instid0(SALU_CYCLE_1) | instskip(NEXT) | instid1(SALU_CYCLE_1)
	s_or_b32 s33, s2, s33
	s_and_not1_b32 exec_lo, exec_lo, s33
	s_cbranch_execz .LBB861_351
.LBB861_349:                            ; =>This Inner Loop Header: Depth=1
	s_or_b32 s34, s34, exec_lo
	s_cmp_eq_u64 s[4:5], s[6:7]
	s_cbranch_scc0 .LBB861_347
; %bb.350:                              ;   in Loop: Header=BB861_349 Depth=1
	s_mov_b64 s[6:7], s[22:23]
                                        ; implicit-def: $vgpr33_vgpr34
                                        ; implicit-def: $vgpr35_vgpr36
	s_branch .LBB861_348
.LBB861_351:
	s_set_inst_prefetch_distance 0x2
	s_or_b32 exec_lo, exec_lo, s33
	v_cmp_gt_i64_e32 vcc_lo, s[22:23], v[37:38]
	s_or_not1_b32 s2, vcc_lo, exec_lo
.LBB861_352:
	s_or_b32 exec_lo, exec_lo, s30
.LBB861_353:
	s_delay_alu instid0(SALU_CYCLE_1)
	s_and_b32 s30, s2, exec_lo
.LBB861_354:
	s_or_b32 exec_lo, exec_lo, s31
	v_or_b32_e32 v33, 1, v55
	s_mov_b32 s2, 0
	s_mov_b32 s31, exec_lo
	s_delay_alu instid0(VALU_DEP_1)
	v_cmpx_gt_u32_e64 s28, v33
	s_cbranch_execz .LBB861_365
; %bb.355:
	s_and_not1_b32 vcc_lo, exec_lo, s18
	s_cbranch_vccnz .LBB861_364
; %bb.356:
	v_mul_lo_u32 v37, v30, s22
	v_mul_lo_u32 v38, v29, s23
	v_mad_u64_u32 v[33:34], null, v29, s22, 0
	v_mul_lo_u32 v39, v32, s22
	v_mul_lo_u32 v40, v31, s23
	v_mad_u64_u32 v[35:36], null, v31, s22, 0
	s_mov_b32 s2, -1
	s_mov_b32 s33, exec_lo
	s_delay_alu instid0(VALU_DEP_4) | instskip(NEXT) | instid1(VALU_DEP_2)
	v_add3_u32 v34, v34, v38, v37
	v_add3_u32 v36, v36, v40, v39
	s_delay_alu instid0(VALU_DEP_2) | instskip(NEXT) | instid1(VALU_DEP_2)
	v_lshlrev_b64 v[33:34], 3, v[33:34]
	v_lshlrev_b64 v[37:38], 3, v[35:36]
	s_delay_alu instid0(VALU_DEP_2) | instskip(NEXT) | instid1(VALU_DEP_3)
	v_add_co_u32 v35, vcc_lo, s8, v33
	v_add_co_ci_u32_e32 v36, vcc_lo, s9, v34, vcc_lo
	s_delay_alu instid0(VALU_DEP_3) | instskip(NEXT) | instid1(VALU_DEP_4)
	v_add_co_u32 v33, vcc_lo, s8, v37
	v_add_co_ci_u32_e32 v34, vcc_lo, s9, v38, vcc_lo
	s_clause 0x1
	global_load_b64 v[37:38], v[35:36], off
	global_load_b64 v[39:40], v[33:34], off
	s_waitcnt vmcnt(0)
	v_cmpx_eq_f64_e32 v[37:38], v[39:40]
	s_cbranch_execz .LBB861_363
; %bb.357:
	v_add_co_u32 v33, vcc_lo, v33, 8
	v_add_co_ci_u32_e32 v34, vcc_lo, 0, v34, vcc_lo
	v_add_co_u32 v35, vcc_lo, v35, 8
	v_add_co_ci_u32_e32 v36, vcc_lo, 0, v36, vcc_lo
	s_add_u32 s4, s22, -1
	s_addc_u32 s5, s23, -1
	s_mov_b64 s[6:7], 0
	s_mov_b32 s34, 0
                                        ; implicit-def: $sgpr35
	s_set_inst_prefetch_distance 0x1
	s_branch .LBB861_360
	.p2align	6
.LBB861_358:                            ;   in Loop: Header=BB861_360 Depth=1
	global_load_b64 v[37:38], v[35:36], off
	global_load_b64 v[39:40], v[33:34], off
	v_add_co_u32 v33, s2, v33, 8
	s_delay_alu instid0(VALU_DEP_1) | instskip(SKIP_1) | instid1(VALU_DEP_1)
	v_add_co_ci_u32_e64 v34, s2, 0, v34, s2
	v_add_co_u32 v35, s2, v35, 8
	v_add_co_ci_u32_e64 v36, s2, 0, v36, s2
	s_add_u32 s6, s6, 1
	s_addc_u32 s7, s7, 0
	s_and_not1_b32 s2, s35, exec_lo
	s_waitcnt vmcnt(0)
	v_cmp_neq_f64_e32 vcc_lo, v[37:38], v[39:40]
	s_and_b32 s35, vcc_lo, exec_lo
	s_delay_alu instid0(SALU_CYCLE_1)
	s_or_b32 s35, s2, s35
.LBB861_359:                            ;   in Loop: Header=BB861_360 Depth=1
	v_dual_mov_b32 v38, s7 :: v_dual_mov_b32 v37, s6
	s_and_b32 s2, exec_lo, s35
	s_delay_alu instid0(SALU_CYCLE_1) | instskip(NEXT) | instid1(SALU_CYCLE_1)
	s_or_b32 s34, s2, s34
	s_and_not1_b32 exec_lo, exec_lo, s34
	s_cbranch_execz .LBB861_362
.LBB861_360:                            ; =>This Inner Loop Header: Depth=1
	s_or_b32 s35, s35, exec_lo
	s_cmp_eq_u64 s[4:5], s[6:7]
	s_cbranch_scc0 .LBB861_358
; %bb.361:                              ;   in Loop: Header=BB861_360 Depth=1
	s_mov_b64 s[6:7], s[22:23]
                                        ; implicit-def: $vgpr33_vgpr34
                                        ; implicit-def: $vgpr35_vgpr36
	s_branch .LBB861_359
.LBB861_362:
	s_set_inst_prefetch_distance 0x2
	s_or_b32 exec_lo, exec_lo, s34
	v_cmp_gt_i64_e32 vcc_lo, s[22:23], v[37:38]
	s_or_not1_b32 s2, vcc_lo, exec_lo
.LBB861_363:
	s_or_b32 exec_lo, exec_lo, s33
.LBB861_364:
	s_delay_alu instid0(SALU_CYCLE_1)
	s_and_b32 s2, s2, exec_lo
.LBB861_365:
	s_or_b32 exec_lo, exec_lo, s31
	v_cndmask_b32_e64 v34, 0, 1, s29
	v_cndmask_b32_e64 v35, 0, 1, s27
	;; [unrolled: 1-line block ×7, first 2 shown]
	v_lshlrev_b16 v35, 8, v35
	v_lshlrev_b16 v36, 8, v36
	;; [unrolled: 1-line block ×4, first 2 shown]
	s_mov_b32 s19, exec_lo
	v_or_b32_e32 v35, v38, v35
	v_or_b32_e32 v36, v39, v36
	;; [unrolled: 1-line block ×4, first 2 shown]
	s_waitcnt lgkmcnt(0)
	v_and_b32_e32 v34, 0xffff, v35
	v_lshlrev_b32_e32 v35, 16, v36
	v_and_b32_e32 v36, 0xffff, v37
	v_lshlrev_b32_e32 v33, 16, v33
	s_barrier
	buffer_gl0_inv
	v_or_b32_e32 v34, v34, v35
                                        ; implicit-def: $sgpr2
	v_or_b32_e32 v33, v36, v33
	v_cmpx_ne_u32_e32 0, v0
	s_cbranch_execz .LBB861_378
; %bb.366:
	s_mov_b32 s2, 0
	s_mov_b32 s25, exec_lo
	v_cmpx_gt_u32_e64 s28, v55
	s_cbranch_execz .LBB861_377
; %bb.367:
	s_and_not1_b32 vcc_lo, exec_lo, s18
	s_cbranch_vccnz .LBB861_376
; %bb.368:
	v_add_nc_u32_e32 v35, -8, v55
	v_mul_lo_u32 v42, v29, s23
	v_mad_u64_u32 v[38:39], null, v29, s22, 0
	s_mov_b32 s2, -1
	ds_load_b64 v[35:36], v35
	s_waitcnt lgkmcnt(0)
	v_mul_lo_u32 v40, v36, s22
	v_mul_lo_u32 v41, v35, s23
	v_mad_u64_u32 v[36:37], null, v35, s22, 0
	v_mul_lo_u32 v35, v30, s22
	s_delay_alu instid0(VALU_DEP_2) | instskip(NEXT) | instid1(VALU_DEP_2)
	v_add3_u32 v37, v37, v41, v40
	v_add3_u32 v39, v39, v42, v35
	s_delay_alu instid0(VALU_DEP_2) | instskip(NEXT) | instid1(VALU_DEP_2)
	v_lshlrev_b64 v[35:36], 3, v[36:37]
	v_lshlrev_b64 v[39:40], 3, v[38:39]
	s_delay_alu instid0(VALU_DEP_2) | instskip(NEXT) | instid1(VALU_DEP_3)
	v_add_co_u32 v37, vcc_lo, s8, v35
	v_add_co_ci_u32_e32 v38, vcc_lo, s9, v36, vcc_lo
	s_delay_alu instid0(VALU_DEP_3) | instskip(NEXT) | instid1(VALU_DEP_4)
	v_add_co_u32 v35, vcc_lo, s8, v39
	v_add_co_ci_u32_e32 v36, vcc_lo, s9, v40, vcc_lo
	s_clause 0x1
	global_load_b64 v[39:40], v[37:38], off
	global_load_b64 v[41:42], v[35:36], off
	s_mov_b32 s8, exec_lo
	s_waitcnt vmcnt(0)
	v_cmpx_eq_f64_e32 v[39:40], v[41:42]
	s_cbranch_execz .LBB861_375
; %bb.369:
	v_add_co_u32 v35, vcc_lo, v35, 8
	v_add_co_ci_u32_e32 v36, vcc_lo, 0, v36, vcc_lo
	v_add_co_u32 v37, vcc_lo, v37, 8
	v_add_co_ci_u32_e32 v38, vcc_lo, 0, v38, vcc_lo
	s_add_u32 s4, s22, -1
	s_addc_u32 s5, s23, -1
	s_mov_b64 s[6:7], 0
	s_mov_b32 s9, 0
                                        ; implicit-def: $sgpr18
	s_set_inst_prefetch_distance 0x1
	s_branch .LBB861_372
	.p2align	6
.LBB861_370:                            ;   in Loop: Header=BB861_372 Depth=1
	global_load_b64 v[39:40], v[37:38], off
	global_load_b64 v[41:42], v[35:36], off
	v_add_co_u32 v35, s2, v35, 8
	s_delay_alu instid0(VALU_DEP_1) | instskip(SKIP_1) | instid1(VALU_DEP_1)
	v_add_co_ci_u32_e64 v36, s2, 0, v36, s2
	v_add_co_u32 v37, s2, v37, 8
	v_add_co_ci_u32_e64 v38, s2, 0, v38, s2
	s_add_u32 s6, s6, 1
	s_addc_u32 s7, s7, 0
	s_and_not1_b32 s2, s18, exec_lo
	s_waitcnt vmcnt(0)
	v_cmp_neq_f64_e32 vcc_lo, v[39:40], v[41:42]
	s_and_b32 s18, vcc_lo, exec_lo
	s_delay_alu instid0(SALU_CYCLE_1)
	s_or_b32 s18, s2, s18
.LBB861_371:                            ;   in Loop: Header=BB861_372 Depth=1
	v_dual_mov_b32 v40, s7 :: v_dual_mov_b32 v39, s6
	s_and_b32 s2, exec_lo, s18
	s_delay_alu instid0(SALU_CYCLE_1) | instskip(NEXT) | instid1(SALU_CYCLE_1)
	s_or_b32 s9, s2, s9
	s_and_not1_b32 exec_lo, exec_lo, s9
	s_cbranch_execz .LBB861_374
.LBB861_372:                            ; =>This Inner Loop Header: Depth=1
	s_or_b32 s18, s18, exec_lo
	s_cmp_eq_u64 s[4:5], s[6:7]
	s_cbranch_scc0 .LBB861_370
; %bb.373:                              ;   in Loop: Header=BB861_372 Depth=1
	s_mov_b64 s[6:7], s[22:23]
                                        ; implicit-def: $vgpr35_vgpr36
                                        ; implicit-def: $vgpr37_vgpr38
	s_branch .LBB861_371
.LBB861_374:
	s_set_inst_prefetch_distance 0x2
	s_or_b32 exec_lo, exec_lo, s9
	v_cmp_gt_i64_e32 vcc_lo, s[22:23], v[39:40]
	s_or_not1_b32 s2, vcc_lo, exec_lo
.LBB861_375:
	s_or_b32 exec_lo, exec_lo, s8
.LBB861_376:
	s_delay_alu instid0(SALU_CYCLE_1)
	s_and_b32 s2, s2, exec_lo
.LBB861_377:
	s_or_b32 exec_lo, exec_lo, s25
	s_delay_alu instid0(SALU_CYCLE_1)
	s_and_b32 s2, s2, exec_lo
	s_or_b32 s3, s3, exec_lo
.LBB861_378:
	s_or_b32 exec_lo, exec_lo, s19
.LBB861_379:
	s_and_saveexec_b32 s4, s3
; %bb.380:
	v_and_b32_e32 v35, 0xffffff00, v33
	v_cndmask_b32_e64 v36, 0, 1, s2
	s_delay_alu instid0(VALU_DEP_1) | instskip(NEXT) | instid1(VALU_DEP_1)
	v_or_b32_e32 v35, v36, v35
	v_and_b32_e32 v35, 0xffff, v35
	s_delay_alu instid0(VALU_DEP_1)
	v_and_or_b32 v33, 0xffff0000, v33, v35
; %bb.381:
	s_or_b32 exec_lo, exec_lo, s4
	s_delay_alu instid0(SALU_CYCLE_1)
	s_and_not1_b32 vcc_lo, exec_lo, s21
	s_cbranch_vccnz .LBB861_383
; %bb.382:
	v_cmp_gt_u32_e32 vcc_lo, s28, v55
	v_or_b32_e32 v36, 1, v55
	v_and_b32_e32 v37, 0xffffff00, v34
	v_or_b32_e32 v38, 2, v55
	v_cndmask_b32_e32 v35, 0, v33, vcc_lo
	s_delay_alu instid0(VALU_DEP_4) | instskip(SKIP_1) | instid1(VALU_DEP_4)
	v_cmp_gt_u32_e32 vcc_lo, s28, v36
	v_or_b32_e32 v36, 4, v55
	v_cmp_gt_u32_e64 s2, s28, v38
	v_or_b32_e32 v38, 3, v55
	v_and_b32_e32 v35, 0xff, v35
	s_delay_alu instid0(VALU_DEP_2) | instskip(NEXT) | instid1(VALU_DEP_2)
	v_cmp_gt_u32_e64 s3, s28, v38
	v_cndmask_b32_e32 v35, v35, v33, vcc_lo
	v_cmp_gt_u32_e32 vcc_lo, s28, v36
	v_cndmask_b32_e32 v36, v37, v34, vcc_lo
	v_or_b32_e32 v37, 5, v55
	s_delay_alu instid0(VALU_DEP_2) | instskip(SKIP_1) | instid1(VALU_DEP_1)
	v_and_b32_e32 v36, 0xffff00ff, v36
	v_and_b32_e32 v35, 0xffff, v35
	v_cndmask_b32_e64 v35, v35, v33, s2
	s_delay_alu instid0(VALU_DEP_4) | instskip(SKIP_1) | instid1(VALU_DEP_3)
	v_cmp_gt_u32_e64 s2, s28, v37
	v_or_b32_e32 v37, 6, v55
	v_and_b32_e32 v35, 0xffffff, v35
	s_delay_alu instid0(VALU_DEP_3) | instskip(NEXT) | instid1(VALU_DEP_2)
	v_cndmask_b32_e64 v36, v36, v34, s2
	v_cndmask_b32_e64 v35, v35, v33, s3
	s_delay_alu instid0(VALU_DEP_1) | instskip(SKIP_2) | instid1(VALU_DEP_3)
	v_dual_cndmask_b32 v35, v35, v33 :: v_dual_and_b32 v36, 0xff00ffff, v36
	v_cmp_gt_u32_e32 vcc_lo, s28, v37
	v_or_b32_e32 v37, 7, v55
	v_cndmask_b32_e64 v35, v35, v33, s2
	s_delay_alu instid0(VALU_DEP_1) | instskip(NEXT) | instid1(VALU_DEP_1)
	v_dual_cndmask_b32 v36, v36, v34 :: v_dual_cndmask_b32 v35, v35, v33
	v_and_b32_e32 v36, 0xffffff, v36
	s_delay_alu instid0(VALU_DEP_4) | instskip(NEXT) | instid1(VALU_DEP_2)
	v_cmp_gt_u32_e32 vcc_lo, s28, v37
	v_dual_cndmask_b32 v34, v36, v34 :: v_dual_cndmask_b32 v33, v35, v33
.LBB861_383:
	s_delay_alu instid0(VALU_DEP_1) | instskip(NEXT) | instid1(VALU_DEP_2)
	v_and_b32_e32 v42, 0xff, v33
	v_alignbit_b32 v35, v34, v33, 24
	v_bfe_u32 v44, v33, 8, 8
	v_bfe_u32 v46, v33, 16, 8
	v_and_b32_e32 v50, 0xff, v34
	v_bfe_u32 v52, v34, 8, 8
	v_and_b32_e32 v48, 0xff, v35
	v_add_nc_u32_e32 v35, v44, v42
	v_mbcnt_lo_u32_b32 v57, -1, 0
	v_bfe_u32 v54, v34, 16, 8
	v_lshrrev_b32_e32 v56, 24, v34
	v_lshrrev_b32_e32 v58, 5, v0
	v_add3_u32 v35, v35, v46, v48
	v_and_b32_e32 v36, 15, v57
	v_and_b32_e32 v37, 16, v57
	s_and_b32 vcc_lo, exec_lo, s24
	s_mov_b32 s9, -1
	v_add3_u32 v35, v35, v50, v52
	v_cmp_eq_u32_e64 s4, 0, v36
	v_cmp_lt_u32_e64 s2, 1, v36
	v_cmp_lt_u32_e64 s5, 3, v36
	;; [unrolled: 1-line block ×3, first 2 shown]
	v_add3_u32 v59, v35, v54, v56
	v_or_b32_e32 v35, 31, v0
	v_cmp_eq_u32_e64 s7, 0, v37
	s_waitcnt lgkmcnt(0)
	s_barrier
	buffer_gl0_inv
	v_cmp_eq_u32_e64 s6, v35, v0
	s_cbranch_vccz .LBB861_414
; %bb.384:
	v_mov_b32_dpp v35, v59 row_shr:1 row_mask:0xf bank_mask:0xf
	s_delay_alu instid0(VALU_DEP_1) | instskip(NEXT) | instid1(VALU_DEP_1)
	v_cndmask_b32_e64 v35, v35, 0, s4
	v_add_nc_u32_e32 v35, v35, v59
	s_delay_alu instid0(VALU_DEP_1) | instskip(NEXT) | instid1(VALU_DEP_1)
	v_mov_b32_dpp v36, v35 row_shr:2 row_mask:0xf bank_mask:0xf
	v_cndmask_b32_e64 v36, 0, v36, s2
	s_delay_alu instid0(VALU_DEP_1) | instskip(NEXT) | instid1(VALU_DEP_1)
	v_add_nc_u32_e32 v35, v35, v36
	v_mov_b32_dpp v36, v35 row_shr:4 row_mask:0xf bank_mask:0xf
	s_delay_alu instid0(VALU_DEP_1) | instskip(NEXT) | instid1(VALU_DEP_1)
	v_cndmask_b32_e64 v36, 0, v36, s5
	v_add_nc_u32_e32 v35, v35, v36
	s_delay_alu instid0(VALU_DEP_1) | instskip(NEXT) | instid1(VALU_DEP_1)
	v_mov_b32_dpp v36, v35 row_shr:8 row_mask:0xf bank_mask:0xf
	v_cndmask_b32_e64 v36, 0, v36, s3
	s_delay_alu instid0(VALU_DEP_1) | instskip(SKIP_3) | instid1(VALU_DEP_1)
	v_add_nc_u32_e32 v35, v35, v36
	ds_swizzle_b32 v36, v35 offset:swizzle(BROADCAST,32,15)
	s_waitcnt lgkmcnt(0)
	v_cndmask_b32_e64 v36, v36, 0, s7
	v_add_nc_u32_e32 v35, v35, v36
	s_and_saveexec_b32 s8, s6
	s_cbranch_execz .LBB861_386
; %bb.385:
	v_lshlrev_b32_e32 v36, 2, v58
	ds_store_b32 v36, v35
.LBB861_386:
	s_or_b32 exec_lo, exec_lo, s8
	s_delay_alu instid0(SALU_CYCLE_1)
	s_mov_b32 s8, exec_lo
	s_waitcnt lgkmcnt(0)
	s_barrier
	buffer_gl0_inv
	v_cmpx_gt_u32_e32 16, v0
	s_cbranch_execz .LBB861_388
; %bb.387:
	v_lshlrev_b32_e32 v36, 2, v0
	ds_load_b32 v37, v36
	s_waitcnt lgkmcnt(0)
	v_mov_b32_dpp v38, v37 row_shr:1 row_mask:0xf bank_mask:0xf
	s_delay_alu instid0(VALU_DEP_1) | instskip(NEXT) | instid1(VALU_DEP_1)
	v_cndmask_b32_e64 v38, v38, 0, s4
	v_add_nc_u32_e32 v37, v38, v37
	s_delay_alu instid0(VALU_DEP_1) | instskip(NEXT) | instid1(VALU_DEP_1)
	v_mov_b32_dpp v38, v37 row_shr:2 row_mask:0xf bank_mask:0xf
	v_cndmask_b32_e64 v38, 0, v38, s2
	s_delay_alu instid0(VALU_DEP_1) | instskip(NEXT) | instid1(VALU_DEP_1)
	v_add_nc_u32_e32 v37, v37, v38
	v_mov_b32_dpp v38, v37 row_shr:4 row_mask:0xf bank_mask:0xf
	s_delay_alu instid0(VALU_DEP_1) | instskip(NEXT) | instid1(VALU_DEP_1)
	v_cndmask_b32_e64 v38, 0, v38, s5
	v_add_nc_u32_e32 v37, v37, v38
	s_delay_alu instid0(VALU_DEP_1) | instskip(NEXT) | instid1(VALU_DEP_1)
	v_mov_b32_dpp v38, v37 row_shr:8 row_mask:0xf bank_mask:0xf
	v_cndmask_b32_e64 v38, 0, v38, s3
	s_delay_alu instid0(VALU_DEP_1)
	v_add_nc_u32_e32 v37, v37, v38
	ds_store_b32 v36, v37
.LBB861_388:
	s_or_b32 exec_lo, exec_lo, s8
	v_cmp_gt_u32_e32 vcc_lo, 32, v0
	s_mov_b32 s9, exec_lo
	s_waitcnt lgkmcnt(0)
	s_barrier
	buffer_gl0_inv
                                        ; implicit-def: $vgpr43
	v_cmpx_lt_u32_e32 31, v0
	s_cbranch_execz .LBB861_390
; %bb.389:
	v_lshl_add_u32 v36, v58, 2, -4
	ds_load_b32 v43, v36
	s_waitcnt lgkmcnt(0)
	v_add_nc_u32_e32 v35, v43, v35
.LBB861_390:
	s_or_b32 exec_lo, exec_lo, s9
	v_add_nc_u32_e32 v36, -1, v57
	s_delay_alu instid0(VALU_DEP_1) | instskip(NEXT) | instid1(VALU_DEP_1)
	v_cmp_gt_i32_e64 s8, 0, v36
	v_cndmask_b32_e64 v36, v36, v57, s8
	v_cmp_eq_u32_e64 s8, 0, v57
	s_delay_alu instid0(VALU_DEP_2)
	v_lshlrev_b32_e32 v36, 2, v36
	ds_bpermute_b32 v45, v36, v35
	s_and_saveexec_b32 s9, vcc_lo
	s_cbranch_execz .LBB861_413
; %bb.391:
	v_mov_b32_e32 v38, 0
	ds_load_b32 v35, v38 offset:60
	s_and_saveexec_b32 s18, s8
	s_cbranch_execz .LBB861_393
; %bb.392:
	s_add_i32 s22, s15, 32
	s_mov_b32 s23, 0
	v_mov_b32_e32 v36, 1
	s_lshl_b64 s[22:23], s[22:23], 3
	s_delay_alu instid0(SALU_CYCLE_1)
	s_add_u32 s22, s10, s22
	s_addc_u32 s23, s11, s23
	s_waitcnt lgkmcnt(0)
	global_store_b64 v38, v[35:36], s[22:23]
.LBB861_393:
	s_or_b32 exec_lo, exec_lo, s18
	v_xad_u32 v36, v57, -1, s15
	s_mov_b32 s19, 0
	s_mov_b32 s18, exec_lo
	s_delay_alu instid0(VALU_DEP_1) | instskip(NEXT) | instid1(VALU_DEP_1)
	v_add_nc_u32_e32 v37, 32, v36
	v_lshlrev_b64 v[37:38], 3, v[37:38]
	s_delay_alu instid0(VALU_DEP_1) | instskip(NEXT) | instid1(VALU_DEP_2)
	v_add_co_u32 v40, vcc_lo, s10, v37
	v_add_co_ci_u32_e32 v41, vcc_lo, s11, v38, vcc_lo
	global_load_b64 v[38:39], v[40:41], off glc
	s_waitcnt vmcnt(0)
	v_and_b32_e32 v37, 0xff, v39
	s_delay_alu instid0(VALU_DEP_1)
	v_cmpx_eq_u16_e32 0, v37
	s_cbranch_execz .LBB861_399
; %bb.394:
	s_mov_b32 s21, 1
	.p2align	6
.LBB861_395:                            ; =>This Loop Header: Depth=1
                                        ;     Child Loop BB861_396 Depth 2
	s_delay_alu instid0(SALU_CYCLE_1)
	s_max_u32 s22, s21, 1
.LBB861_396:                            ;   Parent Loop BB861_395 Depth=1
                                        ; =>  This Inner Loop Header: Depth=2
	s_delay_alu instid0(SALU_CYCLE_1)
	s_add_i32 s22, s22, -1
	s_sleep 1
	s_cmp_eq_u32 s22, 0
	s_cbranch_scc0 .LBB861_396
; %bb.397:                              ;   in Loop: Header=BB861_395 Depth=1
	global_load_b64 v[38:39], v[40:41], off glc
	s_cmp_lt_u32 s21, 32
	s_cselect_b32 s22, -1, 0
	s_delay_alu instid0(SALU_CYCLE_1) | instskip(SKIP_3) | instid1(VALU_DEP_1)
	s_cmp_lg_u32 s22, 0
	s_addc_u32 s21, s21, 0
	s_waitcnt vmcnt(0)
	v_and_b32_e32 v37, 0xff, v39
	v_cmp_ne_u16_e32 vcc_lo, 0, v37
	s_or_b32 s19, vcc_lo, s19
	s_delay_alu instid0(SALU_CYCLE_1)
	s_and_not1_b32 exec_lo, exec_lo, s19
	s_cbranch_execnz .LBB861_395
; %bb.398:
	s_or_b32 exec_lo, exec_lo, s19
.LBB861_399:
	s_delay_alu instid0(SALU_CYCLE_1)
	s_or_b32 exec_lo, exec_lo, s18
	v_cmp_ne_u32_e32 vcc_lo, 31, v57
	v_lshlrev_b32_e64 v49, v57, -1
	v_add_nc_u32_e32 v53, 2, v57
	v_add_nc_u32_e32 v62, 4, v57
	;; [unrolled: 1-line block ×3, first 2 shown]
	v_add_co_ci_u32_e32 v37, vcc_lo, 0, v57, vcc_lo
	v_add_nc_u32_e32 v66, 16, v57
	s_delay_alu instid0(VALU_DEP_2)
	v_lshlrev_b32_e32 v47, 2, v37
	v_and_b32_e32 v37, 0xff, v39
	ds_bpermute_b32 v40, v47, v38
	v_cmp_eq_u16_e32 vcc_lo, 2, v37
	v_and_or_b32 v37, vcc_lo, v49, 0x80000000
	v_cmp_gt_u32_e32 vcc_lo, 30, v57
	s_delay_alu instid0(VALU_DEP_2) | instskip(SKIP_1) | instid1(VALU_DEP_2)
	v_ctz_i32_b32_e32 v37, v37
	v_cndmask_b32_e64 v41, 0, 1, vcc_lo
	v_cmp_lt_u32_e32 vcc_lo, v57, v37
	s_waitcnt lgkmcnt(0)
	s_delay_alu instid0(VALU_DEP_2) | instskip(NEXT) | instid1(VALU_DEP_1)
	v_dual_cndmask_b32 v40, 0, v40 :: v_dual_lshlrev_b32 v41, 1, v41
	v_add_lshl_u32 v51, v41, v57, 2
	v_cmp_gt_u32_e32 vcc_lo, 28, v57
	s_delay_alu instid0(VALU_DEP_3) | instskip(SKIP_4) | instid1(VALU_DEP_1)
	v_add_nc_u32_e32 v38, v40, v38
	v_cndmask_b32_e64 v41, 0, 1, vcc_lo
	v_cmp_le_u32_e32 vcc_lo, v53, v37
	ds_bpermute_b32 v40, v51, v38
	v_lshlrev_b32_e32 v41, 2, v41
	v_add_lshl_u32 v60, v41, v57, 2
	s_waitcnt lgkmcnt(0)
	v_cndmask_b32_e32 v40, 0, v40, vcc_lo
	v_cmp_gt_u32_e32 vcc_lo, 24, v57
	s_delay_alu instid0(VALU_DEP_2) | instskip(SKIP_4) | instid1(VALU_DEP_1)
	v_add_nc_u32_e32 v38, v38, v40
	v_cndmask_b32_e64 v41, 0, 1, vcc_lo
	v_cmp_le_u32_e32 vcc_lo, v62, v37
	ds_bpermute_b32 v40, v60, v38
	v_lshlrev_b32_e32 v41, 3, v41
	v_add_lshl_u32 v63, v41, v57, 2
	s_waitcnt lgkmcnt(0)
	v_cndmask_b32_e32 v40, 0, v40, vcc_lo
	v_cmp_gt_u32_e32 vcc_lo, 16, v57
	s_delay_alu instid0(VALU_DEP_2) | instskip(SKIP_4) | instid1(VALU_DEP_1)
	v_add_nc_u32_e32 v38, v38, v40
	v_cndmask_b32_e64 v41, 0, 1, vcc_lo
	v_cmp_le_u32_e32 vcc_lo, v64, v37
	ds_bpermute_b32 v40, v63, v38
	v_lshlrev_b32_e32 v41, 4, v41
	v_add_lshl_u32 v65, v41, v57, 2
	s_waitcnt lgkmcnt(0)
	v_cndmask_b32_e32 v40, 0, v40, vcc_lo
	v_cmp_le_u32_e32 vcc_lo, v66, v37
	s_delay_alu instid0(VALU_DEP_2) | instskip(SKIP_3) | instid1(VALU_DEP_1)
	v_add_nc_u32_e32 v38, v38, v40
	ds_bpermute_b32 v40, v65, v38
	s_waitcnt lgkmcnt(0)
	v_cndmask_b32_e32 v37, 0, v40, vcc_lo
	v_dual_mov_b32 v37, 0 :: v_dual_add_nc_u32 v38, v38, v37
	s_branch .LBB861_401
.LBB861_400:                            ;   in Loop: Header=BB861_401 Depth=1
	s_or_b32 exec_lo, exec_lo, s18
	ds_bpermute_b32 v41, v47, v38
	v_and_b32_e32 v40, 0xff, v39
	v_subrev_nc_u32_e32 v36, 32, v36
	s_delay_alu instid0(VALU_DEP_2) | instskip(SKIP_1) | instid1(VALU_DEP_1)
	v_cmp_eq_u16_e32 vcc_lo, 2, v40
	v_and_or_b32 v40, vcc_lo, v49, 0x80000000
	v_ctz_i32_b32_e32 v40, v40
	s_delay_alu instid0(VALU_DEP_1) | instskip(SKIP_3) | instid1(VALU_DEP_2)
	v_cmp_lt_u32_e32 vcc_lo, v57, v40
	s_waitcnt lgkmcnt(0)
	v_cndmask_b32_e32 v41, 0, v41, vcc_lo
	v_cmp_le_u32_e32 vcc_lo, v53, v40
	v_add_nc_u32_e32 v38, v41, v38
	ds_bpermute_b32 v41, v51, v38
	s_waitcnt lgkmcnt(0)
	v_cndmask_b32_e32 v41, 0, v41, vcc_lo
	v_cmp_le_u32_e32 vcc_lo, v62, v40
	s_delay_alu instid0(VALU_DEP_2) | instskip(SKIP_4) | instid1(VALU_DEP_2)
	v_add_nc_u32_e32 v38, v38, v41
	ds_bpermute_b32 v41, v60, v38
	s_waitcnt lgkmcnt(0)
	v_cndmask_b32_e32 v41, 0, v41, vcc_lo
	v_cmp_le_u32_e32 vcc_lo, v64, v40
	v_add_nc_u32_e32 v38, v38, v41
	ds_bpermute_b32 v41, v63, v38
	s_waitcnt lgkmcnt(0)
	v_cndmask_b32_e32 v41, 0, v41, vcc_lo
	v_cmp_le_u32_e32 vcc_lo, v66, v40
	s_delay_alu instid0(VALU_DEP_2) | instskip(SKIP_3) | instid1(VALU_DEP_1)
	v_add_nc_u32_e32 v38, v38, v41
	ds_bpermute_b32 v41, v65, v38
	s_waitcnt lgkmcnt(0)
	v_cndmask_b32_e32 v40, 0, v41, vcc_lo
	v_add3_u32 v38, v40, v61, v38
.LBB861_401:                            ; =>This Loop Header: Depth=1
                                        ;     Child Loop BB861_404 Depth 2
                                        ;       Child Loop BB861_405 Depth 3
	v_and_b32_e32 v39, 0xff, v39
	s_delay_alu instid0(VALU_DEP_2) | instskip(NEXT) | instid1(VALU_DEP_2)
	v_mov_b32_e32 v61, v38
	v_cmp_ne_u16_e32 vcc_lo, 2, v39
	v_cndmask_b32_e64 v39, 0, 1, vcc_lo
	;;#ASMSTART
	;;#ASMEND
	s_delay_alu instid0(VALU_DEP_1)
	v_cmp_ne_u32_e32 vcc_lo, 0, v39
	s_cmp_lg_u32 vcc_lo, exec_lo
	s_cbranch_scc1 .LBB861_408
; %bb.402:                              ;   in Loop: Header=BB861_401 Depth=1
	v_lshlrev_b64 v[38:39], 3, v[36:37]
	s_mov_b32 s18, exec_lo
	s_delay_alu instid0(VALU_DEP_1) | instskip(NEXT) | instid1(VALU_DEP_2)
	v_add_co_u32 v40, vcc_lo, s10, v38
	v_add_co_ci_u32_e32 v41, vcc_lo, s11, v39, vcc_lo
	global_load_b64 v[38:39], v[40:41], off glc
	s_waitcnt vmcnt(0)
	v_and_b32_e32 v67, 0xff, v39
	s_delay_alu instid0(VALU_DEP_1)
	v_cmpx_eq_u16_e32 0, v67
	s_cbranch_execz .LBB861_400
; %bb.403:                              ;   in Loop: Header=BB861_401 Depth=1
	s_mov_b32 s21, 1
	s_mov_b32 s19, 0
	.p2align	6
.LBB861_404:                            ;   Parent Loop BB861_401 Depth=1
                                        ; =>  This Loop Header: Depth=2
                                        ;       Child Loop BB861_405 Depth 3
	s_max_u32 s22, s21, 1
.LBB861_405:                            ;   Parent Loop BB861_401 Depth=1
                                        ;     Parent Loop BB861_404 Depth=2
                                        ; =>    This Inner Loop Header: Depth=3
	s_delay_alu instid0(SALU_CYCLE_1)
	s_add_i32 s22, s22, -1
	s_sleep 1
	s_cmp_eq_u32 s22, 0
	s_cbranch_scc0 .LBB861_405
; %bb.406:                              ;   in Loop: Header=BB861_404 Depth=2
	global_load_b64 v[38:39], v[40:41], off glc
	s_cmp_lt_u32 s21, 32
	s_cselect_b32 s22, -1, 0
	s_delay_alu instid0(SALU_CYCLE_1) | instskip(SKIP_3) | instid1(VALU_DEP_1)
	s_cmp_lg_u32 s22, 0
	s_addc_u32 s21, s21, 0
	s_waitcnt vmcnt(0)
	v_and_b32_e32 v67, 0xff, v39
	v_cmp_ne_u16_e32 vcc_lo, 0, v67
	s_or_b32 s19, vcc_lo, s19
	s_delay_alu instid0(SALU_CYCLE_1)
	s_and_not1_b32 exec_lo, exec_lo, s19
	s_cbranch_execnz .LBB861_404
; %bb.407:                              ;   in Loop: Header=BB861_401 Depth=1
	s_or_b32 exec_lo, exec_lo, s19
	s_branch .LBB861_400
.LBB861_408:                            ;   in Loop: Header=BB861_401 Depth=1
                                        ; implicit-def: $vgpr38
                                        ; implicit-def: $vgpr39
	s_cbranch_execz .LBB861_401
; %bb.409:
	s_and_saveexec_b32 s18, s8
	s_cbranch_execz .LBB861_411
; %bb.410:
	s_add_i32 s22, s15, 32
	s_mov_b32 s23, 0
	v_dual_mov_b32 v37, 2 :: v_dual_add_nc_u32 v36, v61, v35
	s_lshl_b64 s[22:23], s[22:23], 3
	v_mov_b32_e32 v38, 0
	v_add_nc_u32_e64 v39, 0x8400, 0
	s_add_u32 s22, s10, s22
	s_addc_u32 s23, s11, s23
	global_store_b64 v38, v[36:37], s[22:23]
	ds_store_2addr_b32 v39, v35, v61 offset1:2
.LBB861_411:
	s_or_b32 exec_lo, exec_lo, s18
	v_cmp_eq_u32_e32 vcc_lo, 0, v0
	s_and_b32 exec_lo, exec_lo, vcc_lo
	s_cbranch_execz .LBB861_413
; %bb.412:
	v_mov_b32_e32 v35, 0
	ds_store_b32 v35, v61 offset:60
.LBB861_413:
	s_or_b32 exec_lo, exec_lo, s9
	s_waitcnt lgkmcnt(0)
	v_cndmask_b32_e64 v36, v45, v43, s8
	v_cmp_ne_u32_e32 vcc_lo, 0, v0
	v_mov_b32_e32 v35, 0
	s_waitcnt_vscnt null, 0x0
	s_barrier
	buffer_gl0_inv
	v_cndmask_b32_e32 v36, 0, v36, vcc_lo
	ds_load_b32 v35, v35 offset:60
	s_waitcnt lgkmcnt(0)
	s_barrier
	buffer_gl0_inv
	v_add_nc_u32_e32 v53, v35, v36
	v_add_nc_u32_e64 v35, 0x8400, 0
	s_delay_alu instid0(VALU_DEP_2) | instskip(SKIP_2) | instid1(VALU_DEP_1)
	v_add_nc_u32_e32 v51, v53, v42
	ds_load_2addr_b32 v[35:36], v35 offset1:2
	v_add_nc_u32_e32 v49, v51, v44
	v_add_nc_u32_e32 v47, v49, v46
	s_delay_alu instid0(VALU_DEP_1) | instskip(NEXT) | instid1(VALU_DEP_1)
	v_add_nc_u32_e32 v45, v47, v48
	v_add_nc_u32_e32 v43, v45, v50
	s_waitcnt lgkmcnt(0)
	v_readfirstlane_b32 s8, v36
	s_delay_alu instid0(VALU_DEP_2) | instskip(NEXT) | instid1(VALU_DEP_1)
	v_add_nc_u32_e32 v41, v43, v52
	v_add_nc_u32_e32 v39, v41, v54
	v_lshrrev_b64 v[37:38], 24, v[33:34]
	s_branch .LBB861_424
.LBB861_414:
                                        ; implicit-def: $vgpr39
                                        ; implicit-def: $vgpr41
                                        ; implicit-def: $vgpr43
                                        ; implicit-def: $vgpr45
                                        ; implicit-def: $vgpr47
                                        ; implicit-def: $vgpr49
                                        ; implicit-def: $vgpr51
                                        ; implicit-def: $vgpr53
                                        ; implicit-def: $sgpr8
                                        ; implicit-def: $vgpr35
	v_lshrrev_b64 v[37:38], 24, v[33:34]
	s_and_b32 vcc_lo, exec_lo, s9
	s_cbranch_vccz .LBB861_424
; %bb.415:
	v_mov_b32_dpp v35, v59 row_shr:1 row_mask:0xf bank_mask:0xf
	s_delay_alu instid0(VALU_DEP_1) | instskip(NEXT) | instid1(VALU_DEP_1)
	v_cndmask_b32_e64 v35, v35, 0, s4
	v_add_nc_u32_e32 v35, v35, v59
	s_delay_alu instid0(VALU_DEP_1) | instskip(NEXT) | instid1(VALU_DEP_1)
	v_mov_b32_dpp v36, v35 row_shr:2 row_mask:0xf bank_mask:0xf
	v_cndmask_b32_e64 v36, 0, v36, s2
	s_delay_alu instid0(VALU_DEP_1) | instskip(NEXT) | instid1(VALU_DEP_1)
	v_add_nc_u32_e32 v35, v35, v36
	v_mov_b32_dpp v36, v35 row_shr:4 row_mask:0xf bank_mask:0xf
	s_delay_alu instid0(VALU_DEP_1) | instskip(NEXT) | instid1(VALU_DEP_1)
	v_cndmask_b32_e64 v36, 0, v36, s5
	v_add_nc_u32_e32 v35, v35, v36
	s_delay_alu instid0(VALU_DEP_1) | instskip(NEXT) | instid1(VALU_DEP_1)
	v_mov_b32_dpp v36, v35 row_shr:8 row_mask:0xf bank_mask:0xf
	v_cndmask_b32_e64 v36, 0, v36, s3
	s_delay_alu instid0(VALU_DEP_1) | instskip(SKIP_3) | instid1(VALU_DEP_1)
	v_add_nc_u32_e32 v35, v35, v36
	ds_swizzle_b32 v36, v35 offset:swizzle(BROADCAST,32,15)
	s_waitcnt lgkmcnt(0)
	v_cndmask_b32_e64 v36, v36, 0, s7
	v_add_nc_u32_e32 v35, v35, v36
	s_and_saveexec_b32 s7, s6
	s_cbranch_execz .LBB861_417
; %bb.416:
	v_lshlrev_b32_e32 v36, 2, v58
	ds_store_b32 v36, v35
.LBB861_417:
	s_or_b32 exec_lo, exec_lo, s7
	s_delay_alu instid0(SALU_CYCLE_1)
	s_mov_b32 s6, exec_lo
	s_waitcnt lgkmcnt(0)
	s_barrier
	buffer_gl0_inv
	v_cmpx_gt_u32_e32 16, v0
	s_cbranch_execz .LBB861_419
; %bb.418:
	v_lshlrev_b32_e32 v36, 2, v0
	ds_load_b32 v38, v36
	s_waitcnt lgkmcnt(0)
	v_mov_b32_dpp v39, v38 row_shr:1 row_mask:0xf bank_mask:0xf
	s_delay_alu instid0(VALU_DEP_1) | instskip(NEXT) | instid1(VALU_DEP_1)
	v_cndmask_b32_e64 v39, v39, 0, s4
	v_add_nc_u32_e32 v38, v39, v38
	s_delay_alu instid0(VALU_DEP_1) | instskip(NEXT) | instid1(VALU_DEP_1)
	v_mov_b32_dpp v39, v38 row_shr:2 row_mask:0xf bank_mask:0xf
	v_cndmask_b32_e64 v39, 0, v39, s2
	s_delay_alu instid0(VALU_DEP_1) | instskip(NEXT) | instid1(VALU_DEP_1)
	v_add_nc_u32_e32 v38, v38, v39
	v_mov_b32_dpp v39, v38 row_shr:4 row_mask:0xf bank_mask:0xf
	s_delay_alu instid0(VALU_DEP_1) | instskip(NEXT) | instid1(VALU_DEP_1)
	v_cndmask_b32_e64 v39, 0, v39, s5
	v_add_nc_u32_e32 v38, v38, v39
	s_delay_alu instid0(VALU_DEP_1) | instskip(NEXT) | instid1(VALU_DEP_1)
	v_mov_b32_dpp v39, v38 row_shr:8 row_mask:0xf bank_mask:0xf
	v_cndmask_b32_e64 v39, 0, v39, s3
	s_delay_alu instid0(VALU_DEP_1)
	v_add_nc_u32_e32 v38, v38, v39
	ds_store_b32 v36, v38
.LBB861_419:
	s_or_b32 exec_lo, exec_lo, s6
	v_mov_b32_e32 v36, 0
	v_mov_b32_e32 v38, 0
	s_mov_b32 s2, exec_lo
	s_waitcnt lgkmcnt(0)
	s_barrier
	buffer_gl0_inv
	v_cmpx_lt_u32_e32 31, v0
	s_cbranch_execz .LBB861_421
; %bb.420:
	v_lshl_add_u32 v38, v58, 2, -4
	ds_load_b32 v38, v38
.LBB861_421:
	s_or_b32 exec_lo, exec_lo, s2
	v_add_nc_u32_e32 v39, -1, v57
	s_waitcnt lgkmcnt(0)
	v_add_nc_u32_e32 v35, v38, v35
	s_mov_b32 s8, 0
	s_delay_alu instid0(VALU_DEP_2) | instskip(SKIP_2) | instid1(VALU_DEP_2)
	v_cmp_gt_i32_e32 vcc_lo, 0, v39
	v_cndmask_b32_e32 v39, v39, v57, vcc_lo
	v_cmp_eq_u32_e32 vcc_lo, 0, v0
	v_lshlrev_b32_e32 v39, 2, v39
	ds_bpermute_b32 v39, v39, v35
	ds_load_b32 v35, v36 offset:60
	s_and_saveexec_b32 s2, vcc_lo
	s_cbranch_execz .LBB861_423
; %bb.422:
	v_mov_b32_e32 v40, 0
	v_mov_b32_e32 v36, 2
	s_waitcnt lgkmcnt(0)
	global_store_b64 v40, v[35:36], s[10:11] offset:256
.LBB861_423:
	s_or_b32 exec_lo, exec_lo, s2
	v_cmp_eq_u32_e64 s2, 0, v57
	s_waitcnt lgkmcnt(0)
	s_waitcnt_vscnt null, 0x0
	s_barrier
	buffer_gl0_inv
	v_cndmask_b32_e64 v36, v39, v38, s2
	s_delay_alu instid0(VALU_DEP_1) | instskip(NEXT) | instid1(VALU_DEP_1)
	v_cndmask_b32_e64 v53, v36, 0, vcc_lo
	v_add_nc_u32_e32 v51, v53, v42
	s_delay_alu instid0(VALU_DEP_1) | instskip(NEXT) | instid1(VALU_DEP_1)
	v_add_nc_u32_e32 v49, v51, v44
	v_add_nc_u32_e32 v47, v49, v46
	s_delay_alu instid0(VALU_DEP_1) | instskip(NEXT) | instid1(VALU_DEP_1)
	v_add_nc_u32_e32 v45, v47, v48
	v_add_nc_u32_e32 v43, v45, v50
	s_delay_alu instid0(VALU_DEP_1) | instskip(NEXT) | instid1(VALU_DEP_1)
	v_add_nc_u32_e32 v41, v43, v52
	v_add_nc_u32_e32 v39, v41, v54
.LBB861_424:
	s_load_b128 s[4:7], s[0:1], 0x28
	v_add_nc_u32_e32 v59, s8, v35
	v_cmp_gt_u32_e64 s0, 0x201, v35
	v_lshrrev_b32_e32 v58, 8, v33
	v_lshrrev_b32_e32 v57, 16, v33
	;; [unrolled: 1-line block ×4, first 2 shown]
	v_cmp_lt_u32_e64 s1, v53, v59
	s_and_b32 vcc_lo, exec_lo, s0
	s_mov_b32 s2, -1
	s_cbranch_vccz .LBB861_450
; %bb.425:
	s_delay_alu instid0(VALU_DEP_1) | instskip(NEXT) | instid1(SALU_CYCLE_1)
	s_or_b32 s2, s20, s1
	s_and_saveexec_b32 s1, s2
	s_cbranch_execz .LBB861_428
; %bb.426:
	v_and_b32_e32 v40, 1, v33
	s_delay_alu instid0(VALU_DEP_1)
	v_cmp_eq_u32_e32 vcc_lo, 1, v40
	s_and_b32 exec_lo, exec_lo, vcc_lo
	s_cbranch_execz .LBB861_428
; %bb.427:
	v_mov_b32_e32 v54, 0
	s_lshl_b64 s[2:3], s[12:13], 3
	s_waitcnt lgkmcnt(0)
	s_add_u32 s2, s4, s2
	s_addc_u32 s3, s5, s3
	v_lshlrev_b64 v[60:61], 3, v[53:54]
	s_delay_alu instid0(VALU_DEP_1) | instskip(NEXT) | instid1(VALU_DEP_2)
	v_add_co_u32 v60, vcc_lo, s2, v60
	v_add_co_ci_u32_e32 v61, vcc_lo, s3, v61, vcc_lo
	global_store_b64 v[60:61], v[29:30], off
.LBB861_428:
	s_or_b32 exec_lo, exec_lo, s1
	v_cmp_lt_u32_e32 vcc_lo, v51, v59
	s_or_b32 s2, s20, vcc_lo
	s_delay_alu instid0(SALU_CYCLE_1)
	s_and_saveexec_b32 s1, s2
	s_cbranch_execz .LBB861_431
; %bb.429:
	v_and_b32_e32 v40, 1, v58
	s_delay_alu instid0(VALU_DEP_1)
	v_cmp_eq_u32_e32 vcc_lo, 1, v40
	s_and_b32 exec_lo, exec_lo, vcc_lo
	s_cbranch_execz .LBB861_431
; %bb.430:
	v_mov_b32_e32 v52, 0
	s_lshl_b64 s[2:3], s[12:13], 3
	s_waitcnt lgkmcnt(0)
	s_add_u32 s2, s4, s2
	s_addc_u32 s3, s5, s3
	v_lshlrev_b64 v[60:61], 3, v[51:52]
	s_delay_alu instid0(VALU_DEP_1) | instskip(NEXT) | instid1(VALU_DEP_2)
	v_add_co_u32 v60, vcc_lo, s2, v60
	v_add_co_ci_u32_e32 v61, vcc_lo, s3, v61, vcc_lo
	global_store_b64 v[60:61], v[31:32], off
.LBB861_431:
	s_or_b32 exec_lo, exec_lo, s1
	v_cmp_lt_u32_e32 vcc_lo, v49, v59
	s_or_b32 s2, s20, vcc_lo
	s_delay_alu instid0(SALU_CYCLE_1)
	;; [unrolled: 24-line block ×7, first 2 shown]
	s_and_saveexec_b32 s1, s2
	s_cbranch_execz .LBB861_449
; %bb.447:
	v_and_b32_e32 v40, 1, v56
	s_delay_alu instid0(VALU_DEP_1)
	v_cmp_eq_u32_e32 vcc_lo, 1, v40
	s_and_b32 exec_lo, exec_lo, vcc_lo
	s_cbranch_execz .LBB861_449
; %bb.448:
	v_mov_b32_e32 v40, 0
	s_lshl_b64 s[2:3], s[12:13], 3
	s_waitcnt lgkmcnt(0)
	s_add_u32 s2, s4, s2
	s_addc_u32 s3, s5, s3
	v_lshlrev_b64 v[60:61], 3, v[39:40]
	s_delay_alu instid0(VALU_DEP_1) | instskip(NEXT) | instid1(VALU_DEP_2)
	v_add_co_u32 v60, vcc_lo, s2, v60
	v_add_co_ci_u32_e32 v61, vcc_lo, s3, v61, vcc_lo
	global_store_b64 v[60:61], v[19:20], off
.LBB861_449:
	s_or_b32 exec_lo, exec_lo, s1
	s_mov_b32 s2, 0
.LBB861_450:
	v_and_b32_e32 v33, 1, v33
	s_and_b32 vcc_lo, exec_lo, s2
	s_delay_alu instid0(VALU_DEP_1)
	v_cmp_eq_u32_e64 s1, 1, v33
	s_cbranch_vccz .LBB861_471
; %bb.451:
	s_delay_alu instid0(VALU_DEP_1)
	s_and_saveexec_b32 s2, s1
	s_cbranch_execz .LBB861_453
; %bb.452:
	v_subrev_nc_u32_e32 v40, s8, v53
	s_delay_alu instid0(VALU_DEP_1)
	v_lshlrev_b32_e32 v40, 3, v40
	ds_store_b64 v40, v[29:30]
.LBB861_453:
	s_or_b32 exec_lo, exec_lo, s2
	v_and_b32_e32 v29, 1, v58
	s_mov_b32 s1, exec_lo
	s_delay_alu instid0(VALU_DEP_1)
	v_cmpx_eq_u32_e32 1, v29
	s_cbranch_execz .LBB861_455
; %bb.454:
	v_subrev_nc_u32_e32 v29, s8, v51
	s_delay_alu instid0(VALU_DEP_1)
	v_lshlrev_b32_e32 v29, 3, v29
	ds_store_b64 v29, v[31:32]
.LBB861_455:
	s_or_b32 exec_lo, exec_lo, s1
	v_and_b32_e32 v29, 1, v57
	s_mov_b32 s1, exec_lo
	s_delay_alu instid0(VALU_DEP_1)
	v_cmpx_eq_u32_e32 1, v29
	;; [unrolled: 12-line block ×7, first 2 shown]
	s_cbranch_execz .LBB861_467
; %bb.466:
	v_subrev_nc_u32_e32 v17, s8, v39
	s_delay_alu instid0(VALU_DEP_1)
	v_lshlrev_b32_e32 v17, 3, v17
	ds_store_b64 v17, v[19:20]
.LBB861_467:
	s_or_b32 exec_lo, exec_lo, s1
	s_delay_alu instid0(SALU_CYCLE_1)
	s_mov_b32 s2, exec_lo
	s_waitcnt lgkmcnt(0)
	s_waitcnt_vscnt null, 0x0
	s_barrier
	buffer_gl0_inv
	v_cmpx_lt_u32_e64 v0, v35
	s_cbranch_execz .LBB861_470
; %bb.468:
	s_mov_b32 s9, 0
	s_lshl_b64 s[10:11], s[12:13], 3
	s_lshl_b64 s[18:19], s[8:9], 3
	v_dual_mov_b32 v19, v55 :: v_dual_mov_b32 v20, v0
	s_add_u32 s1, s10, s18
	s_addc_u32 s3, s11, s19
	s_add_u32 s1, s4, s1
	s_addc_u32 s3, s5, s3
	v_add_co_u32 v17, s1, s1, v55
	s_delay_alu instid0(VALU_DEP_1)
	v_add_co_ci_u32_e64 v18, null, s3, 0, s1
	.p2align	6
.LBB861_469:                            ; =>This Inner Loop Header: Depth=1
	ds_load_b64 v[21:22], v19
	v_add_nc_u32_e32 v20, 0x200, v20
	v_add_nc_u32_e32 v19, 0x1000, v19
	s_delay_alu instid0(VALU_DEP_2) | instskip(SKIP_4) | instid1(VALU_DEP_1)
	v_cmp_ge_u32_e32 vcc_lo, v20, v35
	s_or_b32 s9, vcc_lo, s9
	s_waitcnt lgkmcnt(0)
	global_store_b64 v[17:18], v[21:22], off
	v_add_co_u32 v17, s1, 0x1000, v17
	v_add_co_ci_u32_e64 v18, s1, 0, v18, s1
	s_and_not1_b32 exec_lo, exec_lo, s9
	s_cbranch_execnz .LBB861_469
.LBB861_470:
	s_or_b32 exec_lo, exec_lo, s2
.LBB861_471:
	s_delay_alu instid0(SALU_CYCLE_1)
	s_and_b32 vcc_lo, exec_lo, s0
	s_mov_b32 s0, -1
	s_waitcnt lgkmcnt(0)
	s_waitcnt_vscnt null, 0x0
	s_barrier
	buffer_gl0_inv
	s_cbranch_vccz .LBB861_499
; %bb.472:
	v_cmp_lt_u32_e32 vcc_lo, v53, v59
	s_or_b32 s1, s20, vcc_lo
	s_delay_alu instid0(SALU_CYCLE_1)
	s_and_saveexec_b32 s0, s1
	s_cbranch_execz .LBB861_475
; %bb.473:
	v_cmp_eq_u32_e32 vcc_lo, 1, v33
	s_and_b32 exec_lo, exec_lo, vcc_lo
	s_cbranch_execz .LBB861_475
; %bb.474:
	v_mov_b32_e32 v54, 0
	s_lshl_b64 s[2:3], s[12:13], 3
	s_delay_alu instid0(SALU_CYCLE_1) | instskip(SKIP_1) | instid1(VALU_DEP_1)
	s_add_u32 s1, s6, s2
	s_addc_u32 s2, s7, s3
	v_lshlrev_b64 v[17:18], 3, v[53:54]
	s_delay_alu instid0(VALU_DEP_1) | instskip(NEXT) | instid1(VALU_DEP_2)
	v_add_co_u32 v17, vcc_lo, s1, v17
	v_add_co_ci_u32_e32 v18, vcc_lo, s2, v18, vcc_lo
	global_store_b64 v[17:18], v[13:14], off
.LBB861_475:
	s_or_b32 exec_lo, exec_lo, s0
	v_cmp_lt_u32_e32 vcc_lo, v51, v59
	s_or_b32 s1, s20, vcc_lo
	s_delay_alu instid0(SALU_CYCLE_1)
	s_and_saveexec_b32 s0, s1
	s_cbranch_execz .LBB861_478
; %bb.476:
	v_and_b32_e32 v17, 1, v58
	s_delay_alu instid0(VALU_DEP_1)
	v_cmp_eq_u32_e32 vcc_lo, 1, v17
	s_and_b32 exec_lo, exec_lo, vcc_lo
	s_cbranch_execz .LBB861_478
; %bb.477:
	v_mov_b32_e32 v52, 0
	s_lshl_b64 s[2:3], s[12:13], 3
	s_delay_alu instid0(SALU_CYCLE_1) | instskip(SKIP_1) | instid1(VALU_DEP_1)
	s_add_u32 s1, s6, s2
	s_addc_u32 s2, s7, s3
	v_lshlrev_b64 v[17:18], 3, v[51:52]
	s_delay_alu instid0(VALU_DEP_1) | instskip(NEXT) | instid1(VALU_DEP_2)
	v_add_co_u32 v17, vcc_lo, s1, v17
	v_add_co_ci_u32_e32 v18, vcc_lo, s2, v18, vcc_lo
	global_store_b64 v[17:18], v[15:16], off
.LBB861_478:
	s_or_b32 exec_lo, exec_lo, s0
	v_cmp_lt_u32_e32 vcc_lo, v49, v59
	s_or_b32 s1, s20, vcc_lo
	s_delay_alu instid0(SALU_CYCLE_1)
	s_and_saveexec_b32 s0, s1
	s_cbranch_execz .LBB861_481
; %bb.479:
	v_and_b32_e32 v17, 1, v57
	s_delay_alu instid0(VALU_DEP_1)
	v_cmp_eq_u32_e32 vcc_lo, 1, v17
	s_and_b32 exec_lo, exec_lo, vcc_lo
	s_cbranch_execz .LBB861_481
; %bb.480:
	v_mov_b32_e32 v50, 0
	s_lshl_b64 s[2:3], s[12:13], 3
	s_delay_alu instid0(SALU_CYCLE_1) | instskip(SKIP_1) | instid1(VALU_DEP_1)
	s_add_u32 s1, s6, s2
	s_addc_u32 s2, s7, s3
	v_lshlrev_b64 v[17:18], 3, v[49:50]
	s_delay_alu instid0(VALU_DEP_1) | instskip(NEXT) | instid1(VALU_DEP_2)
	v_add_co_u32 v17, vcc_lo, s1, v17
	v_add_co_ci_u32_e32 v18, vcc_lo, s2, v18, vcc_lo
	global_store_b64 v[17:18], v[9:10], off
.LBB861_481:
	;; [unrolled: 24-line block ×7, first 2 shown]
	s_or_b32 exec_lo, exec_lo, s0
.LBB861_497:
	v_cmp_eq_u32_e32 vcc_lo, 0, v0
	s_and_b32 s0, vcc_lo, s14
	s_delay_alu instid0(SALU_CYCLE_1)
	s_and_saveexec_b32 s1, s0
	s_cbranch_execz .LBB861_520
.LBB861_498:
	v_add_co_u32 v0, s0, s12, v35
	s_delay_alu instid0(VALU_DEP_1) | instskip(SKIP_1) | instid1(VALU_DEP_3)
	v_add_co_ci_u32_e64 v1, null, s13, 0, s0
	v_mov_b32_e32 v2, 0
	v_add_co_u32 v0, vcc_lo, v0, s8
	s_delay_alu instid0(VALU_DEP_3)
	v_add_co_ci_u32_e32 v1, vcc_lo, 0, v1, vcc_lo
	global_store_b64 v2, v[0:1], s[16:17]
	s_nop 0
	s_sendmsg sendmsg(MSG_DEALLOC_VGPRS)
	s_endpgm
.LBB861_499:
	s_and_b32 vcc_lo, exec_lo, s0
	s_cbranch_vccz .LBB861_497
; %bb.500:
	s_mov_b32 s0, exec_lo
	v_cmpx_eq_u32_e32 1, v33
	s_cbranch_execz .LBB861_502
; %bb.501:
	v_subrev_nc_u32_e32 v17, s8, v53
	s_delay_alu instid0(VALU_DEP_1)
	v_lshlrev_b32_e32 v17, 3, v17
	ds_store_b64 v17, v[13:14]
.LBB861_502:
	s_or_b32 exec_lo, exec_lo, s0
	v_and_b32_e32 v13, 1, v58
	s_mov_b32 s0, exec_lo
	s_delay_alu instid0(VALU_DEP_1)
	v_cmpx_eq_u32_e32 1, v13
	s_cbranch_execz .LBB861_504
; %bb.503:
	v_subrev_nc_u32_e32 v13, s8, v51
	s_delay_alu instid0(VALU_DEP_1)
	v_lshlrev_b32_e32 v13, 3, v13
	ds_store_b64 v13, v[15:16]
.LBB861_504:
	s_or_b32 exec_lo, exec_lo, s0
	v_and_b32_e32 v13, 1, v57
	s_mov_b32 s0, exec_lo
	s_delay_alu instid0(VALU_DEP_1)
	;; [unrolled: 12-line block ×7, first 2 shown]
	v_cmpx_eq_u32_e32 1, v1
	s_cbranch_execz .LBB861_516
; %bb.515:
	v_subrev_nc_u32_e32 v1, s8, v39
	s_delay_alu instid0(VALU_DEP_1)
	v_lshlrev_b32_e32 v1, 3, v1
	ds_store_b64 v1, v[3:4]
.LBB861_516:
	s_or_b32 exec_lo, exec_lo, s0
	s_delay_alu instid0(SALU_CYCLE_1)
	s_mov_b32 s1, exec_lo
	s_waitcnt lgkmcnt(0)
	s_waitcnt_vscnt null, 0x0
	s_barrier
	buffer_gl0_inv
	v_cmpx_lt_u32_e64 v0, v35
	s_cbranch_execz .LBB861_519
; %bb.517:
	s_mov_b32 s9, 0
	s_lshl_b64 s[2:3], s[12:13], 3
	s_lshl_b64 s[4:5], s[8:9], 3
	v_mov_b32_e32 v3, v0
	s_add_u32 s0, s2, s4
	s_addc_u32 s2, s3, s5
	s_add_u32 s0, s6, s0
	s_addc_u32 s2, s7, s2
	v_add_co_u32 v1, s0, s0, v55
	s_delay_alu instid0(VALU_DEP_1)
	v_add_co_ci_u32_e64 v2, null, s2, 0, s0
	.p2align	6
.LBB861_518:                            ; =>This Inner Loop Header: Depth=1
	ds_load_b64 v[4:5], v55
	v_add_nc_u32_e32 v3, 0x200, v3
	v_add_nc_u32_e32 v55, 0x1000, v55
	s_delay_alu instid0(VALU_DEP_2) | instskip(SKIP_4) | instid1(VALU_DEP_1)
	v_cmp_ge_u32_e32 vcc_lo, v3, v35
	s_or_b32 s9, vcc_lo, s9
	s_waitcnt lgkmcnt(0)
	global_store_b64 v[1:2], v[4:5], off
	v_add_co_u32 v1, s0, 0x1000, v1
	v_add_co_ci_u32_e64 v2, s0, 0, v2, s0
	s_and_not1_b32 exec_lo, exec_lo, s9
	s_cbranch_execnz .LBB861_518
.LBB861_519:
	s_or_b32 exec_lo, exec_lo, s1
	v_cmp_eq_u32_e32 vcc_lo, 0, v0
	s_and_b32 s0, vcc_lo, s14
	s_delay_alu instid0(SALU_CYCLE_1)
	s_and_saveexec_b32 s1, s0
	s_cbranch_execnz .LBB861_498
.LBB861_520:
	s_nop 0
	s_sendmsg sendmsg(MSG_DEALLOC_VGPRS)
	s_endpgm
	.section	.rodata,"a",@progbits
	.p2align	6, 0x0
	.amdhsa_kernel _ZN7rocprim17ROCPRIM_400000_NS6detail17trampoline_kernelINS0_14default_configENS1_25partition_config_selectorILNS1_17partition_subalgoE9EllbEEZZNS1_14partition_implILS5_9ELb0ES3_jPlS8_PNS0_10empty_typeENS0_5tupleIJS8_S9_EEENSB_IJS8_SA_EEENS0_18inequality_wrapperIZN2at6native12_GLOBAL__N_124unique_dim_cuda_templateIdEESt5tupleIJNSF_6TensorESK_SK_EERKSK_lbbbEUlllE0_EEPmJS9_EEE10hipError_tPvRmT3_T4_T5_T6_T7_T9_mT8_P12ihipStream_tbDpT10_ENKUlT_T0_E_clISt17integral_constantIbLb1EES19_IbLb0EEEEDaS15_S16_EUlS15_E_NS1_11comp_targetILNS1_3genE9ELNS1_11target_archE1100ELNS1_3gpuE3ELNS1_3repE0EEENS1_30default_config_static_selectorELNS0_4arch9wavefront6targetE0EEEvT1_
		.amdhsa_group_segment_fixed_size 33804
		.amdhsa_private_segment_fixed_size 0
		.amdhsa_kernarg_size 120
		.amdhsa_user_sgpr_count 15
		.amdhsa_user_sgpr_dispatch_ptr 0
		.amdhsa_user_sgpr_queue_ptr 0
		.amdhsa_user_sgpr_kernarg_segment_ptr 1
		.amdhsa_user_sgpr_dispatch_id 0
		.amdhsa_user_sgpr_private_segment_size 0
		.amdhsa_wavefront_size32 1
		.amdhsa_uses_dynamic_stack 0
		.amdhsa_enable_private_segment 0
		.amdhsa_system_sgpr_workgroup_id_x 1
		.amdhsa_system_sgpr_workgroup_id_y 0
		.amdhsa_system_sgpr_workgroup_id_z 0
		.amdhsa_system_sgpr_workgroup_info 0
		.amdhsa_system_vgpr_workitem_id 0
		.amdhsa_next_free_vgpr 68
		.amdhsa_next_free_sgpr 36
		.amdhsa_reserve_vcc 1
		.amdhsa_float_round_mode_32 0
		.amdhsa_float_round_mode_16_64 0
		.amdhsa_float_denorm_mode_32 3
		.amdhsa_float_denorm_mode_16_64 3
		.amdhsa_dx10_clamp 1
		.amdhsa_ieee_mode 1
		.amdhsa_fp16_overflow 0
		.amdhsa_workgroup_processor_mode 1
		.amdhsa_memory_ordered 1
		.amdhsa_forward_progress 0
		.amdhsa_shared_vgpr_count 0
		.amdhsa_exception_fp_ieee_invalid_op 0
		.amdhsa_exception_fp_denorm_src 0
		.amdhsa_exception_fp_ieee_div_zero 0
		.amdhsa_exception_fp_ieee_overflow 0
		.amdhsa_exception_fp_ieee_underflow 0
		.amdhsa_exception_fp_ieee_inexact 0
		.amdhsa_exception_int_div_zero 0
	.end_amdhsa_kernel
	.section	.text._ZN7rocprim17ROCPRIM_400000_NS6detail17trampoline_kernelINS0_14default_configENS1_25partition_config_selectorILNS1_17partition_subalgoE9EllbEEZZNS1_14partition_implILS5_9ELb0ES3_jPlS8_PNS0_10empty_typeENS0_5tupleIJS8_S9_EEENSB_IJS8_SA_EEENS0_18inequality_wrapperIZN2at6native12_GLOBAL__N_124unique_dim_cuda_templateIdEESt5tupleIJNSF_6TensorESK_SK_EERKSK_lbbbEUlllE0_EEPmJS9_EEE10hipError_tPvRmT3_T4_T5_T6_T7_T9_mT8_P12ihipStream_tbDpT10_ENKUlT_T0_E_clISt17integral_constantIbLb1EES19_IbLb0EEEEDaS15_S16_EUlS15_E_NS1_11comp_targetILNS1_3genE9ELNS1_11target_archE1100ELNS1_3gpuE3ELNS1_3repE0EEENS1_30default_config_static_selectorELNS0_4arch9wavefront6targetE0EEEvT1_,"axG",@progbits,_ZN7rocprim17ROCPRIM_400000_NS6detail17trampoline_kernelINS0_14default_configENS1_25partition_config_selectorILNS1_17partition_subalgoE9EllbEEZZNS1_14partition_implILS5_9ELb0ES3_jPlS8_PNS0_10empty_typeENS0_5tupleIJS8_S9_EEENSB_IJS8_SA_EEENS0_18inequality_wrapperIZN2at6native12_GLOBAL__N_124unique_dim_cuda_templateIdEESt5tupleIJNSF_6TensorESK_SK_EERKSK_lbbbEUlllE0_EEPmJS9_EEE10hipError_tPvRmT3_T4_T5_T6_T7_T9_mT8_P12ihipStream_tbDpT10_ENKUlT_T0_E_clISt17integral_constantIbLb1EES19_IbLb0EEEEDaS15_S16_EUlS15_E_NS1_11comp_targetILNS1_3genE9ELNS1_11target_archE1100ELNS1_3gpuE3ELNS1_3repE0EEENS1_30default_config_static_selectorELNS0_4arch9wavefront6targetE0EEEvT1_,comdat
.Lfunc_end861:
	.size	_ZN7rocprim17ROCPRIM_400000_NS6detail17trampoline_kernelINS0_14default_configENS1_25partition_config_selectorILNS1_17partition_subalgoE9EllbEEZZNS1_14partition_implILS5_9ELb0ES3_jPlS8_PNS0_10empty_typeENS0_5tupleIJS8_S9_EEENSB_IJS8_SA_EEENS0_18inequality_wrapperIZN2at6native12_GLOBAL__N_124unique_dim_cuda_templateIdEESt5tupleIJNSF_6TensorESK_SK_EERKSK_lbbbEUlllE0_EEPmJS9_EEE10hipError_tPvRmT3_T4_T5_T6_T7_T9_mT8_P12ihipStream_tbDpT10_ENKUlT_T0_E_clISt17integral_constantIbLb1EES19_IbLb0EEEEDaS15_S16_EUlS15_E_NS1_11comp_targetILNS1_3genE9ELNS1_11target_archE1100ELNS1_3gpuE3ELNS1_3repE0EEENS1_30default_config_static_selectorELNS0_4arch9wavefront6targetE0EEEvT1_, .Lfunc_end861-_ZN7rocprim17ROCPRIM_400000_NS6detail17trampoline_kernelINS0_14default_configENS1_25partition_config_selectorILNS1_17partition_subalgoE9EllbEEZZNS1_14partition_implILS5_9ELb0ES3_jPlS8_PNS0_10empty_typeENS0_5tupleIJS8_S9_EEENSB_IJS8_SA_EEENS0_18inequality_wrapperIZN2at6native12_GLOBAL__N_124unique_dim_cuda_templateIdEESt5tupleIJNSF_6TensorESK_SK_EERKSK_lbbbEUlllE0_EEPmJS9_EEE10hipError_tPvRmT3_T4_T5_T6_T7_T9_mT8_P12ihipStream_tbDpT10_ENKUlT_T0_E_clISt17integral_constantIbLb1EES19_IbLb0EEEEDaS15_S16_EUlS15_E_NS1_11comp_targetILNS1_3genE9ELNS1_11target_archE1100ELNS1_3gpuE3ELNS1_3repE0EEENS1_30default_config_static_selectorELNS0_4arch9wavefront6targetE0EEEvT1_
                                        ; -- End function
	.section	.AMDGPU.csdata,"",@progbits
; Kernel info:
; codeLenInByte = 20588
; NumSgprs: 38
; NumVgprs: 68
; ScratchSize: 0
; MemoryBound: 1
; FloatMode: 240
; IeeeMode: 1
; LDSByteSize: 33804 bytes/workgroup (compile time only)
; SGPRBlocks: 4
; VGPRBlocks: 8
; NumSGPRsForWavesPerEU: 38
; NumVGPRsForWavesPerEU: 68
; Occupancy: 12
; WaveLimiterHint : 1
; COMPUTE_PGM_RSRC2:SCRATCH_EN: 0
; COMPUTE_PGM_RSRC2:USER_SGPR: 15
; COMPUTE_PGM_RSRC2:TRAP_HANDLER: 0
; COMPUTE_PGM_RSRC2:TGID_X_EN: 1
; COMPUTE_PGM_RSRC2:TGID_Y_EN: 0
; COMPUTE_PGM_RSRC2:TGID_Z_EN: 0
; COMPUTE_PGM_RSRC2:TIDIG_COMP_CNT: 0
	.section	.text._ZN7rocprim17ROCPRIM_400000_NS6detail17trampoline_kernelINS0_14default_configENS1_25partition_config_selectorILNS1_17partition_subalgoE9EllbEEZZNS1_14partition_implILS5_9ELb0ES3_jPlS8_PNS0_10empty_typeENS0_5tupleIJS8_S9_EEENSB_IJS8_SA_EEENS0_18inequality_wrapperIZN2at6native12_GLOBAL__N_124unique_dim_cuda_templateIdEESt5tupleIJNSF_6TensorESK_SK_EERKSK_lbbbEUlllE0_EEPmJS9_EEE10hipError_tPvRmT3_T4_T5_T6_T7_T9_mT8_P12ihipStream_tbDpT10_ENKUlT_T0_E_clISt17integral_constantIbLb1EES19_IbLb0EEEEDaS15_S16_EUlS15_E_NS1_11comp_targetILNS1_3genE8ELNS1_11target_archE1030ELNS1_3gpuE2ELNS1_3repE0EEENS1_30default_config_static_selectorELNS0_4arch9wavefront6targetE0EEEvT1_,"axG",@progbits,_ZN7rocprim17ROCPRIM_400000_NS6detail17trampoline_kernelINS0_14default_configENS1_25partition_config_selectorILNS1_17partition_subalgoE9EllbEEZZNS1_14partition_implILS5_9ELb0ES3_jPlS8_PNS0_10empty_typeENS0_5tupleIJS8_S9_EEENSB_IJS8_SA_EEENS0_18inequality_wrapperIZN2at6native12_GLOBAL__N_124unique_dim_cuda_templateIdEESt5tupleIJNSF_6TensorESK_SK_EERKSK_lbbbEUlllE0_EEPmJS9_EEE10hipError_tPvRmT3_T4_T5_T6_T7_T9_mT8_P12ihipStream_tbDpT10_ENKUlT_T0_E_clISt17integral_constantIbLb1EES19_IbLb0EEEEDaS15_S16_EUlS15_E_NS1_11comp_targetILNS1_3genE8ELNS1_11target_archE1030ELNS1_3gpuE2ELNS1_3repE0EEENS1_30default_config_static_selectorELNS0_4arch9wavefront6targetE0EEEvT1_,comdat
	.globl	_ZN7rocprim17ROCPRIM_400000_NS6detail17trampoline_kernelINS0_14default_configENS1_25partition_config_selectorILNS1_17partition_subalgoE9EllbEEZZNS1_14partition_implILS5_9ELb0ES3_jPlS8_PNS0_10empty_typeENS0_5tupleIJS8_S9_EEENSB_IJS8_SA_EEENS0_18inequality_wrapperIZN2at6native12_GLOBAL__N_124unique_dim_cuda_templateIdEESt5tupleIJNSF_6TensorESK_SK_EERKSK_lbbbEUlllE0_EEPmJS9_EEE10hipError_tPvRmT3_T4_T5_T6_T7_T9_mT8_P12ihipStream_tbDpT10_ENKUlT_T0_E_clISt17integral_constantIbLb1EES19_IbLb0EEEEDaS15_S16_EUlS15_E_NS1_11comp_targetILNS1_3genE8ELNS1_11target_archE1030ELNS1_3gpuE2ELNS1_3repE0EEENS1_30default_config_static_selectorELNS0_4arch9wavefront6targetE0EEEvT1_ ; -- Begin function _ZN7rocprim17ROCPRIM_400000_NS6detail17trampoline_kernelINS0_14default_configENS1_25partition_config_selectorILNS1_17partition_subalgoE9EllbEEZZNS1_14partition_implILS5_9ELb0ES3_jPlS8_PNS0_10empty_typeENS0_5tupleIJS8_S9_EEENSB_IJS8_SA_EEENS0_18inequality_wrapperIZN2at6native12_GLOBAL__N_124unique_dim_cuda_templateIdEESt5tupleIJNSF_6TensorESK_SK_EERKSK_lbbbEUlllE0_EEPmJS9_EEE10hipError_tPvRmT3_T4_T5_T6_T7_T9_mT8_P12ihipStream_tbDpT10_ENKUlT_T0_E_clISt17integral_constantIbLb1EES19_IbLb0EEEEDaS15_S16_EUlS15_E_NS1_11comp_targetILNS1_3genE8ELNS1_11target_archE1030ELNS1_3gpuE2ELNS1_3repE0EEENS1_30default_config_static_selectorELNS0_4arch9wavefront6targetE0EEEvT1_
	.p2align	8
	.type	_ZN7rocprim17ROCPRIM_400000_NS6detail17trampoline_kernelINS0_14default_configENS1_25partition_config_selectorILNS1_17partition_subalgoE9EllbEEZZNS1_14partition_implILS5_9ELb0ES3_jPlS8_PNS0_10empty_typeENS0_5tupleIJS8_S9_EEENSB_IJS8_SA_EEENS0_18inequality_wrapperIZN2at6native12_GLOBAL__N_124unique_dim_cuda_templateIdEESt5tupleIJNSF_6TensorESK_SK_EERKSK_lbbbEUlllE0_EEPmJS9_EEE10hipError_tPvRmT3_T4_T5_T6_T7_T9_mT8_P12ihipStream_tbDpT10_ENKUlT_T0_E_clISt17integral_constantIbLb1EES19_IbLb0EEEEDaS15_S16_EUlS15_E_NS1_11comp_targetILNS1_3genE8ELNS1_11target_archE1030ELNS1_3gpuE2ELNS1_3repE0EEENS1_30default_config_static_selectorELNS0_4arch9wavefront6targetE0EEEvT1_,@function
_ZN7rocprim17ROCPRIM_400000_NS6detail17trampoline_kernelINS0_14default_configENS1_25partition_config_selectorILNS1_17partition_subalgoE9EllbEEZZNS1_14partition_implILS5_9ELb0ES3_jPlS8_PNS0_10empty_typeENS0_5tupleIJS8_S9_EEENSB_IJS8_SA_EEENS0_18inequality_wrapperIZN2at6native12_GLOBAL__N_124unique_dim_cuda_templateIdEESt5tupleIJNSF_6TensorESK_SK_EERKSK_lbbbEUlllE0_EEPmJS9_EEE10hipError_tPvRmT3_T4_T5_T6_T7_T9_mT8_P12ihipStream_tbDpT10_ENKUlT_T0_E_clISt17integral_constantIbLb1EES19_IbLb0EEEEDaS15_S16_EUlS15_E_NS1_11comp_targetILNS1_3genE8ELNS1_11target_archE1030ELNS1_3gpuE2ELNS1_3repE0EEENS1_30default_config_static_selectorELNS0_4arch9wavefront6targetE0EEEvT1_: ; @_ZN7rocprim17ROCPRIM_400000_NS6detail17trampoline_kernelINS0_14default_configENS1_25partition_config_selectorILNS1_17partition_subalgoE9EllbEEZZNS1_14partition_implILS5_9ELb0ES3_jPlS8_PNS0_10empty_typeENS0_5tupleIJS8_S9_EEENSB_IJS8_SA_EEENS0_18inequality_wrapperIZN2at6native12_GLOBAL__N_124unique_dim_cuda_templateIdEESt5tupleIJNSF_6TensorESK_SK_EERKSK_lbbbEUlllE0_EEPmJS9_EEE10hipError_tPvRmT3_T4_T5_T6_T7_T9_mT8_P12ihipStream_tbDpT10_ENKUlT_T0_E_clISt17integral_constantIbLb1EES19_IbLb0EEEEDaS15_S16_EUlS15_E_NS1_11comp_targetILNS1_3genE8ELNS1_11target_archE1030ELNS1_3gpuE2ELNS1_3repE0EEENS1_30default_config_static_selectorELNS0_4arch9wavefront6targetE0EEEvT1_
; %bb.0:
	.section	.rodata,"a",@progbits
	.p2align	6, 0x0
	.amdhsa_kernel _ZN7rocprim17ROCPRIM_400000_NS6detail17trampoline_kernelINS0_14default_configENS1_25partition_config_selectorILNS1_17partition_subalgoE9EllbEEZZNS1_14partition_implILS5_9ELb0ES3_jPlS8_PNS0_10empty_typeENS0_5tupleIJS8_S9_EEENSB_IJS8_SA_EEENS0_18inequality_wrapperIZN2at6native12_GLOBAL__N_124unique_dim_cuda_templateIdEESt5tupleIJNSF_6TensorESK_SK_EERKSK_lbbbEUlllE0_EEPmJS9_EEE10hipError_tPvRmT3_T4_T5_T6_T7_T9_mT8_P12ihipStream_tbDpT10_ENKUlT_T0_E_clISt17integral_constantIbLb1EES19_IbLb0EEEEDaS15_S16_EUlS15_E_NS1_11comp_targetILNS1_3genE8ELNS1_11target_archE1030ELNS1_3gpuE2ELNS1_3repE0EEENS1_30default_config_static_selectorELNS0_4arch9wavefront6targetE0EEEvT1_
		.amdhsa_group_segment_fixed_size 0
		.amdhsa_private_segment_fixed_size 0
		.amdhsa_kernarg_size 120
		.amdhsa_user_sgpr_count 15
		.amdhsa_user_sgpr_dispatch_ptr 0
		.amdhsa_user_sgpr_queue_ptr 0
		.amdhsa_user_sgpr_kernarg_segment_ptr 1
		.amdhsa_user_sgpr_dispatch_id 0
		.amdhsa_user_sgpr_private_segment_size 0
		.amdhsa_wavefront_size32 1
		.amdhsa_uses_dynamic_stack 0
		.amdhsa_enable_private_segment 0
		.amdhsa_system_sgpr_workgroup_id_x 1
		.amdhsa_system_sgpr_workgroup_id_y 0
		.amdhsa_system_sgpr_workgroup_id_z 0
		.amdhsa_system_sgpr_workgroup_info 0
		.amdhsa_system_vgpr_workitem_id 0
		.amdhsa_next_free_vgpr 1
		.amdhsa_next_free_sgpr 1
		.amdhsa_reserve_vcc 0
		.amdhsa_float_round_mode_32 0
		.amdhsa_float_round_mode_16_64 0
		.amdhsa_float_denorm_mode_32 3
		.amdhsa_float_denorm_mode_16_64 3
		.amdhsa_dx10_clamp 1
		.amdhsa_ieee_mode 1
		.amdhsa_fp16_overflow 0
		.amdhsa_workgroup_processor_mode 1
		.amdhsa_memory_ordered 1
		.amdhsa_forward_progress 0
		.amdhsa_shared_vgpr_count 0
		.amdhsa_exception_fp_ieee_invalid_op 0
		.amdhsa_exception_fp_denorm_src 0
		.amdhsa_exception_fp_ieee_div_zero 0
		.amdhsa_exception_fp_ieee_overflow 0
		.amdhsa_exception_fp_ieee_underflow 0
		.amdhsa_exception_fp_ieee_inexact 0
		.amdhsa_exception_int_div_zero 0
	.end_amdhsa_kernel
	.section	.text._ZN7rocprim17ROCPRIM_400000_NS6detail17trampoline_kernelINS0_14default_configENS1_25partition_config_selectorILNS1_17partition_subalgoE9EllbEEZZNS1_14partition_implILS5_9ELb0ES3_jPlS8_PNS0_10empty_typeENS0_5tupleIJS8_S9_EEENSB_IJS8_SA_EEENS0_18inequality_wrapperIZN2at6native12_GLOBAL__N_124unique_dim_cuda_templateIdEESt5tupleIJNSF_6TensorESK_SK_EERKSK_lbbbEUlllE0_EEPmJS9_EEE10hipError_tPvRmT3_T4_T5_T6_T7_T9_mT8_P12ihipStream_tbDpT10_ENKUlT_T0_E_clISt17integral_constantIbLb1EES19_IbLb0EEEEDaS15_S16_EUlS15_E_NS1_11comp_targetILNS1_3genE8ELNS1_11target_archE1030ELNS1_3gpuE2ELNS1_3repE0EEENS1_30default_config_static_selectorELNS0_4arch9wavefront6targetE0EEEvT1_,"axG",@progbits,_ZN7rocprim17ROCPRIM_400000_NS6detail17trampoline_kernelINS0_14default_configENS1_25partition_config_selectorILNS1_17partition_subalgoE9EllbEEZZNS1_14partition_implILS5_9ELb0ES3_jPlS8_PNS0_10empty_typeENS0_5tupleIJS8_S9_EEENSB_IJS8_SA_EEENS0_18inequality_wrapperIZN2at6native12_GLOBAL__N_124unique_dim_cuda_templateIdEESt5tupleIJNSF_6TensorESK_SK_EERKSK_lbbbEUlllE0_EEPmJS9_EEE10hipError_tPvRmT3_T4_T5_T6_T7_T9_mT8_P12ihipStream_tbDpT10_ENKUlT_T0_E_clISt17integral_constantIbLb1EES19_IbLb0EEEEDaS15_S16_EUlS15_E_NS1_11comp_targetILNS1_3genE8ELNS1_11target_archE1030ELNS1_3gpuE2ELNS1_3repE0EEENS1_30default_config_static_selectorELNS0_4arch9wavefront6targetE0EEEvT1_,comdat
.Lfunc_end862:
	.size	_ZN7rocprim17ROCPRIM_400000_NS6detail17trampoline_kernelINS0_14default_configENS1_25partition_config_selectorILNS1_17partition_subalgoE9EllbEEZZNS1_14partition_implILS5_9ELb0ES3_jPlS8_PNS0_10empty_typeENS0_5tupleIJS8_S9_EEENSB_IJS8_SA_EEENS0_18inequality_wrapperIZN2at6native12_GLOBAL__N_124unique_dim_cuda_templateIdEESt5tupleIJNSF_6TensorESK_SK_EERKSK_lbbbEUlllE0_EEPmJS9_EEE10hipError_tPvRmT3_T4_T5_T6_T7_T9_mT8_P12ihipStream_tbDpT10_ENKUlT_T0_E_clISt17integral_constantIbLb1EES19_IbLb0EEEEDaS15_S16_EUlS15_E_NS1_11comp_targetILNS1_3genE8ELNS1_11target_archE1030ELNS1_3gpuE2ELNS1_3repE0EEENS1_30default_config_static_selectorELNS0_4arch9wavefront6targetE0EEEvT1_, .Lfunc_end862-_ZN7rocprim17ROCPRIM_400000_NS6detail17trampoline_kernelINS0_14default_configENS1_25partition_config_selectorILNS1_17partition_subalgoE9EllbEEZZNS1_14partition_implILS5_9ELb0ES3_jPlS8_PNS0_10empty_typeENS0_5tupleIJS8_S9_EEENSB_IJS8_SA_EEENS0_18inequality_wrapperIZN2at6native12_GLOBAL__N_124unique_dim_cuda_templateIdEESt5tupleIJNSF_6TensorESK_SK_EERKSK_lbbbEUlllE0_EEPmJS9_EEE10hipError_tPvRmT3_T4_T5_T6_T7_T9_mT8_P12ihipStream_tbDpT10_ENKUlT_T0_E_clISt17integral_constantIbLb1EES19_IbLb0EEEEDaS15_S16_EUlS15_E_NS1_11comp_targetILNS1_3genE8ELNS1_11target_archE1030ELNS1_3gpuE2ELNS1_3repE0EEENS1_30default_config_static_selectorELNS0_4arch9wavefront6targetE0EEEvT1_
                                        ; -- End function
	.section	.AMDGPU.csdata,"",@progbits
; Kernel info:
; codeLenInByte = 0
; NumSgprs: 0
; NumVgprs: 0
; ScratchSize: 0
; MemoryBound: 0
; FloatMode: 240
; IeeeMode: 1
; LDSByteSize: 0 bytes/workgroup (compile time only)
; SGPRBlocks: 0
; VGPRBlocks: 0
; NumSGPRsForWavesPerEU: 1
; NumVGPRsForWavesPerEU: 1
; Occupancy: 16
; WaveLimiterHint : 0
; COMPUTE_PGM_RSRC2:SCRATCH_EN: 0
; COMPUTE_PGM_RSRC2:USER_SGPR: 15
; COMPUTE_PGM_RSRC2:TRAP_HANDLER: 0
; COMPUTE_PGM_RSRC2:TGID_X_EN: 1
; COMPUTE_PGM_RSRC2:TGID_Y_EN: 0
; COMPUTE_PGM_RSRC2:TGID_Z_EN: 0
; COMPUTE_PGM_RSRC2:TIDIG_COMP_CNT: 0
	.section	.text._ZN7rocprim17ROCPRIM_400000_NS6detail17trampoline_kernelINS0_14default_configENS1_25partition_config_selectorILNS1_17partition_subalgoE9EllbEEZZNS1_14partition_implILS5_9ELb0ES3_jPlS8_PNS0_10empty_typeENS0_5tupleIJS8_S9_EEENSB_IJS8_SA_EEENS0_18inequality_wrapperIZN2at6native12_GLOBAL__N_124unique_dim_cuda_templateIdEESt5tupleIJNSF_6TensorESK_SK_EERKSK_lbbbEUlllE0_EEPmJS9_EEE10hipError_tPvRmT3_T4_T5_T6_T7_T9_mT8_P12ihipStream_tbDpT10_ENKUlT_T0_E_clISt17integral_constantIbLb0EES19_IbLb1EEEEDaS15_S16_EUlS15_E_NS1_11comp_targetILNS1_3genE0ELNS1_11target_archE4294967295ELNS1_3gpuE0ELNS1_3repE0EEENS1_30default_config_static_selectorELNS0_4arch9wavefront6targetE0EEEvT1_,"axG",@progbits,_ZN7rocprim17ROCPRIM_400000_NS6detail17trampoline_kernelINS0_14default_configENS1_25partition_config_selectorILNS1_17partition_subalgoE9EllbEEZZNS1_14partition_implILS5_9ELb0ES3_jPlS8_PNS0_10empty_typeENS0_5tupleIJS8_S9_EEENSB_IJS8_SA_EEENS0_18inequality_wrapperIZN2at6native12_GLOBAL__N_124unique_dim_cuda_templateIdEESt5tupleIJNSF_6TensorESK_SK_EERKSK_lbbbEUlllE0_EEPmJS9_EEE10hipError_tPvRmT3_T4_T5_T6_T7_T9_mT8_P12ihipStream_tbDpT10_ENKUlT_T0_E_clISt17integral_constantIbLb0EES19_IbLb1EEEEDaS15_S16_EUlS15_E_NS1_11comp_targetILNS1_3genE0ELNS1_11target_archE4294967295ELNS1_3gpuE0ELNS1_3repE0EEENS1_30default_config_static_selectorELNS0_4arch9wavefront6targetE0EEEvT1_,comdat
	.globl	_ZN7rocprim17ROCPRIM_400000_NS6detail17trampoline_kernelINS0_14default_configENS1_25partition_config_selectorILNS1_17partition_subalgoE9EllbEEZZNS1_14partition_implILS5_9ELb0ES3_jPlS8_PNS0_10empty_typeENS0_5tupleIJS8_S9_EEENSB_IJS8_SA_EEENS0_18inequality_wrapperIZN2at6native12_GLOBAL__N_124unique_dim_cuda_templateIdEESt5tupleIJNSF_6TensorESK_SK_EERKSK_lbbbEUlllE0_EEPmJS9_EEE10hipError_tPvRmT3_T4_T5_T6_T7_T9_mT8_P12ihipStream_tbDpT10_ENKUlT_T0_E_clISt17integral_constantIbLb0EES19_IbLb1EEEEDaS15_S16_EUlS15_E_NS1_11comp_targetILNS1_3genE0ELNS1_11target_archE4294967295ELNS1_3gpuE0ELNS1_3repE0EEENS1_30default_config_static_selectorELNS0_4arch9wavefront6targetE0EEEvT1_ ; -- Begin function _ZN7rocprim17ROCPRIM_400000_NS6detail17trampoline_kernelINS0_14default_configENS1_25partition_config_selectorILNS1_17partition_subalgoE9EllbEEZZNS1_14partition_implILS5_9ELb0ES3_jPlS8_PNS0_10empty_typeENS0_5tupleIJS8_S9_EEENSB_IJS8_SA_EEENS0_18inequality_wrapperIZN2at6native12_GLOBAL__N_124unique_dim_cuda_templateIdEESt5tupleIJNSF_6TensorESK_SK_EERKSK_lbbbEUlllE0_EEPmJS9_EEE10hipError_tPvRmT3_T4_T5_T6_T7_T9_mT8_P12ihipStream_tbDpT10_ENKUlT_T0_E_clISt17integral_constantIbLb0EES19_IbLb1EEEEDaS15_S16_EUlS15_E_NS1_11comp_targetILNS1_3genE0ELNS1_11target_archE4294967295ELNS1_3gpuE0ELNS1_3repE0EEENS1_30default_config_static_selectorELNS0_4arch9wavefront6targetE0EEEvT1_
	.p2align	8
	.type	_ZN7rocprim17ROCPRIM_400000_NS6detail17trampoline_kernelINS0_14default_configENS1_25partition_config_selectorILNS1_17partition_subalgoE9EllbEEZZNS1_14partition_implILS5_9ELb0ES3_jPlS8_PNS0_10empty_typeENS0_5tupleIJS8_S9_EEENSB_IJS8_SA_EEENS0_18inequality_wrapperIZN2at6native12_GLOBAL__N_124unique_dim_cuda_templateIdEESt5tupleIJNSF_6TensorESK_SK_EERKSK_lbbbEUlllE0_EEPmJS9_EEE10hipError_tPvRmT3_T4_T5_T6_T7_T9_mT8_P12ihipStream_tbDpT10_ENKUlT_T0_E_clISt17integral_constantIbLb0EES19_IbLb1EEEEDaS15_S16_EUlS15_E_NS1_11comp_targetILNS1_3genE0ELNS1_11target_archE4294967295ELNS1_3gpuE0ELNS1_3repE0EEENS1_30default_config_static_selectorELNS0_4arch9wavefront6targetE0EEEvT1_,@function
_ZN7rocprim17ROCPRIM_400000_NS6detail17trampoline_kernelINS0_14default_configENS1_25partition_config_selectorILNS1_17partition_subalgoE9EllbEEZZNS1_14partition_implILS5_9ELb0ES3_jPlS8_PNS0_10empty_typeENS0_5tupleIJS8_S9_EEENSB_IJS8_SA_EEENS0_18inequality_wrapperIZN2at6native12_GLOBAL__N_124unique_dim_cuda_templateIdEESt5tupleIJNSF_6TensorESK_SK_EERKSK_lbbbEUlllE0_EEPmJS9_EEE10hipError_tPvRmT3_T4_T5_T6_T7_T9_mT8_P12ihipStream_tbDpT10_ENKUlT_T0_E_clISt17integral_constantIbLb0EES19_IbLb1EEEEDaS15_S16_EUlS15_E_NS1_11comp_targetILNS1_3genE0ELNS1_11target_archE4294967295ELNS1_3gpuE0ELNS1_3repE0EEENS1_30default_config_static_selectorELNS0_4arch9wavefront6targetE0EEEvT1_: ; @_ZN7rocprim17ROCPRIM_400000_NS6detail17trampoline_kernelINS0_14default_configENS1_25partition_config_selectorILNS1_17partition_subalgoE9EllbEEZZNS1_14partition_implILS5_9ELb0ES3_jPlS8_PNS0_10empty_typeENS0_5tupleIJS8_S9_EEENSB_IJS8_SA_EEENS0_18inequality_wrapperIZN2at6native12_GLOBAL__N_124unique_dim_cuda_templateIdEESt5tupleIJNSF_6TensorESK_SK_EERKSK_lbbbEUlllE0_EEPmJS9_EEE10hipError_tPvRmT3_T4_T5_T6_T7_T9_mT8_P12ihipStream_tbDpT10_ENKUlT_T0_E_clISt17integral_constantIbLb0EES19_IbLb1EEEEDaS15_S16_EUlS15_E_NS1_11comp_targetILNS1_3genE0ELNS1_11target_archE4294967295ELNS1_3gpuE0ELNS1_3repE0EEENS1_30default_config_static_selectorELNS0_4arch9wavefront6targetE0EEEvT1_
; %bb.0:
	.section	.rodata,"a",@progbits
	.p2align	6, 0x0
	.amdhsa_kernel _ZN7rocprim17ROCPRIM_400000_NS6detail17trampoline_kernelINS0_14default_configENS1_25partition_config_selectorILNS1_17partition_subalgoE9EllbEEZZNS1_14partition_implILS5_9ELb0ES3_jPlS8_PNS0_10empty_typeENS0_5tupleIJS8_S9_EEENSB_IJS8_SA_EEENS0_18inequality_wrapperIZN2at6native12_GLOBAL__N_124unique_dim_cuda_templateIdEESt5tupleIJNSF_6TensorESK_SK_EERKSK_lbbbEUlllE0_EEPmJS9_EEE10hipError_tPvRmT3_T4_T5_T6_T7_T9_mT8_P12ihipStream_tbDpT10_ENKUlT_T0_E_clISt17integral_constantIbLb0EES19_IbLb1EEEEDaS15_S16_EUlS15_E_NS1_11comp_targetILNS1_3genE0ELNS1_11target_archE4294967295ELNS1_3gpuE0ELNS1_3repE0EEENS1_30default_config_static_selectorELNS0_4arch9wavefront6targetE0EEEvT1_
		.amdhsa_group_segment_fixed_size 0
		.amdhsa_private_segment_fixed_size 0
		.amdhsa_kernarg_size 136
		.amdhsa_user_sgpr_count 15
		.amdhsa_user_sgpr_dispatch_ptr 0
		.amdhsa_user_sgpr_queue_ptr 0
		.amdhsa_user_sgpr_kernarg_segment_ptr 1
		.amdhsa_user_sgpr_dispatch_id 0
		.amdhsa_user_sgpr_private_segment_size 0
		.amdhsa_wavefront_size32 1
		.amdhsa_uses_dynamic_stack 0
		.amdhsa_enable_private_segment 0
		.amdhsa_system_sgpr_workgroup_id_x 1
		.amdhsa_system_sgpr_workgroup_id_y 0
		.amdhsa_system_sgpr_workgroup_id_z 0
		.amdhsa_system_sgpr_workgroup_info 0
		.amdhsa_system_vgpr_workitem_id 0
		.amdhsa_next_free_vgpr 1
		.amdhsa_next_free_sgpr 1
		.amdhsa_reserve_vcc 0
		.amdhsa_float_round_mode_32 0
		.amdhsa_float_round_mode_16_64 0
		.amdhsa_float_denorm_mode_32 3
		.amdhsa_float_denorm_mode_16_64 3
		.amdhsa_dx10_clamp 1
		.amdhsa_ieee_mode 1
		.amdhsa_fp16_overflow 0
		.amdhsa_workgroup_processor_mode 1
		.amdhsa_memory_ordered 1
		.amdhsa_forward_progress 0
		.amdhsa_shared_vgpr_count 0
		.amdhsa_exception_fp_ieee_invalid_op 0
		.amdhsa_exception_fp_denorm_src 0
		.amdhsa_exception_fp_ieee_div_zero 0
		.amdhsa_exception_fp_ieee_overflow 0
		.amdhsa_exception_fp_ieee_underflow 0
		.amdhsa_exception_fp_ieee_inexact 0
		.amdhsa_exception_int_div_zero 0
	.end_amdhsa_kernel
	.section	.text._ZN7rocprim17ROCPRIM_400000_NS6detail17trampoline_kernelINS0_14default_configENS1_25partition_config_selectorILNS1_17partition_subalgoE9EllbEEZZNS1_14partition_implILS5_9ELb0ES3_jPlS8_PNS0_10empty_typeENS0_5tupleIJS8_S9_EEENSB_IJS8_SA_EEENS0_18inequality_wrapperIZN2at6native12_GLOBAL__N_124unique_dim_cuda_templateIdEESt5tupleIJNSF_6TensorESK_SK_EERKSK_lbbbEUlllE0_EEPmJS9_EEE10hipError_tPvRmT3_T4_T5_T6_T7_T9_mT8_P12ihipStream_tbDpT10_ENKUlT_T0_E_clISt17integral_constantIbLb0EES19_IbLb1EEEEDaS15_S16_EUlS15_E_NS1_11comp_targetILNS1_3genE0ELNS1_11target_archE4294967295ELNS1_3gpuE0ELNS1_3repE0EEENS1_30default_config_static_selectorELNS0_4arch9wavefront6targetE0EEEvT1_,"axG",@progbits,_ZN7rocprim17ROCPRIM_400000_NS6detail17trampoline_kernelINS0_14default_configENS1_25partition_config_selectorILNS1_17partition_subalgoE9EllbEEZZNS1_14partition_implILS5_9ELb0ES3_jPlS8_PNS0_10empty_typeENS0_5tupleIJS8_S9_EEENSB_IJS8_SA_EEENS0_18inequality_wrapperIZN2at6native12_GLOBAL__N_124unique_dim_cuda_templateIdEESt5tupleIJNSF_6TensorESK_SK_EERKSK_lbbbEUlllE0_EEPmJS9_EEE10hipError_tPvRmT3_T4_T5_T6_T7_T9_mT8_P12ihipStream_tbDpT10_ENKUlT_T0_E_clISt17integral_constantIbLb0EES19_IbLb1EEEEDaS15_S16_EUlS15_E_NS1_11comp_targetILNS1_3genE0ELNS1_11target_archE4294967295ELNS1_3gpuE0ELNS1_3repE0EEENS1_30default_config_static_selectorELNS0_4arch9wavefront6targetE0EEEvT1_,comdat
.Lfunc_end863:
	.size	_ZN7rocprim17ROCPRIM_400000_NS6detail17trampoline_kernelINS0_14default_configENS1_25partition_config_selectorILNS1_17partition_subalgoE9EllbEEZZNS1_14partition_implILS5_9ELb0ES3_jPlS8_PNS0_10empty_typeENS0_5tupleIJS8_S9_EEENSB_IJS8_SA_EEENS0_18inequality_wrapperIZN2at6native12_GLOBAL__N_124unique_dim_cuda_templateIdEESt5tupleIJNSF_6TensorESK_SK_EERKSK_lbbbEUlllE0_EEPmJS9_EEE10hipError_tPvRmT3_T4_T5_T6_T7_T9_mT8_P12ihipStream_tbDpT10_ENKUlT_T0_E_clISt17integral_constantIbLb0EES19_IbLb1EEEEDaS15_S16_EUlS15_E_NS1_11comp_targetILNS1_3genE0ELNS1_11target_archE4294967295ELNS1_3gpuE0ELNS1_3repE0EEENS1_30default_config_static_selectorELNS0_4arch9wavefront6targetE0EEEvT1_, .Lfunc_end863-_ZN7rocprim17ROCPRIM_400000_NS6detail17trampoline_kernelINS0_14default_configENS1_25partition_config_selectorILNS1_17partition_subalgoE9EllbEEZZNS1_14partition_implILS5_9ELb0ES3_jPlS8_PNS0_10empty_typeENS0_5tupleIJS8_S9_EEENSB_IJS8_SA_EEENS0_18inequality_wrapperIZN2at6native12_GLOBAL__N_124unique_dim_cuda_templateIdEESt5tupleIJNSF_6TensorESK_SK_EERKSK_lbbbEUlllE0_EEPmJS9_EEE10hipError_tPvRmT3_T4_T5_T6_T7_T9_mT8_P12ihipStream_tbDpT10_ENKUlT_T0_E_clISt17integral_constantIbLb0EES19_IbLb1EEEEDaS15_S16_EUlS15_E_NS1_11comp_targetILNS1_3genE0ELNS1_11target_archE4294967295ELNS1_3gpuE0ELNS1_3repE0EEENS1_30default_config_static_selectorELNS0_4arch9wavefront6targetE0EEEvT1_
                                        ; -- End function
	.section	.AMDGPU.csdata,"",@progbits
; Kernel info:
; codeLenInByte = 0
; NumSgprs: 0
; NumVgprs: 0
; ScratchSize: 0
; MemoryBound: 0
; FloatMode: 240
; IeeeMode: 1
; LDSByteSize: 0 bytes/workgroup (compile time only)
; SGPRBlocks: 0
; VGPRBlocks: 0
; NumSGPRsForWavesPerEU: 1
; NumVGPRsForWavesPerEU: 1
; Occupancy: 16
; WaveLimiterHint : 0
; COMPUTE_PGM_RSRC2:SCRATCH_EN: 0
; COMPUTE_PGM_RSRC2:USER_SGPR: 15
; COMPUTE_PGM_RSRC2:TRAP_HANDLER: 0
; COMPUTE_PGM_RSRC2:TGID_X_EN: 1
; COMPUTE_PGM_RSRC2:TGID_Y_EN: 0
; COMPUTE_PGM_RSRC2:TGID_Z_EN: 0
; COMPUTE_PGM_RSRC2:TIDIG_COMP_CNT: 0
	.section	.text._ZN7rocprim17ROCPRIM_400000_NS6detail17trampoline_kernelINS0_14default_configENS1_25partition_config_selectorILNS1_17partition_subalgoE9EllbEEZZNS1_14partition_implILS5_9ELb0ES3_jPlS8_PNS0_10empty_typeENS0_5tupleIJS8_S9_EEENSB_IJS8_SA_EEENS0_18inequality_wrapperIZN2at6native12_GLOBAL__N_124unique_dim_cuda_templateIdEESt5tupleIJNSF_6TensorESK_SK_EERKSK_lbbbEUlllE0_EEPmJS9_EEE10hipError_tPvRmT3_T4_T5_T6_T7_T9_mT8_P12ihipStream_tbDpT10_ENKUlT_T0_E_clISt17integral_constantIbLb0EES19_IbLb1EEEEDaS15_S16_EUlS15_E_NS1_11comp_targetILNS1_3genE5ELNS1_11target_archE942ELNS1_3gpuE9ELNS1_3repE0EEENS1_30default_config_static_selectorELNS0_4arch9wavefront6targetE0EEEvT1_,"axG",@progbits,_ZN7rocprim17ROCPRIM_400000_NS6detail17trampoline_kernelINS0_14default_configENS1_25partition_config_selectorILNS1_17partition_subalgoE9EllbEEZZNS1_14partition_implILS5_9ELb0ES3_jPlS8_PNS0_10empty_typeENS0_5tupleIJS8_S9_EEENSB_IJS8_SA_EEENS0_18inequality_wrapperIZN2at6native12_GLOBAL__N_124unique_dim_cuda_templateIdEESt5tupleIJNSF_6TensorESK_SK_EERKSK_lbbbEUlllE0_EEPmJS9_EEE10hipError_tPvRmT3_T4_T5_T6_T7_T9_mT8_P12ihipStream_tbDpT10_ENKUlT_T0_E_clISt17integral_constantIbLb0EES19_IbLb1EEEEDaS15_S16_EUlS15_E_NS1_11comp_targetILNS1_3genE5ELNS1_11target_archE942ELNS1_3gpuE9ELNS1_3repE0EEENS1_30default_config_static_selectorELNS0_4arch9wavefront6targetE0EEEvT1_,comdat
	.globl	_ZN7rocprim17ROCPRIM_400000_NS6detail17trampoline_kernelINS0_14default_configENS1_25partition_config_selectorILNS1_17partition_subalgoE9EllbEEZZNS1_14partition_implILS5_9ELb0ES3_jPlS8_PNS0_10empty_typeENS0_5tupleIJS8_S9_EEENSB_IJS8_SA_EEENS0_18inequality_wrapperIZN2at6native12_GLOBAL__N_124unique_dim_cuda_templateIdEESt5tupleIJNSF_6TensorESK_SK_EERKSK_lbbbEUlllE0_EEPmJS9_EEE10hipError_tPvRmT3_T4_T5_T6_T7_T9_mT8_P12ihipStream_tbDpT10_ENKUlT_T0_E_clISt17integral_constantIbLb0EES19_IbLb1EEEEDaS15_S16_EUlS15_E_NS1_11comp_targetILNS1_3genE5ELNS1_11target_archE942ELNS1_3gpuE9ELNS1_3repE0EEENS1_30default_config_static_selectorELNS0_4arch9wavefront6targetE0EEEvT1_ ; -- Begin function _ZN7rocprim17ROCPRIM_400000_NS6detail17trampoline_kernelINS0_14default_configENS1_25partition_config_selectorILNS1_17partition_subalgoE9EllbEEZZNS1_14partition_implILS5_9ELb0ES3_jPlS8_PNS0_10empty_typeENS0_5tupleIJS8_S9_EEENSB_IJS8_SA_EEENS0_18inequality_wrapperIZN2at6native12_GLOBAL__N_124unique_dim_cuda_templateIdEESt5tupleIJNSF_6TensorESK_SK_EERKSK_lbbbEUlllE0_EEPmJS9_EEE10hipError_tPvRmT3_T4_T5_T6_T7_T9_mT8_P12ihipStream_tbDpT10_ENKUlT_T0_E_clISt17integral_constantIbLb0EES19_IbLb1EEEEDaS15_S16_EUlS15_E_NS1_11comp_targetILNS1_3genE5ELNS1_11target_archE942ELNS1_3gpuE9ELNS1_3repE0EEENS1_30default_config_static_selectorELNS0_4arch9wavefront6targetE0EEEvT1_
	.p2align	8
	.type	_ZN7rocprim17ROCPRIM_400000_NS6detail17trampoline_kernelINS0_14default_configENS1_25partition_config_selectorILNS1_17partition_subalgoE9EllbEEZZNS1_14partition_implILS5_9ELb0ES3_jPlS8_PNS0_10empty_typeENS0_5tupleIJS8_S9_EEENSB_IJS8_SA_EEENS0_18inequality_wrapperIZN2at6native12_GLOBAL__N_124unique_dim_cuda_templateIdEESt5tupleIJNSF_6TensorESK_SK_EERKSK_lbbbEUlllE0_EEPmJS9_EEE10hipError_tPvRmT3_T4_T5_T6_T7_T9_mT8_P12ihipStream_tbDpT10_ENKUlT_T0_E_clISt17integral_constantIbLb0EES19_IbLb1EEEEDaS15_S16_EUlS15_E_NS1_11comp_targetILNS1_3genE5ELNS1_11target_archE942ELNS1_3gpuE9ELNS1_3repE0EEENS1_30default_config_static_selectorELNS0_4arch9wavefront6targetE0EEEvT1_,@function
_ZN7rocprim17ROCPRIM_400000_NS6detail17trampoline_kernelINS0_14default_configENS1_25partition_config_selectorILNS1_17partition_subalgoE9EllbEEZZNS1_14partition_implILS5_9ELb0ES3_jPlS8_PNS0_10empty_typeENS0_5tupleIJS8_S9_EEENSB_IJS8_SA_EEENS0_18inequality_wrapperIZN2at6native12_GLOBAL__N_124unique_dim_cuda_templateIdEESt5tupleIJNSF_6TensorESK_SK_EERKSK_lbbbEUlllE0_EEPmJS9_EEE10hipError_tPvRmT3_T4_T5_T6_T7_T9_mT8_P12ihipStream_tbDpT10_ENKUlT_T0_E_clISt17integral_constantIbLb0EES19_IbLb1EEEEDaS15_S16_EUlS15_E_NS1_11comp_targetILNS1_3genE5ELNS1_11target_archE942ELNS1_3gpuE9ELNS1_3repE0EEENS1_30default_config_static_selectorELNS0_4arch9wavefront6targetE0EEEvT1_: ; @_ZN7rocprim17ROCPRIM_400000_NS6detail17trampoline_kernelINS0_14default_configENS1_25partition_config_selectorILNS1_17partition_subalgoE9EllbEEZZNS1_14partition_implILS5_9ELb0ES3_jPlS8_PNS0_10empty_typeENS0_5tupleIJS8_S9_EEENSB_IJS8_SA_EEENS0_18inequality_wrapperIZN2at6native12_GLOBAL__N_124unique_dim_cuda_templateIdEESt5tupleIJNSF_6TensorESK_SK_EERKSK_lbbbEUlllE0_EEPmJS9_EEE10hipError_tPvRmT3_T4_T5_T6_T7_T9_mT8_P12ihipStream_tbDpT10_ENKUlT_T0_E_clISt17integral_constantIbLb0EES19_IbLb1EEEEDaS15_S16_EUlS15_E_NS1_11comp_targetILNS1_3genE5ELNS1_11target_archE942ELNS1_3gpuE9ELNS1_3repE0EEENS1_30default_config_static_selectorELNS0_4arch9wavefront6targetE0EEEvT1_
; %bb.0:
	.section	.rodata,"a",@progbits
	.p2align	6, 0x0
	.amdhsa_kernel _ZN7rocprim17ROCPRIM_400000_NS6detail17trampoline_kernelINS0_14default_configENS1_25partition_config_selectorILNS1_17partition_subalgoE9EllbEEZZNS1_14partition_implILS5_9ELb0ES3_jPlS8_PNS0_10empty_typeENS0_5tupleIJS8_S9_EEENSB_IJS8_SA_EEENS0_18inequality_wrapperIZN2at6native12_GLOBAL__N_124unique_dim_cuda_templateIdEESt5tupleIJNSF_6TensorESK_SK_EERKSK_lbbbEUlllE0_EEPmJS9_EEE10hipError_tPvRmT3_T4_T5_T6_T7_T9_mT8_P12ihipStream_tbDpT10_ENKUlT_T0_E_clISt17integral_constantIbLb0EES19_IbLb1EEEEDaS15_S16_EUlS15_E_NS1_11comp_targetILNS1_3genE5ELNS1_11target_archE942ELNS1_3gpuE9ELNS1_3repE0EEENS1_30default_config_static_selectorELNS0_4arch9wavefront6targetE0EEEvT1_
		.amdhsa_group_segment_fixed_size 0
		.amdhsa_private_segment_fixed_size 0
		.amdhsa_kernarg_size 136
		.amdhsa_user_sgpr_count 15
		.amdhsa_user_sgpr_dispatch_ptr 0
		.amdhsa_user_sgpr_queue_ptr 0
		.amdhsa_user_sgpr_kernarg_segment_ptr 1
		.amdhsa_user_sgpr_dispatch_id 0
		.amdhsa_user_sgpr_private_segment_size 0
		.amdhsa_wavefront_size32 1
		.amdhsa_uses_dynamic_stack 0
		.amdhsa_enable_private_segment 0
		.amdhsa_system_sgpr_workgroup_id_x 1
		.amdhsa_system_sgpr_workgroup_id_y 0
		.amdhsa_system_sgpr_workgroup_id_z 0
		.amdhsa_system_sgpr_workgroup_info 0
		.amdhsa_system_vgpr_workitem_id 0
		.amdhsa_next_free_vgpr 1
		.amdhsa_next_free_sgpr 1
		.amdhsa_reserve_vcc 0
		.amdhsa_float_round_mode_32 0
		.amdhsa_float_round_mode_16_64 0
		.amdhsa_float_denorm_mode_32 3
		.amdhsa_float_denorm_mode_16_64 3
		.amdhsa_dx10_clamp 1
		.amdhsa_ieee_mode 1
		.amdhsa_fp16_overflow 0
		.amdhsa_workgroup_processor_mode 1
		.amdhsa_memory_ordered 1
		.amdhsa_forward_progress 0
		.amdhsa_shared_vgpr_count 0
		.amdhsa_exception_fp_ieee_invalid_op 0
		.amdhsa_exception_fp_denorm_src 0
		.amdhsa_exception_fp_ieee_div_zero 0
		.amdhsa_exception_fp_ieee_overflow 0
		.amdhsa_exception_fp_ieee_underflow 0
		.amdhsa_exception_fp_ieee_inexact 0
		.amdhsa_exception_int_div_zero 0
	.end_amdhsa_kernel
	.section	.text._ZN7rocprim17ROCPRIM_400000_NS6detail17trampoline_kernelINS0_14default_configENS1_25partition_config_selectorILNS1_17partition_subalgoE9EllbEEZZNS1_14partition_implILS5_9ELb0ES3_jPlS8_PNS0_10empty_typeENS0_5tupleIJS8_S9_EEENSB_IJS8_SA_EEENS0_18inequality_wrapperIZN2at6native12_GLOBAL__N_124unique_dim_cuda_templateIdEESt5tupleIJNSF_6TensorESK_SK_EERKSK_lbbbEUlllE0_EEPmJS9_EEE10hipError_tPvRmT3_T4_T5_T6_T7_T9_mT8_P12ihipStream_tbDpT10_ENKUlT_T0_E_clISt17integral_constantIbLb0EES19_IbLb1EEEEDaS15_S16_EUlS15_E_NS1_11comp_targetILNS1_3genE5ELNS1_11target_archE942ELNS1_3gpuE9ELNS1_3repE0EEENS1_30default_config_static_selectorELNS0_4arch9wavefront6targetE0EEEvT1_,"axG",@progbits,_ZN7rocprim17ROCPRIM_400000_NS6detail17trampoline_kernelINS0_14default_configENS1_25partition_config_selectorILNS1_17partition_subalgoE9EllbEEZZNS1_14partition_implILS5_9ELb0ES3_jPlS8_PNS0_10empty_typeENS0_5tupleIJS8_S9_EEENSB_IJS8_SA_EEENS0_18inequality_wrapperIZN2at6native12_GLOBAL__N_124unique_dim_cuda_templateIdEESt5tupleIJNSF_6TensorESK_SK_EERKSK_lbbbEUlllE0_EEPmJS9_EEE10hipError_tPvRmT3_T4_T5_T6_T7_T9_mT8_P12ihipStream_tbDpT10_ENKUlT_T0_E_clISt17integral_constantIbLb0EES19_IbLb1EEEEDaS15_S16_EUlS15_E_NS1_11comp_targetILNS1_3genE5ELNS1_11target_archE942ELNS1_3gpuE9ELNS1_3repE0EEENS1_30default_config_static_selectorELNS0_4arch9wavefront6targetE0EEEvT1_,comdat
.Lfunc_end864:
	.size	_ZN7rocprim17ROCPRIM_400000_NS6detail17trampoline_kernelINS0_14default_configENS1_25partition_config_selectorILNS1_17partition_subalgoE9EllbEEZZNS1_14partition_implILS5_9ELb0ES3_jPlS8_PNS0_10empty_typeENS0_5tupleIJS8_S9_EEENSB_IJS8_SA_EEENS0_18inequality_wrapperIZN2at6native12_GLOBAL__N_124unique_dim_cuda_templateIdEESt5tupleIJNSF_6TensorESK_SK_EERKSK_lbbbEUlllE0_EEPmJS9_EEE10hipError_tPvRmT3_T4_T5_T6_T7_T9_mT8_P12ihipStream_tbDpT10_ENKUlT_T0_E_clISt17integral_constantIbLb0EES19_IbLb1EEEEDaS15_S16_EUlS15_E_NS1_11comp_targetILNS1_3genE5ELNS1_11target_archE942ELNS1_3gpuE9ELNS1_3repE0EEENS1_30default_config_static_selectorELNS0_4arch9wavefront6targetE0EEEvT1_, .Lfunc_end864-_ZN7rocprim17ROCPRIM_400000_NS6detail17trampoline_kernelINS0_14default_configENS1_25partition_config_selectorILNS1_17partition_subalgoE9EllbEEZZNS1_14partition_implILS5_9ELb0ES3_jPlS8_PNS0_10empty_typeENS0_5tupleIJS8_S9_EEENSB_IJS8_SA_EEENS0_18inequality_wrapperIZN2at6native12_GLOBAL__N_124unique_dim_cuda_templateIdEESt5tupleIJNSF_6TensorESK_SK_EERKSK_lbbbEUlllE0_EEPmJS9_EEE10hipError_tPvRmT3_T4_T5_T6_T7_T9_mT8_P12ihipStream_tbDpT10_ENKUlT_T0_E_clISt17integral_constantIbLb0EES19_IbLb1EEEEDaS15_S16_EUlS15_E_NS1_11comp_targetILNS1_3genE5ELNS1_11target_archE942ELNS1_3gpuE9ELNS1_3repE0EEENS1_30default_config_static_selectorELNS0_4arch9wavefront6targetE0EEEvT1_
                                        ; -- End function
	.section	.AMDGPU.csdata,"",@progbits
; Kernel info:
; codeLenInByte = 0
; NumSgprs: 0
; NumVgprs: 0
; ScratchSize: 0
; MemoryBound: 0
; FloatMode: 240
; IeeeMode: 1
; LDSByteSize: 0 bytes/workgroup (compile time only)
; SGPRBlocks: 0
; VGPRBlocks: 0
; NumSGPRsForWavesPerEU: 1
; NumVGPRsForWavesPerEU: 1
; Occupancy: 16
; WaveLimiterHint : 0
; COMPUTE_PGM_RSRC2:SCRATCH_EN: 0
; COMPUTE_PGM_RSRC2:USER_SGPR: 15
; COMPUTE_PGM_RSRC2:TRAP_HANDLER: 0
; COMPUTE_PGM_RSRC2:TGID_X_EN: 1
; COMPUTE_PGM_RSRC2:TGID_Y_EN: 0
; COMPUTE_PGM_RSRC2:TGID_Z_EN: 0
; COMPUTE_PGM_RSRC2:TIDIG_COMP_CNT: 0
	.section	.text._ZN7rocprim17ROCPRIM_400000_NS6detail17trampoline_kernelINS0_14default_configENS1_25partition_config_selectorILNS1_17partition_subalgoE9EllbEEZZNS1_14partition_implILS5_9ELb0ES3_jPlS8_PNS0_10empty_typeENS0_5tupleIJS8_S9_EEENSB_IJS8_SA_EEENS0_18inequality_wrapperIZN2at6native12_GLOBAL__N_124unique_dim_cuda_templateIdEESt5tupleIJNSF_6TensorESK_SK_EERKSK_lbbbEUlllE0_EEPmJS9_EEE10hipError_tPvRmT3_T4_T5_T6_T7_T9_mT8_P12ihipStream_tbDpT10_ENKUlT_T0_E_clISt17integral_constantIbLb0EES19_IbLb1EEEEDaS15_S16_EUlS15_E_NS1_11comp_targetILNS1_3genE4ELNS1_11target_archE910ELNS1_3gpuE8ELNS1_3repE0EEENS1_30default_config_static_selectorELNS0_4arch9wavefront6targetE0EEEvT1_,"axG",@progbits,_ZN7rocprim17ROCPRIM_400000_NS6detail17trampoline_kernelINS0_14default_configENS1_25partition_config_selectorILNS1_17partition_subalgoE9EllbEEZZNS1_14partition_implILS5_9ELb0ES3_jPlS8_PNS0_10empty_typeENS0_5tupleIJS8_S9_EEENSB_IJS8_SA_EEENS0_18inequality_wrapperIZN2at6native12_GLOBAL__N_124unique_dim_cuda_templateIdEESt5tupleIJNSF_6TensorESK_SK_EERKSK_lbbbEUlllE0_EEPmJS9_EEE10hipError_tPvRmT3_T4_T5_T6_T7_T9_mT8_P12ihipStream_tbDpT10_ENKUlT_T0_E_clISt17integral_constantIbLb0EES19_IbLb1EEEEDaS15_S16_EUlS15_E_NS1_11comp_targetILNS1_3genE4ELNS1_11target_archE910ELNS1_3gpuE8ELNS1_3repE0EEENS1_30default_config_static_selectorELNS0_4arch9wavefront6targetE0EEEvT1_,comdat
	.globl	_ZN7rocprim17ROCPRIM_400000_NS6detail17trampoline_kernelINS0_14default_configENS1_25partition_config_selectorILNS1_17partition_subalgoE9EllbEEZZNS1_14partition_implILS5_9ELb0ES3_jPlS8_PNS0_10empty_typeENS0_5tupleIJS8_S9_EEENSB_IJS8_SA_EEENS0_18inequality_wrapperIZN2at6native12_GLOBAL__N_124unique_dim_cuda_templateIdEESt5tupleIJNSF_6TensorESK_SK_EERKSK_lbbbEUlllE0_EEPmJS9_EEE10hipError_tPvRmT3_T4_T5_T6_T7_T9_mT8_P12ihipStream_tbDpT10_ENKUlT_T0_E_clISt17integral_constantIbLb0EES19_IbLb1EEEEDaS15_S16_EUlS15_E_NS1_11comp_targetILNS1_3genE4ELNS1_11target_archE910ELNS1_3gpuE8ELNS1_3repE0EEENS1_30default_config_static_selectorELNS0_4arch9wavefront6targetE0EEEvT1_ ; -- Begin function _ZN7rocprim17ROCPRIM_400000_NS6detail17trampoline_kernelINS0_14default_configENS1_25partition_config_selectorILNS1_17partition_subalgoE9EllbEEZZNS1_14partition_implILS5_9ELb0ES3_jPlS8_PNS0_10empty_typeENS0_5tupleIJS8_S9_EEENSB_IJS8_SA_EEENS0_18inequality_wrapperIZN2at6native12_GLOBAL__N_124unique_dim_cuda_templateIdEESt5tupleIJNSF_6TensorESK_SK_EERKSK_lbbbEUlllE0_EEPmJS9_EEE10hipError_tPvRmT3_T4_T5_T6_T7_T9_mT8_P12ihipStream_tbDpT10_ENKUlT_T0_E_clISt17integral_constantIbLb0EES19_IbLb1EEEEDaS15_S16_EUlS15_E_NS1_11comp_targetILNS1_3genE4ELNS1_11target_archE910ELNS1_3gpuE8ELNS1_3repE0EEENS1_30default_config_static_selectorELNS0_4arch9wavefront6targetE0EEEvT1_
	.p2align	8
	.type	_ZN7rocprim17ROCPRIM_400000_NS6detail17trampoline_kernelINS0_14default_configENS1_25partition_config_selectorILNS1_17partition_subalgoE9EllbEEZZNS1_14partition_implILS5_9ELb0ES3_jPlS8_PNS0_10empty_typeENS0_5tupleIJS8_S9_EEENSB_IJS8_SA_EEENS0_18inequality_wrapperIZN2at6native12_GLOBAL__N_124unique_dim_cuda_templateIdEESt5tupleIJNSF_6TensorESK_SK_EERKSK_lbbbEUlllE0_EEPmJS9_EEE10hipError_tPvRmT3_T4_T5_T6_T7_T9_mT8_P12ihipStream_tbDpT10_ENKUlT_T0_E_clISt17integral_constantIbLb0EES19_IbLb1EEEEDaS15_S16_EUlS15_E_NS1_11comp_targetILNS1_3genE4ELNS1_11target_archE910ELNS1_3gpuE8ELNS1_3repE0EEENS1_30default_config_static_selectorELNS0_4arch9wavefront6targetE0EEEvT1_,@function
_ZN7rocprim17ROCPRIM_400000_NS6detail17trampoline_kernelINS0_14default_configENS1_25partition_config_selectorILNS1_17partition_subalgoE9EllbEEZZNS1_14partition_implILS5_9ELb0ES3_jPlS8_PNS0_10empty_typeENS0_5tupleIJS8_S9_EEENSB_IJS8_SA_EEENS0_18inequality_wrapperIZN2at6native12_GLOBAL__N_124unique_dim_cuda_templateIdEESt5tupleIJNSF_6TensorESK_SK_EERKSK_lbbbEUlllE0_EEPmJS9_EEE10hipError_tPvRmT3_T4_T5_T6_T7_T9_mT8_P12ihipStream_tbDpT10_ENKUlT_T0_E_clISt17integral_constantIbLb0EES19_IbLb1EEEEDaS15_S16_EUlS15_E_NS1_11comp_targetILNS1_3genE4ELNS1_11target_archE910ELNS1_3gpuE8ELNS1_3repE0EEENS1_30default_config_static_selectorELNS0_4arch9wavefront6targetE0EEEvT1_: ; @_ZN7rocprim17ROCPRIM_400000_NS6detail17trampoline_kernelINS0_14default_configENS1_25partition_config_selectorILNS1_17partition_subalgoE9EllbEEZZNS1_14partition_implILS5_9ELb0ES3_jPlS8_PNS0_10empty_typeENS0_5tupleIJS8_S9_EEENSB_IJS8_SA_EEENS0_18inequality_wrapperIZN2at6native12_GLOBAL__N_124unique_dim_cuda_templateIdEESt5tupleIJNSF_6TensorESK_SK_EERKSK_lbbbEUlllE0_EEPmJS9_EEE10hipError_tPvRmT3_T4_T5_T6_T7_T9_mT8_P12ihipStream_tbDpT10_ENKUlT_T0_E_clISt17integral_constantIbLb0EES19_IbLb1EEEEDaS15_S16_EUlS15_E_NS1_11comp_targetILNS1_3genE4ELNS1_11target_archE910ELNS1_3gpuE8ELNS1_3repE0EEENS1_30default_config_static_selectorELNS0_4arch9wavefront6targetE0EEEvT1_
; %bb.0:
	.section	.rodata,"a",@progbits
	.p2align	6, 0x0
	.amdhsa_kernel _ZN7rocprim17ROCPRIM_400000_NS6detail17trampoline_kernelINS0_14default_configENS1_25partition_config_selectorILNS1_17partition_subalgoE9EllbEEZZNS1_14partition_implILS5_9ELb0ES3_jPlS8_PNS0_10empty_typeENS0_5tupleIJS8_S9_EEENSB_IJS8_SA_EEENS0_18inequality_wrapperIZN2at6native12_GLOBAL__N_124unique_dim_cuda_templateIdEESt5tupleIJNSF_6TensorESK_SK_EERKSK_lbbbEUlllE0_EEPmJS9_EEE10hipError_tPvRmT3_T4_T5_T6_T7_T9_mT8_P12ihipStream_tbDpT10_ENKUlT_T0_E_clISt17integral_constantIbLb0EES19_IbLb1EEEEDaS15_S16_EUlS15_E_NS1_11comp_targetILNS1_3genE4ELNS1_11target_archE910ELNS1_3gpuE8ELNS1_3repE0EEENS1_30default_config_static_selectorELNS0_4arch9wavefront6targetE0EEEvT1_
		.amdhsa_group_segment_fixed_size 0
		.amdhsa_private_segment_fixed_size 0
		.amdhsa_kernarg_size 136
		.amdhsa_user_sgpr_count 15
		.amdhsa_user_sgpr_dispatch_ptr 0
		.amdhsa_user_sgpr_queue_ptr 0
		.amdhsa_user_sgpr_kernarg_segment_ptr 1
		.amdhsa_user_sgpr_dispatch_id 0
		.amdhsa_user_sgpr_private_segment_size 0
		.amdhsa_wavefront_size32 1
		.amdhsa_uses_dynamic_stack 0
		.amdhsa_enable_private_segment 0
		.amdhsa_system_sgpr_workgroup_id_x 1
		.amdhsa_system_sgpr_workgroup_id_y 0
		.amdhsa_system_sgpr_workgroup_id_z 0
		.amdhsa_system_sgpr_workgroup_info 0
		.amdhsa_system_vgpr_workitem_id 0
		.amdhsa_next_free_vgpr 1
		.amdhsa_next_free_sgpr 1
		.amdhsa_reserve_vcc 0
		.amdhsa_float_round_mode_32 0
		.amdhsa_float_round_mode_16_64 0
		.amdhsa_float_denorm_mode_32 3
		.amdhsa_float_denorm_mode_16_64 3
		.amdhsa_dx10_clamp 1
		.amdhsa_ieee_mode 1
		.amdhsa_fp16_overflow 0
		.amdhsa_workgroup_processor_mode 1
		.amdhsa_memory_ordered 1
		.amdhsa_forward_progress 0
		.amdhsa_shared_vgpr_count 0
		.amdhsa_exception_fp_ieee_invalid_op 0
		.amdhsa_exception_fp_denorm_src 0
		.amdhsa_exception_fp_ieee_div_zero 0
		.amdhsa_exception_fp_ieee_overflow 0
		.amdhsa_exception_fp_ieee_underflow 0
		.amdhsa_exception_fp_ieee_inexact 0
		.amdhsa_exception_int_div_zero 0
	.end_amdhsa_kernel
	.section	.text._ZN7rocprim17ROCPRIM_400000_NS6detail17trampoline_kernelINS0_14default_configENS1_25partition_config_selectorILNS1_17partition_subalgoE9EllbEEZZNS1_14partition_implILS5_9ELb0ES3_jPlS8_PNS0_10empty_typeENS0_5tupleIJS8_S9_EEENSB_IJS8_SA_EEENS0_18inequality_wrapperIZN2at6native12_GLOBAL__N_124unique_dim_cuda_templateIdEESt5tupleIJNSF_6TensorESK_SK_EERKSK_lbbbEUlllE0_EEPmJS9_EEE10hipError_tPvRmT3_T4_T5_T6_T7_T9_mT8_P12ihipStream_tbDpT10_ENKUlT_T0_E_clISt17integral_constantIbLb0EES19_IbLb1EEEEDaS15_S16_EUlS15_E_NS1_11comp_targetILNS1_3genE4ELNS1_11target_archE910ELNS1_3gpuE8ELNS1_3repE0EEENS1_30default_config_static_selectorELNS0_4arch9wavefront6targetE0EEEvT1_,"axG",@progbits,_ZN7rocprim17ROCPRIM_400000_NS6detail17trampoline_kernelINS0_14default_configENS1_25partition_config_selectorILNS1_17partition_subalgoE9EllbEEZZNS1_14partition_implILS5_9ELb0ES3_jPlS8_PNS0_10empty_typeENS0_5tupleIJS8_S9_EEENSB_IJS8_SA_EEENS0_18inequality_wrapperIZN2at6native12_GLOBAL__N_124unique_dim_cuda_templateIdEESt5tupleIJNSF_6TensorESK_SK_EERKSK_lbbbEUlllE0_EEPmJS9_EEE10hipError_tPvRmT3_T4_T5_T6_T7_T9_mT8_P12ihipStream_tbDpT10_ENKUlT_T0_E_clISt17integral_constantIbLb0EES19_IbLb1EEEEDaS15_S16_EUlS15_E_NS1_11comp_targetILNS1_3genE4ELNS1_11target_archE910ELNS1_3gpuE8ELNS1_3repE0EEENS1_30default_config_static_selectorELNS0_4arch9wavefront6targetE0EEEvT1_,comdat
.Lfunc_end865:
	.size	_ZN7rocprim17ROCPRIM_400000_NS6detail17trampoline_kernelINS0_14default_configENS1_25partition_config_selectorILNS1_17partition_subalgoE9EllbEEZZNS1_14partition_implILS5_9ELb0ES3_jPlS8_PNS0_10empty_typeENS0_5tupleIJS8_S9_EEENSB_IJS8_SA_EEENS0_18inequality_wrapperIZN2at6native12_GLOBAL__N_124unique_dim_cuda_templateIdEESt5tupleIJNSF_6TensorESK_SK_EERKSK_lbbbEUlllE0_EEPmJS9_EEE10hipError_tPvRmT3_T4_T5_T6_T7_T9_mT8_P12ihipStream_tbDpT10_ENKUlT_T0_E_clISt17integral_constantIbLb0EES19_IbLb1EEEEDaS15_S16_EUlS15_E_NS1_11comp_targetILNS1_3genE4ELNS1_11target_archE910ELNS1_3gpuE8ELNS1_3repE0EEENS1_30default_config_static_selectorELNS0_4arch9wavefront6targetE0EEEvT1_, .Lfunc_end865-_ZN7rocprim17ROCPRIM_400000_NS6detail17trampoline_kernelINS0_14default_configENS1_25partition_config_selectorILNS1_17partition_subalgoE9EllbEEZZNS1_14partition_implILS5_9ELb0ES3_jPlS8_PNS0_10empty_typeENS0_5tupleIJS8_S9_EEENSB_IJS8_SA_EEENS0_18inequality_wrapperIZN2at6native12_GLOBAL__N_124unique_dim_cuda_templateIdEESt5tupleIJNSF_6TensorESK_SK_EERKSK_lbbbEUlllE0_EEPmJS9_EEE10hipError_tPvRmT3_T4_T5_T6_T7_T9_mT8_P12ihipStream_tbDpT10_ENKUlT_T0_E_clISt17integral_constantIbLb0EES19_IbLb1EEEEDaS15_S16_EUlS15_E_NS1_11comp_targetILNS1_3genE4ELNS1_11target_archE910ELNS1_3gpuE8ELNS1_3repE0EEENS1_30default_config_static_selectorELNS0_4arch9wavefront6targetE0EEEvT1_
                                        ; -- End function
	.section	.AMDGPU.csdata,"",@progbits
; Kernel info:
; codeLenInByte = 0
; NumSgprs: 0
; NumVgprs: 0
; ScratchSize: 0
; MemoryBound: 0
; FloatMode: 240
; IeeeMode: 1
; LDSByteSize: 0 bytes/workgroup (compile time only)
; SGPRBlocks: 0
; VGPRBlocks: 0
; NumSGPRsForWavesPerEU: 1
; NumVGPRsForWavesPerEU: 1
; Occupancy: 16
; WaveLimiterHint : 0
; COMPUTE_PGM_RSRC2:SCRATCH_EN: 0
; COMPUTE_PGM_RSRC2:USER_SGPR: 15
; COMPUTE_PGM_RSRC2:TRAP_HANDLER: 0
; COMPUTE_PGM_RSRC2:TGID_X_EN: 1
; COMPUTE_PGM_RSRC2:TGID_Y_EN: 0
; COMPUTE_PGM_RSRC2:TGID_Z_EN: 0
; COMPUTE_PGM_RSRC2:TIDIG_COMP_CNT: 0
	.section	.text._ZN7rocprim17ROCPRIM_400000_NS6detail17trampoline_kernelINS0_14default_configENS1_25partition_config_selectorILNS1_17partition_subalgoE9EllbEEZZNS1_14partition_implILS5_9ELb0ES3_jPlS8_PNS0_10empty_typeENS0_5tupleIJS8_S9_EEENSB_IJS8_SA_EEENS0_18inequality_wrapperIZN2at6native12_GLOBAL__N_124unique_dim_cuda_templateIdEESt5tupleIJNSF_6TensorESK_SK_EERKSK_lbbbEUlllE0_EEPmJS9_EEE10hipError_tPvRmT3_T4_T5_T6_T7_T9_mT8_P12ihipStream_tbDpT10_ENKUlT_T0_E_clISt17integral_constantIbLb0EES19_IbLb1EEEEDaS15_S16_EUlS15_E_NS1_11comp_targetILNS1_3genE3ELNS1_11target_archE908ELNS1_3gpuE7ELNS1_3repE0EEENS1_30default_config_static_selectorELNS0_4arch9wavefront6targetE0EEEvT1_,"axG",@progbits,_ZN7rocprim17ROCPRIM_400000_NS6detail17trampoline_kernelINS0_14default_configENS1_25partition_config_selectorILNS1_17partition_subalgoE9EllbEEZZNS1_14partition_implILS5_9ELb0ES3_jPlS8_PNS0_10empty_typeENS0_5tupleIJS8_S9_EEENSB_IJS8_SA_EEENS0_18inequality_wrapperIZN2at6native12_GLOBAL__N_124unique_dim_cuda_templateIdEESt5tupleIJNSF_6TensorESK_SK_EERKSK_lbbbEUlllE0_EEPmJS9_EEE10hipError_tPvRmT3_T4_T5_T6_T7_T9_mT8_P12ihipStream_tbDpT10_ENKUlT_T0_E_clISt17integral_constantIbLb0EES19_IbLb1EEEEDaS15_S16_EUlS15_E_NS1_11comp_targetILNS1_3genE3ELNS1_11target_archE908ELNS1_3gpuE7ELNS1_3repE0EEENS1_30default_config_static_selectorELNS0_4arch9wavefront6targetE0EEEvT1_,comdat
	.globl	_ZN7rocprim17ROCPRIM_400000_NS6detail17trampoline_kernelINS0_14default_configENS1_25partition_config_selectorILNS1_17partition_subalgoE9EllbEEZZNS1_14partition_implILS5_9ELb0ES3_jPlS8_PNS0_10empty_typeENS0_5tupleIJS8_S9_EEENSB_IJS8_SA_EEENS0_18inequality_wrapperIZN2at6native12_GLOBAL__N_124unique_dim_cuda_templateIdEESt5tupleIJNSF_6TensorESK_SK_EERKSK_lbbbEUlllE0_EEPmJS9_EEE10hipError_tPvRmT3_T4_T5_T6_T7_T9_mT8_P12ihipStream_tbDpT10_ENKUlT_T0_E_clISt17integral_constantIbLb0EES19_IbLb1EEEEDaS15_S16_EUlS15_E_NS1_11comp_targetILNS1_3genE3ELNS1_11target_archE908ELNS1_3gpuE7ELNS1_3repE0EEENS1_30default_config_static_selectorELNS0_4arch9wavefront6targetE0EEEvT1_ ; -- Begin function _ZN7rocprim17ROCPRIM_400000_NS6detail17trampoline_kernelINS0_14default_configENS1_25partition_config_selectorILNS1_17partition_subalgoE9EllbEEZZNS1_14partition_implILS5_9ELb0ES3_jPlS8_PNS0_10empty_typeENS0_5tupleIJS8_S9_EEENSB_IJS8_SA_EEENS0_18inequality_wrapperIZN2at6native12_GLOBAL__N_124unique_dim_cuda_templateIdEESt5tupleIJNSF_6TensorESK_SK_EERKSK_lbbbEUlllE0_EEPmJS9_EEE10hipError_tPvRmT3_T4_T5_T6_T7_T9_mT8_P12ihipStream_tbDpT10_ENKUlT_T0_E_clISt17integral_constantIbLb0EES19_IbLb1EEEEDaS15_S16_EUlS15_E_NS1_11comp_targetILNS1_3genE3ELNS1_11target_archE908ELNS1_3gpuE7ELNS1_3repE0EEENS1_30default_config_static_selectorELNS0_4arch9wavefront6targetE0EEEvT1_
	.p2align	8
	.type	_ZN7rocprim17ROCPRIM_400000_NS6detail17trampoline_kernelINS0_14default_configENS1_25partition_config_selectorILNS1_17partition_subalgoE9EllbEEZZNS1_14partition_implILS5_9ELb0ES3_jPlS8_PNS0_10empty_typeENS0_5tupleIJS8_S9_EEENSB_IJS8_SA_EEENS0_18inequality_wrapperIZN2at6native12_GLOBAL__N_124unique_dim_cuda_templateIdEESt5tupleIJNSF_6TensorESK_SK_EERKSK_lbbbEUlllE0_EEPmJS9_EEE10hipError_tPvRmT3_T4_T5_T6_T7_T9_mT8_P12ihipStream_tbDpT10_ENKUlT_T0_E_clISt17integral_constantIbLb0EES19_IbLb1EEEEDaS15_S16_EUlS15_E_NS1_11comp_targetILNS1_3genE3ELNS1_11target_archE908ELNS1_3gpuE7ELNS1_3repE0EEENS1_30default_config_static_selectorELNS0_4arch9wavefront6targetE0EEEvT1_,@function
_ZN7rocprim17ROCPRIM_400000_NS6detail17trampoline_kernelINS0_14default_configENS1_25partition_config_selectorILNS1_17partition_subalgoE9EllbEEZZNS1_14partition_implILS5_9ELb0ES3_jPlS8_PNS0_10empty_typeENS0_5tupleIJS8_S9_EEENSB_IJS8_SA_EEENS0_18inequality_wrapperIZN2at6native12_GLOBAL__N_124unique_dim_cuda_templateIdEESt5tupleIJNSF_6TensorESK_SK_EERKSK_lbbbEUlllE0_EEPmJS9_EEE10hipError_tPvRmT3_T4_T5_T6_T7_T9_mT8_P12ihipStream_tbDpT10_ENKUlT_T0_E_clISt17integral_constantIbLb0EES19_IbLb1EEEEDaS15_S16_EUlS15_E_NS1_11comp_targetILNS1_3genE3ELNS1_11target_archE908ELNS1_3gpuE7ELNS1_3repE0EEENS1_30default_config_static_selectorELNS0_4arch9wavefront6targetE0EEEvT1_: ; @_ZN7rocprim17ROCPRIM_400000_NS6detail17trampoline_kernelINS0_14default_configENS1_25partition_config_selectorILNS1_17partition_subalgoE9EllbEEZZNS1_14partition_implILS5_9ELb0ES3_jPlS8_PNS0_10empty_typeENS0_5tupleIJS8_S9_EEENSB_IJS8_SA_EEENS0_18inequality_wrapperIZN2at6native12_GLOBAL__N_124unique_dim_cuda_templateIdEESt5tupleIJNSF_6TensorESK_SK_EERKSK_lbbbEUlllE0_EEPmJS9_EEE10hipError_tPvRmT3_T4_T5_T6_T7_T9_mT8_P12ihipStream_tbDpT10_ENKUlT_T0_E_clISt17integral_constantIbLb0EES19_IbLb1EEEEDaS15_S16_EUlS15_E_NS1_11comp_targetILNS1_3genE3ELNS1_11target_archE908ELNS1_3gpuE7ELNS1_3repE0EEENS1_30default_config_static_selectorELNS0_4arch9wavefront6targetE0EEEvT1_
; %bb.0:
	.section	.rodata,"a",@progbits
	.p2align	6, 0x0
	.amdhsa_kernel _ZN7rocprim17ROCPRIM_400000_NS6detail17trampoline_kernelINS0_14default_configENS1_25partition_config_selectorILNS1_17partition_subalgoE9EllbEEZZNS1_14partition_implILS5_9ELb0ES3_jPlS8_PNS0_10empty_typeENS0_5tupleIJS8_S9_EEENSB_IJS8_SA_EEENS0_18inequality_wrapperIZN2at6native12_GLOBAL__N_124unique_dim_cuda_templateIdEESt5tupleIJNSF_6TensorESK_SK_EERKSK_lbbbEUlllE0_EEPmJS9_EEE10hipError_tPvRmT3_T4_T5_T6_T7_T9_mT8_P12ihipStream_tbDpT10_ENKUlT_T0_E_clISt17integral_constantIbLb0EES19_IbLb1EEEEDaS15_S16_EUlS15_E_NS1_11comp_targetILNS1_3genE3ELNS1_11target_archE908ELNS1_3gpuE7ELNS1_3repE0EEENS1_30default_config_static_selectorELNS0_4arch9wavefront6targetE0EEEvT1_
		.amdhsa_group_segment_fixed_size 0
		.amdhsa_private_segment_fixed_size 0
		.amdhsa_kernarg_size 136
		.amdhsa_user_sgpr_count 15
		.amdhsa_user_sgpr_dispatch_ptr 0
		.amdhsa_user_sgpr_queue_ptr 0
		.amdhsa_user_sgpr_kernarg_segment_ptr 1
		.amdhsa_user_sgpr_dispatch_id 0
		.amdhsa_user_sgpr_private_segment_size 0
		.amdhsa_wavefront_size32 1
		.amdhsa_uses_dynamic_stack 0
		.amdhsa_enable_private_segment 0
		.amdhsa_system_sgpr_workgroup_id_x 1
		.amdhsa_system_sgpr_workgroup_id_y 0
		.amdhsa_system_sgpr_workgroup_id_z 0
		.amdhsa_system_sgpr_workgroup_info 0
		.amdhsa_system_vgpr_workitem_id 0
		.amdhsa_next_free_vgpr 1
		.amdhsa_next_free_sgpr 1
		.amdhsa_reserve_vcc 0
		.amdhsa_float_round_mode_32 0
		.amdhsa_float_round_mode_16_64 0
		.amdhsa_float_denorm_mode_32 3
		.amdhsa_float_denorm_mode_16_64 3
		.amdhsa_dx10_clamp 1
		.amdhsa_ieee_mode 1
		.amdhsa_fp16_overflow 0
		.amdhsa_workgroup_processor_mode 1
		.amdhsa_memory_ordered 1
		.amdhsa_forward_progress 0
		.amdhsa_shared_vgpr_count 0
		.amdhsa_exception_fp_ieee_invalid_op 0
		.amdhsa_exception_fp_denorm_src 0
		.amdhsa_exception_fp_ieee_div_zero 0
		.amdhsa_exception_fp_ieee_overflow 0
		.amdhsa_exception_fp_ieee_underflow 0
		.amdhsa_exception_fp_ieee_inexact 0
		.amdhsa_exception_int_div_zero 0
	.end_amdhsa_kernel
	.section	.text._ZN7rocprim17ROCPRIM_400000_NS6detail17trampoline_kernelINS0_14default_configENS1_25partition_config_selectorILNS1_17partition_subalgoE9EllbEEZZNS1_14partition_implILS5_9ELb0ES3_jPlS8_PNS0_10empty_typeENS0_5tupleIJS8_S9_EEENSB_IJS8_SA_EEENS0_18inequality_wrapperIZN2at6native12_GLOBAL__N_124unique_dim_cuda_templateIdEESt5tupleIJNSF_6TensorESK_SK_EERKSK_lbbbEUlllE0_EEPmJS9_EEE10hipError_tPvRmT3_T4_T5_T6_T7_T9_mT8_P12ihipStream_tbDpT10_ENKUlT_T0_E_clISt17integral_constantIbLb0EES19_IbLb1EEEEDaS15_S16_EUlS15_E_NS1_11comp_targetILNS1_3genE3ELNS1_11target_archE908ELNS1_3gpuE7ELNS1_3repE0EEENS1_30default_config_static_selectorELNS0_4arch9wavefront6targetE0EEEvT1_,"axG",@progbits,_ZN7rocprim17ROCPRIM_400000_NS6detail17trampoline_kernelINS0_14default_configENS1_25partition_config_selectorILNS1_17partition_subalgoE9EllbEEZZNS1_14partition_implILS5_9ELb0ES3_jPlS8_PNS0_10empty_typeENS0_5tupleIJS8_S9_EEENSB_IJS8_SA_EEENS0_18inequality_wrapperIZN2at6native12_GLOBAL__N_124unique_dim_cuda_templateIdEESt5tupleIJNSF_6TensorESK_SK_EERKSK_lbbbEUlllE0_EEPmJS9_EEE10hipError_tPvRmT3_T4_T5_T6_T7_T9_mT8_P12ihipStream_tbDpT10_ENKUlT_T0_E_clISt17integral_constantIbLb0EES19_IbLb1EEEEDaS15_S16_EUlS15_E_NS1_11comp_targetILNS1_3genE3ELNS1_11target_archE908ELNS1_3gpuE7ELNS1_3repE0EEENS1_30default_config_static_selectorELNS0_4arch9wavefront6targetE0EEEvT1_,comdat
.Lfunc_end866:
	.size	_ZN7rocprim17ROCPRIM_400000_NS6detail17trampoline_kernelINS0_14default_configENS1_25partition_config_selectorILNS1_17partition_subalgoE9EllbEEZZNS1_14partition_implILS5_9ELb0ES3_jPlS8_PNS0_10empty_typeENS0_5tupleIJS8_S9_EEENSB_IJS8_SA_EEENS0_18inequality_wrapperIZN2at6native12_GLOBAL__N_124unique_dim_cuda_templateIdEESt5tupleIJNSF_6TensorESK_SK_EERKSK_lbbbEUlllE0_EEPmJS9_EEE10hipError_tPvRmT3_T4_T5_T6_T7_T9_mT8_P12ihipStream_tbDpT10_ENKUlT_T0_E_clISt17integral_constantIbLb0EES19_IbLb1EEEEDaS15_S16_EUlS15_E_NS1_11comp_targetILNS1_3genE3ELNS1_11target_archE908ELNS1_3gpuE7ELNS1_3repE0EEENS1_30default_config_static_selectorELNS0_4arch9wavefront6targetE0EEEvT1_, .Lfunc_end866-_ZN7rocprim17ROCPRIM_400000_NS6detail17trampoline_kernelINS0_14default_configENS1_25partition_config_selectorILNS1_17partition_subalgoE9EllbEEZZNS1_14partition_implILS5_9ELb0ES3_jPlS8_PNS0_10empty_typeENS0_5tupleIJS8_S9_EEENSB_IJS8_SA_EEENS0_18inequality_wrapperIZN2at6native12_GLOBAL__N_124unique_dim_cuda_templateIdEESt5tupleIJNSF_6TensorESK_SK_EERKSK_lbbbEUlllE0_EEPmJS9_EEE10hipError_tPvRmT3_T4_T5_T6_T7_T9_mT8_P12ihipStream_tbDpT10_ENKUlT_T0_E_clISt17integral_constantIbLb0EES19_IbLb1EEEEDaS15_S16_EUlS15_E_NS1_11comp_targetILNS1_3genE3ELNS1_11target_archE908ELNS1_3gpuE7ELNS1_3repE0EEENS1_30default_config_static_selectorELNS0_4arch9wavefront6targetE0EEEvT1_
                                        ; -- End function
	.section	.AMDGPU.csdata,"",@progbits
; Kernel info:
; codeLenInByte = 0
; NumSgprs: 0
; NumVgprs: 0
; ScratchSize: 0
; MemoryBound: 0
; FloatMode: 240
; IeeeMode: 1
; LDSByteSize: 0 bytes/workgroup (compile time only)
; SGPRBlocks: 0
; VGPRBlocks: 0
; NumSGPRsForWavesPerEU: 1
; NumVGPRsForWavesPerEU: 1
; Occupancy: 16
; WaveLimiterHint : 0
; COMPUTE_PGM_RSRC2:SCRATCH_EN: 0
; COMPUTE_PGM_RSRC2:USER_SGPR: 15
; COMPUTE_PGM_RSRC2:TRAP_HANDLER: 0
; COMPUTE_PGM_RSRC2:TGID_X_EN: 1
; COMPUTE_PGM_RSRC2:TGID_Y_EN: 0
; COMPUTE_PGM_RSRC2:TGID_Z_EN: 0
; COMPUTE_PGM_RSRC2:TIDIG_COMP_CNT: 0
	.section	.text._ZN7rocprim17ROCPRIM_400000_NS6detail17trampoline_kernelINS0_14default_configENS1_25partition_config_selectorILNS1_17partition_subalgoE9EllbEEZZNS1_14partition_implILS5_9ELb0ES3_jPlS8_PNS0_10empty_typeENS0_5tupleIJS8_S9_EEENSB_IJS8_SA_EEENS0_18inequality_wrapperIZN2at6native12_GLOBAL__N_124unique_dim_cuda_templateIdEESt5tupleIJNSF_6TensorESK_SK_EERKSK_lbbbEUlllE0_EEPmJS9_EEE10hipError_tPvRmT3_T4_T5_T6_T7_T9_mT8_P12ihipStream_tbDpT10_ENKUlT_T0_E_clISt17integral_constantIbLb0EES19_IbLb1EEEEDaS15_S16_EUlS15_E_NS1_11comp_targetILNS1_3genE2ELNS1_11target_archE906ELNS1_3gpuE6ELNS1_3repE0EEENS1_30default_config_static_selectorELNS0_4arch9wavefront6targetE0EEEvT1_,"axG",@progbits,_ZN7rocprim17ROCPRIM_400000_NS6detail17trampoline_kernelINS0_14default_configENS1_25partition_config_selectorILNS1_17partition_subalgoE9EllbEEZZNS1_14partition_implILS5_9ELb0ES3_jPlS8_PNS0_10empty_typeENS0_5tupleIJS8_S9_EEENSB_IJS8_SA_EEENS0_18inequality_wrapperIZN2at6native12_GLOBAL__N_124unique_dim_cuda_templateIdEESt5tupleIJNSF_6TensorESK_SK_EERKSK_lbbbEUlllE0_EEPmJS9_EEE10hipError_tPvRmT3_T4_T5_T6_T7_T9_mT8_P12ihipStream_tbDpT10_ENKUlT_T0_E_clISt17integral_constantIbLb0EES19_IbLb1EEEEDaS15_S16_EUlS15_E_NS1_11comp_targetILNS1_3genE2ELNS1_11target_archE906ELNS1_3gpuE6ELNS1_3repE0EEENS1_30default_config_static_selectorELNS0_4arch9wavefront6targetE0EEEvT1_,comdat
	.globl	_ZN7rocprim17ROCPRIM_400000_NS6detail17trampoline_kernelINS0_14default_configENS1_25partition_config_selectorILNS1_17partition_subalgoE9EllbEEZZNS1_14partition_implILS5_9ELb0ES3_jPlS8_PNS0_10empty_typeENS0_5tupleIJS8_S9_EEENSB_IJS8_SA_EEENS0_18inequality_wrapperIZN2at6native12_GLOBAL__N_124unique_dim_cuda_templateIdEESt5tupleIJNSF_6TensorESK_SK_EERKSK_lbbbEUlllE0_EEPmJS9_EEE10hipError_tPvRmT3_T4_T5_T6_T7_T9_mT8_P12ihipStream_tbDpT10_ENKUlT_T0_E_clISt17integral_constantIbLb0EES19_IbLb1EEEEDaS15_S16_EUlS15_E_NS1_11comp_targetILNS1_3genE2ELNS1_11target_archE906ELNS1_3gpuE6ELNS1_3repE0EEENS1_30default_config_static_selectorELNS0_4arch9wavefront6targetE0EEEvT1_ ; -- Begin function _ZN7rocprim17ROCPRIM_400000_NS6detail17trampoline_kernelINS0_14default_configENS1_25partition_config_selectorILNS1_17partition_subalgoE9EllbEEZZNS1_14partition_implILS5_9ELb0ES3_jPlS8_PNS0_10empty_typeENS0_5tupleIJS8_S9_EEENSB_IJS8_SA_EEENS0_18inequality_wrapperIZN2at6native12_GLOBAL__N_124unique_dim_cuda_templateIdEESt5tupleIJNSF_6TensorESK_SK_EERKSK_lbbbEUlllE0_EEPmJS9_EEE10hipError_tPvRmT3_T4_T5_T6_T7_T9_mT8_P12ihipStream_tbDpT10_ENKUlT_T0_E_clISt17integral_constantIbLb0EES19_IbLb1EEEEDaS15_S16_EUlS15_E_NS1_11comp_targetILNS1_3genE2ELNS1_11target_archE906ELNS1_3gpuE6ELNS1_3repE0EEENS1_30default_config_static_selectorELNS0_4arch9wavefront6targetE0EEEvT1_
	.p2align	8
	.type	_ZN7rocprim17ROCPRIM_400000_NS6detail17trampoline_kernelINS0_14default_configENS1_25partition_config_selectorILNS1_17partition_subalgoE9EllbEEZZNS1_14partition_implILS5_9ELb0ES3_jPlS8_PNS0_10empty_typeENS0_5tupleIJS8_S9_EEENSB_IJS8_SA_EEENS0_18inequality_wrapperIZN2at6native12_GLOBAL__N_124unique_dim_cuda_templateIdEESt5tupleIJNSF_6TensorESK_SK_EERKSK_lbbbEUlllE0_EEPmJS9_EEE10hipError_tPvRmT3_T4_T5_T6_T7_T9_mT8_P12ihipStream_tbDpT10_ENKUlT_T0_E_clISt17integral_constantIbLb0EES19_IbLb1EEEEDaS15_S16_EUlS15_E_NS1_11comp_targetILNS1_3genE2ELNS1_11target_archE906ELNS1_3gpuE6ELNS1_3repE0EEENS1_30default_config_static_selectorELNS0_4arch9wavefront6targetE0EEEvT1_,@function
_ZN7rocprim17ROCPRIM_400000_NS6detail17trampoline_kernelINS0_14default_configENS1_25partition_config_selectorILNS1_17partition_subalgoE9EllbEEZZNS1_14partition_implILS5_9ELb0ES3_jPlS8_PNS0_10empty_typeENS0_5tupleIJS8_S9_EEENSB_IJS8_SA_EEENS0_18inequality_wrapperIZN2at6native12_GLOBAL__N_124unique_dim_cuda_templateIdEESt5tupleIJNSF_6TensorESK_SK_EERKSK_lbbbEUlllE0_EEPmJS9_EEE10hipError_tPvRmT3_T4_T5_T6_T7_T9_mT8_P12ihipStream_tbDpT10_ENKUlT_T0_E_clISt17integral_constantIbLb0EES19_IbLb1EEEEDaS15_S16_EUlS15_E_NS1_11comp_targetILNS1_3genE2ELNS1_11target_archE906ELNS1_3gpuE6ELNS1_3repE0EEENS1_30default_config_static_selectorELNS0_4arch9wavefront6targetE0EEEvT1_: ; @_ZN7rocprim17ROCPRIM_400000_NS6detail17trampoline_kernelINS0_14default_configENS1_25partition_config_selectorILNS1_17partition_subalgoE9EllbEEZZNS1_14partition_implILS5_9ELb0ES3_jPlS8_PNS0_10empty_typeENS0_5tupleIJS8_S9_EEENSB_IJS8_SA_EEENS0_18inequality_wrapperIZN2at6native12_GLOBAL__N_124unique_dim_cuda_templateIdEESt5tupleIJNSF_6TensorESK_SK_EERKSK_lbbbEUlllE0_EEPmJS9_EEE10hipError_tPvRmT3_T4_T5_T6_T7_T9_mT8_P12ihipStream_tbDpT10_ENKUlT_T0_E_clISt17integral_constantIbLb0EES19_IbLb1EEEEDaS15_S16_EUlS15_E_NS1_11comp_targetILNS1_3genE2ELNS1_11target_archE906ELNS1_3gpuE6ELNS1_3repE0EEENS1_30default_config_static_selectorELNS0_4arch9wavefront6targetE0EEEvT1_
; %bb.0:
	.section	.rodata,"a",@progbits
	.p2align	6, 0x0
	.amdhsa_kernel _ZN7rocprim17ROCPRIM_400000_NS6detail17trampoline_kernelINS0_14default_configENS1_25partition_config_selectorILNS1_17partition_subalgoE9EllbEEZZNS1_14partition_implILS5_9ELb0ES3_jPlS8_PNS0_10empty_typeENS0_5tupleIJS8_S9_EEENSB_IJS8_SA_EEENS0_18inequality_wrapperIZN2at6native12_GLOBAL__N_124unique_dim_cuda_templateIdEESt5tupleIJNSF_6TensorESK_SK_EERKSK_lbbbEUlllE0_EEPmJS9_EEE10hipError_tPvRmT3_T4_T5_T6_T7_T9_mT8_P12ihipStream_tbDpT10_ENKUlT_T0_E_clISt17integral_constantIbLb0EES19_IbLb1EEEEDaS15_S16_EUlS15_E_NS1_11comp_targetILNS1_3genE2ELNS1_11target_archE906ELNS1_3gpuE6ELNS1_3repE0EEENS1_30default_config_static_selectorELNS0_4arch9wavefront6targetE0EEEvT1_
		.amdhsa_group_segment_fixed_size 0
		.amdhsa_private_segment_fixed_size 0
		.amdhsa_kernarg_size 136
		.amdhsa_user_sgpr_count 15
		.amdhsa_user_sgpr_dispatch_ptr 0
		.amdhsa_user_sgpr_queue_ptr 0
		.amdhsa_user_sgpr_kernarg_segment_ptr 1
		.amdhsa_user_sgpr_dispatch_id 0
		.amdhsa_user_sgpr_private_segment_size 0
		.amdhsa_wavefront_size32 1
		.amdhsa_uses_dynamic_stack 0
		.amdhsa_enable_private_segment 0
		.amdhsa_system_sgpr_workgroup_id_x 1
		.amdhsa_system_sgpr_workgroup_id_y 0
		.amdhsa_system_sgpr_workgroup_id_z 0
		.amdhsa_system_sgpr_workgroup_info 0
		.amdhsa_system_vgpr_workitem_id 0
		.amdhsa_next_free_vgpr 1
		.amdhsa_next_free_sgpr 1
		.amdhsa_reserve_vcc 0
		.amdhsa_float_round_mode_32 0
		.amdhsa_float_round_mode_16_64 0
		.amdhsa_float_denorm_mode_32 3
		.amdhsa_float_denorm_mode_16_64 3
		.amdhsa_dx10_clamp 1
		.amdhsa_ieee_mode 1
		.amdhsa_fp16_overflow 0
		.amdhsa_workgroup_processor_mode 1
		.amdhsa_memory_ordered 1
		.amdhsa_forward_progress 0
		.amdhsa_shared_vgpr_count 0
		.amdhsa_exception_fp_ieee_invalid_op 0
		.amdhsa_exception_fp_denorm_src 0
		.amdhsa_exception_fp_ieee_div_zero 0
		.amdhsa_exception_fp_ieee_overflow 0
		.amdhsa_exception_fp_ieee_underflow 0
		.amdhsa_exception_fp_ieee_inexact 0
		.amdhsa_exception_int_div_zero 0
	.end_amdhsa_kernel
	.section	.text._ZN7rocprim17ROCPRIM_400000_NS6detail17trampoline_kernelINS0_14default_configENS1_25partition_config_selectorILNS1_17partition_subalgoE9EllbEEZZNS1_14partition_implILS5_9ELb0ES3_jPlS8_PNS0_10empty_typeENS0_5tupleIJS8_S9_EEENSB_IJS8_SA_EEENS0_18inequality_wrapperIZN2at6native12_GLOBAL__N_124unique_dim_cuda_templateIdEESt5tupleIJNSF_6TensorESK_SK_EERKSK_lbbbEUlllE0_EEPmJS9_EEE10hipError_tPvRmT3_T4_T5_T6_T7_T9_mT8_P12ihipStream_tbDpT10_ENKUlT_T0_E_clISt17integral_constantIbLb0EES19_IbLb1EEEEDaS15_S16_EUlS15_E_NS1_11comp_targetILNS1_3genE2ELNS1_11target_archE906ELNS1_3gpuE6ELNS1_3repE0EEENS1_30default_config_static_selectorELNS0_4arch9wavefront6targetE0EEEvT1_,"axG",@progbits,_ZN7rocprim17ROCPRIM_400000_NS6detail17trampoline_kernelINS0_14default_configENS1_25partition_config_selectorILNS1_17partition_subalgoE9EllbEEZZNS1_14partition_implILS5_9ELb0ES3_jPlS8_PNS0_10empty_typeENS0_5tupleIJS8_S9_EEENSB_IJS8_SA_EEENS0_18inequality_wrapperIZN2at6native12_GLOBAL__N_124unique_dim_cuda_templateIdEESt5tupleIJNSF_6TensorESK_SK_EERKSK_lbbbEUlllE0_EEPmJS9_EEE10hipError_tPvRmT3_T4_T5_T6_T7_T9_mT8_P12ihipStream_tbDpT10_ENKUlT_T0_E_clISt17integral_constantIbLb0EES19_IbLb1EEEEDaS15_S16_EUlS15_E_NS1_11comp_targetILNS1_3genE2ELNS1_11target_archE906ELNS1_3gpuE6ELNS1_3repE0EEENS1_30default_config_static_selectorELNS0_4arch9wavefront6targetE0EEEvT1_,comdat
.Lfunc_end867:
	.size	_ZN7rocprim17ROCPRIM_400000_NS6detail17trampoline_kernelINS0_14default_configENS1_25partition_config_selectorILNS1_17partition_subalgoE9EllbEEZZNS1_14partition_implILS5_9ELb0ES3_jPlS8_PNS0_10empty_typeENS0_5tupleIJS8_S9_EEENSB_IJS8_SA_EEENS0_18inequality_wrapperIZN2at6native12_GLOBAL__N_124unique_dim_cuda_templateIdEESt5tupleIJNSF_6TensorESK_SK_EERKSK_lbbbEUlllE0_EEPmJS9_EEE10hipError_tPvRmT3_T4_T5_T6_T7_T9_mT8_P12ihipStream_tbDpT10_ENKUlT_T0_E_clISt17integral_constantIbLb0EES19_IbLb1EEEEDaS15_S16_EUlS15_E_NS1_11comp_targetILNS1_3genE2ELNS1_11target_archE906ELNS1_3gpuE6ELNS1_3repE0EEENS1_30default_config_static_selectorELNS0_4arch9wavefront6targetE0EEEvT1_, .Lfunc_end867-_ZN7rocprim17ROCPRIM_400000_NS6detail17trampoline_kernelINS0_14default_configENS1_25partition_config_selectorILNS1_17partition_subalgoE9EllbEEZZNS1_14partition_implILS5_9ELb0ES3_jPlS8_PNS0_10empty_typeENS0_5tupleIJS8_S9_EEENSB_IJS8_SA_EEENS0_18inequality_wrapperIZN2at6native12_GLOBAL__N_124unique_dim_cuda_templateIdEESt5tupleIJNSF_6TensorESK_SK_EERKSK_lbbbEUlllE0_EEPmJS9_EEE10hipError_tPvRmT3_T4_T5_T6_T7_T9_mT8_P12ihipStream_tbDpT10_ENKUlT_T0_E_clISt17integral_constantIbLb0EES19_IbLb1EEEEDaS15_S16_EUlS15_E_NS1_11comp_targetILNS1_3genE2ELNS1_11target_archE906ELNS1_3gpuE6ELNS1_3repE0EEENS1_30default_config_static_selectorELNS0_4arch9wavefront6targetE0EEEvT1_
                                        ; -- End function
	.section	.AMDGPU.csdata,"",@progbits
; Kernel info:
; codeLenInByte = 0
; NumSgprs: 0
; NumVgprs: 0
; ScratchSize: 0
; MemoryBound: 0
; FloatMode: 240
; IeeeMode: 1
; LDSByteSize: 0 bytes/workgroup (compile time only)
; SGPRBlocks: 0
; VGPRBlocks: 0
; NumSGPRsForWavesPerEU: 1
; NumVGPRsForWavesPerEU: 1
; Occupancy: 15
; WaveLimiterHint : 0
; COMPUTE_PGM_RSRC2:SCRATCH_EN: 0
; COMPUTE_PGM_RSRC2:USER_SGPR: 15
; COMPUTE_PGM_RSRC2:TRAP_HANDLER: 0
; COMPUTE_PGM_RSRC2:TGID_X_EN: 1
; COMPUTE_PGM_RSRC2:TGID_Y_EN: 0
; COMPUTE_PGM_RSRC2:TGID_Z_EN: 0
; COMPUTE_PGM_RSRC2:TIDIG_COMP_CNT: 0
	.section	.text._ZN7rocprim17ROCPRIM_400000_NS6detail17trampoline_kernelINS0_14default_configENS1_25partition_config_selectorILNS1_17partition_subalgoE9EllbEEZZNS1_14partition_implILS5_9ELb0ES3_jPlS8_PNS0_10empty_typeENS0_5tupleIJS8_S9_EEENSB_IJS8_SA_EEENS0_18inequality_wrapperIZN2at6native12_GLOBAL__N_124unique_dim_cuda_templateIdEESt5tupleIJNSF_6TensorESK_SK_EERKSK_lbbbEUlllE0_EEPmJS9_EEE10hipError_tPvRmT3_T4_T5_T6_T7_T9_mT8_P12ihipStream_tbDpT10_ENKUlT_T0_E_clISt17integral_constantIbLb0EES19_IbLb1EEEEDaS15_S16_EUlS15_E_NS1_11comp_targetILNS1_3genE10ELNS1_11target_archE1200ELNS1_3gpuE4ELNS1_3repE0EEENS1_30default_config_static_selectorELNS0_4arch9wavefront6targetE0EEEvT1_,"axG",@progbits,_ZN7rocprim17ROCPRIM_400000_NS6detail17trampoline_kernelINS0_14default_configENS1_25partition_config_selectorILNS1_17partition_subalgoE9EllbEEZZNS1_14partition_implILS5_9ELb0ES3_jPlS8_PNS0_10empty_typeENS0_5tupleIJS8_S9_EEENSB_IJS8_SA_EEENS0_18inequality_wrapperIZN2at6native12_GLOBAL__N_124unique_dim_cuda_templateIdEESt5tupleIJNSF_6TensorESK_SK_EERKSK_lbbbEUlllE0_EEPmJS9_EEE10hipError_tPvRmT3_T4_T5_T6_T7_T9_mT8_P12ihipStream_tbDpT10_ENKUlT_T0_E_clISt17integral_constantIbLb0EES19_IbLb1EEEEDaS15_S16_EUlS15_E_NS1_11comp_targetILNS1_3genE10ELNS1_11target_archE1200ELNS1_3gpuE4ELNS1_3repE0EEENS1_30default_config_static_selectorELNS0_4arch9wavefront6targetE0EEEvT1_,comdat
	.globl	_ZN7rocprim17ROCPRIM_400000_NS6detail17trampoline_kernelINS0_14default_configENS1_25partition_config_selectorILNS1_17partition_subalgoE9EllbEEZZNS1_14partition_implILS5_9ELb0ES3_jPlS8_PNS0_10empty_typeENS0_5tupleIJS8_S9_EEENSB_IJS8_SA_EEENS0_18inequality_wrapperIZN2at6native12_GLOBAL__N_124unique_dim_cuda_templateIdEESt5tupleIJNSF_6TensorESK_SK_EERKSK_lbbbEUlllE0_EEPmJS9_EEE10hipError_tPvRmT3_T4_T5_T6_T7_T9_mT8_P12ihipStream_tbDpT10_ENKUlT_T0_E_clISt17integral_constantIbLb0EES19_IbLb1EEEEDaS15_S16_EUlS15_E_NS1_11comp_targetILNS1_3genE10ELNS1_11target_archE1200ELNS1_3gpuE4ELNS1_3repE0EEENS1_30default_config_static_selectorELNS0_4arch9wavefront6targetE0EEEvT1_ ; -- Begin function _ZN7rocprim17ROCPRIM_400000_NS6detail17trampoline_kernelINS0_14default_configENS1_25partition_config_selectorILNS1_17partition_subalgoE9EllbEEZZNS1_14partition_implILS5_9ELb0ES3_jPlS8_PNS0_10empty_typeENS0_5tupleIJS8_S9_EEENSB_IJS8_SA_EEENS0_18inequality_wrapperIZN2at6native12_GLOBAL__N_124unique_dim_cuda_templateIdEESt5tupleIJNSF_6TensorESK_SK_EERKSK_lbbbEUlllE0_EEPmJS9_EEE10hipError_tPvRmT3_T4_T5_T6_T7_T9_mT8_P12ihipStream_tbDpT10_ENKUlT_T0_E_clISt17integral_constantIbLb0EES19_IbLb1EEEEDaS15_S16_EUlS15_E_NS1_11comp_targetILNS1_3genE10ELNS1_11target_archE1200ELNS1_3gpuE4ELNS1_3repE0EEENS1_30default_config_static_selectorELNS0_4arch9wavefront6targetE0EEEvT1_
	.p2align	8
	.type	_ZN7rocprim17ROCPRIM_400000_NS6detail17trampoline_kernelINS0_14default_configENS1_25partition_config_selectorILNS1_17partition_subalgoE9EllbEEZZNS1_14partition_implILS5_9ELb0ES3_jPlS8_PNS0_10empty_typeENS0_5tupleIJS8_S9_EEENSB_IJS8_SA_EEENS0_18inequality_wrapperIZN2at6native12_GLOBAL__N_124unique_dim_cuda_templateIdEESt5tupleIJNSF_6TensorESK_SK_EERKSK_lbbbEUlllE0_EEPmJS9_EEE10hipError_tPvRmT3_T4_T5_T6_T7_T9_mT8_P12ihipStream_tbDpT10_ENKUlT_T0_E_clISt17integral_constantIbLb0EES19_IbLb1EEEEDaS15_S16_EUlS15_E_NS1_11comp_targetILNS1_3genE10ELNS1_11target_archE1200ELNS1_3gpuE4ELNS1_3repE0EEENS1_30default_config_static_selectorELNS0_4arch9wavefront6targetE0EEEvT1_,@function
_ZN7rocprim17ROCPRIM_400000_NS6detail17trampoline_kernelINS0_14default_configENS1_25partition_config_selectorILNS1_17partition_subalgoE9EllbEEZZNS1_14partition_implILS5_9ELb0ES3_jPlS8_PNS0_10empty_typeENS0_5tupleIJS8_S9_EEENSB_IJS8_SA_EEENS0_18inequality_wrapperIZN2at6native12_GLOBAL__N_124unique_dim_cuda_templateIdEESt5tupleIJNSF_6TensorESK_SK_EERKSK_lbbbEUlllE0_EEPmJS9_EEE10hipError_tPvRmT3_T4_T5_T6_T7_T9_mT8_P12ihipStream_tbDpT10_ENKUlT_T0_E_clISt17integral_constantIbLb0EES19_IbLb1EEEEDaS15_S16_EUlS15_E_NS1_11comp_targetILNS1_3genE10ELNS1_11target_archE1200ELNS1_3gpuE4ELNS1_3repE0EEENS1_30default_config_static_selectorELNS0_4arch9wavefront6targetE0EEEvT1_: ; @_ZN7rocprim17ROCPRIM_400000_NS6detail17trampoline_kernelINS0_14default_configENS1_25partition_config_selectorILNS1_17partition_subalgoE9EllbEEZZNS1_14partition_implILS5_9ELb0ES3_jPlS8_PNS0_10empty_typeENS0_5tupleIJS8_S9_EEENSB_IJS8_SA_EEENS0_18inequality_wrapperIZN2at6native12_GLOBAL__N_124unique_dim_cuda_templateIdEESt5tupleIJNSF_6TensorESK_SK_EERKSK_lbbbEUlllE0_EEPmJS9_EEE10hipError_tPvRmT3_T4_T5_T6_T7_T9_mT8_P12ihipStream_tbDpT10_ENKUlT_T0_E_clISt17integral_constantIbLb0EES19_IbLb1EEEEDaS15_S16_EUlS15_E_NS1_11comp_targetILNS1_3genE10ELNS1_11target_archE1200ELNS1_3gpuE4ELNS1_3repE0EEENS1_30default_config_static_selectorELNS0_4arch9wavefront6targetE0EEEvT1_
; %bb.0:
	.section	.rodata,"a",@progbits
	.p2align	6, 0x0
	.amdhsa_kernel _ZN7rocprim17ROCPRIM_400000_NS6detail17trampoline_kernelINS0_14default_configENS1_25partition_config_selectorILNS1_17partition_subalgoE9EllbEEZZNS1_14partition_implILS5_9ELb0ES3_jPlS8_PNS0_10empty_typeENS0_5tupleIJS8_S9_EEENSB_IJS8_SA_EEENS0_18inequality_wrapperIZN2at6native12_GLOBAL__N_124unique_dim_cuda_templateIdEESt5tupleIJNSF_6TensorESK_SK_EERKSK_lbbbEUlllE0_EEPmJS9_EEE10hipError_tPvRmT3_T4_T5_T6_T7_T9_mT8_P12ihipStream_tbDpT10_ENKUlT_T0_E_clISt17integral_constantIbLb0EES19_IbLb1EEEEDaS15_S16_EUlS15_E_NS1_11comp_targetILNS1_3genE10ELNS1_11target_archE1200ELNS1_3gpuE4ELNS1_3repE0EEENS1_30default_config_static_selectorELNS0_4arch9wavefront6targetE0EEEvT1_
		.amdhsa_group_segment_fixed_size 0
		.amdhsa_private_segment_fixed_size 0
		.amdhsa_kernarg_size 136
		.amdhsa_user_sgpr_count 15
		.amdhsa_user_sgpr_dispatch_ptr 0
		.amdhsa_user_sgpr_queue_ptr 0
		.amdhsa_user_sgpr_kernarg_segment_ptr 1
		.amdhsa_user_sgpr_dispatch_id 0
		.amdhsa_user_sgpr_private_segment_size 0
		.amdhsa_wavefront_size32 1
		.amdhsa_uses_dynamic_stack 0
		.amdhsa_enable_private_segment 0
		.amdhsa_system_sgpr_workgroup_id_x 1
		.amdhsa_system_sgpr_workgroup_id_y 0
		.amdhsa_system_sgpr_workgroup_id_z 0
		.amdhsa_system_sgpr_workgroup_info 0
		.amdhsa_system_vgpr_workitem_id 0
		.amdhsa_next_free_vgpr 1
		.amdhsa_next_free_sgpr 1
		.amdhsa_reserve_vcc 0
		.amdhsa_float_round_mode_32 0
		.amdhsa_float_round_mode_16_64 0
		.amdhsa_float_denorm_mode_32 3
		.amdhsa_float_denorm_mode_16_64 3
		.amdhsa_dx10_clamp 1
		.amdhsa_ieee_mode 1
		.amdhsa_fp16_overflow 0
		.amdhsa_workgroup_processor_mode 1
		.amdhsa_memory_ordered 1
		.amdhsa_forward_progress 0
		.amdhsa_shared_vgpr_count 0
		.amdhsa_exception_fp_ieee_invalid_op 0
		.amdhsa_exception_fp_denorm_src 0
		.amdhsa_exception_fp_ieee_div_zero 0
		.amdhsa_exception_fp_ieee_overflow 0
		.amdhsa_exception_fp_ieee_underflow 0
		.amdhsa_exception_fp_ieee_inexact 0
		.amdhsa_exception_int_div_zero 0
	.end_amdhsa_kernel
	.section	.text._ZN7rocprim17ROCPRIM_400000_NS6detail17trampoline_kernelINS0_14default_configENS1_25partition_config_selectorILNS1_17partition_subalgoE9EllbEEZZNS1_14partition_implILS5_9ELb0ES3_jPlS8_PNS0_10empty_typeENS0_5tupleIJS8_S9_EEENSB_IJS8_SA_EEENS0_18inequality_wrapperIZN2at6native12_GLOBAL__N_124unique_dim_cuda_templateIdEESt5tupleIJNSF_6TensorESK_SK_EERKSK_lbbbEUlllE0_EEPmJS9_EEE10hipError_tPvRmT3_T4_T5_T6_T7_T9_mT8_P12ihipStream_tbDpT10_ENKUlT_T0_E_clISt17integral_constantIbLb0EES19_IbLb1EEEEDaS15_S16_EUlS15_E_NS1_11comp_targetILNS1_3genE10ELNS1_11target_archE1200ELNS1_3gpuE4ELNS1_3repE0EEENS1_30default_config_static_selectorELNS0_4arch9wavefront6targetE0EEEvT1_,"axG",@progbits,_ZN7rocprim17ROCPRIM_400000_NS6detail17trampoline_kernelINS0_14default_configENS1_25partition_config_selectorILNS1_17partition_subalgoE9EllbEEZZNS1_14partition_implILS5_9ELb0ES3_jPlS8_PNS0_10empty_typeENS0_5tupleIJS8_S9_EEENSB_IJS8_SA_EEENS0_18inequality_wrapperIZN2at6native12_GLOBAL__N_124unique_dim_cuda_templateIdEESt5tupleIJNSF_6TensorESK_SK_EERKSK_lbbbEUlllE0_EEPmJS9_EEE10hipError_tPvRmT3_T4_T5_T6_T7_T9_mT8_P12ihipStream_tbDpT10_ENKUlT_T0_E_clISt17integral_constantIbLb0EES19_IbLb1EEEEDaS15_S16_EUlS15_E_NS1_11comp_targetILNS1_3genE10ELNS1_11target_archE1200ELNS1_3gpuE4ELNS1_3repE0EEENS1_30default_config_static_selectorELNS0_4arch9wavefront6targetE0EEEvT1_,comdat
.Lfunc_end868:
	.size	_ZN7rocprim17ROCPRIM_400000_NS6detail17trampoline_kernelINS0_14default_configENS1_25partition_config_selectorILNS1_17partition_subalgoE9EllbEEZZNS1_14partition_implILS5_9ELb0ES3_jPlS8_PNS0_10empty_typeENS0_5tupleIJS8_S9_EEENSB_IJS8_SA_EEENS0_18inequality_wrapperIZN2at6native12_GLOBAL__N_124unique_dim_cuda_templateIdEESt5tupleIJNSF_6TensorESK_SK_EERKSK_lbbbEUlllE0_EEPmJS9_EEE10hipError_tPvRmT3_T4_T5_T6_T7_T9_mT8_P12ihipStream_tbDpT10_ENKUlT_T0_E_clISt17integral_constantIbLb0EES19_IbLb1EEEEDaS15_S16_EUlS15_E_NS1_11comp_targetILNS1_3genE10ELNS1_11target_archE1200ELNS1_3gpuE4ELNS1_3repE0EEENS1_30default_config_static_selectorELNS0_4arch9wavefront6targetE0EEEvT1_, .Lfunc_end868-_ZN7rocprim17ROCPRIM_400000_NS6detail17trampoline_kernelINS0_14default_configENS1_25partition_config_selectorILNS1_17partition_subalgoE9EllbEEZZNS1_14partition_implILS5_9ELb0ES3_jPlS8_PNS0_10empty_typeENS0_5tupleIJS8_S9_EEENSB_IJS8_SA_EEENS0_18inequality_wrapperIZN2at6native12_GLOBAL__N_124unique_dim_cuda_templateIdEESt5tupleIJNSF_6TensorESK_SK_EERKSK_lbbbEUlllE0_EEPmJS9_EEE10hipError_tPvRmT3_T4_T5_T6_T7_T9_mT8_P12ihipStream_tbDpT10_ENKUlT_T0_E_clISt17integral_constantIbLb0EES19_IbLb1EEEEDaS15_S16_EUlS15_E_NS1_11comp_targetILNS1_3genE10ELNS1_11target_archE1200ELNS1_3gpuE4ELNS1_3repE0EEENS1_30default_config_static_selectorELNS0_4arch9wavefront6targetE0EEEvT1_
                                        ; -- End function
	.section	.AMDGPU.csdata,"",@progbits
; Kernel info:
; codeLenInByte = 0
; NumSgprs: 0
; NumVgprs: 0
; ScratchSize: 0
; MemoryBound: 0
; FloatMode: 240
; IeeeMode: 1
; LDSByteSize: 0 bytes/workgroup (compile time only)
; SGPRBlocks: 0
; VGPRBlocks: 0
; NumSGPRsForWavesPerEU: 1
; NumVGPRsForWavesPerEU: 1
; Occupancy: 15
; WaveLimiterHint : 0
; COMPUTE_PGM_RSRC2:SCRATCH_EN: 0
; COMPUTE_PGM_RSRC2:USER_SGPR: 15
; COMPUTE_PGM_RSRC2:TRAP_HANDLER: 0
; COMPUTE_PGM_RSRC2:TGID_X_EN: 1
; COMPUTE_PGM_RSRC2:TGID_Y_EN: 0
; COMPUTE_PGM_RSRC2:TGID_Z_EN: 0
; COMPUTE_PGM_RSRC2:TIDIG_COMP_CNT: 0
	.section	.text._ZN7rocprim17ROCPRIM_400000_NS6detail17trampoline_kernelINS0_14default_configENS1_25partition_config_selectorILNS1_17partition_subalgoE9EllbEEZZNS1_14partition_implILS5_9ELb0ES3_jPlS8_PNS0_10empty_typeENS0_5tupleIJS8_S9_EEENSB_IJS8_SA_EEENS0_18inequality_wrapperIZN2at6native12_GLOBAL__N_124unique_dim_cuda_templateIdEESt5tupleIJNSF_6TensorESK_SK_EERKSK_lbbbEUlllE0_EEPmJS9_EEE10hipError_tPvRmT3_T4_T5_T6_T7_T9_mT8_P12ihipStream_tbDpT10_ENKUlT_T0_E_clISt17integral_constantIbLb0EES19_IbLb1EEEEDaS15_S16_EUlS15_E_NS1_11comp_targetILNS1_3genE9ELNS1_11target_archE1100ELNS1_3gpuE3ELNS1_3repE0EEENS1_30default_config_static_selectorELNS0_4arch9wavefront6targetE0EEEvT1_,"axG",@progbits,_ZN7rocprim17ROCPRIM_400000_NS6detail17trampoline_kernelINS0_14default_configENS1_25partition_config_selectorILNS1_17partition_subalgoE9EllbEEZZNS1_14partition_implILS5_9ELb0ES3_jPlS8_PNS0_10empty_typeENS0_5tupleIJS8_S9_EEENSB_IJS8_SA_EEENS0_18inequality_wrapperIZN2at6native12_GLOBAL__N_124unique_dim_cuda_templateIdEESt5tupleIJNSF_6TensorESK_SK_EERKSK_lbbbEUlllE0_EEPmJS9_EEE10hipError_tPvRmT3_T4_T5_T6_T7_T9_mT8_P12ihipStream_tbDpT10_ENKUlT_T0_E_clISt17integral_constantIbLb0EES19_IbLb1EEEEDaS15_S16_EUlS15_E_NS1_11comp_targetILNS1_3genE9ELNS1_11target_archE1100ELNS1_3gpuE3ELNS1_3repE0EEENS1_30default_config_static_selectorELNS0_4arch9wavefront6targetE0EEEvT1_,comdat
	.globl	_ZN7rocprim17ROCPRIM_400000_NS6detail17trampoline_kernelINS0_14default_configENS1_25partition_config_selectorILNS1_17partition_subalgoE9EllbEEZZNS1_14partition_implILS5_9ELb0ES3_jPlS8_PNS0_10empty_typeENS0_5tupleIJS8_S9_EEENSB_IJS8_SA_EEENS0_18inequality_wrapperIZN2at6native12_GLOBAL__N_124unique_dim_cuda_templateIdEESt5tupleIJNSF_6TensorESK_SK_EERKSK_lbbbEUlllE0_EEPmJS9_EEE10hipError_tPvRmT3_T4_T5_T6_T7_T9_mT8_P12ihipStream_tbDpT10_ENKUlT_T0_E_clISt17integral_constantIbLb0EES19_IbLb1EEEEDaS15_S16_EUlS15_E_NS1_11comp_targetILNS1_3genE9ELNS1_11target_archE1100ELNS1_3gpuE3ELNS1_3repE0EEENS1_30default_config_static_selectorELNS0_4arch9wavefront6targetE0EEEvT1_ ; -- Begin function _ZN7rocprim17ROCPRIM_400000_NS6detail17trampoline_kernelINS0_14default_configENS1_25partition_config_selectorILNS1_17partition_subalgoE9EllbEEZZNS1_14partition_implILS5_9ELb0ES3_jPlS8_PNS0_10empty_typeENS0_5tupleIJS8_S9_EEENSB_IJS8_SA_EEENS0_18inequality_wrapperIZN2at6native12_GLOBAL__N_124unique_dim_cuda_templateIdEESt5tupleIJNSF_6TensorESK_SK_EERKSK_lbbbEUlllE0_EEPmJS9_EEE10hipError_tPvRmT3_T4_T5_T6_T7_T9_mT8_P12ihipStream_tbDpT10_ENKUlT_T0_E_clISt17integral_constantIbLb0EES19_IbLb1EEEEDaS15_S16_EUlS15_E_NS1_11comp_targetILNS1_3genE9ELNS1_11target_archE1100ELNS1_3gpuE3ELNS1_3repE0EEENS1_30default_config_static_selectorELNS0_4arch9wavefront6targetE0EEEvT1_
	.p2align	8
	.type	_ZN7rocprim17ROCPRIM_400000_NS6detail17trampoline_kernelINS0_14default_configENS1_25partition_config_selectorILNS1_17partition_subalgoE9EllbEEZZNS1_14partition_implILS5_9ELb0ES3_jPlS8_PNS0_10empty_typeENS0_5tupleIJS8_S9_EEENSB_IJS8_SA_EEENS0_18inequality_wrapperIZN2at6native12_GLOBAL__N_124unique_dim_cuda_templateIdEESt5tupleIJNSF_6TensorESK_SK_EERKSK_lbbbEUlllE0_EEPmJS9_EEE10hipError_tPvRmT3_T4_T5_T6_T7_T9_mT8_P12ihipStream_tbDpT10_ENKUlT_T0_E_clISt17integral_constantIbLb0EES19_IbLb1EEEEDaS15_S16_EUlS15_E_NS1_11comp_targetILNS1_3genE9ELNS1_11target_archE1100ELNS1_3gpuE3ELNS1_3repE0EEENS1_30default_config_static_selectorELNS0_4arch9wavefront6targetE0EEEvT1_,@function
_ZN7rocprim17ROCPRIM_400000_NS6detail17trampoline_kernelINS0_14default_configENS1_25partition_config_selectorILNS1_17partition_subalgoE9EllbEEZZNS1_14partition_implILS5_9ELb0ES3_jPlS8_PNS0_10empty_typeENS0_5tupleIJS8_S9_EEENSB_IJS8_SA_EEENS0_18inequality_wrapperIZN2at6native12_GLOBAL__N_124unique_dim_cuda_templateIdEESt5tupleIJNSF_6TensorESK_SK_EERKSK_lbbbEUlllE0_EEPmJS9_EEE10hipError_tPvRmT3_T4_T5_T6_T7_T9_mT8_P12ihipStream_tbDpT10_ENKUlT_T0_E_clISt17integral_constantIbLb0EES19_IbLb1EEEEDaS15_S16_EUlS15_E_NS1_11comp_targetILNS1_3genE9ELNS1_11target_archE1100ELNS1_3gpuE3ELNS1_3repE0EEENS1_30default_config_static_selectorELNS0_4arch9wavefront6targetE0EEEvT1_: ; @_ZN7rocprim17ROCPRIM_400000_NS6detail17trampoline_kernelINS0_14default_configENS1_25partition_config_selectorILNS1_17partition_subalgoE9EllbEEZZNS1_14partition_implILS5_9ELb0ES3_jPlS8_PNS0_10empty_typeENS0_5tupleIJS8_S9_EEENSB_IJS8_SA_EEENS0_18inequality_wrapperIZN2at6native12_GLOBAL__N_124unique_dim_cuda_templateIdEESt5tupleIJNSF_6TensorESK_SK_EERKSK_lbbbEUlllE0_EEPmJS9_EEE10hipError_tPvRmT3_T4_T5_T6_T7_T9_mT8_P12ihipStream_tbDpT10_ENKUlT_T0_E_clISt17integral_constantIbLb0EES19_IbLb1EEEEDaS15_S16_EUlS15_E_NS1_11comp_targetILNS1_3genE9ELNS1_11target_archE1100ELNS1_3gpuE3ELNS1_3repE0EEENS1_30default_config_static_selectorELNS0_4arch9wavefront6targetE0EEEvT1_
; %bb.0:
	s_clause 0x3
	s_load_b128 s[4:7], s[0:1], 0x8
	s_load_b64 s[24:25], s[0:1], 0x18
	s_load_b256 s[8:15], s[0:1], 0x40
	s_load_b128 s[20:23], s[0:1], 0x60
	v_cmp_ne_u32_e64 s3, 0, v0
	v_cmp_eq_u32_e64 s2, 0, v0
	s_delay_alu instid0(VALU_DEP_1)
	s_and_saveexec_b32 s16, s2
	s_cbranch_execz .LBB869_4
; %bb.1:
	s_mov_b32 s18, exec_lo
	s_mov_b32 s17, exec_lo
	v_mbcnt_lo_u32_b32 v1, s18, 0
                                        ; implicit-def: $vgpr2
	s_delay_alu instid0(VALU_DEP_1)
	v_cmpx_eq_u32_e32 0, v1
	s_cbranch_execz .LBB869_3
; %bb.2:
	s_load_b64 s[26:27], s[0:1], 0x78
	s_bcnt1_i32_b32 s18, s18
	s_delay_alu instid0(SALU_CYCLE_1)
	v_dual_mov_b32 v2, 0 :: v_dual_mov_b32 v3, s18
	s_waitcnt lgkmcnt(0)
	global_atomic_add_u32 v2, v2, v3, s[26:27] glc
.LBB869_3:
	s_or_b32 exec_lo, exec_lo, s17
	s_waitcnt vmcnt(0)
	v_readfirstlane_b32 s17, v2
	s_delay_alu instid0(VALU_DEP_1)
	v_dual_mov_b32 v2, 0 :: v_dual_add_nc_u32 v1, s17, v1
	ds_store_b32 v2, v1
.LBB869_4:
	s_or_b32 exec_lo, exec_lo, s16
	v_mov_b32_e32 v1, 0
	s_clause 0x1
	s_load_b128 s[16:19], s[0:1], 0x28
	s_load_b32 s0, s[0:1], 0x70
	s_waitcnt lgkmcnt(0)
	s_barrier
	buffer_gl0_inv
	ds_load_b32 v3, v1
	s_waitcnt lgkmcnt(0)
	s_barrier
	buffer_gl0_inv
	global_load_b64 v[1:2], v1, s[10:11]
	s_lshl_b64 s[26:27], s[6:7], 3
	s_mov_b32 s1, 0
	s_add_u32 s10, s4, s26
	s_addc_u32 s11, s5, s27
	v_lshlrev_b32_e32 v55, 3, v0
	v_lshrrev_b32_e32 v34, 2, v0
	v_or_b32_e32 v39, 0x200, v0
	v_or_b32_e32 v38, 0x400, v0
	;; [unrolled: 1-line block ×5, first 2 shown]
	s_add_i32 s28, s0, -1
	s_lshl_b32 s5, s0, 12
	s_lshl_b32 s4, s28, 12
	v_or_b32_e32 v33, 0xc00, v0
	v_readfirstlane_b32 s30, v3
	s_add_i32 s4, s6, s4
	v_or_b32_e32 v36, 0xe00, v0
	s_sub_i32 s31, s12, s4
	s_delay_alu instid0(VALU_DEP_2)
	s_lshl_b32 s0, s30, 12
	s_add_u32 s4, s6, s5
	s_addc_u32 s5, s7, 0
	s_cmp_eq_u32 s30, s28
	v_cmp_ge_u64_e64 s4, s[4:5], s[12:13]
	s_cselect_b32 s28, -1, 0
	s_lshl_b64 s[12:13], s[0:1], 3
	s_mov_b32 s1, -1
	s_delay_alu instid0(VALU_DEP_1) | instskip(NEXT) | instid1(SALU_CYCLE_1)
	s_and_b32 s33, s4, s28
	s_xor_b32 s29, s33, -1
	s_add_u32 s4, s10, s12
	s_addc_u32 s5, s11, s13
	s_and_b32 vcc_lo, exec_lo, s29
	s_waitcnt vmcnt(0)
	v_readfirstlane_b32 s10, v1
	v_readfirstlane_b32 s11, v2
	s_cbranch_vccz .LBB869_6
; %bb.5:
	v_add_co_u32 v9, s0, s4, v55
	s_delay_alu instid0(VALU_DEP_1)
	v_add_co_ci_u32_e64 v10, null, s5, 0, s0
	global_load_b64 v[1:2], v55, s[4:5]
	v_add_co_u32 v3, vcc_lo, v9, 0x2000
	v_add_co_ci_u32_e32 v4, vcc_lo, 0, v10, vcc_lo
	v_add_co_u32 v5, vcc_lo, v9, 0x4000
	v_add_co_ci_u32_e32 v6, vcc_lo, 0, v10, vcc_lo
	;; [unrolled: 2-line block ×4, first 2 shown]
	s_clause 0x6
	global_load_b64 v[11:12], v[3:4], off offset:-4096
	global_load_b64 v[3:4], v[3:4], off
	global_load_b64 v[13:14], v[5:6], off offset:-4096
	global_load_b64 v[5:6], v[5:6], off
	;; [unrolled: 2-line block ×3, first 2 shown]
	global_load_b64 v[9:10], v[9:10], off
	v_lshrrev_b32_e32 v18, 2, v39
	v_lshrrev_b32_e32 v19, 2, v38
	;; [unrolled: 1-line block ×4, first 2 shown]
	v_and_b32_e32 v17, 0x78, v34
	v_lshrrev_b32_e32 v22, 2, v35
	v_lshrrev_b32_e32 v23, 2, v33
	;; [unrolled: 1-line block ×3, first 2 shown]
	v_and_b32_e32 v18, 0xf8, v18
	v_and_b32_e32 v19, 0x178, v19
	;; [unrolled: 1-line block ×4, first 2 shown]
	v_add_nc_u32_e32 v17, v17, v55
	v_and_b32_e32 v22, 0x2f8, v22
	v_and_b32_e32 v23, 0x378, v23
	;; [unrolled: 1-line block ×3, first 2 shown]
	v_add_nc_u32_e32 v18, v18, v55
	v_add_nc_u32_e32 v19, v19, v55
	;; [unrolled: 1-line block ×4, first 2 shown]
	s_mov_b32 s1, 0
	v_add_nc_u32_e32 v22, v22, v55
	v_add_nc_u32_e32 v23, v23, v55
	;; [unrolled: 1-line block ×3, first 2 shown]
	s_waitcnt vmcnt(7)
	ds_store_b64 v17, v[1:2]
	s_waitcnt vmcnt(6)
	ds_store_b64 v18, v[11:12] offset:4096
	s_waitcnt vmcnt(5)
	ds_store_b64 v19, v[3:4] offset:8192
	;; [unrolled: 2-line block ×7, first 2 shown]
	s_waitcnt lgkmcnt(0)
	s_barrier
.LBB869_6:
	v_cmp_gt_u32_e64 s0, s31, v0
	s_and_not1_b32 vcc_lo, exec_lo, s1
	s_cbranch_vccnz .LBB869_24
; %bb.7:
                                        ; implicit-def: $vgpr1_vgpr2_vgpr3_vgpr4_vgpr5_vgpr6_vgpr7_vgpr8_vgpr9_vgpr10_vgpr11_vgpr12_vgpr13_vgpr14_vgpr15_vgpr16
	s_delay_alu instid0(VALU_DEP_1)
	s_and_saveexec_b32 s1, s0
	s_cbranch_execz .LBB869_15
; %bb.8:
	global_load_b64 v[1:2], v55, s[4:5]
	s_or_b32 exec_lo, exec_lo, s1
	s_delay_alu instid0(SALU_CYCLE_1)
	s_mov_b32 s0, exec_lo
	v_cmpx_gt_u32_e64 s31, v39
	s_cbranch_execnz .LBB869_16
.LBB869_9:
	s_or_b32 exec_lo, exec_lo, s0
	s_delay_alu instid0(SALU_CYCLE_1)
	s_mov_b32 s0, exec_lo
	v_cmpx_gt_u32_e64 s31, v38
	s_cbranch_execz .LBB869_17
.LBB869_10:
	v_lshlrev_b32_e32 v5, 3, v38
	global_load_b64 v[5:6], v5, s[4:5]
	s_or_b32 exec_lo, exec_lo, s0
	s_delay_alu instid0(SALU_CYCLE_1)
	s_mov_b32 s0, exec_lo
	v_cmpx_gt_u32_e64 s31, v40
	s_cbranch_execnz .LBB869_18
.LBB869_11:
	s_or_b32 exec_lo, exec_lo, s0
	s_delay_alu instid0(SALU_CYCLE_1)
	s_mov_b32 s0, exec_lo
	v_cmpx_gt_u32_e64 s31, v37
	s_cbranch_execz .LBB869_19
.LBB869_12:
	v_lshlrev_b32_e32 v9, 3, v37
	global_load_b64 v[9:10], v9, s[4:5]
	s_or_b32 exec_lo, exec_lo, s0
	s_delay_alu instid0(SALU_CYCLE_1)
	s_mov_b32 s0, exec_lo
	v_cmpx_gt_u32_e64 s31, v35
	s_cbranch_execnz .LBB869_20
.LBB869_13:
	s_or_b32 exec_lo, exec_lo, s0
	s_delay_alu instid0(SALU_CYCLE_1)
	s_mov_b32 s0, exec_lo
	v_cmpx_gt_u32_e64 s31, v33
	s_cbranch_execz .LBB869_21
.LBB869_14:
	v_lshlrev_b32_e32 v13, 3, v33
	global_load_b64 v[13:14], v13, s[4:5]
	s_or_b32 exec_lo, exec_lo, s0
	s_delay_alu instid0(SALU_CYCLE_1)
	s_mov_b32 s0, exec_lo
	v_cmpx_gt_u32_e64 s31, v36
	s_cbranch_execnz .LBB869_22
	s_branch .LBB869_23
.LBB869_15:
	s_or_b32 exec_lo, exec_lo, s1
	s_delay_alu instid0(SALU_CYCLE_1)
	s_mov_b32 s0, exec_lo
	v_cmpx_gt_u32_e64 s31, v39
	s_cbranch_execz .LBB869_9
.LBB869_16:
	v_lshlrev_b32_e32 v3, 3, v39
	global_load_b64 v[3:4], v3, s[4:5]
	s_or_b32 exec_lo, exec_lo, s0
	s_delay_alu instid0(SALU_CYCLE_1)
	s_mov_b32 s0, exec_lo
	v_cmpx_gt_u32_e64 s31, v38
	s_cbranch_execnz .LBB869_10
.LBB869_17:
	s_or_b32 exec_lo, exec_lo, s0
	s_delay_alu instid0(SALU_CYCLE_1)
	s_mov_b32 s0, exec_lo
	v_cmpx_gt_u32_e64 s31, v40
	s_cbranch_execz .LBB869_11
.LBB869_18:
	v_lshlrev_b32_e32 v7, 3, v40
	global_load_b64 v[7:8], v7, s[4:5]
	s_or_b32 exec_lo, exec_lo, s0
	s_delay_alu instid0(SALU_CYCLE_1)
	s_mov_b32 s0, exec_lo
	v_cmpx_gt_u32_e64 s31, v37
	s_cbranch_execnz .LBB869_12
.LBB869_19:
	s_or_b32 exec_lo, exec_lo, s0
	s_delay_alu instid0(SALU_CYCLE_1)
	s_mov_b32 s0, exec_lo
	v_cmpx_gt_u32_e64 s31, v35
	s_cbranch_execz .LBB869_13
.LBB869_20:
	v_lshlrev_b32_e32 v11, 3, v35
	global_load_b64 v[11:12], v11, s[4:5]
	s_or_b32 exec_lo, exec_lo, s0
	s_delay_alu instid0(SALU_CYCLE_1)
	s_mov_b32 s0, exec_lo
	v_cmpx_gt_u32_e64 s31, v33
	s_cbranch_execnz .LBB869_14
.LBB869_21:
	s_or_b32 exec_lo, exec_lo, s0
	s_delay_alu instid0(SALU_CYCLE_1)
	s_mov_b32 s0, exec_lo
	v_cmpx_gt_u32_e64 s31, v36
	s_cbranch_execz .LBB869_23
.LBB869_22:
	v_lshlrev_b32_e32 v15, 3, v36
	global_load_b64 v[15:16], v15, s[4:5]
.LBB869_23:
	s_or_b32 exec_lo, exec_lo, s0
	v_lshrrev_b32_e32 v17, 2, v39
	v_lshrrev_b32_e32 v18, 2, v38
	;; [unrolled: 1-line block ×4, first 2 shown]
	v_and_b32_e32 v19, 0x78, v34
	v_lshrrev_b32_e32 v22, 2, v35
	v_lshrrev_b32_e32 v23, 2, v33
	;; [unrolled: 1-line block ×3, first 2 shown]
	v_and_b32_e32 v17, 0xf8, v17
	v_and_b32_e32 v18, 0x1f8, v18
	;; [unrolled: 1-line block ×4, first 2 shown]
	v_add_nc_u32_e32 v19, v19, v55
	v_and_b32_e32 v22, 0x3f8, v22
	v_and_b32_e32 v23, 0x3f8, v23
	v_and_b32_e32 v24, 0x3f8, v24
	v_add_nc_u32_e32 v17, v17, v55
	v_add_nc_u32_e32 v18, v18, v55
	;; [unrolled: 1-line block ×7, first 2 shown]
	s_waitcnt vmcnt(0)
	ds_store_b64 v19, v[1:2]
	ds_store_b64 v17, v[3:4] offset:4096
	ds_store_b64 v18, v[5:6] offset:8192
	;; [unrolled: 1-line block ×7, first 2 shown]
	s_waitcnt lgkmcnt(0)
	s_barrier
.LBB869_24:
	v_add_lshl_u32 v41, v34, v55, 3
	buffer_gl0_inv
	s_add_u32 s0, s24, s26
	s_addc_u32 s1, s25, s27
	s_add_u32 s0, s0, s12
	ds_load_2addr_b64 v[29:32], v41 offset1:1
	ds_load_2addr_b64 v[25:28], v41 offset0:2 offset1:3
	ds_load_2addr_b64 v[21:24], v41 offset0:4 offset1:5
	;; [unrolled: 1-line block ×3, first 2 shown]
	s_addc_u32 s1, s1, s13
	s_and_b32 vcc_lo, exec_lo, s29
	s_mov_b32 s12, -1
	s_waitcnt lgkmcnt(0)
	s_barrier
	buffer_gl0_inv
	s_cbranch_vccz .LBB869_26
; %bb.25:
	v_add_co_u32 v9, s12, s0, v55
	s_delay_alu instid0(VALU_DEP_1)
	v_add_co_ci_u32_e64 v10, null, s1, 0, s12
	global_load_b64 v[1:2], v55, s[0:1]
	v_add_co_u32 v3, vcc_lo, v9, 0x2000
	v_add_co_ci_u32_e32 v4, vcc_lo, 0, v10, vcc_lo
	v_add_co_u32 v5, vcc_lo, v9, 0x4000
	v_add_co_ci_u32_e32 v6, vcc_lo, 0, v10, vcc_lo
	;; [unrolled: 2-line block ×4, first 2 shown]
	s_clause 0x6
	global_load_b64 v[11:12], v[3:4], off offset:-4096
	global_load_b64 v[3:4], v[3:4], off
	global_load_b64 v[13:14], v[5:6], off offset:-4096
	global_load_b64 v[5:6], v[5:6], off
	;; [unrolled: 2-line block ×3, first 2 shown]
	global_load_b64 v[9:10], v[9:10], off
	v_lshrrev_b32_e32 v43, 2, v39
	v_lshrrev_b32_e32 v44, 2, v38
	v_lshrrev_b32_e32 v45, 2, v40
	v_lshrrev_b32_e32 v46, 2, v37
	v_and_b32_e32 v42, 0x78, v34
	v_lshrrev_b32_e32 v47, 2, v35
	v_lshrrev_b32_e32 v48, 2, v33
	;; [unrolled: 1-line block ×3, first 2 shown]
	v_and_b32_e32 v43, 0xf8, v43
	v_and_b32_e32 v44, 0x178, v44
	;; [unrolled: 1-line block ×4, first 2 shown]
	v_add_nc_u32_e32 v42, v42, v55
	v_and_b32_e32 v47, 0x2f8, v47
	v_and_b32_e32 v48, 0x378, v48
	v_and_b32_e32 v49, 0x3f8, v49
	v_add_nc_u32_e32 v43, v43, v55
	v_add_nc_u32_e32 v44, v44, v55
	v_add_nc_u32_e32 v45, v45, v55
	v_add_nc_u32_e32 v46, v46, v55
	s_mov_b32 s12, 0
	v_add_nc_u32_e32 v47, v47, v55
	v_add_nc_u32_e32 v48, v48, v55
	;; [unrolled: 1-line block ×3, first 2 shown]
	s_waitcnt vmcnt(7)
	ds_store_b64 v42, v[1:2]
	s_waitcnt vmcnt(6)
	ds_store_b64 v43, v[11:12] offset:4096
	s_waitcnt vmcnt(5)
	ds_store_b64 v44, v[3:4] offset:8192
	;; [unrolled: 2-line block ×7, first 2 shown]
	s_waitcnt lgkmcnt(0)
	s_barrier
.LBB869_26:
	s_and_not1_b32 vcc_lo, exec_lo, s12
	s_cbranch_vccnz .LBB869_44
; %bb.27:
	s_mov_b32 s12, exec_lo
                                        ; implicit-def: $vgpr1_vgpr2
	v_cmpx_gt_u32_e64 s31, v0
	s_cbranch_execz .LBB869_29
; %bb.28:
	global_load_b64 v[1:2], v55, s[0:1]
.LBB869_29:
	s_or_b32 exec_lo, exec_lo, s12
	s_delay_alu instid0(SALU_CYCLE_1)
	s_mov_b32 s12, exec_lo
                                        ; implicit-def: $vgpr3_vgpr4
	v_cmpx_gt_u32_e64 s31, v39
	s_cbranch_execz .LBB869_31
; %bb.30:
	v_lshlrev_b32_e32 v3, 3, v39
	global_load_b64 v[3:4], v3, s[0:1]
.LBB869_31:
	s_or_b32 exec_lo, exec_lo, s12
	s_delay_alu instid0(SALU_CYCLE_1)
	s_mov_b32 s12, exec_lo
                                        ; implicit-def: $vgpr5_vgpr6
	v_cmpx_gt_u32_e64 s31, v38
	s_cbranch_execz .LBB869_33
; %bb.32:
	v_lshlrev_b32_e32 v5, 3, v38
	global_load_b64 v[5:6], v5, s[0:1]
.LBB869_33:
	s_or_b32 exec_lo, exec_lo, s12
	s_delay_alu instid0(SALU_CYCLE_1)
	s_mov_b32 s12, exec_lo
                                        ; implicit-def: $vgpr7_vgpr8
	v_cmpx_gt_u32_e64 s31, v40
	s_cbranch_execz .LBB869_35
; %bb.34:
	v_lshlrev_b32_e32 v7, 3, v40
	global_load_b64 v[7:8], v7, s[0:1]
.LBB869_35:
	s_or_b32 exec_lo, exec_lo, s12
	s_delay_alu instid0(SALU_CYCLE_1)
	s_mov_b32 s12, exec_lo
                                        ; implicit-def: $vgpr9_vgpr10
	v_cmpx_gt_u32_e64 s31, v37
	s_cbranch_execz .LBB869_37
; %bb.36:
	v_lshlrev_b32_e32 v9, 3, v37
	global_load_b64 v[9:10], v9, s[0:1]
.LBB869_37:
	s_or_b32 exec_lo, exec_lo, s12
	s_delay_alu instid0(SALU_CYCLE_1)
	s_mov_b32 s12, exec_lo
                                        ; implicit-def: $vgpr11_vgpr12
	v_cmpx_gt_u32_e64 s31, v35
	s_cbranch_execz .LBB869_39
; %bb.38:
	v_lshlrev_b32_e32 v11, 3, v35
	global_load_b64 v[11:12], v11, s[0:1]
.LBB869_39:
	s_or_b32 exec_lo, exec_lo, s12
	s_delay_alu instid0(SALU_CYCLE_1)
	s_mov_b32 s12, exec_lo
                                        ; implicit-def: $vgpr13_vgpr14
	v_cmpx_gt_u32_e64 s31, v33
	s_cbranch_execz .LBB869_41
; %bb.40:
	v_lshlrev_b32_e32 v13, 3, v33
	global_load_b64 v[13:14], v13, s[0:1]
.LBB869_41:
	s_or_b32 exec_lo, exec_lo, s12
	s_delay_alu instid0(SALU_CYCLE_1)
	s_mov_b32 s12, exec_lo
                                        ; implicit-def: $vgpr15_vgpr16
	v_cmpx_gt_u32_e64 s31, v36
	s_cbranch_execz .LBB869_43
; %bb.42:
	v_lshlrev_b32_e32 v15, 3, v36
	global_load_b64 v[15:16], v15, s[0:1]
.LBB869_43:
	s_or_b32 exec_lo, exec_lo, s12
	v_lshrrev_b32_e32 v39, 2, v39
	v_lshrrev_b32_e32 v38, 2, v38
	;; [unrolled: 1-line block ×4, first 2 shown]
	v_and_b32_e32 v34, 0x78, v34
	v_lshrrev_b32_e32 v35, 2, v35
	v_lshrrev_b32_e32 v33, 2, v33
	;; [unrolled: 1-line block ×3, first 2 shown]
	v_and_b32_e32 v39, 0xf8, v39
	v_and_b32_e32 v38, 0x1f8, v38
	;; [unrolled: 1-line block ×4, first 2 shown]
	v_add_nc_u32_e32 v34, v34, v55
	v_and_b32_e32 v35, 0x3f8, v35
	v_and_b32_e32 v33, 0x3f8, v33
	;; [unrolled: 1-line block ×3, first 2 shown]
	v_add_nc_u32_e32 v39, v39, v55
	v_add_nc_u32_e32 v38, v38, v55
	v_add_nc_u32_e32 v40, v40, v55
	v_add_nc_u32_e32 v37, v37, v55
	v_add_nc_u32_e32 v35, v35, v55
	v_add_nc_u32_e32 v33, v33, v55
	v_add_nc_u32_e32 v36, v36, v55
	s_waitcnt vmcnt(0)
	ds_store_b64 v34, v[1:2]
	ds_store_b64 v39, v[3:4] offset:4096
	ds_store_b64 v38, v[5:6] offset:8192
	;; [unrolled: 1-line block ×7, first 2 shown]
	s_waitcnt lgkmcnt(0)
	s_barrier
.LBB869_44:
	buffer_gl0_inv
	ds_load_2addr_b64 v[13:16], v41 offset1:1
	ds_load_2addr_b64 v[9:12], v41 offset0:2 offset1:3
	ds_load_2addr_b64 v[5:8], v41 offset0:4 offset1:5
	;; [unrolled: 1-line block ×3, first 2 shown]
	s_cmp_lg_u32 s30, 0
	v_cmp_gt_i64_e64 s13, s[14:15], 0
	s_cselect_b32 s12, -1, 0
	s_cmp_lg_u64 s[6:7], 0
	s_mov_b32 s1, 0
	s_cselect_b32 s0, -1, 0
	s_waitcnt lgkmcnt(0)
	s_or_b32 s0, s0, s12
	s_barrier
	s_and_b32 vcc_lo, exec_lo, s0
	buffer_gl0_inv
	s_cbranch_vccz .LBB869_53
; %bb.45:
	v_mov_b32_e32 v33, 0
	v_cndmask_b32_e64 v43, 0, 1, s13
	s_and_b32 vcc_lo, exec_lo, s29
	ds_store_b64 v55, v[19:20]
	global_load_b64 v[33:34], v33, s[4:5] offset:-8
	v_cmp_ne_u32_e64 s0, 1, v43
	s_cbranch_vccz .LBB869_54
; %bb.46:
	v_mul_lo_u32 v37, v18, s14
	v_mul_lo_u32 v38, v17, s15
	v_mad_u64_u32 v[35:36], null, v17, s14, 0
	s_and_b32 vcc_lo, exec_lo, s0
	s_mov_b32 s24, 0
	s_delay_alu instid0(VALU_DEP_1) | instskip(NEXT) | instid1(VALU_DEP_1)
	v_add3_u32 v36, v36, v38, v37
	v_lshlrev_b64 v[35:36], 3, v[35:36]
	s_cbranch_vccnz .LBB869_57
; %bb.47:
	v_mul_lo_u32 v39, v20, s14
	v_mul_lo_u32 v40, v19, s15
	v_mad_u64_u32 v[37:38], null, v19, s14, 0
	s_mov_b32 s24, -1
	s_mov_b32 s25, exec_lo
	s_delay_alu instid0(VALU_DEP_1) | instskip(SKIP_2) | instid1(VALU_DEP_3)
	v_add3_u32 v38, v38, v40, v39
	v_add_co_u32 v39, vcc_lo, s20, v35
	v_add_co_ci_u32_e32 v40, vcc_lo, s21, v36, vcc_lo
	v_lshlrev_b64 v[37:38], 3, v[37:38]
	s_delay_alu instid0(VALU_DEP_1) | instskip(NEXT) | instid1(VALU_DEP_2)
	v_add_co_u32 v37, vcc_lo, s20, v37
	v_add_co_ci_u32_e32 v38, vcc_lo, s21, v38, vcc_lo
	s_clause 0x1
	global_load_b64 v[41:42], v[39:40], off
	global_load_b64 v[44:45], v[37:38], off
	s_waitcnt vmcnt(0)
	v_cmpx_eq_f64_e32 v[41:42], v[44:45]
	s_cbranch_execz .LBB869_56
; %bb.48:
	v_add_co_u32 v37, vcc_lo, v37, 8
	v_add_co_ci_u32_e32 v38, vcc_lo, 0, v38, vcc_lo
	v_add_co_u32 v39, vcc_lo, v39, 8
	v_add_co_ci_u32_e32 v40, vcc_lo, 0, v40, vcc_lo
	s_add_u32 s4, s14, -1
	s_addc_u32 s5, s15, -1
	s_mov_b64 s[6:7], 0
	s_mov_b32 s24, 0
                                        ; implicit-def: $sgpr26
	s_set_inst_prefetch_distance 0x1
	s_branch .LBB869_51
	.p2align	6
.LBB869_49:                             ;   in Loop: Header=BB869_51 Depth=1
	global_load_b64 v[41:42], v[39:40], off
	global_load_b64 v[44:45], v[37:38], off
	v_add_co_u32 v37, s0, v37, 8
	s_delay_alu instid0(VALU_DEP_1) | instskip(SKIP_1) | instid1(VALU_DEP_1)
	v_add_co_ci_u32_e64 v38, s0, 0, v38, s0
	v_add_co_u32 v39, s0, v39, 8
	v_add_co_ci_u32_e64 v40, s0, 0, v40, s0
	s_add_u32 s6, s6, 1
	s_addc_u32 s7, s7, 0
	s_and_not1_b32 s0, s26, exec_lo
	s_waitcnt vmcnt(0)
	v_cmp_neq_f64_e32 vcc_lo, v[41:42], v[44:45]
	s_and_b32 s26, vcc_lo, exec_lo
	s_delay_alu instid0(SALU_CYCLE_1)
	s_or_b32 s26, s0, s26
.LBB869_50:                             ;   in Loop: Header=BB869_51 Depth=1
	v_dual_mov_b32 v42, s7 :: v_dual_mov_b32 v41, s6
	s_and_b32 s0, exec_lo, s26
	s_delay_alu instid0(SALU_CYCLE_1) | instskip(NEXT) | instid1(SALU_CYCLE_1)
	s_or_b32 s24, s0, s24
	s_and_not1_b32 exec_lo, exec_lo, s24
	s_cbranch_execz .LBB869_55
.LBB869_51:                             ; =>This Inner Loop Header: Depth=1
	s_or_b32 s26, s26, exec_lo
	s_cmp_eq_u64 s[4:5], s[6:7]
	s_cbranch_scc0 .LBB869_49
; %bb.52:                               ;   in Loop: Header=BB869_51 Depth=1
	s_mov_b64 s[6:7], s[14:15]
                                        ; implicit-def: $vgpr37_vgpr38
                                        ; implicit-def: $vgpr39_vgpr40
	s_branch .LBB869_50
.LBB869_53:
                                        ; implicit-def: $sgpr0
                                        ; implicit-def: $vgpr36
	s_branch .LBB869_215
.LBB869_54:
                                        ; implicit-def: $sgpr0
                                        ; implicit-def: $vgpr36
	s_cbranch_execnz .LBB869_123
	s_branch .LBB869_214
.LBB869_55:
	s_set_inst_prefetch_distance 0x2
	s_or_b32 exec_lo, exec_lo, s24
	v_cmp_gt_i64_e32 vcc_lo, s[14:15], v[41:42]
	s_or_not1_b32 s24, vcc_lo, exec_lo
.LBB869_56:
	s_or_b32 exec_lo, exec_lo, s25
.LBB869_57:
	v_mul_lo_u32 v39, v24, s14
	v_mul_lo_u32 v40, v23, s15
	v_mad_u64_u32 v[37:38], null, v23, s14, 0
	s_and_not1_b32 vcc_lo, exec_lo, s13
	s_delay_alu instid0(VALU_DEP_1) | instskip(NEXT) | instid1(VALU_DEP_1)
	v_add3_u32 v38, v38, v40, v39
	v_lshlrev_b64 v[37:38], 3, v[37:38]
	s_cbranch_vccnz .LBB869_66
; %bb.58:
	s_delay_alu instid0(VALU_DEP_1) | instskip(NEXT) | instid1(VALU_DEP_2)
	v_add_co_u32 v39, vcc_lo, s20, v37
	v_add_co_ci_u32_e32 v40, vcc_lo, s21, v38, vcc_lo
	v_add_co_u32 v35, vcc_lo, s20, v35
	v_add_co_ci_u32_e32 v36, vcc_lo, s21, v36, vcc_lo
	s_mov_b32 s1, -1
	s_clause 0x1
	global_load_b64 v[41:42], v[39:40], off
	global_load_b64 v[44:45], v[35:36], off
	s_mov_b32 s25, exec_lo
	s_waitcnt vmcnt(0)
	v_cmpx_eq_f64_e32 v[41:42], v[44:45]
	s_cbranch_execz .LBB869_65
; %bb.59:
	v_add_co_u32 v35, vcc_lo, v35, 8
	v_add_co_ci_u32_e32 v36, vcc_lo, 0, v36, vcc_lo
	v_add_co_u32 v39, vcc_lo, v39, 8
	v_add_co_ci_u32_e32 v40, vcc_lo, 0, v40, vcc_lo
	s_add_u32 s4, s14, -1
	s_addc_u32 s5, s15, -1
	s_mov_b64 s[6:7], 0
	s_mov_b32 s1, 0
                                        ; implicit-def: $sgpr26
	s_set_inst_prefetch_distance 0x1
	s_branch .LBB869_62
	.p2align	6
.LBB869_60:                             ;   in Loop: Header=BB869_62 Depth=1
	global_load_b64 v[41:42], v[39:40], off
	global_load_b64 v[44:45], v[35:36], off
	v_add_co_u32 v35, s0, v35, 8
	s_delay_alu instid0(VALU_DEP_1) | instskip(SKIP_1) | instid1(VALU_DEP_1)
	v_add_co_ci_u32_e64 v36, s0, 0, v36, s0
	v_add_co_u32 v39, s0, v39, 8
	v_add_co_ci_u32_e64 v40, s0, 0, v40, s0
	s_add_u32 s6, s6, 1
	s_addc_u32 s7, s7, 0
	s_and_not1_b32 s0, s26, exec_lo
	s_waitcnt vmcnt(0)
	v_cmp_neq_f64_e32 vcc_lo, v[41:42], v[44:45]
	s_and_b32 s26, vcc_lo, exec_lo
	s_delay_alu instid0(SALU_CYCLE_1)
	s_or_b32 s26, s0, s26
.LBB869_61:                             ;   in Loop: Header=BB869_62 Depth=1
	v_dual_mov_b32 v42, s7 :: v_dual_mov_b32 v41, s6
	s_and_b32 s0, exec_lo, s26
	s_delay_alu instid0(SALU_CYCLE_1) | instskip(NEXT) | instid1(SALU_CYCLE_1)
	s_or_b32 s1, s0, s1
	s_and_not1_b32 exec_lo, exec_lo, s1
	s_cbranch_execz .LBB869_64
.LBB869_62:                             ; =>This Inner Loop Header: Depth=1
	s_or_b32 s26, s26, exec_lo
	s_cmp_eq_u64 s[4:5], s[6:7]
	s_cbranch_scc0 .LBB869_60
; %bb.63:                               ;   in Loop: Header=BB869_62 Depth=1
	s_mov_b64 s[6:7], s[14:15]
                                        ; implicit-def: $vgpr35_vgpr36
                                        ; implicit-def: $vgpr39_vgpr40
	s_branch .LBB869_61
.LBB869_64:
	s_set_inst_prefetch_distance 0x2
	s_or_b32 exec_lo, exec_lo, s1
	v_cmp_gt_i64_e32 vcc_lo, s[14:15], v[41:42]
	s_or_not1_b32 s1, vcc_lo, exec_lo
.LBB869_65:
	s_or_b32 exec_lo, exec_lo, s25
.LBB869_66:
	v_mul_lo_u32 v39, v22, s14
	v_mul_lo_u32 v40, v21, s15
	v_mad_u64_u32 v[35:36], null, v21, s14, 0
	s_mov_b32 s25, 0
	s_and_not1_b32 vcc_lo, exec_lo, s13
	s_mov_b32 s26, 0
	s_delay_alu instid0(VALU_DEP_1) | instskip(NEXT) | instid1(VALU_DEP_1)
	v_add3_u32 v36, v36, v40, v39
	v_lshlrev_b64 v[39:40], 3, v[35:36]
	s_cbranch_vccnz .LBB869_75
; %bb.67:
	s_delay_alu instid0(VALU_DEP_1) | instskip(NEXT) | instid1(VALU_DEP_2)
	v_add_co_u32 v41, vcc_lo, s20, v39
	v_add_co_ci_u32_e32 v42, vcc_lo, s21, v40, vcc_lo
	v_add_co_u32 v35, vcc_lo, s20, v37
	v_add_co_ci_u32_e32 v36, vcc_lo, s21, v38, vcc_lo
	s_mov_b32 s26, -1
	s_clause 0x1
	global_load_b64 v[37:38], v[41:42], off
	global_load_b64 v[44:45], v[35:36], off
	s_mov_b32 s27, exec_lo
	s_waitcnt vmcnt(0)
	v_cmpx_eq_f64_e32 v[37:38], v[44:45]
	s_cbranch_execz .LBB869_74
; %bb.68:
	v_add_co_u32 v35, vcc_lo, v35, 8
	v_add_co_ci_u32_e32 v36, vcc_lo, 0, v36, vcc_lo
	v_add_co_u32 v37, vcc_lo, v41, 8
	v_add_co_ci_u32_e32 v38, vcc_lo, 0, v42, vcc_lo
	s_add_u32 s4, s14, -1
	s_addc_u32 s5, s15, -1
	s_mov_b64 s[6:7], 0
	s_mov_b32 s26, 0
                                        ; implicit-def: $sgpr34
	s_set_inst_prefetch_distance 0x1
	s_branch .LBB869_71
	.p2align	6
.LBB869_69:                             ;   in Loop: Header=BB869_71 Depth=1
	global_load_b64 v[41:42], v[37:38], off
	global_load_b64 v[44:45], v[35:36], off
	v_add_co_u32 v35, s0, v35, 8
	s_delay_alu instid0(VALU_DEP_1) | instskip(SKIP_1) | instid1(VALU_DEP_1)
	v_add_co_ci_u32_e64 v36, s0, 0, v36, s0
	v_add_co_u32 v37, s0, v37, 8
	v_add_co_ci_u32_e64 v38, s0, 0, v38, s0
	s_add_u32 s6, s6, 1
	s_addc_u32 s7, s7, 0
	s_and_not1_b32 s0, s34, exec_lo
	s_waitcnt vmcnt(0)
	v_cmp_neq_f64_e32 vcc_lo, v[41:42], v[44:45]
	s_and_b32 s34, vcc_lo, exec_lo
	s_delay_alu instid0(SALU_CYCLE_1)
	s_or_b32 s34, s0, s34
.LBB869_70:                             ;   in Loop: Header=BB869_71 Depth=1
	v_dual_mov_b32 v42, s7 :: v_dual_mov_b32 v41, s6
	s_and_b32 s0, exec_lo, s34
	s_delay_alu instid0(SALU_CYCLE_1) | instskip(NEXT) | instid1(SALU_CYCLE_1)
	s_or_b32 s26, s0, s26
	s_and_not1_b32 exec_lo, exec_lo, s26
	s_cbranch_execz .LBB869_73
.LBB869_71:                             ; =>This Inner Loop Header: Depth=1
	s_or_b32 s34, s34, exec_lo
	s_cmp_eq_u64 s[4:5], s[6:7]
	s_cbranch_scc0 .LBB869_69
; %bb.72:                               ;   in Loop: Header=BB869_71 Depth=1
	s_mov_b64 s[6:7], s[14:15]
                                        ; implicit-def: $vgpr35_vgpr36
                                        ; implicit-def: $vgpr37_vgpr38
	s_branch .LBB869_70
.LBB869_73:
	s_set_inst_prefetch_distance 0x2
	s_or_b32 exec_lo, exec_lo, s26
	v_cmp_gt_i64_e32 vcc_lo, s[14:15], v[41:42]
	s_or_not1_b32 s26, vcc_lo, exec_lo
.LBB869_74:
	s_or_b32 exec_lo, exec_lo, s27
.LBB869_75:
	v_mul_lo_u32 v37, v28, s14
	v_mul_lo_u32 v38, v27, s15
	v_mad_u64_u32 v[35:36], null, v27, s14, 0
	s_and_not1_b32 vcc_lo, exec_lo, s13
	s_delay_alu instid0(VALU_DEP_1) | instskip(NEXT) | instid1(VALU_DEP_1)
	v_add3_u32 v36, v36, v38, v37
	v_lshlrev_b64 v[35:36], 3, v[35:36]
	s_cbranch_vccnz .LBB869_84
; %bb.76:
	s_delay_alu instid0(VALU_DEP_1) | instskip(NEXT) | instid1(VALU_DEP_2)
	v_add_co_u32 v41, vcc_lo, s20, v35
	v_add_co_ci_u32_e32 v42, vcc_lo, s21, v36, vcc_lo
	v_add_co_u32 v37, vcc_lo, s20, v39
	v_add_co_ci_u32_e32 v38, vcc_lo, s21, v40, vcc_lo
	s_mov_b32 s25, -1
	s_clause 0x1
	global_load_b64 v[39:40], v[41:42], off
	global_load_b64 v[44:45], v[37:38], off
	s_mov_b32 s27, exec_lo
	s_waitcnt vmcnt(0)
	v_cmpx_eq_f64_e32 v[39:40], v[44:45]
	s_cbranch_execz .LBB869_83
; %bb.77:
	v_add_co_u32 v37, vcc_lo, v37, 8
	v_add_co_ci_u32_e32 v38, vcc_lo, 0, v38, vcc_lo
	v_add_co_u32 v39, vcc_lo, v41, 8
	v_add_co_ci_u32_e32 v40, vcc_lo, 0, v42, vcc_lo
	s_add_u32 s4, s14, -1
	s_addc_u32 s5, s15, -1
	s_mov_b64 s[6:7], 0
	s_mov_b32 s25, 0
                                        ; implicit-def: $sgpr34
	s_set_inst_prefetch_distance 0x1
	s_branch .LBB869_80
	.p2align	6
.LBB869_78:                             ;   in Loop: Header=BB869_80 Depth=1
	global_load_b64 v[41:42], v[39:40], off
	global_load_b64 v[44:45], v[37:38], off
	v_add_co_u32 v37, s0, v37, 8
	s_delay_alu instid0(VALU_DEP_1) | instskip(SKIP_1) | instid1(VALU_DEP_1)
	v_add_co_ci_u32_e64 v38, s0, 0, v38, s0
	v_add_co_u32 v39, s0, v39, 8
	v_add_co_ci_u32_e64 v40, s0, 0, v40, s0
	s_add_u32 s6, s6, 1
	s_addc_u32 s7, s7, 0
	s_and_not1_b32 s0, s34, exec_lo
	s_waitcnt vmcnt(0)
	v_cmp_neq_f64_e32 vcc_lo, v[41:42], v[44:45]
	s_and_b32 s34, vcc_lo, exec_lo
	s_delay_alu instid0(SALU_CYCLE_1)
	s_or_b32 s34, s0, s34
.LBB869_79:                             ;   in Loop: Header=BB869_80 Depth=1
	v_dual_mov_b32 v42, s7 :: v_dual_mov_b32 v41, s6
	s_and_b32 s0, exec_lo, s34
	s_delay_alu instid0(SALU_CYCLE_1) | instskip(NEXT) | instid1(SALU_CYCLE_1)
	s_or_b32 s25, s0, s25
	s_and_not1_b32 exec_lo, exec_lo, s25
	s_cbranch_execz .LBB869_82
.LBB869_80:                             ; =>This Inner Loop Header: Depth=1
	s_or_b32 s34, s34, exec_lo
	s_cmp_eq_u64 s[4:5], s[6:7]
	s_cbranch_scc0 .LBB869_78
; %bb.81:                               ;   in Loop: Header=BB869_80 Depth=1
	s_mov_b64 s[6:7], s[14:15]
                                        ; implicit-def: $vgpr37_vgpr38
                                        ; implicit-def: $vgpr39_vgpr40
	s_branch .LBB869_79
.LBB869_82:
	s_set_inst_prefetch_distance 0x2
	s_or_b32 exec_lo, exec_lo, s25
	v_cmp_gt_i64_e32 vcc_lo, s[14:15], v[41:42]
	s_or_not1_b32 s25, vcc_lo, exec_lo
.LBB869_83:
	s_or_b32 exec_lo, exec_lo, s27
.LBB869_84:
	v_mul_lo_u32 v39, v26, s14
	v_mul_lo_u32 v40, v25, s15
	v_mad_u64_u32 v[37:38], null, v25, s14, 0
	s_mov_b32 s27, 0
	s_and_not1_b32 vcc_lo, exec_lo, s13
	s_mov_b32 s34, 0
	s_delay_alu instid0(VALU_DEP_1) | instskip(NEXT) | instid1(VALU_DEP_1)
	v_add3_u32 v38, v38, v40, v39
	v_lshlrev_b64 v[39:40], 3, v[37:38]
	s_cbranch_vccnz .LBB869_93
; %bb.85:
	s_delay_alu instid0(VALU_DEP_1) | instskip(NEXT) | instid1(VALU_DEP_2)
	v_add_co_u32 v37, vcc_lo, s20, v39
	v_add_co_ci_u32_e32 v38, vcc_lo, s21, v40, vcc_lo
	v_add_co_u32 v35, vcc_lo, s20, v35
	v_add_co_ci_u32_e32 v36, vcc_lo, s21, v36, vcc_lo
	s_mov_b32 s34, -1
	s_clause 0x1
	global_load_b64 v[41:42], v[37:38], off
	global_load_b64 v[44:45], v[35:36], off
	s_mov_b32 s35, exec_lo
	s_waitcnt vmcnt(0)
	v_cmpx_eq_f64_e32 v[41:42], v[44:45]
	s_cbranch_execz .LBB869_92
; %bb.86:
	v_add_co_u32 v35, vcc_lo, v35, 8
	v_add_co_ci_u32_e32 v36, vcc_lo, 0, v36, vcc_lo
	v_add_co_u32 v37, vcc_lo, v37, 8
	v_add_co_ci_u32_e32 v38, vcc_lo, 0, v38, vcc_lo
	s_add_u32 s4, s14, -1
	s_addc_u32 s5, s15, -1
	s_mov_b64 s[6:7], 0
	s_mov_b32 s34, 0
                                        ; implicit-def: $sgpr36
	s_set_inst_prefetch_distance 0x1
	s_branch .LBB869_89
	.p2align	6
.LBB869_87:                             ;   in Loop: Header=BB869_89 Depth=1
	global_load_b64 v[41:42], v[37:38], off
	global_load_b64 v[44:45], v[35:36], off
	v_add_co_u32 v35, s0, v35, 8
	s_delay_alu instid0(VALU_DEP_1) | instskip(SKIP_1) | instid1(VALU_DEP_1)
	v_add_co_ci_u32_e64 v36, s0, 0, v36, s0
	v_add_co_u32 v37, s0, v37, 8
	v_add_co_ci_u32_e64 v38, s0, 0, v38, s0
	s_add_u32 s6, s6, 1
	s_addc_u32 s7, s7, 0
	s_and_not1_b32 s0, s36, exec_lo
	s_waitcnt vmcnt(0)
	v_cmp_neq_f64_e32 vcc_lo, v[41:42], v[44:45]
	s_and_b32 s36, vcc_lo, exec_lo
	s_delay_alu instid0(SALU_CYCLE_1)
	s_or_b32 s36, s0, s36
.LBB869_88:                             ;   in Loop: Header=BB869_89 Depth=1
	v_dual_mov_b32 v42, s7 :: v_dual_mov_b32 v41, s6
	s_and_b32 s0, exec_lo, s36
	s_delay_alu instid0(SALU_CYCLE_1) | instskip(NEXT) | instid1(SALU_CYCLE_1)
	s_or_b32 s34, s0, s34
	s_and_not1_b32 exec_lo, exec_lo, s34
	s_cbranch_execz .LBB869_91
.LBB869_89:                             ; =>This Inner Loop Header: Depth=1
	s_or_b32 s36, s36, exec_lo
	s_cmp_eq_u64 s[4:5], s[6:7]
	s_cbranch_scc0 .LBB869_87
; %bb.90:                               ;   in Loop: Header=BB869_89 Depth=1
	s_mov_b64 s[6:7], s[14:15]
                                        ; implicit-def: $vgpr35_vgpr36
                                        ; implicit-def: $vgpr37_vgpr38
	s_branch .LBB869_88
.LBB869_91:
	s_set_inst_prefetch_distance 0x2
	s_or_b32 exec_lo, exec_lo, s34
	v_cmp_gt_i64_e32 vcc_lo, s[14:15], v[41:42]
	s_or_not1_b32 s34, vcc_lo, exec_lo
.LBB869_92:
	s_or_b32 exec_lo, exec_lo, s35
.LBB869_93:
	v_mul_lo_u32 v37, v32, s14
	v_mul_lo_u32 v38, v31, s15
	v_mad_u64_u32 v[35:36], null, v31, s14, 0
	s_and_not1_b32 vcc_lo, exec_lo, s13
	s_delay_alu instid0(VALU_DEP_1) | instskip(NEXT) | instid1(VALU_DEP_1)
	v_add3_u32 v36, v36, v38, v37
	v_lshlrev_b64 v[37:38], 3, v[35:36]
	s_cbranch_vccnz .LBB869_102
; %bb.94:
	s_delay_alu instid0(VALU_DEP_1) | instskip(NEXT) | instid1(VALU_DEP_2)
	v_add_co_u32 v41, vcc_lo, s20, v37
	v_add_co_ci_u32_e32 v42, vcc_lo, s21, v38, vcc_lo
	v_add_co_u32 v35, vcc_lo, s20, v39
	v_add_co_ci_u32_e32 v36, vcc_lo, s21, v40, vcc_lo
	s_mov_b32 s27, -1
	s_clause 0x1
	global_load_b64 v[39:40], v[41:42], off
	global_load_b64 v[44:45], v[35:36], off
	s_mov_b32 s35, exec_lo
	s_waitcnt vmcnt(0)
	v_cmpx_eq_f64_e32 v[39:40], v[44:45]
	s_cbranch_execz .LBB869_101
; %bb.95:
	v_add_co_u32 v35, vcc_lo, v35, 8
	v_add_co_ci_u32_e32 v36, vcc_lo, 0, v36, vcc_lo
	v_add_co_u32 v39, vcc_lo, v41, 8
	v_add_co_ci_u32_e32 v40, vcc_lo, 0, v42, vcc_lo
	s_add_u32 s4, s14, -1
	s_addc_u32 s5, s15, -1
	s_mov_b64 s[6:7], 0
	s_mov_b32 s27, 0
                                        ; implicit-def: $sgpr36
	s_set_inst_prefetch_distance 0x1
	s_branch .LBB869_98
	.p2align	6
.LBB869_96:                             ;   in Loop: Header=BB869_98 Depth=1
	global_load_b64 v[41:42], v[39:40], off
	global_load_b64 v[44:45], v[35:36], off
	v_add_co_u32 v35, s0, v35, 8
	s_delay_alu instid0(VALU_DEP_1) | instskip(SKIP_1) | instid1(VALU_DEP_1)
	v_add_co_ci_u32_e64 v36, s0, 0, v36, s0
	v_add_co_u32 v39, s0, v39, 8
	v_add_co_ci_u32_e64 v40, s0, 0, v40, s0
	s_add_u32 s6, s6, 1
	s_addc_u32 s7, s7, 0
	s_and_not1_b32 s0, s36, exec_lo
	s_waitcnt vmcnt(0)
	v_cmp_neq_f64_e32 vcc_lo, v[41:42], v[44:45]
	s_and_b32 s36, vcc_lo, exec_lo
	s_delay_alu instid0(SALU_CYCLE_1)
	s_or_b32 s36, s0, s36
.LBB869_97:                             ;   in Loop: Header=BB869_98 Depth=1
	v_dual_mov_b32 v42, s7 :: v_dual_mov_b32 v41, s6
	s_and_b32 s0, exec_lo, s36
	s_delay_alu instid0(SALU_CYCLE_1) | instskip(NEXT) | instid1(SALU_CYCLE_1)
	s_or_b32 s27, s0, s27
	s_and_not1_b32 exec_lo, exec_lo, s27
	s_cbranch_execz .LBB869_100
.LBB869_98:                             ; =>This Inner Loop Header: Depth=1
	s_or_b32 s36, s36, exec_lo
	s_cmp_eq_u64 s[4:5], s[6:7]
	s_cbranch_scc0 .LBB869_96
; %bb.99:                               ;   in Loop: Header=BB869_98 Depth=1
	s_mov_b64 s[6:7], s[14:15]
                                        ; implicit-def: $vgpr35_vgpr36
                                        ; implicit-def: $vgpr39_vgpr40
	s_branch .LBB869_97
.LBB869_100:
	s_set_inst_prefetch_distance 0x2
	s_or_b32 exec_lo, exec_lo, s27
	v_cmp_gt_i64_e32 vcc_lo, s[14:15], v[41:42]
	s_or_not1_b32 s27, vcc_lo, exec_lo
.LBB869_101:
	s_or_b32 exec_lo, exec_lo, s35
.LBB869_102:
	v_mul_lo_u32 v39, v30, s14
	v_mul_lo_u32 v40, v29, s15
	v_mad_u64_u32 v[35:36], null, v29, s14, 0
	s_and_not1_b32 vcc_lo, exec_lo, s13
	s_mov_b32 s0, 0
	s_delay_alu instid0(VALU_DEP_1) | instskip(NEXT) | instid1(VALU_DEP_1)
	v_add3_u32 v36, v36, v40, v39
	v_lshlrev_b64 v[35:36], 3, v[35:36]
	s_cbranch_vccnz .LBB869_111
; %bb.103:
	s_delay_alu instid0(VALU_DEP_1) | instskip(NEXT) | instid1(VALU_DEP_2)
	v_add_co_u32 v39, vcc_lo, s20, v35
	v_add_co_ci_u32_e32 v40, vcc_lo, s21, v36, vcc_lo
	v_add_co_u32 v37, vcc_lo, s20, v37
	v_add_co_ci_u32_e32 v38, vcc_lo, s21, v38, vcc_lo
	s_mov_b32 s0, -1
	s_clause 0x1
	global_load_b64 v[41:42], v[39:40], off
	global_load_b64 v[44:45], v[37:38], off
	s_mov_b32 s35, exec_lo
	s_waitcnt vmcnt(0)
	v_cmpx_eq_f64_e32 v[41:42], v[44:45]
	s_cbranch_execz .LBB869_110
; %bb.104:
	v_add_co_u32 v37, vcc_lo, v37, 8
	v_add_co_ci_u32_e32 v38, vcc_lo, 0, v38, vcc_lo
	v_add_co_u32 v39, vcc_lo, v39, 8
	v_add_co_ci_u32_e32 v40, vcc_lo, 0, v40, vcc_lo
	s_add_u32 s4, s14, -1
	s_addc_u32 s5, s15, -1
	s_mov_b64 s[6:7], 0
	s_mov_b32 s36, 0
                                        ; implicit-def: $sgpr37
	s_set_inst_prefetch_distance 0x1
	s_branch .LBB869_107
	.p2align	6
.LBB869_105:                            ;   in Loop: Header=BB869_107 Depth=1
	global_load_b64 v[41:42], v[39:40], off
	global_load_b64 v[44:45], v[37:38], off
	v_add_co_u32 v37, s0, v37, 8
	s_delay_alu instid0(VALU_DEP_1) | instskip(SKIP_1) | instid1(VALU_DEP_1)
	v_add_co_ci_u32_e64 v38, s0, 0, v38, s0
	v_add_co_u32 v39, s0, v39, 8
	v_add_co_ci_u32_e64 v40, s0, 0, v40, s0
	s_add_u32 s6, s6, 1
	s_addc_u32 s7, s7, 0
	s_and_not1_b32 s0, s37, exec_lo
	s_waitcnt vmcnt(0)
	v_cmp_neq_f64_e32 vcc_lo, v[41:42], v[44:45]
	s_and_b32 s37, vcc_lo, exec_lo
	s_delay_alu instid0(SALU_CYCLE_1)
	s_or_b32 s37, s0, s37
.LBB869_106:                            ;   in Loop: Header=BB869_107 Depth=1
	v_dual_mov_b32 v42, s7 :: v_dual_mov_b32 v41, s6
	s_and_b32 s0, exec_lo, s37
	s_delay_alu instid0(SALU_CYCLE_1) | instskip(NEXT) | instid1(SALU_CYCLE_1)
	s_or_b32 s36, s0, s36
	s_and_not1_b32 exec_lo, exec_lo, s36
	s_cbranch_execz .LBB869_109
.LBB869_107:                            ; =>This Inner Loop Header: Depth=1
	s_or_b32 s37, s37, exec_lo
	s_cmp_eq_u64 s[4:5], s[6:7]
	s_cbranch_scc0 .LBB869_105
; %bb.108:                              ;   in Loop: Header=BB869_107 Depth=1
	s_mov_b64 s[6:7], s[14:15]
                                        ; implicit-def: $vgpr37_vgpr38
                                        ; implicit-def: $vgpr39_vgpr40
	s_branch .LBB869_106
.LBB869_109:
	s_set_inst_prefetch_distance 0x2
	s_or_b32 exec_lo, exec_lo, s36
	v_cmp_gt_i64_e32 vcc_lo, s[14:15], v[41:42]
	s_or_not1_b32 s0, vcc_lo, exec_lo
.LBB869_110:
	s_or_b32 exec_lo, exec_lo, s35
.LBB869_111:
	s_waitcnt vmcnt(0)
	v_dual_mov_b32 v38, v34 :: v_dual_mov_b32 v37, v33
	s_waitcnt lgkmcnt(0)
	s_barrier
	buffer_gl0_inv
	s_and_saveexec_b32 s4, s3
	s_cbranch_execz .LBB869_113
; %bb.112:
	v_add_nc_u32_e32 v37, -8, v55
	ds_load_b64 v[37:38], v37
.LBB869_113:
	s_or_b32 exec_lo, exec_lo, s4
	v_cndmask_b32_e64 v40, 0, 1, s34
	v_cndmask_b32_e64 v42, 0, 1, s26
	;; [unrolled: 1-line block ×7, first 2 shown]
	v_lshlrev_b16 v40, 8, v40
	v_lshlrev_b16 v42, 8, v42
	;; [unrolled: 1-line block ×4, first 2 shown]
	s_mov_b32 s1, 0
	v_or_b32_e32 v39, v39, v40
	v_or_b32_e32 v40, v41, v42
	;; [unrolled: 1-line block ×3, first 2 shown]
	v_and_b32_e32 v41, 0xffff, v45
	s_and_not1_b32 vcc_lo, exec_lo, s13
	v_lshlrev_b32_e32 v42, 16, v39
	v_and_b32_e32 v44, 0xffff, v40
	v_lshlrev_b32_e32 v45, 16, v46
	s_mov_b32 s0, 0
	s_cbranch_vccnz .LBB869_122
; %bb.114:
	s_waitcnt lgkmcnt(0)
	v_mul_lo_u32 v40, v38, s14
	v_mul_lo_u32 v46, v37, s15
	v_mad_u64_u32 v[38:39], null, v37, s14, 0
	s_mov_b32 s0, -1
	s_mov_b32 s24, exec_lo
	s_delay_alu instid0(VALU_DEP_1) | instskip(NEXT) | instid1(VALU_DEP_1)
	v_add3_u32 v39, v39, v46, v40
	v_lshlrev_b64 v[37:38], 3, v[38:39]
	s_delay_alu instid0(VALU_DEP_1) | instskip(NEXT) | instid1(VALU_DEP_2)
	v_add_co_u32 v37, vcc_lo, s20, v37
	v_add_co_ci_u32_e32 v38, vcc_lo, s21, v38, vcc_lo
	v_add_co_u32 v35, vcc_lo, s20, v35
	v_add_co_ci_u32_e32 v36, vcc_lo, s21, v36, vcc_lo
	s_clause 0x1
	global_load_b64 v[39:40], v[37:38], off
	global_load_b64 v[46:47], v[35:36], off
	s_waitcnt vmcnt(0)
	v_cmpx_eq_f64_e32 v[39:40], v[46:47]
	s_cbranch_execz .LBB869_121
; %bb.115:
	v_add_co_u32 v35, vcc_lo, v35, 8
	v_add_co_ci_u32_e32 v36, vcc_lo, 0, v36, vcc_lo
	v_add_co_u32 v37, vcc_lo, v37, 8
	v_add_co_ci_u32_e32 v38, vcc_lo, 0, v38, vcc_lo
	s_add_u32 s4, s14, -1
	s_addc_u32 s5, s15, -1
	s_mov_b64 s[6:7], 0
	s_mov_b32 s25, 0
                                        ; implicit-def: $sgpr26
	s_set_inst_prefetch_distance 0x1
	s_branch .LBB869_118
	.p2align	6
.LBB869_116:                            ;   in Loop: Header=BB869_118 Depth=1
	global_load_b64 v[39:40], v[37:38], off
	global_load_b64 v[46:47], v[35:36], off
	v_add_co_u32 v35, s0, v35, 8
	s_delay_alu instid0(VALU_DEP_1) | instskip(SKIP_1) | instid1(VALU_DEP_1)
	v_add_co_ci_u32_e64 v36, s0, 0, v36, s0
	v_add_co_u32 v37, s0, v37, 8
	v_add_co_ci_u32_e64 v38, s0, 0, v38, s0
	s_add_u32 s6, s6, 1
	s_addc_u32 s7, s7, 0
	s_and_not1_b32 s0, s26, exec_lo
	s_waitcnt vmcnt(0)
	v_cmp_neq_f64_e32 vcc_lo, v[39:40], v[46:47]
	s_and_b32 s26, vcc_lo, exec_lo
	s_delay_alu instid0(SALU_CYCLE_1)
	s_or_b32 s26, s0, s26
.LBB869_117:                            ;   in Loop: Header=BB869_118 Depth=1
	v_dual_mov_b32 v40, s7 :: v_dual_mov_b32 v39, s6
	s_and_b32 s0, exec_lo, s26
	s_delay_alu instid0(SALU_CYCLE_1) | instskip(NEXT) | instid1(SALU_CYCLE_1)
	s_or_b32 s25, s0, s25
	s_and_not1_b32 exec_lo, exec_lo, s25
	s_cbranch_execz .LBB869_120
.LBB869_118:                            ; =>This Inner Loop Header: Depth=1
	s_or_b32 s26, s26, exec_lo
	s_cmp_eq_u64 s[4:5], s[6:7]
	s_cbranch_scc0 .LBB869_116
; %bb.119:                              ;   in Loop: Header=BB869_118 Depth=1
	s_mov_b64 s[6:7], s[14:15]
                                        ; implicit-def: $vgpr35_vgpr36
                                        ; implicit-def: $vgpr37_vgpr38
	s_branch .LBB869_117
.LBB869_120:
	s_set_inst_prefetch_distance 0x2
	s_or_b32 exec_lo, exec_lo, s25
	v_cmp_gt_i64_e32 vcc_lo, s[14:15], v[39:40]
	s_or_not1_b32 s0, vcc_lo, exec_lo
.LBB869_121:
	s_or_b32 exec_lo, exec_lo, s24
.LBB869_122:
	v_or_b32_e32 v35, v41, v42
	s_delay_alu instid0(VALU_DEP_2)
	v_or_b32_e32 v36, v44, v45
	s_and_b32 vcc_lo, exec_lo, s1
	s_cbranch_vccz .LBB869_214
.LBB869_123:
	v_or_b32_e32 v35, 7, v55
	s_mov_b32 s1, 0
	s_mov_b32 s24, 0
	s_mov_b32 s25, exec_lo
	s_delay_alu instid0(VALU_DEP_1)
	v_cmpx_gt_u32_e64 s31, v35
	s_cbranch_execz .LBB869_134
; %bb.124:
	s_and_not1_b32 vcc_lo, exec_lo, s13
	s_mov_b32 s0, 0
	s_cbranch_vccnz .LBB869_133
; %bb.125:
	v_mul_lo_u32 v39, v18, s14
	v_mul_lo_u32 v40, v17, s15
	v_mad_u64_u32 v[35:36], null, v17, s14, 0
	v_mul_lo_u32 v41, v20, s14
	v_mul_lo_u32 v42, v19, s15
	s_waitcnt lgkmcnt(0)
	v_mad_u64_u32 v[37:38], null, v19, s14, 0
	s_mov_b32 s0, -1
	s_mov_b32 s13, exec_lo
	s_delay_alu instid0(VALU_DEP_4) | instskip(NEXT) | instid1(VALU_DEP_2)
	v_add3_u32 v36, v36, v40, v39
	v_add3_u32 v38, v38, v42, v41
	s_delay_alu instid0(VALU_DEP_2) | instskip(NEXT) | instid1(VALU_DEP_2)
	v_lshlrev_b64 v[35:36], 3, v[35:36]
	v_lshlrev_b64 v[39:40], 3, v[37:38]
	s_delay_alu instid0(VALU_DEP_2) | instskip(NEXT) | instid1(VALU_DEP_3)
	v_add_co_u32 v37, vcc_lo, s20, v35
	v_add_co_ci_u32_e32 v38, vcc_lo, s21, v36, vcc_lo
	s_delay_alu instid0(VALU_DEP_3) | instskip(NEXT) | instid1(VALU_DEP_4)
	v_add_co_u32 v35, vcc_lo, s20, v39
	v_add_co_ci_u32_e32 v36, vcc_lo, s21, v40, vcc_lo
	s_clause 0x1
	global_load_b64 v[39:40], v[37:38], off
	global_load_b64 v[41:42], v[35:36], off
	s_waitcnt vmcnt(0)
	v_cmpx_eq_f64_e32 v[39:40], v[41:42]
	s_cbranch_execz .LBB869_132
; %bb.126:
	v_add_co_u32 v35, vcc_lo, v35, 8
	v_add_co_ci_u32_e32 v36, vcc_lo, 0, v36, vcc_lo
	v_add_co_u32 v37, vcc_lo, v37, 8
	v_add_co_ci_u32_e32 v38, vcc_lo, 0, v38, vcc_lo
	s_add_u32 s4, s14, -1
	s_addc_u32 s5, s15, -1
	s_mov_b64 s[6:7], 0
                                        ; implicit-def: $sgpr26
	s_set_inst_prefetch_distance 0x1
	s_branch .LBB869_129
	.p2align	6
.LBB869_127:                            ;   in Loop: Header=BB869_129 Depth=1
	global_load_b64 v[39:40], v[37:38], off
	global_load_b64 v[41:42], v[35:36], off
	v_add_co_u32 v35, s0, v35, 8
	s_delay_alu instid0(VALU_DEP_1) | instskip(SKIP_1) | instid1(VALU_DEP_1)
	v_add_co_ci_u32_e64 v36, s0, 0, v36, s0
	v_add_co_u32 v37, s0, v37, 8
	v_add_co_ci_u32_e64 v38, s0, 0, v38, s0
	s_add_u32 s6, s6, 1
	s_addc_u32 s7, s7, 0
	s_and_not1_b32 s0, s26, exec_lo
	s_waitcnt vmcnt(0)
	v_cmp_neq_f64_e32 vcc_lo, v[39:40], v[41:42]
	s_and_b32 s26, vcc_lo, exec_lo
	s_delay_alu instid0(SALU_CYCLE_1)
	s_or_b32 s26, s0, s26
.LBB869_128:                            ;   in Loop: Header=BB869_129 Depth=1
	v_dual_mov_b32 v40, s7 :: v_dual_mov_b32 v39, s6
	s_and_b32 s0, exec_lo, s26
	s_delay_alu instid0(SALU_CYCLE_1) | instskip(NEXT) | instid1(SALU_CYCLE_1)
	s_or_b32 s24, s0, s24
	s_and_not1_b32 exec_lo, exec_lo, s24
	s_cbranch_execz .LBB869_131
.LBB869_129:                            ; =>This Inner Loop Header: Depth=1
	s_or_b32 s26, s26, exec_lo
	s_cmp_eq_u64 s[4:5], s[6:7]
	s_cbranch_scc0 .LBB869_127
; %bb.130:                              ;   in Loop: Header=BB869_129 Depth=1
	s_mov_b64 s[6:7], s[14:15]
                                        ; implicit-def: $vgpr35_vgpr36
                                        ; implicit-def: $vgpr37_vgpr38
	s_branch .LBB869_128
.LBB869_131:
	s_set_inst_prefetch_distance 0x2
	s_or_b32 exec_lo, exec_lo, s24
	v_cmp_gt_i64_e32 vcc_lo, s[14:15], v[39:40]
	s_or_not1_b32 s0, vcc_lo, exec_lo
.LBB869_132:
	s_or_b32 exec_lo, exec_lo, s13
.LBB869_133:
	s_delay_alu instid0(SALU_CYCLE_1)
	s_and_b32 s24, s0, exec_lo
.LBB869_134:
	s_or_b32 exec_lo, exec_lo, s25
	v_or_b32_e32 v35, 6, v55
	s_mov_b32 s13, exec_lo
	s_delay_alu instid0(VALU_DEP_1)
	v_cmpx_gt_u32_e64 s31, v35
	s_cbranch_execz .LBB869_145
; %bb.135:
	v_cmp_ne_u32_e32 vcc_lo, 1, v43
	s_mov_b32 s0, 0
	s_cbranch_vccnz .LBB869_144
; %bb.136:
	v_mul_lo_u32 v39, v24, s14
	v_mul_lo_u32 v40, v23, s15
	v_mad_u64_u32 v[35:36], null, v23, s14, 0
	v_mul_lo_u32 v41, v18, s14
	v_mul_lo_u32 v42, v17, s15
	s_waitcnt lgkmcnt(0)
	v_mad_u64_u32 v[37:38], null, v17, s14, 0
	s_mov_b32 s0, -1
	s_mov_b32 s1, exec_lo
	s_delay_alu instid0(VALU_DEP_4) | instskip(NEXT) | instid1(VALU_DEP_2)
	v_add3_u32 v36, v36, v40, v39
	v_add3_u32 v38, v38, v42, v41
	s_delay_alu instid0(VALU_DEP_2) | instskip(NEXT) | instid1(VALU_DEP_2)
	v_lshlrev_b64 v[35:36], 3, v[35:36]
	v_lshlrev_b64 v[39:40], 3, v[37:38]
	s_delay_alu instid0(VALU_DEP_2) | instskip(NEXT) | instid1(VALU_DEP_3)
	v_add_co_u32 v37, vcc_lo, s20, v35
	v_add_co_ci_u32_e32 v38, vcc_lo, s21, v36, vcc_lo
	s_delay_alu instid0(VALU_DEP_3) | instskip(NEXT) | instid1(VALU_DEP_4)
	v_add_co_u32 v35, vcc_lo, s20, v39
	v_add_co_ci_u32_e32 v36, vcc_lo, s21, v40, vcc_lo
	s_clause 0x1
	global_load_b64 v[39:40], v[37:38], off
	global_load_b64 v[41:42], v[35:36], off
	s_waitcnt vmcnt(0)
	v_cmpx_eq_f64_e32 v[39:40], v[41:42]
	s_cbranch_execz .LBB869_143
; %bb.137:
	v_add_co_u32 v35, vcc_lo, v35, 8
	v_add_co_ci_u32_e32 v36, vcc_lo, 0, v36, vcc_lo
	v_add_co_u32 v37, vcc_lo, v37, 8
	v_add_co_ci_u32_e32 v38, vcc_lo, 0, v38, vcc_lo
	s_add_u32 s4, s14, -1
	s_addc_u32 s5, s15, -1
	s_mov_b64 s[6:7], 0
	s_mov_b32 s25, 0
                                        ; implicit-def: $sgpr26
	s_set_inst_prefetch_distance 0x1
	s_branch .LBB869_140
	.p2align	6
.LBB869_138:                            ;   in Loop: Header=BB869_140 Depth=1
	global_load_b64 v[39:40], v[37:38], off
	global_load_b64 v[41:42], v[35:36], off
	v_add_co_u32 v35, s0, v35, 8
	s_delay_alu instid0(VALU_DEP_1) | instskip(SKIP_1) | instid1(VALU_DEP_1)
	v_add_co_ci_u32_e64 v36, s0, 0, v36, s0
	v_add_co_u32 v37, s0, v37, 8
	v_add_co_ci_u32_e64 v38, s0, 0, v38, s0
	s_add_u32 s6, s6, 1
	s_addc_u32 s7, s7, 0
	s_and_not1_b32 s0, s26, exec_lo
	s_waitcnt vmcnt(0)
	v_cmp_neq_f64_e32 vcc_lo, v[39:40], v[41:42]
	s_and_b32 s26, vcc_lo, exec_lo
	s_delay_alu instid0(SALU_CYCLE_1)
	s_or_b32 s26, s0, s26
.LBB869_139:                            ;   in Loop: Header=BB869_140 Depth=1
	v_dual_mov_b32 v40, s7 :: v_dual_mov_b32 v39, s6
	s_and_b32 s0, exec_lo, s26
	s_delay_alu instid0(SALU_CYCLE_1) | instskip(NEXT) | instid1(SALU_CYCLE_1)
	s_or_b32 s25, s0, s25
	s_and_not1_b32 exec_lo, exec_lo, s25
	s_cbranch_execz .LBB869_142
.LBB869_140:                            ; =>This Inner Loop Header: Depth=1
	s_or_b32 s26, s26, exec_lo
	s_cmp_eq_u64 s[4:5], s[6:7]
	s_cbranch_scc0 .LBB869_138
; %bb.141:                              ;   in Loop: Header=BB869_140 Depth=1
	s_mov_b64 s[6:7], s[14:15]
                                        ; implicit-def: $vgpr35_vgpr36
                                        ; implicit-def: $vgpr37_vgpr38
	s_branch .LBB869_139
.LBB869_142:
	s_set_inst_prefetch_distance 0x2
	s_or_b32 exec_lo, exec_lo, s25
	v_cmp_gt_i64_e32 vcc_lo, s[14:15], v[39:40]
	s_or_not1_b32 s0, vcc_lo, exec_lo
.LBB869_143:
	s_or_b32 exec_lo, exec_lo, s1
.LBB869_144:
	s_delay_alu instid0(SALU_CYCLE_1)
	s_and_b32 s1, s0, exec_lo
.LBB869_145:
	s_or_b32 exec_lo, exec_lo, s13
	v_or_b32_e32 v35, 5, v55
	s_mov_b32 s25, 0
	s_mov_b32 s13, 0
	s_mov_b32 s26, exec_lo
	s_delay_alu instid0(VALU_DEP_1)
	v_cmpx_gt_u32_e64 s31, v35
	s_cbranch_execz .LBB869_156
; %bb.146:
	v_cmp_ne_u32_e32 vcc_lo, 1, v43
	s_mov_b32 s0, 0
	s_cbranch_vccnz .LBB869_155
; %bb.147:
	v_mul_lo_u32 v39, v22, s14
	v_mul_lo_u32 v40, v21, s15
	v_mad_u64_u32 v[35:36], null, v21, s14, 0
	v_mul_lo_u32 v41, v24, s14
	v_mul_lo_u32 v42, v23, s15
	s_waitcnt lgkmcnt(0)
	v_mad_u64_u32 v[37:38], null, v23, s14, 0
	s_mov_b32 s0, -1
	s_mov_b32 s13, exec_lo
	s_delay_alu instid0(VALU_DEP_4) | instskip(NEXT) | instid1(VALU_DEP_2)
	v_add3_u32 v36, v36, v40, v39
	v_add3_u32 v38, v38, v42, v41
	s_delay_alu instid0(VALU_DEP_2) | instskip(NEXT) | instid1(VALU_DEP_2)
	v_lshlrev_b64 v[35:36], 3, v[35:36]
	v_lshlrev_b64 v[39:40], 3, v[37:38]
	s_delay_alu instid0(VALU_DEP_2) | instskip(NEXT) | instid1(VALU_DEP_3)
	v_add_co_u32 v37, vcc_lo, s20, v35
	v_add_co_ci_u32_e32 v38, vcc_lo, s21, v36, vcc_lo
	s_delay_alu instid0(VALU_DEP_3) | instskip(NEXT) | instid1(VALU_DEP_4)
	v_add_co_u32 v35, vcc_lo, s20, v39
	v_add_co_ci_u32_e32 v36, vcc_lo, s21, v40, vcc_lo
	s_clause 0x1
	global_load_b64 v[39:40], v[37:38], off
	global_load_b64 v[41:42], v[35:36], off
	s_waitcnt vmcnt(0)
	v_cmpx_eq_f64_e32 v[39:40], v[41:42]
	s_cbranch_execz .LBB869_154
; %bb.148:
	v_add_co_u32 v35, vcc_lo, v35, 8
	v_add_co_ci_u32_e32 v36, vcc_lo, 0, v36, vcc_lo
	v_add_co_u32 v37, vcc_lo, v37, 8
	v_add_co_ci_u32_e32 v38, vcc_lo, 0, v38, vcc_lo
	s_add_u32 s4, s14, -1
	s_addc_u32 s5, s15, -1
	s_mov_b64 s[6:7], 0
	s_mov_b32 s27, 0
                                        ; implicit-def: $sgpr34
	s_set_inst_prefetch_distance 0x1
	s_branch .LBB869_151
	.p2align	6
.LBB869_149:                            ;   in Loop: Header=BB869_151 Depth=1
	global_load_b64 v[39:40], v[37:38], off
	global_load_b64 v[41:42], v[35:36], off
	v_add_co_u32 v35, s0, v35, 8
	s_delay_alu instid0(VALU_DEP_1) | instskip(SKIP_1) | instid1(VALU_DEP_1)
	v_add_co_ci_u32_e64 v36, s0, 0, v36, s0
	v_add_co_u32 v37, s0, v37, 8
	v_add_co_ci_u32_e64 v38, s0, 0, v38, s0
	s_add_u32 s6, s6, 1
	s_addc_u32 s7, s7, 0
	s_and_not1_b32 s0, s34, exec_lo
	s_waitcnt vmcnt(0)
	v_cmp_neq_f64_e32 vcc_lo, v[39:40], v[41:42]
	s_and_b32 s34, vcc_lo, exec_lo
	s_delay_alu instid0(SALU_CYCLE_1)
	s_or_b32 s34, s0, s34
.LBB869_150:                            ;   in Loop: Header=BB869_151 Depth=1
	v_dual_mov_b32 v40, s7 :: v_dual_mov_b32 v39, s6
	s_and_b32 s0, exec_lo, s34
	s_delay_alu instid0(SALU_CYCLE_1) | instskip(NEXT) | instid1(SALU_CYCLE_1)
	s_or_b32 s27, s0, s27
	s_and_not1_b32 exec_lo, exec_lo, s27
	s_cbranch_execz .LBB869_153
.LBB869_151:                            ; =>This Inner Loop Header: Depth=1
	s_or_b32 s34, s34, exec_lo
	s_cmp_eq_u64 s[4:5], s[6:7]
	s_cbranch_scc0 .LBB869_149
; %bb.152:                              ;   in Loop: Header=BB869_151 Depth=1
	s_mov_b64 s[6:7], s[14:15]
                                        ; implicit-def: $vgpr35_vgpr36
                                        ; implicit-def: $vgpr37_vgpr38
	s_branch .LBB869_150
.LBB869_153:
	s_set_inst_prefetch_distance 0x2
	s_or_b32 exec_lo, exec_lo, s27
	v_cmp_gt_i64_e32 vcc_lo, s[14:15], v[39:40]
	s_or_not1_b32 s0, vcc_lo, exec_lo
.LBB869_154:
	s_or_b32 exec_lo, exec_lo, s13
.LBB869_155:
	s_delay_alu instid0(SALU_CYCLE_1)
	s_and_b32 s13, s0, exec_lo
.LBB869_156:
	s_or_b32 exec_lo, exec_lo, s26
	v_or_b32_e32 v35, 4, v55
	s_mov_b32 s26, exec_lo
	s_delay_alu instid0(VALU_DEP_1)
	v_cmpx_gt_u32_e64 s31, v35
	s_cbranch_execz .LBB869_167
; %bb.157:
	v_cmp_ne_u32_e32 vcc_lo, 1, v43
	s_mov_b32 s0, 0
	s_cbranch_vccnz .LBB869_166
; %bb.158:
	v_mul_lo_u32 v39, v28, s14
	v_mul_lo_u32 v40, v27, s15
	v_mad_u64_u32 v[35:36], null, v27, s14, 0
	v_mul_lo_u32 v41, v22, s14
	v_mul_lo_u32 v42, v21, s15
	s_waitcnt lgkmcnt(0)
	v_mad_u64_u32 v[37:38], null, v21, s14, 0
	s_mov_b32 s0, -1
	s_mov_b32 s25, exec_lo
	s_delay_alu instid0(VALU_DEP_4) | instskip(NEXT) | instid1(VALU_DEP_2)
	v_add3_u32 v36, v36, v40, v39
	v_add3_u32 v38, v38, v42, v41
	s_delay_alu instid0(VALU_DEP_2) | instskip(NEXT) | instid1(VALU_DEP_2)
	v_lshlrev_b64 v[35:36], 3, v[35:36]
	v_lshlrev_b64 v[39:40], 3, v[37:38]
	s_delay_alu instid0(VALU_DEP_2) | instskip(NEXT) | instid1(VALU_DEP_3)
	v_add_co_u32 v37, vcc_lo, s20, v35
	v_add_co_ci_u32_e32 v38, vcc_lo, s21, v36, vcc_lo
	s_delay_alu instid0(VALU_DEP_3) | instskip(NEXT) | instid1(VALU_DEP_4)
	v_add_co_u32 v35, vcc_lo, s20, v39
	v_add_co_ci_u32_e32 v36, vcc_lo, s21, v40, vcc_lo
	s_clause 0x1
	global_load_b64 v[39:40], v[37:38], off
	global_load_b64 v[41:42], v[35:36], off
	s_waitcnt vmcnt(0)
	v_cmpx_eq_f64_e32 v[39:40], v[41:42]
	s_cbranch_execz .LBB869_165
; %bb.159:
	v_add_co_u32 v35, vcc_lo, v35, 8
	v_add_co_ci_u32_e32 v36, vcc_lo, 0, v36, vcc_lo
	v_add_co_u32 v37, vcc_lo, v37, 8
	v_add_co_ci_u32_e32 v38, vcc_lo, 0, v38, vcc_lo
	s_add_u32 s4, s14, -1
	s_addc_u32 s5, s15, -1
	s_mov_b64 s[6:7], 0
	s_mov_b32 s27, 0
                                        ; implicit-def: $sgpr34
	s_set_inst_prefetch_distance 0x1
	s_branch .LBB869_162
	.p2align	6
.LBB869_160:                            ;   in Loop: Header=BB869_162 Depth=1
	global_load_b64 v[39:40], v[37:38], off
	global_load_b64 v[41:42], v[35:36], off
	v_add_co_u32 v35, s0, v35, 8
	s_delay_alu instid0(VALU_DEP_1) | instskip(SKIP_1) | instid1(VALU_DEP_1)
	v_add_co_ci_u32_e64 v36, s0, 0, v36, s0
	v_add_co_u32 v37, s0, v37, 8
	v_add_co_ci_u32_e64 v38, s0, 0, v38, s0
	s_add_u32 s6, s6, 1
	s_addc_u32 s7, s7, 0
	s_and_not1_b32 s0, s34, exec_lo
	s_waitcnt vmcnt(0)
	v_cmp_neq_f64_e32 vcc_lo, v[39:40], v[41:42]
	s_and_b32 s34, vcc_lo, exec_lo
	s_delay_alu instid0(SALU_CYCLE_1)
	s_or_b32 s34, s0, s34
.LBB869_161:                            ;   in Loop: Header=BB869_162 Depth=1
	v_dual_mov_b32 v40, s7 :: v_dual_mov_b32 v39, s6
	s_and_b32 s0, exec_lo, s34
	s_delay_alu instid0(SALU_CYCLE_1) | instskip(NEXT) | instid1(SALU_CYCLE_1)
	s_or_b32 s27, s0, s27
	s_and_not1_b32 exec_lo, exec_lo, s27
	s_cbranch_execz .LBB869_164
.LBB869_162:                            ; =>This Inner Loop Header: Depth=1
	s_or_b32 s34, s34, exec_lo
	s_cmp_eq_u64 s[4:5], s[6:7]
	s_cbranch_scc0 .LBB869_160
; %bb.163:                              ;   in Loop: Header=BB869_162 Depth=1
	s_mov_b64 s[6:7], s[14:15]
                                        ; implicit-def: $vgpr35_vgpr36
                                        ; implicit-def: $vgpr37_vgpr38
	s_branch .LBB869_161
.LBB869_164:
	s_set_inst_prefetch_distance 0x2
	s_or_b32 exec_lo, exec_lo, s27
	v_cmp_gt_i64_e32 vcc_lo, s[14:15], v[39:40]
	s_or_not1_b32 s0, vcc_lo, exec_lo
.LBB869_165:
	s_or_b32 exec_lo, exec_lo, s25
.LBB869_166:
	s_delay_alu instid0(SALU_CYCLE_1)
	s_and_b32 s25, s0, exec_lo
.LBB869_167:
	s_or_b32 exec_lo, exec_lo, s26
	v_or_b32_e32 v35, 3, v55
	s_mov_b32 s27, 0
	s_mov_b32 s26, 0
	s_mov_b32 s34, exec_lo
	s_delay_alu instid0(VALU_DEP_1)
	v_cmpx_gt_u32_e64 s31, v35
	s_cbranch_execz .LBB869_178
; %bb.168:
	v_cmp_ne_u32_e32 vcc_lo, 1, v43
	s_mov_b32 s0, 0
	s_cbranch_vccnz .LBB869_177
; %bb.169:
	v_mul_lo_u32 v39, v26, s14
	v_mul_lo_u32 v40, v25, s15
	v_mad_u64_u32 v[35:36], null, v25, s14, 0
	v_mul_lo_u32 v41, v28, s14
	v_mul_lo_u32 v42, v27, s15
	s_waitcnt lgkmcnt(0)
	v_mad_u64_u32 v[37:38], null, v27, s14, 0
	s_mov_b32 s0, -1
	s_mov_b32 s26, exec_lo
	s_delay_alu instid0(VALU_DEP_4) | instskip(NEXT) | instid1(VALU_DEP_2)
	v_add3_u32 v36, v36, v40, v39
	v_add3_u32 v38, v38, v42, v41
	s_delay_alu instid0(VALU_DEP_2) | instskip(NEXT) | instid1(VALU_DEP_2)
	v_lshlrev_b64 v[35:36], 3, v[35:36]
	v_lshlrev_b64 v[39:40], 3, v[37:38]
	s_delay_alu instid0(VALU_DEP_2) | instskip(NEXT) | instid1(VALU_DEP_3)
	v_add_co_u32 v37, vcc_lo, s20, v35
	v_add_co_ci_u32_e32 v38, vcc_lo, s21, v36, vcc_lo
	s_delay_alu instid0(VALU_DEP_3) | instskip(NEXT) | instid1(VALU_DEP_4)
	v_add_co_u32 v35, vcc_lo, s20, v39
	v_add_co_ci_u32_e32 v36, vcc_lo, s21, v40, vcc_lo
	s_clause 0x1
	global_load_b64 v[39:40], v[37:38], off
	global_load_b64 v[41:42], v[35:36], off
	s_waitcnt vmcnt(0)
	v_cmpx_eq_f64_e32 v[39:40], v[41:42]
	s_cbranch_execz .LBB869_176
; %bb.170:
	v_add_co_u32 v35, vcc_lo, v35, 8
	v_add_co_ci_u32_e32 v36, vcc_lo, 0, v36, vcc_lo
	v_add_co_u32 v37, vcc_lo, v37, 8
	v_add_co_ci_u32_e32 v38, vcc_lo, 0, v38, vcc_lo
	s_add_u32 s4, s14, -1
	s_addc_u32 s5, s15, -1
	s_mov_b64 s[6:7], 0
	s_mov_b32 s35, 0
                                        ; implicit-def: $sgpr36
	s_set_inst_prefetch_distance 0x1
	s_branch .LBB869_173
	.p2align	6
.LBB869_171:                            ;   in Loop: Header=BB869_173 Depth=1
	global_load_b64 v[39:40], v[37:38], off
	global_load_b64 v[41:42], v[35:36], off
	v_add_co_u32 v35, s0, v35, 8
	s_delay_alu instid0(VALU_DEP_1) | instskip(SKIP_1) | instid1(VALU_DEP_1)
	v_add_co_ci_u32_e64 v36, s0, 0, v36, s0
	v_add_co_u32 v37, s0, v37, 8
	v_add_co_ci_u32_e64 v38, s0, 0, v38, s0
	s_add_u32 s6, s6, 1
	s_addc_u32 s7, s7, 0
	s_and_not1_b32 s0, s36, exec_lo
	s_waitcnt vmcnt(0)
	v_cmp_neq_f64_e32 vcc_lo, v[39:40], v[41:42]
	s_and_b32 s36, vcc_lo, exec_lo
	s_delay_alu instid0(SALU_CYCLE_1)
	s_or_b32 s36, s0, s36
.LBB869_172:                            ;   in Loop: Header=BB869_173 Depth=1
	v_dual_mov_b32 v40, s7 :: v_dual_mov_b32 v39, s6
	s_and_b32 s0, exec_lo, s36
	s_delay_alu instid0(SALU_CYCLE_1) | instskip(NEXT) | instid1(SALU_CYCLE_1)
	s_or_b32 s35, s0, s35
	s_and_not1_b32 exec_lo, exec_lo, s35
	s_cbranch_execz .LBB869_175
.LBB869_173:                            ; =>This Inner Loop Header: Depth=1
	s_or_b32 s36, s36, exec_lo
	s_cmp_eq_u64 s[4:5], s[6:7]
	s_cbranch_scc0 .LBB869_171
; %bb.174:                              ;   in Loop: Header=BB869_173 Depth=1
	s_mov_b64 s[6:7], s[14:15]
                                        ; implicit-def: $vgpr35_vgpr36
                                        ; implicit-def: $vgpr37_vgpr38
	s_branch .LBB869_172
.LBB869_175:
	s_set_inst_prefetch_distance 0x2
	s_or_b32 exec_lo, exec_lo, s35
	v_cmp_gt_i64_e32 vcc_lo, s[14:15], v[39:40]
	s_or_not1_b32 s0, vcc_lo, exec_lo
.LBB869_176:
	s_or_b32 exec_lo, exec_lo, s26
.LBB869_177:
	s_delay_alu instid0(SALU_CYCLE_1)
	s_and_b32 s26, s0, exec_lo
.LBB869_178:
	s_or_b32 exec_lo, exec_lo, s34
	v_or_b32_e32 v35, 2, v55
	s_mov_b32 s34, exec_lo
	s_delay_alu instid0(VALU_DEP_1)
	v_cmpx_gt_u32_e64 s31, v35
	s_cbranch_execz .LBB869_189
; %bb.179:
	v_cmp_ne_u32_e32 vcc_lo, 1, v43
	s_mov_b32 s0, 0
	s_cbranch_vccnz .LBB869_188
; %bb.180:
	v_mul_lo_u32 v39, v32, s14
	v_mul_lo_u32 v40, v31, s15
	v_mad_u64_u32 v[35:36], null, v31, s14, 0
	v_mul_lo_u32 v41, v26, s14
	v_mul_lo_u32 v42, v25, s15
	s_waitcnt lgkmcnt(0)
	v_mad_u64_u32 v[37:38], null, v25, s14, 0
	s_mov_b32 s0, -1
	s_mov_b32 s27, exec_lo
	s_delay_alu instid0(VALU_DEP_4) | instskip(NEXT) | instid1(VALU_DEP_2)
	v_add3_u32 v36, v36, v40, v39
	v_add3_u32 v38, v38, v42, v41
	s_delay_alu instid0(VALU_DEP_2) | instskip(NEXT) | instid1(VALU_DEP_2)
	v_lshlrev_b64 v[35:36], 3, v[35:36]
	v_lshlrev_b64 v[39:40], 3, v[37:38]
	s_delay_alu instid0(VALU_DEP_2) | instskip(NEXT) | instid1(VALU_DEP_3)
	v_add_co_u32 v37, vcc_lo, s20, v35
	v_add_co_ci_u32_e32 v38, vcc_lo, s21, v36, vcc_lo
	s_delay_alu instid0(VALU_DEP_3) | instskip(NEXT) | instid1(VALU_DEP_4)
	v_add_co_u32 v35, vcc_lo, s20, v39
	v_add_co_ci_u32_e32 v36, vcc_lo, s21, v40, vcc_lo
	s_clause 0x1
	global_load_b64 v[39:40], v[37:38], off
	global_load_b64 v[41:42], v[35:36], off
	s_waitcnt vmcnt(0)
	v_cmpx_eq_f64_e32 v[39:40], v[41:42]
	s_cbranch_execz .LBB869_187
; %bb.181:
	v_add_co_u32 v35, vcc_lo, v35, 8
	v_add_co_ci_u32_e32 v36, vcc_lo, 0, v36, vcc_lo
	v_add_co_u32 v37, vcc_lo, v37, 8
	v_add_co_ci_u32_e32 v38, vcc_lo, 0, v38, vcc_lo
	s_add_u32 s4, s14, -1
	s_addc_u32 s5, s15, -1
	s_mov_b64 s[6:7], 0
	s_mov_b32 s35, 0
                                        ; implicit-def: $sgpr36
	s_set_inst_prefetch_distance 0x1
	s_branch .LBB869_184
	.p2align	6
.LBB869_182:                            ;   in Loop: Header=BB869_184 Depth=1
	global_load_b64 v[39:40], v[37:38], off
	global_load_b64 v[41:42], v[35:36], off
	v_add_co_u32 v35, s0, v35, 8
	s_delay_alu instid0(VALU_DEP_1) | instskip(SKIP_1) | instid1(VALU_DEP_1)
	v_add_co_ci_u32_e64 v36, s0, 0, v36, s0
	v_add_co_u32 v37, s0, v37, 8
	v_add_co_ci_u32_e64 v38, s0, 0, v38, s0
	s_add_u32 s6, s6, 1
	s_addc_u32 s7, s7, 0
	s_and_not1_b32 s0, s36, exec_lo
	s_waitcnt vmcnt(0)
	v_cmp_neq_f64_e32 vcc_lo, v[39:40], v[41:42]
	s_and_b32 s36, vcc_lo, exec_lo
	s_delay_alu instid0(SALU_CYCLE_1)
	s_or_b32 s36, s0, s36
.LBB869_183:                            ;   in Loop: Header=BB869_184 Depth=1
	v_dual_mov_b32 v40, s7 :: v_dual_mov_b32 v39, s6
	s_and_b32 s0, exec_lo, s36
	s_delay_alu instid0(SALU_CYCLE_1) | instskip(NEXT) | instid1(SALU_CYCLE_1)
	s_or_b32 s35, s0, s35
	s_and_not1_b32 exec_lo, exec_lo, s35
	s_cbranch_execz .LBB869_186
.LBB869_184:                            ; =>This Inner Loop Header: Depth=1
	s_or_b32 s36, s36, exec_lo
	s_cmp_eq_u64 s[4:5], s[6:7]
	s_cbranch_scc0 .LBB869_182
; %bb.185:                              ;   in Loop: Header=BB869_184 Depth=1
	s_mov_b64 s[6:7], s[14:15]
                                        ; implicit-def: $vgpr35_vgpr36
                                        ; implicit-def: $vgpr37_vgpr38
	s_branch .LBB869_183
.LBB869_186:
	s_set_inst_prefetch_distance 0x2
	s_or_b32 exec_lo, exec_lo, s35
	v_cmp_gt_i64_e32 vcc_lo, s[14:15], v[39:40]
	s_or_not1_b32 s0, vcc_lo, exec_lo
.LBB869_187:
	s_or_b32 exec_lo, exec_lo, s27
.LBB869_188:
	s_delay_alu instid0(SALU_CYCLE_1)
	s_and_b32 s27, s0, exec_lo
.LBB869_189:
	s_or_b32 exec_lo, exec_lo, s34
	v_or_b32_e32 v35, 1, v55
	s_mov_b32 s0, 0
	s_mov_b32 s34, exec_lo
	s_delay_alu instid0(VALU_DEP_1)
	v_cmpx_gt_u32_e64 s31, v35
	s_cbranch_execz .LBB869_200
; %bb.190:
	v_cmp_ne_u32_e32 vcc_lo, 1, v43
	s_cbranch_vccnz .LBB869_199
; %bb.191:
	v_mul_lo_u32 v39, v30, s14
	v_mul_lo_u32 v40, v29, s15
	v_mad_u64_u32 v[35:36], null, v29, s14, 0
	v_mul_lo_u32 v41, v32, s14
	v_mul_lo_u32 v42, v31, s15
	s_waitcnt lgkmcnt(0)
	v_mad_u64_u32 v[37:38], null, v31, s14, 0
	s_mov_b32 s0, -1
	s_mov_b32 s35, exec_lo
	s_delay_alu instid0(VALU_DEP_4) | instskip(NEXT) | instid1(VALU_DEP_2)
	v_add3_u32 v36, v36, v40, v39
	v_add3_u32 v38, v38, v42, v41
	s_delay_alu instid0(VALU_DEP_2) | instskip(NEXT) | instid1(VALU_DEP_2)
	v_lshlrev_b64 v[35:36], 3, v[35:36]
	v_lshlrev_b64 v[39:40], 3, v[37:38]
	s_delay_alu instid0(VALU_DEP_2) | instskip(NEXT) | instid1(VALU_DEP_3)
	v_add_co_u32 v37, vcc_lo, s20, v35
	v_add_co_ci_u32_e32 v38, vcc_lo, s21, v36, vcc_lo
	s_delay_alu instid0(VALU_DEP_3) | instskip(NEXT) | instid1(VALU_DEP_4)
	v_add_co_u32 v35, vcc_lo, s20, v39
	v_add_co_ci_u32_e32 v36, vcc_lo, s21, v40, vcc_lo
	s_clause 0x1
	global_load_b64 v[39:40], v[37:38], off
	global_load_b64 v[41:42], v[35:36], off
	s_waitcnt vmcnt(0)
	v_cmpx_eq_f64_e32 v[39:40], v[41:42]
	s_cbranch_execz .LBB869_198
; %bb.192:
	v_add_co_u32 v35, vcc_lo, v35, 8
	v_add_co_ci_u32_e32 v36, vcc_lo, 0, v36, vcc_lo
	v_add_co_u32 v37, vcc_lo, v37, 8
	v_add_co_ci_u32_e32 v38, vcc_lo, 0, v38, vcc_lo
	s_add_u32 s4, s14, -1
	s_addc_u32 s5, s15, -1
	s_mov_b64 s[6:7], 0
	s_mov_b32 s36, 0
                                        ; implicit-def: $sgpr37
	s_set_inst_prefetch_distance 0x1
	s_branch .LBB869_195
	.p2align	6
.LBB869_193:                            ;   in Loop: Header=BB869_195 Depth=1
	global_load_b64 v[39:40], v[37:38], off
	global_load_b64 v[41:42], v[35:36], off
	v_add_co_u32 v35, s0, v35, 8
	s_delay_alu instid0(VALU_DEP_1) | instskip(SKIP_1) | instid1(VALU_DEP_1)
	v_add_co_ci_u32_e64 v36, s0, 0, v36, s0
	v_add_co_u32 v37, s0, v37, 8
	v_add_co_ci_u32_e64 v38, s0, 0, v38, s0
	s_add_u32 s6, s6, 1
	s_addc_u32 s7, s7, 0
	s_and_not1_b32 s0, s37, exec_lo
	s_waitcnt vmcnt(0)
	v_cmp_neq_f64_e32 vcc_lo, v[39:40], v[41:42]
	s_and_b32 s37, vcc_lo, exec_lo
	s_delay_alu instid0(SALU_CYCLE_1)
	s_or_b32 s37, s0, s37
.LBB869_194:                            ;   in Loop: Header=BB869_195 Depth=1
	v_dual_mov_b32 v40, s7 :: v_dual_mov_b32 v39, s6
	s_and_b32 s0, exec_lo, s37
	s_delay_alu instid0(SALU_CYCLE_1) | instskip(NEXT) | instid1(SALU_CYCLE_1)
	s_or_b32 s36, s0, s36
	s_and_not1_b32 exec_lo, exec_lo, s36
	s_cbranch_execz .LBB869_197
.LBB869_195:                            ; =>This Inner Loop Header: Depth=1
	s_or_b32 s37, s37, exec_lo
	s_cmp_eq_u64 s[4:5], s[6:7]
	s_cbranch_scc0 .LBB869_193
; %bb.196:                              ;   in Loop: Header=BB869_195 Depth=1
	s_mov_b64 s[6:7], s[14:15]
                                        ; implicit-def: $vgpr35_vgpr36
                                        ; implicit-def: $vgpr37_vgpr38
	s_branch .LBB869_194
.LBB869_197:
	s_set_inst_prefetch_distance 0x2
	s_or_b32 exec_lo, exec_lo, s36
	v_cmp_gt_i64_e32 vcc_lo, s[14:15], v[39:40]
	s_or_not1_b32 s0, vcc_lo, exec_lo
.LBB869_198:
	s_or_b32 exec_lo, exec_lo, s35
.LBB869_199:
	s_delay_alu instid0(SALU_CYCLE_1)
	s_and_b32 s0, s0, exec_lo
.LBB869_200:
	s_or_b32 exec_lo, exec_lo, s34
	s_waitcnt vmcnt(0) lgkmcnt(0)
	s_barrier
	buffer_gl0_inv
	s_and_saveexec_b32 s4, s3
	s_cbranch_execz .LBB869_202
; %bb.201:
	v_add_nc_u32_e32 v33, -8, v55
	ds_load_b64 v[33:34], v33
.LBB869_202:
	s_or_b32 exec_lo, exec_lo, s4
	v_cndmask_b32_e64 v36, 0, 1, s26
	v_cndmask_b32_e64 v38, 0, 1, s13
	v_cndmask_b32_e64 v39, 0, 1, s24
	v_cndmask_b32_e64 v35, 0, 1, s27
	v_cndmask_b32_e64 v37, 0, 1, s25
	v_cndmask_b32_e64 v40, 0, 1, s1
	v_cndmask_b32_e64 v41, 0, 1, s0
	v_lshlrev_b16 v36, 8, v36
	v_lshlrev_b16 v38, 8, v38
	;; [unrolled: 1-line block ×3, first 2 shown]
	s_mov_b32 s0, 0
	v_lshlrev_b16 v41, 8, v41
	v_or_b32_e32 v35, v35, v36
	v_or_b32_e32 v36, v37, v38
	;; [unrolled: 1-line block ×3, first 2 shown]
	s_mov_b32 s1, exec_lo
	v_and_b32_e32 v39, 0xffff, v41
	v_lshlrev_b32_e32 v40, 16, v35
	v_and_b32_e32 v41, 0xffff, v36
	v_lshlrev_b32_e32 v42, 16, v37
	v_cmpx_gt_u32_e64 s31, v55
	s_cbranch_execz .LBB869_213
; %bb.203:
	v_cmp_ne_u32_e32 vcc_lo, 1, v43
	s_cbranch_vccnz .LBB869_212
; %bb.204:
	s_waitcnt lgkmcnt(0)
	v_mul_lo_u32 v38, v34, s14
	v_mul_lo_u32 v43, v33, s15
	v_mad_u64_u32 v[34:35], null, v33, s14, 0
	v_mul_lo_u32 v33, v30, s14
	v_mul_lo_u32 v44, v29, s15
	v_mad_u64_u32 v[36:37], null, v29, s14, 0
	s_mov_b32 s0, -1
	s_mov_b32 s13, exec_lo
	s_delay_alu instid0(VALU_DEP_4) | instskip(NEXT) | instid1(VALU_DEP_2)
	v_add3_u32 v35, v35, v43, v38
	v_add3_u32 v37, v37, v44, v33
	s_delay_alu instid0(VALU_DEP_2) | instskip(NEXT) | instid1(VALU_DEP_2)
	v_lshlrev_b64 v[33:34], 3, v[34:35]
	v_lshlrev_b64 v[37:38], 3, v[36:37]
	s_delay_alu instid0(VALU_DEP_2) | instskip(NEXT) | instid1(VALU_DEP_3)
	v_add_co_u32 v35, vcc_lo, s20, v33
	v_add_co_ci_u32_e32 v36, vcc_lo, s21, v34, vcc_lo
	s_delay_alu instid0(VALU_DEP_3) | instskip(NEXT) | instid1(VALU_DEP_4)
	v_add_co_u32 v33, vcc_lo, s20, v37
	v_add_co_ci_u32_e32 v34, vcc_lo, s21, v38, vcc_lo
	s_clause 0x1
	global_load_b64 v[37:38], v[35:36], off
	global_load_b64 v[43:44], v[33:34], off
	s_waitcnt vmcnt(0)
	v_cmpx_eq_f64_e32 v[37:38], v[43:44]
	s_cbranch_execz .LBB869_211
; %bb.205:
	v_add_co_u32 v33, vcc_lo, v33, 8
	v_add_co_ci_u32_e32 v34, vcc_lo, 0, v34, vcc_lo
	v_add_co_u32 v35, vcc_lo, v35, 8
	v_add_co_ci_u32_e32 v36, vcc_lo, 0, v36, vcc_lo
	s_add_u32 s4, s14, -1
	s_addc_u32 s5, s15, -1
	s_mov_b64 s[6:7], 0
	s_mov_b32 s24, 0
                                        ; implicit-def: $sgpr25
	s_set_inst_prefetch_distance 0x1
	s_branch .LBB869_208
	.p2align	6
.LBB869_206:                            ;   in Loop: Header=BB869_208 Depth=1
	global_load_b64 v[37:38], v[35:36], off
	global_load_b64 v[43:44], v[33:34], off
	v_add_co_u32 v33, s0, v33, 8
	s_delay_alu instid0(VALU_DEP_1) | instskip(SKIP_1) | instid1(VALU_DEP_1)
	v_add_co_ci_u32_e64 v34, s0, 0, v34, s0
	v_add_co_u32 v35, s0, v35, 8
	v_add_co_ci_u32_e64 v36, s0, 0, v36, s0
	s_add_u32 s6, s6, 1
	s_addc_u32 s7, s7, 0
	s_and_not1_b32 s0, s25, exec_lo
	s_waitcnt vmcnt(0)
	v_cmp_neq_f64_e32 vcc_lo, v[37:38], v[43:44]
	s_and_b32 s25, vcc_lo, exec_lo
	s_delay_alu instid0(SALU_CYCLE_1)
	s_or_b32 s25, s0, s25
.LBB869_207:                            ;   in Loop: Header=BB869_208 Depth=1
	v_dual_mov_b32 v38, s7 :: v_dual_mov_b32 v37, s6
	s_and_b32 s0, exec_lo, s25
	s_delay_alu instid0(SALU_CYCLE_1) | instskip(NEXT) | instid1(SALU_CYCLE_1)
	s_or_b32 s24, s0, s24
	s_and_not1_b32 exec_lo, exec_lo, s24
	s_cbranch_execz .LBB869_210
.LBB869_208:                            ; =>This Inner Loop Header: Depth=1
	s_or_b32 s25, s25, exec_lo
	s_cmp_eq_u64 s[4:5], s[6:7]
	s_cbranch_scc0 .LBB869_206
; %bb.209:                              ;   in Loop: Header=BB869_208 Depth=1
	s_mov_b64 s[6:7], s[14:15]
                                        ; implicit-def: $vgpr33_vgpr34
                                        ; implicit-def: $vgpr35_vgpr36
	s_branch .LBB869_207
.LBB869_210:
	s_set_inst_prefetch_distance 0x2
	s_or_b32 exec_lo, exec_lo, s24
	v_cmp_gt_i64_e32 vcc_lo, s[14:15], v[37:38]
	s_or_not1_b32 s0, vcc_lo, exec_lo
.LBB869_211:
	s_or_b32 exec_lo, exec_lo, s13
.LBB869_212:
	s_delay_alu instid0(SALU_CYCLE_1)
	s_and_b32 s0, s0, exec_lo
.LBB869_213:
	s_or_b32 exec_lo, exec_lo, s1
	v_or_b32_e32 v35, v39, v40
	v_or_b32_e32 v36, v41, v42
.LBB869_214:
	s_mov_b32 s1, -1
	s_cbranch_execnz .LBB869_383
.LBB869_215:
	v_cmp_gt_i64_e64 s13, s[14:15], 0
	s_and_b32 vcc_lo, exec_lo, s29
	ds_store_b64 v55, v[19:20]
	s_cbranch_vccz .LBB869_223
; %bb.216:
	v_mul_lo_u32 v35, v18, s14
	v_mul_lo_u32 v36, v17, s15
	s_waitcnt vmcnt(0) lgkmcnt(1)
	v_mad_u64_u32 v[33:34], null, v17, s14, 0
	s_mov_b32 s24, 0
	s_and_not1_b32 vcc_lo, exec_lo, s13
	s_mov_b32 s25, 0
	s_delay_alu instid0(VALU_DEP_1) | instskip(NEXT) | instid1(VALU_DEP_1)
	v_add3_u32 v34, v34, v36, v35
	v_lshlrev_b64 v[33:34], 3, v[33:34]
	s_cbranch_vccnz .LBB869_226
; %bb.217:
	v_mul_lo_u32 v37, v20, s14
	v_mul_lo_u32 v38, v19, s15
	v_mad_u64_u32 v[35:36], null, v19, s14, 0
	s_mov_b32 s25, -1
	s_mov_b32 s26, exec_lo
	s_delay_alu instid0(VALU_DEP_1) | instskip(SKIP_2) | instid1(VALU_DEP_3)
	v_add3_u32 v36, v36, v38, v37
	v_add_co_u32 v37, vcc_lo, s20, v33
	v_add_co_ci_u32_e32 v38, vcc_lo, s21, v34, vcc_lo
	v_lshlrev_b64 v[35:36], 3, v[35:36]
	s_delay_alu instid0(VALU_DEP_1) | instskip(NEXT) | instid1(VALU_DEP_2)
	v_add_co_u32 v35, vcc_lo, s20, v35
	v_add_co_ci_u32_e32 v36, vcc_lo, s21, v36, vcc_lo
	s_clause 0x1
	global_load_b64 v[39:40], v[37:38], off
	global_load_b64 v[41:42], v[35:36], off
	s_waitcnt vmcnt(0)
	v_cmpx_eq_f64_e32 v[39:40], v[41:42]
	s_cbranch_execz .LBB869_225
; %bb.218:
	v_add_co_u32 v35, vcc_lo, v35, 8
	v_add_co_ci_u32_e32 v36, vcc_lo, 0, v36, vcc_lo
	v_add_co_u32 v37, vcc_lo, v37, 8
	v_add_co_ci_u32_e32 v38, vcc_lo, 0, v38, vcc_lo
	s_add_u32 s4, s14, -1
	s_addc_u32 s5, s15, -1
	s_mov_b64 s[6:7], 0
	s_mov_b32 s25, 0
                                        ; implicit-def: $sgpr27
	s_set_inst_prefetch_distance 0x1
	s_branch .LBB869_221
	.p2align	6
.LBB869_219:                            ;   in Loop: Header=BB869_221 Depth=1
	global_load_b64 v[39:40], v[37:38], off
	global_load_b64 v[41:42], v[35:36], off
	v_add_co_u32 v35, s0, v35, 8
	s_delay_alu instid0(VALU_DEP_1) | instskip(SKIP_1) | instid1(VALU_DEP_1)
	v_add_co_ci_u32_e64 v36, s0, 0, v36, s0
	v_add_co_u32 v37, s0, v37, 8
	v_add_co_ci_u32_e64 v38, s0, 0, v38, s0
	s_add_u32 s6, s6, 1
	s_addc_u32 s7, s7, 0
	s_and_not1_b32 s0, s27, exec_lo
	s_waitcnt vmcnt(0)
	v_cmp_neq_f64_e32 vcc_lo, v[39:40], v[41:42]
	s_and_b32 s27, vcc_lo, exec_lo
	s_delay_alu instid0(SALU_CYCLE_1)
	s_or_b32 s27, s0, s27
.LBB869_220:                            ;   in Loop: Header=BB869_221 Depth=1
	v_dual_mov_b32 v40, s7 :: v_dual_mov_b32 v39, s6
	s_and_b32 s0, exec_lo, s27
	s_delay_alu instid0(SALU_CYCLE_1) | instskip(NEXT) | instid1(SALU_CYCLE_1)
	s_or_b32 s25, s0, s25
	s_and_not1_b32 exec_lo, exec_lo, s25
	s_cbranch_execz .LBB869_224
.LBB869_221:                            ; =>This Inner Loop Header: Depth=1
	s_or_b32 s27, s27, exec_lo
	s_cmp_eq_u64 s[4:5], s[6:7]
	s_cbranch_scc0 .LBB869_219
; %bb.222:                              ;   in Loop: Header=BB869_221 Depth=1
	s_mov_b64 s[6:7], s[14:15]
                                        ; implicit-def: $vgpr35_vgpr36
                                        ; implicit-def: $vgpr37_vgpr38
	s_branch .LBB869_220
.LBB869_223:
                                        ; implicit-def: $sgpr0
                                        ; implicit-def: $vgpr36
	s_cbranch_execnz .LBB869_292
	s_branch .LBB869_383
.LBB869_224:
	s_set_inst_prefetch_distance 0x2
	s_or_b32 exec_lo, exec_lo, s25
	v_cmp_gt_i64_e32 vcc_lo, s[14:15], v[39:40]
	s_or_not1_b32 s25, vcc_lo, exec_lo
.LBB869_225:
	s_or_b32 exec_lo, exec_lo, s26
.LBB869_226:
	v_mul_lo_u32 v37, v24, s14
	v_mul_lo_u32 v38, v23, s15
	v_mad_u64_u32 v[35:36], null, v23, s14, 0
	s_and_not1_b32 vcc_lo, exec_lo, s13
	s_delay_alu instid0(VALU_DEP_1) | instskip(NEXT) | instid1(VALU_DEP_1)
	v_add3_u32 v36, v36, v38, v37
	v_lshlrev_b64 v[35:36], 3, v[35:36]
	s_cbranch_vccnz .LBB869_235
; %bb.227:
	s_delay_alu instid0(VALU_DEP_1) | instskip(NEXT) | instid1(VALU_DEP_2)
	v_add_co_u32 v37, vcc_lo, s20, v35
	v_add_co_ci_u32_e32 v38, vcc_lo, s21, v36, vcc_lo
	v_add_co_u32 v33, vcc_lo, s20, v33
	v_add_co_ci_u32_e32 v34, vcc_lo, s21, v34, vcc_lo
	s_mov_b32 s24, -1
	s_clause 0x1
	global_load_b64 v[39:40], v[37:38], off
	global_load_b64 v[41:42], v[33:34], off
	s_mov_b32 s26, exec_lo
	s_waitcnt vmcnt(0)
	v_cmpx_eq_f64_e32 v[39:40], v[41:42]
	s_cbranch_execz .LBB869_234
; %bb.228:
	v_add_co_u32 v33, vcc_lo, v33, 8
	v_add_co_ci_u32_e32 v34, vcc_lo, 0, v34, vcc_lo
	v_add_co_u32 v37, vcc_lo, v37, 8
	v_add_co_ci_u32_e32 v38, vcc_lo, 0, v38, vcc_lo
	s_add_u32 s4, s14, -1
	s_addc_u32 s5, s15, -1
	s_mov_b64 s[6:7], 0
	s_mov_b32 s24, 0
                                        ; implicit-def: $sgpr27
	s_set_inst_prefetch_distance 0x1
	s_branch .LBB869_231
	.p2align	6
.LBB869_229:                            ;   in Loop: Header=BB869_231 Depth=1
	global_load_b64 v[39:40], v[37:38], off
	global_load_b64 v[41:42], v[33:34], off
	v_add_co_u32 v33, s0, v33, 8
	s_delay_alu instid0(VALU_DEP_1) | instskip(SKIP_1) | instid1(VALU_DEP_1)
	v_add_co_ci_u32_e64 v34, s0, 0, v34, s0
	v_add_co_u32 v37, s0, v37, 8
	v_add_co_ci_u32_e64 v38, s0, 0, v38, s0
	s_add_u32 s6, s6, 1
	s_addc_u32 s7, s7, 0
	s_and_not1_b32 s0, s27, exec_lo
	s_waitcnt vmcnt(0)
	v_cmp_neq_f64_e32 vcc_lo, v[39:40], v[41:42]
	s_and_b32 s27, vcc_lo, exec_lo
	s_delay_alu instid0(SALU_CYCLE_1)
	s_or_b32 s27, s0, s27
.LBB869_230:                            ;   in Loop: Header=BB869_231 Depth=1
	v_dual_mov_b32 v40, s7 :: v_dual_mov_b32 v39, s6
	s_and_b32 s0, exec_lo, s27
	s_delay_alu instid0(SALU_CYCLE_1) | instskip(NEXT) | instid1(SALU_CYCLE_1)
	s_or_b32 s24, s0, s24
	s_and_not1_b32 exec_lo, exec_lo, s24
	s_cbranch_execz .LBB869_233
.LBB869_231:                            ; =>This Inner Loop Header: Depth=1
	s_or_b32 s27, s27, exec_lo
	s_cmp_eq_u64 s[4:5], s[6:7]
	s_cbranch_scc0 .LBB869_229
; %bb.232:                              ;   in Loop: Header=BB869_231 Depth=1
	s_mov_b64 s[6:7], s[14:15]
                                        ; implicit-def: $vgpr33_vgpr34
                                        ; implicit-def: $vgpr37_vgpr38
	s_branch .LBB869_230
.LBB869_233:
	s_set_inst_prefetch_distance 0x2
	s_or_b32 exec_lo, exec_lo, s24
	v_cmp_gt_i64_e32 vcc_lo, s[14:15], v[39:40]
	s_or_not1_b32 s24, vcc_lo, exec_lo
.LBB869_234:
	s_or_b32 exec_lo, exec_lo, s26
.LBB869_235:
	v_mul_lo_u32 v37, v22, s14
	v_mul_lo_u32 v38, v21, s15
	v_mad_u64_u32 v[33:34], null, v21, s14, 0
	s_mov_b32 s26, 0
	s_and_not1_b32 vcc_lo, exec_lo, s13
	s_mov_b32 s27, 0
	s_delay_alu instid0(VALU_DEP_1) | instskip(NEXT) | instid1(VALU_DEP_1)
	v_add3_u32 v34, v34, v38, v37
	v_lshlrev_b64 v[37:38], 3, v[33:34]
	s_cbranch_vccnz .LBB869_244
; %bb.236:
	s_delay_alu instid0(VALU_DEP_1) | instskip(NEXT) | instid1(VALU_DEP_2)
	v_add_co_u32 v39, vcc_lo, s20, v37
	v_add_co_ci_u32_e32 v40, vcc_lo, s21, v38, vcc_lo
	v_add_co_u32 v33, vcc_lo, s20, v35
	v_add_co_ci_u32_e32 v34, vcc_lo, s21, v36, vcc_lo
	s_mov_b32 s27, -1
	s_clause 0x1
	global_load_b64 v[35:36], v[39:40], off
	global_load_b64 v[41:42], v[33:34], off
	s_mov_b32 s34, exec_lo
	s_waitcnt vmcnt(0)
	v_cmpx_eq_f64_e32 v[35:36], v[41:42]
	s_cbranch_execz .LBB869_243
; %bb.237:
	v_add_co_u32 v33, vcc_lo, v33, 8
	v_add_co_ci_u32_e32 v34, vcc_lo, 0, v34, vcc_lo
	v_add_co_u32 v35, vcc_lo, v39, 8
	v_add_co_ci_u32_e32 v36, vcc_lo, 0, v40, vcc_lo
	s_add_u32 s4, s14, -1
	s_addc_u32 s5, s15, -1
	s_mov_b64 s[6:7], 0
	s_mov_b32 s27, 0
                                        ; implicit-def: $sgpr35
	s_set_inst_prefetch_distance 0x1
	s_branch .LBB869_240
	.p2align	6
.LBB869_238:                            ;   in Loop: Header=BB869_240 Depth=1
	global_load_b64 v[39:40], v[35:36], off
	global_load_b64 v[41:42], v[33:34], off
	v_add_co_u32 v33, s0, v33, 8
	s_delay_alu instid0(VALU_DEP_1) | instskip(SKIP_1) | instid1(VALU_DEP_1)
	v_add_co_ci_u32_e64 v34, s0, 0, v34, s0
	v_add_co_u32 v35, s0, v35, 8
	v_add_co_ci_u32_e64 v36, s0, 0, v36, s0
	s_add_u32 s6, s6, 1
	s_addc_u32 s7, s7, 0
	s_and_not1_b32 s0, s35, exec_lo
	s_waitcnt vmcnt(0)
	v_cmp_neq_f64_e32 vcc_lo, v[39:40], v[41:42]
	s_and_b32 s35, vcc_lo, exec_lo
	s_delay_alu instid0(SALU_CYCLE_1)
	s_or_b32 s35, s0, s35
.LBB869_239:                            ;   in Loop: Header=BB869_240 Depth=1
	v_dual_mov_b32 v40, s7 :: v_dual_mov_b32 v39, s6
	s_and_b32 s0, exec_lo, s35
	s_delay_alu instid0(SALU_CYCLE_1) | instskip(NEXT) | instid1(SALU_CYCLE_1)
	s_or_b32 s27, s0, s27
	s_and_not1_b32 exec_lo, exec_lo, s27
	s_cbranch_execz .LBB869_242
.LBB869_240:                            ; =>This Inner Loop Header: Depth=1
	s_or_b32 s35, s35, exec_lo
	s_cmp_eq_u64 s[4:5], s[6:7]
	s_cbranch_scc0 .LBB869_238
; %bb.241:                              ;   in Loop: Header=BB869_240 Depth=1
	s_mov_b64 s[6:7], s[14:15]
                                        ; implicit-def: $vgpr33_vgpr34
                                        ; implicit-def: $vgpr35_vgpr36
	s_branch .LBB869_239
.LBB869_242:
	s_set_inst_prefetch_distance 0x2
	s_or_b32 exec_lo, exec_lo, s27
	v_cmp_gt_i64_e32 vcc_lo, s[14:15], v[39:40]
	s_or_not1_b32 s27, vcc_lo, exec_lo
.LBB869_243:
	s_or_b32 exec_lo, exec_lo, s34
.LBB869_244:
	v_mul_lo_u32 v35, v28, s14
	v_mul_lo_u32 v36, v27, s15
	v_mad_u64_u32 v[33:34], null, v27, s14, 0
	s_and_not1_b32 vcc_lo, exec_lo, s13
	s_delay_alu instid0(VALU_DEP_1) | instskip(NEXT) | instid1(VALU_DEP_1)
	v_add3_u32 v34, v34, v36, v35
	v_lshlrev_b64 v[33:34], 3, v[33:34]
	s_cbranch_vccnz .LBB869_253
; %bb.245:
	s_delay_alu instid0(VALU_DEP_1) | instskip(NEXT) | instid1(VALU_DEP_2)
	v_add_co_u32 v39, vcc_lo, s20, v33
	v_add_co_ci_u32_e32 v40, vcc_lo, s21, v34, vcc_lo
	v_add_co_u32 v35, vcc_lo, s20, v37
	v_add_co_ci_u32_e32 v36, vcc_lo, s21, v38, vcc_lo
	s_mov_b32 s26, -1
	s_clause 0x1
	global_load_b64 v[37:38], v[39:40], off
	global_load_b64 v[41:42], v[35:36], off
	s_mov_b32 s34, exec_lo
	s_waitcnt vmcnt(0)
	v_cmpx_eq_f64_e32 v[37:38], v[41:42]
	s_cbranch_execz .LBB869_252
; %bb.246:
	v_add_co_u32 v35, vcc_lo, v35, 8
	v_add_co_ci_u32_e32 v36, vcc_lo, 0, v36, vcc_lo
	v_add_co_u32 v37, vcc_lo, v39, 8
	v_add_co_ci_u32_e32 v38, vcc_lo, 0, v40, vcc_lo
	s_add_u32 s4, s14, -1
	s_addc_u32 s5, s15, -1
	s_mov_b64 s[6:7], 0
	s_mov_b32 s26, 0
                                        ; implicit-def: $sgpr35
	s_set_inst_prefetch_distance 0x1
	s_branch .LBB869_249
	.p2align	6
.LBB869_247:                            ;   in Loop: Header=BB869_249 Depth=1
	global_load_b64 v[39:40], v[37:38], off
	global_load_b64 v[41:42], v[35:36], off
	v_add_co_u32 v35, s0, v35, 8
	s_delay_alu instid0(VALU_DEP_1) | instskip(SKIP_1) | instid1(VALU_DEP_1)
	v_add_co_ci_u32_e64 v36, s0, 0, v36, s0
	v_add_co_u32 v37, s0, v37, 8
	v_add_co_ci_u32_e64 v38, s0, 0, v38, s0
	s_add_u32 s6, s6, 1
	s_addc_u32 s7, s7, 0
	s_and_not1_b32 s0, s35, exec_lo
	s_waitcnt vmcnt(0)
	v_cmp_neq_f64_e32 vcc_lo, v[39:40], v[41:42]
	s_and_b32 s35, vcc_lo, exec_lo
	s_delay_alu instid0(SALU_CYCLE_1)
	s_or_b32 s35, s0, s35
.LBB869_248:                            ;   in Loop: Header=BB869_249 Depth=1
	v_dual_mov_b32 v40, s7 :: v_dual_mov_b32 v39, s6
	s_and_b32 s0, exec_lo, s35
	s_delay_alu instid0(SALU_CYCLE_1) | instskip(NEXT) | instid1(SALU_CYCLE_1)
	s_or_b32 s26, s0, s26
	s_and_not1_b32 exec_lo, exec_lo, s26
	s_cbranch_execz .LBB869_251
.LBB869_249:                            ; =>This Inner Loop Header: Depth=1
	s_or_b32 s35, s35, exec_lo
	s_cmp_eq_u64 s[4:5], s[6:7]
	s_cbranch_scc0 .LBB869_247
; %bb.250:                              ;   in Loop: Header=BB869_249 Depth=1
	s_mov_b64 s[6:7], s[14:15]
                                        ; implicit-def: $vgpr35_vgpr36
                                        ; implicit-def: $vgpr37_vgpr38
	s_branch .LBB869_248
.LBB869_251:
	s_set_inst_prefetch_distance 0x2
	s_or_b32 exec_lo, exec_lo, s26
	v_cmp_gt_i64_e32 vcc_lo, s[14:15], v[39:40]
	s_or_not1_b32 s26, vcc_lo, exec_lo
.LBB869_252:
	s_or_b32 exec_lo, exec_lo, s34
.LBB869_253:
	v_mul_lo_u32 v37, v26, s14
	v_mul_lo_u32 v38, v25, s15
	v_mad_u64_u32 v[35:36], null, v25, s14, 0
	s_mov_b32 s34, 0
	s_and_not1_b32 vcc_lo, exec_lo, s13
	s_mov_b32 s35, 0
	s_delay_alu instid0(VALU_DEP_1) | instskip(NEXT) | instid1(VALU_DEP_1)
	v_add3_u32 v36, v36, v38, v37
	v_lshlrev_b64 v[37:38], 3, v[35:36]
	s_cbranch_vccnz .LBB869_262
; %bb.254:
	s_delay_alu instid0(VALU_DEP_1) | instskip(NEXT) | instid1(VALU_DEP_2)
	v_add_co_u32 v35, vcc_lo, s20, v37
	v_add_co_ci_u32_e32 v36, vcc_lo, s21, v38, vcc_lo
	v_add_co_u32 v33, vcc_lo, s20, v33
	v_add_co_ci_u32_e32 v34, vcc_lo, s21, v34, vcc_lo
	s_mov_b32 s35, -1
	s_clause 0x1
	global_load_b64 v[39:40], v[35:36], off
	global_load_b64 v[41:42], v[33:34], off
	s_mov_b32 s36, exec_lo
	s_waitcnt vmcnt(0)
	v_cmpx_eq_f64_e32 v[39:40], v[41:42]
	s_cbranch_execz .LBB869_261
; %bb.255:
	v_add_co_u32 v33, vcc_lo, v33, 8
	v_add_co_ci_u32_e32 v34, vcc_lo, 0, v34, vcc_lo
	v_add_co_u32 v35, vcc_lo, v35, 8
	v_add_co_ci_u32_e32 v36, vcc_lo, 0, v36, vcc_lo
	s_add_u32 s4, s14, -1
	s_addc_u32 s5, s15, -1
	s_mov_b64 s[6:7], 0
	s_mov_b32 s35, 0
                                        ; implicit-def: $sgpr37
	s_set_inst_prefetch_distance 0x1
	s_branch .LBB869_258
	.p2align	6
.LBB869_256:                            ;   in Loop: Header=BB869_258 Depth=1
	global_load_b64 v[39:40], v[35:36], off
	global_load_b64 v[41:42], v[33:34], off
	v_add_co_u32 v33, s0, v33, 8
	s_delay_alu instid0(VALU_DEP_1) | instskip(SKIP_1) | instid1(VALU_DEP_1)
	v_add_co_ci_u32_e64 v34, s0, 0, v34, s0
	v_add_co_u32 v35, s0, v35, 8
	v_add_co_ci_u32_e64 v36, s0, 0, v36, s0
	s_add_u32 s6, s6, 1
	s_addc_u32 s7, s7, 0
	s_and_not1_b32 s0, s37, exec_lo
	s_waitcnt vmcnt(0)
	v_cmp_neq_f64_e32 vcc_lo, v[39:40], v[41:42]
	s_and_b32 s37, vcc_lo, exec_lo
	s_delay_alu instid0(SALU_CYCLE_1)
	s_or_b32 s37, s0, s37
.LBB869_257:                            ;   in Loop: Header=BB869_258 Depth=1
	v_dual_mov_b32 v40, s7 :: v_dual_mov_b32 v39, s6
	s_and_b32 s0, exec_lo, s37
	s_delay_alu instid0(SALU_CYCLE_1) | instskip(NEXT) | instid1(SALU_CYCLE_1)
	s_or_b32 s35, s0, s35
	s_and_not1_b32 exec_lo, exec_lo, s35
	s_cbranch_execz .LBB869_260
.LBB869_258:                            ; =>This Inner Loop Header: Depth=1
	s_or_b32 s37, s37, exec_lo
	s_cmp_eq_u64 s[4:5], s[6:7]
	s_cbranch_scc0 .LBB869_256
; %bb.259:                              ;   in Loop: Header=BB869_258 Depth=1
	s_mov_b64 s[6:7], s[14:15]
                                        ; implicit-def: $vgpr33_vgpr34
                                        ; implicit-def: $vgpr35_vgpr36
	s_branch .LBB869_257
.LBB869_260:
	s_set_inst_prefetch_distance 0x2
	s_or_b32 exec_lo, exec_lo, s35
	v_cmp_gt_i64_e32 vcc_lo, s[14:15], v[39:40]
	s_or_not1_b32 s35, vcc_lo, exec_lo
.LBB869_261:
	s_or_b32 exec_lo, exec_lo, s36
.LBB869_262:
	v_mul_lo_u32 v35, v32, s14
	v_mul_lo_u32 v36, v31, s15
	v_mad_u64_u32 v[33:34], null, v31, s14, 0
	s_and_not1_b32 vcc_lo, exec_lo, s13
	s_delay_alu instid0(VALU_DEP_1) | instskip(NEXT) | instid1(VALU_DEP_1)
	v_add3_u32 v34, v34, v36, v35
	v_lshlrev_b64 v[35:36], 3, v[33:34]
	s_cbranch_vccnz .LBB869_271
; %bb.263:
	s_delay_alu instid0(VALU_DEP_1) | instskip(NEXT) | instid1(VALU_DEP_2)
	v_add_co_u32 v39, vcc_lo, s20, v35
	v_add_co_ci_u32_e32 v40, vcc_lo, s21, v36, vcc_lo
	v_add_co_u32 v33, vcc_lo, s20, v37
	v_add_co_ci_u32_e32 v34, vcc_lo, s21, v38, vcc_lo
	s_mov_b32 s34, -1
	s_clause 0x1
	global_load_b64 v[37:38], v[39:40], off
	global_load_b64 v[41:42], v[33:34], off
	s_mov_b32 s36, exec_lo
	s_waitcnt vmcnt(0)
	v_cmpx_eq_f64_e32 v[37:38], v[41:42]
	s_cbranch_execz .LBB869_270
; %bb.264:
	v_add_co_u32 v33, vcc_lo, v33, 8
	v_add_co_ci_u32_e32 v34, vcc_lo, 0, v34, vcc_lo
	v_add_co_u32 v37, vcc_lo, v39, 8
	v_add_co_ci_u32_e32 v38, vcc_lo, 0, v40, vcc_lo
	s_add_u32 s4, s14, -1
	s_addc_u32 s5, s15, -1
	s_mov_b64 s[6:7], 0
	s_mov_b32 s34, 0
                                        ; implicit-def: $sgpr37
	s_set_inst_prefetch_distance 0x1
	s_branch .LBB869_267
	.p2align	6
.LBB869_265:                            ;   in Loop: Header=BB869_267 Depth=1
	global_load_b64 v[39:40], v[37:38], off
	global_load_b64 v[41:42], v[33:34], off
	v_add_co_u32 v33, s0, v33, 8
	s_delay_alu instid0(VALU_DEP_1) | instskip(SKIP_1) | instid1(VALU_DEP_1)
	v_add_co_ci_u32_e64 v34, s0, 0, v34, s0
	v_add_co_u32 v37, s0, v37, 8
	v_add_co_ci_u32_e64 v38, s0, 0, v38, s0
	s_add_u32 s6, s6, 1
	s_addc_u32 s7, s7, 0
	s_and_not1_b32 s0, s37, exec_lo
	s_waitcnt vmcnt(0)
	v_cmp_neq_f64_e32 vcc_lo, v[39:40], v[41:42]
	s_and_b32 s37, vcc_lo, exec_lo
	s_delay_alu instid0(SALU_CYCLE_1)
	s_or_b32 s37, s0, s37
.LBB869_266:                            ;   in Loop: Header=BB869_267 Depth=1
	v_dual_mov_b32 v40, s7 :: v_dual_mov_b32 v39, s6
	s_and_b32 s0, exec_lo, s37
	s_delay_alu instid0(SALU_CYCLE_1) | instskip(NEXT) | instid1(SALU_CYCLE_1)
	s_or_b32 s34, s0, s34
	s_and_not1_b32 exec_lo, exec_lo, s34
	s_cbranch_execz .LBB869_269
.LBB869_267:                            ; =>This Inner Loop Header: Depth=1
	s_or_b32 s37, s37, exec_lo
	s_cmp_eq_u64 s[4:5], s[6:7]
	s_cbranch_scc0 .LBB869_265
; %bb.268:                              ;   in Loop: Header=BB869_267 Depth=1
	s_mov_b64 s[6:7], s[14:15]
                                        ; implicit-def: $vgpr33_vgpr34
                                        ; implicit-def: $vgpr37_vgpr38
	s_branch .LBB869_266
.LBB869_269:
	s_set_inst_prefetch_distance 0x2
	s_or_b32 exec_lo, exec_lo, s34
	v_cmp_gt_i64_e32 vcc_lo, s[14:15], v[39:40]
	s_or_not1_b32 s34, vcc_lo, exec_lo
.LBB869_270:
	s_or_b32 exec_lo, exec_lo, s36
.LBB869_271:
	v_mul_lo_u32 v37, v30, s14
	v_mul_lo_u32 v38, v29, s15
	v_mad_u64_u32 v[33:34], null, v29, s14, 0
	s_and_not1_b32 vcc_lo, exec_lo, s13
	s_mov_b32 s0, 0
	s_delay_alu instid0(VALU_DEP_1)
	v_add3_u32 v34, v34, v38, v37
	s_cbranch_vccnz .LBB869_280
; %bb.272:
	s_delay_alu instid0(VALU_DEP_1) | instskip(SKIP_2) | instid1(VALU_DEP_1)
	v_lshlrev_b64 v[37:38], 3, v[33:34]
	s_mov_b32 s0, -1
	s_mov_b32 s36, exec_lo
	v_add_co_u32 v37, vcc_lo, s20, v37
	s_delay_alu instid0(VALU_DEP_2)
	v_add_co_ci_u32_e32 v38, vcc_lo, s21, v38, vcc_lo
	v_add_co_u32 v35, vcc_lo, s20, v35
	v_add_co_ci_u32_e32 v36, vcc_lo, s21, v36, vcc_lo
	s_clause 0x1
	global_load_b64 v[39:40], v[37:38], off
	global_load_b64 v[41:42], v[35:36], off
	s_waitcnt vmcnt(0)
	v_cmpx_eq_f64_e32 v[39:40], v[41:42]
	s_cbranch_execz .LBB869_279
; %bb.273:
	v_add_co_u32 v35, vcc_lo, v35, 8
	v_add_co_ci_u32_e32 v36, vcc_lo, 0, v36, vcc_lo
	v_add_co_u32 v37, vcc_lo, v37, 8
	v_add_co_ci_u32_e32 v38, vcc_lo, 0, v38, vcc_lo
	s_add_u32 s4, s14, -1
	s_addc_u32 s5, s15, -1
	s_mov_b64 s[6:7], 0
	s_mov_b32 s37, 0
                                        ; implicit-def: $sgpr38
	s_set_inst_prefetch_distance 0x1
	s_branch .LBB869_276
	.p2align	6
.LBB869_274:                            ;   in Loop: Header=BB869_276 Depth=1
	global_load_b64 v[39:40], v[37:38], off
	global_load_b64 v[41:42], v[35:36], off
	v_add_co_u32 v35, s0, v35, 8
	s_delay_alu instid0(VALU_DEP_1) | instskip(SKIP_1) | instid1(VALU_DEP_1)
	v_add_co_ci_u32_e64 v36, s0, 0, v36, s0
	v_add_co_u32 v37, s0, v37, 8
	v_add_co_ci_u32_e64 v38, s0, 0, v38, s0
	s_add_u32 s6, s6, 1
	s_addc_u32 s7, s7, 0
	s_and_not1_b32 s0, s38, exec_lo
	s_waitcnt vmcnt(0)
	v_cmp_neq_f64_e32 vcc_lo, v[39:40], v[41:42]
	s_and_b32 s38, vcc_lo, exec_lo
	s_delay_alu instid0(SALU_CYCLE_1)
	s_or_b32 s38, s0, s38
.LBB869_275:                            ;   in Loop: Header=BB869_276 Depth=1
	v_dual_mov_b32 v40, s7 :: v_dual_mov_b32 v39, s6
	s_and_b32 s0, exec_lo, s38
	s_delay_alu instid0(SALU_CYCLE_1) | instskip(NEXT) | instid1(SALU_CYCLE_1)
	s_or_b32 s37, s0, s37
	s_and_not1_b32 exec_lo, exec_lo, s37
	s_cbranch_execz .LBB869_278
.LBB869_276:                            ; =>This Inner Loop Header: Depth=1
	s_or_b32 s38, s38, exec_lo
	s_cmp_eq_u64 s[4:5], s[6:7]
	s_cbranch_scc0 .LBB869_274
; %bb.277:                              ;   in Loop: Header=BB869_276 Depth=1
	s_mov_b64 s[6:7], s[14:15]
                                        ; implicit-def: $vgpr35_vgpr36
                                        ; implicit-def: $vgpr37_vgpr38
	s_branch .LBB869_275
.LBB869_278:
	s_set_inst_prefetch_distance 0x2
	s_or_b32 exec_lo, exec_lo, s37
	v_cmp_gt_i64_e32 vcc_lo, s[14:15], v[39:40]
	s_or_not1_b32 s0, vcc_lo, exec_lo
.LBB869_279:
	s_or_b32 exec_lo, exec_lo, s36
.LBB869_280:
	v_cndmask_b32_e64 v36, 0, 1, s35
	v_cndmask_b32_e64 v37, 0, 1, s27
	;; [unrolled: 1-line block ×7, first 2 shown]
	v_lshlrev_b16 v37, 8, v37
	v_lshlrev_b16 v38, 8, v38
	;; [unrolled: 1-line block ×4, first 2 shown]
	s_waitcnt lgkmcnt(0)
	v_or_b32_e32 v37, v40, v37
	v_or_b32_e32 v38, v41, v38
	;; [unrolled: 1-line block ×4, first 2 shown]
	s_barrier
	v_and_b32_e32 v36, 0xffff, v37
	v_lshlrev_b32_e32 v37, 16, v38
	v_and_b32_e32 v38, 0xffff, v39
	v_lshlrev_b32_e32 v35, 16, v35
	buffer_gl0_inv
                                        ; implicit-def: $sgpr0
	v_or_b32_e32 v36, v36, v37
	v_or_b32_e32 v35, v38, v35
	s_and_saveexec_b32 s4, s3
	s_delay_alu instid0(SALU_CYCLE_1)
	s_xor_b32 s24, exec_lo, s4
	s_cbranch_execz .LBB869_291
; %bb.281:
	s_and_not1_b32 vcc_lo, exec_lo, s13
	s_mov_b32 s0, 0
	s_cbranch_vccnz .LBB869_290
; %bb.282:
	v_add_nc_u32_e32 v37, -8, v55
	v_lshlrev_b64 v[33:34], 3, v[33:34]
	s_mov_b32 s0, -1
	s_mov_b32 s25, exec_lo
	ds_load_b64 v[37:38], v37
	s_waitcnt lgkmcnt(0)
	v_mul_lo_u32 v40, v38, s14
	v_mul_lo_u32 v41, v37, s15
	v_mad_u64_u32 v[38:39], null, v37, s14, 0
	s_delay_alu instid0(VALU_DEP_1) | instskip(NEXT) | instid1(VALU_DEP_1)
	v_add3_u32 v39, v39, v41, v40
	v_lshlrev_b64 v[37:38], 3, v[38:39]
	s_delay_alu instid0(VALU_DEP_1) | instskip(NEXT) | instid1(VALU_DEP_2)
	v_add_co_u32 v37, vcc_lo, s20, v37
	v_add_co_ci_u32_e32 v38, vcc_lo, s21, v38, vcc_lo
	v_add_co_u32 v33, vcc_lo, s20, v33
	v_add_co_ci_u32_e32 v34, vcc_lo, s21, v34, vcc_lo
	s_clause 0x1
	global_load_b64 v[39:40], v[37:38], off
	global_load_b64 v[41:42], v[33:34], off
	s_waitcnt vmcnt(0)
	v_cmpx_eq_f64_e32 v[39:40], v[41:42]
	s_cbranch_execz .LBB869_289
; %bb.283:
	v_add_co_u32 v33, vcc_lo, v33, 8
	v_add_co_ci_u32_e32 v34, vcc_lo, 0, v34, vcc_lo
	v_add_co_u32 v37, vcc_lo, v37, 8
	v_add_co_ci_u32_e32 v38, vcc_lo, 0, v38, vcc_lo
	s_add_u32 s4, s14, -1
	s_addc_u32 s5, s15, -1
	s_mov_b64 s[6:7], 0
	s_mov_b32 s26, 0
                                        ; implicit-def: $sgpr27
	s_set_inst_prefetch_distance 0x1
	s_branch .LBB869_286
	.p2align	6
.LBB869_284:                            ;   in Loop: Header=BB869_286 Depth=1
	global_load_b64 v[39:40], v[37:38], off
	global_load_b64 v[41:42], v[33:34], off
	v_add_co_u32 v33, s0, v33, 8
	s_delay_alu instid0(VALU_DEP_1) | instskip(SKIP_1) | instid1(VALU_DEP_1)
	v_add_co_ci_u32_e64 v34, s0, 0, v34, s0
	v_add_co_u32 v37, s0, v37, 8
	v_add_co_ci_u32_e64 v38, s0, 0, v38, s0
	s_add_u32 s6, s6, 1
	s_addc_u32 s7, s7, 0
	s_and_not1_b32 s0, s27, exec_lo
	s_waitcnt vmcnt(0)
	v_cmp_neq_f64_e32 vcc_lo, v[39:40], v[41:42]
	s_and_b32 s27, vcc_lo, exec_lo
	s_delay_alu instid0(SALU_CYCLE_1)
	s_or_b32 s27, s0, s27
.LBB869_285:                            ;   in Loop: Header=BB869_286 Depth=1
	v_dual_mov_b32 v40, s7 :: v_dual_mov_b32 v39, s6
	s_and_b32 s0, exec_lo, s27
	s_delay_alu instid0(SALU_CYCLE_1) | instskip(NEXT) | instid1(SALU_CYCLE_1)
	s_or_b32 s26, s0, s26
	s_and_not1_b32 exec_lo, exec_lo, s26
	s_cbranch_execz .LBB869_288
.LBB869_286:                            ; =>This Inner Loop Header: Depth=1
	s_or_b32 s27, s27, exec_lo
	s_cmp_eq_u64 s[4:5], s[6:7]
	s_cbranch_scc0 .LBB869_284
; %bb.287:                              ;   in Loop: Header=BB869_286 Depth=1
	s_mov_b64 s[6:7], s[14:15]
                                        ; implicit-def: $vgpr33_vgpr34
                                        ; implicit-def: $vgpr37_vgpr38
	s_branch .LBB869_285
.LBB869_288:
	s_set_inst_prefetch_distance 0x2
	s_or_b32 exec_lo, exec_lo, s26
	v_cmp_gt_i64_e32 vcc_lo, s[14:15], v[39:40]
	s_or_not1_b32 s0, vcc_lo, exec_lo
.LBB869_289:
	s_or_b32 exec_lo, exec_lo, s25
.LBB869_290:
	s_delay_alu instid0(SALU_CYCLE_1)
	s_and_b32 s0, s0, exec_lo
	s_or_b32 s1, s1, exec_lo
.LBB869_291:
	s_or_b32 exec_lo, exec_lo, s24
	s_branch .LBB869_383
.LBB869_292:
	s_waitcnt vmcnt(0) lgkmcnt(1)
	v_or_b32_e32 v33, 7, v55
	s_mov_b32 s24, 0
	s_mov_b32 s25, 0
	s_mov_b32 s26, exec_lo
	s_delay_alu instid0(VALU_DEP_1)
	v_cmpx_gt_u32_e64 s31, v33
	s_cbranch_execz .LBB869_303
; %bb.293:
	s_and_not1_b32 vcc_lo, exec_lo, s13
	s_mov_b32 s0, 0
	s_cbranch_vccnz .LBB869_302
; %bb.294:
	v_mul_lo_u32 v37, v18, s14
	v_mul_lo_u32 v38, v17, s15
	v_mad_u64_u32 v[33:34], null, v17, s14, 0
	v_mul_lo_u32 v39, v20, s14
	v_mul_lo_u32 v40, v19, s15
	v_mad_u64_u32 v[35:36], null, v19, s14, 0
	s_mov_b32 s0, -1
	s_mov_b32 s25, exec_lo
	s_delay_alu instid0(VALU_DEP_4) | instskip(NEXT) | instid1(VALU_DEP_2)
	v_add3_u32 v34, v34, v38, v37
	v_add3_u32 v36, v36, v40, v39
	s_delay_alu instid0(VALU_DEP_2) | instskip(NEXT) | instid1(VALU_DEP_2)
	v_lshlrev_b64 v[33:34], 3, v[33:34]
	v_lshlrev_b64 v[37:38], 3, v[35:36]
	s_delay_alu instid0(VALU_DEP_2) | instskip(NEXT) | instid1(VALU_DEP_3)
	v_add_co_u32 v35, vcc_lo, s20, v33
	v_add_co_ci_u32_e32 v36, vcc_lo, s21, v34, vcc_lo
	s_delay_alu instid0(VALU_DEP_3) | instskip(NEXT) | instid1(VALU_DEP_4)
	v_add_co_u32 v33, vcc_lo, s20, v37
	v_add_co_ci_u32_e32 v34, vcc_lo, s21, v38, vcc_lo
	s_clause 0x1
	global_load_b64 v[37:38], v[35:36], off
	global_load_b64 v[39:40], v[33:34], off
	s_waitcnt vmcnt(0)
	v_cmpx_eq_f64_e32 v[37:38], v[39:40]
	s_cbranch_execz .LBB869_301
; %bb.295:
	v_add_co_u32 v33, vcc_lo, v33, 8
	v_add_co_ci_u32_e32 v34, vcc_lo, 0, v34, vcc_lo
	v_add_co_u32 v35, vcc_lo, v35, 8
	v_add_co_ci_u32_e32 v36, vcc_lo, 0, v36, vcc_lo
	s_add_u32 s4, s14, -1
	s_addc_u32 s5, s15, -1
	s_mov_b64 s[6:7], 0
	s_mov_b32 s27, 0
                                        ; implicit-def: $sgpr34
	s_set_inst_prefetch_distance 0x1
	s_branch .LBB869_298
	.p2align	6
.LBB869_296:                            ;   in Loop: Header=BB869_298 Depth=1
	global_load_b64 v[37:38], v[35:36], off
	global_load_b64 v[39:40], v[33:34], off
	v_add_co_u32 v33, s0, v33, 8
	s_delay_alu instid0(VALU_DEP_1) | instskip(SKIP_1) | instid1(VALU_DEP_1)
	v_add_co_ci_u32_e64 v34, s0, 0, v34, s0
	v_add_co_u32 v35, s0, v35, 8
	v_add_co_ci_u32_e64 v36, s0, 0, v36, s0
	s_add_u32 s6, s6, 1
	s_addc_u32 s7, s7, 0
	s_and_not1_b32 s0, s34, exec_lo
	s_waitcnt vmcnt(0)
	v_cmp_neq_f64_e32 vcc_lo, v[37:38], v[39:40]
	s_and_b32 s34, vcc_lo, exec_lo
	s_delay_alu instid0(SALU_CYCLE_1)
	s_or_b32 s34, s0, s34
.LBB869_297:                            ;   in Loop: Header=BB869_298 Depth=1
	v_dual_mov_b32 v38, s7 :: v_dual_mov_b32 v37, s6
	s_and_b32 s0, exec_lo, s34
	s_delay_alu instid0(SALU_CYCLE_1) | instskip(NEXT) | instid1(SALU_CYCLE_1)
	s_or_b32 s27, s0, s27
	s_and_not1_b32 exec_lo, exec_lo, s27
	s_cbranch_execz .LBB869_300
.LBB869_298:                            ; =>This Inner Loop Header: Depth=1
	s_or_b32 s34, s34, exec_lo
	s_cmp_eq_u64 s[4:5], s[6:7]
	s_cbranch_scc0 .LBB869_296
; %bb.299:                              ;   in Loop: Header=BB869_298 Depth=1
	s_mov_b64 s[6:7], s[14:15]
                                        ; implicit-def: $vgpr33_vgpr34
                                        ; implicit-def: $vgpr35_vgpr36
	s_branch .LBB869_297
.LBB869_300:
	s_set_inst_prefetch_distance 0x2
	s_or_b32 exec_lo, exec_lo, s27
	v_cmp_gt_i64_e32 vcc_lo, s[14:15], v[37:38]
	s_or_not1_b32 s0, vcc_lo, exec_lo
.LBB869_301:
	s_or_b32 exec_lo, exec_lo, s25
.LBB869_302:
	s_delay_alu instid0(SALU_CYCLE_1)
	s_and_b32 s25, s0, exec_lo
.LBB869_303:
	s_or_b32 exec_lo, exec_lo, s26
	v_or_b32_e32 v33, 6, v55
	s_mov_b32 s26, exec_lo
	s_delay_alu instid0(VALU_DEP_1)
	v_cmpx_gt_u32_e64 s31, v33
	s_cbranch_execz .LBB869_314
; %bb.304:
	s_and_not1_b32 vcc_lo, exec_lo, s13
	s_mov_b32 s0, 0
	s_cbranch_vccnz .LBB869_313
; %bb.305:
	v_mul_lo_u32 v37, v24, s14
	v_mul_lo_u32 v38, v23, s15
	v_mad_u64_u32 v[33:34], null, v23, s14, 0
	v_mul_lo_u32 v39, v18, s14
	v_mul_lo_u32 v40, v17, s15
	v_mad_u64_u32 v[35:36], null, v17, s14, 0
	s_mov_b32 s0, -1
	s_mov_b32 s24, exec_lo
	s_delay_alu instid0(VALU_DEP_4) | instskip(NEXT) | instid1(VALU_DEP_2)
	v_add3_u32 v34, v34, v38, v37
	v_add3_u32 v36, v36, v40, v39
	s_delay_alu instid0(VALU_DEP_2) | instskip(NEXT) | instid1(VALU_DEP_2)
	v_lshlrev_b64 v[33:34], 3, v[33:34]
	v_lshlrev_b64 v[37:38], 3, v[35:36]
	s_delay_alu instid0(VALU_DEP_2) | instskip(NEXT) | instid1(VALU_DEP_3)
	v_add_co_u32 v35, vcc_lo, s20, v33
	v_add_co_ci_u32_e32 v36, vcc_lo, s21, v34, vcc_lo
	s_delay_alu instid0(VALU_DEP_3) | instskip(NEXT) | instid1(VALU_DEP_4)
	v_add_co_u32 v33, vcc_lo, s20, v37
	v_add_co_ci_u32_e32 v34, vcc_lo, s21, v38, vcc_lo
	s_clause 0x1
	global_load_b64 v[37:38], v[35:36], off
	global_load_b64 v[39:40], v[33:34], off
	s_waitcnt vmcnt(0)
	v_cmpx_eq_f64_e32 v[37:38], v[39:40]
	s_cbranch_execz .LBB869_312
; %bb.306:
	v_add_co_u32 v33, vcc_lo, v33, 8
	v_add_co_ci_u32_e32 v34, vcc_lo, 0, v34, vcc_lo
	v_add_co_u32 v35, vcc_lo, v35, 8
	v_add_co_ci_u32_e32 v36, vcc_lo, 0, v36, vcc_lo
	s_add_u32 s4, s14, -1
	s_addc_u32 s5, s15, -1
	s_mov_b64 s[6:7], 0
	s_mov_b32 s27, 0
                                        ; implicit-def: $sgpr34
	s_set_inst_prefetch_distance 0x1
	s_branch .LBB869_309
	.p2align	6
.LBB869_307:                            ;   in Loop: Header=BB869_309 Depth=1
	global_load_b64 v[37:38], v[35:36], off
	global_load_b64 v[39:40], v[33:34], off
	v_add_co_u32 v33, s0, v33, 8
	s_delay_alu instid0(VALU_DEP_1) | instskip(SKIP_1) | instid1(VALU_DEP_1)
	v_add_co_ci_u32_e64 v34, s0, 0, v34, s0
	v_add_co_u32 v35, s0, v35, 8
	v_add_co_ci_u32_e64 v36, s0, 0, v36, s0
	s_add_u32 s6, s6, 1
	s_addc_u32 s7, s7, 0
	s_and_not1_b32 s0, s34, exec_lo
	s_waitcnt vmcnt(0)
	v_cmp_neq_f64_e32 vcc_lo, v[37:38], v[39:40]
	s_and_b32 s34, vcc_lo, exec_lo
	s_delay_alu instid0(SALU_CYCLE_1)
	s_or_b32 s34, s0, s34
.LBB869_308:                            ;   in Loop: Header=BB869_309 Depth=1
	v_dual_mov_b32 v38, s7 :: v_dual_mov_b32 v37, s6
	s_and_b32 s0, exec_lo, s34
	s_delay_alu instid0(SALU_CYCLE_1) | instskip(NEXT) | instid1(SALU_CYCLE_1)
	s_or_b32 s27, s0, s27
	s_and_not1_b32 exec_lo, exec_lo, s27
	s_cbranch_execz .LBB869_311
.LBB869_309:                            ; =>This Inner Loop Header: Depth=1
	s_or_b32 s34, s34, exec_lo
	s_cmp_eq_u64 s[4:5], s[6:7]
	s_cbranch_scc0 .LBB869_307
; %bb.310:                              ;   in Loop: Header=BB869_309 Depth=1
	s_mov_b64 s[6:7], s[14:15]
                                        ; implicit-def: $vgpr33_vgpr34
                                        ; implicit-def: $vgpr35_vgpr36
	s_branch .LBB869_308
.LBB869_311:
	s_set_inst_prefetch_distance 0x2
	s_or_b32 exec_lo, exec_lo, s27
	v_cmp_gt_i64_e32 vcc_lo, s[14:15], v[37:38]
	s_or_not1_b32 s0, vcc_lo, exec_lo
.LBB869_312:
	s_or_b32 exec_lo, exec_lo, s24
.LBB869_313:
	s_delay_alu instid0(SALU_CYCLE_1)
	s_and_b32 s24, s0, exec_lo
.LBB869_314:
	s_or_b32 exec_lo, exec_lo, s26
	v_or_b32_e32 v33, 5, v55
	s_mov_b32 s26, 0
	s_mov_b32 s27, 0
	s_mov_b32 s34, exec_lo
	s_delay_alu instid0(VALU_DEP_1)
	v_cmpx_gt_u32_e64 s31, v33
	s_cbranch_execz .LBB869_325
; %bb.315:
	s_and_not1_b32 vcc_lo, exec_lo, s13
	s_mov_b32 s0, 0
	s_cbranch_vccnz .LBB869_324
; %bb.316:
	v_mul_lo_u32 v37, v22, s14
	v_mul_lo_u32 v38, v21, s15
	v_mad_u64_u32 v[33:34], null, v21, s14, 0
	v_mul_lo_u32 v39, v24, s14
	v_mul_lo_u32 v40, v23, s15
	v_mad_u64_u32 v[35:36], null, v23, s14, 0
	s_mov_b32 s0, -1
	s_mov_b32 s27, exec_lo
	s_delay_alu instid0(VALU_DEP_4) | instskip(NEXT) | instid1(VALU_DEP_2)
	v_add3_u32 v34, v34, v38, v37
	v_add3_u32 v36, v36, v40, v39
	s_delay_alu instid0(VALU_DEP_2) | instskip(NEXT) | instid1(VALU_DEP_2)
	v_lshlrev_b64 v[33:34], 3, v[33:34]
	v_lshlrev_b64 v[37:38], 3, v[35:36]
	s_delay_alu instid0(VALU_DEP_2) | instskip(NEXT) | instid1(VALU_DEP_3)
	v_add_co_u32 v35, vcc_lo, s20, v33
	v_add_co_ci_u32_e32 v36, vcc_lo, s21, v34, vcc_lo
	s_delay_alu instid0(VALU_DEP_3) | instskip(NEXT) | instid1(VALU_DEP_4)
	v_add_co_u32 v33, vcc_lo, s20, v37
	v_add_co_ci_u32_e32 v34, vcc_lo, s21, v38, vcc_lo
	s_clause 0x1
	global_load_b64 v[37:38], v[35:36], off
	global_load_b64 v[39:40], v[33:34], off
	s_waitcnt vmcnt(0)
	v_cmpx_eq_f64_e32 v[37:38], v[39:40]
	s_cbranch_execz .LBB869_323
; %bb.317:
	v_add_co_u32 v33, vcc_lo, v33, 8
	v_add_co_ci_u32_e32 v34, vcc_lo, 0, v34, vcc_lo
	v_add_co_u32 v35, vcc_lo, v35, 8
	v_add_co_ci_u32_e32 v36, vcc_lo, 0, v36, vcc_lo
	s_add_u32 s4, s14, -1
	s_addc_u32 s5, s15, -1
	s_mov_b64 s[6:7], 0
	s_mov_b32 s35, 0
                                        ; implicit-def: $sgpr36
	s_set_inst_prefetch_distance 0x1
	s_branch .LBB869_320
	.p2align	6
.LBB869_318:                            ;   in Loop: Header=BB869_320 Depth=1
	global_load_b64 v[37:38], v[35:36], off
	global_load_b64 v[39:40], v[33:34], off
	v_add_co_u32 v33, s0, v33, 8
	s_delay_alu instid0(VALU_DEP_1) | instskip(SKIP_1) | instid1(VALU_DEP_1)
	v_add_co_ci_u32_e64 v34, s0, 0, v34, s0
	v_add_co_u32 v35, s0, v35, 8
	v_add_co_ci_u32_e64 v36, s0, 0, v36, s0
	s_add_u32 s6, s6, 1
	s_addc_u32 s7, s7, 0
	s_and_not1_b32 s0, s36, exec_lo
	s_waitcnt vmcnt(0)
	v_cmp_neq_f64_e32 vcc_lo, v[37:38], v[39:40]
	s_and_b32 s36, vcc_lo, exec_lo
	s_delay_alu instid0(SALU_CYCLE_1)
	s_or_b32 s36, s0, s36
.LBB869_319:                            ;   in Loop: Header=BB869_320 Depth=1
	v_dual_mov_b32 v38, s7 :: v_dual_mov_b32 v37, s6
	s_and_b32 s0, exec_lo, s36
	s_delay_alu instid0(SALU_CYCLE_1) | instskip(NEXT) | instid1(SALU_CYCLE_1)
	s_or_b32 s35, s0, s35
	s_and_not1_b32 exec_lo, exec_lo, s35
	s_cbranch_execz .LBB869_322
.LBB869_320:                            ; =>This Inner Loop Header: Depth=1
	s_or_b32 s36, s36, exec_lo
	s_cmp_eq_u64 s[4:5], s[6:7]
	s_cbranch_scc0 .LBB869_318
; %bb.321:                              ;   in Loop: Header=BB869_320 Depth=1
	s_mov_b64 s[6:7], s[14:15]
                                        ; implicit-def: $vgpr33_vgpr34
                                        ; implicit-def: $vgpr35_vgpr36
	s_branch .LBB869_319
.LBB869_322:
	s_set_inst_prefetch_distance 0x2
	s_or_b32 exec_lo, exec_lo, s35
	v_cmp_gt_i64_e32 vcc_lo, s[14:15], v[37:38]
	s_or_not1_b32 s0, vcc_lo, exec_lo
.LBB869_323:
	s_or_b32 exec_lo, exec_lo, s27
.LBB869_324:
	s_delay_alu instid0(SALU_CYCLE_1)
	s_and_b32 s27, s0, exec_lo
.LBB869_325:
	s_or_b32 exec_lo, exec_lo, s34
	v_or_b32_e32 v33, 4, v55
	s_mov_b32 s34, exec_lo
	s_delay_alu instid0(VALU_DEP_1)
	v_cmpx_gt_u32_e64 s31, v33
	s_cbranch_execz .LBB869_336
; %bb.326:
	s_and_not1_b32 vcc_lo, exec_lo, s13
	s_mov_b32 s0, 0
	s_cbranch_vccnz .LBB869_335
; %bb.327:
	v_mul_lo_u32 v37, v28, s14
	v_mul_lo_u32 v38, v27, s15
	v_mad_u64_u32 v[33:34], null, v27, s14, 0
	v_mul_lo_u32 v39, v22, s14
	v_mul_lo_u32 v40, v21, s15
	v_mad_u64_u32 v[35:36], null, v21, s14, 0
	s_mov_b32 s0, -1
	s_mov_b32 s26, exec_lo
	s_delay_alu instid0(VALU_DEP_4) | instskip(NEXT) | instid1(VALU_DEP_2)
	v_add3_u32 v34, v34, v38, v37
	v_add3_u32 v36, v36, v40, v39
	s_delay_alu instid0(VALU_DEP_2) | instskip(NEXT) | instid1(VALU_DEP_2)
	v_lshlrev_b64 v[33:34], 3, v[33:34]
	v_lshlrev_b64 v[37:38], 3, v[35:36]
	s_delay_alu instid0(VALU_DEP_2) | instskip(NEXT) | instid1(VALU_DEP_3)
	v_add_co_u32 v35, vcc_lo, s20, v33
	v_add_co_ci_u32_e32 v36, vcc_lo, s21, v34, vcc_lo
	s_delay_alu instid0(VALU_DEP_3) | instskip(NEXT) | instid1(VALU_DEP_4)
	v_add_co_u32 v33, vcc_lo, s20, v37
	v_add_co_ci_u32_e32 v34, vcc_lo, s21, v38, vcc_lo
	s_clause 0x1
	global_load_b64 v[37:38], v[35:36], off
	global_load_b64 v[39:40], v[33:34], off
	s_waitcnt vmcnt(0)
	v_cmpx_eq_f64_e32 v[37:38], v[39:40]
	s_cbranch_execz .LBB869_334
; %bb.328:
	v_add_co_u32 v33, vcc_lo, v33, 8
	v_add_co_ci_u32_e32 v34, vcc_lo, 0, v34, vcc_lo
	v_add_co_u32 v35, vcc_lo, v35, 8
	v_add_co_ci_u32_e32 v36, vcc_lo, 0, v36, vcc_lo
	s_add_u32 s4, s14, -1
	s_addc_u32 s5, s15, -1
	s_mov_b64 s[6:7], 0
	s_mov_b32 s35, 0
                                        ; implicit-def: $sgpr36
	s_set_inst_prefetch_distance 0x1
	s_branch .LBB869_331
	.p2align	6
.LBB869_329:                            ;   in Loop: Header=BB869_331 Depth=1
	global_load_b64 v[37:38], v[35:36], off
	global_load_b64 v[39:40], v[33:34], off
	v_add_co_u32 v33, s0, v33, 8
	s_delay_alu instid0(VALU_DEP_1) | instskip(SKIP_1) | instid1(VALU_DEP_1)
	v_add_co_ci_u32_e64 v34, s0, 0, v34, s0
	v_add_co_u32 v35, s0, v35, 8
	v_add_co_ci_u32_e64 v36, s0, 0, v36, s0
	s_add_u32 s6, s6, 1
	s_addc_u32 s7, s7, 0
	s_and_not1_b32 s0, s36, exec_lo
	s_waitcnt vmcnt(0)
	v_cmp_neq_f64_e32 vcc_lo, v[37:38], v[39:40]
	s_and_b32 s36, vcc_lo, exec_lo
	s_delay_alu instid0(SALU_CYCLE_1)
	s_or_b32 s36, s0, s36
.LBB869_330:                            ;   in Loop: Header=BB869_331 Depth=1
	v_dual_mov_b32 v38, s7 :: v_dual_mov_b32 v37, s6
	s_and_b32 s0, exec_lo, s36
	s_delay_alu instid0(SALU_CYCLE_1) | instskip(NEXT) | instid1(SALU_CYCLE_1)
	s_or_b32 s35, s0, s35
	s_and_not1_b32 exec_lo, exec_lo, s35
	s_cbranch_execz .LBB869_333
.LBB869_331:                            ; =>This Inner Loop Header: Depth=1
	s_or_b32 s36, s36, exec_lo
	s_cmp_eq_u64 s[4:5], s[6:7]
	s_cbranch_scc0 .LBB869_329
; %bb.332:                              ;   in Loop: Header=BB869_331 Depth=1
	s_mov_b64 s[6:7], s[14:15]
                                        ; implicit-def: $vgpr33_vgpr34
                                        ; implicit-def: $vgpr35_vgpr36
	s_branch .LBB869_330
.LBB869_333:
	s_set_inst_prefetch_distance 0x2
	s_or_b32 exec_lo, exec_lo, s35
	v_cmp_gt_i64_e32 vcc_lo, s[14:15], v[37:38]
	s_or_not1_b32 s0, vcc_lo, exec_lo
.LBB869_334:
	s_or_b32 exec_lo, exec_lo, s26
.LBB869_335:
	s_delay_alu instid0(SALU_CYCLE_1)
	s_and_b32 s26, s0, exec_lo
.LBB869_336:
	s_or_b32 exec_lo, exec_lo, s34
	v_or_b32_e32 v33, 3, v55
	s_mov_b32 s35, 0
	s_mov_b32 s34, 0
	s_mov_b32 s36, exec_lo
	s_delay_alu instid0(VALU_DEP_1)
	v_cmpx_gt_u32_e64 s31, v33
	s_cbranch_execz .LBB869_347
; %bb.337:
	s_and_not1_b32 vcc_lo, exec_lo, s13
	s_mov_b32 s0, 0
	s_cbranch_vccnz .LBB869_346
; %bb.338:
	v_mul_lo_u32 v37, v26, s14
	v_mul_lo_u32 v38, v25, s15
	v_mad_u64_u32 v[33:34], null, v25, s14, 0
	v_mul_lo_u32 v39, v28, s14
	v_mul_lo_u32 v40, v27, s15
	v_mad_u64_u32 v[35:36], null, v27, s14, 0
	s_mov_b32 s0, -1
	s_mov_b32 s34, exec_lo
	s_delay_alu instid0(VALU_DEP_4) | instskip(NEXT) | instid1(VALU_DEP_2)
	v_add3_u32 v34, v34, v38, v37
	v_add3_u32 v36, v36, v40, v39
	s_delay_alu instid0(VALU_DEP_2) | instskip(NEXT) | instid1(VALU_DEP_2)
	v_lshlrev_b64 v[33:34], 3, v[33:34]
	v_lshlrev_b64 v[37:38], 3, v[35:36]
	s_delay_alu instid0(VALU_DEP_2) | instskip(NEXT) | instid1(VALU_DEP_3)
	v_add_co_u32 v35, vcc_lo, s20, v33
	v_add_co_ci_u32_e32 v36, vcc_lo, s21, v34, vcc_lo
	s_delay_alu instid0(VALU_DEP_3) | instskip(NEXT) | instid1(VALU_DEP_4)
	v_add_co_u32 v33, vcc_lo, s20, v37
	v_add_co_ci_u32_e32 v34, vcc_lo, s21, v38, vcc_lo
	s_clause 0x1
	global_load_b64 v[37:38], v[35:36], off
	global_load_b64 v[39:40], v[33:34], off
	s_waitcnt vmcnt(0)
	v_cmpx_eq_f64_e32 v[37:38], v[39:40]
	s_cbranch_execz .LBB869_345
; %bb.339:
	v_add_co_u32 v33, vcc_lo, v33, 8
	v_add_co_ci_u32_e32 v34, vcc_lo, 0, v34, vcc_lo
	v_add_co_u32 v35, vcc_lo, v35, 8
	v_add_co_ci_u32_e32 v36, vcc_lo, 0, v36, vcc_lo
	s_add_u32 s4, s14, -1
	s_addc_u32 s5, s15, -1
	s_mov_b64 s[6:7], 0
	s_mov_b32 s37, 0
                                        ; implicit-def: $sgpr38
	s_set_inst_prefetch_distance 0x1
	s_branch .LBB869_342
	.p2align	6
.LBB869_340:                            ;   in Loop: Header=BB869_342 Depth=1
	global_load_b64 v[37:38], v[35:36], off
	global_load_b64 v[39:40], v[33:34], off
	v_add_co_u32 v33, s0, v33, 8
	s_delay_alu instid0(VALU_DEP_1) | instskip(SKIP_1) | instid1(VALU_DEP_1)
	v_add_co_ci_u32_e64 v34, s0, 0, v34, s0
	v_add_co_u32 v35, s0, v35, 8
	v_add_co_ci_u32_e64 v36, s0, 0, v36, s0
	s_add_u32 s6, s6, 1
	s_addc_u32 s7, s7, 0
	s_and_not1_b32 s0, s38, exec_lo
	s_waitcnt vmcnt(0)
	v_cmp_neq_f64_e32 vcc_lo, v[37:38], v[39:40]
	s_and_b32 s38, vcc_lo, exec_lo
	s_delay_alu instid0(SALU_CYCLE_1)
	s_or_b32 s38, s0, s38
.LBB869_341:                            ;   in Loop: Header=BB869_342 Depth=1
	v_dual_mov_b32 v38, s7 :: v_dual_mov_b32 v37, s6
	s_and_b32 s0, exec_lo, s38
	s_delay_alu instid0(SALU_CYCLE_1) | instskip(NEXT) | instid1(SALU_CYCLE_1)
	s_or_b32 s37, s0, s37
	s_and_not1_b32 exec_lo, exec_lo, s37
	s_cbranch_execz .LBB869_344
.LBB869_342:                            ; =>This Inner Loop Header: Depth=1
	s_or_b32 s38, s38, exec_lo
	s_cmp_eq_u64 s[4:5], s[6:7]
	s_cbranch_scc0 .LBB869_340
; %bb.343:                              ;   in Loop: Header=BB869_342 Depth=1
	s_mov_b64 s[6:7], s[14:15]
                                        ; implicit-def: $vgpr33_vgpr34
                                        ; implicit-def: $vgpr35_vgpr36
	s_branch .LBB869_341
.LBB869_344:
	s_set_inst_prefetch_distance 0x2
	s_or_b32 exec_lo, exec_lo, s37
	v_cmp_gt_i64_e32 vcc_lo, s[14:15], v[37:38]
	s_or_not1_b32 s0, vcc_lo, exec_lo
.LBB869_345:
	s_or_b32 exec_lo, exec_lo, s34
.LBB869_346:
	s_delay_alu instid0(SALU_CYCLE_1)
	s_and_b32 s34, s0, exec_lo
.LBB869_347:
	s_or_b32 exec_lo, exec_lo, s36
	v_or_b32_e32 v33, 2, v55
	s_mov_b32 s36, exec_lo
	s_delay_alu instid0(VALU_DEP_1)
	v_cmpx_gt_u32_e64 s31, v33
	s_cbranch_execz .LBB869_358
; %bb.348:
	s_and_not1_b32 vcc_lo, exec_lo, s13
	s_mov_b32 s0, 0
	s_cbranch_vccnz .LBB869_357
; %bb.349:
	v_mul_lo_u32 v37, v32, s14
	v_mul_lo_u32 v38, v31, s15
	v_mad_u64_u32 v[33:34], null, v31, s14, 0
	v_mul_lo_u32 v39, v26, s14
	v_mul_lo_u32 v40, v25, s15
	v_mad_u64_u32 v[35:36], null, v25, s14, 0
	s_mov_b32 s0, -1
	s_mov_b32 s35, exec_lo
	s_delay_alu instid0(VALU_DEP_4) | instskip(NEXT) | instid1(VALU_DEP_2)
	v_add3_u32 v34, v34, v38, v37
	v_add3_u32 v36, v36, v40, v39
	s_delay_alu instid0(VALU_DEP_2) | instskip(NEXT) | instid1(VALU_DEP_2)
	v_lshlrev_b64 v[33:34], 3, v[33:34]
	v_lshlrev_b64 v[37:38], 3, v[35:36]
	s_delay_alu instid0(VALU_DEP_2) | instskip(NEXT) | instid1(VALU_DEP_3)
	v_add_co_u32 v35, vcc_lo, s20, v33
	v_add_co_ci_u32_e32 v36, vcc_lo, s21, v34, vcc_lo
	s_delay_alu instid0(VALU_DEP_3) | instskip(NEXT) | instid1(VALU_DEP_4)
	v_add_co_u32 v33, vcc_lo, s20, v37
	v_add_co_ci_u32_e32 v34, vcc_lo, s21, v38, vcc_lo
	s_clause 0x1
	global_load_b64 v[37:38], v[35:36], off
	global_load_b64 v[39:40], v[33:34], off
	s_waitcnt vmcnt(0)
	v_cmpx_eq_f64_e32 v[37:38], v[39:40]
	s_cbranch_execz .LBB869_356
; %bb.350:
	v_add_co_u32 v33, vcc_lo, v33, 8
	v_add_co_ci_u32_e32 v34, vcc_lo, 0, v34, vcc_lo
	v_add_co_u32 v35, vcc_lo, v35, 8
	v_add_co_ci_u32_e32 v36, vcc_lo, 0, v36, vcc_lo
	s_add_u32 s4, s14, -1
	s_addc_u32 s5, s15, -1
	s_mov_b64 s[6:7], 0
	s_mov_b32 s37, 0
                                        ; implicit-def: $sgpr38
	s_set_inst_prefetch_distance 0x1
	s_branch .LBB869_353
	.p2align	6
.LBB869_351:                            ;   in Loop: Header=BB869_353 Depth=1
	global_load_b64 v[37:38], v[35:36], off
	global_load_b64 v[39:40], v[33:34], off
	v_add_co_u32 v33, s0, v33, 8
	s_delay_alu instid0(VALU_DEP_1) | instskip(SKIP_1) | instid1(VALU_DEP_1)
	v_add_co_ci_u32_e64 v34, s0, 0, v34, s0
	v_add_co_u32 v35, s0, v35, 8
	v_add_co_ci_u32_e64 v36, s0, 0, v36, s0
	s_add_u32 s6, s6, 1
	s_addc_u32 s7, s7, 0
	s_and_not1_b32 s0, s38, exec_lo
	s_waitcnt vmcnt(0)
	v_cmp_neq_f64_e32 vcc_lo, v[37:38], v[39:40]
	s_and_b32 s38, vcc_lo, exec_lo
	s_delay_alu instid0(SALU_CYCLE_1)
	s_or_b32 s38, s0, s38
.LBB869_352:                            ;   in Loop: Header=BB869_353 Depth=1
	v_dual_mov_b32 v38, s7 :: v_dual_mov_b32 v37, s6
	s_and_b32 s0, exec_lo, s38
	s_delay_alu instid0(SALU_CYCLE_1) | instskip(NEXT) | instid1(SALU_CYCLE_1)
	s_or_b32 s37, s0, s37
	s_and_not1_b32 exec_lo, exec_lo, s37
	s_cbranch_execz .LBB869_355
.LBB869_353:                            ; =>This Inner Loop Header: Depth=1
	s_or_b32 s38, s38, exec_lo
	s_cmp_eq_u64 s[4:5], s[6:7]
	s_cbranch_scc0 .LBB869_351
; %bb.354:                              ;   in Loop: Header=BB869_353 Depth=1
	s_mov_b64 s[6:7], s[14:15]
                                        ; implicit-def: $vgpr33_vgpr34
                                        ; implicit-def: $vgpr35_vgpr36
	s_branch .LBB869_352
.LBB869_355:
	s_set_inst_prefetch_distance 0x2
	s_or_b32 exec_lo, exec_lo, s37
	v_cmp_gt_i64_e32 vcc_lo, s[14:15], v[37:38]
	s_or_not1_b32 s0, vcc_lo, exec_lo
.LBB869_356:
	s_or_b32 exec_lo, exec_lo, s35
.LBB869_357:
	s_delay_alu instid0(SALU_CYCLE_1)
	s_and_b32 s35, s0, exec_lo
.LBB869_358:
	s_or_b32 exec_lo, exec_lo, s36
	v_or_b32_e32 v33, 1, v55
	s_mov_b32 s0, 0
	s_mov_b32 s36, exec_lo
	s_delay_alu instid0(VALU_DEP_1)
	v_cmpx_gt_u32_e64 s31, v33
	s_cbranch_execz .LBB869_369
; %bb.359:
	s_and_not1_b32 vcc_lo, exec_lo, s13
	s_cbranch_vccnz .LBB869_368
; %bb.360:
	v_mul_lo_u32 v37, v30, s14
	v_mul_lo_u32 v38, v29, s15
	v_mad_u64_u32 v[33:34], null, v29, s14, 0
	v_mul_lo_u32 v39, v32, s14
	v_mul_lo_u32 v40, v31, s15
	v_mad_u64_u32 v[35:36], null, v31, s14, 0
	s_mov_b32 s0, -1
	s_mov_b32 s37, exec_lo
	s_delay_alu instid0(VALU_DEP_4) | instskip(NEXT) | instid1(VALU_DEP_2)
	v_add3_u32 v34, v34, v38, v37
	v_add3_u32 v36, v36, v40, v39
	s_delay_alu instid0(VALU_DEP_2) | instskip(NEXT) | instid1(VALU_DEP_2)
	v_lshlrev_b64 v[33:34], 3, v[33:34]
	v_lshlrev_b64 v[37:38], 3, v[35:36]
	s_delay_alu instid0(VALU_DEP_2) | instskip(NEXT) | instid1(VALU_DEP_3)
	v_add_co_u32 v35, vcc_lo, s20, v33
	v_add_co_ci_u32_e32 v36, vcc_lo, s21, v34, vcc_lo
	s_delay_alu instid0(VALU_DEP_3) | instskip(NEXT) | instid1(VALU_DEP_4)
	v_add_co_u32 v33, vcc_lo, s20, v37
	v_add_co_ci_u32_e32 v34, vcc_lo, s21, v38, vcc_lo
	s_clause 0x1
	global_load_b64 v[37:38], v[35:36], off
	global_load_b64 v[39:40], v[33:34], off
	s_waitcnt vmcnt(0)
	v_cmpx_eq_f64_e32 v[37:38], v[39:40]
	s_cbranch_execz .LBB869_367
; %bb.361:
	v_add_co_u32 v33, vcc_lo, v33, 8
	v_add_co_ci_u32_e32 v34, vcc_lo, 0, v34, vcc_lo
	v_add_co_u32 v35, vcc_lo, v35, 8
	v_add_co_ci_u32_e32 v36, vcc_lo, 0, v36, vcc_lo
	s_add_u32 s4, s14, -1
	s_addc_u32 s5, s15, -1
	s_mov_b64 s[6:7], 0
	s_mov_b32 s38, 0
                                        ; implicit-def: $sgpr39
	s_set_inst_prefetch_distance 0x1
	s_branch .LBB869_364
	.p2align	6
.LBB869_362:                            ;   in Loop: Header=BB869_364 Depth=1
	global_load_b64 v[37:38], v[35:36], off
	global_load_b64 v[39:40], v[33:34], off
	v_add_co_u32 v33, s0, v33, 8
	s_delay_alu instid0(VALU_DEP_1) | instskip(SKIP_1) | instid1(VALU_DEP_1)
	v_add_co_ci_u32_e64 v34, s0, 0, v34, s0
	v_add_co_u32 v35, s0, v35, 8
	v_add_co_ci_u32_e64 v36, s0, 0, v36, s0
	s_add_u32 s6, s6, 1
	s_addc_u32 s7, s7, 0
	s_and_not1_b32 s0, s39, exec_lo
	s_waitcnt vmcnt(0)
	v_cmp_neq_f64_e32 vcc_lo, v[37:38], v[39:40]
	s_and_b32 s39, vcc_lo, exec_lo
	s_delay_alu instid0(SALU_CYCLE_1)
	s_or_b32 s39, s0, s39
.LBB869_363:                            ;   in Loop: Header=BB869_364 Depth=1
	v_dual_mov_b32 v38, s7 :: v_dual_mov_b32 v37, s6
	s_and_b32 s0, exec_lo, s39
	s_delay_alu instid0(SALU_CYCLE_1) | instskip(NEXT) | instid1(SALU_CYCLE_1)
	s_or_b32 s38, s0, s38
	s_and_not1_b32 exec_lo, exec_lo, s38
	s_cbranch_execz .LBB869_366
.LBB869_364:                            ; =>This Inner Loop Header: Depth=1
	s_or_b32 s39, s39, exec_lo
	s_cmp_eq_u64 s[4:5], s[6:7]
	s_cbranch_scc0 .LBB869_362
; %bb.365:                              ;   in Loop: Header=BB869_364 Depth=1
	s_mov_b64 s[6:7], s[14:15]
                                        ; implicit-def: $vgpr33_vgpr34
                                        ; implicit-def: $vgpr35_vgpr36
	s_branch .LBB869_363
.LBB869_366:
	s_set_inst_prefetch_distance 0x2
	s_or_b32 exec_lo, exec_lo, s38
	v_cmp_gt_i64_e32 vcc_lo, s[14:15], v[37:38]
	s_or_not1_b32 s0, vcc_lo, exec_lo
.LBB869_367:
	s_or_b32 exec_lo, exec_lo, s37
.LBB869_368:
	s_delay_alu instid0(SALU_CYCLE_1)
	s_and_b32 s0, s0, exec_lo
.LBB869_369:
	s_or_b32 exec_lo, exec_lo, s36
	v_cndmask_b32_e64 v34, 0, 1, s34
	v_cndmask_b32_e64 v35, 0, 1, s27
	;; [unrolled: 1-line block ×7, first 2 shown]
	v_lshlrev_b16 v35, 8, v35
	v_lshlrev_b16 v36, 8, v36
	;; [unrolled: 1-line block ×4, first 2 shown]
	s_waitcnt lgkmcnt(0)
	v_or_b32_e32 v35, v38, v35
	v_or_b32_e32 v36, v39, v36
	;; [unrolled: 1-line block ×4, first 2 shown]
	s_barrier
	v_and_b32_e32 v34, 0xffff, v35
	v_lshlrev_b32_e32 v35, 16, v36
	v_and_b32_e32 v37, 0xffff, v37
	v_lshlrev_b32_e32 v33, 16, v33
	buffer_gl0_inv
                                        ; implicit-def: $sgpr0
	v_or_b32_e32 v36, v34, v35
	v_or_b32_e32 v35, v37, v33
	s_and_saveexec_b32 s24, s3
	s_cbranch_execz .LBB869_382
; %bb.370:
	s_mov_b32 s0, 0
	s_mov_b32 s3, exec_lo
	v_cmpx_gt_u32_e64 s31, v55
	s_cbranch_execz .LBB869_381
; %bb.371:
	s_and_not1_b32 vcc_lo, exec_lo, s13
	s_cbranch_vccnz .LBB869_380
; %bb.372:
	v_add_nc_u32_e32 v33, -8, v55
	v_mul_lo_u32 v41, v30, s14
	v_mul_lo_u32 v42, v29, s15
	s_mov_b32 s0, -1
	s_mov_b32 s13, exec_lo
	ds_load_b64 v[33:34], v33
	s_waitcnt lgkmcnt(0)
	v_mul_lo_u32 v39, v34, s14
	v_mul_lo_u32 v40, v33, s15
	v_mad_u64_u32 v[37:38], null, v33, s14, 0
	v_mad_u64_u32 v[33:34], null, v29, s14, 0
	s_delay_alu instid0(VALU_DEP_2) | instskip(NEXT) | instid1(VALU_DEP_2)
	v_add3_u32 v38, v38, v40, v39
	v_add3_u32 v34, v34, v42, v41
	s_delay_alu instid0(VALU_DEP_2) | instskip(NEXT) | instid1(VALU_DEP_2)
	v_lshlrev_b64 v[37:38], 3, v[37:38]
	v_lshlrev_b64 v[33:34], 3, v[33:34]
	s_delay_alu instid0(VALU_DEP_2) | instskip(NEXT) | instid1(VALU_DEP_3)
	v_add_co_u32 v37, vcc_lo, s20, v37
	v_add_co_ci_u32_e32 v38, vcc_lo, s21, v38, vcc_lo
	s_delay_alu instid0(VALU_DEP_3) | instskip(NEXT) | instid1(VALU_DEP_4)
	v_add_co_u32 v33, vcc_lo, s20, v33
	v_add_co_ci_u32_e32 v34, vcc_lo, s21, v34, vcc_lo
	s_clause 0x1
	global_load_b64 v[39:40], v[37:38], off
	global_load_b64 v[41:42], v[33:34], off
	s_waitcnt vmcnt(0)
	v_cmpx_eq_f64_e32 v[39:40], v[41:42]
	s_cbranch_execz .LBB869_379
; %bb.373:
	v_add_co_u32 v33, vcc_lo, v33, 8
	v_add_co_ci_u32_e32 v34, vcc_lo, 0, v34, vcc_lo
	v_add_co_u32 v37, vcc_lo, v37, 8
	v_add_co_ci_u32_e32 v38, vcc_lo, 0, v38, vcc_lo
	s_add_u32 s4, s14, -1
	s_addc_u32 s5, s15, -1
	s_mov_b64 s[6:7], 0
	s_mov_b32 s20, 0
                                        ; implicit-def: $sgpr21
	s_set_inst_prefetch_distance 0x1
	s_branch .LBB869_376
	.p2align	6
.LBB869_374:                            ;   in Loop: Header=BB869_376 Depth=1
	global_load_b64 v[39:40], v[37:38], off
	global_load_b64 v[41:42], v[33:34], off
	v_add_co_u32 v33, s0, v33, 8
	s_delay_alu instid0(VALU_DEP_1) | instskip(SKIP_1) | instid1(VALU_DEP_1)
	v_add_co_ci_u32_e64 v34, s0, 0, v34, s0
	v_add_co_u32 v37, s0, v37, 8
	v_add_co_ci_u32_e64 v38, s0, 0, v38, s0
	s_add_u32 s6, s6, 1
	s_addc_u32 s7, s7, 0
	s_and_not1_b32 s0, s21, exec_lo
	s_waitcnt vmcnt(0)
	v_cmp_neq_f64_e32 vcc_lo, v[39:40], v[41:42]
	s_and_b32 s21, vcc_lo, exec_lo
	s_delay_alu instid0(SALU_CYCLE_1)
	s_or_b32 s21, s0, s21
.LBB869_375:                            ;   in Loop: Header=BB869_376 Depth=1
	v_dual_mov_b32 v40, s7 :: v_dual_mov_b32 v39, s6
	s_and_b32 s0, exec_lo, s21
	s_delay_alu instid0(SALU_CYCLE_1) | instskip(NEXT) | instid1(SALU_CYCLE_1)
	s_or_b32 s20, s0, s20
	s_and_not1_b32 exec_lo, exec_lo, s20
	s_cbranch_execz .LBB869_378
.LBB869_376:                            ; =>This Inner Loop Header: Depth=1
	s_or_b32 s21, s21, exec_lo
	s_cmp_eq_u64 s[4:5], s[6:7]
	s_cbranch_scc0 .LBB869_374
; %bb.377:                              ;   in Loop: Header=BB869_376 Depth=1
	s_mov_b64 s[6:7], s[14:15]
                                        ; implicit-def: $vgpr33_vgpr34
                                        ; implicit-def: $vgpr37_vgpr38
	s_branch .LBB869_375
.LBB869_378:
	s_set_inst_prefetch_distance 0x2
	s_or_b32 exec_lo, exec_lo, s20
	v_cmp_gt_i64_e32 vcc_lo, s[14:15], v[39:40]
	s_or_not1_b32 s0, vcc_lo, exec_lo
.LBB869_379:
	s_or_b32 exec_lo, exec_lo, s13
.LBB869_380:
	s_delay_alu instid0(SALU_CYCLE_1)
	s_and_b32 s0, s0, exec_lo
.LBB869_381:
	s_or_b32 exec_lo, exec_lo, s3
	s_delay_alu instid0(SALU_CYCLE_1)
	s_and_b32 s0, s0, exec_lo
	s_or_b32 s1, s1, exec_lo
.LBB869_382:
	s_or_b32 exec_lo, exec_lo, s24
.LBB869_383:
	s_and_saveexec_b32 s3, s1
	s_cbranch_execz .LBB869_385
; %bb.384:
	s_waitcnt vmcnt(0) lgkmcnt(0)
	v_and_b32_e32 v33, 0xffffff00, v35
	v_cndmask_b32_e64 v34, 0, 1, s0
	s_delay_alu instid0(VALU_DEP_1) | instskip(NEXT) | instid1(VALU_DEP_1)
	v_or_b32_e32 v33, v34, v33
	v_and_b32_e32 v33, 0xffff, v33
	s_delay_alu instid0(VALU_DEP_1)
	v_and_or_b32 v35, 0xffff0000, v35, v33
.LBB869_385:
	s_or_b32 exec_lo, exec_lo, s3
	s_delay_alu instid0(SALU_CYCLE_1)
	s_and_not1_b32 vcc_lo, exec_lo, s33
	s_cbranch_vccnz .LBB869_387
; %bb.386:
	v_cmp_gt_u32_e32 vcc_lo, s31, v55
	s_waitcnt vmcnt(0) lgkmcnt(0)
	v_or_b32_e32 v34, 1, v55
	v_and_b32_e32 v37, 0xffffff00, v36
	v_or_b32_e32 v38, 2, v55
	v_cndmask_b32_e32 v33, 0, v35, vcc_lo
	s_delay_alu instid0(VALU_DEP_4) | instskip(SKIP_1) | instid1(VALU_DEP_4)
	v_cmp_gt_u32_e32 vcc_lo, s31, v34
	v_or_b32_e32 v34, 4, v55
	v_cmp_gt_u32_e64 s0, s31, v38
	v_or_b32_e32 v38, 3, v55
	v_and_b32_e32 v33, 0xff, v33
	s_delay_alu instid0(VALU_DEP_2) | instskip(NEXT) | instid1(VALU_DEP_2)
	v_cmp_gt_u32_e64 s1, s31, v38
	v_cndmask_b32_e32 v33, v33, v35, vcc_lo
	v_cmp_gt_u32_e32 vcc_lo, s31, v34
	v_cndmask_b32_e32 v34, v37, v36, vcc_lo
	v_or_b32_e32 v37, 5, v55
	s_delay_alu instid0(VALU_DEP_2) | instskip(SKIP_1) | instid1(VALU_DEP_1)
	v_and_b32_e32 v34, 0xffff00ff, v34
	v_and_b32_e32 v33, 0xffff, v33
	v_cndmask_b32_e64 v33, v33, v35, s0
	s_delay_alu instid0(VALU_DEP_4) | instskip(SKIP_1) | instid1(VALU_DEP_3)
	v_cmp_gt_u32_e64 s0, s31, v37
	v_or_b32_e32 v37, 6, v55
	v_and_b32_e32 v33, 0xffffff, v33
	s_delay_alu instid0(VALU_DEP_3) | instskip(NEXT) | instid1(VALU_DEP_2)
	v_cndmask_b32_e64 v34, v34, v36, s0
	v_cndmask_b32_e64 v33, v33, v35, s1
	s_delay_alu instid0(VALU_DEP_1) | instskip(SKIP_2) | instid1(VALU_DEP_3)
	v_dual_cndmask_b32 v33, v33, v35 :: v_dual_and_b32 v34, 0xff00ffff, v34
	v_cmp_gt_u32_e32 vcc_lo, s31, v37
	v_or_b32_e32 v37, 7, v55
	v_cndmask_b32_e64 v33, v33, v35, s0
	s_delay_alu instid0(VALU_DEP_1) | instskip(NEXT) | instid1(VALU_DEP_1)
	v_dual_cndmask_b32 v34, v34, v36 :: v_dual_cndmask_b32 v33, v33, v35
	v_and_b32_e32 v34, 0xffffff, v34
	s_delay_alu instid0(VALU_DEP_4) | instskip(NEXT) | instid1(VALU_DEP_2)
	v_cmp_gt_u32_e32 vcc_lo, s31, v37
	v_dual_cndmask_b32 v36, v34, v36 :: v_dual_cndmask_b32 v35, v33, v35
.LBB869_387:
	s_delay_alu instid0(VALU_DEP_1) | instskip(SKIP_1) | instid1(VALU_DEP_2)
	v_and_b32_e32 v44, 0xff, v35
	s_waitcnt vmcnt(0) lgkmcnt(0)
	v_alignbit_b32 v33, v36, v35, 24
	v_bfe_u32 v46, v35, 8, 8
	v_bfe_u32 v48, v35, 16, 8
	v_and_b32_e32 v52, 0xff, v36
	v_bfe_u32 v54, v36, 8, 8
	v_and_b32_e32 v50, 0xff, v33
	v_add_nc_u32_e32 v33, v46, v44
	v_mbcnt_lo_u32_b32 v58, -1, 0
	v_bfe_u32 v57, v36, 16, 8
	v_lshrrev_b32_e32 v56, 24, v36
	v_lshrrev_b32_e32 v59, 5, v0
	v_add3_u32 v33, v33, v48, v50
	v_and_b32_e32 v34, 15, v58
	v_and_b32_e32 v37, 16, v58
	s_and_b32 vcc_lo, exec_lo, s12
	s_mov_b32 s7, -1
	v_add3_u32 v33, v33, v52, v54
	v_cmp_eq_u32_e64 s3, 0, v34
	v_cmp_lt_u32_e64 s0, 1, v34
	v_cmp_lt_u32_e64 s4, 3, v34
	;; [unrolled: 1-line block ×3, first 2 shown]
	v_add3_u32 v60, v33, v57, v56
	v_or_b32_e32 v33, 31, v0
	v_cmp_eq_u32_e64 s6, 0, v37
	s_barrier
	buffer_gl0_inv
	v_cmp_eq_u32_e64 s5, v33, v0
	s_cbranch_vccz .LBB869_413
; %bb.388:
	v_mov_b32_dpp v33, v60 row_shr:1 row_mask:0xf bank_mask:0xf
	s_delay_alu instid0(VALU_DEP_1) | instskip(NEXT) | instid1(VALU_DEP_1)
	v_cndmask_b32_e64 v33, v33, 0, s3
	v_add_nc_u32_e32 v33, v33, v60
	s_delay_alu instid0(VALU_DEP_1) | instskip(NEXT) | instid1(VALU_DEP_1)
	v_mov_b32_dpp v34, v33 row_shr:2 row_mask:0xf bank_mask:0xf
	v_cndmask_b32_e64 v34, 0, v34, s0
	s_delay_alu instid0(VALU_DEP_1) | instskip(NEXT) | instid1(VALU_DEP_1)
	v_add_nc_u32_e32 v33, v33, v34
	v_mov_b32_dpp v34, v33 row_shr:4 row_mask:0xf bank_mask:0xf
	s_delay_alu instid0(VALU_DEP_1) | instskip(NEXT) | instid1(VALU_DEP_1)
	v_cndmask_b32_e64 v34, 0, v34, s4
	v_add_nc_u32_e32 v33, v33, v34
	s_delay_alu instid0(VALU_DEP_1) | instskip(NEXT) | instid1(VALU_DEP_1)
	v_mov_b32_dpp v34, v33 row_shr:8 row_mask:0xf bank_mask:0xf
	v_cndmask_b32_e64 v34, 0, v34, s1
	s_delay_alu instid0(VALU_DEP_1) | instskip(SKIP_3) | instid1(VALU_DEP_1)
	v_add_nc_u32_e32 v33, v33, v34
	ds_swizzle_b32 v34, v33 offset:swizzle(BROADCAST,32,15)
	s_waitcnt lgkmcnt(0)
	v_cndmask_b32_e64 v34, v34, 0, s6
	v_add_nc_u32_e32 v33, v33, v34
	s_and_saveexec_b32 s7, s5
	s_cbranch_execz .LBB869_390
; %bb.389:
	v_lshlrev_b32_e32 v34, 2, v59
	ds_store_b32 v34, v33
.LBB869_390:
	s_or_b32 exec_lo, exec_lo, s7
	s_delay_alu instid0(SALU_CYCLE_1)
	s_mov_b32 s7, exec_lo
	s_waitcnt lgkmcnt(0)
	s_barrier
	buffer_gl0_inv
	v_cmpx_gt_u32_e32 16, v0
	s_cbranch_execz .LBB869_392
; %bb.391:
	v_lshlrev_b32_e32 v34, 2, v0
	ds_load_b32 v37, v34
	s_waitcnt lgkmcnt(0)
	v_mov_b32_dpp v38, v37 row_shr:1 row_mask:0xf bank_mask:0xf
	s_delay_alu instid0(VALU_DEP_1) | instskip(NEXT) | instid1(VALU_DEP_1)
	v_cndmask_b32_e64 v38, v38, 0, s3
	v_add_nc_u32_e32 v37, v38, v37
	s_delay_alu instid0(VALU_DEP_1) | instskip(NEXT) | instid1(VALU_DEP_1)
	v_mov_b32_dpp v38, v37 row_shr:2 row_mask:0xf bank_mask:0xf
	v_cndmask_b32_e64 v38, 0, v38, s0
	s_delay_alu instid0(VALU_DEP_1) | instskip(NEXT) | instid1(VALU_DEP_1)
	v_add_nc_u32_e32 v37, v37, v38
	v_mov_b32_dpp v38, v37 row_shr:4 row_mask:0xf bank_mask:0xf
	s_delay_alu instid0(VALU_DEP_1) | instskip(NEXT) | instid1(VALU_DEP_1)
	v_cndmask_b32_e64 v38, 0, v38, s4
	v_add_nc_u32_e32 v37, v37, v38
	s_delay_alu instid0(VALU_DEP_1) | instskip(NEXT) | instid1(VALU_DEP_1)
	v_mov_b32_dpp v38, v37 row_shr:8 row_mask:0xf bank_mask:0xf
	v_cndmask_b32_e64 v38, 0, v38, s1
	s_delay_alu instid0(VALU_DEP_1)
	v_add_nc_u32_e32 v37, v37, v38
	ds_store_b32 v34, v37
.LBB869_392:
	s_or_b32 exec_lo, exec_lo, s7
	v_cmp_gt_u32_e32 vcc_lo, 32, v0
	s_mov_b32 s12, exec_lo
	s_waitcnt lgkmcnt(0)
	s_barrier
	buffer_gl0_inv
                                        ; implicit-def: $vgpr43
	v_cmpx_lt_u32_e32 31, v0
	s_cbranch_execz .LBB869_394
; %bb.393:
	v_lshl_add_u32 v34, v59, 2, -4
	ds_load_b32 v43, v34
	s_waitcnt lgkmcnt(0)
	v_add_nc_u32_e32 v33, v43, v33
.LBB869_394:
	s_or_b32 exec_lo, exec_lo, s12
	v_add_nc_u32_e32 v34, -1, v58
	s_delay_alu instid0(VALU_DEP_1) | instskip(NEXT) | instid1(VALU_DEP_1)
	v_cmp_gt_i32_e64 s7, 0, v34
	v_cndmask_b32_e64 v34, v34, v58, s7
	v_cmp_eq_u32_e64 s7, 0, v58
	s_delay_alu instid0(VALU_DEP_2)
	v_lshlrev_b32_e32 v34, 2, v34
	ds_bpermute_b32 v45, v34, v33
	s_and_saveexec_b32 s12, vcc_lo
	s_cbranch_execz .LBB869_412
; %bb.395:
	v_mov_b32_e32 v39, 0
	ds_load_b32 v33, v39 offset:60
	s_and_saveexec_b32 s13, s7
	s_cbranch_execz .LBB869_397
; %bb.396:
	s_add_i32 s14, s30, 32
	s_mov_b32 s15, 0
	v_mov_b32_e32 v34, 1
	s_lshl_b64 s[14:15], s[14:15], 3
	s_delay_alu instid0(SALU_CYCLE_1)
	s_add_u32 s14, s22, s14
	s_addc_u32 s15, s23, s15
	s_waitcnt lgkmcnt(0)
	global_store_b64 v39, v[33:34], s[14:15]
.LBB869_397:
	s_or_b32 exec_lo, exec_lo, s13
	v_xad_u32 v37, v58, -1, s30
	s_mov_b32 s14, 0
	s_mov_b32 s13, exec_lo
	s_delay_alu instid0(VALU_DEP_1) | instskip(NEXT) | instid1(VALU_DEP_1)
	v_add_nc_u32_e32 v38, 32, v37
	v_lshlrev_b64 v[38:39], 3, v[38:39]
	s_delay_alu instid0(VALU_DEP_1) | instskip(NEXT) | instid1(VALU_DEP_2)
	v_add_co_u32 v41, vcc_lo, s22, v38
	v_add_co_ci_u32_e32 v42, vcc_lo, s23, v39, vcc_lo
	global_load_b64 v[39:40], v[41:42], off glc
	s_waitcnt vmcnt(0)
	v_and_b32_e32 v34, 0xff, v40
	s_delay_alu instid0(VALU_DEP_1)
	v_cmpx_eq_u16_e32 0, v34
	s_cbranch_execz .LBB869_400
.LBB869_398:                            ; =>This Inner Loop Header: Depth=1
	global_load_b64 v[39:40], v[41:42], off glc
	s_waitcnt vmcnt(0)
	v_and_b32_e32 v34, 0xff, v40
	s_delay_alu instid0(VALU_DEP_1) | instskip(SKIP_1) | instid1(SALU_CYCLE_1)
	v_cmp_ne_u16_e32 vcc_lo, 0, v34
	s_or_b32 s14, vcc_lo, s14
	s_and_not1_b32 exec_lo, exec_lo, s14
	s_cbranch_execnz .LBB869_398
; %bb.399:
	s_or_b32 exec_lo, exec_lo, s14
.LBB869_400:
	s_delay_alu instid0(SALU_CYCLE_1)
	s_or_b32 exec_lo, exec_lo, s13
	v_cmp_ne_u32_e32 vcc_lo, 31, v58
	v_and_b32_e32 v38, 0xff, v40
	v_lshlrev_b32_e64 v47, v58, -1
	v_add_nc_u32_e32 v51, 2, v58
	v_add_nc_u32_e32 v61, 4, v58
	v_add_co_ci_u32_e32 v34, vcc_lo, 0, v58, vcc_lo
	v_cmp_eq_u16_e32 vcc_lo, 2, v38
	v_add_nc_u32_e32 v64, 8, v58
	v_add_nc_u32_e32 v66, 16, v58
	v_and_or_b32 v38, vcc_lo, v47, 0x80000000
	v_cmp_gt_u32_e32 vcc_lo, 30, v58
	s_delay_alu instid0(VALU_DEP_2) | instskip(SKIP_1) | instid1(VALU_DEP_2)
	v_ctz_i32_b32_e32 v38, v38
	v_cndmask_b32_e64 v42, 0, 1, vcc_lo
	v_cmp_lt_u32_e32 vcc_lo, v58, v38
	v_lshlrev_b32_e32 v34, 2, v34
	s_delay_alu instid0(VALU_DEP_3)
	v_lshlrev_b32_e32 v42, 1, v42
	ds_bpermute_b32 v41, v34, v39
	v_add_lshl_u32 v49, v42, v58, 2
	s_waitcnt lgkmcnt(0)
	v_cndmask_b32_e32 v41, 0, v41, vcc_lo
	v_cmp_gt_u32_e32 vcc_lo, 28, v58
	s_delay_alu instid0(VALU_DEP_2) | instskip(SKIP_4) | instid1(VALU_DEP_1)
	v_add_nc_u32_e32 v39, v41, v39
	v_cndmask_b32_e64 v42, 0, 1, vcc_lo
	v_cmp_le_u32_e32 vcc_lo, v51, v38
	ds_bpermute_b32 v41, v49, v39
	v_lshlrev_b32_e32 v42, 2, v42
	v_add_lshl_u32 v53, v42, v58, 2
	s_waitcnt lgkmcnt(0)
	v_cndmask_b32_e32 v41, 0, v41, vcc_lo
	v_cmp_gt_u32_e32 vcc_lo, 24, v58
	s_delay_alu instid0(VALU_DEP_2) | instskip(SKIP_4) | instid1(VALU_DEP_1)
	v_add_nc_u32_e32 v39, v39, v41
	v_cndmask_b32_e64 v42, 0, 1, vcc_lo
	v_cmp_le_u32_e32 vcc_lo, v61, v38
	ds_bpermute_b32 v41, v53, v39
	v_lshlrev_b32_e32 v42, 3, v42
	v_add_lshl_u32 v63, v42, v58, 2
	s_waitcnt lgkmcnt(0)
	v_cndmask_b32_e32 v41, 0, v41, vcc_lo
	v_cmp_gt_u32_e32 vcc_lo, 16, v58
	s_delay_alu instid0(VALU_DEP_2) | instskip(SKIP_4) | instid1(VALU_DEP_1)
	v_add_nc_u32_e32 v39, v39, v41
	v_cndmask_b32_e64 v42, 0, 1, vcc_lo
	v_cmp_le_u32_e32 vcc_lo, v64, v38
	ds_bpermute_b32 v41, v63, v39
	v_lshlrev_b32_e32 v42, 4, v42
	v_add_lshl_u32 v65, v42, v58, 2
	s_waitcnt lgkmcnt(0)
	v_cndmask_b32_e32 v41, 0, v41, vcc_lo
	v_cmp_le_u32_e32 vcc_lo, v66, v38
	s_delay_alu instid0(VALU_DEP_2) | instskip(SKIP_3) | instid1(VALU_DEP_1)
	v_add_nc_u32_e32 v39, v39, v41
	ds_bpermute_b32 v41, v65, v39
	s_waitcnt lgkmcnt(0)
	v_cndmask_b32_e32 v38, 0, v41, vcc_lo
	v_dual_mov_b32 v38, 0 :: v_dual_add_nc_u32 v39, v39, v38
	s_branch .LBB869_402
.LBB869_401:                            ;   in Loop: Header=BB869_402 Depth=1
	s_or_b32 exec_lo, exec_lo, s13
	ds_bpermute_b32 v42, v34, v39
	v_and_b32_e32 v41, 0xff, v40
	v_subrev_nc_u32_e32 v37, 32, v37
	s_delay_alu instid0(VALU_DEP_2) | instskip(SKIP_1) | instid1(VALU_DEP_1)
	v_cmp_eq_u16_e32 vcc_lo, 2, v41
	v_and_or_b32 v41, vcc_lo, v47, 0x80000000
	v_ctz_i32_b32_e32 v41, v41
	s_delay_alu instid0(VALU_DEP_1) | instskip(SKIP_3) | instid1(VALU_DEP_2)
	v_cmp_lt_u32_e32 vcc_lo, v58, v41
	s_waitcnt lgkmcnt(0)
	v_cndmask_b32_e32 v42, 0, v42, vcc_lo
	v_cmp_le_u32_e32 vcc_lo, v51, v41
	v_add_nc_u32_e32 v39, v42, v39
	ds_bpermute_b32 v42, v49, v39
	s_waitcnt lgkmcnt(0)
	v_cndmask_b32_e32 v42, 0, v42, vcc_lo
	v_cmp_le_u32_e32 vcc_lo, v61, v41
	s_delay_alu instid0(VALU_DEP_2) | instskip(SKIP_4) | instid1(VALU_DEP_2)
	v_add_nc_u32_e32 v39, v39, v42
	ds_bpermute_b32 v42, v53, v39
	s_waitcnt lgkmcnt(0)
	v_cndmask_b32_e32 v42, 0, v42, vcc_lo
	v_cmp_le_u32_e32 vcc_lo, v64, v41
	v_add_nc_u32_e32 v39, v39, v42
	ds_bpermute_b32 v42, v63, v39
	s_waitcnt lgkmcnt(0)
	v_cndmask_b32_e32 v42, 0, v42, vcc_lo
	v_cmp_le_u32_e32 vcc_lo, v66, v41
	s_delay_alu instid0(VALU_DEP_2) | instskip(SKIP_3) | instid1(VALU_DEP_1)
	v_add_nc_u32_e32 v39, v39, v42
	ds_bpermute_b32 v42, v65, v39
	s_waitcnt lgkmcnt(0)
	v_cndmask_b32_e32 v41, 0, v42, vcc_lo
	v_add3_u32 v39, v41, v62, v39
.LBB869_402:                            ; =>This Loop Header: Depth=1
                                        ;     Child Loop BB869_405 Depth 2
	v_and_b32_e32 v40, 0xff, v40
	s_delay_alu instid0(VALU_DEP_2) | instskip(NEXT) | instid1(VALU_DEP_2)
	v_mov_b32_e32 v62, v39
	v_cmp_ne_u16_e32 vcc_lo, 2, v40
	v_cndmask_b32_e64 v40, 0, 1, vcc_lo
	;;#ASMSTART
	;;#ASMEND
	s_delay_alu instid0(VALU_DEP_1)
	v_cmp_ne_u32_e32 vcc_lo, 0, v40
	s_cmp_lg_u32 vcc_lo, exec_lo
	s_cbranch_scc1 .LBB869_407
; %bb.403:                              ;   in Loop: Header=BB869_402 Depth=1
	v_lshlrev_b64 v[39:40], 3, v[37:38]
	s_mov_b32 s13, exec_lo
	s_delay_alu instid0(VALU_DEP_1) | instskip(NEXT) | instid1(VALU_DEP_2)
	v_add_co_u32 v41, vcc_lo, s22, v39
	v_add_co_ci_u32_e32 v42, vcc_lo, s23, v40, vcc_lo
	global_load_b64 v[39:40], v[41:42], off glc
	s_waitcnt vmcnt(0)
	v_and_b32_e32 v67, 0xff, v40
	s_delay_alu instid0(VALU_DEP_1)
	v_cmpx_eq_u16_e32 0, v67
	s_cbranch_execz .LBB869_401
; %bb.404:                              ;   in Loop: Header=BB869_402 Depth=1
	s_mov_b32 s14, 0
.LBB869_405:                            ;   Parent Loop BB869_402 Depth=1
                                        ; =>  This Inner Loop Header: Depth=2
	global_load_b64 v[39:40], v[41:42], off glc
	s_waitcnt vmcnt(0)
	v_and_b32_e32 v67, 0xff, v40
	s_delay_alu instid0(VALU_DEP_1) | instskip(SKIP_1) | instid1(SALU_CYCLE_1)
	v_cmp_ne_u16_e32 vcc_lo, 0, v67
	s_or_b32 s14, vcc_lo, s14
	s_and_not1_b32 exec_lo, exec_lo, s14
	s_cbranch_execnz .LBB869_405
; %bb.406:                              ;   in Loop: Header=BB869_402 Depth=1
	s_or_b32 exec_lo, exec_lo, s14
	s_branch .LBB869_401
.LBB869_407:                            ;   in Loop: Header=BB869_402 Depth=1
                                        ; implicit-def: $vgpr39
                                        ; implicit-def: $vgpr40
	s_cbranch_execz .LBB869_402
; %bb.408:
	s_and_saveexec_b32 s13, s7
	s_cbranch_execz .LBB869_410
; %bb.409:
	s_add_i32 s14, s30, 32
	s_mov_b32 s15, 0
	v_dual_mov_b32 v38, 2 :: v_dual_add_nc_u32 v37, v62, v33
	s_lshl_b64 s[14:15], s[14:15], 3
	v_mov_b32_e32 v34, 0
	v_add_nc_u32_e64 v39, 0x8400, 0
	s_add_u32 s14, s22, s14
	s_addc_u32 s15, s23, s15
	global_store_b64 v34, v[37:38], s[14:15]
	ds_store_2addr_b32 v39, v33, v62 offset1:2
.LBB869_410:
	s_or_b32 exec_lo, exec_lo, s13
	s_delay_alu instid0(SALU_CYCLE_1)
	s_and_b32 exec_lo, exec_lo, s2
	s_cbranch_execz .LBB869_412
; %bb.411:
	v_mov_b32_e32 v33, 0
	ds_store_b32 v33, v62 offset:60
.LBB869_412:
	s_or_b32 exec_lo, exec_lo, s12
	v_mov_b32_e32 v33, 0
	s_waitcnt lgkmcnt(0)
	s_waitcnt_vscnt null, 0x0
	s_barrier
	buffer_gl0_inv
	v_cndmask_b32_e64 v34, v45, v43, s7
	ds_load_b32 v33, v33 offset:60
	s_waitcnt lgkmcnt(0)
	s_barrier
	buffer_gl0_inv
	v_cndmask_b32_e64 v34, v34, 0, s2
	s_delay_alu instid0(VALU_DEP_1) | instskip(SKIP_1) | instid1(VALU_DEP_2)
	v_add_nc_u32_e32 v53, v33, v34
	v_add_nc_u32_e64 v33, 0x8400, 0
	v_add_nc_u32_e32 v51, v53, v44
	ds_load_2addr_b32 v[33:34], v33 offset1:2
	v_add_nc_u32_e32 v49, v51, v46
	s_delay_alu instid0(VALU_DEP_1) | instskip(NEXT) | instid1(VALU_DEP_1)
	v_add_nc_u32_e32 v47, v49, v48
	v_add_nc_u32_e32 v45, v47, v50
	s_delay_alu instid0(VALU_DEP_1) | instskip(SKIP_2) | instid1(VALU_DEP_2)
	v_add_nc_u32_e32 v43, v45, v52
	s_waitcnt lgkmcnt(0)
	v_readfirstlane_b32 s12, v34
	v_add_nc_u32_e32 v41, v43, v54
	s_delay_alu instid0(VALU_DEP_1)
	v_add_nc_u32_e32 v39, v41, v57
	v_lshrrev_b64 v[37:38], 24, v[35:36]
	s_branch .LBB869_423
.LBB869_413:
                                        ; implicit-def: $vgpr39
                                        ; implicit-def: $vgpr41
                                        ; implicit-def: $vgpr43
                                        ; implicit-def: $vgpr45
                                        ; implicit-def: $vgpr47
                                        ; implicit-def: $vgpr49
                                        ; implicit-def: $vgpr51
                                        ; implicit-def: $vgpr53
                                        ; implicit-def: $sgpr12
                                        ; implicit-def: $vgpr33
	v_lshrrev_b64 v[37:38], 24, v[35:36]
	s_and_b32 vcc_lo, exec_lo, s7
	s_cbranch_vccz .LBB869_423
; %bb.414:
	v_mov_b32_dpp v33, v60 row_shr:1 row_mask:0xf bank_mask:0xf
	s_delay_alu instid0(VALU_DEP_1) | instskip(NEXT) | instid1(VALU_DEP_1)
	v_cndmask_b32_e64 v33, v33, 0, s3
	v_add_nc_u32_e32 v33, v33, v60
	s_delay_alu instid0(VALU_DEP_1) | instskip(NEXT) | instid1(VALU_DEP_1)
	v_mov_b32_dpp v34, v33 row_shr:2 row_mask:0xf bank_mask:0xf
	v_cndmask_b32_e64 v34, 0, v34, s0
	s_delay_alu instid0(VALU_DEP_1) | instskip(NEXT) | instid1(VALU_DEP_1)
	v_add_nc_u32_e32 v33, v33, v34
	v_mov_b32_dpp v34, v33 row_shr:4 row_mask:0xf bank_mask:0xf
	s_delay_alu instid0(VALU_DEP_1) | instskip(NEXT) | instid1(VALU_DEP_1)
	v_cndmask_b32_e64 v34, 0, v34, s4
	v_add_nc_u32_e32 v33, v33, v34
	s_delay_alu instid0(VALU_DEP_1) | instskip(NEXT) | instid1(VALU_DEP_1)
	v_mov_b32_dpp v34, v33 row_shr:8 row_mask:0xf bank_mask:0xf
	v_cndmask_b32_e64 v34, 0, v34, s1
	s_delay_alu instid0(VALU_DEP_1) | instskip(SKIP_3) | instid1(VALU_DEP_1)
	v_add_nc_u32_e32 v33, v33, v34
	ds_swizzle_b32 v34, v33 offset:swizzle(BROADCAST,32,15)
	s_waitcnt lgkmcnt(0)
	v_cndmask_b32_e64 v34, v34, 0, s6
	v_add_nc_u32_e32 v33, v33, v34
	s_and_saveexec_b32 s6, s5
	s_cbranch_execz .LBB869_416
; %bb.415:
	v_lshlrev_b32_e32 v34, 2, v59
	ds_store_b32 v34, v33
.LBB869_416:
	s_or_b32 exec_lo, exec_lo, s6
	s_delay_alu instid0(SALU_CYCLE_1)
	s_mov_b32 s5, exec_lo
	s_waitcnt lgkmcnt(0)
	s_barrier
	buffer_gl0_inv
	v_cmpx_gt_u32_e32 16, v0
	s_cbranch_execz .LBB869_418
; %bb.417:
	v_lshlrev_b32_e32 v34, 2, v0
	ds_load_b32 v38, v34
	s_waitcnt lgkmcnt(0)
	v_mov_b32_dpp v39, v38 row_shr:1 row_mask:0xf bank_mask:0xf
	s_delay_alu instid0(VALU_DEP_1) | instskip(NEXT) | instid1(VALU_DEP_1)
	v_cndmask_b32_e64 v39, v39, 0, s3
	v_add_nc_u32_e32 v38, v39, v38
	s_delay_alu instid0(VALU_DEP_1) | instskip(NEXT) | instid1(VALU_DEP_1)
	v_mov_b32_dpp v39, v38 row_shr:2 row_mask:0xf bank_mask:0xf
	v_cndmask_b32_e64 v39, 0, v39, s0
	s_delay_alu instid0(VALU_DEP_1) | instskip(NEXT) | instid1(VALU_DEP_1)
	v_add_nc_u32_e32 v38, v38, v39
	v_mov_b32_dpp v39, v38 row_shr:4 row_mask:0xf bank_mask:0xf
	s_delay_alu instid0(VALU_DEP_1) | instskip(NEXT) | instid1(VALU_DEP_1)
	v_cndmask_b32_e64 v39, 0, v39, s4
	v_add_nc_u32_e32 v38, v38, v39
	s_delay_alu instid0(VALU_DEP_1) | instskip(NEXT) | instid1(VALU_DEP_1)
	v_mov_b32_dpp v39, v38 row_shr:8 row_mask:0xf bank_mask:0xf
	v_cndmask_b32_e64 v39, 0, v39, s1
	s_delay_alu instid0(VALU_DEP_1)
	v_add_nc_u32_e32 v38, v38, v39
	ds_store_b32 v34, v38
.LBB869_418:
	s_or_b32 exec_lo, exec_lo, s5
	v_mov_b32_e32 v34, 0
	v_mov_b32_e32 v38, 0
	s_mov_b32 s0, exec_lo
	s_waitcnt lgkmcnt(0)
	s_barrier
	buffer_gl0_inv
	v_cmpx_lt_u32_e32 31, v0
	s_cbranch_execz .LBB869_420
; %bb.419:
	v_lshl_add_u32 v38, v59, 2, -4
	ds_load_b32 v38, v38
.LBB869_420:
	s_or_b32 exec_lo, exec_lo, s0
	v_add_nc_u32_e32 v39, -1, v58
	s_waitcnt lgkmcnt(0)
	v_add_nc_u32_e32 v33, v38, v33
	s_mov_b32 s12, 0
	s_delay_alu instid0(VALU_DEP_2) | instskip(SKIP_1) | instid1(VALU_DEP_1)
	v_cmp_gt_i32_e32 vcc_lo, 0, v39
	v_cndmask_b32_e32 v39, v39, v58, vcc_lo
	v_lshlrev_b32_e32 v39, 2, v39
	ds_bpermute_b32 v39, v39, v33
	ds_load_b32 v33, v34 offset:60
	s_and_saveexec_b32 s0, s2
	s_cbranch_execz .LBB869_422
; %bb.421:
	v_mov_b32_e32 v40, 0
	v_mov_b32_e32 v34, 2
	s_waitcnt lgkmcnt(0)
	global_store_b64 v40, v[33:34], s[22:23] offset:256
.LBB869_422:
	s_or_b32 exec_lo, exec_lo, s0
	v_cmp_eq_u32_e32 vcc_lo, 0, v58
	s_waitcnt lgkmcnt(0)
	s_waitcnt_vscnt null, 0x0
	s_barrier
	buffer_gl0_inv
	v_cndmask_b32_e32 v34, v39, v38, vcc_lo
	s_delay_alu instid0(VALU_DEP_1) | instskip(NEXT) | instid1(VALU_DEP_1)
	v_cndmask_b32_e64 v53, v34, 0, s2
	v_add_nc_u32_e32 v51, v53, v44
	s_delay_alu instid0(VALU_DEP_1) | instskip(NEXT) | instid1(VALU_DEP_1)
	v_add_nc_u32_e32 v49, v51, v46
	v_add_nc_u32_e32 v47, v49, v48
	s_delay_alu instid0(VALU_DEP_1) | instskip(NEXT) | instid1(VALU_DEP_1)
	v_add_nc_u32_e32 v45, v47, v50
	;; [unrolled: 3-line block ×3, first 2 shown]
	v_add_nc_u32_e32 v39, v41, v57
.LBB869_423:
	v_add_nc_u32_e32 v59, s12, v33
	v_cmp_gt_u32_e64 s0, 0x201, v33
	v_lshrrev_b32_e32 v58, 8, v35
	v_lshrrev_b32_e32 v57, 16, v35
	;; [unrolled: 1-line block ×4, first 2 shown]
	v_cmp_lt_u32_e64 s1, v53, v59
	s_and_b32 vcc_lo, exec_lo, s0
	s_mov_b32 s3, -1
	s_cbranch_vccz .LBB869_449
; %bb.424:
	s_delay_alu instid0(VALU_DEP_1) | instskip(NEXT) | instid1(SALU_CYCLE_1)
	s_or_b32 s3, s29, s1
	s_and_saveexec_b32 s1, s3
	s_cbranch_execz .LBB869_427
; %bb.425:
	v_and_b32_e32 v40, 1, v35
	s_delay_alu instid0(VALU_DEP_1)
	v_cmp_eq_u32_e32 vcc_lo, 1, v40
	s_and_b32 exec_lo, exec_lo, vcc_lo
	s_cbranch_execz .LBB869_427
; %bb.426:
	v_mov_b32_e32 v54, 0
	s_lshl_b64 s[4:5], s[10:11], 3
	s_delay_alu instid0(SALU_CYCLE_1) | instskip(SKIP_1) | instid1(VALU_DEP_1)
	s_add_u32 s3, s16, s4
	s_addc_u32 s4, s17, s5
	v_lshlrev_b64 v[60:61], 3, v[53:54]
	s_delay_alu instid0(VALU_DEP_1) | instskip(NEXT) | instid1(VALU_DEP_2)
	v_add_co_u32 v60, vcc_lo, s3, v60
	v_add_co_ci_u32_e32 v61, vcc_lo, s4, v61, vcc_lo
	global_store_b64 v[60:61], v[29:30], off
.LBB869_427:
	s_or_b32 exec_lo, exec_lo, s1
	v_cmp_lt_u32_e32 vcc_lo, v51, v59
	s_or_b32 s3, s29, vcc_lo
	s_delay_alu instid0(SALU_CYCLE_1)
	s_and_saveexec_b32 s1, s3
	s_cbranch_execz .LBB869_430
; %bb.428:
	v_and_b32_e32 v40, 1, v58
	s_delay_alu instid0(VALU_DEP_1)
	v_cmp_eq_u32_e32 vcc_lo, 1, v40
	s_and_b32 exec_lo, exec_lo, vcc_lo
	s_cbranch_execz .LBB869_430
; %bb.429:
	v_mov_b32_e32 v52, 0
	s_lshl_b64 s[4:5], s[10:11], 3
	s_delay_alu instid0(SALU_CYCLE_1) | instskip(SKIP_1) | instid1(VALU_DEP_1)
	s_add_u32 s3, s16, s4
	s_addc_u32 s4, s17, s5
	v_lshlrev_b64 v[60:61], 3, v[51:52]
	s_delay_alu instid0(VALU_DEP_1) | instskip(NEXT) | instid1(VALU_DEP_2)
	v_add_co_u32 v60, vcc_lo, s3, v60
	v_add_co_ci_u32_e32 v61, vcc_lo, s4, v61, vcc_lo
	global_store_b64 v[60:61], v[31:32], off
.LBB869_430:
	s_or_b32 exec_lo, exec_lo, s1
	v_cmp_lt_u32_e32 vcc_lo, v49, v59
	s_or_b32 s3, s29, vcc_lo
	s_delay_alu instid0(SALU_CYCLE_1)
	;; [unrolled: 24-line block ×7, first 2 shown]
	s_and_saveexec_b32 s1, s3
	s_cbranch_execz .LBB869_448
; %bb.446:
	v_and_b32_e32 v40, 1, v56
	s_delay_alu instid0(VALU_DEP_1)
	v_cmp_eq_u32_e32 vcc_lo, 1, v40
	s_and_b32 exec_lo, exec_lo, vcc_lo
	s_cbranch_execz .LBB869_448
; %bb.447:
	v_mov_b32_e32 v40, 0
	s_lshl_b64 s[4:5], s[10:11], 3
	s_delay_alu instid0(SALU_CYCLE_1) | instskip(SKIP_1) | instid1(VALU_DEP_1)
	s_add_u32 s3, s16, s4
	s_addc_u32 s4, s17, s5
	v_lshlrev_b64 v[60:61], 3, v[39:40]
	s_delay_alu instid0(VALU_DEP_1) | instskip(NEXT) | instid1(VALU_DEP_2)
	v_add_co_u32 v60, vcc_lo, s3, v60
	v_add_co_ci_u32_e32 v61, vcc_lo, s4, v61, vcc_lo
	global_store_b64 v[60:61], v[19:20], off
.LBB869_448:
	s_or_b32 exec_lo, exec_lo, s1
	s_mov_b32 s3, 0
.LBB869_449:
	v_and_b32_e32 v35, 1, v35
	s_and_b32 vcc_lo, exec_lo, s3
	s_delay_alu instid0(VALU_DEP_1)
	v_cmp_eq_u32_e64 s1, 1, v35
	s_cbranch_vccz .LBB869_470
; %bb.450:
	s_delay_alu instid0(VALU_DEP_1)
	s_and_saveexec_b32 s3, s1
	s_cbranch_execz .LBB869_452
; %bb.451:
	v_subrev_nc_u32_e32 v40, s12, v53
	s_delay_alu instid0(VALU_DEP_1)
	v_lshlrev_b32_e32 v40, 3, v40
	ds_store_b64 v40, v[29:30]
.LBB869_452:
	s_or_b32 exec_lo, exec_lo, s3
	v_and_b32_e32 v29, 1, v58
	s_mov_b32 s1, exec_lo
	s_delay_alu instid0(VALU_DEP_1)
	v_cmpx_eq_u32_e32 1, v29
	s_cbranch_execz .LBB869_454
; %bb.453:
	v_subrev_nc_u32_e32 v29, s12, v51
	s_delay_alu instid0(VALU_DEP_1)
	v_lshlrev_b32_e32 v29, 3, v29
	ds_store_b64 v29, v[31:32]
.LBB869_454:
	s_or_b32 exec_lo, exec_lo, s1
	v_and_b32_e32 v29, 1, v57
	s_mov_b32 s1, exec_lo
	s_delay_alu instid0(VALU_DEP_1)
	v_cmpx_eq_u32_e32 1, v29
	s_cbranch_execz .LBB869_456
; %bb.455:
	v_subrev_nc_u32_e32 v29, s12, v49
	s_delay_alu instid0(VALU_DEP_1)
	v_lshlrev_b32_e32 v29, 3, v29
	ds_store_b64 v29, v[25:26]
.LBB869_456:
	s_or_b32 exec_lo, exec_lo, s1
	v_and_b32_e32 v25, 1, v37
	s_mov_b32 s1, exec_lo
	s_delay_alu instid0(VALU_DEP_1)
	v_cmpx_eq_u32_e32 1, v25
	s_cbranch_execz .LBB869_458
; %bb.457:
	v_subrev_nc_u32_e32 v25, s12, v47
	s_delay_alu instid0(VALU_DEP_1)
	v_lshlrev_b32_e32 v25, 3, v25
	ds_store_b64 v25, v[27:28]
.LBB869_458:
	s_or_b32 exec_lo, exec_lo, s1
	v_and_b32_e32 v25, 1, v36
	s_mov_b32 s1, exec_lo
	s_delay_alu instid0(VALU_DEP_1)
	v_cmpx_eq_u32_e32 1, v25
	s_cbranch_execz .LBB869_460
; %bb.459:
	v_subrev_nc_u32_e32 v25, s12, v45
	s_delay_alu instid0(VALU_DEP_1)
	v_lshlrev_b32_e32 v25, 3, v25
	ds_store_b64 v25, v[21:22]
.LBB869_460:
	s_or_b32 exec_lo, exec_lo, s1
	v_and_b32_e32 v21, 1, v38
	s_mov_b32 s1, exec_lo
	s_delay_alu instid0(VALU_DEP_1)
	v_cmpx_eq_u32_e32 1, v21
	s_cbranch_execz .LBB869_462
; %bb.461:
	v_subrev_nc_u32_e32 v21, s12, v43
	s_delay_alu instid0(VALU_DEP_1)
	v_lshlrev_b32_e32 v21, 3, v21
	ds_store_b64 v21, v[23:24]
.LBB869_462:
	s_or_b32 exec_lo, exec_lo, s1
	v_and_b32_e32 v21, 1, v34
	s_mov_b32 s1, exec_lo
	s_delay_alu instid0(VALU_DEP_1)
	v_cmpx_eq_u32_e32 1, v21
	s_cbranch_execz .LBB869_464
; %bb.463:
	v_subrev_nc_u32_e32 v21, s12, v41
	s_delay_alu instid0(VALU_DEP_1)
	v_lshlrev_b32_e32 v21, 3, v21
	ds_store_b64 v21, v[17:18]
.LBB869_464:
	s_or_b32 exec_lo, exec_lo, s1
	v_and_b32_e32 v17, 1, v56
	s_mov_b32 s1, exec_lo
	s_delay_alu instid0(VALU_DEP_1)
	v_cmpx_eq_u32_e32 1, v17
	s_cbranch_execz .LBB869_466
; %bb.465:
	v_subrev_nc_u32_e32 v17, s12, v39
	s_delay_alu instid0(VALU_DEP_1)
	v_lshlrev_b32_e32 v17, 3, v17
	ds_store_b64 v17, v[19:20]
.LBB869_466:
	s_or_b32 exec_lo, exec_lo, s1
	s_delay_alu instid0(SALU_CYCLE_1)
	s_mov_b32 s3, exec_lo
	s_waitcnt lgkmcnt(0)
	s_waitcnt_vscnt null, 0x0
	s_barrier
	buffer_gl0_inv
	v_cmpx_lt_u32_e64 v0, v33
	s_cbranch_execz .LBB869_469
; %bb.467:
	s_mov_b32 s13, 0
	s_lshl_b64 s[4:5], s[10:11], 3
	s_lshl_b64 s[6:7], s[12:13], 3
	v_dual_mov_b32 v19, v55 :: v_dual_mov_b32 v20, v0
	s_add_u32 s1, s4, s6
	s_addc_u32 s4, s5, s7
	s_add_u32 s1, s16, s1
	s_addc_u32 s4, s17, s4
	v_add_co_u32 v17, s1, s1, v55
	s_delay_alu instid0(VALU_DEP_1)
	v_add_co_ci_u32_e64 v18, null, s4, 0, s1
	.p2align	6
.LBB869_468:                            ; =>This Inner Loop Header: Depth=1
	ds_load_b64 v[21:22], v19
	v_add_nc_u32_e32 v20, 0x200, v20
	v_add_nc_u32_e32 v19, 0x1000, v19
	s_delay_alu instid0(VALU_DEP_2) | instskip(SKIP_4) | instid1(VALU_DEP_1)
	v_cmp_ge_u32_e32 vcc_lo, v20, v33
	s_or_b32 s13, vcc_lo, s13
	s_waitcnt lgkmcnt(0)
	global_store_b64 v[17:18], v[21:22], off
	v_add_co_u32 v17, s1, 0x1000, v17
	v_add_co_ci_u32_e64 v18, s1, 0, v18, s1
	s_and_not1_b32 exec_lo, exec_lo, s13
	s_cbranch_execnz .LBB869_468
.LBB869_469:
	s_or_b32 exec_lo, exec_lo, s3
.LBB869_470:
	s_delay_alu instid0(SALU_CYCLE_1)
	s_and_b32 vcc_lo, exec_lo, s0
	s_mov_b32 s0, -1
	s_waitcnt_vscnt null, 0x0
	s_barrier
	buffer_gl0_inv
	s_cbranch_vccz .LBB869_498
; %bb.471:
	v_cmp_lt_u32_e32 vcc_lo, v53, v59
	s_or_b32 s1, s29, vcc_lo
	s_delay_alu instid0(SALU_CYCLE_1)
	s_and_saveexec_b32 s0, s1
	s_cbranch_execz .LBB869_474
; %bb.472:
	v_cmp_eq_u32_e32 vcc_lo, 1, v35
	s_and_b32 exec_lo, exec_lo, vcc_lo
	s_cbranch_execz .LBB869_474
; %bb.473:
	v_mov_b32_e32 v54, 0
	s_lshl_b64 s[4:5], s[10:11], 3
	s_delay_alu instid0(SALU_CYCLE_1) | instskip(SKIP_1) | instid1(VALU_DEP_1)
	s_add_u32 s1, s18, s4
	s_addc_u32 s3, s19, s5
	v_lshlrev_b64 v[17:18], 3, v[53:54]
	s_delay_alu instid0(VALU_DEP_1) | instskip(NEXT) | instid1(VALU_DEP_2)
	v_add_co_u32 v17, vcc_lo, s1, v17
	v_add_co_ci_u32_e32 v18, vcc_lo, s3, v18, vcc_lo
	global_store_b64 v[17:18], v[13:14], off
.LBB869_474:
	s_or_b32 exec_lo, exec_lo, s0
	v_cmp_lt_u32_e32 vcc_lo, v51, v59
	s_or_b32 s1, s29, vcc_lo
	s_delay_alu instid0(SALU_CYCLE_1)
	s_and_saveexec_b32 s0, s1
	s_cbranch_execz .LBB869_477
; %bb.475:
	v_and_b32_e32 v17, 1, v58
	s_delay_alu instid0(VALU_DEP_1)
	v_cmp_eq_u32_e32 vcc_lo, 1, v17
	s_and_b32 exec_lo, exec_lo, vcc_lo
	s_cbranch_execz .LBB869_477
; %bb.476:
	v_mov_b32_e32 v52, 0
	s_lshl_b64 s[4:5], s[10:11], 3
	s_delay_alu instid0(SALU_CYCLE_1) | instskip(SKIP_1) | instid1(VALU_DEP_1)
	s_add_u32 s1, s18, s4
	s_addc_u32 s3, s19, s5
	v_lshlrev_b64 v[17:18], 3, v[51:52]
	s_delay_alu instid0(VALU_DEP_1) | instskip(NEXT) | instid1(VALU_DEP_2)
	v_add_co_u32 v17, vcc_lo, s1, v17
	v_add_co_ci_u32_e32 v18, vcc_lo, s3, v18, vcc_lo
	global_store_b64 v[17:18], v[15:16], off
.LBB869_477:
	s_or_b32 exec_lo, exec_lo, s0
	v_cmp_lt_u32_e32 vcc_lo, v49, v59
	s_or_b32 s1, s29, vcc_lo
	s_delay_alu instid0(SALU_CYCLE_1)
	s_and_saveexec_b32 s0, s1
	s_cbranch_execz .LBB869_480
; %bb.478:
	v_and_b32_e32 v17, 1, v57
	s_delay_alu instid0(VALU_DEP_1)
	v_cmp_eq_u32_e32 vcc_lo, 1, v17
	s_and_b32 exec_lo, exec_lo, vcc_lo
	s_cbranch_execz .LBB869_480
; %bb.479:
	v_mov_b32_e32 v50, 0
	s_lshl_b64 s[4:5], s[10:11], 3
	s_delay_alu instid0(SALU_CYCLE_1) | instskip(SKIP_1) | instid1(VALU_DEP_1)
	s_add_u32 s1, s18, s4
	s_addc_u32 s3, s19, s5
	v_lshlrev_b64 v[17:18], 3, v[49:50]
	s_delay_alu instid0(VALU_DEP_1) | instskip(NEXT) | instid1(VALU_DEP_2)
	v_add_co_u32 v17, vcc_lo, s1, v17
	v_add_co_ci_u32_e32 v18, vcc_lo, s3, v18, vcc_lo
	global_store_b64 v[17:18], v[9:10], off
.LBB869_480:
	;; [unrolled: 24-line block ×7, first 2 shown]
	s_or_b32 exec_lo, exec_lo, s0
.LBB869_496:
	s_and_b32 s0, s2, s28
	s_delay_alu instid0(SALU_CYCLE_1)
	s_and_saveexec_b32 s1, s0
	s_cbranch_execz .LBB869_519
.LBB869_497:
	v_add_co_u32 v0, s0, s10, v33
	s_delay_alu instid0(VALU_DEP_1) | instskip(SKIP_1) | instid1(VALU_DEP_3)
	v_add_co_ci_u32_e64 v1, null, s11, 0, s0
	v_mov_b32_e32 v2, 0
	v_add_co_u32 v0, vcc_lo, v0, s12
	s_delay_alu instid0(VALU_DEP_3)
	v_add_co_ci_u32_e32 v1, vcc_lo, 0, v1, vcc_lo
	global_store_b64 v2, v[0:1], s[8:9]
	s_nop 0
	s_sendmsg sendmsg(MSG_DEALLOC_VGPRS)
	s_endpgm
.LBB869_498:
	s_and_b32 vcc_lo, exec_lo, s0
	s_cbranch_vccz .LBB869_496
; %bb.499:
	s_mov_b32 s0, exec_lo
	v_cmpx_eq_u32_e32 1, v35
	s_cbranch_execz .LBB869_501
; %bb.500:
	v_subrev_nc_u32_e32 v17, s12, v53
	s_delay_alu instid0(VALU_DEP_1)
	v_lshlrev_b32_e32 v17, 3, v17
	ds_store_b64 v17, v[13:14]
.LBB869_501:
	s_or_b32 exec_lo, exec_lo, s0
	v_and_b32_e32 v13, 1, v58
	s_mov_b32 s0, exec_lo
	s_delay_alu instid0(VALU_DEP_1)
	v_cmpx_eq_u32_e32 1, v13
	s_cbranch_execz .LBB869_503
; %bb.502:
	v_subrev_nc_u32_e32 v13, s12, v51
	s_delay_alu instid0(VALU_DEP_1)
	v_lshlrev_b32_e32 v13, 3, v13
	ds_store_b64 v13, v[15:16]
.LBB869_503:
	s_or_b32 exec_lo, exec_lo, s0
	v_and_b32_e32 v13, 1, v57
	s_mov_b32 s0, exec_lo
	s_delay_alu instid0(VALU_DEP_1)
	;; [unrolled: 12-line block ×7, first 2 shown]
	v_cmpx_eq_u32_e32 1, v1
	s_cbranch_execz .LBB869_515
; %bb.514:
	v_subrev_nc_u32_e32 v1, s12, v39
	s_delay_alu instid0(VALU_DEP_1)
	v_lshlrev_b32_e32 v1, 3, v1
	ds_store_b64 v1, v[3:4]
.LBB869_515:
	s_or_b32 exec_lo, exec_lo, s0
	s_delay_alu instid0(SALU_CYCLE_1)
	s_mov_b32 s1, exec_lo
	s_waitcnt lgkmcnt(0)
	s_waitcnt_vscnt null, 0x0
	s_barrier
	buffer_gl0_inv
	v_cmpx_lt_u32_e64 v0, v33
	s_cbranch_execz .LBB869_518
; %bb.516:
	s_mov_b32 s13, 0
	s_lshl_b64 s[4:5], s[10:11], 3
	s_lshl_b64 s[6:7], s[12:13], 3
	s_delay_alu instid0(SALU_CYCLE_1) | instskip(SKIP_4) | instid1(VALU_DEP_1)
	s_add_u32 s0, s4, s6
	s_addc_u32 s3, s5, s7
	s_add_u32 s0, s18, s0
	s_addc_u32 s3, s19, s3
	v_add_co_u32 v1, s0, s0, v55
	v_add_co_ci_u32_e64 v2, null, s3, 0, s0
	.p2align	6
.LBB869_517:                            ; =>This Inner Loop Header: Depth=1
	ds_load_b64 v[3:4], v55
	v_add_nc_u32_e32 v0, 0x200, v0
	v_add_nc_u32_e32 v55, 0x1000, v55
	s_delay_alu instid0(VALU_DEP_2) | instskip(SKIP_4) | instid1(VALU_DEP_1)
	v_cmp_ge_u32_e32 vcc_lo, v0, v33
	s_or_b32 s13, vcc_lo, s13
	s_waitcnt lgkmcnt(0)
	global_store_b64 v[1:2], v[3:4], off
	v_add_co_u32 v1, s0, 0x1000, v1
	v_add_co_ci_u32_e64 v2, s0, 0, v2, s0
	s_and_not1_b32 exec_lo, exec_lo, s13
	s_cbranch_execnz .LBB869_517
.LBB869_518:
	s_or_b32 exec_lo, exec_lo, s1
	s_and_b32 s0, s2, s28
	s_delay_alu instid0(SALU_CYCLE_1)
	s_and_saveexec_b32 s1, s0
	s_cbranch_execnz .LBB869_497
.LBB869_519:
	s_nop 0
	s_sendmsg sendmsg(MSG_DEALLOC_VGPRS)
	s_endpgm
	.section	.rodata,"a",@progbits
	.p2align	6, 0x0
	.amdhsa_kernel _ZN7rocprim17ROCPRIM_400000_NS6detail17trampoline_kernelINS0_14default_configENS1_25partition_config_selectorILNS1_17partition_subalgoE9EllbEEZZNS1_14partition_implILS5_9ELb0ES3_jPlS8_PNS0_10empty_typeENS0_5tupleIJS8_S9_EEENSB_IJS8_SA_EEENS0_18inequality_wrapperIZN2at6native12_GLOBAL__N_124unique_dim_cuda_templateIdEESt5tupleIJNSF_6TensorESK_SK_EERKSK_lbbbEUlllE0_EEPmJS9_EEE10hipError_tPvRmT3_T4_T5_T6_T7_T9_mT8_P12ihipStream_tbDpT10_ENKUlT_T0_E_clISt17integral_constantIbLb0EES19_IbLb1EEEEDaS15_S16_EUlS15_E_NS1_11comp_targetILNS1_3genE9ELNS1_11target_archE1100ELNS1_3gpuE3ELNS1_3repE0EEENS1_30default_config_static_selectorELNS0_4arch9wavefront6targetE0EEEvT1_
		.amdhsa_group_segment_fixed_size 33804
		.amdhsa_private_segment_fixed_size 0
		.amdhsa_kernarg_size 136
		.amdhsa_user_sgpr_count 15
		.amdhsa_user_sgpr_dispatch_ptr 0
		.amdhsa_user_sgpr_queue_ptr 0
		.amdhsa_user_sgpr_kernarg_segment_ptr 1
		.amdhsa_user_sgpr_dispatch_id 0
		.amdhsa_user_sgpr_private_segment_size 0
		.amdhsa_wavefront_size32 1
		.amdhsa_uses_dynamic_stack 0
		.amdhsa_enable_private_segment 0
		.amdhsa_system_sgpr_workgroup_id_x 1
		.amdhsa_system_sgpr_workgroup_id_y 0
		.amdhsa_system_sgpr_workgroup_id_z 0
		.amdhsa_system_sgpr_workgroup_info 0
		.amdhsa_system_vgpr_workitem_id 0
		.amdhsa_next_free_vgpr 68
		.amdhsa_next_free_sgpr 40
		.amdhsa_reserve_vcc 1
		.amdhsa_float_round_mode_32 0
		.amdhsa_float_round_mode_16_64 0
		.amdhsa_float_denorm_mode_32 3
		.amdhsa_float_denorm_mode_16_64 3
		.amdhsa_dx10_clamp 1
		.amdhsa_ieee_mode 1
		.amdhsa_fp16_overflow 0
		.amdhsa_workgroup_processor_mode 1
		.amdhsa_memory_ordered 1
		.amdhsa_forward_progress 0
		.amdhsa_shared_vgpr_count 0
		.amdhsa_exception_fp_ieee_invalid_op 0
		.amdhsa_exception_fp_denorm_src 0
		.amdhsa_exception_fp_ieee_div_zero 0
		.amdhsa_exception_fp_ieee_overflow 0
		.amdhsa_exception_fp_ieee_underflow 0
		.amdhsa_exception_fp_ieee_inexact 0
		.amdhsa_exception_int_div_zero 0
	.end_amdhsa_kernel
	.section	.text._ZN7rocprim17ROCPRIM_400000_NS6detail17trampoline_kernelINS0_14default_configENS1_25partition_config_selectorILNS1_17partition_subalgoE9EllbEEZZNS1_14partition_implILS5_9ELb0ES3_jPlS8_PNS0_10empty_typeENS0_5tupleIJS8_S9_EEENSB_IJS8_SA_EEENS0_18inequality_wrapperIZN2at6native12_GLOBAL__N_124unique_dim_cuda_templateIdEESt5tupleIJNSF_6TensorESK_SK_EERKSK_lbbbEUlllE0_EEPmJS9_EEE10hipError_tPvRmT3_T4_T5_T6_T7_T9_mT8_P12ihipStream_tbDpT10_ENKUlT_T0_E_clISt17integral_constantIbLb0EES19_IbLb1EEEEDaS15_S16_EUlS15_E_NS1_11comp_targetILNS1_3genE9ELNS1_11target_archE1100ELNS1_3gpuE3ELNS1_3repE0EEENS1_30default_config_static_selectorELNS0_4arch9wavefront6targetE0EEEvT1_,"axG",@progbits,_ZN7rocprim17ROCPRIM_400000_NS6detail17trampoline_kernelINS0_14default_configENS1_25partition_config_selectorILNS1_17partition_subalgoE9EllbEEZZNS1_14partition_implILS5_9ELb0ES3_jPlS8_PNS0_10empty_typeENS0_5tupleIJS8_S9_EEENSB_IJS8_SA_EEENS0_18inequality_wrapperIZN2at6native12_GLOBAL__N_124unique_dim_cuda_templateIdEESt5tupleIJNSF_6TensorESK_SK_EERKSK_lbbbEUlllE0_EEPmJS9_EEE10hipError_tPvRmT3_T4_T5_T6_T7_T9_mT8_P12ihipStream_tbDpT10_ENKUlT_T0_E_clISt17integral_constantIbLb0EES19_IbLb1EEEEDaS15_S16_EUlS15_E_NS1_11comp_targetILNS1_3genE9ELNS1_11target_archE1100ELNS1_3gpuE3ELNS1_3repE0EEENS1_30default_config_static_selectorELNS0_4arch9wavefront6targetE0EEEvT1_,comdat
.Lfunc_end869:
	.size	_ZN7rocprim17ROCPRIM_400000_NS6detail17trampoline_kernelINS0_14default_configENS1_25partition_config_selectorILNS1_17partition_subalgoE9EllbEEZZNS1_14partition_implILS5_9ELb0ES3_jPlS8_PNS0_10empty_typeENS0_5tupleIJS8_S9_EEENSB_IJS8_SA_EEENS0_18inequality_wrapperIZN2at6native12_GLOBAL__N_124unique_dim_cuda_templateIdEESt5tupleIJNSF_6TensorESK_SK_EERKSK_lbbbEUlllE0_EEPmJS9_EEE10hipError_tPvRmT3_T4_T5_T6_T7_T9_mT8_P12ihipStream_tbDpT10_ENKUlT_T0_E_clISt17integral_constantIbLb0EES19_IbLb1EEEEDaS15_S16_EUlS15_E_NS1_11comp_targetILNS1_3genE9ELNS1_11target_archE1100ELNS1_3gpuE3ELNS1_3repE0EEENS1_30default_config_static_selectorELNS0_4arch9wavefront6targetE0EEEvT1_, .Lfunc_end869-_ZN7rocprim17ROCPRIM_400000_NS6detail17trampoline_kernelINS0_14default_configENS1_25partition_config_selectorILNS1_17partition_subalgoE9EllbEEZZNS1_14partition_implILS5_9ELb0ES3_jPlS8_PNS0_10empty_typeENS0_5tupleIJS8_S9_EEENSB_IJS8_SA_EEENS0_18inequality_wrapperIZN2at6native12_GLOBAL__N_124unique_dim_cuda_templateIdEESt5tupleIJNSF_6TensorESK_SK_EERKSK_lbbbEUlllE0_EEPmJS9_EEE10hipError_tPvRmT3_T4_T5_T6_T7_T9_mT8_P12ihipStream_tbDpT10_ENKUlT_T0_E_clISt17integral_constantIbLb0EES19_IbLb1EEEEDaS15_S16_EUlS15_E_NS1_11comp_targetILNS1_3genE9ELNS1_11target_archE1100ELNS1_3gpuE3ELNS1_3repE0EEENS1_30default_config_static_selectorELNS0_4arch9wavefront6targetE0EEEvT1_
                                        ; -- End function
	.section	.AMDGPU.csdata,"",@progbits
; Kernel info:
; codeLenInByte = 20632
; NumSgprs: 42
; NumVgprs: 68
; ScratchSize: 0
; MemoryBound: 1
; FloatMode: 240
; IeeeMode: 1
; LDSByteSize: 33804 bytes/workgroup (compile time only)
; SGPRBlocks: 5
; VGPRBlocks: 8
; NumSGPRsForWavesPerEU: 42
; NumVGPRsForWavesPerEU: 68
; Occupancy: 12
; WaveLimiterHint : 1
; COMPUTE_PGM_RSRC2:SCRATCH_EN: 0
; COMPUTE_PGM_RSRC2:USER_SGPR: 15
; COMPUTE_PGM_RSRC2:TRAP_HANDLER: 0
; COMPUTE_PGM_RSRC2:TGID_X_EN: 1
; COMPUTE_PGM_RSRC2:TGID_Y_EN: 0
; COMPUTE_PGM_RSRC2:TGID_Z_EN: 0
; COMPUTE_PGM_RSRC2:TIDIG_COMP_CNT: 0
	.section	.text._ZN7rocprim17ROCPRIM_400000_NS6detail17trampoline_kernelINS0_14default_configENS1_25partition_config_selectorILNS1_17partition_subalgoE9EllbEEZZNS1_14partition_implILS5_9ELb0ES3_jPlS8_PNS0_10empty_typeENS0_5tupleIJS8_S9_EEENSB_IJS8_SA_EEENS0_18inequality_wrapperIZN2at6native12_GLOBAL__N_124unique_dim_cuda_templateIdEESt5tupleIJNSF_6TensorESK_SK_EERKSK_lbbbEUlllE0_EEPmJS9_EEE10hipError_tPvRmT3_T4_T5_T6_T7_T9_mT8_P12ihipStream_tbDpT10_ENKUlT_T0_E_clISt17integral_constantIbLb0EES19_IbLb1EEEEDaS15_S16_EUlS15_E_NS1_11comp_targetILNS1_3genE8ELNS1_11target_archE1030ELNS1_3gpuE2ELNS1_3repE0EEENS1_30default_config_static_selectorELNS0_4arch9wavefront6targetE0EEEvT1_,"axG",@progbits,_ZN7rocprim17ROCPRIM_400000_NS6detail17trampoline_kernelINS0_14default_configENS1_25partition_config_selectorILNS1_17partition_subalgoE9EllbEEZZNS1_14partition_implILS5_9ELb0ES3_jPlS8_PNS0_10empty_typeENS0_5tupleIJS8_S9_EEENSB_IJS8_SA_EEENS0_18inequality_wrapperIZN2at6native12_GLOBAL__N_124unique_dim_cuda_templateIdEESt5tupleIJNSF_6TensorESK_SK_EERKSK_lbbbEUlllE0_EEPmJS9_EEE10hipError_tPvRmT3_T4_T5_T6_T7_T9_mT8_P12ihipStream_tbDpT10_ENKUlT_T0_E_clISt17integral_constantIbLb0EES19_IbLb1EEEEDaS15_S16_EUlS15_E_NS1_11comp_targetILNS1_3genE8ELNS1_11target_archE1030ELNS1_3gpuE2ELNS1_3repE0EEENS1_30default_config_static_selectorELNS0_4arch9wavefront6targetE0EEEvT1_,comdat
	.globl	_ZN7rocprim17ROCPRIM_400000_NS6detail17trampoline_kernelINS0_14default_configENS1_25partition_config_selectorILNS1_17partition_subalgoE9EllbEEZZNS1_14partition_implILS5_9ELb0ES3_jPlS8_PNS0_10empty_typeENS0_5tupleIJS8_S9_EEENSB_IJS8_SA_EEENS0_18inequality_wrapperIZN2at6native12_GLOBAL__N_124unique_dim_cuda_templateIdEESt5tupleIJNSF_6TensorESK_SK_EERKSK_lbbbEUlllE0_EEPmJS9_EEE10hipError_tPvRmT3_T4_T5_T6_T7_T9_mT8_P12ihipStream_tbDpT10_ENKUlT_T0_E_clISt17integral_constantIbLb0EES19_IbLb1EEEEDaS15_S16_EUlS15_E_NS1_11comp_targetILNS1_3genE8ELNS1_11target_archE1030ELNS1_3gpuE2ELNS1_3repE0EEENS1_30default_config_static_selectorELNS0_4arch9wavefront6targetE0EEEvT1_ ; -- Begin function _ZN7rocprim17ROCPRIM_400000_NS6detail17trampoline_kernelINS0_14default_configENS1_25partition_config_selectorILNS1_17partition_subalgoE9EllbEEZZNS1_14partition_implILS5_9ELb0ES3_jPlS8_PNS0_10empty_typeENS0_5tupleIJS8_S9_EEENSB_IJS8_SA_EEENS0_18inequality_wrapperIZN2at6native12_GLOBAL__N_124unique_dim_cuda_templateIdEESt5tupleIJNSF_6TensorESK_SK_EERKSK_lbbbEUlllE0_EEPmJS9_EEE10hipError_tPvRmT3_T4_T5_T6_T7_T9_mT8_P12ihipStream_tbDpT10_ENKUlT_T0_E_clISt17integral_constantIbLb0EES19_IbLb1EEEEDaS15_S16_EUlS15_E_NS1_11comp_targetILNS1_3genE8ELNS1_11target_archE1030ELNS1_3gpuE2ELNS1_3repE0EEENS1_30default_config_static_selectorELNS0_4arch9wavefront6targetE0EEEvT1_
	.p2align	8
	.type	_ZN7rocprim17ROCPRIM_400000_NS6detail17trampoline_kernelINS0_14default_configENS1_25partition_config_selectorILNS1_17partition_subalgoE9EllbEEZZNS1_14partition_implILS5_9ELb0ES3_jPlS8_PNS0_10empty_typeENS0_5tupleIJS8_S9_EEENSB_IJS8_SA_EEENS0_18inequality_wrapperIZN2at6native12_GLOBAL__N_124unique_dim_cuda_templateIdEESt5tupleIJNSF_6TensorESK_SK_EERKSK_lbbbEUlllE0_EEPmJS9_EEE10hipError_tPvRmT3_T4_T5_T6_T7_T9_mT8_P12ihipStream_tbDpT10_ENKUlT_T0_E_clISt17integral_constantIbLb0EES19_IbLb1EEEEDaS15_S16_EUlS15_E_NS1_11comp_targetILNS1_3genE8ELNS1_11target_archE1030ELNS1_3gpuE2ELNS1_3repE0EEENS1_30default_config_static_selectorELNS0_4arch9wavefront6targetE0EEEvT1_,@function
_ZN7rocprim17ROCPRIM_400000_NS6detail17trampoline_kernelINS0_14default_configENS1_25partition_config_selectorILNS1_17partition_subalgoE9EllbEEZZNS1_14partition_implILS5_9ELb0ES3_jPlS8_PNS0_10empty_typeENS0_5tupleIJS8_S9_EEENSB_IJS8_SA_EEENS0_18inequality_wrapperIZN2at6native12_GLOBAL__N_124unique_dim_cuda_templateIdEESt5tupleIJNSF_6TensorESK_SK_EERKSK_lbbbEUlllE0_EEPmJS9_EEE10hipError_tPvRmT3_T4_T5_T6_T7_T9_mT8_P12ihipStream_tbDpT10_ENKUlT_T0_E_clISt17integral_constantIbLb0EES19_IbLb1EEEEDaS15_S16_EUlS15_E_NS1_11comp_targetILNS1_3genE8ELNS1_11target_archE1030ELNS1_3gpuE2ELNS1_3repE0EEENS1_30default_config_static_selectorELNS0_4arch9wavefront6targetE0EEEvT1_: ; @_ZN7rocprim17ROCPRIM_400000_NS6detail17trampoline_kernelINS0_14default_configENS1_25partition_config_selectorILNS1_17partition_subalgoE9EllbEEZZNS1_14partition_implILS5_9ELb0ES3_jPlS8_PNS0_10empty_typeENS0_5tupleIJS8_S9_EEENSB_IJS8_SA_EEENS0_18inequality_wrapperIZN2at6native12_GLOBAL__N_124unique_dim_cuda_templateIdEESt5tupleIJNSF_6TensorESK_SK_EERKSK_lbbbEUlllE0_EEPmJS9_EEE10hipError_tPvRmT3_T4_T5_T6_T7_T9_mT8_P12ihipStream_tbDpT10_ENKUlT_T0_E_clISt17integral_constantIbLb0EES19_IbLb1EEEEDaS15_S16_EUlS15_E_NS1_11comp_targetILNS1_3genE8ELNS1_11target_archE1030ELNS1_3gpuE2ELNS1_3repE0EEENS1_30default_config_static_selectorELNS0_4arch9wavefront6targetE0EEEvT1_
; %bb.0:
	.section	.rodata,"a",@progbits
	.p2align	6, 0x0
	.amdhsa_kernel _ZN7rocprim17ROCPRIM_400000_NS6detail17trampoline_kernelINS0_14default_configENS1_25partition_config_selectorILNS1_17partition_subalgoE9EllbEEZZNS1_14partition_implILS5_9ELb0ES3_jPlS8_PNS0_10empty_typeENS0_5tupleIJS8_S9_EEENSB_IJS8_SA_EEENS0_18inequality_wrapperIZN2at6native12_GLOBAL__N_124unique_dim_cuda_templateIdEESt5tupleIJNSF_6TensorESK_SK_EERKSK_lbbbEUlllE0_EEPmJS9_EEE10hipError_tPvRmT3_T4_T5_T6_T7_T9_mT8_P12ihipStream_tbDpT10_ENKUlT_T0_E_clISt17integral_constantIbLb0EES19_IbLb1EEEEDaS15_S16_EUlS15_E_NS1_11comp_targetILNS1_3genE8ELNS1_11target_archE1030ELNS1_3gpuE2ELNS1_3repE0EEENS1_30default_config_static_selectorELNS0_4arch9wavefront6targetE0EEEvT1_
		.amdhsa_group_segment_fixed_size 0
		.amdhsa_private_segment_fixed_size 0
		.amdhsa_kernarg_size 136
		.amdhsa_user_sgpr_count 15
		.amdhsa_user_sgpr_dispatch_ptr 0
		.amdhsa_user_sgpr_queue_ptr 0
		.amdhsa_user_sgpr_kernarg_segment_ptr 1
		.amdhsa_user_sgpr_dispatch_id 0
		.amdhsa_user_sgpr_private_segment_size 0
		.amdhsa_wavefront_size32 1
		.amdhsa_uses_dynamic_stack 0
		.amdhsa_enable_private_segment 0
		.amdhsa_system_sgpr_workgroup_id_x 1
		.amdhsa_system_sgpr_workgroup_id_y 0
		.amdhsa_system_sgpr_workgroup_id_z 0
		.amdhsa_system_sgpr_workgroup_info 0
		.amdhsa_system_vgpr_workitem_id 0
		.amdhsa_next_free_vgpr 1
		.amdhsa_next_free_sgpr 1
		.amdhsa_reserve_vcc 0
		.amdhsa_float_round_mode_32 0
		.amdhsa_float_round_mode_16_64 0
		.amdhsa_float_denorm_mode_32 3
		.amdhsa_float_denorm_mode_16_64 3
		.amdhsa_dx10_clamp 1
		.amdhsa_ieee_mode 1
		.amdhsa_fp16_overflow 0
		.amdhsa_workgroup_processor_mode 1
		.amdhsa_memory_ordered 1
		.amdhsa_forward_progress 0
		.amdhsa_shared_vgpr_count 0
		.amdhsa_exception_fp_ieee_invalid_op 0
		.amdhsa_exception_fp_denorm_src 0
		.amdhsa_exception_fp_ieee_div_zero 0
		.amdhsa_exception_fp_ieee_overflow 0
		.amdhsa_exception_fp_ieee_underflow 0
		.amdhsa_exception_fp_ieee_inexact 0
		.amdhsa_exception_int_div_zero 0
	.end_amdhsa_kernel
	.section	.text._ZN7rocprim17ROCPRIM_400000_NS6detail17trampoline_kernelINS0_14default_configENS1_25partition_config_selectorILNS1_17partition_subalgoE9EllbEEZZNS1_14partition_implILS5_9ELb0ES3_jPlS8_PNS0_10empty_typeENS0_5tupleIJS8_S9_EEENSB_IJS8_SA_EEENS0_18inequality_wrapperIZN2at6native12_GLOBAL__N_124unique_dim_cuda_templateIdEESt5tupleIJNSF_6TensorESK_SK_EERKSK_lbbbEUlllE0_EEPmJS9_EEE10hipError_tPvRmT3_T4_T5_T6_T7_T9_mT8_P12ihipStream_tbDpT10_ENKUlT_T0_E_clISt17integral_constantIbLb0EES19_IbLb1EEEEDaS15_S16_EUlS15_E_NS1_11comp_targetILNS1_3genE8ELNS1_11target_archE1030ELNS1_3gpuE2ELNS1_3repE0EEENS1_30default_config_static_selectorELNS0_4arch9wavefront6targetE0EEEvT1_,"axG",@progbits,_ZN7rocprim17ROCPRIM_400000_NS6detail17trampoline_kernelINS0_14default_configENS1_25partition_config_selectorILNS1_17partition_subalgoE9EllbEEZZNS1_14partition_implILS5_9ELb0ES3_jPlS8_PNS0_10empty_typeENS0_5tupleIJS8_S9_EEENSB_IJS8_SA_EEENS0_18inequality_wrapperIZN2at6native12_GLOBAL__N_124unique_dim_cuda_templateIdEESt5tupleIJNSF_6TensorESK_SK_EERKSK_lbbbEUlllE0_EEPmJS9_EEE10hipError_tPvRmT3_T4_T5_T6_T7_T9_mT8_P12ihipStream_tbDpT10_ENKUlT_T0_E_clISt17integral_constantIbLb0EES19_IbLb1EEEEDaS15_S16_EUlS15_E_NS1_11comp_targetILNS1_3genE8ELNS1_11target_archE1030ELNS1_3gpuE2ELNS1_3repE0EEENS1_30default_config_static_selectorELNS0_4arch9wavefront6targetE0EEEvT1_,comdat
.Lfunc_end870:
	.size	_ZN7rocprim17ROCPRIM_400000_NS6detail17trampoline_kernelINS0_14default_configENS1_25partition_config_selectorILNS1_17partition_subalgoE9EllbEEZZNS1_14partition_implILS5_9ELb0ES3_jPlS8_PNS0_10empty_typeENS0_5tupleIJS8_S9_EEENSB_IJS8_SA_EEENS0_18inequality_wrapperIZN2at6native12_GLOBAL__N_124unique_dim_cuda_templateIdEESt5tupleIJNSF_6TensorESK_SK_EERKSK_lbbbEUlllE0_EEPmJS9_EEE10hipError_tPvRmT3_T4_T5_T6_T7_T9_mT8_P12ihipStream_tbDpT10_ENKUlT_T0_E_clISt17integral_constantIbLb0EES19_IbLb1EEEEDaS15_S16_EUlS15_E_NS1_11comp_targetILNS1_3genE8ELNS1_11target_archE1030ELNS1_3gpuE2ELNS1_3repE0EEENS1_30default_config_static_selectorELNS0_4arch9wavefront6targetE0EEEvT1_, .Lfunc_end870-_ZN7rocprim17ROCPRIM_400000_NS6detail17trampoline_kernelINS0_14default_configENS1_25partition_config_selectorILNS1_17partition_subalgoE9EllbEEZZNS1_14partition_implILS5_9ELb0ES3_jPlS8_PNS0_10empty_typeENS0_5tupleIJS8_S9_EEENSB_IJS8_SA_EEENS0_18inequality_wrapperIZN2at6native12_GLOBAL__N_124unique_dim_cuda_templateIdEESt5tupleIJNSF_6TensorESK_SK_EERKSK_lbbbEUlllE0_EEPmJS9_EEE10hipError_tPvRmT3_T4_T5_T6_T7_T9_mT8_P12ihipStream_tbDpT10_ENKUlT_T0_E_clISt17integral_constantIbLb0EES19_IbLb1EEEEDaS15_S16_EUlS15_E_NS1_11comp_targetILNS1_3genE8ELNS1_11target_archE1030ELNS1_3gpuE2ELNS1_3repE0EEENS1_30default_config_static_selectorELNS0_4arch9wavefront6targetE0EEEvT1_
                                        ; -- End function
	.section	.AMDGPU.csdata,"",@progbits
; Kernel info:
; codeLenInByte = 0
; NumSgprs: 0
; NumVgprs: 0
; ScratchSize: 0
; MemoryBound: 0
; FloatMode: 240
; IeeeMode: 1
; LDSByteSize: 0 bytes/workgroup (compile time only)
; SGPRBlocks: 0
; VGPRBlocks: 0
; NumSGPRsForWavesPerEU: 1
; NumVGPRsForWavesPerEU: 1
; Occupancy: 16
; WaveLimiterHint : 0
; COMPUTE_PGM_RSRC2:SCRATCH_EN: 0
; COMPUTE_PGM_RSRC2:USER_SGPR: 15
; COMPUTE_PGM_RSRC2:TRAP_HANDLER: 0
; COMPUTE_PGM_RSRC2:TGID_X_EN: 1
; COMPUTE_PGM_RSRC2:TGID_Y_EN: 0
; COMPUTE_PGM_RSRC2:TGID_Z_EN: 0
; COMPUTE_PGM_RSRC2:TIDIG_COMP_CNT: 0
	.section	.text._ZN7rocprim17ROCPRIM_400000_NS6detail17trampoline_kernelINS0_14default_configENS1_37merge_sort_block_sort_config_selectorIlNS0_10empty_typeEEEZNS1_21merge_sort_block_sortIS3_PlS8_PS5_S9_ZN2at6native12_GLOBAL__N_124unique_dim_cuda_templateIfEESt5tupleIJNSA_6TensorESF_SF_EERKSF_lbbbEUlllE_EE10hipError_tT0_T1_T2_T3_mRjT4_P12ihipStream_tbNS1_7vsmem_tEEUlT_E_NS1_11comp_targetILNS1_3genE0ELNS1_11target_archE4294967295ELNS1_3gpuE0ELNS1_3repE0EEENS1_30default_config_static_selectorELNS0_4arch9wavefront6targetE0EEEvSM_,"axG",@progbits,_ZN7rocprim17ROCPRIM_400000_NS6detail17trampoline_kernelINS0_14default_configENS1_37merge_sort_block_sort_config_selectorIlNS0_10empty_typeEEEZNS1_21merge_sort_block_sortIS3_PlS8_PS5_S9_ZN2at6native12_GLOBAL__N_124unique_dim_cuda_templateIfEESt5tupleIJNSA_6TensorESF_SF_EERKSF_lbbbEUlllE_EE10hipError_tT0_T1_T2_T3_mRjT4_P12ihipStream_tbNS1_7vsmem_tEEUlT_E_NS1_11comp_targetILNS1_3genE0ELNS1_11target_archE4294967295ELNS1_3gpuE0ELNS1_3repE0EEENS1_30default_config_static_selectorELNS0_4arch9wavefront6targetE0EEEvSM_,comdat
	.globl	_ZN7rocprim17ROCPRIM_400000_NS6detail17trampoline_kernelINS0_14default_configENS1_37merge_sort_block_sort_config_selectorIlNS0_10empty_typeEEEZNS1_21merge_sort_block_sortIS3_PlS8_PS5_S9_ZN2at6native12_GLOBAL__N_124unique_dim_cuda_templateIfEESt5tupleIJNSA_6TensorESF_SF_EERKSF_lbbbEUlllE_EE10hipError_tT0_T1_T2_T3_mRjT4_P12ihipStream_tbNS1_7vsmem_tEEUlT_E_NS1_11comp_targetILNS1_3genE0ELNS1_11target_archE4294967295ELNS1_3gpuE0ELNS1_3repE0EEENS1_30default_config_static_selectorELNS0_4arch9wavefront6targetE0EEEvSM_ ; -- Begin function _ZN7rocprim17ROCPRIM_400000_NS6detail17trampoline_kernelINS0_14default_configENS1_37merge_sort_block_sort_config_selectorIlNS0_10empty_typeEEEZNS1_21merge_sort_block_sortIS3_PlS8_PS5_S9_ZN2at6native12_GLOBAL__N_124unique_dim_cuda_templateIfEESt5tupleIJNSA_6TensorESF_SF_EERKSF_lbbbEUlllE_EE10hipError_tT0_T1_T2_T3_mRjT4_P12ihipStream_tbNS1_7vsmem_tEEUlT_E_NS1_11comp_targetILNS1_3genE0ELNS1_11target_archE4294967295ELNS1_3gpuE0ELNS1_3repE0EEENS1_30default_config_static_selectorELNS0_4arch9wavefront6targetE0EEEvSM_
	.p2align	8
	.type	_ZN7rocprim17ROCPRIM_400000_NS6detail17trampoline_kernelINS0_14default_configENS1_37merge_sort_block_sort_config_selectorIlNS0_10empty_typeEEEZNS1_21merge_sort_block_sortIS3_PlS8_PS5_S9_ZN2at6native12_GLOBAL__N_124unique_dim_cuda_templateIfEESt5tupleIJNSA_6TensorESF_SF_EERKSF_lbbbEUlllE_EE10hipError_tT0_T1_T2_T3_mRjT4_P12ihipStream_tbNS1_7vsmem_tEEUlT_E_NS1_11comp_targetILNS1_3genE0ELNS1_11target_archE4294967295ELNS1_3gpuE0ELNS1_3repE0EEENS1_30default_config_static_selectorELNS0_4arch9wavefront6targetE0EEEvSM_,@function
_ZN7rocprim17ROCPRIM_400000_NS6detail17trampoline_kernelINS0_14default_configENS1_37merge_sort_block_sort_config_selectorIlNS0_10empty_typeEEEZNS1_21merge_sort_block_sortIS3_PlS8_PS5_S9_ZN2at6native12_GLOBAL__N_124unique_dim_cuda_templateIfEESt5tupleIJNSA_6TensorESF_SF_EERKSF_lbbbEUlllE_EE10hipError_tT0_T1_T2_T3_mRjT4_P12ihipStream_tbNS1_7vsmem_tEEUlT_E_NS1_11comp_targetILNS1_3genE0ELNS1_11target_archE4294967295ELNS1_3gpuE0ELNS1_3repE0EEENS1_30default_config_static_selectorELNS0_4arch9wavefront6targetE0EEEvSM_: ; @_ZN7rocprim17ROCPRIM_400000_NS6detail17trampoline_kernelINS0_14default_configENS1_37merge_sort_block_sort_config_selectorIlNS0_10empty_typeEEEZNS1_21merge_sort_block_sortIS3_PlS8_PS5_S9_ZN2at6native12_GLOBAL__N_124unique_dim_cuda_templateIfEESt5tupleIJNSA_6TensorESF_SF_EERKSF_lbbbEUlllE_EE10hipError_tT0_T1_T2_T3_mRjT4_P12ihipStream_tbNS1_7vsmem_tEEUlT_E_NS1_11comp_targetILNS1_3genE0ELNS1_11target_archE4294967295ELNS1_3gpuE0ELNS1_3repE0EEENS1_30default_config_static_selectorELNS0_4arch9wavefront6targetE0EEEvSM_
; %bb.0:
	.section	.rodata,"a",@progbits
	.p2align	6, 0x0
	.amdhsa_kernel _ZN7rocprim17ROCPRIM_400000_NS6detail17trampoline_kernelINS0_14default_configENS1_37merge_sort_block_sort_config_selectorIlNS0_10empty_typeEEEZNS1_21merge_sort_block_sortIS3_PlS8_PS5_S9_ZN2at6native12_GLOBAL__N_124unique_dim_cuda_templateIfEESt5tupleIJNSA_6TensorESF_SF_EERKSF_lbbbEUlllE_EE10hipError_tT0_T1_T2_T3_mRjT4_P12ihipStream_tbNS1_7vsmem_tEEUlT_E_NS1_11comp_targetILNS1_3genE0ELNS1_11target_archE4294967295ELNS1_3gpuE0ELNS1_3repE0EEENS1_30default_config_static_selectorELNS0_4arch9wavefront6targetE0EEEvSM_
		.amdhsa_group_segment_fixed_size 0
		.amdhsa_private_segment_fixed_size 0
		.amdhsa_kernarg_size 72
		.amdhsa_user_sgpr_count 15
		.amdhsa_user_sgpr_dispatch_ptr 0
		.amdhsa_user_sgpr_queue_ptr 0
		.amdhsa_user_sgpr_kernarg_segment_ptr 1
		.amdhsa_user_sgpr_dispatch_id 0
		.amdhsa_user_sgpr_private_segment_size 0
		.amdhsa_wavefront_size32 1
		.amdhsa_uses_dynamic_stack 0
		.amdhsa_enable_private_segment 0
		.amdhsa_system_sgpr_workgroup_id_x 1
		.amdhsa_system_sgpr_workgroup_id_y 0
		.amdhsa_system_sgpr_workgroup_id_z 0
		.amdhsa_system_sgpr_workgroup_info 0
		.amdhsa_system_vgpr_workitem_id 0
		.amdhsa_next_free_vgpr 1
		.amdhsa_next_free_sgpr 1
		.amdhsa_reserve_vcc 0
		.amdhsa_float_round_mode_32 0
		.amdhsa_float_round_mode_16_64 0
		.amdhsa_float_denorm_mode_32 3
		.amdhsa_float_denorm_mode_16_64 3
		.amdhsa_dx10_clamp 1
		.amdhsa_ieee_mode 1
		.amdhsa_fp16_overflow 0
		.amdhsa_workgroup_processor_mode 1
		.amdhsa_memory_ordered 1
		.amdhsa_forward_progress 0
		.amdhsa_shared_vgpr_count 0
		.amdhsa_exception_fp_ieee_invalid_op 0
		.amdhsa_exception_fp_denorm_src 0
		.amdhsa_exception_fp_ieee_div_zero 0
		.amdhsa_exception_fp_ieee_overflow 0
		.amdhsa_exception_fp_ieee_underflow 0
		.amdhsa_exception_fp_ieee_inexact 0
		.amdhsa_exception_int_div_zero 0
	.end_amdhsa_kernel
	.section	.text._ZN7rocprim17ROCPRIM_400000_NS6detail17trampoline_kernelINS0_14default_configENS1_37merge_sort_block_sort_config_selectorIlNS0_10empty_typeEEEZNS1_21merge_sort_block_sortIS3_PlS8_PS5_S9_ZN2at6native12_GLOBAL__N_124unique_dim_cuda_templateIfEESt5tupleIJNSA_6TensorESF_SF_EERKSF_lbbbEUlllE_EE10hipError_tT0_T1_T2_T3_mRjT4_P12ihipStream_tbNS1_7vsmem_tEEUlT_E_NS1_11comp_targetILNS1_3genE0ELNS1_11target_archE4294967295ELNS1_3gpuE0ELNS1_3repE0EEENS1_30default_config_static_selectorELNS0_4arch9wavefront6targetE0EEEvSM_,"axG",@progbits,_ZN7rocprim17ROCPRIM_400000_NS6detail17trampoline_kernelINS0_14default_configENS1_37merge_sort_block_sort_config_selectorIlNS0_10empty_typeEEEZNS1_21merge_sort_block_sortIS3_PlS8_PS5_S9_ZN2at6native12_GLOBAL__N_124unique_dim_cuda_templateIfEESt5tupleIJNSA_6TensorESF_SF_EERKSF_lbbbEUlllE_EE10hipError_tT0_T1_T2_T3_mRjT4_P12ihipStream_tbNS1_7vsmem_tEEUlT_E_NS1_11comp_targetILNS1_3genE0ELNS1_11target_archE4294967295ELNS1_3gpuE0ELNS1_3repE0EEENS1_30default_config_static_selectorELNS0_4arch9wavefront6targetE0EEEvSM_,comdat
.Lfunc_end871:
	.size	_ZN7rocprim17ROCPRIM_400000_NS6detail17trampoline_kernelINS0_14default_configENS1_37merge_sort_block_sort_config_selectorIlNS0_10empty_typeEEEZNS1_21merge_sort_block_sortIS3_PlS8_PS5_S9_ZN2at6native12_GLOBAL__N_124unique_dim_cuda_templateIfEESt5tupleIJNSA_6TensorESF_SF_EERKSF_lbbbEUlllE_EE10hipError_tT0_T1_T2_T3_mRjT4_P12ihipStream_tbNS1_7vsmem_tEEUlT_E_NS1_11comp_targetILNS1_3genE0ELNS1_11target_archE4294967295ELNS1_3gpuE0ELNS1_3repE0EEENS1_30default_config_static_selectorELNS0_4arch9wavefront6targetE0EEEvSM_, .Lfunc_end871-_ZN7rocprim17ROCPRIM_400000_NS6detail17trampoline_kernelINS0_14default_configENS1_37merge_sort_block_sort_config_selectorIlNS0_10empty_typeEEEZNS1_21merge_sort_block_sortIS3_PlS8_PS5_S9_ZN2at6native12_GLOBAL__N_124unique_dim_cuda_templateIfEESt5tupleIJNSA_6TensorESF_SF_EERKSF_lbbbEUlllE_EE10hipError_tT0_T1_T2_T3_mRjT4_P12ihipStream_tbNS1_7vsmem_tEEUlT_E_NS1_11comp_targetILNS1_3genE0ELNS1_11target_archE4294967295ELNS1_3gpuE0ELNS1_3repE0EEENS1_30default_config_static_selectorELNS0_4arch9wavefront6targetE0EEEvSM_
                                        ; -- End function
	.section	.AMDGPU.csdata,"",@progbits
; Kernel info:
; codeLenInByte = 0
; NumSgprs: 0
; NumVgprs: 0
; ScratchSize: 0
; MemoryBound: 0
; FloatMode: 240
; IeeeMode: 1
; LDSByteSize: 0 bytes/workgroup (compile time only)
; SGPRBlocks: 0
; VGPRBlocks: 0
; NumSGPRsForWavesPerEU: 1
; NumVGPRsForWavesPerEU: 1
; Occupancy: 16
; WaveLimiterHint : 0
; COMPUTE_PGM_RSRC2:SCRATCH_EN: 0
; COMPUTE_PGM_RSRC2:USER_SGPR: 15
; COMPUTE_PGM_RSRC2:TRAP_HANDLER: 0
; COMPUTE_PGM_RSRC2:TGID_X_EN: 1
; COMPUTE_PGM_RSRC2:TGID_Y_EN: 0
; COMPUTE_PGM_RSRC2:TGID_Z_EN: 0
; COMPUTE_PGM_RSRC2:TIDIG_COMP_CNT: 0
	.section	.text._ZN7rocprim17ROCPRIM_400000_NS6detail17trampoline_kernelINS0_14default_configENS1_37merge_sort_block_sort_config_selectorIlNS0_10empty_typeEEEZNS1_21merge_sort_block_sortIS3_PlS8_PS5_S9_ZN2at6native12_GLOBAL__N_124unique_dim_cuda_templateIfEESt5tupleIJNSA_6TensorESF_SF_EERKSF_lbbbEUlllE_EE10hipError_tT0_T1_T2_T3_mRjT4_P12ihipStream_tbNS1_7vsmem_tEEUlT_E_NS1_11comp_targetILNS1_3genE5ELNS1_11target_archE942ELNS1_3gpuE9ELNS1_3repE0EEENS1_30default_config_static_selectorELNS0_4arch9wavefront6targetE0EEEvSM_,"axG",@progbits,_ZN7rocprim17ROCPRIM_400000_NS6detail17trampoline_kernelINS0_14default_configENS1_37merge_sort_block_sort_config_selectorIlNS0_10empty_typeEEEZNS1_21merge_sort_block_sortIS3_PlS8_PS5_S9_ZN2at6native12_GLOBAL__N_124unique_dim_cuda_templateIfEESt5tupleIJNSA_6TensorESF_SF_EERKSF_lbbbEUlllE_EE10hipError_tT0_T1_T2_T3_mRjT4_P12ihipStream_tbNS1_7vsmem_tEEUlT_E_NS1_11comp_targetILNS1_3genE5ELNS1_11target_archE942ELNS1_3gpuE9ELNS1_3repE0EEENS1_30default_config_static_selectorELNS0_4arch9wavefront6targetE0EEEvSM_,comdat
	.globl	_ZN7rocprim17ROCPRIM_400000_NS6detail17trampoline_kernelINS0_14default_configENS1_37merge_sort_block_sort_config_selectorIlNS0_10empty_typeEEEZNS1_21merge_sort_block_sortIS3_PlS8_PS5_S9_ZN2at6native12_GLOBAL__N_124unique_dim_cuda_templateIfEESt5tupleIJNSA_6TensorESF_SF_EERKSF_lbbbEUlllE_EE10hipError_tT0_T1_T2_T3_mRjT4_P12ihipStream_tbNS1_7vsmem_tEEUlT_E_NS1_11comp_targetILNS1_3genE5ELNS1_11target_archE942ELNS1_3gpuE9ELNS1_3repE0EEENS1_30default_config_static_selectorELNS0_4arch9wavefront6targetE0EEEvSM_ ; -- Begin function _ZN7rocprim17ROCPRIM_400000_NS6detail17trampoline_kernelINS0_14default_configENS1_37merge_sort_block_sort_config_selectorIlNS0_10empty_typeEEEZNS1_21merge_sort_block_sortIS3_PlS8_PS5_S9_ZN2at6native12_GLOBAL__N_124unique_dim_cuda_templateIfEESt5tupleIJNSA_6TensorESF_SF_EERKSF_lbbbEUlllE_EE10hipError_tT0_T1_T2_T3_mRjT4_P12ihipStream_tbNS1_7vsmem_tEEUlT_E_NS1_11comp_targetILNS1_3genE5ELNS1_11target_archE942ELNS1_3gpuE9ELNS1_3repE0EEENS1_30default_config_static_selectorELNS0_4arch9wavefront6targetE0EEEvSM_
	.p2align	8
	.type	_ZN7rocprim17ROCPRIM_400000_NS6detail17trampoline_kernelINS0_14default_configENS1_37merge_sort_block_sort_config_selectorIlNS0_10empty_typeEEEZNS1_21merge_sort_block_sortIS3_PlS8_PS5_S9_ZN2at6native12_GLOBAL__N_124unique_dim_cuda_templateIfEESt5tupleIJNSA_6TensorESF_SF_EERKSF_lbbbEUlllE_EE10hipError_tT0_T1_T2_T3_mRjT4_P12ihipStream_tbNS1_7vsmem_tEEUlT_E_NS1_11comp_targetILNS1_3genE5ELNS1_11target_archE942ELNS1_3gpuE9ELNS1_3repE0EEENS1_30default_config_static_selectorELNS0_4arch9wavefront6targetE0EEEvSM_,@function
_ZN7rocprim17ROCPRIM_400000_NS6detail17trampoline_kernelINS0_14default_configENS1_37merge_sort_block_sort_config_selectorIlNS0_10empty_typeEEEZNS1_21merge_sort_block_sortIS3_PlS8_PS5_S9_ZN2at6native12_GLOBAL__N_124unique_dim_cuda_templateIfEESt5tupleIJNSA_6TensorESF_SF_EERKSF_lbbbEUlllE_EE10hipError_tT0_T1_T2_T3_mRjT4_P12ihipStream_tbNS1_7vsmem_tEEUlT_E_NS1_11comp_targetILNS1_3genE5ELNS1_11target_archE942ELNS1_3gpuE9ELNS1_3repE0EEENS1_30default_config_static_selectorELNS0_4arch9wavefront6targetE0EEEvSM_: ; @_ZN7rocprim17ROCPRIM_400000_NS6detail17trampoline_kernelINS0_14default_configENS1_37merge_sort_block_sort_config_selectorIlNS0_10empty_typeEEEZNS1_21merge_sort_block_sortIS3_PlS8_PS5_S9_ZN2at6native12_GLOBAL__N_124unique_dim_cuda_templateIfEESt5tupleIJNSA_6TensorESF_SF_EERKSF_lbbbEUlllE_EE10hipError_tT0_T1_T2_T3_mRjT4_P12ihipStream_tbNS1_7vsmem_tEEUlT_E_NS1_11comp_targetILNS1_3genE5ELNS1_11target_archE942ELNS1_3gpuE9ELNS1_3repE0EEENS1_30default_config_static_selectorELNS0_4arch9wavefront6targetE0EEEvSM_
; %bb.0:
	.section	.rodata,"a",@progbits
	.p2align	6, 0x0
	.amdhsa_kernel _ZN7rocprim17ROCPRIM_400000_NS6detail17trampoline_kernelINS0_14default_configENS1_37merge_sort_block_sort_config_selectorIlNS0_10empty_typeEEEZNS1_21merge_sort_block_sortIS3_PlS8_PS5_S9_ZN2at6native12_GLOBAL__N_124unique_dim_cuda_templateIfEESt5tupleIJNSA_6TensorESF_SF_EERKSF_lbbbEUlllE_EE10hipError_tT0_T1_T2_T3_mRjT4_P12ihipStream_tbNS1_7vsmem_tEEUlT_E_NS1_11comp_targetILNS1_3genE5ELNS1_11target_archE942ELNS1_3gpuE9ELNS1_3repE0EEENS1_30default_config_static_selectorELNS0_4arch9wavefront6targetE0EEEvSM_
		.amdhsa_group_segment_fixed_size 0
		.amdhsa_private_segment_fixed_size 0
		.amdhsa_kernarg_size 72
		.amdhsa_user_sgpr_count 15
		.amdhsa_user_sgpr_dispatch_ptr 0
		.amdhsa_user_sgpr_queue_ptr 0
		.amdhsa_user_sgpr_kernarg_segment_ptr 1
		.amdhsa_user_sgpr_dispatch_id 0
		.amdhsa_user_sgpr_private_segment_size 0
		.amdhsa_wavefront_size32 1
		.amdhsa_uses_dynamic_stack 0
		.amdhsa_enable_private_segment 0
		.amdhsa_system_sgpr_workgroup_id_x 1
		.amdhsa_system_sgpr_workgroup_id_y 0
		.amdhsa_system_sgpr_workgroup_id_z 0
		.amdhsa_system_sgpr_workgroup_info 0
		.amdhsa_system_vgpr_workitem_id 0
		.amdhsa_next_free_vgpr 1
		.amdhsa_next_free_sgpr 1
		.amdhsa_reserve_vcc 0
		.amdhsa_float_round_mode_32 0
		.amdhsa_float_round_mode_16_64 0
		.amdhsa_float_denorm_mode_32 3
		.amdhsa_float_denorm_mode_16_64 3
		.amdhsa_dx10_clamp 1
		.amdhsa_ieee_mode 1
		.amdhsa_fp16_overflow 0
		.amdhsa_workgroup_processor_mode 1
		.amdhsa_memory_ordered 1
		.amdhsa_forward_progress 0
		.amdhsa_shared_vgpr_count 0
		.amdhsa_exception_fp_ieee_invalid_op 0
		.amdhsa_exception_fp_denorm_src 0
		.amdhsa_exception_fp_ieee_div_zero 0
		.amdhsa_exception_fp_ieee_overflow 0
		.amdhsa_exception_fp_ieee_underflow 0
		.amdhsa_exception_fp_ieee_inexact 0
		.amdhsa_exception_int_div_zero 0
	.end_amdhsa_kernel
	.section	.text._ZN7rocprim17ROCPRIM_400000_NS6detail17trampoline_kernelINS0_14default_configENS1_37merge_sort_block_sort_config_selectorIlNS0_10empty_typeEEEZNS1_21merge_sort_block_sortIS3_PlS8_PS5_S9_ZN2at6native12_GLOBAL__N_124unique_dim_cuda_templateIfEESt5tupleIJNSA_6TensorESF_SF_EERKSF_lbbbEUlllE_EE10hipError_tT0_T1_T2_T3_mRjT4_P12ihipStream_tbNS1_7vsmem_tEEUlT_E_NS1_11comp_targetILNS1_3genE5ELNS1_11target_archE942ELNS1_3gpuE9ELNS1_3repE0EEENS1_30default_config_static_selectorELNS0_4arch9wavefront6targetE0EEEvSM_,"axG",@progbits,_ZN7rocprim17ROCPRIM_400000_NS6detail17trampoline_kernelINS0_14default_configENS1_37merge_sort_block_sort_config_selectorIlNS0_10empty_typeEEEZNS1_21merge_sort_block_sortIS3_PlS8_PS5_S9_ZN2at6native12_GLOBAL__N_124unique_dim_cuda_templateIfEESt5tupleIJNSA_6TensorESF_SF_EERKSF_lbbbEUlllE_EE10hipError_tT0_T1_T2_T3_mRjT4_P12ihipStream_tbNS1_7vsmem_tEEUlT_E_NS1_11comp_targetILNS1_3genE5ELNS1_11target_archE942ELNS1_3gpuE9ELNS1_3repE0EEENS1_30default_config_static_selectorELNS0_4arch9wavefront6targetE0EEEvSM_,comdat
.Lfunc_end872:
	.size	_ZN7rocprim17ROCPRIM_400000_NS6detail17trampoline_kernelINS0_14default_configENS1_37merge_sort_block_sort_config_selectorIlNS0_10empty_typeEEEZNS1_21merge_sort_block_sortIS3_PlS8_PS5_S9_ZN2at6native12_GLOBAL__N_124unique_dim_cuda_templateIfEESt5tupleIJNSA_6TensorESF_SF_EERKSF_lbbbEUlllE_EE10hipError_tT0_T1_T2_T3_mRjT4_P12ihipStream_tbNS1_7vsmem_tEEUlT_E_NS1_11comp_targetILNS1_3genE5ELNS1_11target_archE942ELNS1_3gpuE9ELNS1_3repE0EEENS1_30default_config_static_selectorELNS0_4arch9wavefront6targetE0EEEvSM_, .Lfunc_end872-_ZN7rocprim17ROCPRIM_400000_NS6detail17trampoline_kernelINS0_14default_configENS1_37merge_sort_block_sort_config_selectorIlNS0_10empty_typeEEEZNS1_21merge_sort_block_sortIS3_PlS8_PS5_S9_ZN2at6native12_GLOBAL__N_124unique_dim_cuda_templateIfEESt5tupleIJNSA_6TensorESF_SF_EERKSF_lbbbEUlllE_EE10hipError_tT0_T1_T2_T3_mRjT4_P12ihipStream_tbNS1_7vsmem_tEEUlT_E_NS1_11comp_targetILNS1_3genE5ELNS1_11target_archE942ELNS1_3gpuE9ELNS1_3repE0EEENS1_30default_config_static_selectorELNS0_4arch9wavefront6targetE0EEEvSM_
                                        ; -- End function
	.section	.AMDGPU.csdata,"",@progbits
; Kernel info:
; codeLenInByte = 0
; NumSgprs: 0
; NumVgprs: 0
; ScratchSize: 0
; MemoryBound: 0
; FloatMode: 240
; IeeeMode: 1
; LDSByteSize: 0 bytes/workgroup (compile time only)
; SGPRBlocks: 0
; VGPRBlocks: 0
; NumSGPRsForWavesPerEU: 1
; NumVGPRsForWavesPerEU: 1
; Occupancy: 16
; WaveLimiterHint : 0
; COMPUTE_PGM_RSRC2:SCRATCH_EN: 0
; COMPUTE_PGM_RSRC2:USER_SGPR: 15
; COMPUTE_PGM_RSRC2:TRAP_HANDLER: 0
; COMPUTE_PGM_RSRC2:TGID_X_EN: 1
; COMPUTE_PGM_RSRC2:TGID_Y_EN: 0
; COMPUTE_PGM_RSRC2:TGID_Z_EN: 0
; COMPUTE_PGM_RSRC2:TIDIG_COMP_CNT: 0
	.section	.text._ZN7rocprim17ROCPRIM_400000_NS6detail17trampoline_kernelINS0_14default_configENS1_37merge_sort_block_sort_config_selectorIlNS0_10empty_typeEEEZNS1_21merge_sort_block_sortIS3_PlS8_PS5_S9_ZN2at6native12_GLOBAL__N_124unique_dim_cuda_templateIfEESt5tupleIJNSA_6TensorESF_SF_EERKSF_lbbbEUlllE_EE10hipError_tT0_T1_T2_T3_mRjT4_P12ihipStream_tbNS1_7vsmem_tEEUlT_E_NS1_11comp_targetILNS1_3genE4ELNS1_11target_archE910ELNS1_3gpuE8ELNS1_3repE0EEENS1_30default_config_static_selectorELNS0_4arch9wavefront6targetE0EEEvSM_,"axG",@progbits,_ZN7rocprim17ROCPRIM_400000_NS6detail17trampoline_kernelINS0_14default_configENS1_37merge_sort_block_sort_config_selectorIlNS0_10empty_typeEEEZNS1_21merge_sort_block_sortIS3_PlS8_PS5_S9_ZN2at6native12_GLOBAL__N_124unique_dim_cuda_templateIfEESt5tupleIJNSA_6TensorESF_SF_EERKSF_lbbbEUlllE_EE10hipError_tT0_T1_T2_T3_mRjT4_P12ihipStream_tbNS1_7vsmem_tEEUlT_E_NS1_11comp_targetILNS1_3genE4ELNS1_11target_archE910ELNS1_3gpuE8ELNS1_3repE0EEENS1_30default_config_static_selectorELNS0_4arch9wavefront6targetE0EEEvSM_,comdat
	.globl	_ZN7rocprim17ROCPRIM_400000_NS6detail17trampoline_kernelINS0_14default_configENS1_37merge_sort_block_sort_config_selectorIlNS0_10empty_typeEEEZNS1_21merge_sort_block_sortIS3_PlS8_PS5_S9_ZN2at6native12_GLOBAL__N_124unique_dim_cuda_templateIfEESt5tupleIJNSA_6TensorESF_SF_EERKSF_lbbbEUlllE_EE10hipError_tT0_T1_T2_T3_mRjT4_P12ihipStream_tbNS1_7vsmem_tEEUlT_E_NS1_11comp_targetILNS1_3genE4ELNS1_11target_archE910ELNS1_3gpuE8ELNS1_3repE0EEENS1_30default_config_static_selectorELNS0_4arch9wavefront6targetE0EEEvSM_ ; -- Begin function _ZN7rocprim17ROCPRIM_400000_NS6detail17trampoline_kernelINS0_14default_configENS1_37merge_sort_block_sort_config_selectorIlNS0_10empty_typeEEEZNS1_21merge_sort_block_sortIS3_PlS8_PS5_S9_ZN2at6native12_GLOBAL__N_124unique_dim_cuda_templateIfEESt5tupleIJNSA_6TensorESF_SF_EERKSF_lbbbEUlllE_EE10hipError_tT0_T1_T2_T3_mRjT4_P12ihipStream_tbNS1_7vsmem_tEEUlT_E_NS1_11comp_targetILNS1_3genE4ELNS1_11target_archE910ELNS1_3gpuE8ELNS1_3repE0EEENS1_30default_config_static_selectorELNS0_4arch9wavefront6targetE0EEEvSM_
	.p2align	8
	.type	_ZN7rocprim17ROCPRIM_400000_NS6detail17trampoline_kernelINS0_14default_configENS1_37merge_sort_block_sort_config_selectorIlNS0_10empty_typeEEEZNS1_21merge_sort_block_sortIS3_PlS8_PS5_S9_ZN2at6native12_GLOBAL__N_124unique_dim_cuda_templateIfEESt5tupleIJNSA_6TensorESF_SF_EERKSF_lbbbEUlllE_EE10hipError_tT0_T1_T2_T3_mRjT4_P12ihipStream_tbNS1_7vsmem_tEEUlT_E_NS1_11comp_targetILNS1_3genE4ELNS1_11target_archE910ELNS1_3gpuE8ELNS1_3repE0EEENS1_30default_config_static_selectorELNS0_4arch9wavefront6targetE0EEEvSM_,@function
_ZN7rocprim17ROCPRIM_400000_NS6detail17trampoline_kernelINS0_14default_configENS1_37merge_sort_block_sort_config_selectorIlNS0_10empty_typeEEEZNS1_21merge_sort_block_sortIS3_PlS8_PS5_S9_ZN2at6native12_GLOBAL__N_124unique_dim_cuda_templateIfEESt5tupleIJNSA_6TensorESF_SF_EERKSF_lbbbEUlllE_EE10hipError_tT0_T1_T2_T3_mRjT4_P12ihipStream_tbNS1_7vsmem_tEEUlT_E_NS1_11comp_targetILNS1_3genE4ELNS1_11target_archE910ELNS1_3gpuE8ELNS1_3repE0EEENS1_30default_config_static_selectorELNS0_4arch9wavefront6targetE0EEEvSM_: ; @_ZN7rocprim17ROCPRIM_400000_NS6detail17trampoline_kernelINS0_14default_configENS1_37merge_sort_block_sort_config_selectorIlNS0_10empty_typeEEEZNS1_21merge_sort_block_sortIS3_PlS8_PS5_S9_ZN2at6native12_GLOBAL__N_124unique_dim_cuda_templateIfEESt5tupleIJNSA_6TensorESF_SF_EERKSF_lbbbEUlllE_EE10hipError_tT0_T1_T2_T3_mRjT4_P12ihipStream_tbNS1_7vsmem_tEEUlT_E_NS1_11comp_targetILNS1_3genE4ELNS1_11target_archE910ELNS1_3gpuE8ELNS1_3repE0EEENS1_30default_config_static_selectorELNS0_4arch9wavefront6targetE0EEEvSM_
; %bb.0:
	.section	.rodata,"a",@progbits
	.p2align	6, 0x0
	.amdhsa_kernel _ZN7rocprim17ROCPRIM_400000_NS6detail17trampoline_kernelINS0_14default_configENS1_37merge_sort_block_sort_config_selectorIlNS0_10empty_typeEEEZNS1_21merge_sort_block_sortIS3_PlS8_PS5_S9_ZN2at6native12_GLOBAL__N_124unique_dim_cuda_templateIfEESt5tupleIJNSA_6TensorESF_SF_EERKSF_lbbbEUlllE_EE10hipError_tT0_T1_T2_T3_mRjT4_P12ihipStream_tbNS1_7vsmem_tEEUlT_E_NS1_11comp_targetILNS1_3genE4ELNS1_11target_archE910ELNS1_3gpuE8ELNS1_3repE0EEENS1_30default_config_static_selectorELNS0_4arch9wavefront6targetE0EEEvSM_
		.amdhsa_group_segment_fixed_size 0
		.amdhsa_private_segment_fixed_size 0
		.amdhsa_kernarg_size 72
		.amdhsa_user_sgpr_count 15
		.amdhsa_user_sgpr_dispatch_ptr 0
		.amdhsa_user_sgpr_queue_ptr 0
		.amdhsa_user_sgpr_kernarg_segment_ptr 1
		.amdhsa_user_sgpr_dispatch_id 0
		.amdhsa_user_sgpr_private_segment_size 0
		.amdhsa_wavefront_size32 1
		.amdhsa_uses_dynamic_stack 0
		.amdhsa_enable_private_segment 0
		.amdhsa_system_sgpr_workgroup_id_x 1
		.amdhsa_system_sgpr_workgroup_id_y 0
		.amdhsa_system_sgpr_workgroup_id_z 0
		.amdhsa_system_sgpr_workgroup_info 0
		.amdhsa_system_vgpr_workitem_id 0
		.amdhsa_next_free_vgpr 1
		.amdhsa_next_free_sgpr 1
		.amdhsa_reserve_vcc 0
		.amdhsa_float_round_mode_32 0
		.amdhsa_float_round_mode_16_64 0
		.amdhsa_float_denorm_mode_32 3
		.amdhsa_float_denorm_mode_16_64 3
		.amdhsa_dx10_clamp 1
		.amdhsa_ieee_mode 1
		.amdhsa_fp16_overflow 0
		.amdhsa_workgroup_processor_mode 1
		.amdhsa_memory_ordered 1
		.amdhsa_forward_progress 0
		.amdhsa_shared_vgpr_count 0
		.amdhsa_exception_fp_ieee_invalid_op 0
		.amdhsa_exception_fp_denorm_src 0
		.amdhsa_exception_fp_ieee_div_zero 0
		.amdhsa_exception_fp_ieee_overflow 0
		.amdhsa_exception_fp_ieee_underflow 0
		.amdhsa_exception_fp_ieee_inexact 0
		.amdhsa_exception_int_div_zero 0
	.end_amdhsa_kernel
	.section	.text._ZN7rocprim17ROCPRIM_400000_NS6detail17trampoline_kernelINS0_14default_configENS1_37merge_sort_block_sort_config_selectorIlNS0_10empty_typeEEEZNS1_21merge_sort_block_sortIS3_PlS8_PS5_S9_ZN2at6native12_GLOBAL__N_124unique_dim_cuda_templateIfEESt5tupleIJNSA_6TensorESF_SF_EERKSF_lbbbEUlllE_EE10hipError_tT0_T1_T2_T3_mRjT4_P12ihipStream_tbNS1_7vsmem_tEEUlT_E_NS1_11comp_targetILNS1_3genE4ELNS1_11target_archE910ELNS1_3gpuE8ELNS1_3repE0EEENS1_30default_config_static_selectorELNS0_4arch9wavefront6targetE0EEEvSM_,"axG",@progbits,_ZN7rocprim17ROCPRIM_400000_NS6detail17trampoline_kernelINS0_14default_configENS1_37merge_sort_block_sort_config_selectorIlNS0_10empty_typeEEEZNS1_21merge_sort_block_sortIS3_PlS8_PS5_S9_ZN2at6native12_GLOBAL__N_124unique_dim_cuda_templateIfEESt5tupleIJNSA_6TensorESF_SF_EERKSF_lbbbEUlllE_EE10hipError_tT0_T1_T2_T3_mRjT4_P12ihipStream_tbNS1_7vsmem_tEEUlT_E_NS1_11comp_targetILNS1_3genE4ELNS1_11target_archE910ELNS1_3gpuE8ELNS1_3repE0EEENS1_30default_config_static_selectorELNS0_4arch9wavefront6targetE0EEEvSM_,comdat
.Lfunc_end873:
	.size	_ZN7rocprim17ROCPRIM_400000_NS6detail17trampoline_kernelINS0_14default_configENS1_37merge_sort_block_sort_config_selectorIlNS0_10empty_typeEEEZNS1_21merge_sort_block_sortIS3_PlS8_PS5_S9_ZN2at6native12_GLOBAL__N_124unique_dim_cuda_templateIfEESt5tupleIJNSA_6TensorESF_SF_EERKSF_lbbbEUlllE_EE10hipError_tT0_T1_T2_T3_mRjT4_P12ihipStream_tbNS1_7vsmem_tEEUlT_E_NS1_11comp_targetILNS1_3genE4ELNS1_11target_archE910ELNS1_3gpuE8ELNS1_3repE0EEENS1_30default_config_static_selectorELNS0_4arch9wavefront6targetE0EEEvSM_, .Lfunc_end873-_ZN7rocprim17ROCPRIM_400000_NS6detail17trampoline_kernelINS0_14default_configENS1_37merge_sort_block_sort_config_selectorIlNS0_10empty_typeEEEZNS1_21merge_sort_block_sortIS3_PlS8_PS5_S9_ZN2at6native12_GLOBAL__N_124unique_dim_cuda_templateIfEESt5tupleIJNSA_6TensorESF_SF_EERKSF_lbbbEUlllE_EE10hipError_tT0_T1_T2_T3_mRjT4_P12ihipStream_tbNS1_7vsmem_tEEUlT_E_NS1_11comp_targetILNS1_3genE4ELNS1_11target_archE910ELNS1_3gpuE8ELNS1_3repE0EEENS1_30default_config_static_selectorELNS0_4arch9wavefront6targetE0EEEvSM_
                                        ; -- End function
	.section	.AMDGPU.csdata,"",@progbits
; Kernel info:
; codeLenInByte = 0
; NumSgprs: 0
; NumVgprs: 0
; ScratchSize: 0
; MemoryBound: 0
; FloatMode: 240
; IeeeMode: 1
; LDSByteSize: 0 bytes/workgroup (compile time only)
; SGPRBlocks: 0
; VGPRBlocks: 0
; NumSGPRsForWavesPerEU: 1
; NumVGPRsForWavesPerEU: 1
; Occupancy: 16
; WaveLimiterHint : 0
; COMPUTE_PGM_RSRC2:SCRATCH_EN: 0
; COMPUTE_PGM_RSRC2:USER_SGPR: 15
; COMPUTE_PGM_RSRC2:TRAP_HANDLER: 0
; COMPUTE_PGM_RSRC2:TGID_X_EN: 1
; COMPUTE_PGM_RSRC2:TGID_Y_EN: 0
; COMPUTE_PGM_RSRC2:TGID_Z_EN: 0
; COMPUTE_PGM_RSRC2:TIDIG_COMP_CNT: 0
	.section	.text._ZN7rocprim17ROCPRIM_400000_NS6detail17trampoline_kernelINS0_14default_configENS1_37merge_sort_block_sort_config_selectorIlNS0_10empty_typeEEEZNS1_21merge_sort_block_sortIS3_PlS8_PS5_S9_ZN2at6native12_GLOBAL__N_124unique_dim_cuda_templateIfEESt5tupleIJNSA_6TensorESF_SF_EERKSF_lbbbEUlllE_EE10hipError_tT0_T1_T2_T3_mRjT4_P12ihipStream_tbNS1_7vsmem_tEEUlT_E_NS1_11comp_targetILNS1_3genE3ELNS1_11target_archE908ELNS1_3gpuE7ELNS1_3repE0EEENS1_30default_config_static_selectorELNS0_4arch9wavefront6targetE0EEEvSM_,"axG",@progbits,_ZN7rocprim17ROCPRIM_400000_NS6detail17trampoline_kernelINS0_14default_configENS1_37merge_sort_block_sort_config_selectorIlNS0_10empty_typeEEEZNS1_21merge_sort_block_sortIS3_PlS8_PS5_S9_ZN2at6native12_GLOBAL__N_124unique_dim_cuda_templateIfEESt5tupleIJNSA_6TensorESF_SF_EERKSF_lbbbEUlllE_EE10hipError_tT0_T1_T2_T3_mRjT4_P12ihipStream_tbNS1_7vsmem_tEEUlT_E_NS1_11comp_targetILNS1_3genE3ELNS1_11target_archE908ELNS1_3gpuE7ELNS1_3repE0EEENS1_30default_config_static_selectorELNS0_4arch9wavefront6targetE0EEEvSM_,comdat
	.globl	_ZN7rocprim17ROCPRIM_400000_NS6detail17trampoline_kernelINS0_14default_configENS1_37merge_sort_block_sort_config_selectorIlNS0_10empty_typeEEEZNS1_21merge_sort_block_sortIS3_PlS8_PS5_S9_ZN2at6native12_GLOBAL__N_124unique_dim_cuda_templateIfEESt5tupleIJNSA_6TensorESF_SF_EERKSF_lbbbEUlllE_EE10hipError_tT0_T1_T2_T3_mRjT4_P12ihipStream_tbNS1_7vsmem_tEEUlT_E_NS1_11comp_targetILNS1_3genE3ELNS1_11target_archE908ELNS1_3gpuE7ELNS1_3repE0EEENS1_30default_config_static_selectorELNS0_4arch9wavefront6targetE0EEEvSM_ ; -- Begin function _ZN7rocprim17ROCPRIM_400000_NS6detail17trampoline_kernelINS0_14default_configENS1_37merge_sort_block_sort_config_selectorIlNS0_10empty_typeEEEZNS1_21merge_sort_block_sortIS3_PlS8_PS5_S9_ZN2at6native12_GLOBAL__N_124unique_dim_cuda_templateIfEESt5tupleIJNSA_6TensorESF_SF_EERKSF_lbbbEUlllE_EE10hipError_tT0_T1_T2_T3_mRjT4_P12ihipStream_tbNS1_7vsmem_tEEUlT_E_NS1_11comp_targetILNS1_3genE3ELNS1_11target_archE908ELNS1_3gpuE7ELNS1_3repE0EEENS1_30default_config_static_selectorELNS0_4arch9wavefront6targetE0EEEvSM_
	.p2align	8
	.type	_ZN7rocprim17ROCPRIM_400000_NS6detail17trampoline_kernelINS0_14default_configENS1_37merge_sort_block_sort_config_selectorIlNS0_10empty_typeEEEZNS1_21merge_sort_block_sortIS3_PlS8_PS5_S9_ZN2at6native12_GLOBAL__N_124unique_dim_cuda_templateIfEESt5tupleIJNSA_6TensorESF_SF_EERKSF_lbbbEUlllE_EE10hipError_tT0_T1_T2_T3_mRjT4_P12ihipStream_tbNS1_7vsmem_tEEUlT_E_NS1_11comp_targetILNS1_3genE3ELNS1_11target_archE908ELNS1_3gpuE7ELNS1_3repE0EEENS1_30default_config_static_selectorELNS0_4arch9wavefront6targetE0EEEvSM_,@function
_ZN7rocprim17ROCPRIM_400000_NS6detail17trampoline_kernelINS0_14default_configENS1_37merge_sort_block_sort_config_selectorIlNS0_10empty_typeEEEZNS1_21merge_sort_block_sortIS3_PlS8_PS5_S9_ZN2at6native12_GLOBAL__N_124unique_dim_cuda_templateIfEESt5tupleIJNSA_6TensorESF_SF_EERKSF_lbbbEUlllE_EE10hipError_tT0_T1_T2_T3_mRjT4_P12ihipStream_tbNS1_7vsmem_tEEUlT_E_NS1_11comp_targetILNS1_3genE3ELNS1_11target_archE908ELNS1_3gpuE7ELNS1_3repE0EEENS1_30default_config_static_selectorELNS0_4arch9wavefront6targetE0EEEvSM_: ; @_ZN7rocprim17ROCPRIM_400000_NS6detail17trampoline_kernelINS0_14default_configENS1_37merge_sort_block_sort_config_selectorIlNS0_10empty_typeEEEZNS1_21merge_sort_block_sortIS3_PlS8_PS5_S9_ZN2at6native12_GLOBAL__N_124unique_dim_cuda_templateIfEESt5tupleIJNSA_6TensorESF_SF_EERKSF_lbbbEUlllE_EE10hipError_tT0_T1_T2_T3_mRjT4_P12ihipStream_tbNS1_7vsmem_tEEUlT_E_NS1_11comp_targetILNS1_3genE3ELNS1_11target_archE908ELNS1_3gpuE7ELNS1_3repE0EEENS1_30default_config_static_selectorELNS0_4arch9wavefront6targetE0EEEvSM_
; %bb.0:
	.section	.rodata,"a",@progbits
	.p2align	6, 0x0
	.amdhsa_kernel _ZN7rocprim17ROCPRIM_400000_NS6detail17trampoline_kernelINS0_14default_configENS1_37merge_sort_block_sort_config_selectorIlNS0_10empty_typeEEEZNS1_21merge_sort_block_sortIS3_PlS8_PS5_S9_ZN2at6native12_GLOBAL__N_124unique_dim_cuda_templateIfEESt5tupleIJNSA_6TensorESF_SF_EERKSF_lbbbEUlllE_EE10hipError_tT0_T1_T2_T3_mRjT4_P12ihipStream_tbNS1_7vsmem_tEEUlT_E_NS1_11comp_targetILNS1_3genE3ELNS1_11target_archE908ELNS1_3gpuE7ELNS1_3repE0EEENS1_30default_config_static_selectorELNS0_4arch9wavefront6targetE0EEEvSM_
		.amdhsa_group_segment_fixed_size 0
		.amdhsa_private_segment_fixed_size 0
		.amdhsa_kernarg_size 72
		.amdhsa_user_sgpr_count 15
		.amdhsa_user_sgpr_dispatch_ptr 0
		.amdhsa_user_sgpr_queue_ptr 0
		.amdhsa_user_sgpr_kernarg_segment_ptr 1
		.amdhsa_user_sgpr_dispatch_id 0
		.amdhsa_user_sgpr_private_segment_size 0
		.amdhsa_wavefront_size32 1
		.amdhsa_uses_dynamic_stack 0
		.amdhsa_enable_private_segment 0
		.amdhsa_system_sgpr_workgroup_id_x 1
		.amdhsa_system_sgpr_workgroup_id_y 0
		.amdhsa_system_sgpr_workgroup_id_z 0
		.amdhsa_system_sgpr_workgroup_info 0
		.amdhsa_system_vgpr_workitem_id 0
		.amdhsa_next_free_vgpr 1
		.amdhsa_next_free_sgpr 1
		.amdhsa_reserve_vcc 0
		.amdhsa_float_round_mode_32 0
		.amdhsa_float_round_mode_16_64 0
		.amdhsa_float_denorm_mode_32 3
		.amdhsa_float_denorm_mode_16_64 3
		.amdhsa_dx10_clamp 1
		.amdhsa_ieee_mode 1
		.amdhsa_fp16_overflow 0
		.amdhsa_workgroup_processor_mode 1
		.amdhsa_memory_ordered 1
		.amdhsa_forward_progress 0
		.amdhsa_shared_vgpr_count 0
		.amdhsa_exception_fp_ieee_invalid_op 0
		.amdhsa_exception_fp_denorm_src 0
		.amdhsa_exception_fp_ieee_div_zero 0
		.amdhsa_exception_fp_ieee_overflow 0
		.amdhsa_exception_fp_ieee_underflow 0
		.amdhsa_exception_fp_ieee_inexact 0
		.amdhsa_exception_int_div_zero 0
	.end_amdhsa_kernel
	.section	.text._ZN7rocprim17ROCPRIM_400000_NS6detail17trampoline_kernelINS0_14default_configENS1_37merge_sort_block_sort_config_selectorIlNS0_10empty_typeEEEZNS1_21merge_sort_block_sortIS3_PlS8_PS5_S9_ZN2at6native12_GLOBAL__N_124unique_dim_cuda_templateIfEESt5tupleIJNSA_6TensorESF_SF_EERKSF_lbbbEUlllE_EE10hipError_tT0_T1_T2_T3_mRjT4_P12ihipStream_tbNS1_7vsmem_tEEUlT_E_NS1_11comp_targetILNS1_3genE3ELNS1_11target_archE908ELNS1_3gpuE7ELNS1_3repE0EEENS1_30default_config_static_selectorELNS0_4arch9wavefront6targetE0EEEvSM_,"axG",@progbits,_ZN7rocprim17ROCPRIM_400000_NS6detail17trampoline_kernelINS0_14default_configENS1_37merge_sort_block_sort_config_selectorIlNS0_10empty_typeEEEZNS1_21merge_sort_block_sortIS3_PlS8_PS5_S9_ZN2at6native12_GLOBAL__N_124unique_dim_cuda_templateIfEESt5tupleIJNSA_6TensorESF_SF_EERKSF_lbbbEUlllE_EE10hipError_tT0_T1_T2_T3_mRjT4_P12ihipStream_tbNS1_7vsmem_tEEUlT_E_NS1_11comp_targetILNS1_3genE3ELNS1_11target_archE908ELNS1_3gpuE7ELNS1_3repE0EEENS1_30default_config_static_selectorELNS0_4arch9wavefront6targetE0EEEvSM_,comdat
.Lfunc_end874:
	.size	_ZN7rocprim17ROCPRIM_400000_NS6detail17trampoline_kernelINS0_14default_configENS1_37merge_sort_block_sort_config_selectorIlNS0_10empty_typeEEEZNS1_21merge_sort_block_sortIS3_PlS8_PS5_S9_ZN2at6native12_GLOBAL__N_124unique_dim_cuda_templateIfEESt5tupleIJNSA_6TensorESF_SF_EERKSF_lbbbEUlllE_EE10hipError_tT0_T1_T2_T3_mRjT4_P12ihipStream_tbNS1_7vsmem_tEEUlT_E_NS1_11comp_targetILNS1_3genE3ELNS1_11target_archE908ELNS1_3gpuE7ELNS1_3repE0EEENS1_30default_config_static_selectorELNS0_4arch9wavefront6targetE0EEEvSM_, .Lfunc_end874-_ZN7rocprim17ROCPRIM_400000_NS6detail17trampoline_kernelINS0_14default_configENS1_37merge_sort_block_sort_config_selectorIlNS0_10empty_typeEEEZNS1_21merge_sort_block_sortIS3_PlS8_PS5_S9_ZN2at6native12_GLOBAL__N_124unique_dim_cuda_templateIfEESt5tupleIJNSA_6TensorESF_SF_EERKSF_lbbbEUlllE_EE10hipError_tT0_T1_T2_T3_mRjT4_P12ihipStream_tbNS1_7vsmem_tEEUlT_E_NS1_11comp_targetILNS1_3genE3ELNS1_11target_archE908ELNS1_3gpuE7ELNS1_3repE0EEENS1_30default_config_static_selectorELNS0_4arch9wavefront6targetE0EEEvSM_
                                        ; -- End function
	.section	.AMDGPU.csdata,"",@progbits
; Kernel info:
; codeLenInByte = 0
; NumSgprs: 0
; NumVgprs: 0
; ScratchSize: 0
; MemoryBound: 0
; FloatMode: 240
; IeeeMode: 1
; LDSByteSize: 0 bytes/workgroup (compile time only)
; SGPRBlocks: 0
; VGPRBlocks: 0
; NumSGPRsForWavesPerEU: 1
; NumVGPRsForWavesPerEU: 1
; Occupancy: 16
; WaveLimiterHint : 0
; COMPUTE_PGM_RSRC2:SCRATCH_EN: 0
; COMPUTE_PGM_RSRC2:USER_SGPR: 15
; COMPUTE_PGM_RSRC2:TRAP_HANDLER: 0
; COMPUTE_PGM_RSRC2:TGID_X_EN: 1
; COMPUTE_PGM_RSRC2:TGID_Y_EN: 0
; COMPUTE_PGM_RSRC2:TGID_Z_EN: 0
; COMPUTE_PGM_RSRC2:TIDIG_COMP_CNT: 0
	.section	.text._ZN7rocprim17ROCPRIM_400000_NS6detail17trampoline_kernelINS0_14default_configENS1_37merge_sort_block_sort_config_selectorIlNS0_10empty_typeEEEZNS1_21merge_sort_block_sortIS3_PlS8_PS5_S9_ZN2at6native12_GLOBAL__N_124unique_dim_cuda_templateIfEESt5tupleIJNSA_6TensorESF_SF_EERKSF_lbbbEUlllE_EE10hipError_tT0_T1_T2_T3_mRjT4_P12ihipStream_tbNS1_7vsmem_tEEUlT_E_NS1_11comp_targetILNS1_3genE2ELNS1_11target_archE906ELNS1_3gpuE6ELNS1_3repE0EEENS1_30default_config_static_selectorELNS0_4arch9wavefront6targetE0EEEvSM_,"axG",@progbits,_ZN7rocprim17ROCPRIM_400000_NS6detail17trampoline_kernelINS0_14default_configENS1_37merge_sort_block_sort_config_selectorIlNS0_10empty_typeEEEZNS1_21merge_sort_block_sortIS3_PlS8_PS5_S9_ZN2at6native12_GLOBAL__N_124unique_dim_cuda_templateIfEESt5tupleIJNSA_6TensorESF_SF_EERKSF_lbbbEUlllE_EE10hipError_tT0_T1_T2_T3_mRjT4_P12ihipStream_tbNS1_7vsmem_tEEUlT_E_NS1_11comp_targetILNS1_3genE2ELNS1_11target_archE906ELNS1_3gpuE6ELNS1_3repE0EEENS1_30default_config_static_selectorELNS0_4arch9wavefront6targetE0EEEvSM_,comdat
	.globl	_ZN7rocprim17ROCPRIM_400000_NS6detail17trampoline_kernelINS0_14default_configENS1_37merge_sort_block_sort_config_selectorIlNS0_10empty_typeEEEZNS1_21merge_sort_block_sortIS3_PlS8_PS5_S9_ZN2at6native12_GLOBAL__N_124unique_dim_cuda_templateIfEESt5tupleIJNSA_6TensorESF_SF_EERKSF_lbbbEUlllE_EE10hipError_tT0_T1_T2_T3_mRjT4_P12ihipStream_tbNS1_7vsmem_tEEUlT_E_NS1_11comp_targetILNS1_3genE2ELNS1_11target_archE906ELNS1_3gpuE6ELNS1_3repE0EEENS1_30default_config_static_selectorELNS0_4arch9wavefront6targetE0EEEvSM_ ; -- Begin function _ZN7rocprim17ROCPRIM_400000_NS6detail17trampoline_kernelINS0_14default_configENS1_37merge_sort_block_sort_config_selectorIlNS0_10empty_typeEEEZNS1_21merge_sort_block_sortIS3_PlS8_PS5_S9_ZN2at6native12_GLOBAL__N_124unique_dim_cuda_templateIfEESt5tupleIJNSA_6TensorESF_SF_EERKSF_lbbbEUlllE_EE10hipError_tT0_T1_T2_T3_mRjT4_P12ihipStream_tbNS1_7vsmem_tEEUlT_E_NS1_11comp_targetILNS1_3genE2ELNS1_11target_archE906ELNS1_3gpuE6ELNS1_3repE0EEENS1_30default_config_static_selectorELNS0_4arch9wavefront6targetE0EEEvSM_
	.p2align	8
	.type	_ZN7rocprim17ROCPRIM_400000_NS6detail17trampoline_kernelINS0_14default_configENS1_37merge_sort_block_sort_config_selectorIlNS0_10empty_typeEEEZNS1_21merge_sort_block_sortIS3_PlS8_PS5_S9_ZN2at6native12_GLOBAL__N_124unique_dim_cuda_templateIfEESt5tupleIJNSA_6TensorESF_SF_EERKSF_lbbbEUlllE_EE10hipError_tT0_T1_T2_T3_mRjT4_P12ihipStream_tbNS1_7vsmem_tEEUlT_E_NS1_11comp_targetILNS1_3genE2ELNS1_11target_archE906ELNS1_3gpuE6ELNS1_3repE0EEENS1_30default_config_static_selectorELNS0_4arch9wavefront6targetE0EEEvSM_,@function
_ZN7rocprim17ROCPRIM_400000_NS6detail17trampoline_kernelINS0_14default_configENS1_37merge_sort_block_sort_config_selectorIlNS0_10empty_typeEEEZNS1_21merge_sort_block_sortIS3_PlS8_PS5_S9_ZN2at6native12_GLOBAL__N_124unique_dim_cuda_templateIfEESt5tupleIJNSA_6TensorESF_SF_EERKSF_lbbbEUlllE_EE10hipError_tT0_T1_T2_T3_mRjT4_P12ihipStream_tbNS1_7vsmem_tEEUlT_E_NS1_11comp_targetILNS1_3genE2ELNS1_11target_archE906ELNS1_3gpuE6ELNS1_3repE0EEENS1_30default_config_static_selectorELNS0_4arch9wavefront6targetE0EEEvSM_: ; @_ZN7rocprim17ROCPRIM_400000_NS6detail17trampoline_kernelINS0_14default_configENS1_37merge_sort_block_sort_config_selectorIlNS0_10empty_typeEEEZNS1_21merge_sort_block_sortIS3_PlS8_PS5_S9_ZN2at6native12_GLOBAL__N_124unique_dim_cuda_templateIfEESt5tupleIJNSA_6TensorESF_SF_EERKSF_lbbbEUlllE_EE10hipError_tT0_T1_T2_T3_mRjT4_P12ihipStream_tbNS1_7vsmem_tEEUlT_E_NS1_11comp_targetILNS1_3genE2ELNS1_11target_archE906ELNS1_3gpuE6ELNS1_3repE0EEENS1_30default_config_static_selectorELNS0_4arch9wavefront6targetE0EEEvSM_
; %bb.0:
	.section	.rodata,"a",@progbits
	.p2align	6, 0x0
	.amdhsa_kernel _ZN7rocprim17ROCPRIM_400000_NS6detail17trampoline_kernelINS0_14default_configENS1_37merge_sort_block_sort_config_selectorIlNS0_10empty_typeEEEZNS1_21merge_sort_block_sortIS3_PlS8_PS5_S9_ZN2at6native12_GLOBAL__N_124unique_dim_cuda_templateIfEESt5tupleIJNSA_6TensorESF_SF_EERKSF_lbbbEUlllE_EE10hipError_tT0_T1_T2_T3_mRjT4_P12ihipStream_tbNS1_7vsmem_tEEUlT_E_NS1_11comp_targetILNS1_3genE2ELNS1_11target_archE906ELNS1_3gpuE6ELNS1_3repE0EEENS1_30default_config_static_selectorELNS0_4arch9wavefront6targetE0EEEvSM_
		.amdhsa_group_segment_fixed_size 0
		.amdhsa_private_segment_fixed_size 0
		.amdhsa_kernarg_size 72
		.amdhsa_user_sgpr_count 15
		.amdhsa_user_sgpr_dispatch_ptr 0
		.amdhsa_user_sgpr_queue_ptr 0
		.amdhsa_user_sgpr_kernarg_segment_ptr 1
		.amdhsa_user_sgpr_dispatch_id 0
		.amdhsa_user_sgpr_private_segment_size 0
		.amdhsa_wavefront_size32 1
		.amdhsa_uses_dynamic_stack 0
		.amdhsa_enable_private_segment 0
		.amdhsa_system_sgpr_workgroup_id_x 1
		.amdhsa_system_sgpr_workgroup_id_y 0
		.amdhsa_system_sgpr_workgroup_id_z 0
		.amdhsa_system_sgpr_workgroup_info 0
		.amdhsa_system_vgpr_workitem_id 0
		.amdhsa_next_free_vgpr 1
		.amdhsa_next_free_sgpr 1
		.amdhsa_reserve_vcc 0
		.amdhsa_float_round_mode_32 0
		.amdhsa_float_round_mode_16_64 0
		.amdhsa_float_denorm_mode_32 3
		.amdhsa_float_denorm_mode_16_64 3
		.amdhsa_dx10_clamp 1
		.amdhsa_ieee_mode 1
		.amdhsa_fp16_overflow 0
		.amdhsa_workgroup_processor_mode 1
		.amdhsa_memory_ordered 1
		.amdhsa_forward_progress 0
		.amdhsa_shared_vgpr_count 0
		.amdhsa_exception_fp_ieee_invalid_op 0
		.amdhsa_exception_fp_denorm_src 0
		.amdhsa_exception_fp_ieee_div_zero 0
		.amdhsa_exception_fp_ieee_overflow 0
		.amdhsa_exception_fp_ieee_underflow 0
		.amdhsa_exception_fp_ieee_inexact 0
		.amdhsa_exception_int_div_zero 0
	.end_amdhsa_kernel
	.section	.text._ZN7rocprim17ROCPRIM_400000_NS6detail17trampoline_kernelINS0_14default_configENS1_37merge_sort_block_sort_config_selectorIlNS0_10empty_typeEEEZNS1_21merge_sort_block_sortIS3_PlS8_PS5_S9_ZN2at6native12_GLOBAL__N_124unique_dim_cuda_templateIfEESt5tupleIJNSA_6TensorESF_SF_EERKSF_lbbbEUlllE_EE10hipError_tT0_T1_T2_T3_mRjT4_P12ihipStream_tbNS1_7vsmem_tEEUlT_E_NS1_11comp_targetILNS1_3genE2ELNS1_11target_archE906ELNS1_3gpuE6ELNS1_3repE0EEENS1_30default_config_static_selectorELNS0_4arch9wavefront6targetE0EEEvSM_,"axG",@progbits,_ZN7rocprim17ROCPRIM_400000_NS6detail17trampoline_kernelINS0_14default_configENS1_37merge_sort_block_sort_config_selectorIlNS0_10empty_typeEEEZNS1_21merge_sort_block_sortIS3_PlS8_PS5_S9_ZN2at6native12_GLOBAL__N_124unique_dim_cuda_templateIfEESt5tupleIJNSA_6TensorESF_SF_EERKSF_lbbbEUlllE_EE10hipError_tT0_T1_T2_T3_mRjT4_P12ihipStream_tbNS1_7vsmem_tEEUlT_E_NS1_11comp_targetILNS1_3genE2ELNS1_11target_archE906ELNS1_3gpuE6ELNS1_3repE0EEENS1_30default_config_static_selectorELNS0_4arch9wavefront6targetE0EEEvSM_,comdat
.Lfunc_end875:
	.size	_ZN7rocprim17ROCPRIM_400000_NS6detail17trampoline_kernelINS0_14default_configENS1_37merge_sort_block_sort_config_selectorIlNS0_10empty_typeEEEZNS1_21merge_sort_block_sortIS3_PlS8_PS5_S9_ZN2at6native12_GLOBAL__N_124unique_dim_cuda_templateIfEESt5tupleIJNSA_6TensorESF_SF_EERKSF_lbbbEUlllE_EE10hipError_tT0_T1_T2_T3_mRjT4_P12ihipStream_tbNS1_7vsmem_tEEUlT_E_NS1_11comp_targetILNS1_3genE2ELNS1_11target_archE906ELNS1_3gpuE6ELNS1_3repE0EEENS1_30default_config_static_selectorELNS0_4arch9wavefront6targetE0EEEvSM_, .Lfunc_end875-_ZN7rocprim17ROCPRIM_400000_NS6detail17trampoline_kernelINS0_14default_configENS1_37merge_sort_block_sort_config_selectorIlNS0_10empty_typeEEEZNS1_21merge_sort_block_sortIS3_PlS8_PS5_S9_ZN2at6native12_GLOBAL__N_124unique_dim_cuda_templateIfEESt5tupleIJNSA_6TensorESF_SF_EERKSF_lbbbEUlllE_EE10hipError_tT0_T1_T2_T3_mRjT4_P12ihipStream_tbNS1_7vsmem_tEEUlT_E_NS1_11comp_targetILNS1_3genE2ELNS1_11target_archE906ELNS1_3gpuE6ELNS1_3repE0EEENS1_30default_config_static_selectorELNS0_4arch9wavefront6targetE0EEEvSM_
                                        ; -- End function
	.section	.AMDGPU.csdata,"",@progbits
; Kernel info:
; codeLenInByte = 0
; NumSgprs: 0
; NumVgprs: 0
; ScratchSize: 0
; MemoryBound: 0
; FloatMode: 240
; IeeeMode: 1
; LDSByteSize: 0 bytes/workgroup (compile time only)
; SGPRBlocks: 0
; VGPRBlocks: 0
; NumSGPRsForWavesPerEU: 1
; NumVGPRsForWavesPerEU: 1
; Occupancy: 16
; WaveLimiterHint : 0
; COMPUTE_PGM_RSRC2:SCRATCH_EN: 0
; COMPUTE_PGM_RSRC2:USER_SGPR: 15
; COMPUTE_PGM_RSRC2:TRAP_HANDLER: 0
; COMPUTE_PGM_RSRC2:TGID_X_EN: 1
; COMPUTE_PGM_RSRC2:TGID_Y_EN: 0
; COMPUTE_PGM_RSRC2:TGID_Z_EN: 0
; COMPUTE_PGM_RSRC2:TIDIG_COMP_CNT: 0
	.section	.text._ZN7rocprim17ROCPRIM_400000_NS6detail17trampoline_kernelINS0_14default_configENS1_37merge_sort_block_sort_config_selectorIlNS0_10empty_typeEEEZNS1_21merge_sort_block_sortIS3_PlS8_PS5_S9_ZN2at6native12_GLOBAL__N_124unique_dim_cuda_templateIfEESt5tupleIJNSA_6TensorESF_SF_EERKSF_lbbbEUlllE_EE10hipError_tT0_T1_T2_T3_mRjT4_P12ihipStream_tbNS1_7vsmem_tEEUlT_E_NS1_11comp_targetILNS1_3genE10ELNS1_11target_archE1201ELNS1_3gpuE5ELNS1_3repE0EEENS1_30default_config_static_selectorELNS0_4arch9wavefront6targetE0EEEvSM_,"axG",@progbits,_ZN7rocprim17ROCPRIM_400000_NS6detail17trampoline_kernelINS0_14default_configENS1_37merge_sort_block_sort_config_selectorIlNS0_10empty_typeEEEZNS1_21merge_sort_block_sortIS3_PlS8_PS5_S9_ZN2at6native12_GLOBAL__N_124unique_dim_cuda_templateIfEESt5tupleIJNSA_6TensorESF_SF_EERKSF_lbbbEUlllE_EE10hipError_tT0_T1_T2_T3_mRjT4_P12ihipStream_tbNS1_7vsmem_tEEUlT_E_NS1_11comp_targetILNS1_3genE10ELNS1_11target_archE1201ELNS1_3gpuE5ELNS1_3repE0EEENS1_30default_config_static_selectorELNS0_4arch9wavefront6targetE0EEEvSM_,comdat
	.globl	_ZN7rocprim17ROCPRIM_400000_NS6detail17trampoline_kernelINS0_14default_configENS1_37merge_sort_block_sort_config_selectorIlNS0_10empty_typeEEEZNS1_21merge_sort_block_sortIS3_PlS8_PS5_S9_ZN2at6native12_GLOBAL__N_124unique_dim_cuda_templateIfEESt5tupleIJNSA_6TensorESF_SF_EERKSF_lbbbEUlllE_EE10hipError_tT0_T1_T2_T3_mRjT4_P12ihipStream_tbNS1_7vsmem_tEEUlT_E_NS1_11comp_targetILNS1_3genE10ELNS1_11target_archE1201ELNS1_3gpuE5ELNS1_3repE0EEENS1_30default_config_static_selectorELNS0_4arch9wavefront6targetE0EEEvSM_ ; -- Begin function _ZN7rocprim17ROCPRIM_400000_NS6detail17trampoline_kernelINS0_14default_configENS1_37merge_sort_block_sort_config_selectorIlNS0_10empty_typeEEEZNS1_21merge_sort_block_sortIS3_PlS8_PS5_S9_ZN2at6native12_GLOBAL__N_124unique_dim_cuda_templateIfEESt5tupleIJNSA_6TensorESF_SF_EERKSF_lbbbEUlllE_EE10hipError_tT0_T1_T2_T3_mRjT4_P12ihipStream_tbNS1_7vsmem_tEEUlT_E_NS1_11comp_targetILNS1_3genE10ELNS1_11target_archE1201ELNS1_3gpuE5ELNS1_3repE0EEENS1_30default_config_static_selectorELNS0_4arch9wavefront6targetE0EEEvSM_
	.p2align	8
	.type	_ZN7rocprim17ROCPRIM_400000_NS6detail17trampoline_kernelINS0_14default_configENS1_37merge_sort_block_sort_config_selectorIlNS0_10empty_typeEEEZNS1_21merge_sort_block_sortIS3_PlS8_PS5_S9_ZN2at6native12_GLOBAL__N_124unique_dim_cuda_templateIfEESt5tupleIJNSA_6TensorESF_SF_EERKSF_lbbbEUlllE_EE10hipError_tT0_T1_T2_T3_mRjT4_P12ihipStream_tbNS1_7vsmem_tEEUlT_E_NS1_11comp_targetILNS1_3genE10ELNS1_11target_archE1201ELNS1_3gpuE5ELNS1_3repE0EEENS1_30default_config_static_selectorELNS0_4arch9wavefront6targetE0EEEvSM_,@function
_ZN7rocprim17ROCPRIM_400000_NS6detail17trampoline_kernelINS0_14default_configENS1_37merge_sort_block_sort_config_selectorIlNS0_10empty_typeEEEZNS1_21merge_sort_block_sortIS3_PlS8_PS5_S9_ZN2at6native12_GLOBAL__N_124unique_dim_cuda_templateIfEESt5tupleIJNSA_6TensorESF_SF_EERKSF_lbbbEUlllE_EE10hipError_tT0_T1_T2_T3_mRjT4_P12ihipStream_tbNS1_7vsmem_tEEUlT_E_NS1_11comp_targetILNS1_3genE10ELNS1_11target_archE1201ELNS1_3gpuE5ELNS1_3repE0EEENS1_30default_config_static_selectorELNS0_4arch9wavefront6targetE0EEEvSM_: ; @_ZN7rocprim17ROCPRIM_400000_NS6detail17trampoline_kernelINS0_14default_configENS1_37merge_sort_block_sort_config_selectorIlNS0_10empty_typeEEEZNS1_21merge_sort_block_sortIS3_PlS8_PS5_S9_ZN2at6native12_GLOBAL__N_124unique_dim_cuda_templateIfEESt5tupleIJNSA_6TensorESF_SF_EERKSF_lbbbEUlllE_EE10hipError_tT0_T1_T2_T3_mRjT4_P12ihipStream_tbNS1_7vsmem_tEEUlT_E_NS1_11comp_targetILNS1_3genE10ELNS1_11target_archE1201ELNS1_3gpuE5ELNS1_3repE0EEENS1_30default_config_static_selectorELNS0_4arch9wavefront6targetE0EEEvSM_
; %bb.0:
	.section	.rodata,"a",@progbits
	.p2align	6, 0x0
	.amdhsa_kernel _ZN7rocprim17ROCPRIM_400000_NS6detail17trampoline_kernelINS0_14default_configENS1_37merge_sort_block_sort_config_selectorIlNS0_10empty_typeEEEZNS1_21merge_sort_block_sortIS3_PlS8_PS5_S9_ZN2at6native12_GLOBAL__N_124unique_dim_cuda_templateIfEESt5tupleIJNSA_6TensorESF_SF_EERKSF_lbbbEUlllE_EE10hipError_tT0_T1_T2_T3_mRjT4_P12ihipStream_tbNS1_7vsmem_tEEUlT_E_NS1_11comp_targetILNS1_3genE10ELNS1_11target_archE1201ELNS1_3gpuE5ELNS1_3repE0EEENS1_30default_config_static_selectorELNS0_4arch9wavefront6targetE0EEEvSM_
		.amdhsa_group_segment_fixed_size 0
		.amdhsa_private_segment_fixed_size 0
		.amdhsa_kernarg_size 72
		.amdhsa_user_sgpr_count 15
		.amdhsa_user_sgpr_dispatch_ptr 0
		.amdhsa_user_sgpr_queue_ptr 0
		.amdhsa_user_sgpr_kernarg_segment_ptr 1
		.amdhsa_user_sgpr_dispatch_id 0
		.amdhsa_user_sgpr_private_segment_size 0
		.amdhsa_wavefront_size32 1
		.amdhsa_uses_dynamic_stack 0
		.amdhsa_enable_private_segment 0
		.amdhsa_system_sgpr_workgroup_id_x 1
		.amdhsa_system_sgpr_workgroup_id_y 0
		.amdhsa_system_sgpr_workgroup_id_z 0
		.amdhsa_system_sgpr_workgroup_info 0
		.amdhsa_system_vgpr_workitem_id 0
		.amdhsa_next_free_vgpr 1
		.amdhsa_next_free_sgpr 1
		.amdhsa_reserve_vcc 0
		.amdhsa_float_round_mode_32 0
		.amdhsa_float_round_mode_16_64 0
		.amdhsa_float_denorm_mode_32 3
		.amdhsa_float_denorm_mode_16_64 3
		.amdhsa_dx10_clamp 1
		.amdhsa_ieee_mode 1
		.amdhsa_fp16_overflow 0
		.amdhsa_workgroup_processor_mode 1
		.amdhsa_memory_ordered 1
		.amdhsa_forward_progress 0
		.amdhsa_shared_vgpr_count 0
		.amdhsa_exception_fp_ieee_invalid_op 0
		.amdhsa_exception_fp_denorm_src 0
		.amdhsa_exception_fp_ieee_div_zero 0
		.amdhsa_exception_fp_ieee_overflow 0
		.amdhsa_exception_fp_ieee_underflow 0
		.amdhsa_exception_fp_ieee_inexact 0
		.amdhsa_exception_int_div_zero 0
	.end_amdhsa_kernel
	.section	.text._ZN7rocprim17ROCPRIM_400000_NS6detail17trampoline_kernelINS0_14default_configENS1_37merge_sort_block_sort_config_selectorIlNS0_10empty_typeEEEZNS1_21merge_sort_block_sortIS3_PlS8_PS5_S9_ZN2at6native12_GLOBAL__N_124unique_dim_cuda_templateIfEESt5tupleIJNSA_6TensorESF_SF_EERKSF_lbbbEUlllE_EE10hipError_tT0_T1_T2_T3_mRjT4_P12ihipStream_tbNS1_7vsmem_tEEUlT_E_NS1_11comp_targetILNS1_3genE10ELNS1_11target_archE1201ELNS1_3gpuE5ELNS1_3repE0EEENS1_30default_config_static_selectorELNS0_4arch9wavefront6targetE0EEEvSM_,"axG",@progbits,_ZN7rocprim17ROCPRIM_400000_NS6detail17trampoline_kernelINS0_14default_configENS1_37merge_sort_block_sort_config_selectorIlNS0_10empty_typeEEEZNS1_21merge_sort_block_sortIS3_PlS8_PS5_S9_ZN2at6native12_GLOBAL__N_124unique_dim_cuda_templateIfEESt5tupleIJNSA_6TensorESF_SF_EERKSF_lbbbEUlllE_EE10hipError_tT0_T1_T2_T3_mRjT4_P12ihipStream_tbNS1_7vsmem_tEEUlT_E_NS1_11comp_targetILNS1_3genE10ELNS1_11target_archE1201ELNS1_3gpuE5ELNS1_3repE0EEENS1_30default_config_static_selectorELNS0_4arch9wavefront6targetE0EEEvSM_,comdat
.Lfunc_end876:
	.size	_ZN7rocprim17ROCPRIM_400000_NS6detail17trampoline_kernelINS0_14default_configENS1_37merge_sort_block_sort_config_selectorIlNS0_10empty_typeEEEZNS1_21merge_sort_block_sortIS3_PlS8_PS5_S9_ZN2at6native12_GLOBAL__N_124unique_dim_cuda_templateIfEESt5tupleIJNSA_6TensorESF_SF_EERKSF_lbbbEUlllE_EE10hipError_tT0_T1_T2_T3_mRjT4_P12ihipStream_tbNS1_7vsmem_tEEUlT_E_NS1_11comp_targetILNS1_3genE10ELNS1_11target_archE1201ELNS1_3gpuE5ELNS1_3repE0EEENS1_30default_config_static_selectorELNS0_4arch9wavefront6targetE0EEEvSM_, .Lfunc_end876-_ZN7rocprim17ROCPRIM_400000_NS6detail17trampoline_kernelINS0_14default_configENS1_37merge_sort_block_sort_config_selectorIlNS0_10empty_typeEEEZNS1_21merge_sort_block_sortIS3_PlS8_PS5_S9_ZN2at6native12_GLOBAL__N_124unique_dim_cuda_templateIfEESt5tupleIJNSA_6TensorESF_SF_EERKSF_lbbbEUlllE_EE10hipError_tT0_T1_T2_T3_mRjT4_P12ihipStream_tbNS1_7vsmem_tEEUlT_E_NS1_11comp_targetILNS1_3genE10ELNS1_11target_archE1201ELNS1_3gpuE5ELNS1_3repE0EEENS1_30default_config_static_selectorELNS0_4arch9wavefront6targetE0EEEvSM_
                                        ; -- End function
	.section	.AMDGPU.csdata,"",@progbits
; Kernel info:
; codeLenInByte = 0
; NumSgprs: 0
; NumVgprs: 0
; ScratchSize: 0
; MemoryBound: 0
; FloatMode: 240
; IeeeMode: 1
; LDSByteSize: 0 bytes/workgroup (compile time only)
; SGPRBlocks: 0
; VGPRBlocks: 0
; NumSGPRsForWavesPerEU: 1
; NumVGPRsForWavesPerEU: 1
; Occupancy: 16
; WaveLimiterHint : 0
; COMPUTE_PGM_RSRC2:SCRATCH_EN: 0
; COMPUTE_PGM_RSRC2:USER_SGPR: 15
; COMPUTE_PGM_RSRC2:TRAP_HANDLER: 0
; COMPUTE_PGM_RSRC2:TGID_X_EN: 1
; COMPUTE_PGM_RSRC2:TGID_Y_EN: 0
; COMPUTE_PGM_RSRC2:TGID_Z_EN: 0
; COMPUTE_PGM_RSRC2:TIDIG_COMP_CNT: 0
	.section	.text._ZN7rocprim17ROCPRIM_400000_NS6detail17trampoline_kernelINS0_14default_configENS1_37merge_sort_block_sort_config_selectorIlNS0_10empty_typeEEEZNS1_21merge_sort_block_sortIS3_PlS8_PS5_S9_ZN2at6native12_GLOBAL__N_124unique_dim_cuda_templateIfEESt5tupleIJNSA_6TensorESF_SF_EERKSF_lbbbEUlllE_EE10hipError_tT0_T1_T2_T3_mRjT4_P12ihipStream_tbNS1_7vsmem_tEEUlT_E_NS1_11comp_targetILNS1_3genE10ELNS1_11target_archE1200ELNS1_3gpuE4ELNS1_3repE0EEENS1_30default_config_static_selectorELNS0_4arch9wavefront6targetE0EEEvSM_,"axG",@progbits,_ZN7rocprim17ROCPRIM_400000_NS6detail17trampoline_kernelINS0_14default_configENS1_37merge_sort_block_sort_config_selectorIlNS0_10empty_typeEEEZNS1_21merge_sort_block_sortIS3_PlS8_PS5_S9_ZN2at6native12_GLOBAL__N_124unique_dim_cuda_templateIfEESt5tupleIJNSA_6TensorESF_SF_EERKSF_lbbbEUlllE_EE10hipError_tT0_T1_T2_T3_mRjT4_P12ihipStream_tbNS1_7vsmem_tEEUlT_E_NS1_11comp_targetILNS1_3genE10ELNS1_11target_archE1200ELNS1_3gpuE4ELNS1_3repE0EEENS1_30default_config_static_selectorELNS0_4arch9wavefront6targetE0EEEvSM_,comdat
	.globl	_ZN7rocprim17ROCPRIM_400000_NS6detail17trampoline_kernelINS0_14default_configENS1_37merge_sort_block_sort_config_selectorIlNS0_10empty_typeEEEZNS1_21merge_sort_block_sortIS3_PlS8_PS5_S9_ZN2at6native12_GLOBAL__N_124unique_dim_cuda_templateIfEESt5tupleIJNSA_6TensorESF_SF_EERKSF_lbbbEUlllE_EE10hipError_tT0_T1_T2_T3_mRjT4_P12ihipStream_tbNS1_7vsmem_tEEUlT_E_NS1_11comp_targetILNS1_3genE10ELNS1_11target_archE1200ELNS1_3gpuE4ELNS1_3repE0EEENS1_30default_config_static_selectorELNS0_4arch9wavefront6targetE0EEEvSM_ ; -- Begin function _ZN7rocprim17ROCPRIM_400000_NS6detail17trampoline_kernelINS0_14default_configENS1_37merge_sort_block_sort_config_selectorIlNS0_10empty_typeEEEZNS1_21merge_sort_block_sortIS3_PlS8_PS5_S9_ZN2at6native12_GLOBAL__N_124unique_dim_cuda_templateIfEESt5tupleIJNSA_6TensorESF_SF_EERKSF_lbbbEUlllE_EE10hipError_tT0_T1_T2_T3_mRjT4_P12ihipStream_tbNS1_7vsmem_tEEUlT_E_NS1_11comp_targetILNS1_3genE10ELNS1_11target_archE1200ELNS1_3gpuE4ELNS1_3repE0EEENS1_30default_config_static_selectorELNS0_4arch9wavefront6targetE0EEEvSM_
	.p2align	8
	.type	_ZN7rocprim17ROCPRIM_400000_NS6detail17trampoline_kernelINS0_14default_configENS1_37merge_sort_block_sort_config_selectorIlNS0_10empty_typeEEEZNS1_21merge_sort_block_sortIS3_PlS8_PS5_S9_ZN2at6native12_GLOBAL__N_124unique_dim_cuda_templateIfEESt5tupleIJNSA_6TensorESF_SF_EERKSF_lbbbEUlllE_EE10hipError_tT0_T1_T2_T3_mRjT4_P12ihipStream_tbNS1_7vsmem_tEEUlT_E_NS1_11comp_targetILNS1_3genE10ELNS1_11target_archE1200ELNS1_3gpuE4ELNS1_3repE0EEENS1_30default_config_static_selectorELNS0_4arch9wavefront6targetE0EEEvSM_,@function
_ZN7rocprim17ROCPRIM_400000_NS6detail17trampoline_kernelINS0_14default_configENS1_37merge_sort_block_sort_config_selectorIlNS0_10empty_typeEEEZNS1_21merge_sort_block_sortIS3_PlS8_PS5_S9_ZN2at6native12_GLOBAL__N_124unique_dim_cuda_templateIfEESt5tupleIJNSA_6TensorESF_SF_EERKSF_lbbbEUlllE_EE10hipError_tT0_T1_T2_T3_mRjT4_P12ihipStream_tbNS1_7vsmem_tEEUlT_E_NS1_11comp_targetILNS1_3genE10ELNS1_11target_archE1200ELNS1_3gpuE4ELNS1_3repE0EEENS1_30default_config_static_selectorELNS0_4arch9wavefront6targetE0EEEvSM_: ; @_ZN7rocprim17ROCPRIM_400000_NS6detail17trampoline_kernelINS0_14default_configENS1_37merge_sort_block_sort_config_selectorIlNS0_10empty_typeEEEZNS1_21merge_sort_block_sortIS3_PlS8_PS5_S9_ZN2at6native12_GLOBAL__N_124unique_dim_cuda_templateIfEESt5tupleIJNSA_6TensorESF_SF_EERKSF_lbbbEUlllE_EE10hipError_tT0_T1_T2_T3_mRjT4_P12ihipStream_tbNS1_7vsmem_tEEUlT_E_NS1_11comp_targetILNS1_3genE10ELNS1_11target_archE1200ELNS1_3gpuE4ELNS1_3repE0EEENS1_30default_config_static_selectorELNS0_4arch9wavefront6targetE0EEEvSM_
; %bb.0:
	.section	.rodata,"a",@progbits
	.p2align	6, 0x0
	.amdhsa_kernel _ZN7rocprim17ROCPRIM_400000_NS6detail17trampoline_kernelINS0_14default_configENS1_37merge_sort_block_sort_config_selectorIlNS0_10empty_typeEEEZNS1_21merge_sort_block_sortIS3_PlS8_PS5_S9_ZN2at6native12_GLOBAL__N_124unique_dim_cuda_templateIfEESt5tupleIJNSA_6TensorESF_SF_EERKSF_lbbbEUlllE_EE10hipError_tT0_T1_T2_T3_mRjT4_P12ihipStream_tbNS1_7vsmem_tEEUlT_E_NS1_11comp_targetILNS1_3genE10ELNS1_11target_archE1200ELNS1_3gpuE4ELNS1_3repE0EEENS1_30default_config_static_selectorELNS0_4arch9wavefront6targetE0EEEvSM_
		.amdhsa_group_segment_fixed_size 0
		.amdhsa_private_segment_fixed_size 0
		.amdhsa_kernarg_size 72
		.amdhsa_user_sgpr_count 15
		.amdhsa_user_sgpr_dispatch_ptr 0
		.amdhsa_user_sgpr_queue_ptr 0
		.amdhsa_user_sgpr_kernarg_segment_ptr 1
		.amdhsa_user_sgpr_dispatch_id 0
		.amdhsa_user_sgpr_private_segment_size 0
		.amdhsa_wavefront_size32 1
		.amdhsa_uses_dynamic_stack 0
		.amdhsa_enable_private_segment 0
		.amdhsa_system_sgpr_workgroup_id_x 1
		.amdhsa_system_sgpr_workgroup_id_y 0
		.amdhsa_system_sgpr_workgroup_id_z 0
		.amdhsa_system_sgpr_workgroup_info 0
		.amdhsa_system_vgpr_workitem_id 0
		.amdhsa_next_free_vgpr 1
		.amdhsa_next_free_sgpr 1
		.amdhsa_reserve_vcc 0
		.amdhsa_float_round_mode_32 0
		.amdhsa_float_round_mode_16_64 0
		.amdhsa_float_denorm_mode_32 3
		.amdhsa_float_denorm_mode_16_64 3
		.amdhsa_dx10_clamp 1
		.amdhsa_ieee_mode 1
		.amdhsa_fp16_overflow 0
		.amdhsa_workgroup_processor_mode 1
		.amdhsa_memory_ordered 1
		.amdhsa_forward_progress 0
		.amdhsa_shared_vgpr_count 0
		.amdhsa_exception_fp_ieee_invalid_op 0
		.amdhsa_exception_fp_denorm_src 0
		.amdhsa_exception_fp_ieee_div_zero 0
		.amdhsa_exception_fp_ieee_overflow 0
		.amdhsa_exception_fp_ieee_underflow 0
		.amdhsa_exception_fp_ieee_inexact 0
		.amdhsa_exception_int_div_zero 0
	.end_amdhsa_kernel
	.section	.text._ZN7rocprim17ROCPRIM_400000_NS6detail17trampoline_kernelINS0_14default_configENS1_37merge_sort_block_sort_config_selectorIlNS0_10empty_typeEEEZNS1_21merge_sort_block_sortIS3_PlS8_PS5_S9_ZN2at6native12_GLOBAL__N_124unique_dim_cuda_templateIfEESt5tupleIJNSA_6TensorESF_SF_EERKSF_lbbbEUlllE_EE10hipError_tT0_T1_T2_T3_mRjT4_P12ihipStream_tbNS1_7vsmem_tEEUlT_E_NS1_11comp_targetILNS1_3genE10ELNS1_11target_archE1200ELNS1_3gpuE4ELNS1_3repE0EEENS1_30default_config_static_selectorELNS0_4arch9wavefront6targetE0EEEvSM_,"axG",@progbits,_ZN7rocprim17ROCPRIM_400000_NS6detail17trampoline_kernelINS0_14default_configENS1_37merge_sort_block_sort_config_selectorIlNS0_10empty_typeEEEZNS1_21merge_sort_block_sortIS3_PlS8_PS5_S9_ZN2at6native12_GLOBAL__N_124unique_dim_cuda_templateIfEESt5tupleIJNSA_6TensorESF_SF_EERKSF_lbbbEUlllE_EE10hipError_tT0_T1_T2_T3_mRjT4_P12ihipStream_tbNS1_7vsmem_tEEUlT_E_NS1_11comp_targetILNS1_3genE10ELNS1_11target_archE1200ELNS1_3gpuE4ELNS1_3repE0EEENS1_30default_config_static_selectorELNS0_4arch9wavefront6targetE0EEEvSM_,comdat
.Lfunc_end877:
	.size	_ZN7rocprim17ROCPRIM_400000_NS6detail17trampoline_kernelINS0_14default_configENS1_37merge_sort_block_sort_config_selectorIlNS0_10empty_typeEEEZNS1_21merge_sort_block_sortIS3_PlS8_PS5_S9_ZN2at6native12_GLOBAL__N_124unique_dim_cuda_templateIfEESt5tupleIJNSA_6TensorESF_SF_EERKSF_lbbbEUlllE_EE10hipError_tT0_T1_T2_T3_mRjT4_P12ihipStream_tbNS1_7vsmem_tEEUlT_E_NS1_11comp_targetILNS1_3genE10ELNS1_11target_archE1200ELNS1_3gpuE4ELNS1_3repE0EEENS1_30default_config_static_selectorELNS0_4arch9wavefront6targetE0EEEvSM_, .Lfunc_end877-_ZN7rocprim17ROCPRIM_400000_NS6detail17trampoline_kernelINS0_14default_configENS1_37merge_sort_block_sort_config_selectorIlNS0_10empty_typeEEEZNS1_21merge_sort_block_sortIS3_PlS8_PS5_S9_ZN2at6native12_GLOBAL__N_124unique_dim_cuda_templateIfEESt5tupleIJNSA_6TensorESF_SF_EERKSF_lbbbEUlllE_EE10hipError_tT0_T1_T2_T3_mRjT4_P12ihipStream_tbNS1_7vsmem_tEEUlT_E_NS1_11comp_targetILNS1_3genE10ELNS1_11target_archE1200ELNS1_3gpuE4ELNS1_3repE0EEENS1_30default_config_static_selectorELNS0_4arch9wavefront6targetE0EEEvSM_
                                        ; -- End function
	.section	.AMDGPU.csdata,"",@progbits
; Kernel info:
; codeLenInByte = 0
; NumSgprs: 0
; NumVgprs: 0
; ScratchSize: 0
; MemoryBound: 0
; FloatMode: 240
; IeeeMode: 1
; LDSByteSize: 0 bytes/workgroup (compile time only)
; SGPRBlocks: 0
; VGPRBlocks: 0
; NumSGPRsForWavesPerEU: 1
; NumVGPRsForWavesPerEU: 1
; Occupancy: 16
; WaveLimiterHint : 0
; COMPUTE_PGM_RSRC2:SCRATCH_EN: 0
; COMPUTE_PGM_RSRC2:USER_SGPR: 15
; COMPUTE_PGM_RSRC2:TRAP_HANDLER: 0
; COMPUTE_PGM_RSRC2:TGID_X_EN: 1
; COMPUTE_PGM_RSRC2:TGID_Y_EN: 0
; COMPUTE_PGM_RSRC2:TGID_Z_EN: 0
; COMPUTE_PGM_RSRC2:TIDIG_COMP_CNT: 0
	.section	.text._ZN7rocprim17ROCPRIM_400000_NS6detail17trampoline_kernelINS0_14default_configENS1_37merge_sort_block_sort_config_selectorIlNS0_10empty_typeEEEZNS1_21merge_sort_block_sortIS3_PlS8_PS5_S9_ZN2at6native12_GLOBAL__N_124unique_dim_cuda_templateIfEESt5tupleIJNSA_6TensorESF_SF_EERKSF_lbbbEUlllE_EE10hipError_tT0_T1_T2_T3_mRjT4_P12ihipStream_tbNS1_7vsmem_tEEUlT_E_NS1_11comp_targetILNS1_3genE9ELNS1_11target_archE1100ELNS1_3gpuE3ELNS1_3repE0EEENS1_30default_config_static_selectorELNS0_4arch9wavefront6targetE0EEEvSM_,"axG",@progbits,_ZN7rocprim17ROCPRIM_400000_NS6detail17trampoline_kernelINS0_14default_configENS1_37merge_sort_block_sort_config_selectorIlNS0_10empty_typeEEEZNS1_21merge_sort_block_sortIS3_PlS8_PS5_S9_ZN2at6native12_GLOBAL__N_124unique_dim_cuda_templateIfEESt5tupleIJNSA_6TensorESF_SF_EERKSF_lbbbEUlllE_EE10hipError_tT0_T1_T2_T3_mRjT4_P12ihipStream_tbNS1_7vsmem_tEEUlT_E_NS1_11comp_targetILNS1_3genE9ELNS1_11target_archE1100ELNS1_3gpuE3ELNS1_3repE0EEENS1_30default_config_static_selectorELNS0_4arch9wavefront6targetE0EEEvSM_,comdat
	.globl	_ZN7rocprim17ROCPRIM_400000_NS6detail17trampoline_kernelINS0_14default_configENS1_37merge_sort_block_sort_config_selectorIlNS0_10empty_typeEEEZNS1_21merge_sort_block_sortIS3_PlS8_PS5_S9_ZN2at6native12_GLOBAL__N_124unique_dim_cuda_templateIfEESt5tupleIJNSA_6TensorESF_SF_EERKSF_lbbbEUlllE_EE10hipError_tT0_T1_T2_T3_mRjT4_P12ihipStream_tbNS1_7vsmem_tEEUlT_E_NS1_11comp_targetILNS1_3genE9ELNS1_11target_archE1100ELNS1_3gpuE3ELNS1_3repE0EEENS1_30default_config_static_selectorELNS0_4arch9wavefront6targetE0EEEvSM_ ; -- Begin function _ZN7rocprim17ROCPRIM_400000_NS6detail17trampoline_kernelINS0_14default_configENS1_37merge_sort_block_sort_config_selectorIlNS0_10empty_typeEEEZNS1_21merge_sort_block_sortIS3_PlS8_PS5_S9_ZN2at6native12_GLOBAL__N_124unique_dim_cuda_templateIfEESt5tupleIJNSA_6TensorESF_SF_EERKSF_lbbbEUlllE_EE10hipError_tT0_T1_T2_T3_mRjT4_P12ihipStream_tbNS1_7vsmem_tEEUlT_E_NS1_11comp_targetILNS1_3genE9ELNS1_11target_archE1100ELNS1_3gpuE3ELNS1_3repE0EEENS1_30default_config_static_selectorELNS0_4arch9wavefront6targetE0EEEvSM_
	.p2align	8
	.type	_ZN7rocprim17ROCPRIM_400000_NS6detail17trampoline_kernelINS0_14default_configENS1_37merge_sort_block_sort_config_selectorIlNS0_10empty_typeEEEZNS1_21merge_sort_block_sortIS3_PlS8_PS5_S9_ZN2at6native12_GLOBAL__N_124unique_dim_cuda_templateIfEESt5tupleIJNSA_6TensorESF_SF_EERKSF_lbbbEUlllE_EE10hipError_tT0_T1_T2_T3_mRjT4_P12ihipStream_tbNS1_7vsmem_tEEUlT_E_NS1_11comp_targetILNS1_3genE9ELNS1_11target_archE1100ELNS1_3gpuE3ELNS1_3repE0EEENS1_30default_config_static_selectorELNS0_4arch9wavefront6targetE0EEEvSM_,@function
_ZN7rocprim17ROCPRIM_400000_NS6detail17trampoline_kernelINS0_14default_configENS1_37merge_sort_block_sort_config_selectorIlNS0_10empty_typeEEEZNS1_21merge_sort_block_sortIS3_PlS8_PS5_S9_ZN2at6native12_GLOBAL__N_124unique_dim_cuda_templateIfEESt5tupleIJNSA_6TensorESF_SF_EERKSF_lbbbEUlllE_EE10hipError_tT0_T1_T2_T3_mRjT4_P12ihipStream_tbNS1_7vsmem_tEEUlT_E_NS1_11comp_targetILNS1_3genE9ELNS1_11target_archE1100ELNS1_3gpuE3ELNS1_3repE0EEENS1_30default_config_static_selectorELNS0_4arch9wavefront6targetE0EEEvSM_: ; @_ZN7rocprim17ROCPRIM_400000_NS6detail17trampoline_kernelINS0_14default_configENS1_37merge_sort_block_sort_config_selectorIlNS0_10empty_typeEEEZNS1_21merge_sort_block_sortIS3_PlS8_PS5_S9_ZN2at6native12_GLOBAL__N_124unique_dim_cuda_templateIfEESt5tupleIJNSA_6TensorESF_SF_EERKSF_lbbbEUlllE_EE10hipError_tT0_T1_T2_T3_mRjT4_P12ihipStream_tbNS1_7vsmem_tEEUlT_E_NS1_11comp_targetILNS1_3genE9ELNS1_11target_archE1100ELNS1_3gpuE3ELNS1_3repE0EEENS1_30default_config_static_selectorELNS0_4arch9wavefront6targetE0EEEvSM_
; %bb.0:
	s_clause 0x1
	s_load_b64 s[16:17], s[0:1], 0x48
	s_load_b32 s3, s[0:1], 0x0
	s_add_u32 s4, s0, 0x48
	s_addc_u32 s5, s1, 0
	s_waitcnt lgkmcnt(0)
	s_mul_i32 s2, s17, s15
	s_delay_alu instid0(SALU_CYCLE_1) | instskip(NEXT) | instid1(SALU_CYCLE_1)
	s_add_i32 s2, s2, s14
	s_mul_i32 s2, s2, s16
	s_delay_alu instid0(SALU_CYCLE_1) | instskip(NEXT) | instid1(SALU_CYCLE_1)
	s_add_i32 s2, s2, s13
	s_cmp_ge_u32 s2, s3
	s_cbranch_scc1 .LBB878_726
; %bb.1:
	s_clause 0x2
	s_load_b64 s[18:19], s[0:1], 0x8
	s_load_b128 s[8:11], s[0:1], 0x38
	s_load_b128 s[20:23], s[0:1], 0x18
	v_and_b32_e32 v12, 0x3ff, v0
	s_mov_b32 s3, 0
	v_bfe_u32 v24, v0, 10, 10
	s_lshl_b64 s[0:1], s[2:3], 13
	v_bfe_u32 v25, v0, 20, 10
	v_lshlrev_b32_e32 v22, 3, v12
	v_lshrrev_b32_e32 v27, 2, v12
	v_add_nc_u32_e32 v30, 0x100, v12
	v_add_nc_u32_e32 v29, 0x200, v12
	;; [unrolled: 1-line block ×3, first 2 shown]
	v_lshlrev_b32_e32 v23, 2, v12
	v_lshrrev_b32_e32 v26, 3, v12
	s_waitcnt lgkmcnt(0)
	s_lshr_b64 s[24:25], s[18:19], 10
	v_cmp_gt_i64_e64 s17, s[8:9], 0
	s_add_u32 s14, s20, s0
	s_addc_u32 s15, s21, s1
	s_add_u32 s6, s22, s0
	s_addc_u32 s7, s23, s1
	s_cmp_lg_u64 s[24:25], s[2:3]
	s_cbranch_scc0 .LBB878_8
; %bb.2:
	v_add_co_u32 v0, s0, s14, v22
	s_delay_alu instid0(VALU_DEP_1) | instskip(SKIP_1) | instid1(VALU_DEP_3)
	v_add_co_ci_u32_e64 v1, null, s15, 0, s0
	v_lshrrev_b32_e32 v8, 2, v30
	v_add_co_u32 v0, vcc_lo, 0x1000, v0
	s_delay_alu instid0(VALU_DEP_3)
	v_add_co_ci_u32_e32 v1, vcc_lo, 0, v1, vcc_lo
	v_lshrrev_b32_e32 v9, 2, v29
	s_clause 0x3
	global_load_b64 v[2:3], v22, s[14:15]
	global_load_b64 v[4:5], v22, s[14:15] offset:2048
	global_load_b64 v[6:7], v[0:1], off
	global_load_b64 v[0:1], v[0:1], off offset:2048
	v_lshrrev_b32_e32 v10, 2, v28
	v_and_b32_e32 v11, 0xf8, v27
	v_dual_mov_b32 v13, 0 :: v_dual_and_b32 v8, 0x1f8, v8
	v_and_b32_e32 v9, 0x1f8, v9
	s_delay_alu instid0(VALU_DEP_4) | instskip(NEXT) | instid1(VALU_DEP_4)
	v_and_b32_e32 v10, 0x1f8, v10
	v_add_nc_u32_e32 v31, v11, v22
	v_add_lshl_u32 v35, v26, v23, 3
	v_add_nc_u32_e32 v34, v8, v22
	v_add_nc_u32_e32 v32, v9, v22
	;; [unrolled: 1-line block ×3, first 2 shown]
	v_cndmask_b32_e64 v36, 0, 1, s17
	s_waitcnt vmcnt(3)
	ds_store_b64 v31, v[2:3]
	s_waitcnt vmcnt(2)
	ds_store_b64 v34, v[4:5] offset:2048
	s_waitcnt vmcnt(1)
	ds_store_b64 v32, v[6:7] offset:4096
	;; [unrolled: 2-line block ×3, first 2 shown]
	s_waitcnt lgkmcnt(0)
	s_barrier
	buffer_gl0_inv
	ds_load_2addr_b64 v[8:11], v35 offset1:1
	ds_load_2addr_b64 v[4:7], v35 offset0:2 offset1:3
	s_waitcnt lgkmcnt(0)
	s_barrier
	buffer_gl0_inv
	s_load_b32 s0, s[4:5], 0xc
	v_dual_mov_b32 v3, v11 :: v_dual_mov_b32 v2, v10
	s_waitcnt lgkmcnt(0)
	s_lshr_b32 s12, s0, 16
	s_cmp_lt_u32 s13, s16
	v_mad_u32_u24 v1, v25, s12, v24
	s_cselect_b32 s0, 12, 18
	s_mov_b32 s12, exec_lo
	s_add_u32 s0, s4, s0
	s_addc_u32 s1, s5, 0
	global_load_u16 v0, v13, s[0:1]
	s_waitcnt vmcnt(0)
	v_mul_lo_u32 v0, v1, v0
	v_mov_b32_e32 v1, v9
	s_delay_alu instid0(VALU_DEP_2) | instskip(SKIP_1) | instid1(VALU_DEP_2)
	v_add_lshl_u32 v37, v0, v12, 2
	v_mov_b32_e32 v0, v8
	v_cmpx_gt_u32_e32 0x400, v37
	s_cbranch_execz .LBB878_60
; %bb.3:
	s_and_not1_b32 vcc_lo, exec_lo, s17
	s_cbranch_vccnz .LBB878_14
; %bb.4:
	v_mul_lo_u32 v18, v11, s8
	v_mul_lo_u32 v19, v10, s9
	v_mad_u64_u32 v[14:15], null, v10, s8, 0
	v_mul_lo_u32 v20, v9, s8
	v_mul_lo_u32 v21, v8, s9
	v_mad_u64_u32 v[16:17], null, v8, s8, 0
	s_mov_b32 s22, 0
	s_mov_b64 s[20:21], s[8:9]
	s_delay_alu instid0(VALU_DEP_4) | instskip(NEXT) | instid1(VALU_DEP_2)
	v_add3_u32 v15, v15, v19, v18
                                        ; implicit-def: $sgpr19
                                        ; implicit-def: $sgpr23
                                        ; implicit-def: $sgpr25
                                        ; implicit-def: $sgpr24
                                        ; implicit-def: $sgpr26
                                        ; implicit-def: $sgpr27
	v_add3_u32 v17, v17, v21, v20
	s_delay_alu instid0(VALU_DEP_2) | instskip(NEXT) | instid1(VALU_DEP_2)
	v_lshlrev_b64 v[14:15], 2, v[14:15]
	v_lshlrev_b64 v[16:17], 2, v[16:17]
	s_delay_alu instid0(VALU_DEP_2) | instskip(NEXT) | instid1(VALU_DEP_3)
	v_add_co_u32 v14, vcc_lo, s10, v14
	v_add_co_ci_u32_e32 v15, vcc_lo, s11, v15, vcc_lo
	s_delay_alu instid0(VALU_DEP_3) | instskip(NEXT) | instid1(VALU_DEP_4)
	v_add_co_u32 v16, vcc_lo, s10, v16
	v_add_co_ci_u32_e32 v17, vcc_lo, s11, v17, vcc_lo
	s_set_inst_prefetch_distance 0x1
	s_branch .LBB878_6
	.p2align	6
.LBB878_5:                              ;   in Loop: Header=BB878_6 Depth=1
	s_or_b32 exec_lo, exec_lo, s28
	s_delay_alu instid0(SALU_CYCLE_1) | instskip(NEXT) | instid1(SALU_CYCLE_1)
	s_and_b32 s1, exec_lo, s25
	s_or_b32 s22, s1, s22
	s_and_not1_b32 s1, s27, exec_lo
	s_and_b32 s27, s26, exec_lo
	s_and_not1_b32 s23, s23, exec_lo
	s_or_b32 s27, s1, s27
	s_and_b32 s1, s24, exec_lo
	s_and_not1_b32 s19, s19, exec_lo
	s_and_b32 s0, s0, exec_lo
	s_or_b32 s23, s23, s1
	s_or_b32 s19, s19, s0
	s_and_not1_b32 exec_lo, exec_lo, s22
	s_cbranch_execz .LBB878_9
.LBB878_6:                              ; =>This Inner Loop Header: Depth=1
	global_load_b32 v18, v[14:15], off
	global_load_b32 v19, v[16:17], off
	s_and_not1_b32 s26, s26, exec_lo
	s_or_b32 s24, s24, exec_lo
	s_or_b32 s25, s25, exec_lo
	s_waitcnt vmcnt(0)
	v_cmp_ngt_f32_e32 vcc_lo, v18, v19
	v_cmp_lt_f32_e64 s0, v18, v19
	s_and_b32 s28, vcc_lo, s27
	s_delay_alu instid0(VALU_DEP_1) | instid1(SALU_CYCLE_1)
	s_or_b32 s0, s0, s28
	s_mov_b32 s28, exec_lo
	v_cmpx_nlg_f32_e32 v18, v19
	s_cbranch_execz .LBB878_5
; %bb.7:                                ;   in Loop: Header=BB878_6 Depth=1
	s_add_u32 s20, s20, -1
	s_addc_u32 s21, s21, -1
	v_add_co_u32 v14, vcc_lo, v14, 4
	s_cmp_eq_u64 s[20:21], 0
	v_add_co_ci_u32_e32 v15, vcc_lo, 0, v15, vcc_lo
	v_add_co_u32 v16, vcc_lo, v16, 4
	s_cselect_b32 s1, -1, 0
	v_add_co_ci_u32_e32 v17, vcc_lo, 0, v17, vcc_lo
	s_and_not1_b32 s26, s26, exec_lo
	s_and_b32 s27, s0, exec_lo
	s_and_not1_b32 s25, s25, exec_lo
	s_and_b32 s1, s1, exec_lo
	s_or_b32 s26, s26, s27
	s_and_not1_b32 s24, s24, exec_lo
	s_or_b32 s25, s25, s1
                                        ; implicit-def: $sgpr27
	s_branch .LBB878_5
.LBB878_8:
	s_mov_b32 s17, s3
                                        ; implicit-def: $vgpr0_vgpr1
	s_cbranch_execnz .LBB878_430
	s_branch .LBB878_724
.LBB878_9:
	s_set_inst_prefetch_distance 0x2
	s_or_b32 exec_lo, exec_lo, s22
	s_and_saveexec_b32 s0, s23
	s_delay_alu instid0(SALU_CYCLE_1)
	s_xor_b32 s0, exec_lo, s0
	s_cbranch_execz .LBB878_13
; %bb.10:
	v_dual_mov_b32 v15, v11 :: v_dual_mov_b32 v14, v10
	s_and_saveexec_b32 s1, s19
; %bb.11:
	v_dual_mov_b32 v0, v10 :: v_dual_mov_b32 v1, v11
	v_dual_mov_b32 v2, v8 :: v_dual_mov_b32 v3, v9
	;; [unrolled: 1-line block ×4, first 2 shown]
; %bb.12:
	s_or_b32 exec_lo, exec_lo, s1
	s_delay_alu instid0(VALU_DEP_2)
	v_dual_mov_b32 v10, v14 :: v_dual_mov_b32 v11, v15
.LBB878_13:
	s_or_b32 exec_lo, exec_lo, s0
.LBB878_14:
	v_dual_mov_b32 v16, v6 :: v_dual_mov_b32 v17, v7
	v_dual_mov_b32 v14, v4 :: v_dual_mov_b32 v15, v5
	s_and_not1_b32 vcc_lo, exec_lo, s17
	s_cbranch_vccnz .LBB878_24
; %bb.15:
	v_mul_lo_u32 v38, v7, s8
	v_mul_lo_u32 v39, v6, s9
	v_mad_u64_u32 v[18:19], null, v6, s8, 0
	v_mul_lo_u32 v40, v5, s8
	v_mul_lo_u32 v41, v4, s9
	v_mad_u64_u32 v[20:21], null, v4, s8, 0
	s_mov_b32 s22, 0
	s_mov_b64 s[20:21], s[8:9]
	s_delay_alu instid0(VALU_DEP_4) | instskip(NEXT) | instid1(VALU_DEP_2)
	v_add3_u32 v19, v19, v39, v38
                                        ; implicit-def: $sgpr19
                                        ; implicit-def: $sgpr23
                                        ; implicit-def: $sgpr25
                                        ; implicit-def: $sgpr24
                                        ; implicit-def: $sgpr26
                                        ; implicit-def: $sgpr27
	v_add3_u32 v21, v21, v41, v40
	s_delay_alu instid0(VALU_DEP_2) | instskip(NEXT) | instid1(VALU_DEP_2)
	v_lshlrev_b64 v[18:19], 2, v[18:19]
	v_lshlrev_b64 v[20:21], 2, v[20:21]
	s_delay_alu instid0(VALU_DEP_2) | instskip(NEXT) | instid1(VALU_DEP_3)
	v_add_co_u32 v18, vcc_lo, s10, v18
	v_add_co_ci_u32_e32 v19, vcc_lo, s11, v19, vcc_lo
	s_delay_alu instid0(VALU_DEP_3) | instskip(NEXT) | instid1(VALU_DEP_4)
	v_add_co_u32 v20, vcc_lo, s10, v20
	v_add_co_ci_u32_e32 v21, vcc_lo, s11, v21, vcc_lo
	s_set_inst_prefetch_distance 0x1
	s_branch .LBB878_17
	.p2align	6
.LBB878_16:                             ;   in Loop: Header=BB878_17 Depth=1
	s_or_b32 exec_lo, exec_lo, s28
	s_delay_alu instid0(SALU_CYCLE_1) | instskip(NEXT) | instid1(SALU_CYCLE_1)
	s_and_b32 s1, exec_lo, s25
	s_or_b32 s22, s1, s22
	s_and_not1_b32 s1, s27, exec_lo
	s_and_b32 s27, s26, exec_lo
	s_and_not1_b32 s23, s23, exec_lo
	s_or_b32 s27, s1, s27
	s_and_b32 s1, s24, exec_lo
	s_and_not1_b32 s19, s19, exec_lo
	s_and_b32 s0, s0, exec_lo
	s_or_b32 s23, s23, s1
	s_or_b32 s19, s19, s0
	s_and_not1_b32 exec_lo, exec_lo, s22
	s_cbranch_execz .LBB878_19
.LBB878_17:                             ; =>This Inner Loop Header: Depth=1
	global_load_b32 v38, v[18:19], off
	global_load_b32 v39, v[20:21], off
	s_and_not1_b32 s26, s26, exec_lo
	s_or_b32 s24, s24, exec_lo
	s_or_b32 s25, s25, exec_lo
	s_waitcnt vmcnt(0)
	v_cmp_ngt_f32_e32 vcc_lo, v38, v39
	v_cmp_lt_f32_e64 s0, v38, v39
	s_and_b32 s28, vcc_lo, s27
	s_delay_alu instid0(VALU_DEP_1) | instid1(SALU_CYCLE_1)
	s_or_b32 s0, s0, s28
	s_mov_b32 s28, exec_lo
	v_cmpx_nlg_f32_e32 v38, v39
	s_cbranch_execz .LBB878_16
; %bb.18:                               ;   in Loop: Header=BB878_17 Depth=1
	s_add_u32 s20, s20, -1
	s_addc_u32 s21, s21, -1
	v_add_co_u32 v18, vcc_lo, v18, 4
	s_cmp_eq_u64 s[20:21], 0
	v_add_co_ci_u32_e32 v19, vcc_lo, 0, v19, vcc_lo
	v_add_co_u32 v20, vcc_lo, v20, 4
	s_cselect_b32 s1, -1, 0
	v_add_co_ci_u32_e32 v21, vcc_lo, 0, v21, vcc_lo
	s_and_not1_b32 s26, s26, exec_lo
	s_and_b32 s27, s0, exec_lo
	s_and_not1_b32 s25, s25, exec_lo
	s_and_b32 s1, s1, exec_lo
	s_or_b32 s26, s26, s27
	s_and_not1_b32 s24, s24, exec_lo
	s_or_b32 s25, s25, s1
                                        ; implicit-def: $sgpr27
	s_branch .LBB878_16
.LBB878_19:
	s_set_inst_prefetch_distance 0x2
	s_or_b32 exec_lo, exec_lo, s22
	s_and_saveexec_b32 s0, s23
	s_delay_alu instid0(SALU_CYCLE_1)
	s_xor_b32 s0, exec_lo, s0
	s_cbranch_execz .LBB878_23
; %bb.20:
	s_and_saveexec_b32 s1, s19
; %bb.21:
	v_dual_mov_b32 v38, v0 :: v_dual_mov_b32 v39, v1
	v_dual_mov_b32 v40, v2 :: v_dual_mov_b32 v41, v3
	v_dual_mov_b32 v42, v6 :: v_dual_mov_b32 v43, v7
	v_dual_mov_b32 v44, v4 :: v_dual_mov_b32 v45, v5
	v_dual_mov_b32 v19, v17 :: v_dual_mov_b32 v18, v16
	v_dual_mov_b32 v0, v38 :: v_dual_mov_b32 v1, v39
	v_dual_mov_b32 v17, v15 :: v_dual_mov_b32 v16, v14
	v_dual_mov_b32 v2, v40 :: v_dual_mov_b32 v3, v41
	v_dual_mov_b32 v4, v42 :: v_dual_mov_b32 v5, v43
	v_dual_mov_b32 v6, v44 :: v_dual_mov_b32 v7, v45
	v_dual_mov_b32 v14, v18 :: v_dual_mov_b32 v15, v19
; %bb.22:
	s_or_b32 exec_lo, exec_lo, s1
.LBB878_23:
	s_delay_alu instid0(SALU_CYCLE_1)
	s_or_b32 exec_lo, exec_lo, s0
.LBB878_24:
	s_delay_alu instid0(SALU_CYCLE_1)
	s_and_b32 vcc_lo, exec_lo, s17
	s_cbranch_vccz .LBB878_34
; %bb.25:
	v_mul_lo_u32 v38, v15, s8
	v_mul_lo_u32 v39, v14, s9
	v_mad_u64_u32 v[18:19], null, v14, s8, 0
	v_mul_lo_u32 v40, v11, s8
	v_mul_lo_u32 v41, v10, s9
	v_mad_u64_u32 v[20:21], null, v10, s8, 0
	s_mov_b32 s19, 0
	s_mov_b64 s[20:21], s[8:9]
	s_delay_alu instid0(VALU_DEP_4) | instskip(NEXT) | instid1(VALU_DEP_2)
	v_add3_u32 v19, v19, v39, v38
                                        ; implicit-def: $sgpr17
                                        ; implicit-def: $sgpr22
                                        ; implicit-def: $sgpr24
                                        ; implicit-def: $sgpr23
                                        ; implicit-def: $sgpr25
                                        ; implicit-def: $sgpr26
	v_add3_u32 v21, v21, v41, v40
	s_delay_alu instid0(VALU_DEP_2) | instskip(NEXT) | instid1(VALU_DEP_2)
	v_lshlrev_b64 v[18:19], 2, v[18:19]
	v_lshlrev_b64 v[20:21], 2, v[20:21]
	s_delay_alu instid0(VALU_DEP_2) | instskip(NEXT) | instid1(VALU_DEP_3)
	v_add_co_u32 v18, vcc_lo, s10, v18
	v_add_co_ci_u32_e32 v19, vcc_lo, s11, v19, vcc_lo
	s_delay_alu instid0(VALU_DEP_3) | instskip(NEXT) | instid1(VALU_DEP_4)
	v_add_co_u32 v20, vcc_lo, s10, v20
	v_add_co_ci_u32_e32 v21, vcc_lo, s11, v21, vcc_lo
	s_set_inst_prefetch_distance 0x1
	s_branch .LBB878_27
	.p2align	6
.LBB878_26:                             ;   in Loop: Header=BB878_27 Depth=1
	s_or_b32 exec_lo, exec_lo, s27
	s_delay_alu instid0(SALU_CYCLE_1) | instskip(NEXT) | instid1(SALU_CYCLE_1)
	s_and_b32 s1, exec_lo, s24
	s_or_b32 s19, s1, s19
	s_and_not1_b32 s1, s26, exec_lo
	s_and_b32 s26, s25, exec_lo
	s_and_not1_b32 s22, s22, exec_lo
	s_or_b32 s26, s1, s26
	s_and_b32 s1, s23, exec_lo
	s_and_not1_b32 s17, s17, exec_lo
	s_and_b32 s0, s0, exec_lo
	s_or_b32 s22, s22, s1
	s_or_b32 s17, s17, s0
	s_and_not1_b32 exec_lo, exec_lo, s19
	s_cbranch_execz .LBB878_29
.LBB878_27:                             ; =>This Inner Loop Header: Depth=1
	global_load_b32 v38, v[18:19], off
	global_load_b32 v39, v[20:21], off
	s_and_not1_b32 s25, s25, exec_lo
	s_or_b32 s23, s23, exec_lo
	s_or_b32 s24, s24, exec_lo
	s_waitcnt vmcnt(0)
	v_cmp_ngt_f32_e32 vcc_lo, v38, v39
	v_cmp_lt_f32_e64 s0, v38, v39
	s_and_b32 s27, vcc_lo, s26
	s_delay_alu instid0(VALU_DEP_1) | instid1(SALU_CYCLE_1)
	s_or_b32 s0, s0, s27
	s_mov_b32 s27, exec_lo
	v_cmpx_nlg_f32_e32 v38, v39
	s_cbranch_execz .LBB878_26
; %bb.28:                               ;   in Loop: Header=BB878_27 Depth=1
	s_add_u32 s20, s20, -1
	s_addc_u32 s21, s21, -1
	v_add_co_u32 v18, vcc_lo, v18, 4
	s_cmp_eq_u64 s[20:21], 0
	v_add_co_ci_u32_e32 v19, vcc_lo, 0, v19, vcc_lo
	v_add_co_u32 v20, vcc_lo, v20, 4
	s_cselect_b32 s1, -1, 0
	v_add_co_ci_u32_e32 v21, vcc_lo, 0, v21, vcc_lo
	s_and_not1_b32 s25, s25, exec_lo
	s_and_b32 s26, s0, exec_lo
	s_and_not1_b32 s24, s24, exec_lo
	s_and_b32 s1, s1, exec_lo
	s_or_b32 s25, s25, s26
	s_and_not1_b32 s23, s23, exec_lo
	s_or_b32 s24, s24, s1
                                        ; implicit-def: $sgpr26
	s_branch .LBB878_26
.LBB878_29:
	s_set_inst_prefetch_distance 0x2
	s_or_b32 exec_lo, exec_lo, s19
	s_and_saveexec_b32 s0, s22
	s_delay_alu instid0(SALU_CYCLE_1)
	s_xor_b32 s0, exec_lo, s0
	s_cbranch_execz .LBB878_33
; %bb.30:
	v_dual_mov_b32 v19, v11 :: v_dual_mov_b32 v18, v10
	s_and_saveexec_b32 s1, s17
; %bb.31:
	v_dual_mov_b32 v2, v14 :: v_dual_mov_b32 v3, v15
	v_dual_mov_b32 v4, v10 :: v_dual_mov_b32 v5, v11
	;; [unrolled: 1-line block ×4, first 2 shown]
; %bb.32:
	s_or_b32 exec_lo, exec_lo, s1
	s_delay_alu instid0(VALU_DEP_2)
	v_dual_mov_b32 v10, v18 :: v_dual_mov_b32 v11, v19
.LBB878_33:
	s_or_b32 exec_lo, exec_lo, s0
.LBB878_34:
	v_cmp_ne_u32_e32 vcc_lo, 1, v36
	s_cbranch_vccnz .LBB878_44
; %bb.35:
	s_delay_alu instid0(VALU_DEP_2)
	v_mul_lo_u32 v38, v11, s8
	v_mul_lo_u32 v39, v10, s9
	v_mad_u64_u32 v[18:19], null, v10, s8, 0
	v_mul_lo_u32 v40, v9, s8
	v_mul_lo_u32 v41, v8, s9
	v_mad_u64_u32 v[20:21], null, v8, s8, 0
	s_mov_b32 s19, 0
	s_mov_b64 s[20:21], s[8:9]
	s_delay_alu instid0(VALU_DEP_4) | instskip(NEXT) | instid1(VALU_DEP_2)
	v_add3_u32 v19, v19, v39, v38
                                        ; implicit-def: $sgpr17
                                        ; implicit-def: $sgpr22
                                        ; implicit-def: $sgpr24
                                        ; implicit-def: $sgpr23
                                        ; implicit-def: $sgpr25
                                        ; implicit-def: $sgpr26
	v_add3_u32 v21, v21, v41, v40
	s_delay_alu instid0(VALU_DEP_2) | instskip(NEXT) | instid1(VALU_DEP_2)
	v_lshlrev_b64 v[18:19], 2, v[18:19]
	v_lshlrev_b64 v[20:21], 2, v[20:21]
	s_delay_alu instid0(VALU_DEP_2) | instskip(NEXT) | instid1(VALU_DEP_3)
	v_add_co_u32 v18, vcc_lo, s10, v18
	v_add_co_ci_u32_e32 v19, vcc_lo, s11, v19, vcc_lo
	s_delay_alu instid0(VALU_DEP_3) | instskip(NEXT) | instid1(VALU_DEP_4)
	v_add_co_u32 v20, vcc_lo, s10, v20
	v_add_co_ci_u32_e32 v21, vcc_lo, s11, v21, vcc_lo
	s_set_inst_prefetch_distance 0x1
	s_branch .LBB878_37
	.p2align	6
.LBB878_36:                             ;   in Loop: Header=BB878_37 Depth=1
	s_or_b32 exec_lo, exec_lo, s27
	s_delay_alu instid0(SALU_CYCLE_1) | instskip(NEXT) | instid1(SALU_CYCLE_1)
	s_and_b32 s1, exec_lo, s24
	s_or_b32 s19, s1, s19
	s_and_not1_b32 s1, s26, exec_lo
	s_and_b32 s26, s25, exec_lo
	s_and_not1_b32 s22, s22, exec_lo
	s_or_b32 s26, s1, s26
	s_and_b32 s1, s23, exec_lo
	s_and_not1_b32 s17, s17, exec_lo
	s_and_b32 s0, s0, exec_lo
	s_or_b32 s22, s22, s1
	s_or_b32 s17, s17, s0
	s_and_not1_b32 exec_lo, exec_lo, s19
	s_cbranch_execz .LBB878_39
.LBB878_37:                             ; =>This Inner Loop Header: Depth=1
	global_load_b32 v38, v[18:19], off
	global_load_b32 v39, v[20:21], off
	s_and_not1_b32 s25, s25, exec_lo
	s_or_b32 s23, s23, exec_lo
	s_or_b32 s24, s24, exec_lo
	s_waitcnt vmcnt(0)
	v_cmp_ngt_f32_e32 vcc_lo, v38, v39
	v_cmp_lt_f32_e64 s0, v38, v39
	s_and_b32 s27, vcc_lo, s26
	s_delay_alu instid0(VALU_DEP_1) | instid1(SALU_CYCLE_1)
	s_or_b32 s0, s0, s27
	s_mov_b32 s27, exec_lo
	v_cmpx_nlg_f32_e32 v38, v39
	s_cbranch_execz .LBB878_36
; %bb.38:                               ;   in Loop: Header=BB878_37 Depth=1
	s_add_u32 s20, s20, -1
	s_addc_u32 s21, s21, -1
	v_add_co_u32 v18, vcc_lo, v18, 4
	s_cmp_eq_u64 s[20:21], 0
	v_add_co_ci_u32_e32 v19, vcc_lo, 0, v19, vcc_lo
	v_add_co_u32 v20, vcc_lo, v20, 4
	s_cselect_b32 s1, -1, 0
	v_add_co_ci_u32_e32 v21, vcc_lo, 0, v21, vcc_lo
	s_and_not1_b32 s25, s25, exec_lo
	s_and_b32 s26, s0, exec_lo
	s_and_not1_b32 s24, s24, exec_lo
	s_and_b32 s1, s1, exec_lo
	s_or_b32 s25, s25, s26
	s_and_not1_b32 s23, s23, exec_lo
	s_or_b32 s24, s24, s1
                                        ; implicit-def: $sgpr26
	s_branch .LBB878_36
.LBB878_39:
	s_set_inst_prefetch_distance 0x2
	s_or_b32 exec_lo, exec_lo, s19
	s_and_saveexec_b32 s0, s22
	s_delay_alu instid0(SALU_CYCLE_1)
	s_xor_b32 s0, exec_lo, s0
	s_cbranch_execz .LBB878_43
; %bb.40:
	v_dual_mov_b32 v19, v11 :: v_dual_mov_b32 v18, v10
	s_and_saveexec_b32 s1, s17
; %bb.41:
	v_dual_mov_b32 v0, v10 :: v_dual_mov_b32 v1, v11
	v_dual_mov_b32 v2, v8 :: v_dual_mov_b32 v3, v9
	;; [unrolled: 1-line block ×4, first 2 shown]
; %bb.42:
	s_or_b32 exec_lo, exec_lo, s1
	s_delay_alu instid0(VALU_DEP_2)
	v_dual_mov_b32 v10, v18 :: v_dual_mov_b32 v11, v19
.LBB878_43:
	s_or_b32 exec_lo, exec_lo, s0
.LBB878_44:
	v_cmp_ne_u32_e32 vcc_lo, 1, v36
	s_cbranch_vccnz .LBB878_52
; %bb.45:
	v_mul_lo_u32 v38, v17, s8
	v_mul_lo_u32 v39, v16, s9
	v_mad_u64_u32 v[18:19], null, v16, s8, 0
	v_mul_lo_u32 v40, v15, s8
	v_mul_lo_u32 v41, v14, s9
	v_mad_u64_u32 v[20:21], null, v14, s8, 0
	s_mov_b32 s19, 0
	s_mov_b64 s[20:21], s[8:9]
	s_delay_alu instid0(VALU_DEP_4) | instskip(NEXT) | instid1(VALU_DEP_2)
	v_add3_u32 v19, v19, v39, v38
                                        ; implicit-def: $sgpr17
                                        ; implicit-def: $sgpr22
                                        ; implicit-def: $sgpr24
                                        ; implicit-def: $sgpr23
                                        ; implicit-def: $sgpr25
                                        ; implicit-def: $sgpr26
	v_add3_u32 v21, v21, v41, v40
	s_delay_alu instid0(VALU_DEP_2) | instskip(NEXT) | instid1(VALU_DEP_2)
	v_lshlrev_b64 v[18:19], 2, v[18:19]
	v_lshlrev_b64 v[20:21], 2, v[20:21]
	s_delay_alu instid0(VALU_DEP_2) | instskip(NEXT) | instid1(VALU_DEP_3)
	v_add_co_u32 v18, vcc_lo, s10, v18
	v_add_co_ci_u32_e32 v19, vcc_lo, s11, v19, vcc_lo
	s_delay_alu instid0(VALU_DEP_3) | instskip(NEXT) | instid1(VALU_DEP_4)
	v_add_co_u32 v20, vcc_lo, s10, v20
	v_add_co_ci_u32_e32 v21, vcc_lo, s11, v21, vcc_lo
	s_set_inst_prefetch_distance 0x1
	s_branch .LBB878_47
	.p2align	6
.LBB878_46:                             ;   in Loop: Header=BB878_47 Depth=1
	s_or_b32 exec_lo, exec_lo, s27
	s_delay_alu instid0(SALU_CYCLE_1) | instskip(NEXT) | instid1(SALU_CYCLE_1)
	s_and_b32 s1, exec_lo, s24
	s_or_b32 s19, s1, s19
	s_and_not1_b32 s1, s26, exec_lo
	s_and_b32 s26, s25, exec_lo
	s_and_not1_b32 s22, s22, exec_lo
	s_or_b32 s26, s1, s26
	s_and_b32 s1, s23, exec_lo
	s_and_not1_b32 s17, s17, exec_lo
	s_and_b32 s0, s0, exec_lo
	s_or_b32 s22, s22, s1
	s_or_b32 s17, s17, s0
	s_and_not1_b32 exec_lo, exec_lo, s19
	s_cbranch_execz .LBB878_49
.LBB878_47:                             ; =>This Inner Loop Header: Depth=1
	global_load_b32 v38, v[18:19], off
	global_load_b32 v39, v[20:21], off
	s_and_not1_b32 s25, s25, exec_lo
	s_or_b32 s23, s23, exec_lo
	s_or_b32 s24, s24, exec_lo
	s_waitcnt vmcnt(0)
	v_cmp_ngt_f32_e32 vcc_lo, v38, v39
	v_cmp_lt_f32_e64 s0, v38, v39
	s_and_b32 s27, vcc_lo, s26
	s_delay_alu instid0(VALU_DEP_1) | instid1(SALU_CYCLE_1)
	s_or_b32 s0, s0, s27
	s_mov_b32 s27, exec_lo
	v_cmpx_nlg_f32_e32 v38, v39
	s_cbranch_execz .LBB878_46
; %bb.48:                               ;   in Loop: Header=BB878_47 Depth=1
	s_add_u32 s20, s20, -1
	s_addc_u32 s21, s21, -1
	v_add_co_u32 v18, vcc_lo, v18, 4
	s_cmp_eq_u64 s[20:21], 0
	v_add_co_ci_u32_e32 v19, vcc_lo, 0, v19, vcc_lo
	v_add_co_u32 v20, vcc_lo, v20, 4
	s_cselect_b32 s1, -1, 0
	v_add_co_ci_u32_e32 v21, vcc_lo, 0, v21, vcc_lo
	s_and_not1_b32 s25, s25, exec_lo
	s_and_b32 s26, s0, exec_lo
	s_and_not1_b32 s24, s24, exec_lo
	s_and_b32 s1, s1, exec_lo
	s_or_b32 s25, s25, s26
	s_and_not1_b32 s23, s23, exec_lo
	s_or_b32 s24, s24, s1
                                        ; implicit-def: $sgpr26
	s_branch .LBB878_46
.LBB878_49:
	s_set_inst_prefetch_distance 0x2
	s_or_b32 exec_lo, exec_lo, s19
	s_and_saveexec_b32 s0, s22
	s_delay_alu instid0(SALU_CYCLE_1)
	s_xor_b32 s0, exec_lo, s0
; %bb.50:
	v_cndmask_b32_e64 v7, v7, v15, s17
	v_cndmask_b32_e64 v6, v6, v14, s17
	;; [unrolled: 1-line block ×6, first 2 shown]
; %bb.51:
	s_or_b32 exec_lo, exec_lo, s0
.LBB878_52:
	v_cmp_ne_u32_e32 vcc_lo, 1, v36
	s_cbranch_vccnz .LBB878_60
; %bb.53:
	v_mul_lo_u32 v20, v15, s8
	v_mul_lo_u32 v21, v14, s9
	v_mad_u64_u32 v[16:17], null, v14, s8, 0
	v_mul_lo_u32 v38, v11, s8
	v_mul_lo_u32 v39, v10, s9
	v_mad_u64_u32 v[18:19], null, v10, s8, 0
	s_mov_b32 s19, 0
	s_mov_b64 s[20:21], s[8:9]
	s_delay_alu instid0(VALU_DEP_4) | instskip(NEXT) | instid1(VALU_DEP_2)
	v_add3_u32 v17, v17, v21, v20
                                        ; implicit-def: $sgpr17
                                        ; implicit-def: $sgpr22
                                        ; implicit-def: $sgpr24
                                        ; implicit-def: $sgpr23
                                        ; implicit-def: $sgpr25
                                        ; implicit-def: $sgpr26
	v_add3_u32 v19, v19, v39, v38
	s_delay_alu instid0(VALU_DEP_2) | instskip(NEXT) | instid1(VALU_DEP_2)
	v_lshlrev_b64 v[16:17], 2, v[16:17]
	v_lshlrev_b64 v[18:19], 2, v[18:19]
	s_delay_alu instid0(VALU_DEP_2) | instskip(NEXT) | instid1(VALU_DEP_3)
	v_add_co_u32 v16, vcc_lo, s10, v16
	v_add_co_ci_u32_e32 v17, vcc_lo, s11, v17, vcc_lo
	s_delay_alu instid0(VALU_DEP_3) | instskip(NEXT) | instid1(VALU_DEP_4)
	v_add_co_u32 v18, vcc_lo, s10, v18
	v_add_co_ci_u32_e32 v19, vcc_lo, s11, v19, vcc_lo
	s_set_inst_prefetch_distance 0x1
	s_branch .LBB878_55
	.p2align	6
.LBB878_54:                             ;   in Loop: Header=BB878_55 Depth=1
	s_or_b32 exec_lo, exec_lo, s27
	s_delay_alu instid0(SALU_CYCLE_1) | instskip(NEXT) | instid1(SALU_CYCLE_1)
	s_and_b32 s1, exec_lo, s24
	s_or_b32 s19, s1, s19
	s_and_not1_b32 s1, s26, exec_lo
	s_and_b32 s26, s25, exec_lo
	s_and_not1_b32 s22, s22, exec_lo
	s_or_b32 s26, s1, s26
	s_and_b32 s1, s23, exec_lo
	s_and_not1_b32 s17, s17, exec_lo
	s_and_b32 s0, s0, exec_lo
	s_or_b32 s22, s22, s1
	s_or_b32 s17, s17, s0
	s_and_not1_b32 exec_lo, exec_lo, s19
	s_cbranch_execz .LBB878_57
.LBB878_55:                             ; =>This Inner Loop Header: Depth=1
	global_load_b32 v20, v[16:17], off
	global_load_b32 v21, v[18:19], off
	s_and_not1_b32 s25, s25, exec_lo
	s_or_b32 s23, s23, exec_lo
	s_or_b32 s24, s24, exec_lo
	s_waitcnt vmcnt(0)
	v_cmp_ngt_f32_e32 vcc_lo, v20, v21
	v_cmp_lt_f32_e64 s0, v20, v21
	s_and_b32 s27, vcc_lo, s26
	s_delay_alu instid0(VALU_DEP_1) | instid1(SALU_CYCLE_1)
	s_or_b32 s0, s0, s27
	s_mov_b32 s27, exec_lo
	v_cmpx_nlg_f32_e32 v20, v21
	s_cbranch_execz .LBB878_54
; %bb.56:                               ;   in Loop: Header=BB878_55 Depth=1
	s_add_u32 s20, s20, -1
	s_addc_u32 s21, s21, -1
	v_add_co_u32 v16, vcc_lo, v16, 4
	s_cmp_eq_u64 s[20:21], 0
	v_add_co_ci_u32_e32 v17, vcc_lo, 0, v17, vcc_lo
	v_add_co_u32 v18, vcc_lo, v18, 4
	s_cselect_b32 s1, -1, 0
	v_add_co_ci_u32_e32 v19, vcc_lo, 0, v19, vcc_lo
	s_and_not1_b32 s25, s25, exec_lo
	s_and_b32 s26, s0, exec_lo
	s_and_not1_b32 s24, s24, exec_lo
	s_and_b32 s1, s1, exec_lo
	s_or_b32 s25, s25, s26
	s_and_not1_b32 s23, s23, exec_lo
	s_or_b32 s24, s24, s1
                                        ; implicit-def: $sgpr26
	s_branch .LBB878_54
.LBB878_57:
	s_set_inst_prefetch_distance 0x2
	s_or_b32 exec_lo, exec_lo, s19
	s_and_saveexec_b32 s0, s22
	s_delay_alu instid0(SALU_CYCLE_1)
	s_xor_b32 s0, exec_lo, s0
; %bb.58:
	v_cndmask_b32_e64 v5, v5, v11, s17
	v_cndmask_b32_e64 v4, v4, v10, s17
	;; [unrolled: 1-line block ×4, first 2 shown]
; %bb.59:
	s_or_b32 exec_lo, exec_lo, s0
.LBB878_60:
	s_delay_alu instid0(SALU_CYCLE_1) | instskip(SKIP_4) | instid1(VALU_DEP_2)
	s_or_b32 exec_lo, exec_lo, s12
	v_mbcnt_lo_u32_b32 v11, -1, 0
	v_and_b32_e32 v10, 0xffffff80, v37
	s_mov_b32 s1, 0
	s_mov_b32 s12, exec_lo
	v_lshlrev_b32_e32 v16, 2, v11
	s_delay_alu instid0(VALU_DEP_2) | instskip(NEXT) | instid1(VALU_DEP_2)
	v_sub_nc_u32_e64 v15, 0x400, v10 clamp
	v_or_b32_e32 v14, 4, v16
	v_and_b32_e32 v17, 4, v16
	v_and_b32_e32 v37, 0x78, v16
	s_delay_alu instid0(VALU_DEP_3) | instskip(NEXT) | instid1(VALU_DEP_1)
	v_min_u32_e32 v18, v15, v14
	v_add_nc_u32_e32 v14, 4, v18
	s_delay_alu instid0(VALU_DEP_3) | instskip(NEXT) | instid1(VALU_DEP_2)
	v_sub_nc_u32_e32 v21, v18, v37
	v_min_u32_e32 v19, v15, v14
	v_lshlrev_b32_e32 v14, 3, v10
	v_mov_b32_e32 v10, v2
	v_min_u32_e32 v38, v15, v17
	s_delay_alu instid0(VALU_DEP_4) | instskip(NEXT) | instid1(VALU_DEP_4)
	v_sub_nc_u32_e32 v20, v19, v18
	v_lshl_or_b32 v17, v11, 5, v14
	v_mov_b32_e32 v11, v3
	s_delay_alu instid0(VALU_DEP_4)
	v_min_u32_e32 v39, v38, v21
	v_lshl_or_b32 v21, v37, 3, v14
	v_sub_nc_u32_e64 v20, v38, v20 clamp
	ds_store_b128 v17, v[8:11]
	ds_store_b128 v17, v[4:7] offset:16
	; wave barrier
	v_cmpx_lt_u32_e64 v20, v39
	s_cbranch_execz .LBB878_71
; %bb.61:
	v_lshlrev_b32_e32 v8, 3, v18
	v_lshlrev_b32_e32 v9, 3, v38
	s_lshl_b64 s[20:21], s[8:9], 2
	s_delay_alu instid0(VALU_DEP_1)
	v_add3_u32 v40, v14, v8, v9
	s_branch .LBB878_64
.LBB878_62:                             ;   in Loop: Header=BB878_64 Depth=1
	s_set_inst_prefetch_distance 0x2
	s_or_b32 exec_lo, exec_lo, s17
.LBB878_63:                             ;   in Loop: Header=BB878_64 Depth=1
	s_delay_alu instid0(VALU_DEP_1) | instskip(SKIP_1) | instid1(VALU_DEP_2)
	v_add_nc_u32_e32 v8, 1, v41
	v_cndmask_b32_e64 v39, v39, v41, s19
	v_cndmask_b32_e64 v20, v8, v20, s19
	s_delay_alu instid0(VALU_DEP_1) | instskip(SKIP_1) | instid1(SALU_CYCLE_1)
	v_cmp_ge_u32_e32 vcc_lo, v20, v39
	s_or_b32 s1, vcc_lo, s1
	s_and_not1_b32 exec_lo, exec_lo, s1
	s_cbranch_execz .LBB878_70
.LBB878_64:                             ; =>This Loop Header: Depth=1
                                        ;     Child Loop BB878_67 Depth 2
	v_add_nc_u32_e32 v8, v39, v20
	v_cmp_ne_u32_e32 vcc_lo, 1, v36
	s_delay_alu instid0(VALU_DEP_2)
	v_lshrrev_b32_e32 v41, 1, v8
	s_cbranch_vccnz .LBB878_69
; %bb.65:                               ;   in Loop: Header=BB878_64 Depth=1
	s_delay_alu instid0(VALU_DEP_1) | instskip(SKIP_3) | instid1(VALU_DEP_2)
	v_not_b32_e32 v8, v41
	v_lshl_add_u32 v9, v41, 3, v21
	s_mov_b32 s17, 0
	s_mov_b64 s[22:23], s[8:9]
                                        ; implicit-def: $sgpr19
                                        ; implicit-def: $sgpr24
                                        ; implicit-def: $sgpr25
                                        ; implicit-def: $sgpr26
                                        ; implicit-def: $sgpr27
	v_lshl_add_u32 v8, v8, 3, v40
	ds_load_b64 v[10:11], v8
	ds_load_b64 v[42:43], v9
	s_waitcnt lgkmcnt(1)
	v_mul_lo_u32 v44, s20, v11
	v_mul_lo_u32 v45, s21, v10
	v_mad_u64_u32 v[8:9], null, s20, v10, s[10:11]
	s_waitcnt lgkmcnt(0)
	v_mul_lo_u32 v43, s20, v43
	v_mul_lo_u32 v46, s21, v42
	v_mad_u64_u32 v[10:11], null, s20, v42, s[10:11]
	s_delay_alu instid0(VALU_DEP_4) | instskip(NEXT) | instid1(VALU_DEP_2)
	v_add3_u32 v9, v45, v9, v44
	v_add3_u32 v11, v46, v11, v43
	s_set_inst_prefetch_distance 0x1
	s_branch .LBB878_67
	.p2align	6
.LBB878_66:                             ;   in Loop: Header=BB878_67 Depth=2
	s_or_b32 exec_lo, exec_lo, s0
	s_delay_alu instid0(SALU_CYCLE_1) | instskip(NEXT) | instid1(SALU_CYCLE_1)
	s_and_b32 s0, exec_lo, s24
	s_or_b32 s17, s0, s17
	s_and_not1_b32 s0, s27, exec_lo
	s_and_b32 s27, s25, exec_lo
	s_and_not1_b32 s19, s19, exec_lo
	s_and_b32 s28, s26, exec_lo
	s_or_b32 s27, s0, s27
	s_or_b32 s19, s19, s28
	s_and_not1_b32 exec_lo, exec_lo, s17
	s_cbranch_execz .LBB878_62
.LBB878_67:                             ;   Parent Loop BB878_64 Depth=1
                                        ; =>  This Inner Loop Header: Depth=2
	global_load_b32 v42, v[8:9], off
	global_load_b32 v43, v[10:11], off
	s_and_not1_b32 s26, s26, exec_lo
	s_and_not1_b32 s25, s25, exec_lo
	s_or_b32 s24, s24, exec_lo
	s_waitcnt vmcnt(0)
	v_cmp_ngt_f32_e32 vcc_lo, v42, v43
	v_cmp_lt_f32_e64 s0, v42, v43
	s_and_b32 s28, vcc_lo, s27
	s_delay_alu instid0(VALU_DEP_1) | instid1(SALU_CYCLE_1)
	s_or_b32 s28, s0, s28
	s_delay_alu instid0(SALU_CYCLE_1) | instskip(NEXT) | instid1(SALU_CYCLE_1)
	s_and_b32 s0, s28, exec_lo
	s_or_b32 s26, s26, s0
	s_mov_b32 s0, exec_lo
	v_cmpx_nlg_f32_e32 v42, v43
	s_cbranch_execz .LBB878_66
; %bb.68:                               ;   in Loop: Header=BB878_67 Depth=2
	s_add_u32 s22, s22, -1
	s_addc_u32 s23, s23, -1
	v_add_co_u32 v8, vcc_lo, v8, 4
	s_cmp_eq_u64 s[22:23], 0
	v_add_co_ci_u32_e32 v9, vcc_lo, 0, v9, vcc_lo
	s_cselect_b32 s27, -1, 0
	v_add_co_u32 v10, vcc_lo, v10, 4
	s_and_not1_b32 s25, s25, exec_lo
	s_and_b32 s28, s28, exec_lo
	s_and_not1_b32 s24, s24, exec_lo
	s_and_b32 s27, s27, exec_lo
	v_add_co_ci_u32_e32 v11, vcc_lo, 0, v11, vcc_lo
	s_and_not1_b32 s26, s26, exec_lo
	s_or_b32 s25, s25, s28
	s_or_b32 s24, s24, s27
                                        ; implicit-def: $sgpr27
	s_branch .LBB878_66
.LBB878_69:                             ;   in Loop: Header=BB878_64 Depth=1
	s_mov_b32 s19, 0
	s_branch .LBB878_63
.LBB878_70:
	s_or_b32 exec_lo, exec_lo, s1
.LBB878_71:
	s_delay_alu instid0(SALU_CYCLE_1) | instskip(SKIP_3) | instid1(VALU_DEP_3)
	s_or_b32 exec_lo, exec_lo, s12
	v_add_nc_u32_e32 v9, v18, v38
	v_add_nc_u32_e32 v8, v20, v37
	v_cmp_lt_i64_e64 s12, s[8:9], 1
	v_sub_nc_u32_e32 v9, v9, v20
	s_delay_alu instid0(VALU_DEP_3) | instskip(NEXT) | instid1(VALU_DEP_2)
	v_cmp_le_u32_e32 vcc_lo, v8, v18
	v_cmp_le_u32_e64 s0, v9, v19
	s_delay_alu instid0(VALU_DEP_1) | instskip(NEXT) | instid1(SALU_CYCLE_1)
	s_or_b32 s0, vcc_lo, s0
	s_and_saveexec_b32 s17, s0
	s_cbranch_execz .LBB878_107
; %bb.72:
	v_cmp_ge_u32_e32 vcc_lo, v8, v18
	s_mov_b32 s1, exec_lo
                                        ; implicit-def: $vgpr0_vgpr1
	v_cmpx_lt_u32_e64 v8, v18
	s_cbranch_execz .LBB878_74
; %bb.73:
	v_lshl_add_u32 v0, v20, 3, v21
	ds_load_b64 v[0:1], v0
.LBB878_74:
	s_or_b32 exec_lo, exec_lo, s1
	v_cmp_ge_u32_e64 s0, v9, v19
	s_mov_b32 s19, exec_lo
                                        ; implicit-def: $vgpr2_vgpr3
	v_cmpx_lt_u32_e64 v9, v19
	s_cbranch_execz .LBB878_76
; %bb.75:
	v_lshl_add_u32 v2, v9, 3, v14
	ds_load_b64 v[2:3], v2
.LBB878_76:
	s_or_b32 exec_lo, exec_lo, s19
	s_or_b32 s1, vcc_lo, s0
	s_xor_b32 s19, vcc_lo, -1
	s_or_b32 s1, s1, s12
	s_delay_alu instid0(SALU_CYCLE_1)
	s_xor_b32 s20, s1, -1
	s_or_b32 s1, s0, s19
	s_and_saveexec_b32 s19, s20
	s_cbranch_execz .LBB878_82
; %bb.77:
	s_waitcnt lgkmcnt(0)
	v_mul_lo_u32 v10, v3, s8
	v_mul_lo_u32 v11, v2, s9
	v_mad_u64_u32 v[4:5], null, v2, s8, 0
	v_mul_lo_u32 v20, v1, s8
	v_mul_lo_u32 v21, v0, s9
	v_mad_u64_u32 v[6:7], null, v0, s8, 0
	s_mov_b32 s22, 0
	s_mov_b64 s[20:21], s[8:9]
	s_delay_alu instid0(VALU_DEP_4) | instskip(NEXT) | instid1(VALU_DEP_2)
	v_add3_u32 v5, v5, v11, v10
                                        ; implicit-def: $sgpr23
                                        ; implicit-def: $sgpr24
                                        ; implicit-def: $sgpr25
                                        ; implicit-def: $sgpr26
                                        ; implicit-def: $sgpr27
	v_add3_u32 v7, v7, v21, v20
	s_delay_alu instid0(VALU_DEP_2) | instskip(NEXT) | instid1(VALU_DEP_2)
	v_lshlrev_b64 v[4:5], 2, v[4:5]
	v_lshlrev_b64 v[6:7], 2, v[6:7]
	s_delay_alu instid0(VALU_DEP_2) | instskip(NEXT) | instid1(VALU_DEP_3)
	v_add_co_u32 v4, vcc_lo, s10, v4
	v_add_co_ci_u32_e32 v5, vcc_lo, s11, v5, vcc_lo
	s_delay_alu instid0(VALU_DEP_3) | instskip(NEXT) | instid1(VALU_DEP_4)
	v_add_co_u32 v6, vcc_lo, s10, v6
	v_add_co_ci_u32_e32 v7, vcc_lo, s11, v7, vcc_lo
	s_set_inst_prefetch_distance 0x1
	s_branch .LBB878_79
	.p2align	6
.LBB878_78:                             ;   in Loop: Header=BB878_79 Depth=1
	s_or_b32 exec_lo, exec_lo, s0
	s_delay_alu instid0(SALU_CYCLE_1) | instskip(NEXT) | instid1(SALU_CYCLE_1)
	s_and_b32 s0, exec_lo, s24
	s_or_b32 s22, s0, s22
	s_and_not1_b32 s0, s27, exec_lo
	s_and_b32 s27, s26, exec_lo
	s_and_not1_b32 s23, s23, exec_lo
	s_and_b32 s28, s25, exec_lo
	s_or_b32 s27, s0, s27
	s_or_b32 s23, s23, s28
	s_and_not1_b32 exec_lo, exec_lo, s22
	s_cbranch_execz .LBB878_81
.LBB878_79:                             ; =>This Inner Loop Header: Depth=1
	global_load_b32 v10, v[4:5], off
	global_load_b32 v11, v[6:7], off
	s_and_not1_b32 s25, s25, exec_lo
	s_and_not1_b32 s26, s26, exec_lo
	s_or_b32 s24, s24, exec_lo
	s_waitcnt vmcnt(0)
	v_cmp_ngt_f32_e32 vcc_lo, v10, v11
	v_cmp_lt_f32_e64 s0, v10, v11
	s_and_b32 s28, vcc_lo, s27
	s_delay_alu instid0(VALU_DEP_1) | instid1(SALU_CYCLE_1)
	s_or_b32 s28, s0, s28
	s_delay_alu instid0(SALU_CYCLE_1) | instskip(NEXT) | instid1(SALU_CYCLE_1)
	s_and_b32 s0, s28, exec_lo
	s_or_b32 s25, s25, s0
	s_mov_b32 s0, exec_lo
	v_cmpx_nlg_f32_e32 v10, v11
	s_cbranch_execz .LBB878_78
; %bb.80:                               ;   in Loop: Header=BB878_79 Depth=1
	s_add_u32 s20, s20, -1
	s_addc_u32 s21, s21, -1
	v_add_co_u32 v4, vcc_lo, v4, 4
	s_cmp_eq_u64 s[20:21], 0
	v_add_co_ci_u32_e32 v5, vcc_lo, 0, v5, vcc_lo
	v_add_co_u32 v6, vcc_lo, v6, 4
	s_cselect_b32 s27, -1, 0
	v_add_co_ci_u32_e32 v7, vcc_lo, 0, v7, vcc_lo
	s_and_not1_b32 s26, s26, exec_lo
	s_and_b32 s28, s28, exec_lo
	s_and_not1_b32 s24, s24, exec_lo
	s_and_b32 s27, s27, exec_lo
	s_or_b32 s26, s26, s28
	s_and_not1_b32 s25, s25, exec_lo
	s_or_b32 s24, s24, s27
                                        ; implicit-def: $sgpr27
	s_branch .LBB878_78
.LBB878_81:
	s_set_inst_prefetch_distance 0x2
	s_or_b32 exec_lo, exec_lo, s22
	s_xor_b32 s0, s23, -1
	s_and_not1_b32 s1, s1, exec_lo
	s_and_b32 s0, s0, exec_lo
	s_delay_alu instid0(SALU_CYCLE_1)
	s_or_b32 s1, s1, s0
.LBB878_82:
	s_or_b32 exec_lo, exec_lo, s19
	v_cndmask_b32_e64 v4, v9, v8, s1
	v_cndmask_b32_e64 v5, v19, v18, s1
	s_mov_b32 s19, -1
	s_mov_b32 s22, -1
	s_mov_b32 s23, exec_lo
	v_add_nc_u32_e32 v6, 1, v4
	v_add_nc_u32_e32 v4, -1, v5
	s_delay_alu instid0(VALU_DEP_2) | instskip(NEXT) | instid1(VALU_DEP_2)
	v_cndmask_b32_e64 v9, v6, v9, s1
	v_min_u32_e32 v4, v6, v4
	v_cndmask_b32_e64 v8, v8, v6, s1
	s_delay_alu instid0(VALU_DEP_2)
	v_lshl_add_u32 v4, v4, 3, v14
	ds_load_b64 v[4:5], v4
	s_waitcnt lgkmcnt(0)
	v_cndmask_b32_e64 v10, v5, v3, s1
	v_cndmask_b32_e64 v11, v4, v2, s1
	;; [unrolled: 1-line block ×4, first 2 shown]
	v_cmpx_lt_u32_e64 v9, v19
	s_cbranch_execz .LBB878_90
; %bb.83:
	v_cmp_lt_u32_e64 s22, v8, v18
	s_xor_b32 s0, s12, -1
	s_delay_alu instid0(VALU_DEP_1) | instid1(SALU_CYCLE_1)
	s_and_b32 s0, s22, s0
	s_delay_alu instid0(SALU_CYCLE_1)
	s_and_saveexec_b32 s24, s0
	s_cbranch_execz .LBB878_89
; %bb.84:
	v_mul_lo_u32 v37, v10, s8
	v_mul_lo_u32 v38, v11, s9
	v_mad_u64_u32 v[4:5], null, v11, s8, 0
	v_mul_lo_u32 v39, v20, s8
	v_mul_lo_u32 v40, v21, s9
	v_mad_u64_u32 v[6:7], null, v21, s8, 0
	s_mov_b32 s25, 0
	s_mov_b64 s[20:21], s[8:9]
	s_delay_alu instid0(VALU_DEP_4) | instskip(NEXT) | instid1(VALU_DEP_2)
	v_add3_u32 v5, v5, v38, v37
                                        ; implicit-def: $sgpr26
                                        ; implicit-def: $sgpr27
                                        ; implicit-def: $sgpr28
                                        ; implicit-def: $sgpr29
                                        ; implicit-def: $sgpr30
	v_add3_u32 v7, v7, v40, v39
	s_delay_alu instid0(VALU_DEP_2) | instskip(NEXT) | instid1(VALU_DEP_2)
	v_lshlrev_b64 v[4:5], 2, v[4:5]
	v_lshlrev_b64 v[6:7], 2, v[6:7]
	s_delay_alu instid0(VALU_DEP_2) | instskip(NEXT) | instid1(VALU_DEP_3)
	v_add_co_u32 v4, vcc_lo, s10, v4
	v_add_co_ci_u32_e32 v5, vcc_lo, s11, v5, vcc_lo
	s_delay_alu instid0(VALU_DEP_3) | instskip(NEXT) | instid1(VALU_DEP_4)
	v_add_co_u32 v6, vcc_lo, s10, v6
	v_add_co_ci_u32_e32 v7, vcc_lo, s11, v7, vcc_lo
	s_set_inst_prefetch_distance 0x1
	s_branch .LBB878_86
	.p2align	6
.LBB878_85:                             ;   in Loop: Header=BB878_86 Depth=1
	s_or_b32 exec_lo, exec_lo, s0
	s_delay_alu instid0(SALU_CYCLE_1) | instskip(NEXT) | instid1(SALU_CYCLE_1)
	s_and_b32 s0, exec_lo, s27
	s_or_b32 s25, s0, s25
	s_and_not1_b32 s0, s30, exec_lo
	s_and_b32 s30, s29, exec_lo
	s_and_not1_b32 s26, s26, exec_lo
	s_and_b32 s31, s28, exec_lo
	s_or_b32 s30, s0, s30
	s_or_b32 s26, s26, s31
	s_and_not1_b32 exec_lo, exec_lo, s25
	s_cbranch_execz .LBB878_88
.LBB878_86:                             ; =>This Inner Loop Header: Depth=1
	global_load_b32 v37, v[4:5], off
	global_load_b32 v38, v[6:7], off
	s_and_not1_b32 s28, s28, exec_lo
	s_and_not1_b32 s29, s29, exec_lo
	s_or_b32 s27, s27, exec_lo
	s_waitcnt vmcnt(0)
	v_cmp_ngt_f32_e32 vcc_lo, v37, v38
	v_cmp_lt_f32_e64 s0, v37, v38
	s_and_b32 s31, vcc_lo, s30
	s_delay_alu instid0(VALU_DEP_1) | instid1(SALU_CYCLE_1)
	s_or_b32 s31, s0, s31
	s_delay_alu instid0(SALU_CYCLE_1) | instskip(NEXT) | instid1(SALU_CYCLE_1)
	s_and_b32 s0, s31, exec_lo
	s_or_b32 s28, s28, s0
	s_mov_b32 s0, exec_lo
	v_cmpx_nlg_f32_e32 v37, v38
	s_cbranch_execz .LBB878_85
; %bb.87:                               ;   in Loop: Header=BB878_86 Depth=1
	s_add_u32 s20, s20, -1
	s_addc_u32 s21, s21, -1
	v_add_co_u32 v4, vcc_lo, v4, 4
	s_cmp_eq_u64 s[20:21], 0
	v_add_co_ci_u32_e32 v5, vcc_lo, 0, v5, vcc_lo
	v_add_co_u32 v6, vcc_lo, v6, 4
	s_cselect_b32 s30, -1, 0
	v_add_co_ci_u32_e32 v7, vcc_lo, 0, v7, vcc_lo
	s_and_not1_b32 s29, s29, exec_lo
	s_and_b32 s31, s31, exec_lo
	s_and_not1_b32 s27, s27, exec_lo
	s_and_b32 s30, s30, exec_lo
	s_or_b32 s29, s29, s31
	s_and_not1_b32 s28, s28, exec_lo
	s_or_b32 s27, s27, s30
                                        ; implicit-def: $sgpr30
	s_branch .LBB878_85
.LBB878_88:
	s_set_inst_prefetch_distance 0x2
	s_or_b32 exec_lo, exec_lo, s25
	s_xor_b32 s0, s26, -1
	s_and_not1_b32 s20, s22, exec_lo
	s_and_b32 s0, s0, exec_lo
	s_delay_alu instid0(SALU_CYCLE_1)
	s_or_b32 s22, s20, s0
.LBB878_89:
	s_or_b32 exec_lo, exec_lo, s24
	s_delay_alu instid0(SALU_CYCLE_1)
	s_or_not1_b32 s22, s22, exec_lo
.LBB878_90:
	s_or_b32 exec_lo, exec_lo, s23
	v_cndmask_b32_e64 v4, v9, v8, s22
	v_cndmask_b32_e64 v5, v19, v18, s22
	s_mov_b32 s23, exec_lo
	s_delay_alu instid0(VALU_DEP_2) | instskip(NEXT) | instid1(VALU_DEP_2)
	v_add_nc_u32_e32 v6, 1, v4
	v_add_nc_u32_e32 v4, -1, v5
	s_delay_alu instid0(VALU_DEP_2) | instskip(NEXT) | instid1(VALU_DEP_2)
	v_cndmask_b32_e64 v9, v6, v9, s22
	v_min_u32_e32 v4, v6, v4
	v_cndmask_b32_e64 v8, v8, v6, s22
	s_delay_alu instid0(VALU_DEP_2)
	v_lshl_add_u32 v4, v4, 3, v14
	ds_load_b64 v[4:5], v4
	s_waitcnt lgkmcnt(0)
	v_cndmask_b32_e64 v37, v5, v10, s22
	v_cndmask_b32_e64 v38, v4, v11, s22
	v_cndmask_b32_e64 v39, v20, v5, s22
	v_cndmask_b32_e64 v40, v21, v4, s22
	v_cmpx_lt_u32_e64 v9, v19
	s_cbranch_execz .LBB878_98
; %bb.91:
	v_cmp_lt_u32_e64 s19, v8, v18
	s_xor_b32 s0, s12, -1
	s_delay_alu instid0(VALU_DEP_1) | instid1(SALU_CYCLE_1)
	s_and_b32 s0, s19, s0
	s_delay_alu instid0(SALU_CYCLE_1)
	s_and_saveexec_b32 s24, s0
	s_cbranch_execz .LBB878_97
; %bb.92:
	v_mul_lo_u32 v41, v37, s8
	v_mul_lo_u32 v42, v38, s9
	v_mad_u64_u32 v[4:5], null, v38, s8, 0
	v_mul_lo_u32 v43, v39, s8
	v_mul_lo_u32 v44, v40, s9
	v_mad_u64_u32 v[6:7], null, v40, s8, 0
	s_mov_b32 s25, 0
	s_mov_b64 s[20:21], s[8:9]
	s_delay_alu instid0(VALU_DEP_4) | instskip(NEXT) | instid1(VALU_DEP_2)
	v_add3_u32 v5, v5, v42, v41
                                        ; implicit-def: $sgpr26
                                        ; implicit-def: $sgpr27
                                        ; implicit-def: $sgpr28
                                        ; implicit-def: $sgpr29
                                        ; implicit-def: $sgpr30
	v_add3_u32 v7, v7, v44, v43
	s_delay_alu instid0(VALU_DEP_2) | instskip(NEXT) | instid1(VALU_DEP_2)
	v_lshlrev_b64 v[4:5], 2, v[4:5]
	v_lshlrev_b64 v[6:7], 2, v[6:7]
	s_delay_alu instid0(VALU_DEP_2) | instskip(NEXT) | instid1(VALU_DEP_3)
	v_add_co_u32 v4, vcc_lo, s10, v4
	v_add_co_ci_u32_e32 v5, vcc_lo, s11, v5, vcc_lo
	s_delay_alu instid0(VALU_DEP_3) | instskip(NEXT) | instid1(VALU_DEP_4)
	v_add_co_u32 v6, vcc_lo, s10, v6
	v_add_co_ci_u32_e32 v7, vcc_lo, s11, v7, vcc_lo
	s_set_inst_prefetch_distance 0x1
	s_branch .LBB878_94
	.p2align	6
.LBB878_93:                             ;   in Loop: Header=BB878_94 Depth=1
	s_or_b32 exec_lo, exec_lo, s0
	s_delay_alu instid0(SALU_CYCLE_1) | instskip(NEXT) | instid1(SALU_CYCLE_1)
	s_and_b32 s0, exec_lo, s27
	s_or_b32 s25, s0, s25
	s_and_not1_b32 s0, s30, exec_lo
	s_and_b32 s30, s29, exec_lo
	s_and_not1_b32 s26, s26, exec_lo
	s_and_b32 s31, s28, exec_lo
	s_or_b32 s30, s0, s30
	s_or_b32 s26, s26, s31
	s_and_not1_b32 exec_lo, exec_lo, s25
	s_cbranch_execz .LBB878_96
.LBB878_94:                             ; =>This Inner Loop Header: Depth=1
	global_load_b32 v41, v[4:5], off
	global_load_b32 v42, v[6:7], off
	s_and_not1_b32 s28, s28, exec_lo
	s_and_not1_b32 s29, s29, exec_lo
	s_or_b32 s27, s27, exec_lo
	s_waitcnt vmcnt(0)
	v_cmp_ngt_f32_e32 vcc_lo, v41, v42
	v_cmp_lt_f32_e64 s0, v41, v42
	s_and_b32 s31, vcc_lo, s30
	s_delay_alu instid0(VALU_DEP_1) | instid1(SALU_CYCLE_1)
	s_or_b32 s31, s0, s31
	s_delay_alu instid0(SALU_CYCLE_1) | instskip(NEXT) | instid1(SALU_CYCLE_1)
	s_and_b32 s0, s31, exec_lo
	s_or_b32 s28, s28, s0
	s_mov_b32 s0, exec_lo
	v_cmpx_nlg_f32_e32 v41, v42
	s_cbranch_execz .LBB878_93
; %bb.95:                               ;   in Loop: Header=BB878_94 Depth=1
	s_add_u32 s20, s20, -1
	s_addc_u32 s21, s21, -1
	v_add_co_u32 v4, vcc_lo, v4, 4
	s_cmp_eq_u64 s[20:21], 0
	v_add_co_ci_u32_e32 v5, vcc_lo, 0, v5, vcc_lo
	v_add_co_u32 v6, vcc_lo, v6, 4
	s_cselect_b32 s30, -1, 0
	v_add_co_ci_u32_e32 v7, vcc_lo, 0, v7, vcc_lo
	s_and_not1_b32 s29, s29, exec_lo
	s_and_b32 s31, s31, exec_lo
	s_and_not1_b32 s27, s27, exec_lo
	s_and_b32 s30, s30, exec_lo
	s_or_b32 s29, s29, s31
	s_and_not1_b32 s28, s28, exec_lo
	s_or_b32 s27, s27, s30
                                        ; implicit-def: $sgpr30
	s_branch .LBB878_93
.LBB878_96:
	s_set_inst_prefetch_distance 0x2
	s_or_b32 exec_lo, exec_lo, s25
	s_xor_b32 s0, s26, -1
	s_and_not1_b32 s19, s19, exec_lo
	s_and_b32 s0, s0, exec_lo
	s_delay_alu instid0(SALU_CYCLE_1)
	s_or_b32 s19, s19, s0
.LBB878_97:
	s_or_b32 exec_lo, exec_lo, s24
	s_delay_alu instid0(SALU_CYCLE_1)
	s_or_not1_b32 s19, s19, exec_lo
.LBB878_98:
	s_or_b32 exec_lo, exec_lo, s23
	v_cndmask_b32_e64 v4, v9, v8, s19
	v_cndmask_b32_e64 v5, v19, v18, s19
	s_mov_b32 s23, exec_lo
	s_delay_alu instid0(VALU_DEP_2) | instskip(NEXT) | instid1(VALU_DEP_2)
	v_add_nc_u32_e32 v41, 1, v4
	v_add_nc_u32_e32 v4, -1, v5
	s_delay_alu instid0(VALU_DEP_2) | instskip(NEXT) | instid1(VALU_DEP_2)
	v_cndmask_b32_e64 v9, v41, v9, s19
	v_min_u32_e32 v4, v41, v4
	s_delay_alu instid0(VALU_DEP_1)
	v_lshl_add_u32 v4, v4, 3, v14
	ds_load_b64 v[4:5], v4
	s_waitcnt lgkmcnt(0)
	v_cndmask_b32_e64 v7, v39, v5, s19
	v_cndmask_b32_e64 v6, v40, v4, s19
	v_cmpx_lt_u32_e64 v9, v19
	s_cbranch_execz .LBB878_106
; %bb.99:
	v_cndmask_b32_e64 v8, v8, v41, s19
	v_cndmask_b32_e64 v19, v5, v37, s19
	v_cndmask_b32_e64 v41, v4, v38, s19
	s_delay_alu instid0(VALU_DEP_3) | instskip(NEXT) | instid1(VALU_DEP_2)
	v_cmp_ge_u32_e32 vcc_lo, v8, v18
	v_dual_cndmask_b32 v5, v7, v19 :: v_dual_cndmask_b32 v4, v6, v41
	s_or_b32 s0, vcc_lo, s12
	s_delay_alu instid0(SALU_CYCLE_1) | instskip(NEXT) | instid1(SALU_CYCLE_1)
	s_xor_b32 s0, s0, -1
	s_and_saveexec_b32 s24, s0
	s_cbranch_execz .LBB878_105
; %bb.100:
	v_mul_lo_u32 v18, v19, s8
	v_mul_lo_u32 v42, v41, s9
	v_mad_u64_u32 v[4:5], null, v41, s8, 0
	v_mul_lo_u32 v43, v7, s8
	v_mul_lo_u32 v44, v6, s9
	v_mad_u64_u32 v[8:9], null, v6, s8, 0
	s_mov_b32 s25, 0
	s_mov_b64 s[20:21], s[8:9]
	s_delay_alu instid0(VALU_DEP_4) | instskip(NEXT) | instid1(VALU_DEP_2)
	v_add3_u32 v5, v5, v42, v18
                                        ; implicit-def: $sgpr26
                                        ; implicit-def: $sgpr27
                                        ; implicit-def: $sgpr28
                                        ; implicit-def: $sgpr29
                                        ; implicit-def: $sgpr30
	v_add3_u32 v9, v9, v44, v43
	s_delay_alu instid0(VALU_DEP_2) | instskip(NEXT) | instid1(VALU_DEP_2)
	v_lshlrev_b64 v[4:5], 2, v[4:5]
	v_lshlrev_b64 v[8:9], 2, v[8:9]
	s_delay_alu instid0(VALU_DEP_2) | instskip(NEXT) | instid1(VALU_DEP_3)
	v_add_co_u32 v4, vcc_lo, s10, v4
	v_add_co_ci_u32_e32 v5, vcc_lo, s11, v5, vcc_lo
	s_delay_alu instid0(VALU_DEP_3) | instskip(NEXT) | instid1(VALU_DEP_4)
	v_add_co_u32 v8, vcc_lo, s10, v8
	v_add_co_ci_u32_e32 v9, vcc_lo, s11, v9, vcc_lo
	s_set_inst_prefetch_distance 0x1
	s_branch .LBB878_102
	.p2align	6
.LBB878_101:                            ;   in Loop: Header=BB878_102 Depth=1
	s_or_b32 exec_lo, exec_lo, s0
	s_delay_alu instid0(SALU_CYCLE_1) | instskip(NEXT) | instid1(SALU_CYCLE_1)
	s_and_b32 s0, exec_lo, s27
	s_or_b32 s25, s0, s25
	s_and_not1_b32 s0, s30, exec_lo
	s_and_b32 s30, s29, exec_lo
	s_and_not1_b32 s26, s26, exec_lo
	s_and_b32 s31, s28, exec_lo
	s_or_b32 s30, s0, s30
	s_or_b32 s26, s26, s31
	s_and_not1_b32 exec_lo, exec_lo, s25
	s_cbranch_execz .LBB878_104
.LBB878_102:                            ; =>This Inner Loop Header: Depth=1
	global_load_b32 v18, v[4:5], off
	global_load_b32 v42, v[8:9], off
	s_and_not1_b32 s28, s28, exec_lo
	s_and_not1_b32 s29, s29, exec_lo
	s_or_b32 s27, s27, exec_lo
	s_waitcnt vmcnt(0)
	v_cmp_ngt_f32_e32 vcc_lo, v18, v42
	v_cmp_lt_f32_e64 s0, v18, v42
	s_and_b32 s31, vcc_lo, s30
	s_delay_alu instid0(VALU_DEP_1) | instid1(SALU_CYCLE_1)
	s_or_b32 s31, s0, s31
	s_delay_alu instid0(SALU_CYCLE_1) | instskip(NEXT) | instid1(SALU_CYCLE_1)
	s_and_b32 s0, s31, exec_lo
	s_or_b32 s28, s28, s0
	s_mov_b32 s0, exec_lo
	v_cmpx_nlg_f32_e32 v18, v42
	s_cbranch_execz .LBB878_101
; %bb.103:                              ;   in Loop: Header=BB878_102 Depth=1
	s_add_u32 s20, s20, -1
	s_addc_u32 s21, s21, -1
	v_add_co_u32 v4, vcc_lo, v4, 4
	s_cmp_eq_u64 s[20:21], 0
	v_add_co_ci_u32_e32 v5, vcc_lo, 0, v5, vcc_lo
	v_add_co_u32 v8, vcc_lo, v8, 4
	s_cselect_b32 s30, -1, 0
	v_add_co_ci_u32_e32 v9, vcc_lo, 0, v9, vcc_lo
	s_and_not1_b32 s29, s29, exec_lo
	s_and_b32 s31, s31, exec_lo
	s_and_not1_b32 s27, s27, exec_lo
	s_and_b32 s30, s30, exec_lo
	s_or_b32 s29, s29, s31
	s_and_not1_b32 s28, s28, exec_lo
	s_or_b32 s27, s27, s30
                                        ; implicit-def: $sgpr30
	s_branch .LBB878_101
.LBB878_104:
	s_set_inst_prefetch_distance 0x2
	s_or_b32 exec_lo, exec_lo, s25
	v_cndmask_b32_e64 v5, v7, v19, s26
	v_cndmask_b32_e64 v4, v6, v41, s26
.LBB878_105:
	s_or_b32 exec_lo, exec_lo, s24
	s_delay_alu instid0(VALU_DEP_1)
	v_dual_mov_b32 v7, v5 :: v_dual_mov_b32 v6, v4
.LBB878_106:
	s_or_b32 exec_lo, exec_lo, s23
	v_cndmask_b32_e64 v1, v3, v1, s1
	v_cndmask_b32_e64 v0, v2, v0, s1
	v_cndmask_b32_e64 v3, v10, v20, s22
	v_cndmask_b32_e64 v2, v11, v21, s22
	v_cndmask_b32_e64 v5, v37, v39, s19
	v_cndmask_b32_e64 v4, v38, v40, s19
.LBB878_107:
	s_or_b32 exec_lo, exec_lo, s17
	v_and_b32_e32 v37, 0x70, v16
	v_and_b32_e32 v9, 12, v16
	s_mov_b32 s1, exec_lo
	; wave barrier
	s_delay_alu instid0(VALU_DEP_2) | instskip(NEXT) | instid1(VALU_DEP_2)
	v_or_b32_e32 v8, 8, v37
	v_min_u32_e32 v38, v15, v9
	v_lshl_add_u32 v21, v37, 3, v14
	ds_store_b128 v17, v[0:3]
	ds_store_b128 v17, v[4:7] offset:16
	v_min_u32_e32 v18, v15, v8
	; wave barrier
	s_delay_alu instid0(VALU_DEP_1) | instskip(SKIP_1) | instid1(VALU_DEP_2)
	v_add_nc_u32_e32 v8, 8, v18
	v_sub_nc_u32_e32 v9, v18, v37
	v_min_u32_e32 v19, v15, v8
	s_delay_alu instid0(VALU_DEP_2) | instskip(NEXT) | instid1(VALU_DEP_2)
	v_min_u32_e32 v39, v38, v9
	v_sub_nc_u32_e32 v8, v19, v18
	s_delay_alu instid0(VALU_DEP_1) | instskip(NEXT) | instid1(VALU_DEP_1)
	v_sub_nc_u32_e64 v20, v38, v8 clamp
	v_cmpx_lt_u32_e64 v20, v39
	s_cbranch_execz .LBB878_117
; %bb.108:
	v_lshlrev_b32_e32 v8, 3, v18
	v_lshlrev_b32_e32 v9, 3, v38
	s_lshl_b64 s[20:21], s[8:9], 2
	s_mov_b32 s17, 0
	s_delay_alu instid0(VALU_DEP_1)
	v_add3_u32 v40, v14, v8, v9
	s_branch .LBB878_111
.LBB878_109:                            ;   in Loop: Header=BB878_111 Depth=1
	s_set_inst_prefetch_distance 0x2
	s_or_b32 exec_lo, exec_lo, s19
.LBB878_110:                            ;   in Loop: Header=BB878_111 Depth=1
	s_delay_alu instid0(VALU_DEP_1) | instskip(SKIP_1) | instid1(VALU_DEP_2)
	v_add_nc_u32_e32 v8, 1, v41
	v_cndmask_b32_e64 v39, v39, v41, s24
	v_cndmask_b32_e64 v20, v8, v20, s24
	s_delay_alu instid0(VALU_DEP_1) | instskip(SKIP_1) | instid1(SALU_CYCLE_1)
	v_cmp_ge_u32_e32 vcc_lo, v20, v39
	s_or_b32 s17, vcc_lo, s17
	s_and_not1_b32 exec_lo, exec_lo, s17
	s_cbranch_execz .LBB878_116
.LBB878_111:                            ; =>This Loop Header: Depth=1
                                        ;     Child Loop BB878_114 Depth 2
	v_add_nc_u32_e32 v8, v39, v20
	v_cmp_ne_u32_e32 vcc_lo, 1, v36
	s_mov_b32 s24, 0
	s_delay_alu instid0(VALU_DEP_2)
	v_lshrrev_b32_e32 v41, 1, v8
	s_cbranch_vccnz .LBB878_110
; %bb.112:                              ;   in Loop: Header=BB878_111 Depth=1
	s_delay_alu instid0(VALU_DEP_1) | instskip(SKIP_3) | instid1(VALU_DEP_2)
	v_not_b32_e32 v8, v41
	v_lshl_add_u32 v9, v41, 3, v21
	s_mov_b32 s19, 0
	s_mov_b64 s[22:23], s[8:9]
                                        ; implicit-def: $sgpr24
                                        ; implicit-def: $sgpr25
                                        ; implicit-def: $sgpr26
                                        ; implicit-def: $sgpr27
                                        ; implicit-def: $sgpr28
	v_lshl_add_u32 v8, v8, 3, v40
	ds_load_b64 v[10:11], v8
	ds_load_b64 v[42:43], v9
	s_waitcnt lgkmcnt(1)
	v_mul_lo_u32 v44, s20, v11
	v_mul_lo_u32 v45, s21, v10
	v_mad_u64_u32 v[8:9], null, s20, v10, s[10:11]
	s_waitcnt lgkmcnt(0)
	v_mul_lo_u32 v43, s20, v43
	v_mul_lo_u32 v46, s21, v42
	v_mad_u64_u32 v[10:11], null, s20, v42, s[10:11]
	s_delay_alu instid0(VALU_DEP_4) | instskip(NEXT) | instid1(VALU_DEP_2)
	v_add3_u32 v9, v45, v9, v44
	v_add3_u32 v11, v46, v11, v43
	s_set_inst_prefetch_distance 0x1
	s_branch .LBB878_114
	.p2align	6
.LBB878_113:                            ;   in Loop: Header=BB878_114 Depth=2
	s_or_b32 exec_lo, exec_lo, s29
	s_delay_alu instid0(SALU_CYCLE_1) | instskip(NEXT) | instid1(SALU_CYCLE_1)
	s_and_b32 s0, exec_lo, s25
	s_or_b32 s19, s0, s19
	s_and_not1_b32 s0, s28, exec_lo
	s_and_b32 s28, s26, exec_lo
	s_and_not1_b32 s24, s24, exec_lo
	s_and_b32 s29, s27, exec_lo
	s_or_b32 s28, s0, s28
	s_or_b32 s24, s24, s29
	s_and_not1_b32 exec_lo, exec_lo, s19
	s_cbranch_execz .LBB878_109
.LBB878_114:                            ;   Parent Loop BB878_111 Depth=1
                                        ; =>  This Inner Loop Header: Depth=2
	global_load_b32 v42, v[8:9], off
	global_load_b32 v43, v[10:11], off
	s_and_not1_b32 s27, s27, exec_lo
	s_and_not1_b32 s26, s26, exec_lo
	s_or_b32 s25, s25, exec_lo
	s_waitcnt vmcnt(0)
	v_cmp_ngt_f32_e32 vcc_lo, v42, v43
	v_cmp_lt_f32_e64 s0, v42, v43
	s_and_b32 s29, vcc_lo, s28
	s_delay_alu instid0(VALU_DEP_1) | instid1(SALU_CYCLE_1)
	s_or_b32 s0, s0, s29
	s_delay_alu instid0(SALU_CYCLE_1) | instskip(NEXT) | instid1(SALU_CYCLE_1)
	s_and_b32 s29, s0, exec_lo
	s_or_b32 s27, s27, s29
	s_mov_b32 s29, exec_lo
	v_cmpx_nlg_f32_e32 v42, v43
	s_cbranch_execz .LBB878_113
; %bb.115:                              ;   in Loop: Header=BB878_114 Depth=2
	s_add_u32 s22, s22, -1
	s_addc_u32 s23, s23, -1
	v_add_co_u32 v8, vcc_lo, v8, 4
	v_add_co_ci_u32_e32 v9, vcc_lo, 0, v9, vcc_lo
	s_cmp_eq_u64 s[22:23], 0
	v_add_co_u32 v10, vcc_lo, v10, 4
	s_cselect_b32 s28, -1, 0
	v_add_co_ci_u32_e32 v11, vcc_lo, 0, v11, vcc_lo
	s_and_not1_b32 s26, s26, exec_lo
	s_and_b32 s0, s0, exec_lo
	s_and_not1_b32 s25, s25, exec_lo
	s_and_b32 s28, s28, exec_lo
	s_and_not1_b32 s27, s27, exec_lo
	s_or_b32 s26, s26, s0
	s_or_b32 s25, s25, s28
                                        ; implicit-def: $sgpr28
	s_branch .LBB878_113
.LBB878_116:
	s_or_b32 exec_lo, exec_lo, s17
.LBB878_117:
	s_delay_alu instid0(SALU_CYCLE_1) | instskip(SKIP_2) | instid1(VALU_DEP_2)
	s_or_b32 exec_lo, exec_lo, s1
	v_add_nc_u32_e32 v9, v18, v38
	v_add_nc_u32_e32 v8, v20, v37
	v_sub_nc_u32_e32 v9, v9, v20
	s_delay_alu instid0(VALU_DEP_2) | instskip(NEXT) | instid1(VALU_DEP_2)
	v_cmp_le_u32_e32 vcc_lo, v8, v18
	v_cmp_le_u32_e64 s0, v9, v19
	s_delay_alu instid0(VALU_DEP_1) | instskip(NEXT) | instid1(SALU_CYCLE_1)
	s_or_b32 s0, vcc_lo, s0
	s_and_saveexec_b32 s17, s0
	s_cbranch_execz .LBB878_153
; %bb.118:
	v_cmp_ge_u32_e32 vcc_lo, v8, v18
	s_mov_b32 s1, exec_lo
                                        ; implicit-def: $vgpr0_vgpr1
	v_cmpx_lt_u32_e64 v8, v18
	s_cbranch_execz .LBB878_120
; %bb.119:
	v_lshl_add_u32 v0, v20, 3, v21
	ds_load_b64 v[0:1], v0
.LBB878_120:
	s_or_b32 exec_lo, exec_lo, s1
	v_cmp_ge_u32_e64 s0, v9, v19
	s_mov_b32 s19, exec_lo
                                        ; implicit-def: $vgpr4_vgpr5
	v_cmpx_lt_u32_e64 v9, v19
	s_cbranch_execz .LBB878_122
; %bb.121:
	v_lshl_add_u32 v2, v9, 3, v14
	ds_load_b64 v[4:5], v2
.LBB878_122:
	s_or_b32 exec_lo, exec_lo, s19
	s_or_b32 s1, vcc_lo, s0
	s_xor_b32 s19, vcc_lo, -1
	s_or_b32 s1, s1, s12
	s_delay_alu instid0(SALU_CYCLE_1)
	s_xor_b32 s20, s1, -1
	s_or_b32 s1, s0, s19
	s_and_saveexec_b32 s19, s20
	s_cbranch_execz .LBB878_128
; %bb.123:
	s_waitcnt lgkmcnt(0)
	v_mul_lo_u32 v10, v5, s8
	v_mul_lo_u32 v11, v4, s9
	v_mad_u64_u32 v[2:3], null, v4, s8, 0
	v_mul_lo_u32 v20, v1, s8
	v_mul_lo_u32 v21, v0, s9
	v_mad_u64_u32 v[6:7], null, v0, s8, 0
	s_mov_b32 s22, 0
	s_mov_b64 s[20:21], s[8:9]
	s_delay_alu instid0(VALU_DEP_4) | instskip(NEXT) | instid1(VALU_DEP_2)
	v_add3_u32 v3, v3, v11, v10
                                        ; implicit-def: $sgpr23
                                        ; implicit-def: $sgpr24
                                        ; implicit-def: $sgpr25
                                        ; implicit-def: $sgpr26
                                        ; implicit-def: $sgpr27
	v_add3_u32 v7, v7, v21, v20
	s_delay_alu instid0(VALU_DEP_2) | instskip(NEXT) | instid1(VALU_DEP_2)
	v_lshlrev_b64 v[2:3], 2, v[2:3]
	v_lshlrev_b64 v[6:7], 2, v[6:7]
	s_delay_alu instid0(VALU_DEP_2) | instskip(NEXT) | instid1(VALU_DEP_3)
	v_add_co_u32 v2, vcc_lo, s10, v2
	v_add_co_ci_u32_e32 v3, vcc_lo, s11, v3, vcc_lo
	s_delay_alu instid0(VALU_DEP_3) | instskip(NEXT) | instid1(VALU_DEP_4)
	v_add_co_u32 v6, vcc_lo, s10, v6
	v_add_co_ci_u32_e32 v7, vcc_lo, s11, v7, vcc_lo
	s_set_inst_prefetch_distance 0x1
	s_branch .LBB878_125
	.p2align	6
.LBB878_124:                            ;   in Loop: Header=BB878_125 Depth=1
	s_or_b32 exec_lo, exec_lo, s0
	s_delay_alu instid0(SALU_CYCLE_1) | instskip(NEXT) | instid1(SALU_CYCLE_1)
	s_and_b32 s0, exec_lo, s24
	s_or_b32 s22, s0, s22
	s_and_not1_b32 s0, s27, exec_lo
	s_and_b32 s27, s26, exec_lo
	s_and_not1_b32 s23, s23, exec_lo
	s_and_b32 s28, s25, exec_lo
	s_or_b32 s27, s0, s27
	s_or_b32 s23, s23, s28
	s_and_not1_b32 exec_lo, exec_lo, s22
	s_cbranch_execz .LBB878_127
.LBB878_125:                            ; =>This Inner Loop Header: Depth=1
	global_load_b32 v10, v[2:3], off
	global_load_b32 v11, v[6:7], off
	s_and_not1_b32 s25, s25, exec_lo
	s_and_not1_b32 s26, s26, exec_lo
	s_or_b32 s24, s24, exec_lo
	s_waitcnt vmcnt(0)
	v_cmp_ngt_f32_e32 vcc_lo, v10, v11
	v_cmp_lt_f32_e64 s0, v10, v11
	s_and_b32 s28, vcc_lo, s27
	s_delay_alu instid0(VALU_DEP_1) | instid1(SALU_CYCLE_1)
	s_or_b32 s28, s0, s28
	s_delay_alu instid0(SALU_CYCLE_1) | instskip(NEXT) | instid1(SALU_CYCLE_1)
	s_and_b32 s0, s28, exec_lo
	s_or_b32 s25, s25, s0
	s_mov_b32 s0, exec_lo
	v_cmpx_nlg_f32_e32 v10, v11
	s_cbranch_execz .LBB878_124
; %bb.126:                              ;   in Loop: Header=BB878_125 Depth=1
	s_add_u32 s20, s20, -1
	s_addc_u32 s21, s21, -1
	v_add_co_u32 v2, vcc_lo, v2, 4
	s_cmp_eq_u64 s[20:21], 0
	v_add_co_ci_u32_e32 v3, vcc_lo, 0, v3, vcc_lo
	v_add_co_u32 v6, vcc_lo, v6, 4
	s_cselect_b32 s27, -1, 0
	v_add_co_ci_u32_e32 v7, vcc_lo, 0, v7, vcc_lo
	s_and_not1_b32 s26, s26, exec_lo
	s_and_b32 s28, s28, exec_lo
	s_and_not1_b32 s24, s24, exec_lo
	s_and_b32 s27, s27, exec_lo
	s_or_b32 s26, s26, s28
	s_and_not1_b32 s25, s25, exec_lo
	s_or_b32 s24, s24, s27
                                        ; implicit-def: $sgpr27
	s_branch .LBB878_124
.LBB878_127:
	s_set_inst_prefetch_distance 0x2
	s_or_b32 exec_lo, exec_lo, s22
	s_xor_b32 s0, s23, -1
	s_and_not1_b32 s1, s1, exec_lo
	s_and_b32 s0, s0, exec_lo
	s_delay_alu instid0(SALU_CYCLE_1)
	s_or_b32 s1, s1, s0
.LBB878_128:
	s_or_b32 exec_lo, exec_lo, s19
	v_cndmask_b32_e64 v2, v9, v8, s1
	v_cndmask_b32_e64 v3, v19, v18, s1
	s_mov_b32 s19, -1
	s_mov_b32 s22, -1
	s_mov_b32 s23, exec_lo
	v_add_nc_u32_e32 v6, 1, v2
	v_add_nc_u32_e32 v2, -1, v3
	s_delay_alu instid0(VALU_DEP_2) | instskip(NEXT) | instid1(VALU_DEP_2)
	v_cndmask_b32_e64 v9, v6, v9, s1
	v_min_u32_e32 v2, v6, v2
	v_cndmask_b32_e64 v8, v8, v6, s1
	s_delay_alu instid0(VALU_DEP_2)
	v_lshl_add_u32 v2, v2, 3, v14
	ds_load_b64 v[2:3], v2
	s_waitcnt lgkmcnt(0)
	v_cndmask_b32_e64 v10, v3, v5, s1
	v_cndmask_b32_e64 v11, v2, v4, s1
	;; [unrolled: 1-line block ×4, first 2 shown]
	v_cmpx_lt_u32_e64 v9, v19
	s_cbranch_execz .LBB878_136
; %bb.129:
	v_cmp_lt_u32_e64 s22, v8, v18
	s_xor_b32 s0, s12, -1
	s_delay_alu instid0(VALU_DEP_1) | instid1(SALU_CYCLE_1)
	s_and_b32 s0, s22, s0
	s_delay_alu instid0(SALU_CYCLE_1)
	s_and_saveexec_b32 s24, s0
	s_cbranch_execz .LBB878_135
; %bb.130:
	v_mul_lo_u32 v37, v10, s8
	v_mul_lo_u32 v38, v11, s9
	v_mad_u64_u32 v[2:3], null, v11, s8, 0
	v_mul_lo_u32 v39, v20, s8
	v_mul_lo_u32 v40, v21, s9
	v_mad_u64_u32 v[6:7], null, v21, s8, 0
	s_mov_b32 s25, 0
	s_mov_b64 s[20:21], s[8:9]
	s_delay_alu instid0(VALU_DEP_4) | instskip(NEXT) | instid1(VALU_DEP_2)
	v_add3_u32 v3, v3, v38, v37
                                        ; implicit-def: $sgpr26
                                        ; implicit-def: $sgpr27
                                        ; implicit-def: $sgpr28
                                        ; implicit-def: $sgpr29
                                        ; implicit-def: $sgpr30
	v_add3_u32 v7, v7, v40, v39
	s_delay_alu instid0(VALU_DEP_2) | instskip(NEXT) | instid1(VALU_DEP_2)
	v_lshlrev_b64 v[2:3], 2, v[2:3]
	v_lshlrev_b64 v[6:7], 2, v[6:7]
	s_delay_alu instid0(VALU_DEP_2) | instskip(NEXT) | instid1(VALU_DEP_3)
	v_add_co_u32 v2, vcc_lo, s10, v2
	v_add_co_ci_u32_e32 v3, vcc_lo, s11, v3, vcc_lo
	s_delay_alu instid0(VALU_DEP_3) | instskip(NEXT) | instid1(VALU_DEP_4)
	v_add_co_u32 v6, vcc_lo, s10, v6
	v_add_co_ci_u32_e32 v7, vcc_lo, s11, v7, vcc_lo
	s_set_inst_prefetch_distance 0x1
	s_branch .LBB878_132
	.p2align	6
.LBB878_131:                            ;   in Loop: Header=BB878_132 Depth=1
	s_or_b32 exec_lo, exec_lo, s0
	s_delay_alu instid0(SALU_CYCLE_1) | instskip(NEXT) | instid1(SALU_CYCLE_1)
	s_and_b32 s0, exec_lo, s27
	s_or_b32 s25, s0, s25
	s_and_not1_b32 s0, s30, exec_lo
	s_and_b32 s30, s29, exec_lo
	s_and_not1_b32 s26, s26, exec_lo
	s_and_b32 s31, s28, exec_lo
	s_or_b32 s30, s0, s30
	s_or_b32 s26, s26, s31
	s_and_not1_b32 exec_lo, exec_lo, s25
	s_cbranch_execz .LBB878_134
.LBB878_132:                            ; =>This Inner Loop Header: Depth=1
	global_load_b32 v37, v[2:3], off
	global_load_b32 v38, v[6:7], off
	s_and_not1_b32 s28, s28, exec_lo
	s_and_not1_b32 s29, s29, exec_lo
	s_or_b32 s27, s27, exec_lo
	s_waitcnt vmcnt(0)
	v_cmp_ngt_f32_e32 vcc_lo, v37, v38
	v_cmp_lt_f32_e64 s0, v37, v38
	s_and_b32 s31, vcc_lo, s30
	s_delay_alu instid0(VALU_DEP_1) | instid1(SALU_CYCLE_1)
	s_or_b32 s31, s0, s31
	s_delay_alu instid0(SALU_CYCLE_1) | instskip(NEXT) | instid1(SALU_CYCLE_1)
	s_and_b32 s0, s31, exec_lo
	s_or_b32 s28, s28, s0
	s_mov_b32 s0, exec_lo
	v_cmpx_nlg_f32_e32 v37, v38
	s_cbranch_execz .LBB878_131
; %bb.133:                              ;   in Loop: Header=BB878_132 Depth=1
	s_add_u32 s20, s20, -1
	s_addc_u32 s21, s21, -1
	v_add_co_u32 v2, vcc_lo, v2, 4
	s_cmp_eq_u64 s[20:21], 0
	v_add_co_ci_u32_e32 v3, vcc_lo, 0, v3, vcc_lo
	v_add_co_u32 v6, vcc_lo, v6, 4
	s_cselect_b32 s30, -1, 0
	v_add_co_ci_u32_e32 v7, vcc_lo, 0, v7, vcc_lo
	s_and_not1_b32 s29, s29, exec_lo
	s_and_b32 s31, s31, exec_lo
	s_and_not1_b32 s27, s27, exec_lo
	s_and_b32 s30, s30, exec_lo
	s_or_b32 s29, s29, s31
	s_and_not1_b32 s28, s28, exec_lo
	s_or_b32 s27, s27, s30
                                        ; implicit-def: $sgpr30
	s_branch .LBB878_131
.LBB878_134:
	s_set_inst_prefetch_distance 0x2
	s_or_b32 exec_lo, exec_lo, s25
	s_xor_b32 s0, s26, -1
	s_and_not1_b32 s20, s22, exec_lo
	s_and_b32 s0, s0, exec_lo
	s_delay_alu instid0(SALU_CYCLE_1)
	s_or_b32 s22, s20, s0
.LBB878_135:
	s_or_b32 exec_lo, exec_lo, s24
	s_delay_alu instid0(SALU_CYCLE_1)
	s_or_not1_b32 s22, s22, exec_lo
.LBB878_136:
	s_or_b32 exec_lo, exec_lo, s23
	v_cndmask_b32_e64 v2, v9, v8, s22
	v_cndmask_b32_e64 v3, v19, v18, s22
	s_mov_b32 s23, exec_lo
	s_delay_alu instid0(VALU_DEP_2) | instskip(NEXT) | instid1(VALU_DEP_2)
	v_add_nc_u32_e32 v6, 1, v2
	v_add_nc_u32_e32 v2, -1, v3
	s_delay_alu instid0(VALU_DEP_2) | instskip(NEXT) | instid1(VALU_DEP_2)
	v_cndmask_b32_e64 v40, v6, v9, s22
	v_min_u32_e32 v2, v6, v2
	v_cndmask_b32_e64 v37, v8, v6, s22
	s_delay_alu instid0(VALU_DEP_2)
	v_lshl_add_u32 v2, v2, 3, v14
	ds_load_b64 v[2:3], v2
	s_waitcnt lgkmcnt(0)
	v_cndmask_b32_e64 v38, v3, v10, s22
	v_cndmask_b32_e64 v39, v2, v11, s22
	;; [unrolled: 1-line block ×4, first 2 shown]
	v_cmpx_lt_u32_e64 v40, v19
	s_cbranch_execz .LBB878_144
; %bb.137:
	v_cmp_lt_u32_e64 s19, v37, v18
	s_xor_b32 s0, s12, -1
	s_delay_alu instid0(VALU_DEP_1) | instid1(SALU_CYCLE_1)
	s_and_b32 s0, s19, s0
	s_delay_alu instid0(SALU_CYCLE_1)
	s_and_saveexec_b32 s24, s0
	s_cbranch_execz .LBB878_143
; %bb.138:
	v_mul_lo_u32 v8, v38, s8
	v_mul_lo_u32 v9, v39, s9
	v_mad_u64_u32 v[2:3], null, v39, s8, 0
	v_mul_lo_u32 v43, v41, s8
	v_mul_lo_u32 v44, v42, s9
	v_mad_u64_u32 v[6:7], null, v42, s8, 0
	s_mov_b32 s25, 0
	s_mov_b64 s[20:21], s[8:9]
	s_delay_alu instid0(VALU_DEP_4) | instskip(NEXT) | instid1(VALU_DEP_2)
	v_add3_u32 v3, v3, v9, v8
                                        ; implicit-def: $sgpr26
                                        ; implicit-def: $sgpr27
                                        ; implicit-def: $sgpr28
                                        ; implicit-def: $sgpr29
                                        ; implicit-def: $sgpr30
	v_add3_u32 v7, v7, v44, v43
	s_delay_alu instid0(VALU_DEP_2) | instskip(NEXT) | instid1(VALU_DEP_2)
	v_lshlrev_b64 v[2:3], 2, v[2:3]
	v_lshlrev_b64 v[6:7], 2, v[6:7]
	s_delay_alu instid0(VALU_DEP_2) | instskip(NEXT) | instid1(VALU_DEP_3)
	v_add_co_u32 v2, vcc_lo, s10, v2
	v_add_co_ci_u32_e32 v3, vcc_lo, s11, v3, vcc_lo
	s_delay_alu instid0(VALU_DEP_3) | instskip(NEXT) | instid1(VALU_DEP_4)
	v_add_co_u32 v6, vcc_lo, s10, v6
	v_add_co_ci_u32_e32 v7, vcc_lo, s11, v7, vcc_lo
	s_set_inst_prefetch_distance 0x1
	s_branch .LBB878_140
	.p2align	6
.LBB878_139:                            ;   in Loop: Header=BB878_140 Depth=1
	s_or_b32 exec_lo, exec_lo, s0
	s_delay_alu instid0(SALU_CYCLE_1) | instskip(NEXT) | instid1(SALU_CYCLE_1)
	s_and_b32 s0, exec_lo, s27
	s_or_b32 s25, s0, s25
	s_and_not1_b32 s0, s30, exec_lo
	s_and_b32 s30, s29, exec_lo
	s_and_not1_b32 s26, s26, exec_lo
	s_and_b32 s31, s28, exec_lo
	s_or_b32 s30, s0, s30
	s_or_b32 s26, s26, s31
	s_and_not1_b32 exec_lo, exec_lo, s25
	s_cbranch_execz .LBB878_142
.LBB878_140:                            ; =>This Inner Loop Header: Depth=1
	global_load_b32 v8, v[2:3], off
	global_load_b32 v9, v[6:7], off
	s_and_not1_b32 s28, s28, exec_lo
	s_and_not1_b32 s29, s29, exec_lo
	s_or_b32 s27, s27, exec_lo
	s_waitcnt vmcnt(0)
	v_cmp_ngt_f32_e32 vcc_lo, v8, v9
	v_cmp_lt_f32_e64 s0, v8, v9
	s_and_b32 s31, vcc_lo, s30
	s_delay_alu instid0(VALU_DEP_1) | instid1(SALU_CYCLE_1)
	s_or_b32 s31, s0, s31
	s_delay_alu instid0(SALU_CYCLE_1) | instskip(NEXT) | instid1(SALU_CYCLE_1)
	s_and_b32 s0, s31, exec_lo
	s_or_b32 s28, s28, s0
	s_mov_b32 s0, exec_lo
	v_cmpx_nlg_f32_e32 v8, v9
	s_cbranch_execz .LBB878_139
; %bb.141:                              ;   in Loop: Header=BB878_140 Depth=1
	s_add_u32 s20, s20, -1
	s_addc_u32 s21, s21, -1
	v_add_co_u32 v2, vcc_lo, v2, 4
	s_cmp_eq_u64 s[20:21], 0
	v_add_co_ci_u32_e32 v3, vcc_lo, 0, v3, vcc_lo
	v_add_co_u32 v6, vcc_lo, v6, 4
	s_cselect_b32 s30, -1, 0
	v_add_co_ci_u32_e32 v7, vcc_lo, 0, v7, vcc_lo
	s_and_not1_b32 s29, s29, exec_lo
	s_and_b32 s31, s31, exec_lo
	s_and_not1_b32 s27, s27, exec_lo
	s_and_b32 s30, s30, exec_lo
	s_or_b32 s29, s29, s31
	s_and_not1_b32 s28, s28, exec_lo
	s_or_b32 s27, s27, s30
                                        ; implicit-def: $sgpr30
	s_branch .LBB878_139
.LBB878_142:
	s_set_inst_prefetch_distance 0x2
	s_or_b32 exec_lo, exec_lo, s25
	s_xor_b32 s0, s26, -1
	s_and_not1_b32 s19, s19, exec_lo
	s_and_b32 s0, s0, exec_lo
	s_delay_alu instid0(SALU_CYCLE_1)
	s_or_b32 s19, s19, s0
.LBB878_143:
	s_or_b32 exec_lo, exec_lo, s24
	s_delay_alu instid0(SALU_CYCLE_1)
	s_or_not1_b32 s19, s19, exec_lo
.LBB878_144:
	s_or_b32 exec_lo, exec_lo, s23
	v_cndmask_b32_e64 v2, v40, v37, s19
	v_cndmask_b32_e64 v3, v19, v18, s19
	;; [unrolled: 1-line block ×5, first 2 shown]
	v_add_nc_u32_e32 v43, 1, v2
	v_add_nc_u32_e32 v2, -1, v3
	v_cndmask_b32_e64 v3, v10, v20, s22
	v_cndmask_b32_e64 v4, v39, v42, s19
	s_mov_b32 s1, exec_lo
	v_cndmask_b32_e64 v10, v43, v40, s19
	v_min_u32_e32 v2, v43, v2
	s_delay_alu instid0(VALU_DEP_1)
	v_lshl_add_u32 v2, v2, 3, v14
	ds_load_b64 v[8:9], v2
	v_cndmask_b32_e64 v2, v11, v21, s22
	s_waitcnt lgkmcnt(0)
	v_cndmask_b32_e64 v7, v41, v9, s19
	v_cndmask_b32_e64 v6, v42, v8, s19
	v_cmpx_lt_u32_e64 v10, v19
	s_cbranch_execz .LBB878_152
; %bb.145:
	v_cndmask_b32_e64 v10, v37, v43, s19
	v_cndmask_b32_e64 v19, v9, v38, s19
	;; [unrolled: 1-line block ×3, first 2 shown]
	s_delay_alu instid0(VALU_DEP_3) | instskip(NEXT) | instid1(VALU_DEP_2)
	v_cmp_ge_u32_e32 vcc_lo, v10, v18
	v_dual_cndmask_b32 v9, v7, v19 :: v_dual_cndmask_b32 v8, v6, v20
	s_or_b32 s0, vcc_lo, s12
	s_delay_alu instid0(SALU_CYCLE_1) | instskip(NEXT) | instid1(SALU_CYCLE_1)
	s_xor_b32 s0, s0, -1
	s_and_saveexec_b32 s19, s0
	s_cbranch_execz .LBB878_151
; %bb.146:
	v_mul_lo_u32 v18, v19, s8
	v_mul_lo_u32 v21, v20, s9
	v_mad_u64_u32 v[8:9], null, v20, s8, 0
	v_mul_lo_u32 v37, v7, s8
	v_mul_lo_u32 v38, v6, s9
	v_mad_u64_u32 v[10:11], null, v6, s8, 0
	s_mov_b32 s22, 0
	s_mov_b64 s[20:21], s[8:9]
	s_delay_alu instid0(VALU_DEP_4) | instskip(NEXT) | instid1(VALU_DEP_2)
	v_add3_u32 v9, v9, v21, v18
                                        ; implicit-def: $sgpr23
                                        ; implicit-def: $sgpr24
                                        ; implicit-def: $sgpr25
                                        ; implicit-def: $sgpr26
                                        ; implicit-def: $sgpr27
	v_add3_u32 v11, v11, v38, v37
	s_delay_alu instid0(VALU_DEP_2) | instskip(NEXT) | instid1(VALU_DEP_2)
	v_lshlrev_b64 v[8:9], 2, v[8:9]
	v_lshlrev_b64 v[10:11], 2, v[10:11]
	s_delay_alu instid0(VALU_DEP_2) | instskip(NEXT) | instid1(VALU_DEP_3)
	v_add_co_u32 v8, vcc_lo, s10, v8
	v_add_co_ci_u32_e32 v9, vcc_lo, s11, v9, vcc_lo
	s_delay_alu instid0(VALU_DEP_3) | instskip(NEXT) | instid1(VALU_DEP_4)
	v_add_co_u32 v10, vcc_lo, s10, v10
	v_add_co_ci_u32_e32 v11, vcc_lo, s11, v11, vcc_lo
	s_set_inst_prefetch_distance 0x1
	s_branch .LBB878_148
	.p2align	6
.LBB878_147:                            ;   in Loop: Header=BB878_148 Depth=1
	s_or_b32 exec_lo, exec_lo, s0
	s_delay_alu instid0(SALU_CYCLE_1) | instskip(NEXT) | instid1(SALU_CYCLE_1)
	s_and_b32 s0, exec_lo, s24
	s_or_b32 s22, s0, s22
	s_and_not1_b32 s0, s27, exec_lo
	s_and_b32 s27, s26, exec_lo
	s_and_not1_b32 s23, s23, exec_lo
	s_and_b32 s28, s25, exec_lo
	s_or_b32 s27, s0, s27
	s_or_b32 s23, s23, s28
	s_and_not1_b32 exec_lo, exec_lo, s22
	s_cbranch_execz .LBB878_150
.LBB878_148:                            ; =>This Inner Loop Header: Depth=1
	global_load_b32 v18, v[8:9], off
	global_load_b32 v21, v[10:11], off
	s_and_not1_b32 s25, s25, exec_lo
	s_and_not1_b32 s26, s26, exec_lo
	s_or_b32 s24, s24, exec_lo
	s_waitcnt vmcnt(0)
	v_cmp_ngt_f32_e32 vcc_lo, v18, v21
	v_cmp_lt_f32_e64 s0, v18, v21
	s_and_b32 s28, vcc_lo, s27
	s_delay_alu instid0(VALU_DEP_1) | instid1(SALU_CYCLE_1)
	s_or_b32 s28, s0, s28
	s_delay_alu instid0(SALU_CYCLE_1) | instskip(NEXT) | instid1(SALU_CYCLE_1)
	s_and_b32 s0, s28, exec_lo
	s_or_b32 s25, s25, s0
	s_mov_b32 s0, exec_lo
	v_cmpx_nlg_f32_e32 v18, v21
	s_cbranch_execz .LBB878_147
; %bb.149:                              ;   in Loop: Header=BB878_148 Depth=1
	s_add_u32 s20, s20, -1
	s_addc_u32 s21, s21, -1
	v_add_co_u32 v8, vcc_lo, v8, 4
	s_cmp_eq_u64 s[20:21], 0
	v_add_co_ci_u32_e32 v9, vcc_lo, 0, v9, vcc_lo
	v_add_co_u32 v10, vcc_lo, v10, 4
	s_cselect_b32 s27, -1, 0
	v_add_co_ci_u32_e32 v11, vcc_lo, 0, v11, vcc_lo
	s_and_not1_b32 s26, s26, exec_lo
	s_and_b32 s28, s28, exec_lo
	s_and_not1_b32 s24, s24, exec_lo
	s_and_b32 s27, s27, exec_lo
	s_or_b32 s26, s26, s28
	s_and_not1_b32 s25, s25, exec_lo
	s_or_b32 s24, s24, s27
                                        ; implicit-def: $sgpr27
	s_branch .LBB878_147
.LBB878_150:
	s_set_inst_prefetch_distance 0x2
	s_or_b32 exec_lo, exec_lo, s22
	v_cndmask_b32_e64 v9, v7, v19, s23
	v_cndmask_b32_e64 v8, v6, v20, s23
.LBB878_151:
	s_or_b32 exec_lo, exec_lo, s19
	s_delay_alu instid0(VALU_DEP_1)
	v_dual_mov_b32 v6, v8 :: v_dual_mov_b32 v7, v9
.LBB878_152:
	s_or_b32 exec_lo, exec_lo, s1
.LBB878_153:
	s_delay_alu instid0(SALU_CYCLE_1) | instskip(SKIP_3) | instid1(VALU_DEP_2)
	s_or_b32 exec_lo, exec_lo, s17
	v_and_b32_e32 v37, 0x60, v16
	v_and_b32_e32 v9, 28, v16
	s_mov_b32 s1, exec_lo
	; wave barrier
	v_or_b32_e32 v8, 16, v37
	s_delay_alu instid0(VALU_DEP_2) | instskip(SKIP_4) | instid1(VALU_DEP_1)
	v_min_u32_e32 v38, v15, v9
	v_lshl_add_u32 v21, v37, 3, v14
	ds_store_b128 v17, v[0:3]
	ds_store_b128 v17, v[4:7] offset:16
	v_min_u32_e32 v18, v15, v8
	; wave barrier
	v_add_nc_u32_e32 v8, 16, v18
	v_sub_nc_u32_e32 v9, v18, v37
	s_delay_alu instid0(VALU_DEP_2) | instskip(NEXT) | instid1(VALU_DEP_2)
	v_min_u32_e32 v19, v15, v8
	v_min_u32_e32 v39, v38, v9
	s_delay_alu instid0(VALU_DEP_2) | instskip(NEXT) | instid1(VALU_DEP_1)
	v_sub_nc_u32_e32 v8, v19, v18
	v_sub_nc_u32_e64 v20, v38, v8 clamp
	s_delay_alu instid0(VALU_DEP_1)
	v_cmpx_lt_u32_e64 v20, v39
	s_cbranch_execz .LBB878_163
; %bb.154:
	v_lshlrev_b32_e32 v8, 3, v18
	v_lshlrev_b32_e32 v9, 3, v38
	s_lshl_b64 s[20:21], s[8:9], 2
	s_mov_b32 s17, 0
	s_delay_alu instid0(VALU_DEP_1)
	v_add3_u32 v40, v14, v8, v9
	s_branch .LBB878_157
.LBB878_155:                            ;   in Loop: Header=BB878_157 Depth=1
	s_set_inst_prefetch_distance 0x2
	s_or_b32 exec_lo, exec_lo, s19
.LBB878_156:                            ;   in Loop: Header=BB878_157 Depth=1
	s_delay_alu instid0(VALU_DEP_1) | instskip(SKIP_1) | instid1(VALU_DEP_2)
	v_add_nc_u32_e32 v8, 1, v41
	v_cndmask_b32_e64 v39, v39, v41, s24
	v_cndmask_b32_e64 v20, v8, v20, s24
	s_delay_alu instid0(VALU_DEP_1) | instskip(SKIP_1) | instid1(SALU_CYCLE_1)
	v_cmp_ge_u32_e32 vcc_lo, v20, v39
	s_or_b32 s17, vcc_lo, s17
	s_and_not1_b32 exec_lo, exec_lo, s17
	s_cbranch_execz .LBB878_162
.LBB878_157:                            ; =>This Loop Header: Depth=1
                                        ;     Child Loop BB878_160 Depth 2
	v_add_nc_u32_e32 v8, v39, v20
	v_cmp_ne_u32_e32 vcc_lo, 1, v36
	s_mov_b32 s24, 0
	s_delay_alu instid0(VALU_DEP_2)
	v_lshrrev_b32_e32 v41, 1, v8
	s_cbranch_vccnz .LBB878_156
; %bb.158:                              ;   in Loop: Header=BB878_157 Depth=1
	s_delay_alu instid0(VALU_DEP_1) | instskip(SKIP_3) | instid1(VALU_DEP_2)
	v_not_b32_e32 v8, v41
	v_lshl_add_u32 v9, v41, 3, v21
	s_mov_b32 s19, 0
	s_mov_b64 s[22:23], s[8:9]
                                        ; implicit-def: $sgpr24
                                        ; implicit-def: $sgpr25
                                        ; implicit-def: $sgpr26
                                        ; implicit-def: $sgpr27
                                        ; implicit-def: $sgpr28
	v_lshl_add_u32 v8, v8, 3, v40
	ds_load_b64 v[10:11], v8
	ds_load_b64 v[42:43], v9
	s_waitcnt lgkmcnt(1)
	v_mul_lo_u32 v44, s20, v11
	v_mul_lo_u32 v45, s21, v10
	v_mad_u64_u32 v[8:9], null, s20, v10, s[10:11]
	s_waitcnt lgkmcnt(0)
	v_mul_lo_u32 v43, s20, v43
	v_mul_lo_u32 v46, s21, v42
	v_mad_u64_u32 v[10:11], null, s20, v42, s[10:11]
	s_delay_alu instid0(VALU_DEP_4) | instskip(NEXT) | instid1(VALU_DEP_2)
	v_add3_u32 v9, v45, v9, v44
	v_add3_u32 v11, v46, v11, v43
	s_set_inst_prefetch_distance 0x1
	s_branch .LBB878_160
	.p2align	6
.LBB878_159:                            ;   in Loop: Header=BB878_160 Depth=2
	s_or_b32 exec_lo, exec_lo, s29
	s_delay_alu instid0(SALU_CYCLE_1) | instskip(NEXT) | instid1(SALU_CYCLE_1)
	s_and_b32 s0, exec_lo, s25
	s_or_b32 s19, s0, s19
	s_and_not1_b32 s0, s28, exec_lo
	s_and_b32 s28, s26, exec_lo
	s_and_not1_b32 s24, s24, exec_lo
	s_and_b32 s29, s27, exec_lo
	s_or_b32 s28, s0, s28
	s_or_b32 s24, s24, s29
	s_and_not1_b32 exec_lo, exec_lo, s19
	s_cbranch_execz .LBB878_155
.LBB878_160:                            ;   Parent Loop BB878_157 Depth=1
                                        ; =>  This Inner Loop Header: Depth=2
	global_load_b32 v42, v[8:9], off
	global_load_b32 v43, v[10:11], off
	s_and_not1_b32 s27, s27, exec_lo
	s_and_not1_b32 s26, s26, exec_lo
	s_or_b32 s25, s25, exec_lo
	s_waitcnt vmcnt(0)
	v_cmp_ngt_f32_e32 vcc_lo, v42, v43
	v_cmp_lt_f32_e64 s0, v42, v43
	s_and_b32 s29, vcc_lo, s28
	s_delay_alu instid0(VALU_DEP_1) | instid1(SALU_CYCLE_1)
	s_or_b32 s0, s0, s29
	s_delay_alu instid0(SALU_CYCLE_1) | instskip(NEXT) | instid1(SALU_CYCLE_1)
	s_and_b32 s29, s0, exec_lo
	s_or_b32 s27, s27, s29
	s_mov_b32 s29, exec_lo
	v_cmpx_nlg_f32_e32 v42, v43
	s_cbranch_execz .LBB878_159
; %bb.161:                              ;   in Loop: Header=BB878_160 Depth=2
	s_add_u32 s22, s22, -1
	s_addc_u32 s23, s23, -1
	v_add_co_u32 v8, vcc_lo, v8, 4
	v_add_co_ci_u32_e32 v9, vcc_lo, 0, v9, vcc_lo
	s_cmp_eq_u64 s[22:23], 0
	v_add_co_u32 v10, vcc_lo, v10, 4
	s_cselect_b32 s28, -1, 0
	v_add_co_ci_u32_e32 v11, vcc_lo, 0, v11, vcc_lo
	s_and_not1_b32 s26, s26, exec_lo
	s_and_b32 s0, s0, exec_lo
	s_and_not1_b32 s25, s25, exec_lo
	s_and_b32 s28, s28, exec_lo
	s_and_not1_b32 s27, s27, exec_lo
	s_or_b32 s26, s26, s0
	s_or_b32 s25, s25, s28
                                        ; implicit-def: $sgpr28
	s_branch .LBB878_159
.LBB878_162:
	s_or_b32 exec_lo, exec_lo, s17
.LBB878_163:
	s_delay_alu instid0(SALU_CYCLE_1) | instskip(SKIP_2) | instid1(VALU_DEP_2)
	s_or_b32 exec_lo, exec_lo, s1
	v_add_nc_u32_e32 v9, v18, v38
	v_add_nc_u32_e32 v8, v20, v37
	v_sub_nc_u32_e32 v9, v9, v20
	s_delay_alu instid0(VALU_DEP_2) | instskip(NEXT) | instid1(VALU_DEP_2)
	v_cmp_le_u32_e32 vcc_lo, v8, v18
	v_cmp_le_u32_e64 s0, v9, v19
	s_delay_alu instid0(VALU_DEP_1) | instskip(NEXT) | instid1(SALU_CYCLE_1)
	s_or_b32 s0, vcc_lo, s0
	s_and_saveexec_b32 s17, s0
	s_cbranch_execz .LBB878_199
; %bb.164:
	v_cmp_ge_u32_e32 vcc_lo, v8, v18
	s_mov_b32 s1, exec_lo
                                        ; implicit-def: $vgpr0_vgpr1
	v_cmpx_lt_u32_e64 v8, v18
	s_cbranch_execz .LBB878_166
; %bb.165:
	v_lshl_add_u32 v0, v20, 3, v21
	ds_load_b64 v[0:1], v0
.LBB878_166:
	s_or_b32 exec_lo, exec_lo, s1
	v_cmp_ge_u32_e64 s0, v9, v19
	s_mov_b32 s19, exec_lo
                                        ; implicit-def: $vgpr4_vgpr5
	v_cmpx_lt_u32_e64 v9, v19
	s_cbranch_execz .LBB878_168
; %bb.167:
	v_lshl_add_u32 v2, v9, 3, v14
	ds_load_b64 v[4:5], v2
.LBB878_168:
	s_or_b32 exec_lo, exec_lo, s19
	s_or_b32 s1, vcc_lo, s0
	s_xor_b32 s19, vcc_lo, -1
	s_or_b32 s1, s1, s12
	s_delay_alu instid0(SALU_CYCLE_1)
	s_xor_b32 s20, s1, -1
	s_or_b32 s1, s0, s19
	s_and_saveexec_b32 s19, s20
	s_cbranch_execz .LBB878_174
; %bb.169:
	s_waitcnt lgkmcnt(0)
	v_mul_lo_u32 v10, v5, s8
	v_mul_lo_u32 v11, v4, s9
	v_mad_u64_u32 v[2:3], null, v4, s8, 0
	v_mul_lo_u32 v20, v1, s8
	v_mul_lo_u32 v21, v0, s9
	v_mad_u64_u32 v[6:7], null, v0, s8, 0
	s_mov_b32 s22, 0
	s_mov_b64 s[20:21], s[8:9]
	s_delay_alu instid0(VALU_DEP_4) | instskip(NEXT) | instid1(VALU_DEP_2)
	v_add3_u32 v3, v3, v11, v10
                                        ; implicit-def: $sgpr23
                                        ; implicit-def: $sgpr24
                                        ; implicit-def: $sgpr25
                                        ; implicit-def: $sgpr26
                                        ; implicit-def: $sgpr27
	v_add3_u32 v7, v7, v21, v20
	s_delay_alu instid0(VALU_DEP_2) | instskip(NEXT) | instid1(VALU_DEP_2)
	v_lshlrev_b64 v[2:3], 2, v[2:3]
	v_lshlrev_b64 v[6:7], 2, v[6:7]
	s_delay_alu instid0(VALU_DEP_2) | instskip(NEXT) | instid1(VALU_DEP_3)
	v_add_co_u32 v2, vcc_lo, s10, v2
	v_add_co_ci_u32_e32 v3, vcc_lo, s11, v3, vcc_lo
	s_delay_alu instid0(VALU_DEP_3) | instskip(NEXT) | instid1(VALU_DEP_4)
	v_add_co_u32 v6, vcc_lo, s10, v6
	v_add_co_ci_u32_e32 v7, vcc_lo, s11, v7, vcc_lo
	s_set_inst_prefetch_distance 0x1
	s_branch .LBB878_171
	.p2align	6
.LBB878_170:                            ;   in Loop: Header=BB878_171 Depth=1
	s_or_b32 exec_lo, exec_lo, s0
	s_delay_alu instid0(SALU_CYCLE_1) | instskip(NEXT) | instid1(SALU_CYCLE_1)
	s_and_b32 s0, exec_lo, s24
	s_or_b32 s22, s0, s22
	s_and_not1_b32 s0, s27, exec_lo
	s_and_b32 s27, s26, exec_lo
	s_and_not1_b32 s23, s23, exec_lo
	s_and_b32 s28, s25, exec_lo
	s_or_b32 s27, s0, s27
	s_or_b32 s23, s23, s28
	s_and_not1_b32 exec_lo, exec_lo, s22
	s_cbranch_execz .LBB878_173
.LBB878_171:                            ; =>This Inner Loop Header: Depth=1
	global_load_b32 v10, v[2:3], off
	global_load_b32 v11, v[6:7], off
	s_and_not1_b32 s25, s25, exec_lo
	s_and_not1_b32 s26, s26, exec_lo
	s_or_b32 s24, s24, exec_lo
	s_waitcnt vmcnt(0)
	v_cmp_ngt_f32_e32 vcc_lo, v10, v11
	v_cmp_lt_f32_e64 s0, v10, v11
	s_and_b32 s28, vcc_lo, s27
	s_delay_alu instid0(VALU_DEP_1) | instid1(SALU_CYCLE_1)
	s_or_b32 s28, s0, s28
	s_delay_alu instid0(SALU_CYCLE_1) | instskip(NEXT) | instid1(SALU_CYCLE_1)
	s_and_b32 s0, s28, exec_lo
	s_or_b32 s25, s25, s0
	s_mov_b32 s0, exec_lo
	v_cmpx_nlg_f32_e32 v10, v11
	s_cbranch_execz .LBB878_170
; %bb.172:                              ;   in Loop: Header=BB878_171 Depth=1
	s_add_u32 s20, s20, -1
	s_addc_u32 s21, s21, -1
	v_add_co_u32 v2, vcc_lo, v2, 4
	s_cmp_eq_u64 s[20:21], 0
	v_add_co_ci_u32_e32 v3, vcc_lo, 0, v3, vcc_lo
	v_add_co_u32 v6, vcc_lo, v6, 4
	s_cselect_b32 s27, -1, 0
	v_add_co_ci_u32_e32 v7, vcc_lo, 0, v7, vcc_lo
	s_and_not1_b32 s26, s26, exec_lo
	s_and_b32 s28, s28, exec_lo
	s_and_not1_b32 s24, s24, exec_lo
	s_and_b32 s27, s27, exec_lo
	s_or_b32 s26, s26, s28
	s_and_not1_b32 s25, s25, exec_lo
	s_or_b32 s24, s24, s27
                                        ; implicit-def: $sgpr27
	s_branch .LBB878_170
.LBB878_173:
	s_set_inst_prefetch_distance 0x2
	s_or_b32 exec_lo, exec_lo, s22
	s_xor_b32 s0, s23, -1
	s_and_not1_b32 s1, s1, exec_lo
	s_and_b32 s0, s0, exec_lo
	s_delay_alu instid0(SALU_CYCLE_1)
	s_or_b32 s1, s1, s0
.LBB878_174:
	s_or_b32 exec_lo, exec_lo, s19
	v_cndmask_b32_e64 v2, v9, v8, s1
	v_cndmask_b32_e64 v3, v19, v18, s1
	s_mov_b32 s19, -1
	s_mov_b32 s22, -1
	s_mov_b32 s23, exec_lo
	v_add_nc_u32_e32 v6, 1, v2
	v_add_nc_u32_e32 v2, -1, v3
	s_delay_alu instid0(VALU_DEP_2) | instskip(NEXT) | instid1(VALU_DEP_2)
	v_cndmask_b32_e64 v9, v6, v9, s1
	v_min_u32_e32 v2, v6, v2
	v_cndmask_b32_e64 v8, v8, v6, s1
	s_delay_alu instid0(VALU_DEP_2)
	v_lshl_add_u32 v2, v2, 3, v14
	ds_load_b64 v[2:3], v2
	s_waitcnt lgkmcnt(0)
	v_cndmask_b32_e64 v10, v3, v5, s1
	v_cndmask_b32_e64 v11, v2, v4, s1
	;; [unrolled: 1-line block ×4, first 2 shown]
	v_cmpx_lt_u32_e64 v9, v19
	s_cbranch_execz .LBB878_182
; %bb.175:
	v_cmp_lt_u32_e64 s22, v8, v18
	s_xor_b32 s0, s12, -1
	s_delay_alu instid0(VALU_DEP_1) | instid1(SALU_CYCLE_1)
	s_and_b32 s0, s22, s0
	s_delay_alu instid0(SALU_CYCLE_1)
	s_and_saveexec_b32 s24, s0
	s_cbranch_execz .LBB878_181
; %bb.176:
	v_mul_lo_u32 v37, v10, s8
	v_mul_lo_u32 v38, v11, s9
	v_mad_u64_u32 v[2:3], null, v11, s8, 0
	v_mul_lo_u32 v39, v20, s8
	v_mul_lo_u32 v40, v21, s9
	v_mad_u64_u32 v[6:7], null, v21, s8, 0
	s_mov_b32 s25, 0
	s_mov_b64 s[20:21], s[8:9]
	s_delay_alu instid0(VALU_DEP_4) | instskip(NEXT) | instid1(VALU_DEP_2)
	v_add3_u32 v3, v3, v38, v37
                                        ; implicit-def: $sgpr26
                                        ; implicit-def: $sgpr27
                                        ; implicit-def: $sgpr28
                                        ; implicit-def: $sgpr29
                                        ; implicit-def: $sgpr30
	v_add3_u32 v7, v7, v40, v39
	s_delay_alu instid0(VALU_DEP_2) | instskip(NEXT) | instid1(VALU_DEP_2)
	v_lshlrev_b64 v[2:3], 2, v[2:3]
	v_lshlrev_b64 v[6:7], 2, v[6:7]
	s_delay_alu instid0(VALU_DEP_2) | instskip(NEXT) | instid1(VALU_DEP_3)
	v_add_co_u32 v2, vcc_lo, s10, v2
	v_add_co_ci_u32_e32 v3, vcc_lo, s11, v3, vcc_lo
	s_delay_alu instid0(VALU_DEP_3) | instskip(NEXT) | instid1(VALU_DEP_4)
	v_add_co_u32 v6, vcc_lo, s10, v6
	v_add_co_ci_u32_e32 v7, vcc_lo, s11, v7, vcc_lo
	s_set_inst_prefetch_distance 0x1
	s_branch .LBB878_178
	.p2align	6
.LBB878_177:                            ;   in Loop: Header=BB878_178 Depth=1
	s_or_b32 exec_lo, exec_lo, s0
	s_delay_alu instid0(SALU_CYCLE_1) | instskip(NEXT) | instid1(SALU_CYCLE_1)
	s_and_b32 s0, exec_lo, s27
	s_or_b32 s25, s0, s25
	s_and_not1_b32 s0, s30, exec_lo
	s_and_b32 s30, s29, exec_lo
	s_and_not1_b32 s26, s26, exec_lo
	s_and_b32 s31, s28, exec_lo
	s_or_b32 s30, s0, s30
	s_or_b32 s26, s26, s31
	s_and_not1_b32 exec_lo, exec_lo, s25
	s_cbranch_execz .LBB878_180
.LBB878_178:                            ; =>This Inner Loop Header: Depth=1
	global_load_b32 v37, v[2:3], off
	global_load_b32 v38, v[6:7], off
	s_and_not1_b32 s28, s28, exec_lo
	s_and_not1_b32 s29, s29, exec_lo
	s_or_b32 s27, s27, exec_lo
	s_waitcnt vmcnt(0)
	v_cmp_ngt_f32_e32 vcc_lo, v37, v38
	v_cmp_lt_f32_e64 s0, v37, v38
	s_and_b32 s31, vcc_lo, s30
	s_delay_alu instid0(VALU_DEP_1) | instid1(SALU_CYCLE_1)
	s_or_b32 s31, s0, s31
	s_delay_alu instid0(SALU_CYCLE_1) | instskip(NEXT) | instid1(SALU_CYCLE_1)
	s_and_b32 s0, s31, exec_lo
	s_or_b32 s28, s28, s0
	s_mov_b32 s0, exec_lo
	v_cmpx_nlg_f32_e32 v37, v38
	s_cbranch_execz .LBB878_177
; %bb.179:                              ;   in Loop: Header=BB878_178 Depth=1
	s_add_u32 s20, s20, -1
	s_addc_u32 s21, s21, -1
	v_add_co_u32 v2, vcc_lo, v2, 4
	s_cmp_eq_u64 s[20:21], 0
	v_add_co_ci_u32_e32 v3, vcc_lo, 0, v3, vcc_lo
	v_add_co_u32 v6, vcc_lo, v6, 4
	s_cselect_b32 s30, -1, 0
	v_add_co_ci_u32_e32 v7, vcc_lo, 0, v7, vcc_lo
	s_and_not1_b32 s29, s29, exec_lo
	s_and_b32 s31, s31, exec_lo
	s_and_not1_b32 s27, s27, exec_lo
	s_and_b32 s30, s30, exec_lo
	s_or_b32 s29, s29, s31
	s_and_not1_b32 s28, s28, exec_lo
	s_or_b32 s27, s27, s30
                                        ; implicit-def: $sgpr30
	s_branch .LBB878_177
.LBB878_180:
	s_set_inst_prefetch_distance 0x2
	s_or_b32 exec_lo, exec_lo, s25
	s_xor_b32 s0, s26, -1
	s_and_not1_b32 s20, s22, exec_lo
	s_and_b32 s0, s0, exec_lo
	s_delay_alu instid0(SALU_CYCLE_1)
	s_or_b32 s22, s20, s0
.LBB878_181:
	s_or_b32 exec_lo, exec_lo, s24
	s_delay_alu instid0(SALU_CYCLE_1)
	s_or_not1_b32 s22, s22, exec_lo
.LBB878_182:
	s_or_b32 exec_lo, exec_lo, s23
	v_cndmask_b32_e64 v2, v9, v8, s22
	v_cndmask_b32_e64 v3, v19, v18, s22
	s_mov_b32 s23, exec_lo
	s_delay_alu instid0(VALU_DEP_2) | instskip(NEXT) | instid1(VALU_DEP_2)
	v_add_nc_u32_e32 v6, 1, v2
	v_add_nc_u32_e32 v2, -1, v3
	s_delay_alu instid0(VALU_DEP_2) | instskip(NEXT) | instid1(VALU_DEP_2)
	v_cndmask_b32_e64 v40, v6, v9, s22
	v_min_u32_e32 v2, v6, v2
	v_cndmask_b32_e64 v37, v8, v6, s22
	s_delay_alu instid0(VALU_DEP_2)
	v_lshl_add_u32 v2, v2, 3, v14
	ds_load_b64 v[2:3], v2
	s_waitcnt lgkmcnt(0)
	v_cndmask_b32_e64 v38, v3, v10, s22
	v_cndmask_b32_e64 v39, v2, v11, s22
	;; [unrolled: 1-line block ×4, first 2 shown]
	v_cmpx_lt_u32_e64 v40, v19
	s_cbranch_execz .LBB878_190
; %bb.183:
	v_cmp_lt_u32_e64 s19, v37, v18
	s_xor_b32 s0, s12, -1
	s_delay_alu instid0(VALU_DEP_1) | instid1(SALU_CYCLE_1)
	s_and_b32 s0, s19, s0
	s_delay_alu instid0(SALU_CYCLE_1)
	s_and_saveexec_b32 s24, s0
	s_cbranch_execz .LBB878_189
; %bb.184:
	v_mul_lo_u32 v8, v38, s8
	v_mul_lo_u32 v9, v39, s9
	v_mad_u64_u32 v[2:3], null, v39, s8, 0
	v_mul_lo_u32 v43, v41, s8
	v_mul_lo_u32 v44, v42, s9
	v_mad_u64_u32 v[6:7], null, v42, s8, 0
	s_mov_b32 s25, 0
	s_mov_b64 s[20:21], s[8:9]
	s_delay_alu instid0(VALU_DEP_4) | instskip(NEXT) | instid1(VALU_DEP_2)
	v_add3_u32 v3, v3, v9, v8
                                        ; implicit-def: $sgpr26
                                        ; implicit-def: $sgpr27
                                        ; implicit-def: $sgpr28
                                        ; implicit-def: $sgpr29
                                        ; implicit-def: $sgpr30
	v_add3_u32 v7, v7, v44, v43
	s_delay_alu instid0(VALU_DEP_2) | instskip(NEXT) | instid1(VALU_DEP_2)
	v_lshlrev_b64 v[2:3], 2, v[2:3]
	v_lshlrev_b64 v[6:7], 2, v[6:7]
	s_delay_alu instid0(VALU_DEP_2) | instskip(NEXT) | instid1(VALU_DEP_3)
	v_add_co_u32 v2, vcc_lo, s10, v2
	v_add_co_ci_u32_e32 v3, vcc_lo, s11, v3, vcc_lo
	s_delay_alu instid0(VALU_DEP_3) | instskip(NEXT) | instid1(VALU_DEP_4)
	v_add_co_u32 v6, vcc_lo, s10, v6
	v_add_co_ci_u32_e32 v7, vcc_lo, s11, v7, vcc_lo
	s_set_inst_prefetch_distance 0x1
	s_branch .LBB878_186
	.p2align	6
.LBB878_185:                            ;   in Loop: Header=BB878_186 Depth=1
	s_or_b32 exec_lo, exec_lo, s0
	s_delay_alu instid0(SALU_CYCLE_1) | instskip(NEXT) | instid1(SALU_CYCLE_1)
	s_and_b32 s0, exec_lo, s27
	s_or_b32 s25, s0, s25
	s_and_not1_b32 s0, s30, exec_lo
	s_and_b32 s30, s29, exec_lo
	s_and_not1_b32 s26, s26, exec_lo
	s_and_b32 s31, s28, exec_lo
	s_or_b32 s30, s0, s30
	s_or_b32 s26, s26, s31
	s_and_not1_b32 exec_lo, exec_lo, s25
	s_cbranch_execz .LBB878_188
.LBB878_186:                            ; =>This Inner Loop Header: Depth=1
	global_load_b32 v8, v[2:3], off
	global_load_b32 v9, v[6:7], off
	s_and_not1_b32 s28, s28, exec_lo
	s_and_not1_b32 s29, s29, exec_lo
	s_or_b32 s27, s27, exec_lo
	s_waitcnt vmcnt(0)
	v_cmp_ngt_f32_e32 vcc_lo, v8, v9
	v_cmp_lt_f32_e64 s0, v8, v9
	s_and_b32 s31, vcc_lo, s30
	s_delay_alu instid0(VALU_DEP_1) | instid1(SALU_CYCLE_1)
	s_or_b32 s31, s0, s31
	s_delay_alu instid0(SALU_CYCLE_1) | instskip(NEXT) | instid1(SALU_CYCLE_1)
	s_and_b32 s0, s31, exec_lo
	s_or_b32 s28, s28, s0
	s_mov_b32 s0, exec_lo
	v_cmpx_nlg_f32_e32 v8, v9
	s_cbranch_execz .LBB878_185
; %bb.187:                              ;   in Loop: Header=BB878_186 Depth=1
	s_add_u32 s20, s20, -1
	s_addc_u32 s21, s21, -1
	v_add_co_u32 v2, vcc_lo, v2, 4
	s_cmp_eq_u64 s[20:21], 0
	v_add_co_ci_u32_e32 v3, vcc_lo, 0, v3, vcc_lo
	v_add_co_u32 v6, vcc_lo, v6, 4
	s_cselect_b32 s30, -1, 0
	v_add_co_ci_u32_e32 v7, vcc_lo, 0, v7, vcc_lo
	s_and_not1_b32 s29, s29, exec_lo
	s_and_b32 s31, s31, exec_lo
	s_and_not1_b32 s27, s27, exec_lo
	s_and_b32 s30, s30, exec_lo
	s_or_b32 s29, s29, s31
	s_and_not1_b32 s28, s28, exec_lo
	s_or_b32 s27, s27, s30
                                        ; implicit-def: $sgpr30
	s_branch .LBB878_185
.LBB878_188:
	s_set_inst_prefetch_distance 0x2
	s_or_b32 exec_lo, exec_lo, s25
	s_xor_b32 s0, s26, -1
	s_and_not1_b32 s19, s19, exec_lo
	s_and_b32 s0, s0, exec_lo
	s_delay_alu instid0(SALU_CYCLE_1)
	s_or_b32 s19, s19, s0
.LBB878_189:
	s_or_b32 exec_lo, exec_lo, s24
	s_delay_alu instid0(SALU_CYCLE_1)
	s_or_not1_b32 s19, s19, exec_lo
.LBB878_190:
	s_or_b32 exec_lo, exec_lo, s23
	v_cndmask_b32_e64 v2, v40, v37, s19
	v_cndmask_b32_e64 v3, v19, v18, s19
	v_cndmask_b32_e64 v1, v5, v1, s1
	v_cndmask_b32_e64 v0, v4, v0, s1
	v_cndmask_b32_e64 v5, v38, v41, s19
	v_add_nc_u32_e32 v43, 1, v2
	v_add_nc_u32_e32 v2, -1, v3
	v_cndmask_b32_e64 v3, v10, v20, s22
	v_cndmask_b32_e64 v4, v39, v42, s19
	s_mov_b32 s1, exec_lo
	v_cndmask_b32_e64 v10, v43, v40, s19
	v_min_u32_e32 v2, v43, v2
	s_delay_alu instid0(VALU_DEP_1)
	v_lshl_add_u32 v2, v2, 3, v14
	ds_load_b64 v[8:9], v2
	v_cndmask_b32_e64 v2, v11, v21, s22
	s_waitcnt lgkmcnt(0)
	v_cndmask_b32_e64 v7, v41, v9, s19
	v_cndmask_b32_e64 v6, v42, v8, s19
	v_cmpx_lt_u32_e64 v10, v19
	s_cbranch_execz .LBB878_198
; %bb.191:
	v_cndmask_b32_e64 v10, v37, v43, s19
	v_cndmask_b32_e64 v19, v9, v38, s19
	;; [unrolled: 1-line block ×3, first 2 shown]
	s_delay_alu instid0(VALU_DEP_3) | instskip(NEXT) | instid1(VALU_DEP_2)
	v_cmp_ge_u32_e32 vcc_lo, v10, v18
	v_dual_cndmask_b32 v9, v7, v19 :: v_dual_cndmask_b32 v8, v6, v20
	s_or_b32 s0, vcc_lo, s12
	s_delay_alu instid0(SALU_CYCLE_1) | instskip(NEXT) | instid1(SALU_CYCLE_1)
	s_xor_b32 s0, s0, -1
	s_and_saveexec_b32 s19, s0
	s_cbranch_execz .LBB878_197
; %bb.192:
	v_mul_lo_u32 v18, v19, s8
	v_mul_lo_u32 v21, v20, s9
	v_mad_u64_u32 v[8:9], null, v20, s8, 0
	v_mul_lo_u32 v37, v7, s8
	v_mul_lo_u32 v38, v6, s9
	v_mad_u64_u32 v[10:11], null, v6, s8, 0
	s_mov_b32 s22, 0
	s_mov_b64 s[20:21], s[8:9]
	s_delay_alu instid0(VALU_DEP_4) | instskip(NEXT) | instid1(VALU_DEP_2)
	v_add3_u32 v9, v9, v21, v18
                                        ; implicit-def: $sgpr23
                                        ; implicit-def: $sgpr24
                                        ; implicit-def: $sgpr25
                                        ; implicit-def: $sgpr26
                                        ; implicit-def: $sgpr27
	v_add3_u32 v11, v11, v38, v37
	s_delay_alu instid0(VALU_DEP_2) | instskip(NEXT) | instid1(VALU_DEP_2)
	v_lshlrev_b64 v[8:9], 2, v[8:9]
	v_lshlrev_b64 v[10:11], 2, v[10:11]
	s_delay_alu instid0(VALU_DEP_2) | instskip(NEXT) | instid1(VALU_DEP_3)
	v_add_co_u32 v8, vcc_lo, s10, v8
	v_add_co_ci_u32_e32 v9, vcc_lo, s11, v9, vcc_lo
	s_delay_alu instid0(VALU_DEP_3) | instskip(NEXT) | instid1(VALU_DEP_4)
	v_add_co_u32 v10, vcc_lo, s10, v10
	v_add_co_ci_u32_e32 v11, vcc_lo, s11, v11, vcc_lo
	s_set_inst_prefetch_distance 0x1
	s_branch .LBB878_194
	.p2align	6
.LBB878_193:                            ;   in Loop: Header=BB878_194 Depth=1
	s_or_b32 exec_lo, exec_lo, s0
	s_delay_alu instid0(SALU_CYCLE_1) | instskip(NEXT) | instid1(SALU_CYCLE_1)
	s_and_b32 s0, exec_lo, s24
	s_or_b32 s22, s0, s22
	s_and_not1_b32 s0, s27, exec_lo
	s_and_b32 s27, s26, exec_lo
	s_and_not1_b32 s23, s23, exec_lo
	s_and_b32 s28, s25, exec_lo
	s_or_b32 s27, s0, s27
	s_or_b32 s23, s23, s28
	s_and_not1_b32 exec_lo, exec_lo, s22
	s_cbranch_execz .LBB878_196
.LBB878_194:                            ; =>This Inner Loop Header: Depth=1
	global_load_b32 v18, v[8:9], off
	global_load_b32 v21, v[10:11], off
	s_and_not1_b32 s25, s25, exec_lo
	s_and_not1_b32 s26, s26, exec_lo
	s_or_b32 s24, s24, exec_lo
	s_waitcnt vmcnt(0)
	v_cmp_ngt_f32_e32 vcc_lo, v18, v21
	v_cmp_lt_f32_e64 s0, v18, v21
	s_and_b32 s28, vcc_lo, s27
	s_delay_alu instid0(VALU_DEP_1) | instid1(SALU_CYCLE_1)
	s_or_b32 s28, s0, s28
	s_delay_alu instid0(SALU_CYCLE_1) | instskip(NEXT) | instid1(SALU_CYCLE_1)
	s_and_b32 s0, s28, exec_lo
	s_or_b32 s25, s25, s0
	s_mov_b32 s0, exec_lo
	v_cmpx_nlg_f32_e32 v18, v21
	s_cbranch_execz .LBB878_193
; %bb.195:                              ;   in Loop: Header=BB878_194 Depth=1
	s_add_u32 s20, s20, -1
	s_addc_u32 s21, s21, -1
	v_add_co_u32 v8, vcc_lo, v8, 4
	s_cmp_eq_u64 s[20:21], 0
	v_add_co_ci_u32_e32 v9, vcc_lo, 0, v9, vcc_lo
	v_add_co_u32 v10, vcc_lo, v10, 4
	s_cselect_b32 s27, -1, 0
	v_add_co_ci_u32_e32 v11, vcc_lo, 0, v11, vcc_lo
	s_and_not1_b32 s26, s26, exec_lo
	s_and_b32 s28, s28, exec_lo
	s_and_not1_b32 s24, s24, exec_lo
	s_and_b32 s27, s27, exec_lo
	s_or_b32 s26, s26, s28
	s_and_not1_b32 s25, s25, exec_lo
	s_or_b32 s24, s24, s27
                                        ; implicit-def: $sgpr27
	s_branch .LBB878_193
.LBB878_196:
	s_set_inst_prefetch_distance 0x2
	s_or_b32 exec_lo, exec_lo, s22
	v_cndmask_b32_e64 v9, v7, v19, s23
	v_cndmask_b32_e64 v8, v6, v20, s23
.LBB878_197:
	s_or_b32 exec_lo, exec_lo, s19
	s_delay_alu instid0(VALU_DEP_1)
	v_dual_mov_b32 v6, v8 :: v_dual_mov_b32 v7, v9
.LBB878_198:
	s_or_b32 exec_lo, exec_lo, s1
.LBB878_199:
	s_delay_alu instid0(SALU_CYCLE_1) | instskip(SKIP_3) | instid1(VALU_DEP_2)
	s_or_b32 exec_lo, exec_lo, s17
	v_and_b32_e32 v20, 64, v16
	v_and_b32_e32 v9, 60, v16
	s_mov_b32 s1, exec_lo
	; wave barrier
	v_or_b32_e32 v8, 32, v20
	s_delay_alu instid0(VALU_DEP_2) | instskip(SKIP_4) | instid1(VALU_DEP_1)
	v_min_u32_e32 v21, v15, v9
	v_lshl_add_u32 v19, v20, 3, v14
	ds_store_b128 v17, v[0:3]
	ds_store_b128 v17, v[4:7] offset:16
	v_min_u32_e32 v18, v15, v8
	; wave barrier
	v_add_nc_u32_e32 v8, 32, v18
	v_sub_nc_u32_e32 v9, v18, v20
	s_delay_alu instid0(VALU_DEP_2) | instskip(NEXT) | instid1(VALU_DEP_2)
	v_min_u32_e32 v16, v15, v8
	v_min_u32_e32 v37, v21, v9
	s_delay_alu instid0(VALU_DEP_2) | instskip(NEXT) | instid1(VALU_DEP_1)
	v_sub_nc_u32_e32 v8, v16, v18
	v_sub_nc_u32_e64 v15, v21, v8 clamp
	s_delay_alu instid0(VALU_DEP_1)
	v_cmpx_lt_u32_e64 v15, v37
	s_cbranch_execz .LBB878_209
; %bb.200:
	v_lshlrev_b32_e32 v8, 3, v18
	v_lshlrev_b32_e32 v9, 3, v21
	s_lshl_b64 s[20:21], s[8:9], 2
	s_mov_b32 s17, 0
	s_delay_alu instid0(VALU_DEP_1)
	v_add3_u32 v17, v14, v8, v9
	s_branch .LBB878_203
.LBB878_201:                            ;   in Loop: Header=BB878_203 Depth=1
	s_set_inst_prefetch_distance 0x2
	s_or_b32 exec_lo, exec_lo, s19
.LBB878_202:                            ;   in Loop: Header=BB878_203 Depth=1
	s_delay_alu instid0(VALU_DEP_1) | instskip(SKIP_1) | instid1(VALU_DEP_2)
	v_add_nc_u32_e32 v8, 1, v38
	v_cndmask_b32_e64 v37, v37, v38, s24
	v_cndmask_b32_e64 v15, v8, v15, s24
	s_delay_alu instid0(VALU_DEP_1) | instskip(SKIP_1) | instid1(SALU_CYCLE_1)
	v_cmp_ge_u32_e32 vcc_lo, v15, v37
	s_or_b32 s17, vcc_lo, s17
	s_and_not1_b32 exec_lo, exec_lo, s17
	s_cbranch_execz .LBB878_208
.LBB878_203:                            ; =>This Loop Header: Depth=1
                                        ;     Child Loop BB878_206 Depth 2
	v_add_nc_u32_e32 v8, v37, v15
	v_cmp_ne_u32_e32 vcc_lo, 1, v36
	s_mov_b32 s24, 0
	s_delay_alu instid0(VALU_DEP_2)
	v_lshrrev_b32_e32 v38, 1, v8
	s_cbranch_vccnz .LBB878_202
; %bb.204:                              ;   in Loop: Header=BB878_203 Depth=1
	s_delay_alu instid0(VALU_DEP_1) | instskip(SKIP_3) | instid1(VALU_DEP_2)
	v_not_b32_e32 v8, v38
	v_lshl_add_u32 v9, v38, 3, v19
	s_mov_b32 s19, 0
	s_mov_b64 s[22:23], s[8:9]
                                        ; implicit-def: $sgpr24
                                        ; implicit-def: $sgpr25
                                        ; implicit-def: $sgpr26
                                        ; implicit-def: $sgpr27
                                        ; implicit-def: $sgpr28
	v_lshl_add_u32 v8, v8, 3, v17
	ds_load_b64 v[10:11], v8
	ds_load_b64 v[39:40], v9
	s_waitcnt lgkmcnt(1)
	v_mul_lo_u32 v41, s20, v11
	v_mul_lo_u32 v42, s21, v10
	v_mad_u64_u32 v[8:9], null, s20, v10, s[10:11]
	s_waitcnt lgkmcnt(0)
	v_mul_lo_u32 v40, s20, v40
	v_mul_lo_u32 v43, s21, v39
	v_mad_u64_u32 v[10:11], null, s20, v39, s[10:11]
	s_delay_alu instid0(VALU_DEP_4) | instskip(NEXT) | instid1(VALU_DEP_2)
	v_add3_u32 v9, v42, v9, v41
	v_add3_u32 v11, v43, v11, v40
	s_set_inst_prefetch_distance 0x1
	s_branch .LBB878_206
	.p2align	6
.LBB878_205:                            ;   in Loop: Header=BB878_206 Depth=2
	s_or_b32 exec_lo, exec_lo, s29
	s_delay_alu instid0(SALU_CYCLE_1) | instskip(NEXT) | instid1(SALU_CYCLE_1)
	s_and_b32 s0, exec_lo, s25
	s_or_b32 s19, s0, s19
	s_and_not1_b32 s0, s28, exec_lo
	s_and_b32 s28, s26, exec_lo
	s_and_not1_b32 s24, s24, exec_lo
	s_and_b32 s29, s27, exec_lo
	s_or_b32 s28, s0, s28
	s_or_b32 s24, s24, s29
	s_and_not1_b32 exec_lo, exec_lo, s19
	s_cbranch_execz .LBB878_201
.LBB878_206:                            ;   Parent Loop BB878_203 Depth=1
                                        ; =>  This Inner Loop Header: Depth=2
	global_load_b32 v39, v[8:9], off
	global_load_b32 v40, v[10:11], off
	s_and_not1_b32 s27, s27, exec_lo
	s_and_not1_b32 s26, s26, exec_lo
	s_or_b32 s25, s25, exec_lo
	s_waitcnt vmcnt(0)
	v_cmp_ngt_f32_e32 vcc_lo, v39, v40
	v_cmp_lt_f32_e64 s0, v39, v40
	s_and_b32 s29, vcc_lo, s28
	s_delay_alu instid0(VALU_DEP_1) | instid1(SALU_CYCLE_1)
	s_or_b32 s0, s0, s29
	s_delay_alu instid0(SALU_CYCLE_1) | instskip(NEXT) | instid1(SALU_CYCLE_1)
	s_and_b32 s29, s0, exec_lo
	s_or_b32 s27, s27, s29
	s_mov_b32 s29, exec_lo
	v_cmpx_nlg_f32_e32 v39, v40
	s_cbranch_execz .LBB878_205
; %bb.207:                              ;   in Loop: Header=BB878_206 Depth=2
	s_add_u32 s22, s22, -1
	s_addc_u32 s23, s23, -1
	v_add_co_u32 v8, vcc_lo, v8, 4
	v_add_co_ci_u32_e32 v9, vcc_lo, 0, v9, vcc_lo
	s_cmp_eq_u64 s[22:23], 0
	v_add_co_u32 v10, vcc_lo, v10, 4
	s_cselect_b32 s28, -1, 0
	v_add_co_ci_u32_e32 v11, vcc_lo, 0, v11, vcc_lo
	s_and_not1_b32 s26, s26, exec_lo
	s_and_b32 s0, s0, exec_lo
	s_and_not1_b32 s25, s25, exec_lo
	s_and_b32 s28, s28, exec_lo
	s_and_not1_b32 s27, s27, exec_lo
	s_or_b32 s26, s26, s0
	s_or_b32 s25, s25, s28
                                        ; implicit-def: $sgpr28
	s_branch .LBB878_205
.LBB878_208:
	s_or_b32 exec_lo, exec_lo, s17
.LBB878_209:
	s_delay_alu instid0(SALU_CYCLE_1) | instskip(SKIP_2) | instid1(VALU_DEP_2)
	s_or_b32 exec_lo, exec_lo, s1
	v_add_nc_u32_e32 v9, v18, v21
	v_add_nc_u32_e32 v8, v15, v20
	v_sub_nc_u32_e32 v9, v9, v15
	s_delay_alu instid0(VALU_DEP_2) | instskip(NEXT) | instid1(VALU_DEP_2)
	v_cmp_le_u32_e32 vcc_lo, v8, v18
	v_cmp_le_u32_e64 s0, v9, v16
	s_delay_alu instid0(VALU_DEP_1) | instskip(NEXT) | instid1(SALU_CYCLE_1)
	s_or_b32 s0, vcc_lo, s0
	s_and_saveexec_b32 s17, s0
	s_cbranch_execz .LBB878_245
; %bb.210:
	v_cmp_ge_u32_e32 vcc_lo, v8, v18
	s_mov_b32 s1, exec_lo
                                        ; implicit-def: $vgpr0_vgpr1
	v_cmpx_lt_u32_e64 v8, v18
	s_cbranch_execz .LBB878_212
; %bb.211:
	v_lshl_add_u32 v0, v15, 3, v19
	ds_load_b64 v[0:1], v0
.LBB878_212:
	s_or_b32 exec_lo, exec_lo, s1
	v_cmp_ge_u32_e64 s0, v9, v16
	s_mov_b32 s19, exec_lo
                                        ; implicit-def: $vgpr4_vgpr5
	v_cmpx_lt_u32_e64 v9, v16
	s_cbranch_execz .LBB878_214
; %bb.213:
	v_lshl_add_u32 v2, v9, 3, v14
	ds_load_b64 v[4:5], v2
.LBB878_214:
	s_or_b32 exec_lo, exec_lo, s19
	s_or_b32 s1, vcc_lo, s0
	s_xor_b32 s19, vcc_lo, -1
	s_or_b32 s1, s1, s12
	s_delay_alu instid0(SALU_CYCLE_1)
	s_xor_b32 s20, s1, -1
	s_or_b32 s1, s0, s19
	s_and_saveexec_b32 s19, s20
	s_cbranch_execz .LBB878_220
; %bb.215:
	s_waitcnt lgkmcnt(0)
	v_mul_lo_u32 v10, v5, s8
	v_mul_lo_u32 v11, v4, s9
	v_mad_u64_u32 v[2:3], null, v4, s8, 0
	v_mul_lo_u32 v15, v1, s8
	v_mul_lo_u32 v17, v0, s9
	v_mad_u64_u32 v[6:7], null, v0, s8, 0
	s_mov_b32 s22, 0
	s_mov_b64 s[20:21], s[8:9]
	s_delay_alu instid0(VALU_DEP_4) | instskip(NEXT) | instid1(VALU_DEP_2)
	v_add3_u32 v3, v3, v11, v10
                                        ; implicit-def: $sgpr23
                                        ; implicit-def: $sgpr24
                                        ; implicit-def: $sgpr25
                                        ; implicit-def: $sgpr26
                                        ; implicit-def: $sgpr27
	v_add3_u32 v7, v7, v17, v15
	s_delay_alu instid0(VALU_DEP_2) | instskip(NEXT) | instid1(VALU_DEP_2)
	v_lshlrev_b64 v[2:3], 2, v[2:3]
	v_lshlrev_b64 v[6:7], 2, v[6:7]
	s_delay_alu instid0(VALU_DEP_2) | instskip(NEXT) | instid1(VALU_DEP_3)
	v_add_co_u32 v2, vcc_lo, s10, v2
	v_add_co_ci_u32_e32 v3, vcc_lo, s11, v3, vcc_lo
	s_delay_alu instid0(VALU_DEP_3) | instskip(NEXT) | instid1(VALU_DEP_4)
	v_add_co_u32 v6, vcc_lo, s10, v6
	v_add_co_ci_u32_e32 v7, vcc_lo, s11, v7, vcc_lo
	s_set_inst_prefetch_distance 0x1
	s_branch .LBB878_217
	.p2align	6
.LBB878_216:                            ;   in Loop: Header=BB878_217 Depth=1
	s_or_b32 exec_lo, exec_lo, s0
	s_delay_alu instid0(SALU_CYCLE_1) | instskip(NEXT) | instid1(SALU_CYCLE_1)
	s_and_b32 s0, exec_lo, s24
	s_or_b32 s22, s0, s22
	s_and_not1_b32 s0, s27, exec_lo
	s_and_b32 s27, s26, exec_lo
	s_and_not1_b32 s23, s23, exec_lo
	s_and_b32 s28, s25, exec_lo
	s_or_b32 s27, s0, s27
	s_or_b32 s23, s23, s28
	s_and_not1_b32 exec_lo, exec_lo, s22
	s_cbranch_execz .LBB878_219
.LBB878_217:                            ; =>This Inner Loop Header: Depth=1
	global_load_b32 v10, v[2:3], off
	global_load_b32 v11, v[6:7], off
	s_and_not1_b32 s25, s25, exec_lo
	s_and_not1_b32 s26, s26, exec_lo
	s_or_b32 s24, s24, exec_lo
	s_waitcnt vmcnt(0)
	v_cmp_ngt_f32_e32 vcc_lo, v10, v11
	v_cmp_lt_f32_e64 s0, v10, v11
	s_and_b32 s28, vcc_lo, s27
	s_delay_alu instid0(VALU_DEP_1) | instid1(SALU_CYCLE_1)
	s_or_b32 s28, s0, s28
	s_delay_alu instid0(SALU_CYCLE_1) | instskip(NEXT) | instid1(SALU_CYCLE_1)
	s_and_b32 s0, s28, exec_lo
	s_or_b32 s25, s25, s0
	s_mov_b32 s0, exec_lo
	v_cmpx_nlg_f32_e32 v10, v11
	s_cbranch_execz .LBB878_216
; %bb.218:                              ;   in Loop: Header=BB878_217 Depth=1
	s_add_u32 s20, s20, -1
	s_addc_u32 s21, s21, -1
	v_add_co_u32 v2, vcc_lo, v2, 4
	s_cmp_eq_u64 s[20:21], 0
	v_add_co_ci_u32_e32 v3, vcc_lo, 0, v3, vcc_lo
	v_add_co_u32 v6, vcc_lo, v6, 4
	s_cselect_b32 s27, -1, 0
	v_add_co_ci_u32_e32 v7, vcc_lo, 0, v7, vcc_lo
	s_and_not1_b32 s26, s26, exec_lo
	s_and_b32 s28, s28, exec_lo
	s_and_not1_b32 s24, s24, exec_lo
	s_and_b32 s27, s27, exec_lo
	s_or_b32 s26, s26, s28
	s_and_not1_b32 s25, s25, exec_lo
	s_or_b32 s24, s24, s27
                                        ; implicit-def: $sgpr27
	s_branch .LBB878_216
.LBB878_219:
	s_set_inst_prefetch_distance 0x2
	s_or_b32 exec_lo, exec_lo, s22
	s_xor_b32 s0, s23, -1
	s_and_not1_b32 s1, s1, exec_lo
	s_and_b32 s0, s0, exec_lo
	s_delay_alu instid0(SALU_CYCLE_1)
	s_or_b32 s1, s1, s0
.LBB878_220:
	s_or_b32 exec_lo, exec_lo, s19
	v_cndmask_b32_e64 v2, v9, v8, s1
	v_cndmask_b32_e64 v3, v16, v18, s1
	s_mov_b32 s19, -1
	s_mov_b32 s22, -1
	s_mov_b32 s23, exec_lo
	v_add_nc_u32_e32 v6, 1, v2
	v_add_nc_u32_e32 v2, -1, v3
	s_delay_alu instid0(VALU_DEP_2) | instskip(NEXT) | instid1(VALU_DEP_2)
	v_cndmask_b32_e64 v9, v6, v9, s1
	v_min_u32_e32 v2, v6, v2
	v_cndmask_b32_e64 v8, v8, v6, s1
	s_delay_alu instid0(VALU_DEP_2)
	v_lshl_add_u32 v2, v2, 3, v14
	ds_load_b64 v[2:3], v2
	s_waitcnt lgkmcnt(0)
	v_cndmask_b32_e64 v10, v3, v5, s1
	v_cndmask_b32_e64 v11, v2, v4, s1
	;; [unrolled: 1-line block ×4, first 2 shown]
	v_cmpx_lt_u32_e64 v9, v16
	s_cbranch_execz .LBB878_228
; %bb.221:
	v_cmp_lt_u32_e64 s22, v8, v18
	s_xor_b32 s0, s12, -1
	s_delay_alu instid0(VALU_DEP_1) | instid1(SALU_CYCLE_1)
	s_and_b32 s0, s22, s0
	s_delay_alu instid0(SALU_CYCLE_1)
	s_and_saveexec_b32 s24, s0
	s_cbranch_execz .LBB878_227
; %bb.222:
	v_mul_lo_u32 v19, v10, s8
	v_mul_lo_u32 v20, v11, s9
	v_mad_u64_u32 v[2:3], null, v11, s8, 0
	v_mul_lo_u32 v21, v15, s8
	v_mul_lo_u32 v37, v17, s9
	v_mad_u64_u32 v[6:7], null, v17, s8, 0
	s_mov_b32 s25, 0
	s_mov_b64 s[20:21], s[8:9]
	s_delay_alu instid0(VALU_DEP_4) | instskip(NEXT) | instid1(VALU_DEP_2)
	v_add3_u32 v3, v3, v20, v19
                                        ; implicit-def: $sgpr26
                                        ; implicit-def: $sgpr27
                                        ; implicit-def: $sgpr28
                                        ; implicit-def: $sgpr29
                                        ; implicit-def: $sgpr30
	v_add3_u32 v7, v7, v37, v21
	s_delay_alu instid0(VALU_DEP_2) | instskip(NEXT) | instid1(VALU_DEP_2)
	v_lshlrev_b64 v[2:3], 2, v[2:3]
	v_lshlrev_b64 v[6:7], 2, v[6:7]
	s_delay_alu instid0(VALU_DEP_2) | instskip(NEXT) | instid1(VALU_DEP_3)
	v_add_co_u32 v2, vcc_lo, s10, v2
	v_add_co_ci_u32_e32 v3, vcc_lo, s11, v3, vcc_lo
	s_delay_alu instid0(VALU_DEP_3) | instskip(NEXT) | instid1(VALU_DEP_4)
	v_add_co_u32 v6, vcc_lo, s10, v6
	v_add_co_ci_u32_e32 v7, vcc_lo, s11, v7, vcc_lo
	s_set_inst_prefetch_distance 0x1
	s_branch .LBB878_224
	.p2align	6
.LBB878_223:                            ;   in Loop: Header=BB878_224 Depth=1
	s_or_b32 exec_lo, exec_lo, s0
	s_delay_alu instid0(SALU_CYCLE_1) | instskip(NEXT) | instid1(SALU_CYCLE_1)
	s_and_b32 s0, exec_lo, s27
	s_or_b32 s25, s0, s25
	s_and_not1_b32 s0, s30, exec_lo
	s_and_b32 s30, s29, exec_lo
	s_and_not1_b32 s26, s26, exec_lo
	s_and_b32 s31, s28, exec_lo
	s_or_b32 s30, s0, s30
	s_or_b32 s26, s26, s31
	s_and_not1_b32 exec_lo, exec_lo, s25
	s_cbranch_execz .LBB878_226
.LBB878_224:                            ; =>This Inner Loop Header: Depth=1
	global_load_b32 v19, v[2:3], off
	global_load_b32 v20, v[6:7], off
	s_and_not1_b32 s28, s28, exec_lo
	s_and_not1_b32 s29, s29, exec_lo
	s_or_b32 s27, s27, exec_lo
	s_waitcnt vmcnt(0)
	v_cmp_ngt_f32_e32 vcc_lo, v19, v20
	v_cmp_lt_f32_e64 s0, v19, v20
	s_and_b32 s31, vcc_lo, s30
	s_delay_alu instid0(VALU_DEP_1) | instid1(SALU_CYCLE_1)
	s_or_b32 s31, s0, s31
	s_delay_alu instid0(SALU_CYCLE_1) | instskip(NEXT) | instid1(SALU_CYCLE_1)
	s_and_b32 s0, s31, exec_lo
	s_or_b32 s28, s28, s0
	s_mov_b32 s0, exec_lo
	v_cmpx_nlg_f32_e32 v19, v20
	s_cbranch_execz .LBB878_223
; %bb.225:                              ;   in Loop: Header=BB878_224 Depth=1
	s_add_u32 s20, s20, -1
	s_addc_u32 s21, s21, -1
	v_add_co_u32 v2, vcc_lo, v2, 4
	s_cmp_eq_u64 s[20:21], 0
	v_add_co_ci_u32_e32 v3, vcc_lo, 0, v3, vcc_lo
	v_add_co_u32 v6, vcc_lo, v6, 4
	s_cselect_b32 s30, -1, 0
	v_add_co_ci_u32_e32 v7, vcc_lo, 0, v7, vcc_lo
	s_and_not1_b32 s29, s29, exec_lo
	s_and_b32 s31, s31, exec_lo
	s_and_not1_b32 s27, s27, exec_lo
	s_and_b32 s30, s30, exec_lo
	s_or_b32 s29, s29, s31
	s_and_not1_b32 s28, s28, exec_lo
	s_or_b32 s27, s27, s30
                                        ; implicit-def: $sgpr30
	s_branch .LBB878_223
.LBB878_226:
	s_set_inst_prefetch_distance 0x2
	s_or_b32 exec_lo, exec_lo, s25
	s_xor_b32 s0, s26, -1
	s_and_not1_b32 s20, s22, exec_lo
	s_and_b32 s0, s0, exec_lo
	s_delay_alu instid0(SALU_CYCLE_1)
	s_or_b32 s22, s20, s0
.LBB878_227:
	s_or_b32 exec_lo, exec_lo, s24
	s_delay_alu instid0(SALU_CYCLE_1)
	s_or_not1_b32 s22, s22, exec_lo
.LBB878_228:
	s_or_b32 exec_lo, exec_lo, s23
	v_cndmask_b32_e64 v2, v9, v8, s22
	v_cndmask_b32_e64 v3, v16, v18, s22
	s_mov_b32 s23, exec_lo
	s_delay_alu instid0(VALU_DEP_2) | instskip(NEXT) | instid1(VALU_DEP_2)
	v_add_nc_u32_e32 v6, 1, v2
	v_add_nc_u32_e32 v2, -1, v3
	s_delay_alu instid0(VALU_DEP_2) | instskip(NEXT) | instid1(VALU_DEP_2)
	v_cndmask_b32_e64 v37, v6, v9, s22
	v_min_u32_e32 v2, v6, v2
	v_cndmask_b32_e64 v19, v8, v6, s22
	s_delay_alu instid0(VALU_DEP_2)
	v_lshl_add_u32 v2, v2, 3, v14
	ds_load_b64 v[2:3], v2
	s_waitcnt lgkmcnt(0)
	v_cndmask_b32_e64 v20, v3, v10, s22
	v_cndmask_b32_e64 v21, v2, v11, s22
	;; [unrolled: 1-line block ×4, first 2 shown]
	v_cmpx_lt_u32_e64 v37, v16
	s_cbranch_execz .LBB878_236
; %bb.229:
	v_cmp_lt_u32_e64 s19, v19, v18
	s_xor_b32 s0, s12, -1
	s_delay_alu instid0(VALU_DEP_1) | instid1(SALU_CYCLE_1)
	s_and_b32 s0, s19, s0
	s_delay_alu instid0(SALU_CYCLE_1)
	s_and_saveexec_b32 s24, s0
	s_cbranch_execz .LBB878_235
; %bb.230:
	v_mul_lo_u32 v8, v20, s8
	v_mul_lo_u32 v9, v21, s9
	v_mad_u64_u32 v[2:3], null, v21, s8, 0
	v_mul_lo_u32 v40, v38, s8
	v_mul_lo_u32 v41, v39, s9
	v_mad_u64_u32 v[6:7], null, v39, s8, 0
	s_mov_b32 s25, 0
	s_mov_b64 s[20:21], s[8:9]
	s_delay_alu instid0(VALU_DEP_4) | instskip(NEXT) | instid1(VALU_DEP_2)
	v_add3_u32 v3, v3, v9, v8
                                        ; implicit-def: $sgpr26
                                        ; implicit-def: $sgpr27
                                        ; implicit-def: $sgpr28
                                        ; implicit-def: $sgpr29
                                        ; implicit-def: $sgpr30
	v_add3_u32 v7, v7, v41, v40
	s_delay_alu instid0(VALU_DEP_2) | instskip(NEXT) | instid1(VALU_DEP_2)
	v_lshlrev_b64 v[2:3], 2, v[2:3]
	v_lshlrev_b64 v[6:7], 2, v[6:7]
	s_delay_alu instid0(VALU_DEP_2) | instskip(NEXT) | instid1(VALU_DEP_3)
	v_add_co_u32 v2, vcc_lo, s10, v2
	v_add_co_ci_u32_e32 v3, vcc_lo, s11, v3, vcc_lo
	s_delay_alu instid0(VALU_DEP_3) | instskip(NEXT) | instid1(VALU_DEP_4)
	v_add_co_u32 v6, vcc_lo, s10, v6
	v_add_co_ci_u32_e32 v7, vcc_lo, s11, v7, vcc_lo
	s_set_inst_prefetch_distance 0x1
	s_branch .LBB878_232
	.p2align	6
.LBB878_231:                            ;   in Loop: Header=BB878_232 Depth=1
	s_or_b32 exec_lo, exec_lo, s0
	s_delay_alu instid0(SALU_CYCLE_1) | instskip(NEXT) | instid1(SALU_CYCLE_1)
	s_and_b32 s0, exec_lo, s27
	s_or_b32 s25, s0, s25
	s_and_not1_b32 s0, s30, exec_lo
	s_and_b32 s30, s29, exec_lo
	s_and_not1_b32 s26, s26, exec_lo
	s_and_b32 s31, s28, exec_lo
	s_or_b32 s30, s0, s30
	s_or_b32 s26, s26, s31
	s_and_not1_b32 exec_lo, exec_lo, s25
	s_cbranch_execz .LBB878_234
.LBB878_232:                            ; =>This Inner Loop Header: Depth=1
	global_load_b32 v8, v[2:3], off
	global_load_b32 v9, v[6:7], off
	s_and_not1_b32 s28, s28, exec_lo
	s_and_not1_b32 s29, s29, exec_lo
	s_or_b32 s27, s27, exec_lo
	s_waitcnt vmcnt(0)
	v_cmp_ngt_f32_e32 vcc_lo, v8, v9
	v_cmp_lt_f32_e64 s0, v8, v9
	s_and_b32 s31, vcc_lo, s30
	s_delay_alu instid0(VALU_DEP_1) | instid1(SALU_CYCLE_1)
	s_or_b32 s31, s0, s31
	s_delay_alu instid0(SALU_CYCLE_1) | instskip(NEXT) | instid1(SALU_CYCLE_1)
	s_and_b32 s0, s31, exec_lo
	s_or_b32 s28, s28, s0
	s_mov_b32 s0, exec_lo
	v_cmpx_nlg_f32_e32 v8, v9
	s_cbranch_execz .LBB878_231
; %bb.233:                              ;   in Loop: Header=BB878_232 Depth=1
	s_add_u32 s20, s20, -1
	s_addc_u32 s21, s21, -1
	v_add_co_u32 v2, vcc_lo, v2, 4
	s_cmp_eq_u64 s[20:21], 0
	v_add_co_ci_u32_e32 v3, vcc_lo, 0, v3, vcc_lo
	v_add_co_u32 v6, vcc_lo, v6, 4
	s_cselect_b32 s30, -1, 0
	v_add_co_ci_u32_e32 v7, vcc_lo, 0, v7, vcc_lo
	s_and_not1_b32 s29, s29, exec_lo
	s_and_b32 s31, s31, exec_lo
	s_and_not1_b32 s27, s27, exec_lo
	s_and_b32 s30, s30, exec_lo
	s_or_b32 s29, s29, s31
	s_and_not1_b32 s28, s28, exec_lo
	s_or_b32 s27, s27, s30
                                        ; implicit-def: $sgpr30
	s_branch .LBB878_231
.LBB878_234:
	s_set_inst_prefetch_distance 0x2
	s_or_b32 exec_lo, exec_lo, s25
	s_xor_b32 s0, s26, -1
	s_and_not1_b32 s19, s19, exec_lo
	s_and_b32 s0, s0, exec_lo
	s_delay_alu instid0(SALU_CYCLE_1)
	s_or_b32 s19, s19, s0
.LBB878_235:
	s_or_b32 exec_lo, exec_lo, s24
	s_delay_alu instid0(SALU_CYCLE_1)
	s_or_not1_b32 s19, s19, exec_lo
.LBB878_236:
	s_or_b32 exec_lo, exec_lo, s23
	v_cndmask_b32_e64 v2, v37, v19, s19
	v_cndmask_b32_e64 v3, v16, v18, s19
	;; [unrolled: 1-line block ×5, first 2 shown]
	v_add_nc_u32_e32 v40, 1, v2
	v_add_nc_u32_e32 v2, -1, v3
	v_cndmask_b32_e64 v3, v10, v15, s22
	v_cndmask_b32_e64 v4, v21, v39, s19
	s_mov_b32 s1, exec_lo
	v_cndmask_b32_e64 v10, v40, v37, s19
	v_min_u32_e32 v2, v40, v2
	s_delay_alu instid0(VALU_DEP_1)
	v_lshl_add_u32 v2, v2, 3, v14
	ds_load_b64 v[8:9], v2
	v_cndmask_b32_e64 v2, v11, v17, s22
	s_waitcnt lgkmcnt(0)
	v_cndmask_b32_e64 v7, v38, v9, s19
	v_cndmask_b32_e64 v6, v39, v8, s19
	v_cmpx_lt_u32_e64 v10, v16
	s_cbranch_execz .LBB878_244
; %bb.237:
	v_cndmask_b32_e64 v10, v19, v40, s19
	v_cndmask_b32_e64 v14, v9, v20, s19
	;; [unrolled: 1-line block ×3, first 2 shown]
	s_delay_alu instid0(VALU_DEP_3) | instskip(NEXT) | instid1(VALU_DEP_2)
	v_cmp_ge_u32_e32 vcc_lo, v10, v18
	v_dual_cndmask_b32 v9, v7, v14 :: v_dual_cndmask_b32 v8, v6, v15
	s_or_b32 s0, vcc_lo, s12
	s_delay_alu instid0(SALU_CYCLE_1) | instskip(NEXT) | instid1(SALU_CYCLE_1)
	s_xor_b32 s0, s0, -1
	s_and_saveexec_b32 s19, s0
	s_cbranch_execz .LBB878_243
; %bb.238:
	v_mul_lo_u32 v16, v14, s8
	v_mul_lo_u32 v17, v15, s9
	v_mad_u64_u32 v[8:9], null, v15, s8, 0
	v_mul_lo_u32 v18, v7, s8
	v_mul_lo_u32 v19, v6, s9
	v_mad_u64_u32 v[10:11], null, v6, s8, 0
	s_mov_b32 s22, 0
	s_mov_b64 s[20:21], s[8:9]
	s_delay_alu instid0(VALU_DEP_4) | instskip(NEXT) | instid1(VALU_DEP_2)
	v_add3_u32 v9, v9, v17, v16
                                        ; implicit-def: $sgpr23
                                        ; implicit-def: $sgpr24
                                        ; implicit-def: $sgpr25
                                        ; implicit-def: $sgpr26
                                        ; implicit-def: $sgpr27
	v_add3_u32 v11, v11, v19, v18
	s_delay_alu instid0(VALU_DEP_2) | instskip(NEXT) | instid1(VALU_DEP_2)
	v_lshlrev_b64 v[8:9], 2, v[8:9]
	v_lshlrev_b64 v[10:11], 2, v[10:11]
	s_delay_alu instid0(VALU_DEP_2) | instskip(NEXT) | instid1(VALU_DEP_3)
	v_add_co_u32 v8, vcc_lo, s10, v8
	v_add_co_ci_u32_e32 v9, vcc_lo, s11, v9, vcc_lo
	s_delay_alu instid0(VALU_DEP_3) | instskip(NEXT) | instid1(VALU_DEP_4)
	v_add_co_u32 v10, vcc_lo, s10, v10
	v_add_co_ci_u32_e32 v11, vcc_lo, s11, v11, vcc_lo
	s_set_inst_prefetch_distance 0x1
	s_branch .LBB878_240
	.p2align	6
.LBB878_239:                            ;   in Loop: Header=BB878_240 Depth=1
	s_or_b32 exec_lo, exec_lo, s0
	s_delay_alu instid0(SALU_CYCLE_1) | instskip(NEXT) | instid1(SALU_CYCLE_1)
	s_and_b32 s0, exec_lo, s24
	s_or_b32 s22, s0, s22
	s_and_not1_b32 s0, s27, exec_lo
	s_and_b32 s27, s26, exec_lo
	s_and_not1_b32 s23, s23, exec_lo
	s_and_b32 s28, s25, exec_lo
	s_or_b32 s27, s0, s27
	s_or_b32 s23, s23, s28
	s_and_not1_b32 exec_lo, exec_lo, s22
	s_cbranch_execz .LBB878_242
.LBB878_240:                            ; =>This Inner Loop Header: Depth=1
	global_load_b32 v16, v[8:9], off
	global_load_b32 v17, v[10:11], off
	s_and_not1_b32 s25, s25, exec_lo
	s_and_not1_b32 s26, s26, exec_lo
	s_or_b32 s24, s24, exec_lo
	s_waitcnt vmcnt(0)
	v_cmp_ngt_f32_e32 vcc_lo, v16, v17
	v_cmp_lt_f32_e64 s0, v16, v17
	s_and_b32 s28, vcc_lo, s27
	s_delay_alu instid0(VALU_DEP_1) | instid1(SALU_CYCLE_1)
	s_or_b32 s28, s0, s28
	s_delay_alu instid0(SALU_CYCLE_1) | instskip(NEXT) | instid1(SALU_CYCLE_1)
	s_and_b32 s0, s28, exec_lo
	s_or_b32 s25, s25, s0
	s_mov_b32 s0, exec_lo
	v_cmpx_nlg_f32_e32 v16, v17
	s_cbranch_execz .LBB878_239
; %bb.241:                              ;   in Loop: Header=BB878_240 Depth=1
	s_add_u32 s20, s20, -1
	s_addc_u32 s21, s21, -1
	v_add_co_u32 v8, vcc_lo, v8, 4
	s_cmp_eq_u64 s[20:21], 0
	v_add_co_ci_u32_e32 v9, vcc_lo, 0, v9, vcc_lo
	v_add_co_u32 v10, vcc_lo, v10, 4
	s_cselect_b32 s27, -1, 0
	v_add_co_ci_u32_e32 v11, vcc_lo, 0, v11, vcc_lo
	s_and_not1_b32 s26, s26, exec_lo
	s_and_b32 s28, s28, exec_lo
	s_and_not1_b32 s24, s24, exec_lo
	s_and_b32 s27, s27, exec_lo
	s_or_b32 s26, s26, s28
	s_and_not1_b32 s25, s25, exec_lo
	s_or_b32 s24, s24, s27
                                        ; implicit-def: $sgpr27
	s_branch .LBB878_239
.LBB878_242:
	s_set_inst_prefetch_distance 0x2
	s_or_b32 exec_lo, exec_lo, s22
	v_cndmask_b32_e64 v9, v7, v14, s23
	v_cndmask_b32_e64 v8, v6, v15, s23
.LBB878_243:
	s_or_b32 exec_lo, exec_lo, s19
	s_delay_alu instid0(VALU_DEP_1)
	v_dual_mov_b32 v6, v8 :: v_dual_mov_b32 v7, v9
.LBB878_244:
	s_or_b32 exec_lo, exec_lo, s1
.LBB878_245:
	s_delay_alu instid0(SALU_CYCLE_1) | instskip(SKIP_4) | instid1(VALU_DEP_3)
	s_or_b32 exec_lo, exec_lo, s17
	v_and_b32_e32 v19, 0xf80, v23
	v_and_b32_e32 v20, 0x7c, v23
	v_lshlrev_b32_e32 v14, 3, v23
	s_mov_b32 s1, exec_lo
	v_or_b32_e32 v8, 64, v19
	v_lshlrev_b32_e32 v18, 3, v19
	; wave barrier
	s_waitcnt lgkmcnt(0)
	s_barrier
	s_delay_alu instid0(VALU_DEP_2)
	v_min_u32_e32 v9, 0x3c0, v8
	v_min_u32_e32 v15, 0x400, v8
	buffer_gl0_inv
	ds_store_b128 v14, v[0:3]
	ds_store_b128 v14, v[4:7] offset:16
	s_waitcnt lgkmcnt(0)
	v_add_nc_u32_e32 v16, 64, v9
	v_sub_nc_u32_e32 v8, v15, v19
	s_barrier
	buffer_gl0_inv
	v_sub_nc_u32_e32 v9, v16, v15
	v_min_u32_e32 v21, v20, v8
	s_delay_alu instid0(VALU_DEP_2) | instskip(NEXT) | instid1(VALU_DEP_1)
	v_sub_nc_u32_e64 v17, v20, v9 clamp
	v_cmpx_lt_u32_e64 v17, v21
	s_cbranch_execz .LBB878_255
; %bb.246:
	v_lshlrev_b32_e32 v8, 3, v20
	s_lshl_b64 s[20:21], s[8:9], 2
	s_mov_b32 s17, 0
	s_delay_alu instid0(VALU_DEP_1)
	v_lshl_add_u32 v37, v15, 3, v8
	s_branch .LBB878_249
.LBB878_247:                            ;   in Loop: Header=BB878_249 Depth=1
	s_set_inst_prefetch_distance 0x2
	s_or_b32 exec_lo, exec_lo, s19
.LBB878_248:                            ;   in Loop: Header=BB878_249 Depth=1
	s_delay_alu instid0(VALU_DEP_1) | instskip(SKIP_1) | instid1(VALU_DEP_2)
	v_add_nc_u32_e32 v8, 1, v38
	v_cndmask_b32_e64 v21, v21, v38, s24
	v_cndmask_b32_e64 v17, v8, v17, s24
	s_delay_alu instid0(VALU_DEP_1) | instskip(SKIP_1) | instid1(SALU_CYCLE_1)
	v_cmp_ge_u32_e32 vcc_lo, v17, v21
	s_or_b32 s17, vcc_lo, s17
	s_and_not1_b32 exec_lo, exec_lo, s17
	s_cbranch_execz .LBB878_254
.LBB878_249:                            ; =>This Loop Header: Depth=1
                                        ;     Child Loop BB878_252 Depth 2
	v_add_nc_u32_e32 v8, v21, v17
	v_cmp_ne_u32_e32 vcc_lo, 1, v36
	s_mov_b32 s24, 0
	s_delay_alu instid0(VALU_DEP_2)
	v_lshrrev_b32_e32 v38, 1, v8
	s_cbranch_vccnz .LBB878_248
; %bb.250:                              ;   in Loop: Header=BB878_249 Depth=1
	s_delay_alu instid0(VALU_DEP_1) | instskip(SKIP_3) | instid1(VALU_DEP_2)
	v_not_b32_e32 v8, v38
	v_lshl_add_u32 v9, v38, 3, v18
	s_mov_b32 s19, 0
	s_mov_b64 s[22:23], s[8:9]
                                        ; implicit-def: $sgpr24
                                        ; implicit-def: $sgpr25
                                        ; implicit-def: $sgpr26
                                        ; implicit-def: $sgpr27
                                        ; implicit-def: $sgpr28
	v_lshl_add_u32 v8, v8, 3, v37
	ds_load_b64 v[10:11], v8
	ds_load_b64 v[39:40], v9
	s_waitcnt lgkmcnt(1)
	v_mul_lo_u32 v41, s20, v11
	v_mul_lo_u32 v42, s21, v10
	v_mad_u64_u32 v[8:9], null, s20, v10, s[10:11]
	s_waitcnt lgkmcnt(0)
	v_mul_lo_u32 v40, s20, v40
	v_mul_lo_u32 v43, s21, v39
	v_mad_u64_u32 v[10:11], null, s20, v39, s[10:11]
	s_delay_alu instid0(VALU_DEP_4) | instskip(NEXT) | instid1(VALU_DEP_2)
	v_add3_u32 v9, v42, v9, v41
	v_add3_u32 v11, v43, v11, v40
	s_set_inst_prefetch_distance 0x1
	s_branch .LBB878_252
	.p2align	6
.LBB878_251:                            ;   in Loop: Header=BB878_252 Depth=2
	s_or_b32 exec_lo, exec_lo, s0
	s_delay_alu instid0(SALU_CYCLE_1) | instskip(NEXT) | instid1(SALU_CYCLE_1)
	s_and_b32 s0, exec_lo, s25
	s_or_b32 s19, s0, s19
	s_and_not1_b32 s0, s28, exec_lo
	s_and_b32 s28, s26, exec_lo
	s_and_not1_b32 s24, s24, exec_lo
	s_and_b32 s29, s27, exec_lo
	s_or_b32 s28, s0, s28
	s_or_b32 s24, s24, s29
	s_and_not1_b32 exec_lo, exec_lo, s19
	s_cbranch_execz .LBB878_247
.LBB878_252:                            ;   Parent Loop BB878_249 Depth=1
                                        ; =>  This Inner Loop Header: Depth=2
	global_load_b32 v39, v[8:9], off
	global_load_b32 v40, v[10:11], off
	s_and_not1_b32 s27, s27, exec_lo
	s_and_not1_b32 s26, s26, exec_lo
	s_or_b32 s25, s25, exec_lo
	s_waitcnt vmcnt(0)
	v_cmp_ngt_f32_e32 vcc_lo, v39, v40
	v_cmp_lt_f32_e64 s0, v39, v40
	s_and_b32 s29, vcc_lo, s28
	s_delay_alu instid0(VALU_DEP_1) | instid1(SALU_CYCLE_1)
	s_or_b32 s29, s0, s29
	s_delay_alu instid0(SALU_CYCLE_1) | instskip(NEXT) | instid1(SALU_CYCLE_1)
	s_and_b32 s0, s29, exec_lo
	s_or_b32 s27, s27, s0
	s_mov_b32 s0, exec_lo
	v_cmpx_nlg_f32_e32 v39, v40
	s_cbranch_execz .LBB878_251
; %bb.253:                              ;   in Loop: Header=BB878_252 Depth=2
	s_add_u32 s22, s22, -1
	s_addc_u32 s23, s23, -1
	v_add_co_u32 v8, vcc_lo, v8, 4
	v_add_co_ci_u32_e32 v9, vcc_lo, 0, v9, vcc_lo
	s_cmp_eq_u64 s[22:23], 0
	v_add_co_u32 v10, vcc_lo, v10, 4
	s_cselect_b32 s28, -1, 0
	v_add_co_ci_u32_e32 v11, vcc_lo, 0, v11, vcc_lo
	s_and_not1_b32 s26, s26, exec_lo
	s_and_b32 s29, s29, exec_lo
	s_and_not1_b32 s25, s25, exec_lo
	s_and_b32 s28, s28, exec_lo
	s_and_not1_b32 s27, s27, exec_lo
	s_or_b32 s26, s26, s29
	s_or_b32 s25, s25, s28
                                        ; implicit-def: $sgpr28
	s_branch .LBB878_251
.LBB878_254:
	s_or_b32 exec_lo, exec_lo, s17
.LBB878_255:
	s_delay_alu instid0(SALU_CYCLE_1) | instskip(SKIP_2) | instid1(VALU_DEP_2)
	s_or_b32 exec_lo, exec_lo, s1
	v_sub_nc_u32_e32 v9, v20, v17
	v_add_nc_u32_e32 v8, v17, v19
	v_add_nc_u32_e32 v9, v9, v15
	s_delay_alu instid0(VALU_DEP_2) | instskip(NEXT) | instid1(VALU_DEP_2)
	v_cmp_le_u32_e32 vcc_lo, v8, v15
	v_cmp_le_u32_e64 s0, v9, v16
	s_delay_alu instid0(VALU_DEP_1) | instskip(NEXT) | instid1(SALU_CYCLE_1)
	s_or_b32 s0, vcc_lo, s0
	s_and_saveexec_b32 s17, s0
	s_cbranch_execz .LBB878_291
; %bb.256:
	v_cmp_ge_u32_e32 vcc_lo, v8, v15
	s_mov_b32 s1, exec_lo
                                        ; implicit-def: $vgpr0_vgpr1
	v_cmpx_lt_u32_e64 v8, v15
	s_cbranch_execz .LBB878_258
; %bb.257:
	v_lshl_add_u32 v0, v17, 3, v18
	ds_load_b64 v[0:1], v0
.LBB878_258:
	s_or_b32 exec_lo, exec_lo, s1
	v_cmp_ge_u32_e64 s0, v9, v16
	s_mov_b32 s19, exec_lo
                                        ; implicit-def: $vgpr4_vgpr5
	v_cmpx_lt_u32_e64 v9, v16
	s_cbranch_execz .LBB878_260
; %bb.259:
	v_lshlrev_b32_e32 v2, 3, v9
	ds_load_b64 v[4:5], v2
.LBB878_260:
	s_or_b32 exec_lo, exec_lo, s19
	s_or_b32 s1, vcc_lo, s0
	s_xor_b32 s19, vcc_lo, -1
	s_or_b32 s1, s1, s12
	s_delay_alu instid0(SALU_CYCLE_1)
	s_xor_b32 s20, s1, -1
	s_or_b32 s1, s0, s19
	s_and_saveexec_b32 s19, s20
	s_cbranch_execz .LBB878_266
; %bb.261:
	s_waitcnt lgkmcnt(0)
	v_mul_lo_u32 v10, v5, s8
	v_mul_lo_u32 v11, v4, s9
	v_mad_u64_u32 v[2:3], null, v4, s8, 0
	v_mul_lo_u32 v17, v1, s8
	v_mul_lo_u32 v18, v0, s9
	v_mad_u64_u32 v[6:7], null, v0, s8, 0
	s_mov_b32 s22, 0
	s_mov_b64 s[20:21], s[8:9]
	s_delay_alu instid0(VALU_DEP_4) | instskip(NEXT) | instid1(VALU_DEP_2)
	v_add3_u32 v3, v3, v11, v10
                                        ; implicit-def: $sgpr23
                                        ; implicit-def: $sgpr24
                                        ; implicit-def: $sgpr25
                                        ; implicit-def: $sgpr26
                                        ; implicit-def: $sgpr27
	v_add3_u32 v7, v7, v18, v17
	s_delay_alu instid0(VALU_DEP_2) | instskip(NEXT) | instid1(VALU_DEP_2)
	v_lshlrev_b64 v[2:3], 2, v[2:3]
	v_lshlrev_b64 v[6:7], 2, v[6:7]
	s_delay_alu instid0(VALU_DEP_2) | instskip(NEXT) | instid1(VALU_DEP_3)
	v_add_co_u32 v2, vcc_lo, s10, v2
	v_add_co_ci_u32_e32 v3, vcc_lo, s11, v3, vcc_lo
	s_delay_alu instid0(VALU_DEP_3) | instskip(NEXT) | instid1(VALU_DEP_4)
	v_add_co_u32 v6, vcc_lo, s10, v6
	v_add_co_ci_u32_e32 v7, vcc_lo, s11, v7, vcc_lo
	s_set_inst_prefetch_distance 0x1
	s_branch .LBB878_263
	.p2align	6
.LBB878_262:                            ;   in Loop: Header=BB878_263 Depth=1
	s_or_b32 exec_lo, exec_lo, s0
	s_delay_alu instid0(SALU_CYCLE_1) | instskip(NEXT) | instid1(SALU_CYCLE_1)
	s_and_b32 s0, exec_lo, s24
	s_or_b32 s22, s0, s22
	s_and_not1_b32 s0, s27, exec_lo
	s_and_b32 s27, s26, exec_lo
	s_and_not1_b32 s23, s23, exec_lo
	s_and_b32 s28, s25, exec_lo
	s_or_b32 s27, s0, s27
	s_or_b32 s23, s23, s28
	s_and_not1_b32 exec_lo, exec_lo, s22
	s_cbranch_execz .LBB878_265
.LBB878_263:                            ; =>This Inner Loop Header: Depth=1
	global_load_b32 v10, v[2:3], off
	global_load_b32 v11, v[6:7], off
	s_and_not1_b32 s25, s25, exec_lo
	s_and_not1_b32 s26, s26, exec_lo
	s_or_b32 s24, s24, exec_lo
	s_waitcnt vmcnt(0)
	v_cmp_ngt_f32_e32 vcc_lo, v10, v11
	v_cmp_lt_f32_e64 s0, v10, v11
	s_and_b32 s28, vcc_lo, s27
	s_delay_alu instid0(VALU_DEP_1) | instid1(SALU_CYCLE_1)
	s_or_b32 s28, s0, s28
	s_delay_alu instid0(SALU_CYCLE_1) | instskip(NEXT) | instid1(SALU_CYCLE_1)
	s_and_b32 s0, s28, exec_lo
	s_or_b32 s25, s25, s0
	s_mov_b32 s0, exec_lo
	v_cmpx_nlg_f32_e32 v10, v11
	s_cbranch_execz .LBB878_262
; %bb.264:                              ;   in Loop: Header=BB878_263 Depth=1
	s_add_u32 s20, s20, -1
	s_addc_u32 s21, s21, -1
	v_add_co_u32 v2, vcc_lo, v2, 4
	s_cmp_eq_u64 s[20:21], 0
	v_add_co_ci_u32_e32 v3, vcc_lo, 0, v3, vcc_lo
	v_add_co_u32 v6, vcc_lo, v6, 4
	s_cselect_b32 s27, -1, 0
	v_add_co_ci_u32_e32 v7, vcc_lo, 0, v7, vcc_lo
	s_and_not1_b32 s26, s26, exec_lo
	s_and_b32 s28, s28, exec_lo
	s_and_not1_b32 s24, s24, exec_lo
	s_and_b32 s27, s27, exec_lo
	s_or_b32 s26, s26, s28
	s_and_not1_b32 s25, s25, exec_lo
	s_or_b32 s24, s24, s27
                                        ; implicit-def: $sgpr27
	s_branch .LBB878_262
.LBB878_265:
	s_set_inst_prefetch_distance 0x2
	s_or_b32 exec_lo, exec_lo, s22
	s_xor_b32 s0, s23, -1
	s_and_not1_b32 s1, s1, exec_lo
	s_and_b32 s0, s0, exec_lo
	s_delay_alu instid0(SALU_CYCLE_1)
	s_or_b32 s1, s1, s0
.LBB878_266:
	s_or_b32 exec_lo, exec_lo, s19
	v_cndmask_b32_e64 v2, v9, v8, s1
	v_cndmask_b32_e64 v3, v16, v15, s1
	s_mov_b32 s19, -1
	s_mov_b32 s22, -1
	s_mov_b32 s23, exec_lo
	v_add_nc_u32_e32 v6, 1, v2
	v_add_nc_u32_e32 v2, -1, v3
	s_delay_alu instid0(VALU_DEP_2) | instskip(NEXT) | instid1(VALU_DEP_2)
	v_cndmask_b32_e64 v9, v6, v9, s1
	v_min_u32_e32 v2, v6, v2
	v_cndmask_b32_e64 v8, v8, v6, s1
	s_delay_alu instid0(VALU_DEP_2)
	v_lshlrev_b32_e32 v2, 3, v2
	ds_load_b64 v[2:3], v2
	s_waitcnt lgkmcnt(0)
	v_cndmask_b32_e64 v10, v3, v5, s1
	v_cndmask_b32_e64 v11, v2, v4, s1
	;; [unrolled: 1-line block ×4, first 2 shown]
	v_cmpx_lt_u32_e64 v9, v16
	s_cbranch_execz .LBB878_274
; %bb.267:
	v_cmp_lt_u32_e64 s22, v8, v15
	s_xor_b32 s0, s12, -1
	s_delay_alu instid0(VALU_DEP_1) | instid1(SALU_CYCLE_1)
	s_and_b32 s0, s22, s0
	s_delay_alu instid0(SALU_CYCLE_1)
	s_and_saveexec_b32 s24, s0
	s_cbranch_execz .LBB878_273
; %bb.268:
	v_mul_lo_u32 v19, v10, s8
	v_mul_lo_u32 v20, v11, s9
	v_mad_u64_u32 v[2:3], null, v11, s8, 0
	v_mul_lo_u32 v21, v17, s8
	v_mul_lo_u32 v37, v18, s9
	v_mad_u64_u32 v[6:7], null, v18, s8, 0
	s_mov_b32 s25, 0
	s_mov_b64 s[20:21], s[8:9]
	s_delay_alu instid0(VALU_DEP_4) | instskip(NEXT) | instid1(VALU_DEP_2)
	v_add3_u32 v3, v3, v20, v19
                                        ; implicit-def: $sgpr26
                                        ; implicit-def: $sgpr27
                                        ; implicit-def: $sgpr28
                                        ; implicit-def: $sgpr29
                                        ; implicit-def: $sgpr30
	v_add3_u32 v7, v7, v37, v21
	s_delay_alu instid0(VALU_DEP_2) | instskip(NEXT) | instid1(VALU_DEP_2)
	v_lshlrev_b64 v[2:3], 2, v[2:3]
	v_lshlrev_b64 v[6:7], 2, v[6:7]
	s_delay_alu instid0(VALU_DEP_2) | instskip(NEXT) | instid1(VALU_DEP_3)
	v_add_co_u32 v2, vcc_lo, s10, v2
	v_add_co_ci_u32_e32 v3, vcc_lo, s11, v3, vcc_lo
	s_delay_alu instid0(VALU_DEP_3) | instskip(NEXT) | instid1(VALU_DEP_4)
	v_add_co_u32 v6, vcc_lo, s10, v6
	v_add_co_ci_u32_e32 v7, vcc_lo, s11, v7, vcc_lo
	s_set_inst_prefetch_distance 0x1
	s_branch .LBB878_270
	.p2align	6
.LBB878_269:                            ;   in Loop: Header=BB878_270 Depth=1
	s_or_b32 exec_lo, exec_lo, s0
	s_delay_alu instid0(SALU_CYCLE_1) | instskip(NEXT) | instid1(SALU_CYCLE_1)
	s_and_b32 s0, exec_lo, s27
	s_or_b32 s25, s0, s25
	s_and_not1_b32 s0, s30, exec_lo
	s_and_b32 s30, s29, exec_lo
	s_and_not1_b32 s26, s26, exec_lo
	s_and_b32 s31, s28, exec_lo
	s_or_b32 s30, s0, s30
	s_or_b32 s26, s26, s31
	s_and_not1_b32 exec_lo, exec_lo, s25
	s_cbranch_execz .LBB878_272
.LBB878_270:                            ; =>This Inner Loop Header: Depth=1
	global_load_b32 v19, v[2:3], off
	global_load_b32 v20, v[6:7], off
	s_and_not1_b32 s28, s28, exec_lo
	s_and_not1_b32 s29, s29, exec_lo
	s_or_b32 s27, s27, exec_lo
	s_waitcnt vmcnt(0)
	v_cmp_ngt_f32_e32 vcc_lo, v19, v20
	v_cmp_lt_f32_e64 s0, v19, v20
	s_and_b32 s31, vcc_lo, s30
	s_delay_alu instid0(VALU_DEP_1) | instid1(SALU_CYCLE_1)
	s_or_b32 s31, s0, s31
	s_delay_alu instid0(SALU_CYCLE_1) | instskip(NEXT) | instid1(SALU_CYCLE_1)
	s_and_b32 s0, s31, exec_lo
	s_or_b32 s28, s28, s0
	s_mov_b32 s0, exec_lo
	v_cmpx_nlg_f32_e32 v19, v20
	s_cbranch_execz .LBB878_269
; %bb.271:                              ;   in Loop: Header=BB878_270 Depth=1
	s_add_u32 s20, s20, -1
	s_addc_u32 s21, s21, -1
	v_add_co_u32 v2, vcc_lo, v2, 4
	s_cmp_eq_u64 s[20:21], 0
	v_add_co_ci_u32_e32 v3, vcc_lo, 0, v3, vcc_lo
	v_add_co_u32 v6, vcc_lo, v6, 4
	s_cselect_b32 s30, -1, 0
	v_add_co_ci_u32_e32 v7, vcc_lo, 0, v7, vcc_lo
	s_and_not1_b32 s29, s29, exec_lo
	s_and_b32 s31, s31, exec_lo
	s_and_not1_b32 s27, s27, exec_lo
	s_and_b32 s30, s30, exec_lo
	s_or_b32 s29, s29, s31
	s_and_not1_b32 s28, s28, exec_lo
	s_or_b32 s27, s27, s30
                                        ; implicit-def: $sgpr30
	s_branch .LBB878_269
.LBB878_272:
	s_set_inst_prefetch_distance 0x2
	s_or_b32 exec_lo, exec_lo, s25
	s_xor_b32 s0, s26, -1
	s_and_not1_b32 s20, s22, exec_lo
	s_and_b32 s0, s0, exec_lo
	s_delay_alu instid0(SALU_CYCLE_1)
	s_or_b32 s22, s20, s0
.LBB878_273:
	s_or_b32 exec_lo, exec_lo, s24
	s_delay_alu instid0(SALU_CYCLE_1)
	s_or_not1_b32 s22, s22, exec_lo
.LBB878_274:
	s_or_b32 exec_lo, exec_lo, s23
	v_cndmask_b32_e64 v2, v9, v8, s22
	v_cndmask_b32_e64 v3, v16, v15, s22
	s_mov_b32 s23, exec_lo
	s_delay_alu instid0(VALU_DEP_2) | instskip(NEXT) | instid1(VALU_DEP_2)
	v_add_nc_u32_e32 v6, 1, v2
	v_add_nc_u32_e32 v2, -1, v3
	s_delay_alu instid0(VALU_DEP_2) | instskip(NEXT) | instid1(VALU_DEP_2)
	v_cndmask_b32_e64 v37, v6, v9, s22
	v_min_u32_e32 v2, v6, v2
	v_cndmask_b32_e64 v19, v8, v6, s22
	s_delay_alu instid0(VALU_DEP_2)
	v_lshlrev_b32_e32 v2, 3, v2
	ds_load_b64 v[2:3], v2
	s_waitcnt lgkmcnt(0)
	v_cndmask_b32_e64 v20, v3, v10, s22
	v_cndmask_b32_e64 v21, v2, v11, s22
	;; [unrolled: 1-line block ×4, first 2 shown]
	v_cmpx_lt_u32_e64 v37, v16
	s_cbranch_execz .LBB878_282
; %bb.275:
	v_cmp_lt_u32_e64 s19, v19, v15
	s_xor_b32 s0, s12, -1
	s_delay_alu instid0(VALU_DEP_1) | instid1(SALU_CYCLE_1)
	s_and_b32 s0, s19, s0
	s_delay_alu instid0(SALU_CYCLE_1)
	s_and_saveexec_b32 s24, s0
	s_cbranch_execz .LBB878_281
; %bb.276:
	v_mul_lo_u32 v8, v20, s8
	v_mul_lo_u32 v9, v21, s9
	v_mad_u64_u32 v[2:3], null, v21, s8, 0
	v_mul_lo_u32 v40, v38, s8
	v_mul_lo_u32 v41, v39, s9
	v_mad_u64_u32 v[6:7], null, v39, s8, 0
	s_mov_b32 s25, 0
	s_mov_b64 s[20:21], s[8:9]
	s_delay_alu instid0(VALU_DEP_4) | instskip(NEXT) | instid1(VALU_DEP_2)
	v_add3_u32 v3, v3, v9, v8
                                        ; implicit-def: $sgpr26
                                        ; implicit-def: $sgpr27
                                        ; implicit-def: $sgpr28
                                        ; implicit-def: $sgpr29
                                        ; implicit-def: $sgpr30
	v_add3_u32 v7, v7, v41, v40
	s_delay_alu instid0(VALU_DEP_2) | instskip(NEXT) | instid1(VALU_DEP_2)
	v_lshlrev_b64 v[2:3], 2, v[2:3]
	v_lshlrev_b64 v[6:7], 2, v[6:7]
	s_delay_alu instid0(VALU_DEP_2) | instskip(NEXT) | instid1(VALU_DEP_3)
	v_add_co_u32 v2, vcc_lo, s10, v2
	v_add_co_ci_u32_e32 v3, vcc_lo, s11, v3, vcc_lo
	s_delay_alu instid0(VALU_DEP_3) | instskip(NEXT) | instid1(VALU_DEP_4)
	v_add_co_u32 v6, vcc_lo, s10, v6
	v_add_co_ci_u32_e32 v7, vcc_lo, s11, v7, vcc_lo
	s_set_inst_prefetch_distance 0x1
	s_branch .LBB878_278
	.p2align	6
.LBB878_277:                            ;   in Loop: Header=BB878_278 Depth=1
	s_or_b32 exec_lo, exec_lo, s0
	s_delay_alu instid0(SALU_CYCLE_1) | instskip(NEXT) | instid1(SALU_CYCLE_1)
	s_and_b32 s0, exec_lo, s27
	s_or_b32 s25, s0, s25
	s_and_not1_b32 s0, s30, exec_lo
	s_and_b32 s30, s29, exec_lo
	s_and_not1_b32 s26, s26, exec_lo
	s_and_b32 s31, s28, exec_lo
	s_or_b32 s30, s0, s30
	s_or_b32 s26, s26, s31
	s_and_not1_b32 exec_lo, exec_lo, s25
	s_cbranch_execz .LBB878_280
.LBB878_278:                            ; =>This Inner Loop Header: Depth=1
	global_load_b32 v8, v[2:3], off
	global_load_b32 v9, v[6:7], off
	s_and_not1_b32 s28, s28, exec_lo
	s_and_not1_b32 s29, s29, exec_lo
	s_or_b32 s27, s27, exec_lo
	s_waitcnt vmcnt(0)
	v_cmp_ngt_f32_e32 vcc_lo, v8, v9
	v_cmp_lt_f32_e64 s0, v8, v9
	s_and_b32 s31, vcc_lo, s30
	s_delay_alu instid0(VALU_DEP_1) | instid1(SALU_CYCLE_1)
	s_or_b32 s31, s0, s31
	s_delay_alu instid0(SALU_CYCLE_1) | instskip(NEXT) | instid1(SALU_CYCLE_1)
	s_and_b32 s0, s31, exec_lo
	s_or_b32 s28, s28, s0
	s_mov_b32 s0, exec_lo
	v_cmpx_nlg_f32_e32 v8, v9
	s_cbranch_execz .LBB878_277
; %bb.279:                              ;   in Loop: Header=BB878_278 Depth=1
	s_add_u32 s20, s20, -1
	s_addc_u32 s21, s21, -1
	v_add_co_u32 v2, vcc_lo, v2, 4
	s_cmp_eq_u64 s[20:21], 0
	v_add_co_ci_u32_e32 v3, vcc_lo, 0, v3, vcc_lo
	v_add_co_u32 v6, vcc_lo, v6, 4
	s_cselect_b32 s30, -1, 0
	v_add_co_ci_u32_e32 v7, vcc_lo, 0, v7, vcc_lo
	s_and_not1_b32 s29, s29, exec_lo
	s_and_b32 s31, s31, exec_lo
	s_and_not1_b32 s27, s27, exec_lo
	s_and_b32 s30, s30, exec_lo
	s_or_b32 s29, s29, s31
	s_and_not1_b32 s28, s28, exec_lo
	s_or_b32 s27, s27, s30
                                        ; implicit-def: $sgpr30
	s_branch .LBB878_277
.LBB878_280:
	s_set_inst_prefetch_distance 0x2
	s_or_b32 exec_lo, exec_lo, s25
	s_xor_b32 s0, s26, -1
	s_and_not1_b32 s19, s19, exec_lo
	s_and_b32 s0, s0, exec_lo
	s_delay_alu instid0(SALU_CYCLE_1)
	s_or_b32 s19, s19, s0
.LBB878_281:
	s_or_b32 exec_lo, exec_lo, s24
	s_delay_alu instid0(SALU_CYCLE_1)
	s_or_not1_b32 s19, s19, exec_lo
.LBB878_282:
	s_or_b32 exec_lo, exec_lo, s23
	v_cndmask_b32_e64 v2, v37, v19, s19
	v_cndmask_b32_e64 v3, v16, v15, s19
	;; [unrolled: 1-line block ×5, first 2 shown]
	v_add_nc_u32_e32 v40, 1, v2
	v_add_nc_u32_e32 v2, -1, v3
	v_cndmask_b32_e64 v3, v10, v17, s22
	v_cndmask_b32_e64 v4, v21, v39, s19
	s_mov_b32 s1, exec_lo
	v_cndmask_b32_e64 v10, v40, v37, s19
	v_min_u32_e32 v2, v40, v2
	s_delay_alu instid0(VALU_DEP_1)
	v_lshlrev_b32_e32 v2, 3, v2
	ds_load_b64 v[8:9], v2
	v_cndmask_b32_e64 v2, v11, v18, s22
	s_waitcnt lgkmcnt(0)
	v_cndmask_b32_e64 v7, v38, v9, s19
	v_cndmask_b32_e64 v6, v39, v8, s19
	v_cmpx_lt_u32_e64 v10, v16
	s_cbranch_execz .LBB878_290
; %bb.283:
	v_cndmask_b32_e64 v10, v19, v40, s19
	v_cndmask_b32_e64 v16, v9, v20, s19
	;; [unrolled: 1-line block ×3, first 2 shown]
	s_delay_alu instid0(VALU_DEP_3) | instskip(NEXT) | instid1(VALU_DEP_2)
	v_cmp_ge_u32_e32 vcc_lo, v10, v15
	v_dual_cndmask_b32 v9, v7, v16 :: v_dual_cndmask_b32 v8, v6, v17
	s_or_b32 s0, vcc_lo, s12
	s_delay_alu instid0(SALU_CYCLE_1) | instskip(NEXT) | instid1(SALU_CYCLE_1)
	s_xor_b32 s0, s0, -1
	s_and_saveexec_b32 s19, s0
	s_cbranch_execz .LBB878_289
; %bb.284:
	v_mul_lo_u32 v15, v16, s8
	v_mul_lo_u32 v18, v17, s9
	v_mad_u64_u32 v[8:9], null, v17, s8, 0
	v_mul_lo_u32 v19, v7, s8
	v_mul_lo_u32 v20, v6, s9
	v_mad_u64_u32 v[10:11], null, v6, s8, 0
	s_mov_b32 s22, 0
	s_mov_b64 s[20:21], s[8:9]
	s_delay_alu instid0(VALU_DEP_4) | instskip(NEXT) | instid1(VALU_DEP_2)
	v_add3_u32 v9, v9, v18, v15
                                        ; implicit-def: $sgpr23
                                        ; implicit-def: $sgpr24
                                        ; implicit-def: $sgpr25
                                        ; implicit-def: $sgpr26
                                        ; implicit-def: $sgpr27
	v_add3_u32 v11, v11, v20, v19
	s_delay_alu instid0(VALU_DEP_2) | instskip(NEXT) | instid1(VALU_DEP_2)
	v_lshlrev_b64 v[8:9], 2, v[8:9]
	v_lshlrev_b64 v[10:11], 2, v[10:11]
	s_delay_alu instid0(VALU_DEP_2) | instskip(NEXT) | instid1(VALU_DEP_3)
	v_add_co_u32 v8, vcc_lo, s10, v8
	v_add_co_ci_u32_e32 v9, vcc_lo, s11, v9, vcc_lo
	s_delay_alu instid0(VALU_DEP_3) | instskip(NEXT) | instid1(VALU_DEP_4)
	v_add_co_u32 v10, vcc_lo, s10, v10
	v_add_co_ci_u32_e32 v11, vcc_lo, s11, v11, vcc_lo
	s_set_inst_prefetch_distance 0x1
	s_branch .LBB878_286
	.p2align	6
.LBB878_285:                            ;   in Loop: Header=BB878_286 Depth=1
	s_or_b32 exec_lo, exec_lo, s0
	s_delay_alu instid0(SALU_CYCLE_1) | instskip(NEXT) | instid1(SALU_CYCLE_1)
	s_and_b32 s0, exec_lo, s24
	s_or_b32 s22, s0, s22
	s_and_not1_b32 s0, s27, exec_lo
	s_and_b32 s27, s26, exec_lo
	s_and_not1_b32 s23, s23, exec_lo
	s_and_b32 s28, s25, exec_lo
	s_or_b32 s27, s0, s27
	s_or_b32 s23, s23, s28
	s_and_not1_b32 exec_lo, exec_lo, s22
	s_cbranch_execz .LBB878_288
.LBB878_286:                            ; =>This Inner Loop Header: Depth=1
	global_load_b32 v15, v[8:9], off
	global_load_b32 v18, v[10:11], off
	s_and_not1_b32 s25, s25, exec_lo
	s_and_not1_b32 s26, s26, exec_lo
	s_or_b32 s24, s24, exec_lo
	s_waitcnt vmcnt(0)
	v_cmp_ngt_f32_e32 vcc_lo, v15, v18
	v_cmp_lt_f32_e64 s0, v15, v18
	s_and_b32 s28, vcc_lo, s27
	s_delay_alu instid0(VALU_DEP_1) | instid1(SALU_CYCLE_1)
	s_or_b32 s28, s0, s28
	s_delay_alu instid0(SALU_CYCLE_1) | instskip(NEXT) | instid1(SALU_CYCLE_1)
	s_and_b32 s0, s28, exec_lo
	s_or_b32 s25, s25, s0
	s_mov_b32 s0, exec_lo
	v_cmpx_nlg_f32_e32 v15, v18
	s_cbranch_execz .LBB878_285
; %bb.287:                              ;   in Loop: Header=BB878_286 Depth=1
	s_add_u32 s20, s20, -1
	s_addc_u32 s21, s21, -1
	v_add_co_u32 v8, vcc_lo, v8, 4
	s_cmp_eq_u64 s[20:21], 0
	v_add_co_ci_u32_e32 v9, vcc_lo, 0, v9, vcc_lo
	v_add_co_u32 v10, vcc_lo, v10, 4
	s_cselect_b32 s27, -1, 0
	v_add_co_ci_u32_e32 v11, vcc_lo, 0, v11, vcc_lo
	s_and_not1_b32 s26, s26, exec_lo
	s_and_b32 s28, s28, exec_lo
	s_and_not1_b32 s24, s24, exec_lo
	s_and_b32 s27, s27, exec_lo
	s_or_b32 s26, s26, s28
	s_and_not1_b32 s25, s25, exec_lo
	s_or_b32 s24, s24, s27
                                        ; implicit-def: $sgpr27
	s_branch .LBB878_285
.LBB878_288:
	s_set_inst_prefetch_distance 0x2
	s_or_b32 exec_lo, exec_lo, s22
	v_cndmask_b32_e64 v9, v7, v16, s23
	v_cndmask_b32_e64 v8, v6, v17, s23
.LBB878_289:
	s_or_b32 exec_lo, exec_lo, s19
	s_delay_alu instid0(VALU_DEP_1)
	v_dual_mov_b32 v6, v8 :: v_dual_mov_b32 v7, v9
.LBB878_290:
	s_or_b32 exec_lo, exec_lo, s1
.LBB878_291:
	s_delay_alu instid0(SALU_CYCLE_1) | instskip(SKIP_4) | instid1(VALU_DEP_2)
	s_or_b32 exec_lo, exec_lo, s17
	v_and_b32_e32 v19, 0xf00, v23
	v_and_b32_e32 v20, 0xfc, v23
	s_mov_b32 s1, exec_lo
	s_barrier
	v_or_b32_e32 v8, 0x80, v19
	v_lshlrev_b32_e32 v18, 3, v19
	buffer_gl0_inv
	ds_store_b128 v14, v[0:3]
	ds_store_b128 v14, v[4:7] offset:16
	s_waitcnt lgkmcnt(0)
	v_min_u32_e32 v9, 0x380, v8
	v_min_u32_e32 v15, 0x400, v8
	s_barrier
	buffer_gl0_inv
	v_add_nc_u32_e32 v16, 0x80, v9
	v_sub_nc_u32_e32 v8, v15, v19
	s_delay_alu instid0(VALU_DEP_2) | instskip(NEXT) | instid1(VALU_DEP_2)
	v_sub_nc_u32_e32 v9, v16, v15
	v_min_u32_e32 v21, v20, v8
	s_delay_alu instid0(VALU_DEP_2) | instskip(NEXT) | instid1(VALU_DEP_1)
	v_sub_nc_u32_e64 v17, v20, v9 clamp
	v_cmpx_lt_u32_e64 v17, v21
	s_cbranch_execz .LBB878_301
; %bb.292:
	v_lshlrev_b32_e32 v8, 3, v20
	s_lshl_b64 s[20:21], s[8:9], 2
	s_mov_b32 s17, 0
	s_delay_alu instid0(VALU_DEP_1)
	v_lshl_add_u32 v37, v15, 3, v8
	s_branch .LBB878_295
.LBB878_293:                            ;   in Loop: Header=BB878_295 Depth=1
	s_set_inst_prefetch_distance 0x2
	s_or_b32 exec_lo, exec_lo, s19
.LBB878_294:                            ;   in Loop: Header=BB878_295 Depth=1
	s_delay_alu instid0(VALU_DEP_1) | instskip(SKIP_1) | instid1(VALU_DEP_2)
	v_add_nc_u32_e32 v8, 1, v38
	v_cndmask_b32_e64 v21, v21, v38, s24
	v_cndmask_b32_e64 v17, v8, v17, s24
	s_delay_alu instid0(VALU_DEP_1) | instskip(SKIP_1) | instid1(SALU_CYCLE_1)
	v_cmp_ge_u32_e32 vcc_lo, v17, v21
	s_or_b32 s17, vcc_lo, s17
	s_and_not1_b32 exec_lo, exec_lo, s17
	s_cbranch_execz .LBB878_300
.LBB878_295:                            ; =>This Loop Header: Depth=1
                                        ;     Child Loop BB878_298 Depth 2
	v_add_nc_u32_e32 v8, v21, v17
	v_cmp_ne_u32_e32 vcc_lo, 1, v36
	s_mov_b32 s24, 0
	s_delay_alu instid0(VALU_DEP_2)
	v_lshrrev_b32_e32 v38, 1, v8
	s_cbranch_vccnz .LBB878_294
; %bb.296:                              ;   in Loop: Header=BB878_295 Depth=1
	s_delay_alu instid0(VALU_DEP_1) | instskip(SKIP_3) | instid1(VALU_DEP_2)
	v_not_b32_e32 v8, v38
	v_lshl_add_u32 v9, v38, 3, v18
	s_mov_b32 s19, 0
	s_mov_b64 s[22:23], s[8:9]
                                        ; implicit-def: $sgpr24
                                        ; implicit-def: $sgpr25
                                        ; implicit-def: $sgpr26
                                        ; implicit-def: $sgpr27
                                        ; implicit-def: $sgpr28
	v_lshl_add_u32 v8, v8, 3, v37
	ds_load_b64 v[10:11], v8
	ds_load_b64 v[39:40], v9
	s_waitcnt lgkmcnt(1)
	v_mul_lo_u32 v41, s20, v11
	v_mul_lo_u32 v42, s21, v10
	v_mad_u64_u32 v[8:9], null, s20, v10, s[10:11]
	s_waitcnt lgkmcnt(0)
	v_mul_lo_u32 v40, s20, v40
	v_mul_lo_u32 v43, s21, v39
	v_mad_u64_u32 v[10:11], null, s20, v39, s[10:11]
	s_delay_alu instid0(VALU_DEP_4) | instskip(NEXT) | instid1(VALU_DEP_2)
	v_add3_u32 v9, v42, v9, v41
	v_add3_u32 v11, v43, v11, v40
	s_set_inst_prefetch_distance 0x1
	s_branch .LBB878_298
	.p2align	6
.LBB878_297:                            ;   in Loop: Header=BB878_298 Depth=2
	s_or_b32 exec_lo, exec_lo, s29
	s_delay_alu instid0(SALU_CYCLE_1) | instskip(NEXT) | instid1(SALU_CYCLE_1)
	s_and_b32 s0, exec_lo, s25
	s_or_b32 s19, s0, s19
	s_and_not1_b32 s0, s28, exec_lo
	s_and_b32 s28, s26, exec_lo
	s_and_not1_b32 s24, s24, exec_lo
	s_and_b32 s29, s27, exec_lo
	s_or_b32 s28, s0, s28
	s_or_b32 s24, s24, s29
	s_and_not1_b32 exec_lo, exec_lo, s19
	s_cbranch_execz .LBB878_293
.LBB878_298:                            ;   Parent Loop BB878_295 Depth=1
                                        ; =>  This Inner Loop Header: Depth=2
	global_load_b32 v39, v[8:9], off
	global_load_b32 v40, v[10:11], off
	s_and_not1_b32 s27, s27, exec_lo
	s_and_not1_b32 s26, s26, exec_lo
	s_or_b32 s25, s25, exec_lo
	s_waitcnt vmcnt(0)
	v_cmp_ngt_f32_e32 vcc_lo, v39, v40
	v_cmp_lt_f32_e64 s0, v39, v40
	s_and_b32 s29, vcc_lo, s28
	s_delay_alu instid0(VALU_DEP_1) | instid1(SALU_CYCLE_1)
	s_or_b32 s0, s0, s29
	s_delay_alu instid0(SALU_CYCLE_1) | instskip(NEXT) | instid1(SALU_CYCLE_1)
	s_and_b32 s29, s0, exec_lo
	s_or_b32 s27, s27, s29
	s_mov_b32 s29, exec_lo
	v_cmpx_nlg_f32_e32 v39, v40
	s_cbranch_execz .LBB878_297
; %bb.299:                              ;   in Loop: Header=BB878_298 Depth=2
	s_add_u32 s22, s22, -1
	s_addc_u32 s23, s23, -1
	v_add_co_u32 v8, vcc_lo, v8, 4
	v_add_co_ci_u32_e32 v9, vcc_lo, 0, v9, vcc_lo
	s_cmp_eq_u64 s[22:23], 0
	v_add_co_u32 v10, vcc_lo, v10, 4
	s_cselect_b32 s28, -1, 0
	v_add_co_ci_u32_e32 v11, vcc_lo, 0, v11, vcc_lo
	s_and_not1_b32 s26, s26, exec_lo
	s_and_b32 s0, s0, exec_lo
	s_and_not1_b32 s25, s25, exec_lo
	s_and_b32 s28, s28, exec_lo
	s_and_not1_b32 s27, s27, exec_lo
	s_or_b32 s26, s26, s0
	s_or_b32 s25, s25, s28
                                        ; implicit-def: $sgpr28
	s_branch .LBB878_297
.LBB878_300:
	s_or_b32 exec_lo, exec_lo, s17
.LBB878_301:
	s_delay_alu instid0(SALU_CYCLE_1) | instskip(SKIP_2) | instid1(VALU_DEP_2)
	s_or_b32 exec_lo, exec_lo, s1
	v_sub_nc_u32_e32 v9, v20, v17
	v_add_nc_u32_e32 v8, v17, v19
	v_add_nc_u32_e32 v9, v9, v15
	s_delay_alu instid0(VALU_DEP_2) | instskip(NEXT) | instid1(VALU_DEP_2)
	v_cmp_le_u32_e32 vcc_lo, v8, v15
	v_cmp_le_u32_e64 s0, v9, v16
	s_delay_alu instid0(VALU_DEP_1) | instskip(NEXT) | instid1(SALU_CYCLE_1)
	s_or_b32 s0, vcc_lo, s0
	s_and_saveexec_b32 s17, s0
	s_cbranch_execz .LBB878_337
; %bb.302:
	v_cmp_ge_u32_e32 vcc_lo, v8, v15
	s_mov_b32 s1, exec_lo
                                        ; implicit-def: $vgpr0_vgpr1
	v_cmpx_lt_u32_e64 v8, v15
	s_cbranch_execz .LBB878_304
; %bb.303:
	v_lshl_add_u32 v0, v17, 3, v18
	ds_load_b64 v[0:1], v0
.LBB878_304:
	s_or_b32 exec_lo, exec_lo, s1
	v_cmp_ge_u32_e64 s0, v9, v16
	s_mov_b32 s19, exec_lo
                                        ; implicit-def: $vgpr4_vgpr5
	v_cmpx_lt_u32_e64 v9, v16
	s_cbranch_execz .LBB878_306
; %bb.305:
	v_lshlrev_b32_e32 v2, 3, v9
	ds_load_b64 v[4:5], v2
.LBB878_306:
	s_or_b32 exec_lo, exec_lo, s19
	s_or_b32 s1, vcc_lo, s0
	s_xor_b32 s19, vcc_lo, -1
	s_or_b32 s1, s1, s12
	s_delay_alu instid0(SALU_CYCLE_1)
	s_xor_b32 s20, s1, -1
	s_or_b32 s1, s0, s19
	s_and_saveexec_b32 s19, s20
	s_cbranch_execz .LBB878_312
; %bb.307:
	s_waitcnt lgkmcnt(0)
	v_mul_lo_u32 v10, v5, s8
	v_mul_lo_u32 v11, v4, s9
	v_mad_u64_u32 v[2:3], null, v4, s8, 0
	v_mul_lo_u32 v17, v1, s8
	v_mul_lo_u32 v18, v0, s9
	v_mad_u64_u32 v[6:7], null, v0, s8, 0
	s_mov_b32 s22, 0
	s_mov_b64 s[20:21], s[8:9]
	s_delay_alu instid0(VALU_DEP_4) | instskip(NEXT) | instid1(VALU_DEP_2)
	v_add3_u32 v3, v3, v11, v10
                                        ; implicit-def: $sgpr23
                                        ; implicit-def: $sgpr24
                                        ; implicit-def: $sgpr25
                                        ; implicit-def: $sgpr26
                                        ; implicit-def: $sgpr27
	v_add3_u32 v7, v7, v18, v17
	s_delay_alu instid0(VALU_DEP_2) | instskip(NEXT) | instid1(VALU_DEP_2)
	v_lshlrev_b64 v[2:3], 2, v[2:3]
	v_lshlrev_b64 v[6:7], 2, v[6:7]
	s_delay_alu instid0(VALU_DEP_2) | instskip(NEXT) | instid1(VALU_DEP_3)
	v_add_co_u32 v2, vcc_lo, s10, v2
	v_add_co_ci_u32_e32 v3, vcc_lo, s11, v3, vcc_lo
	s_delay_alu instid0(VALU_DEP_3) | instskip(NEXT) | instid1(VALU_DEP_4)
	v_add_co_u32 v6, vcc_lo, s10, v6
	v_add_co_ci_u32_e32 v7, vcc_lo, s11, v7, vcc_lo
	s_set_inst_prefetch_distance 0x1
	s_branch .LBB878_309
	.p2align	6
.LBB878_308:                            ;   in Loop: Header=BB878_309 Depth=1
	s_or_b32 exec_lo, exec_lo, s0
	s_delay_alu instid0(SALU_CYCLE_1) | instskip(NEXT) | instid1(SALU_CYCLE_1)
	s_and_b32 s0, exec_lo, s24
	s_or_b32 s22, s0, s22
	s_and_not1_b32 s0, s27, exec_lo
	s_and_b32 s27, s26, exec_lo
	s_and_not1_b32 s23, s23, exec_lo
	s_and_b32 s28, s25, exec_lo
	s_or_b32 s27, s0, s27
	s_or_b32 s23, s23, s28
	s_and_not1_b32 exec_lo, exec_lo, s22
	s_cbranch_execz .LBB878_311
.LBB878_309:                            ; =>This Inner Loop Header: Depth=1
	global_load_b32 v10, v[2:3], off
	global_load_b32 v11, v[6:7], off
	s_and_not1_b32 s25, s25, exec_lo
	s_and_not1_b32 s26, s26, exec_lo
	s_or_b32 s24, s24, exec_lo
	s_waitcnt vmcnt(0)
	v_cmp_ngt_f32_e32 vcc_lo, v10, v11
	v_cmp_lt_f32_e64 s0, v10, v11
	s_and_b32 s28, vcc_lo, s27
	s_delay_alu instid0(VALU_DEP_1) | instid1(SALU_CYCLE_1)
	s_or_b32 s28, s0, s28
	s_delay_alu instid0(SALU_CYCLE_1) | instskip(NEXT) | instid1(SALU_CYCLE_1)
	s_and_b32 s0, s28, exec_lo
	s_or_b32 s25, s25, s0
	s_mov_b32 s0, exec_lo
	v_cmpx_nlg_f32_e32 v10, v11
	s_cbranch_execz .LBB878_308
; %bb.310:                              ;   in Loop: Header=BB878_309 Depth=1
	s_add_u32 s20, s20, -1
	s_addc_u32 s21, s21, -1
	v_add_co_u32 v2, vcc_lo, v2, 4
	s_cmp_eq_u64 s[20:21], 0
	v_add_co_ci_u32_e32 v3, vcc_lo, 0, v3, vcc_lo
	v_add_co_u32 v6, vcc_lo, v6, 4
	s_cselect_b32 s27, -1, 0
	v_add_co_ci_u32_e32 v7, vcc_lo, 0, v7, vcc_lo
	s_and_not1_b32 s26, s26, exec_lo
	s_and_b32 s28, s28, exec_lo
	s_and_not1_b32 s24, s24, exec_lo
	s_and_b32 s27, s27, exec_lo
	s_or_b32 s26, s26, s28
	s_and_not1_b32 s25, s25, exec_lo
	s_or_b32 s24, s24, s27
                                        ; implicit-def: $sgpr27
	s_branch .LBB878_308
.LBB878_311:
	s_set_inst_prefetch_distance 0x2
	s_or_b32 exec_lo, exec_lo, s22
	s_xor_b32 s0, s23, -1
	s_and_not1_b32 s1, s1, exec_lo
	s_and_b32 s0, s0, exec_lo
	s_delay_alu instid0(SALU_CYCLE_1)
	s_or_b32 s1, s1, s0
.LBB878_312:
	s_or_b32 exec_lo, exec_lo, s19
	v_cndmask_b32_e64 v2, v9, v8, s1
	v_cndmask_b32_e64 v3, v16, v15, s1
	s_mov_b32 s19, -1
	s_mov_b32 s22, -1
	s_mov_b32 s23, exec_lo
	v_add_nc_u32_e32 v6, 1, v2
	v_add_nc_u32_e32 v2, -1, v3
	s_delay_alu instid0(VALU_DEP_2) | instskip(NEXT) | instid1(VALU_DEP_2)
	v_cndmask_b32_e64 v9, v6, v9, s1
	v_min_u32_e32 v2, v6, v2
	v_cndmask_b32_e64 v8, v8, v6, s1
	s_delay_alu instid0(VALU_DEP_2)
	v_lshlrev_b32_e32 v2, 3, v2
	ds_load_b64 v[2:3], v2
	s_waitcnt lgkmcnt(0)
	v_cndmask_b32_e64 v10, v3, v5, s1
	v_cndmask_b32_e64 v11, v2, v4, s1
	;; [unrolled: 1-line block ×4, first 2 shown]
	v_cmpx_lt_u32_e64 v9, v16
	s_cbranch_execz .LBB878_320
; %bb.313:
	v_cmp_lt_u32_e64 s22, v8, v15
	s_xor_b32 s0, s12, -1
	s_delay_alu instid0(VALU_DEP_1) | instid1(SALU_CYCLE_1)
	s_and_b32 s0, s22, s0
	s_delay_alu instid0(SALU_CYCLE_1)
	s_and_saveexec_b32 s24, s0
	s_cbranch_execz .LBB878_319
; %bb.314:
	v_mul_lo_u32 v19, v10, s8
	v_mul_lo_u32 v20, v11, s9
	v_mad_u64_u32 v[2:3], null, v11, s8, 0
	v_mul_lo_u32 v21, v17, s8
	v_mul_lo_u32 v37, v18, s9
	v_mad_u64_u32 v[6:7], null, v18, s8, 0
	s_mov_b32 s25, 0
	s_mov_b64 s[20:21], s[8:9]
	s_delay_alu instid0(VALU_DEP_4) | instskip(NEXT) | instid1(VALU_DEP_2)
	v_add3_u32 v3, v3, v20, v19
                                        ; implicit-def: $sgpr26
                                        ; implicit-def: $sgpr27
                                        ; implicit-def: $sgpr28
                                        ; implicit-def: $sgpr29
                                        ; implicit-def: $sgpr30
	v_add3_u32 v7, v7, v37, v21
	s_delay_alu instid0(VALU_DEP_2) | instskip(NEXT) | instid1(VALU_DEP_2)
	v_lshlrev_b64 v[2:3], 2, v[2:3]
	v_lshlrev_b64 v[6:7], 2, v[6:7]
	s_delay_alu instid0(VALU_DEP_2) | instskip(NEXT) | instid1(VALU_DEP_3)
	v_add_co_u32 v2, vcc_lo, s10, v2
	v_add_co_ci_u32_e32 v3, vcc_lo, s11, v3, vcc_lo
	s_delay_alu instid0(VALU_DEP_3) | instskip(NEXT) | instid1(VALU_DEP_4)
	v_add_co_u32 v6, vcc_lo, s10, v6
	v_add_co_ci_u32_e32 v7, vcc_lo, s11, v7, vcc_lo
	s_set_inst_prefetch_distance 0x1
	s_branch .LBB878_316
	.p2align	6
.LBB878_315:                            ;   in Loop: Header=BB878_316 Depth=1
	s_or_b32 exec_lo, exec_lo, s0
	s_delay_alu instid0(SALU_CYCLE_1) | instskip(NEXT) | instid1(SALU_CYCLE_1)
	s_and_b32 s0, exec_lo, s27
	s_or_b32 s25, s0, s25
	s_and_not1_b32 s0, s30, exec_lo
	s_and_b32 s30, s29, exec_lo
	s_and_not1_b32 s26, s26, exec_lo
	s_and_b32 s31, s28, exec_lo
	s_or_b32 s30, s0, s30
	s_or_b32 s26, s26, s31
	s_and_not1_b32 exec_lo, exec_lo, s25
	s_cbranch_execz .LBB878_318
.LBB878_316:                            ; =>This Inner Loop Header: Depth=1
	global_load_b32 v19, v[2:3], off
	global_load_b32 v20, v[6:7], off
	s_and_not1_b32 s28, s28, exec_lo
	s_and_not1_b32 s29, s29, exec_lo
	s_or_b32 s27, s27, exec_lo
	s_waitcnt vmcnt(0)
	v_cmp_ngt_f32_e32 vcc_lo, v19, v20
	v_cmp_lt_f32_e64 s0, v19, v20
	s_and_b32 s31, vcc_lo, s30
	s_delay_alu instid0(VALU_DEP_1) | instid1(SALU_CYCLE_1)
	s_or_b32 s31, s0, s31
	s_delay_alu instid0(SALU_CYCLE_1) | instskip(NEXT) | instid1(SALU_CYCLE_1)
	s_and_b32 s0, s31, exec_lo
	s_or_b32 s28, s28, s0
	s_mov_b32 s0, exec_lo
	v_cmpx_nlg_f32_e32 v19, v20
	s_cbranch_execz .LBB878_315
; %bb.317:                              ;   in Loop: Header=BB878_316 Depth=1
	s_add_u32 s20, s20, -1
	s_addc_u32 s21, s21, -1
	v_add_co_u32 v2, vcc_lo, v2, 4
	s_cmp_eq_u64 s[20:21], 0
	v_add_co_ci_u32_e32 v3, vcc_lo, 0, v3, vcc_lo
	v_add_co_u32 v6, vcc_lo, v6, 4
	s_cselect_b32 s30, -1, 0
	v_add_co_ci_u32_e32 v7, vcc_lo, 0, v7, vcc_lo
	s_and_not1_b32 s29, s29, exec_lo
	s_and_b32 s31, s31, exec_lo
	s_and_not1_b32 s27, s27, exec_lo
	s_and_b32 s30, s30, exec_lo
	s_or_b32 s29, s29, s31
	s_and_not1_b32 s28, s28, exec_lo
	s_or_b32 s27, s27, s30
                                        ; implicit-def: $sgpr30
	s_branch .LBB878_315
.LBB878_318:
	s_set_inst_prefetch_distance 0x2
	s_or_b32 exec_lo, exec_lo, s25
	s_xor_b32 s0, s26, -1
	s_and_not1_b32 s20, s22, exec_lo
	s_and_b32 s0, s0, exec_lo
	s_delay_alu instid0(SALU_CYCLE_1)
	s_or_b32 s22, s20, s0
.LBB878_319:
	s_or_b32 exec_lo, exec_lo, s24
	s_delay_alu instid0(SALU_CYCLE_1)
	s_or_not1_b32 s22, s22, exec_lo
.LBB878_320:
	s_or_b32 exec_lo, exec_lo, s23
	v_cndmask_b32_e64 v2, v9, v8, s22
	v_cndmask_b32_e64 v3, v16, v15, s22
	s_mov_b32 s23, exec_lo
	s_delay_alu instid0(VALU_DEP_2) | instskip(NEXT) | instid1(VALU_DEP_2)
	v_add_nc_u32_e32 v6, 1, v2
	v_add_nc_u32_e32 v2, -1, v3
	s_delay_alu instid0(VALU_DEP_2) | instskip(NEXT) | instid1(VALU_DEP_2)
	v_cndmask_b32_e64 v37, v6, v9, s22
	v_min_u32_e32 v2, v6, v2
	v_cndmask_b32_e64 v19, v8, v6, s22
	s_delay_alu instid0(VALU_DEP_2)
	v_lshlrev_b32_e32 v2, 3, v2
	ds_load_b64 v[2:3], v2
	s_waitcnt lgkmcnt(0)
	v_cndmask_b32_e64 v20, v3, v10, s22
	v_cndmask_b32_e64 v21, v2, v11, s22
	;; [unrolled: 1-line block ×4, first 2 shown]
	v_cmpx_lt_u32_e64 v37, v16
	s_cbranch_execz .LBB878_328
; %bb.321:
	v_cmp_lt_u32_e64 s19, v19, v15
	s_xor_b32 s0, s12, -1
	s_delay_alu instid0(VALU_DEP_1) | instid1(SALU_CYCLE_1)
	s_and_b32 s0, s19, s0
	s_delay_alu instid0(SALU_CYCLE_1)
	s_and_saveexec_b32 s24, s0
	s_cbranch_execz .LBB878_327
; %bb.322:
	v_mul_lo_u32 v8, v20, s8
	v_mul_lo_u32 v9, v21, s9
	v_mad_u64_u32 v[2:3], null, v21, s8, 0
	v_mul_lo_u32 v40, v38, s8
	v_mul_lo_u32 v41, v39, s9
	v_mad_u64_u32 v[6:7], null, v39, s8, 0
	s_mov_b32 s25, 0
	s_mov_b64 s[20:21], s[8:9]
	s_delay_alu instid0(VALU_DEP_4) | instskip(NEXT) | instid1(VALU_DEP_2)
	v_add3_u32 v3, v3, v9, v8
                                        ; implicit-def: $sgpr26
                                        ; implicit-def: $sgpr27
                                        ; implicit-def: $sgpr28
                                        ; implicit-def: $sgpr29
                                        ; implicit-def: $sgpr30
	v_add3_u32 v7, v7, v41, v40
	s_delay_alu instid0(VALU_DEP_2) | instskip(NEXT) | instid1(VALU_DEP_2)
	v_lshlrev_b64 v[2:3], 2, v[2:3]
	v_lshlrev_b64 v[6:7], 2, v[6:7]
	s_delay_alu instid0(VALU_DEP_2) | instskip(NEXT) | instid1(VALU_DEP_3)
	v_add_co_u32 v2, vcc_lo, s10, v2
	v_add_co_ci_u32_e32 v3, vcc_lo, s11, v3, vcc_lo
	s_delay_alu instid0(VALU_DEP_3) | instskip(NEXT) | instid1(VALU_DEP_4)
	v_add_co_u32 v6, vcc_lo, s10, v6
	v_add_co_ci_u32_e32 v7, vcc_lo, s11, v7, vcc_lo
	s_set_inst_prefetch_distance 0x1
	s_branch .LBB878_324
	.p2align	6
.LBB878_323:                            ;   in Loop: Header=BB878_324 Depth=1
	s_or_b32 exec_lo, exec_lo, s0
	s_delay_alu instid0(SALU_CYCLE_1) | instskip(NEXT) | instid1(SALU_CYCLE_1)
	s_and_b32 s0, exec_lo, s27
	s_or_b32 s25, s0, s25
	s_and_not1_b32 s0, s30, exec_lo
	s_and_b32 s30, s29, exec_lo
	s_and_not1_b32 s26, s26, exec_lo
	s_and_b32 s31, s28, exec_lo
	s_or_b32 s30, s0, s30
	s_or_b32 s26, s26, s31
	s_and_not1_b32 exec_lo, exec_lo, s25
	s_cbranch_execz .LBB878_326
.LBB878_324:                            ; =>This Inner Loop Header: Depth=1
	global_load_b32 v8, v[2:3], off
	global_load_b32 v9, v[6:7], off
	s_and_not1_b32 s28, s28, exec_lo
	s_and_not1_b32 s29, s29, exec_lo
	s_or_b32 s27, s27, exec_lo
	s_waitcnt vmcnt(0)
	v_cmp_ngt_f32_e32 vcc_lo, v8, v9
	v_cmp_lt_f32_e64 s0, v8, v9
	s_and_b32 s31, vcc_lo, s30
	s_delay_alu instid0(VALU_DEP_1) | instid1(SALU_CYCLE_1)
	s_or_b32 s31, s0, s31
	s_delay_alu instid0(SALU_CYCLE_1) | instskip(NEXT) | instid1(SALU_CYCLE_1)
	s_and_b32 s0, s31, exec_lo
	s_or_b32 s28, s28, s0
	s_mov_b32 s0, exec_lo
	v_cmpx_nlg_f32_e32 v8, v9
	s_cbranch_execz .LBB878_323
; %bb.325:                              ;   in Loop: Header=BB878_324 Depth=1
	s_add_u32 s20, s20, -1
	s_addc_u32 s21, s21, -1
	v_add_co_u32 v2, vcc_lo, v2, 4
	s_cmp_eq_u64 s[20:21], 0
	v_add_co_ci_u32_e32 v3, vcc_lo, 0, v3, vcc_lo
	v_add_co_u32 v6, vcc_lo, v6, 4
	s_cselect_b32 s30, -1, 0
	v_add_co_ci_u32_e32 v7, vcc_lo, 0, v7, vcc_lo
	s_and_not1_b32 s29, s29, exec_lo
	s_and_b32 s31, s31, exec_lo
	s_and_not1_b32 s27, s27, exec_lo
	s_and_b32 s30, s30, exec_lo
	s_or_b32 s29, s29, s31
	s_and_not1_b32 s28, s28, exec_lo
	s_or_b32 s27, s27, s30
                                        ; implicit-def: $sgpr30
	s_branch .LBB878_323
.LBB878_326:
	s_set_inst_prefetch_distance 0x2
	s_or_b32 exec_lo, exec_lo, s25
	s_xor_b32 s0, s26, -1
	s_and_not1_b32 s19, s19, exec_lo
	s_and_b32 s0, s0, exec_lo
	s_delay_alu instid0(SALU_CYCLE_1)
	s_or_b32 s19, s19, s0
.LBB878_327:
	s_or_b32 exec_lo, exec_lo, s24
	s_delay_alu instid0(SALU_CYCLE_1)
	s_or_not1_b32 s19, s19, exec_lo
.LBB878_328:
	s_or_b32 exec_lo, exec_lo, s23
	v_cndmask_b32_e64 v2, v37, v19, s19
	v_cndmask_b32_e64 v3, v16, v15, s19
	;; [unrolled: 1-line block ×5, first 2 shown]
	v_add_nc_u32_e32 v40, 1, v2
	v_add_nc_u32_e32 v2, -1, v3
	v_cndmask_b32_e64 v3, v10, v17, s22
	v_cndmask_b32_e64 v4, v21, v39, s19
	s_mov_b32 s1, exec_lo
	v_cndmask_b32_e64 v10, v40, v37, s19
	v_min_u32_e32 v2, v40, v2
	s_delay_alu instid0(VALU_DEP_1)
	v_lshlrev_b32_e32 v2, 3, v2
	ds_load_b64 v[8:9], v2
	v_cndmask_b32_e64 v2, v11, v18, s22
	s_waitcnt lgkmcnt(0)
	v_cndmask_b32_e64 v7, v38, v9, s19
	v_cndmask_b32_e64 v6, v39, v8, s19
	v_cmpx_lt_u32_e64 v10, v16
	s_cbranch_execz .LBB878_336
; %bb.329:
	v_cndmask_b32_e64 v10, v19, v40, s19
	v_cndmask_b32_e64 v16, v9, v20, s19
	;; [unrolled: 1-line block ×3, first 2 shown]
	s_delay_alu instid0(VALU_DEP_3) | instskip(NEXT) | instid1(VALU_DEP_2)
	v_cmp_ge_u32_e32 vcc_lo, v10, v15
	v_dual_cndmask_b32 v9, v7, v16 :: v_dual_cndmask_b32 v8, v6, v17
	s_or_b32 s0, vcc_lo, s12
	s_delay_alu instid0(SALU_CYCLE_1) | instskip(NEXT) | instid1(SALU_CYCLE_1)
	s_xor_b32 s0, s0, -1
	s_and_saveexec_b32 s19, s0
	s_cbranch_execz .LBB878_335
; %bb.330:
	v_mul_lo_u32 v15, v16, s8
	v_mul_lo_u32 v18, v17, s9
	v_mad_u64_u32 v[8:9], null, v17, s8, 0
	v_mul_lo_u32 v19, v7, s8
	v_mul_lo_u32 v20, v6, s9
	v_mad_u64_u32 v[10:11], null, v6, s8, 0
	s_mov_b32 s22, 0
	s_mov_b64 s[20:21], s[8:9]
	s_delay_alu instid0(VALU_DEP_4) | instskip(NEXT) | instid1(VALU_DEP_2)
	v_add3_u32 v9, v9, v18, v15
                                        ; implicit-def: $sgpr23
                                        ; implicit-def: $sgpr24
                                        ; implicit-def: $sgpr25
                                        ; implicit-def: $sgpr26
                                        ; implicit-def: $sgpr27
	v_add3_u32 v11, v11, v20, v19
	s_delay_alu instid0(VALU_DEP_2) | instskip(NEXT) | instid1(VALU_DEP_2)
	v_lshlrev_b64 v[8:9], 2, v[8:9]
	v_lshlrev_b64 v[10:11], 2, v[10:11]
	s_delay_alu instid0(VALU_DEP_2) | instskip(NEXT) | instid1(VALU_DEP_3)
	v_add_co_u32 v8, vcc_lo, s10, v8
	v_add_co_ci_u32_e32 v9, vcc_lo, s11, v9, vcc_lo
	s_delay_alu instid0(VALU_DEP_3) | instskip(NEXT) | instid1(VALU_DEP_4)
	v_add_co_u32 v10, vcc_lo, s10, v10
	v_add_co_ci_u32_e32 v11, vcc_lo, s11, v11, vcc_lo
	s_set_inst_prefetch_distance 0x1
	s_branch .LBB878_332
	.p2align	6
.LBB878_331:                            ;   in Loop: Header=BB878_332 Depth=1
	s_or_b32 exec_lo, exec_lo, s0
	s_delay_alu instid0(SALU_CYCLE_1) | instskip(NEXT) | instid1(SALU_CYCLE_1)
	s_and_b32 s0, exec_lo, s24
	s_or_b32 s22, s0, s22
	s_and_not1_b32 s0, s27, exec_lo
	s_and_b32 s27, s26, exec_lo
	s_and_not1_b32 s23, s23, exec_lo
	s_and_b32 s28, s25, exec_lo
	s_or_b32 s27, s0, s27
	s_or_b32 s23, s23, s28
	s_and_not1_b32 exec_lo, exec_lo, s22
	s_cbranch_execz .LBB878_334
.LBB878_332:                            ; =>This Inner Loop Header: Depth=1
	global_load_b32 v15, v[8:9], off
	global_load_b32 v18, v[10:11], off
	s_and_not1_b32 s25, s25, exec_lo
	s_and_not1_b32 s26, s26, exec_lo
	s_or_b32 s24, s24, exec_lo
	s_waitcnt vmcnt(0)
	v_cmp_ngt_f32_e32 vcc_lo, v15, v18
	v_cmp_lt_f32_e64 s0, v15, v18
	s_and_b32 s28, vcc_lo, s27
	s_delay_alu instid0(VALU_DEP_1) | instid1(SALU_CYCLE_1)
	s_or_b32 s28, s0, s28
	s_delay_alu instid0(SALU_CYCLE_1) | instskip(NEXT) | instid1(SALU_CYCLE_1)
	s_and_b32 s0, s28, exec_lo
	s_or_b32 s25, s25, s0
	s_mov_b32 s0, exec_lo
	v_cmpx_nlg_f32_e32 v15, v18
	s_cbranch_execz .LBB878_331
; %bb.333:                              ;   in Loop: Header=BB878_332 Depth=1
	s_add_u32 s20, s20, -1
	s_addc_u32 s21, s21, -1
	v_add_co_u32 v8, vcc_lo, v8, 4
	s_cmp_eq_u64 s[20:21], 0
	v_add_co_ci_u32_e32 v9, vcc_lo, 0, v9, vcc_lo
	v_add_co_u32 v10, vcc_lo, v10, 4
	s_cselect_b32 s27, -1, 0
	v_add_co_ci_u32_e32 v11, vcc_lo, 0, v11, vcc_lo
	s_and_not1_b32 s26, s26, exec_lo
	s_and_b32 s28, s28, exec_lo
	s_and_not1_b32 s24, s24, exec_lo
	s_and_b32 s27, s27, exec_lo
	s_or_b32 s26, s26, s28
	s_and_not1_b32 s25, s25, exec_lo
	s_or_b32 s24, s24, s27
                                        ; implicit-def: $sgpr27
	s_branch .LBB878_331
.LBB878_334:
	s_set_inst_prefetch_distance 0x2
	s_or_b32 exec_lo, exec_lo, s22
	v_cndmask_b32_e64 v9, v7, v16, s23
	v_cndmask_b32_e64 v8, v6, v17, s23
.LBB878_335:
	s_or_b32 exec_lo, exec_lo, s19
	s_delay_alu instid0(VALU_DEP_1)
	v_dual_mov_b32 v6, v8 :: v_dual_mov_b32 v7, v9
.LBB878_336:
	s_or_b32 exec_lo, exec_lo, s1
.LBB878_337:
	s_delay_alu instid0(SALU_CYCLE_1) | instskip(SKIP_4) | instid1(VALU_DEP_2)
	s_or_b32 exec_lo, exec_lo, s17
	v_and_b32_e32 v19, 0xe00, v23
	v_and_b32_e32 v20, 0x1fc, v23
	s_mov_b32 s1, exec_lo
	s_barrier
	v_or_b32_e32 v8, 0x100, v19
	v_lshlrev_b32_e32 v18, 3, v19
	buffer_gl0_inv
	ds_store_b128 v14, v[0:3]
	ds_store_b128 v14, v[4:7] offset:16
	s_waitcnt lgkmcnt(0)
	v_min_u32_e32 v9, 0x300, v8
	v_min_u32_e32 v15, 0x400, v8
	s_barrier
	buffer_gl0_inv
	v_add_nc_u32_e32 v16, 0x100, v9
	v_sub_nc_u32_e32 v8, v15, v19
	s_delay_alu instid0(VALU_DEP_2) | instskip(NEXT) | instid1(VALU_DEP_2)
	v_sub_nc_u32_e32 v9, v16, v15
	v_min_u32_e32 v21, v20, v8
	s_delay_alu instid0(VALU_DEP_2) | instskip(NEXT) | instid1(VALU_DEP_1)
	v_sub_nc_u32_e64 v17, v20, v9 clamp
	v_cmpx_lt_u32_e64 v17, v21
	s_cbranch_execz .LBB878_347
; %bb.338:
	v_lshlrev_b32_e32 v8, 3, v20
	s_lshl_b64 s[20:21], s[8:9], 2
	s_mov_b32 s17, 0
	s_delay_alu instid0(VALU_DEP_1)
	v_lshl_add_u32 v37, v15, 3, v8
	s_branch .LBB878_341
.LBB878_339:                            ;   in Loop: Header=BB878_341 Depth=1
	s_set_inst_prefetch_distance 0x2
	s_or_b32 exec_lo, exec_lo, s19
.LBB878_340:                            ;   in Loop: Header=BB878_341 Depth=1
	s_delay_alu instid0(VALU_DEP_1) | instskip(SKIP_1) | instid1(VALU_DEP_2)
	v_add_nc_u32_e32 v8, 1, v38
	v_cndmask_b32_e64 v21, v21, v38, s24
	v_cndmask_b32_e64 v17, v8, v17, s24
	s_delay_alu instid0(VALU_DEP_1) | instskip(SKIP_1) | instid1(SALU_CYCLE_1)
	v_cmp_ge_u32_e32 vcc_lo, v17, v21
	s_or_b32 s17, vcc_lo, s17
	s_and_not1_b32 exec_lo, exec_lo, s17
	s_cbranch_execz .LBB878_346
.LBB878_341:                            ; =>This Loop Header: Depth=1
                                        ;     Child Loop BB878_344 Depth 2
	v_add_nc_u32_e32 v8, v21, v17
	v_cmp_ne_u32_e32 vcc_lo, 1, v36
	s_mov_b32 s24, 0
	s_delay_alu instid0(VALU_DEP_2)
	v_lshrrev_b32_e32 v38, 1, v8
	s_cbranch_vccnz .LBB878_340
; %bb.342:                              ;   in Loop: Header=BB878_341 Depth=1
	s_delay_alu instid0(VALU_DEP_1) | instskip(SKIP_3) | instid1(VALU_DEP_2)
	v_not_b32_e32 v8, v38
	v_lshl_add_u32 v9, v38, 3, v18
	s_mov_b32 s19, 0
	s_mov_b64 s[22:23], s[8:9]
                                        ; implicit-def: $sgpr24
                                        ; implicit-def: $sgpr25
                                        ; implicit-def: $sgpr26
                                        ; implicit-def: $sgpr27
                                        ; implicit-def: $sgpr28
	v_lshl_add_u32 v8, v8, 3, v37
	ds_load_b64 v[10:11], v8
	ds_load_b64 v[39:40], v9
	s_waitcnt lgkmcnt(1)
	v_mul_lo_u32 v41, s20, v11
	v_mul_lo_u32 v42, s21, v10
	v_mad_u64_u32 v[8:9], null, s20, v10, s[10:11]
	s_waitcnt lgkmcnt(0)
	v_mul_lo_u32 v40, s20, v40
	v_mul_lo_u32 v43, s21, v39
	v_mad_u64_u32 v[10:11], null, s20, v39, s[10:11]
	s_delay_alu instid0(VALU_DEP_4) | instskip(NEXT) | instid1(VALU_DEP_2)
	v_add3_u32 v9, v42, v9, v41
	v_add3_u32 v11, v43, v11, v40
	s_set_inst_prefetch_distance 0x1
	s_branch .LBB878_344
	.p2align	6
.LBB878_343:                            ;   in Loop: Header=BB878_344 Depth=2
	s_or_b32 exec_lo, exec_lo, s29
	s_delay_alu instid0(SALU_CYCLE_1) | instskip(NEXT) | instid1(SALU_CYCLE_1)
	s_and_b32 s0, exec_lo, s25
	s_or_b32 s19, s0, s19
	s_and_not1_b32 s0, s28, exec_lo
	s_and_b32 s28, s26, exec_lo
	s_and_not1_b32 s24, s24, exec_lo
	s_and_b32 s29, s27, exec_lo
	s_or_b32 s28, s0, s28
	s_or_b32 s24, s24, s29
	s_and_not1_b32 exec_lo, exec_lo, s19
	s_cbranch_execz .LBB878_339
.LBB878_344:                            ;   Parent Loop BB878_341 Depth=1
                                        ; =>  This Inner Loop Header: Depth=2
	global_load_b32 v39, v[8:9], off
	global_load_b32 v40, v[10:11], off
	s_and_not1_b32 s27, s27, exec_lo
	s_and_not1_b32 s26, s26, exec_lo
	s_or_b32 s25, s25, exec_lo
	s_waitcnt vmcnt(0)
	v_cmp_ngt_f32_e32 vcc_lo, v39, v40
	v_cmp_lt_f32_e64 s0, v39, v40
	s_and_b32 s29, vcc_lo, s28
	s_delay_alu instid0(VALU_DEP_1) | instid1(SALU_CYCLE_1)
	s_or_b32 s0, s0, s29
	s_delay_alu instid0(SALU_CYCLE_1) | instskip(NEXT) | instid1(SALU_CYCLE_1)
	s_and_b32 s29, s0, exec_lo
	s_or_b32 s27, s27, s29
	s_mov_b32 s29, exec_lo
	v_cmpx_nlg_f32_e32 v39, v40
	s_cbranch_execz .LBB878_343
; %bb.345:                              ;   in Loop: Header=BB878_344 Depth=2
	s_add_u32 s22, s22, -1
	s_addc_u32 s23, s23, -1
	v_add_co_u32 v8, vcc_lo, v8, 4
	v_add_co_ci_u32_e32 v9, vcc_lo, 0, v9, vcc_lo
	s_cmp_eq_u64 s[22:23], 0
	v_add_co_u32 v10, vcc_lo, v10, 4
	s_cselect_b32 s28, -1, 0
	v_add_co_ci_u32_e32 v11, vcc_lo, 0, v11, vcc_lo
	s_and_not1_b32 s26, s26, exec_lo
	s_and_b32 s0, s0, exec_lo
	s_and_not1_b32 s25, s25, exec_lo
	s_and_b32 s28, s28, exec_lo
	s_and_not1_b32 s27, s27, exec_lo
	s_or_b32 s26, s26, s0
	s_or_b32 s25, s25, s28
                                        ; implicit-def: $sgpr28
	s_branch .LBB878_343
.LBB878_346:
	s_or_b32 exec_lo, exec_lo, s17
.LBB878_347:
	s_delay_alu instid0(SALU_CYCLE_1) | instskip(SKIP_2) | instid1(VALU_DEP_2)
	s_or_b32 exec_lo, exec_lo, s1
	v_sub_nc_u32_e32 v9, v20, v17
	v_add_nc_u32_e32 v8, v17, v19
	v_add_nc_u32_e32 v9, v9, v15
	s_delay_alu instid0(VALU_DEP_2) | instskip(NEXT) | instid1(VALU_DEP_2)
	v_cmp_le_u32_e32 vcc_lo, v8, v15
	v_cmp_le_u32_e64 s0, v9, v16
	s_delay_alu instid0(VALU_DEP_1) | instskip(NEXT) | instid1(SALU_CYCLE_1)
	s_or_b32 s0, vcc_lo, s0
	s_and_saveexec_b32 s17, s0
	s_cbranch_execz .LBB878_383
; %bb.348:
	v_cmp_ge_u32_e32 vcc_lo, v8, v15
	s_mov_b32 s1, exec_lo
                                        ; implicit-def: $vgpr0_vgpr1
	v_cmpx_lt_u32_e64 v8, v15
	s_cbranch_execz .LBB878_350
; %bb.349:
	v_lshl_add_u32 v0, v17, 3, v18
	ds_load_b64 v[0:1], v0
.LBB878_350:
	s_or_b32 exec_lo, exec_lo, s1
	v_cmp_ge_u32_e64 s0, v9, v16
	s_mov_b32 s19, exec_lo
                                        ; implicit-def: $vgpr4_vgpr5
	v_cmpx_lt_u32_e64 v9, v16
	s_cbranch_execz .LBB878_352
; %bb.351:
	v_lshlrev_b32_e32 v2, 3, v9
	ds_load_b64 v[4:5], v2
.LBB878_352:
	s_or_b32 exec_lo, exec_lo, s19
	s_or_b32 s1, vcc_lo, s0
	s_xor_b32 s19, vcc_lo, -1
	s_or_b32 s1, s1, s12
	s_delay_alu instid0(SALU_CYCLE_1)
	s_xor_b32 s20, s1, -1
	s_or_b32 s1, s0, s19
	s_and_saveexec_b32 s19, s20
	s_cbranch_execz .LBB878_358
; %bb.353:
	s_waitcnt lgkmcnt(0)
	v_mul_lo_u32 v10, v5, s8
	v_mul_lo_u32 v11, v4, s9
	v_mad_u64_u32 v[2:3], null, v4, s8, 0
	v_mul_lo_u32 v17, v1, s8
	v_mul_lo_u32 v18, v0, s9
	v_mad_u64_u32 v[6:7], null, v0, s8, 0
	s_mov_b32 s22, 0
	s_mov_b64 s[20:21], s[8:9]
	s_delay_alu instid0(VALU_DEP_4) | instskip(NEXT) | instid1(VALU_DEP_2)
	v_add3_u32 v3, v3, v11, v10
                                        ; implicit-def: $sgpr23
                                        ; implicit-def: $sgpr24
                                        ; implicit-def: $sgpr25
                                        ; implicit-def: $sgpr26
                                        ; implicit-def: $sgpr27
	v_add3_u32 v7, v7, v18, v17
	s_delay_alu instid0(VALU_DEP_2) | instskip(NEXT) | instid1(VALU_DEP_2)
	v_lshlrev_b64 v[2:3], 2, v[2:3]
	v_lshlrev_b64 v[6:7], 2, v[6:7]
	s_delay_alu instid0(VALU_DEP_2) | instskip(NEXT) | instid1(VALU_DEP_3)
	v_add_co_u32 v2, vcc_lo, s10, v2
	v_add_co_ci_u32_e32 v3, vcc_lo, s11, v3, vcc_lo
	s_delay_alu instid0(VALU_DEP_3) | instskip(NEXT) | instid1(VALU_DEP_4)
	v_add_co_u32 v6, vcc_lo, s10, v6
	v_add_co_ci_u32_e32 v7, vcc_lo, s11, v7, vcc_lo
	s_set_inst_prefetch_distance 0x1
	s_branch .LBB878_355
	.p2align	6
.LBB878_354:                            ;   in Loop: Header=BB878_355 Depth=1
	s_or_b32 exec_lo, exec_lo, s0
	s_delay_alu instid0(SALU_CYCLE_1) | instskip(NEXT) | instid1(SALU_CYCLE_1)
	s_and_b32 s0, exec_lo, s24
	s_or_b32 s22, s0, s22
	s_and_not1_b32 s0, s27, exec_lo
	s_and_b32 s27, s26, exec_lo
	s_and_not1_b32 s23, s23, exec_lo
	s_and_b32 s28, s25, exec_lo
	s_or_b32 s27, s0, s27
	s_or_b32 s23, s23, s28
	s_and_not1_b32 exec_lo, exec_lo, s22
	s_cbranch_execz .LBB878_357
.LBB878_355:                            ; =>This Inner Loop Header: Depth=1
	global_load_b32 v10, v[2:3], off
	global_load_b32 v11, v[6:7], off
	s_and_not1_b32 s25, s25, exec_lo
	s_and_not1_b32 s26, s26, exec_lo
	s_or_b32 s24, s24, exec_lo
	s_waitcnt vmcnt(0)
	v_cmp_ngt_f32_e32 vcc_lo, v10, v11
	v_cmp_lt_f32_e64 s0, v10, v11
	s_and_b32 s28, vcc_lo, s27
	s_delay_alu instid0(VALU_DEP_1) | instid1(SALU_CYCLE_1)
	s_or_b32 s28, s0, s28
	s_delay_alu instid0(SALU_CYCLE_1) | instskip(NEXT) | instid1(SALU_CYCLE_1)
	s_and_b32 s0, s28, exec_lo
	s_or_b32 s25, s25, s0
	s_mov_b32 s0, exec_lo
	v_cmpx_nlg_f32_e32 v10, v11
	s_cbranch_execz .LBB878_354
; %bb.356:                              ;   in Loop: Header=BB878_355 Depth=1
	s_add_u32 s20, s20, -1
	s_addc_u32 s21, s21, -1
	v_add_co_u32 v2, vcc_lo, v2, 4
	s_cmp_eq_u64 s[20:21], 0
	v_add_co_ci_u32_e32 v3, vcc_lo, 0, v3, vcc_lo
	v_add_co_u32 v6, vcc_lo, v6, 4
	s_cselect_b32 s27, -1, 0
	v_add_co_ci_u32_e32 v7, vcc_lo, 0, v7, vcc_lo
	s_and_not1_b32 s26, s26, exec_lo
	s_and_b32 s28, s28, exec_lo
	s_and_not1_b32 s24, s24, exec_lo
	s_and_b32 s27, s27, exec_lo
	s_or_b32 s26, s26, s28
	s_and_not1_b32 s25, s25, exec_lo
	s_or_b32 s24, s24, s27
                                        ; implicit-def: $sgpr27
	s_branch .LBB878_354
.LBB878_357:
	s_set_inst_prefetch_distance 0x2
	s_or_b32 exec_lo, exec_lo, s22
	s_xor_b32 s0, s23, -1
	s_and_not1_b32 s1, s1, exec_lo
	s_and_b32 s0, s0, exec_lo
	s_delay_alu instid0(SALU_CYCLE_1)
	s_or_b32 s1, s1, s0
.LBB878_358:
	s_or_b32 exec_lo, exec_lo, s19
	v_cndmask_b32_e64 v2, v9, v8, s1
	v_cndmask_b32_e64 v3, v16, v15, s1
	s_mov_b32 s19, -1
	s_mov_b32 s22, -1
	s_mov_b32 s23, exec_lo
	v_add_nc_u32_e32 v6, 1, v2
	v_add_nc_u32_e32 v2, -1, v3
	s_delay_alu instid0(VALU_DEP_2) | instskip(NEXT) | instid1(VALU_DEP_2)
	v_cndmask_b32_e64 v9, v6, v9, s1
	v_min_u32_e32 v2, v6, v2
	v_cndmask_b32_e64 v8, v8, v6, s1
	s_delay_alu instid0(VALU_DEP_2)
	v_lshlrev_b32_e32 v2, 3, v2
	ds_load_b64 v[2:3], v2
	s_waitcnt lgkmcnt(0)
	v_cndmask_b32_e64 v10, v3, v5, s1
	v_cndmask_b32_e64 v11, v2, v4, s1
	;; [unrolled: 1-line block ×4, first 2 shown]
	v_cmpx_lt_u32_e64 v9, v16
	s_cbranch_execz .LBB878_366
; %bb.359:
	v_cmp_lt_u32_e64 s22, v8, v15
	s_xor_b32 s0, s12, -1
	s_delay_alu instid0(VALU_DEP_1) | instid1(SALU_CYCLE_1)
	s_and_b32 s0, s22, s0
	s_delay_alu instid0(SALU_CYCLE_1)
	s_and_saveexec_b32 s24, s0
	s_cbranch_execz .LBB878_365
; %bb.360:
	v_mul_lo_u32 v19, v10, s8
	v_mul_lo_u32 v20, v11, s9
	v_mad_u64_u32 v[2:3], null, v11, s8, 0
	v_mul_lo_u32 v21, v17, s8
	v_mul_lo_u32 v37, v18, s9
	v_mad_u64_u32 v[6:7], null, v18, s8, 0
	s_mov_b32 s25, 0
	s_mov_b64 s[20:21], s[8:9]
	s_delay_alu instid0(VALU_DEP_4) | instskip(NEXT) | instid1(VALU_DEP_2)
	v_add3_u32 v3, v3, v20, v19
                                        ; implicit-def: $sgpr26
                                        ; implicit-def: $sgpr27
                                        ; implicit-def: $sgpr28
                                        ; implicit-def: $sgpr29
                                        ; implicit-def: $sgpr30
	v_add3_u32 v7, v7, v37, v21
	s_delay_alu instid0(VALU_DEP_2) | instskip(NEXT) | instid1(VALU_DEP_2)
	v_lshlrev_b64 v[2:3], 2, v[2:3]
	v_lshlrev_b64 v[6:7], 2, v[6:7]
	s_delay_alu instid0(VALU_DEP_2) | instskip(NEXT) | instid1(VALU_DEP_3)
	v_add_co_u32 v2, vcc_lo, s10, v2
	v_add_co_ci_u32_e32 v3, vcc_lo, s11, v3, vcc_lo
	s_delay_alu instid0(VALU_DEP_3) | instskip(NEXT) | instid1(VALU_DEP_4)
	v_add_co_u32 v6, vcc_lo, s10, v6
	v_add_co_ci_u32_e32 v7, vcc_lo, s11, v7, vcc_lo
	s_set_inst_prefetch_distance 0x1
	s_branch .LBB878_362
	.p2align	6
.LBB878_361:                            ;   in Loop: Header=BB878_362 Depth=1
	s_or_b32 exec_lo, exec_lo, s0
	s_delay_alu instid0(SALU_CYCLE_1) | instskip(NEXT) | instid1(SALU_CYCLE_1)
	s_and_b32 s0, exec_lo, s27
	s_or_b32 s25, s0, s25
	s_and_not1_b32 s0, s30, exec_lo
	s_and_b32 s30, s29, exec_lo
	s_and_not1_b32 s26, s26, exec_lo
	s_and_b32 s31, s28, exec_lo
	s_or_b32 s30, s0, s30
	s_or_b32 s26, s26, s31
	s_and_not1_b32 exec_lo, exec_lo, s25
	s_cbranch_execz .LBB878_364
.LBB878_362:                            ; =>This Inner Loop Header: Depth=1
	global_load_b32 v19, v[2:3], off
	global_load_b32 v20, v[6:7], off
	s_and_not1_b32 s28, s28, exec_lo
	s_and_not1_b32 s29, s29, exec_lo
	s_or_b32 s27, s27, exec_lo
	s_waitcnt vmcnt(0)
	v_cmp_ngt_f32_e32 vcc_lo, v19, v20
	v_cmp_lt_f32_e64 s0, v19, v20
	s_and_b32 s31, vcc_lo, s30
	s_delay_alu instid0(VALU_DEP_1) | instid1(SALU_CYCLE_1)
	s_or_b32 s31, s0, s31
	s_delay_alu instid0(SALU_CYCLE_1) | instskip(NEXT) | instid1(SALU_CYCLE_1)
	s_and_b32 s0, s31, exec_lo
	s_or_b32 s28, s28, s0
	s_mov_b32 s0, exec_lo
	v_cmpx_nlg_f32_e32 v19, v20
	s_cbranch_execz .LBB878_361
; %bb.363:                              ;   in Loop: Header=BB878_362 Depth=1
	s_add_u32 s20, s20, -1
	s_addc_u32 s21, s21, -1
	v_add_co_u32 v2, vcc_lo, v2, 4
	s_cmp_eq_u64 s[20:21], 0
	v_add_co_ci_u32_e32 v3, vcc_lo, 0, v3, vcc_lo
	v_add_co_u32 v6, vcc_lo, v6, 4
	s_cselect_b32 s30, -1, 0
	v_add_co_ci_u32_e32 v7, vcc_lo, 0, v7, vcc_lo
	s_and_not1_b32 s29, s29, exec_lo
	s_and_b32 s31, s31, exec_lo
	s_and_not1_b32 s27, s27, exec_lo
	s_and_b32 s30, s30, exec_lo
	s_or_b32 s29, s29, s31
	s_and_not1_b32 s28, s28, exec_lo
	s_or_b32 s27, s27, s30
                                        ; implicit-def: $sgpr30
	s_branch .LBB878_361
.LBB878_364:
	s_set_inst_prefetch_distance 0x2
	s_or_b32 exec_lo, exec_lo, s25
	s_xor_b32 s0, s26, -1
	s_and_not1_b32 s20, s22, exec_lo
	s_and_b32 s0, s0, exec_lo
	s_delay_alu instid0(SALU_CYCLE_1)
	s_or_b32 s22, s20, s0
.LBB878_365:
	s_or_b32 exec_lo, exec_lo, s24
	s_delay_alu instid0(SALU_CYCLE_1)
	s_or_not1_b32 s22, s22, exec_lo
.LBB878_366:
	s_or_b32 exec_lo, exec_lo, s23
	v_cndmask_b32_e64 v2, v9, v8, s22
	v_cndmask_b32_e64 v3, v16, v15, s22
	s_mov_b32 s23, exec_lo
	s_delay_alu instid0(VALU_DEP_2) | instskip(NEXT) | instid1(VALU_DEP_2)
	v_add_nc_u32_e32 v6, 1, v2
	v_add_nc_u32_e32 v2, -1, v3
	s_delay_alu instid0(VALU_DEP_2) | instskip(NEXT) | instid1(VALU_DEP_2)
	v_cndmask_b32_e64 v37, v6, v9, s22
	v_min_u32_e32 v2, v6, v2
	v_cndmask_b32_e64 v19, v8, v6, s22
	s_delay_alu instid0(VALU_DEP_2)
	v_lshlrev_b32_e32 v2, 3, v2
	ds_load_b64 v[2:3], v2
	s_waitcnt lgkmcnt(0)
	v_cndmask_b32_e64 v20, v3, v10, s22
	v_cndmask_b32_e64 v21, v2, v11, s22
	;; [unrolled: 1-line block ×4, first 2 shown]
	v_cmpx_lt_u32_e64 v37, v16
	s_cbranch_execz .LBB878_374
; %bb.367:
	v_cmp_lt_u32_e64 s19, v19, v15
	s_xor_b32 s0, s12, -1
	s_delay_alu instid0(VALU_DEP_1) | instid1(SALU_CYCLE_1)
	s_and_b32 s0, s19, s0
	s_delay_alu instid0(SALU_CYCLE_1)
	s_and_saveexec_b32 s24, s0
	s_cbranch_execz .LBB878_373
; %bb.368:
	v_mul_lo_u32 v8, v20, s8
	v_mul_lo_u32 v9, v21, s9
	v_mad_u64_u32 v[2:3], null, v21, s8, 0
	v_mul_lo_u32 v40, v38, s8
	v_mul_lo_u32 v41, v39, s9
	v_mad_u64_u32 v[6:7], null, v39, s8, 0
	s_mov_b32 s25, 0
	s_mov_b64 s[20:21], s[8:9]
	s_delay_alu instid0(VALU_DEP_4) | instskip(NEXT) | instid1(VALU_DEP_2)
	v_add3_u32 v3, v3, v9, v8
                                        ; implicit-def: $sgpr26
                                        ; implicit-def: $sgpr27
                                        ; implicit-def: $sgpr28
                                        ; implicit-def: $sgpr29
                                        ; implicit-def: $sgpr30
	v_add3_u32 v7, v7, v41, v40
	s_delay_alu instid0(VALU_DEP_2) | instskip(NEXT) | instid1(VALU_DEP_2)
	v_lshlrev_b64 v[2:3], 2, v[2:3]
	v_lshlrev_b64 v[6:7], 2, v[6:7]
	s_delay_alu instid0(VALU_DEP_2) | instskip(NEXT) | instid1(VALU_DEP_3)
	v_add_co_u32 v2, vcc_lo, s10, v2
	v_add_co_ci_u32_e32 v3, vcc_lo, s11, v3, vcc_lo
	s_delay_alu instid0(VALU_DEP_3) | instskip(NEXT) | instid1(VALU_DEP_4)
	v_add_co_u32 v6, vcc_lo, s10, v6
	v_add_co_ci_u32_e32 v7, vcc_lo, s11, v7, vcc_lo
	s_set_inst_prefetch_distance 0x1
	s_branch .LBB878_370
	.p2align	6
.LBB878_369:                            ;   in Loop: Header=BB878_370 Depth=1
	s_or_b32 exec_lo, exec_lo, s0
	s_delay_alu instid0(SALU_CYCLE_1) | instskip(NEXT) | instid1(SALU_CYCLE_1)
	s_and_b32 s0, exec_lo, s27
	s_or_b32 s25, s0, s25
	s_and_not1_b32 s0, s30, exec_lo
	s_and_b32 s30, s29, exec_lo
	s_and_not1_b32 s26, s26, exec_lo
	s_and_b32 s31, s28, exec_lo
	s_or_b32 s30, s0, s30
	s_or_b32 s26, s26, s31
	s_and_not1_b32 exec_lo, exec_lo, s25
	s_cbranch_execz .LBB878_372
.LBB878_370:                            ; =>This Inner Loop Header: Depth=1
	global_load_b32 v8, v[2:3], off
	global_load_b32 v9, v[6:7], off
	s_and_not1_b32 s28, s28, exec_lo
	s_and_not1_b32 s29, s29, exec_lo
	s_or_b32 s27, s27, exec_lo
	s_waitcnt vmcnt(0)
	v_cmp_ngt_f32_e32 vcc_lo, v8, v9
	v_cmp_lt_f32_e64 s0, v8, v9
	s_and_b32 s31, vcc_lo, s30
	s_delay_alu instid0(VALU_DEP_1) | instid1(SALU_CYCLE_1)
	s_or_b32 s31, s0, s31
	s_delay_alu instid0(SALU_CYCLE_1) | instskip(NEXT) | instid1(SALU_CYCLE_1)
	s_and_b32 s0, s31, exec_lo
	s_or_b32 s28, s28, s0
	s_mov_b32 s0, exec_lo
	v_cmpx_nlg_f32_e32 v8, v9
	s_cbranch_execz .LBB878_369
; %bb.371:                              ;   in Loop: Header=BB878_370 Depth=1
	s_add_u32 s20, s20, -1
	s_addc_u32 s21, s21, -1
	v_add_co_u32 v2, vcc_lo, v2, 4
	s_cmp_eq_u64 s[20:21], 0
	v_add_co_ci_u32_e32 v3, vcc_lo, 0, v3, vcc_lo
	v_add_co_u32 v6, vcc_lo, v6, 4
	s_cselect_b32 s30, -1, 0
	v_add_co_ci_u32_e32 v7, vcc_lo, 0, v7, vcc_lo
	s_and_not1_b32 s29, s29, exec_lo
	s_and_b32 s31, s31, exec_lo
	s_and_not1_b32 s27, s27, exec_lo
	s_and_b32 s30, s30, exec_lo
	s_or_b32 s29, s29, s31
	s_and_not1_b32 s28, s28, exec_lo
	s_or_b32 s27, s27, s30
                                        ; implicit-def: $sgpr30
	s_branch .LBB878_369
.LBB878_372:
	s_set_inst_prefetch_distance 0x2
	s_or_b32 exec_lo, exec_lo, s25
	s_xor_b32 s0, s26, -1
	s_and_not1_b32 s19, s19, exec_lo
	s_and_b32 s0, s0, exec_lo
	s_delay_alu instid0(SALU_CYCLE_1)
	s_or_b32 s19, s19, s0
.LBB878_373:
	s_or_b32 exec_lo, exec_lo, s24
	s_delay_alu instid0(SALU_CYCLE_1)
	s_or_not1_b32 s19, s19, exec_lo
.LBB878_374:
	s_or_b32 exec_lo, exec_lo, s23
	v_cndmask_b32_e64 v2, v37, v19, s19
	v_cndmask_b32_e64 v3, v16, v15, s19
	;; [unrolled: 1-line block ×5, first 2 shown]
	v_add_nc_u32_e32 v40, 1, v2
	v_add_nc_u32_e32 v2, -1, v3
	v_cndmask_b32_e64 v3, v10, v17, s22
	v_cndmask_b32_e64 v4, v21, v39, s19
	s_mov_b32 s1, exec_lo
	v_cndmask_b32_e64 v10, v40, v37, s19
	v_min_u32_e32 v2, v40, v2
	s_delay_alu instid0(VALU_DEP_1)
	v_lshlrev_b32_e32 v2, 3, v2
	ds_load_b64 v[8:9], v2
	v_cndmask_b32_e64 v2, v11, v18, s22
	s_waitcnt lgkmcnt(0)
	v_cndmask_b32_e64 v7, v38, v9, s19
	v_cndmask_b32_e64 v6, v39, v8, s19
	v_cmpx_lt_u32_e64 v10, v16
	s_cbranch_execz .LBB878_382
; %bb.375:
	v_cndmask_b32_e64 v10, v19, v40, s19
	v_cndmask_b32_e64 v16, v9, v20, s19
	;; [unrolled: 1-line block ×3, first 2 shown]
	s_delay_alu instid0(VALU_DEP_3) | instskip(NEXT) | instid1(VALU_DEP_2)
	v_cmp_ge_u32_e32 vcc_lo, v10, v15
	v_dual_cndmask_b32 v9, v7, v16 :: v_dual_cndmask_b32 v8, v6, v17
	s_or_b32 s0, vcc_lo, s12
	s_delay_alu instid0(SALU_CYCLE_1) | instskip(NEXT) | instid1(SALU_CYCLE_1)
	s_xor_b32 s0, s0, -1
	s_and_saveexec_b32 s19, s0
	s_cbranch_execz .LBB878_381
; %bb.376:
	v_mul_lo_u32 v15, v16, s8
	v_mul_lo_u32 v18, v17, s9
	v_mad_u64_u32 v[8:9], null, v17, s8, 0
	v_mul_lo_u32 v19, v7, s8
	v_mul_lo_u32 v20, v6, s9
	v_mad_u64_u32 v[10:11], null, v6, s8, 0
	s_mov_b32 s22, 0
	s_mov_b64 s[20:21], s[8:9]
	s_delay_alu instid0(VALU_DEP_4) | instskip(NEXT) | instid1(VALU_DEP_2)
	v_add3_u32 v9, v9, v18, v15
                                        ; implicit-def: $sgpr23
                                        ; implicit-def: $sgpr24
                                        ; implicit-def: $sgpr25
                                        ; implicit-def: $sgpr26
                                        ; implicit-def: $sgpr27
	v_add3_u32 v11, v11, v20, v19
	s_delay_alu instid0(VALU_DEP_2) | instskip(NEXT) | instid1(VALU_DEP_2)
	v_lshlrev_b64 v[8:9], 2, v[8:9]
	v_lshlrev_b64 v[10:11], 2, v[10:11]
	s_delay_alu instid0(VALU_DEP_2) | instskip(NEXT) | instid1(VALU_DEP_3)
	v_add_co_u32 v8, vcc_lo, s10, v8
	v_add_co_ci_u32_e32 v9, vcc_lo, s11, v9, vcc_lo
	s_delay_alu instid0(VALU_DEP_3) | instskip(NEXT) | instid1(VALU_DEP_4)
	v_add_co_u32 v10, vcc_lo, s10, v10
	v_add_co_ci_u32_e32 v11, vcc_lo, s11, v11, vcc_lo
	s_set_inst_prefetch_distance 0x1
	s_branch .LBB878_378
	.p2align	6
.LBB878_377:                            ;   in Loop: Header=BB878_378 Depth=1
	s_or_b32 exec_lo, exec_lo, s0
	s_delay_alu instid0(SALU_CYCLE_1) | instskip(NEXT) | instid1(SALU_CYCLE_1)
	s_and_b32 s0, exec_lo, s24
	s_or_b32 s22, s0, s22
	s_and_not1_b32 s0, s27, exec_lo
	s_and_b32 s27, s26, exec_lo
	s_and_not1_b32 s23, s23, exec_lo
	s_and_b32 s28, s25, exec_lo
	s_or_b32 s27, s0, s27
	s_or_b32 s23, s23, s28
	s_and_not1_b32 exec_lo, exec_lo, s22
	s_cbranch_execz .LBB878_380
.LBB878_378:                            ; =>This Inner Loop Header: Depth=1
	global_load_b32 v15, v[8:9], off
	global_load_b32 v18, v[10:11], off
	s_and_not1_b32 s25, s25, exec_lo
	s_and_not1_b32 s26, s26, exec_lo
	s_or_b32 s24, s24, exec_lo
	s_waitcnt vmcnt(0)
	v_cmp_ngt_f32_e32 vcc_lo, v15, v18
	v_cmp_lt_f32_e64 s0, v15, v18
	s_and_b32 s28, vcc_lo, s27
	s_delay_alu instid0(VALU_DEP_1) | instid1(SALU_CYCLE_1)
	s_or_b32 s28, s0, s28
	s_delay_alu instid0(SALU_CYCLE_1) | instskip(NEXT) | instid1(SALU_CYCLE_1)
	s_and_b32 s0, s28, exec_lo
	s_or_b32 s25, s25, s0
	s_mov_b32 s0, exec_lo
	v_cmpx_nlg_f32_e32 v15, v18
	s_cbranch_execz .LBB878_377
; %bb.379:                              ;   in Loop: Header=BB878_378 Depth=1
	s_add_u32 s20, s20, -1
	s_addc_u32 s21, s21, -1
	v_add_co_u32 v8, vcc_lo, v8, 4
	s_cmp_eq_u64 s[20:21], 0
	v_add_co_ci_u32_e32 v9, vcc_lo, 0, v9, vcc_lo
	v_add_co_u32 v10, vcc_lo, v10, 4
	s_cselect_b32 s27, -1, 0
	v_add_co_ci_u32_e32 v11, vcc_lo, 0, v11, vcc_lo
	s_and_not1_b32 s26, s26, exec_lo
	s_and_b32 s28, s28, exec_lo
	s_and_not1_b32 s24, s24, exec_lo
	s_and_b32 s27, s27, exec_lo
	s_or_b32 s26, s26, s28
	s_and_not1_b32 s25, s25, exec_lo
	s_or_b32 s24, s24, s27
                                        ; implicit-def: $sgpr27
	s_branch .LBB878_377
.LBB878_380:
	s_set_inst_prefetch_distance 0x2
	s_or_b32 exec_lo, exec_lo, s22
	v_cndmask_b32_e64 v9, v7, v16, s23
	v_cndmask_b32_e64 v8, v6, v17, s23
.LBB878_381:
	s_or_b32 exec_lo, exec_lo, s19
	s_delay_alu instid0(VALU_DEP_1)
	v_dual_mov_b32 v6, v8 :: v_dual_mov_b32 v7, v9
.LBB878_382:
	s_or_b32 exec_lo, exec_lo, s1
.LBB878_383:
	s_delay_alu instid0(SALU_CYCLE_1) | instskip(SKIP_4) | instid1(VALU_DEP_2)
	s_or_b32 exec_lo, exec_lo, s17
	v_and_b32_e32 v18, 0xc00, v23
	v_and_b32_e32 v19, 0x3fc, v23
	s_mov_b32 s1, exec_lo
	s_barrier
	v_or_b32_e32 v8, 0x200, v18
	v_lshlrev_b32_e32 v17, 3, v18
	buffer_gl0_inv
	ds_store_b128 v14, v[0:3]
	ds_store_b128 v14, v[4:7] offset:16
	s_waitcnt lgkmcnt(0)
	v_min_u32_e32 v15, 0x400, v8
	s_barrier
	buffer_gl0_inv
	v_sub_nc_u32_e32 v8, 0x400, v15
	v_sub_nc_u32_e32 v9, v15, v18
	s_delay_alu instid0(VALU_DEP_2) | instskip(NEXT) | instid1(VALU_DEP_2)
	v_sub_nc_u32_e64 v16, v19, v8 clamp
	v_min_u32_e32 v20, v19, v9
	s_delay_alu instid0(VALU_DEP_1)
	v_cmpx_lt_u32_e64 v16, v20
	s_cbranch_execz .LBB878_393
; %bb.384:
	v_lshlrev_b32_e32 v8, 3, v19
	s_lshl_b64 s[20:21], s[8:9], 2
	s_mov_b32 s17, 0
	s_delay_alu instid0(VALU_DEP_1)
	v_lshl_add_u32 v14, v15, 3, v8
	s_branch .LBB878_387
.LBB878_385:                            ;   in Loop: Header=BB878_387 Depth=1
	s_set_inst_prefetch_distance 0x2
	s_or_b32 exec_lo, exec_lo, s19
.LBB878_386:                            ;   in Loop: Header=BB878_387 Depth=1
	s_delay_alu instid0(VALU_DEP_1) | instskip(SKIP_1) | instid1(VALU_DEP_2)
	v_add_nc_u32_e32 v8, 1, v21
	v_cndmask_b32_e64 v20, v20, v21, s24
	v_cndmask_b32_e64 v16, v8, v16, s24
	s_delay_alu instid0(VALU_DEP_1) | instskip(SKIP_1) | instid1(SALU_CYCLE_1)
	v_cmp_ge_u32_e32 vcc_lo, v16, v20
	s_or_b32 s17, vcc_lo, s17
	s_and_not1_b32 exec_lo, exec_lo, s17
	s_cbranch_execz .LBB878_392
.LBB878_387:                            ; =>This Loop Header: Depth=1
                                        ;     Child Loop BB878_390 Depth 2
	v_add_nc_u32_e32 v8, v20, v16
	v_cmp_ne_u32_e32 vcc_lo, 1, v36
	s_mov_b32 s24, 0
	s_delay_alu instid0(VALU_DEP_2)
	v_lshrrev_b32_e32 v21, 1, v8
	s_cbranch_vccnz .LBB878_386
; %bb.388:                              ;   in Loop: Header=BB878_387 Depth=1
	s_delay_alu instid0(VALU_DEP_1) | instskip(SKIP_3) | instid1(VALU_DEP_2)
	v_not_b32_e32 v8, v21
	v_lshl_add_u32 v9, v21, 3, v17
	s_mov_b32 s19, 0
	s_mov_b64 s[22:23], s[8:9]
                                        ; implicit-def: $sgpr24
                                        ; implicit-def: $sgpr25
                                        ; implicit-def: $sgpr26
                                        ; implicit-def: $sgpr27
                                        ; implicit-def: $sgpr28
	v_lshl_add_u32 v8, v8, 3, v14
	ds_load_b64 v[10:11], v8
	ds_load_b64 v[37:38], v9
	s_waitcnt lgkmcnt(1)
	v_mul_lo_u32 v39, s20, v11
	v_mul_lo_u32 v40, s21, v10
	v_mad_u64_u32 v[8:9], null, s20, v10, s[10:11]
	s_waitcnt lgkmcnt(0)
	v_mul_lo_u32 v38, s20, v38
	v_mul_lo_u32 v41, s21, v37
	v_mad_u64_u32 v[10:11], null, s20, v37, s[10:11]
	s_delay_alu instid0(VALU_DEP_4) | instskip(NEXT) | instid1(VALU_DEP_2)
	v_add3_u32 v9, v40, v9, v39
	v_add3_u32 v11, v41, v11, v38
	s_set_inst_prefetch_distance 0x1
	s_branch .LBB878_390
	.p2align	6
.LBB878_389:                            ;   in Loop: Header=BB878_390 Depth=2
	s_or_b32 exec_lo, exec_lo, s29
	s_delay_alu instid0(SALU_CYCLE_1) | instskip(NEXT) | instid1(SALU_CYCLE_1)
	s_and_b32 s0, exec_lo, s25
	s_or_b32 s19, s0, s19
	s_and_not1_b32 s0, s28, exec_lo
	s_and_b32 s28, s26, exec_lo
	s_and_not1_b32 s24, s24, exec_lo
	s_and_b32 s29, s27, exec_lo
	s_or_b32 s28, s0, s28
	s_or_b32 s24, s24, s29
	s_and_not1_b32 exec_lo, exec_lo, s19
	s_cbranch_execz .LBB878_385
.LBB878_390:                            ;   Parent Loop BB878_387 Depth=1
                                        ; =>  This Inner Loop Header: Depth=2
	global_load_b32 v37, v[8:9], off
	global_load_b32 v38, v[10:11], off
	s_and_not1_b32 s27, s27, exec_lo
	s_and_not1_b32 s26, s26, exec_lo
	s_or_b32 s25, s25, exec_lo
	s_waitcnt vmcnt(0)
	v_cmp_ngt_f32_e32 vcc_lo, v37, v38
	v_cmp_lt_f32_e64 s0, v37, v38
	s_and_b32 s29, vcc_lo, s28
	s_delay_alu instid0(VALU_DEP_1) | instid1(SALU_CYCLE_1)
	s_or_b32 s0, s0, s29
	s_delay_alu instid0(SALU_CYCLE_1) | instskip(NEXT) | instid1(SALU_CYCLE_1)
	s_and_b32 s29, s0, exec_lo
	s_or_b32 s27, s27, s29
	s_mov_b32 s29, exec_lo
	v_cmpx_nlg_f32_e32 v37, v38
	s_cbranch_execz .LBB878_389
; %bb.391:                              ;   in Loop: Header=BB878_390 Depth=2
	s_add_u32 s22, s22, -1
	s_addc_u32 s23, s23, -1
	v_add_co_u32 v8, vcc_lo, v8, 4
	v_add_co_ci_u32_e32 v9, vcc_lo, 0, v9, vcc_lo
	s_cmp_eq_u64 s[22:23], 0
	v_add_co_u32 v10, vcc_lo, v10, 4
	s_cselect_b32 s28, -1, 0
	v_add_co_ci_u32_e32 v11, vcc_lo, 0, v11, vcc_lo
	s_and_not1_b32 s26, s26, exec_lo
	s_and_b32 s0, s0, exec_lo
	s_and_not1_b32 s25, s25, exec_lo
	s_and_b32 s28, s28, exec_lo
	s_and_not1_b32 s27, s27, exec_lo
	s_or_b32 s26, s26, s0
	s_or_b32 s25, s25, s28
                                        ; implicit-def: $sgpr28
	s_branch .LBB878_389
.LBB878_392:
	s_or_b32 exec_lo, exec_lo, s17
.LBB878_393:
	s_delay_alu instid0(SALU_CYCLE_1) | instskip(SKIP_2) | instid1(VALU_DEP_2)
	s_or_b32 exec_lo, exec_lo, s1
	v_sub_nc_u32_e32 v8, v19, v16
	v_add_nc_u32_e32 v9, v16, v18
	v_add_nc_u32_e32 v10, v8, v15
	s_delay_alu instid0(VALU_DEP_2) | instskip(NEXT) | instid1(VALU_DEP_2)
	v_cmp_le_u32_e32 vcc_lo, v9, v15
	v_cmp_gt_u32_e64 s0, 0x401, v10
	s_delay_alu instid0(VALU_DEP_1) | instskip(NEXT) | instid1(SALU_CYCLE_1)
	s_or_b32 s0, vcc_lo, s0
	s_and_saveexec_b32 s17, s0
	s_cbranch_execz .LBB878_429
; %bb.394:
	v_cmp_ge_u32_e32 vcc_lo, v9, v15
	s_mov_b32 s1, exec_lo
                                        ; implicit-def: $vgpr0_vgpr1
	v_cmpx_lt_u32_e64 v9, v15
	s_cbranch_execz .LBB878_396
; %bb.395:
	v_lshl_add_u32 v0, v16, 3, v17
	ds_load_b64 v[0:1], v0
.LBB878_396:
	s_or_b32 exec_lo, exec_lo, s1
	v_cmp_lt_u32_e64 s0, 0x3ff, v10
	s_mov_b32 s19, exec_lo
                                        ; implicit-def: $vgpr4_vgpr5
	v_cmpx_gt_u32_e32 0x400, v10
	s_cbranch_execz .LBB878_398
; %bb.397:
	v_lshlrev_b32_e32 v2, 3, v10
	ds_load_b64 v[4:5], v2
.LBB878_398:
	s_or_b32 exec_lo, exec_lo, s19
	s_or_b32 s1, vcc_lo, s0
	s_xor_b32 s19, vcc_lo, -1
	s_or_b32 s1, s1, s12
	s_delay_alu instid0(SALU_CYCLE_1)
	s_xor_b32 s20, s1, -1
	s_or_b32 s1, s0, s19
	s_and_saveexec_b32 s19, s20
	s_cbranch_execz .LBB878_404
; %bb.399:
	s_waitcnt lgkmcnt(0)
	v_mul_lo_u32 v8, v5, s8
	v_mul_lo_u32 v11, v4, s9
	v_mad_u64_u32 v[2:3], null, v4, s8, 0
	v_mul_lo_u32 v14, v1, s8
	v_mul_lo_u32 v16, v0, s9
	v_mad_u64_u32 v[6:7], null, v0, s8, 0
	s_mov_b32 s22, 0
	s_mov_b64 s[20:21], s[8:9]
	s_delay_alu instid0(VALU_DEP_4) | instskip(NEXT) | instid1(VALU_DEP_2)
	v_add3_u32 v3, v3, v11, v8
                                        ; implicit-def: $sgpr23
                                        ; implicit-def: $sgpr24
                                        ; implicit-def: $sgpr25
                                        ; implicit-def: $sgpr26
                                        ; implicit-def: $sgpr27
	v_add3_u32 v7, v7, v16, v14
	s_delay_alu instid0(VALU_DEP_2) | instskip(NEXT) | instid1(VALU_DEP_2)
	v_lshlrev_b64 v[2:3], 2, v[2:3]
	v_lshlrev_b64 v[6:7], 2, v[6:7]
	s_delay_alu instid0(VALU_DEP_2) | instskip(NEXT) | instid1(VALU_DEP_3)
	v_add_co_u32 v2, vcc_lo, s10, v2
	v_add_co_ci_u32_e32 v3, vcc_lo, s11, v3, vcc_lo
	s_delay_alu instid0(VALU_DEP_3) | instskip(NEXT) | instid1(VALU_DEP_4)
	v_add_co_u32 v6, vcc_lo, s10, v6
	v_add_co_ci_u32_e32 v7, vcc_lo, s11, v7, vcc_lo
	s_set_inst_prefetch_distance 0x1
	s_branch .LBB878_401
	.p2align	6
.LBB878_400:                            ;   in Loop: Header=BB878_401 Depth=1
	s_or_b32 exec_lo, exec_lo, s0
	s_delay_alu instid0(SALU_CYCLE_1) | instskip(NEXT) | instid1(SALU_CYCLE_1)
	s_and_b32 s0, exec_lo, s24
	s_or_b32 s22, s0, s22
	s_and_not1_b32 s0, s27, exec_lo
	s_and_b32 s27, s26, exec_lo
	s_and_not1_b32 s23, s23, exec_lo
	s_and_b32 s28, s25, exec_lo
	s_or_b32 s27, s0, s27
	s_or_b32 s23, s23, s28
	s_and_not1_b32 exec_lo, exec_lo, s22
	s_cbranch_execz .LBB878_403
.LBB878_401:                            ; =>This Inner Loop Header: Depth=1
	global_load_b32 v8, v[2:3], off
	global_load_b32 v11, v[6:7], off
	s_and_not1_b32 s25, s25, exec_lo
	s_and_not1_b32 s26, s26, exec_lo
	s_or_b32 s24, s24, exec_lo
	s_waitcnt vmcnt(0)
	v_cmp_ngt_f32_e32 vcc_lo, v8, v11
	v_cmp_lt_f32_e64 s0, v8, v11
	s_and_b32 s28, vcc_lo, s27
	s_delay_alu instid0(VALU_DEP_1) | instid1(SALU_CYCLE_1)
	s_or_b32 s28, s0, s28
	s_delay_alu instid0(SALU_CYCLE_1) | instskip(NEXT) | instid1(SALU_CYCLE_1)
	s_and_b32 s0, s28, exec_lo
	s_or_b32 s25, s25, s0
	s_mov_b32 s0, exec_lo
	v_cmpx_nlg_f32_e32 v8, v11
	s_cbranch_execz .LBB878_400
; %bb.402:                              ;   in Loop: Header=BB878_401 Depth=1
	s_add_u32 s20, s20, -1
	s_addc_u32 s21, s21, -1
	v_add_co_u32 v2, vcc_lo, v2, 4
	s_cmp_eq_u64 s[20:21], 0
	v_add_co_ci_u32_e32 v3, vcc_lo, 0, v3, vcc_lo
	v_add_co_u32 v6, vcc_lo, v6, 4
	s_cselect_b32 s27, -1, 0
	v_add_co_ci_u32_e32 v7, vcc_lo, 0, v7, vcc_lo
	s_and_not1_b32 s26, s26, exec_lo
	s_and_b32 s28, s28, exec_lo
	s_and_not1_b32 s24, s24, exec_lo
	s_and_b32 s27, s27, exec_lo
	s_or_b32 s26, s26, s28
	s_and_not1_b32 s25, s25, exec_lo
	s_or_b32 s24, s24, s27
                                        ; implicit-def: $sgpr27
	s_branch .LBB878_400
.LBB878_403:
	s_set_inst_prefetch_distance 0x2
	s_or_b32 exec_lo, exec_lo, s22
	s_xor_b32 s0, s23, -1
	s_and_not1_b32 s1, s1, exec_lo
	s_and_b32 s0, s0, exec_lo
	s_delay_alu instid0(SALU_CYCLE_1)
	s_or_b32 s1, s1, s0
.LBB878_404:
	s_or_b32 exec_lo, exec_lo, s19
	v_cndmask_b32_e64 v2, v10, v9, s1
	v_add_nc_u32_e32 v8, -1, v15
	s_mov_b32 s19, -1
	s_mov_b32 s22, -1
	s_mov_b32 s23, exec_lo
	v_add_nc_u32_e32 v6, 1, v2
	v_cndmask_b32_e64 v2, 0x3ff, v8, s1
	s_delay_alu instid0(VALU_DEP_2) | instskip(NEXT) | instid1(VALU_DEP_2)
	v_cndmask_b32_e64 v17, v6, v10, s1
	v_min_u32_e32 v2, v6, v2
	v_cndmask_b32_e64 v9, v9, v6, s1
	s_delay_alu instid0(VALU_DEP_2)
	v_lshlrev_b32_e32 v2, 3, v2
	ds_load_b64 v[2:3], v2
	s_waitcnt lgkmcnt(0)
	v_cndmask_b32_e64 v10, v3, v5, s1
	v_cndmask_b32_e64 v11, v2, v4, s1
	;; [unrolled: 1-line block ×4, first 2 shown]
	v_cmpx_gt_u32_e32 0x400, v17
	s_cbranch_execz .LBB878_412
; %bb.405:
	v_cmp_lt_u32_e64 s22, v9, v15
	s_xor_b32 s0, s12, -1
	s_delay_alu instid0(VALU_DEP_1) | instid1(SALU_CYCLE_1)
	s_and_b32 s0, s22, s0
	s_delay_alu instid0(SALU_CYCLE_1)
	s_and_saveexec_b32 s24, s0
	s_cbranch_execz .LBB878_411
; %bb.406:
	v_mul_lo_u32 v18, v10, s8
	v_mul_lo_u32 v19, v11, s9
	v_mad_u64_u32 v[2:3], null, v11, s8, 0
	v_mul_lo_u32 v20, v14, s8
	v_mul_lo_u32 v21, v16, s9
	v_mad_u64_u32 v[6:7], null, v16, s8, 0
	s_mov_b32 s25, 0
	s_mov_b64 s[20:21], s[8:9]
	s_delay_alu instid0(VALU_DEP_4) | instskip(NEXT) | instid1(VALU_DEP_2)
	v_add3_u32 v3, v3, v19, v18
                                        ; implicit-def: $sgpr26
                                        ; implicit-def: $sgpr27
                                        ; implicit-def: $sgpr28
                                        ; implicit-def: $sgpr29
                                        ; implicit-def: $sgpr30
	v_add3_u32 v7, v7, v21, v20
	s_delay_alu instid0(VALU_DEP_2) | instskip(NEXT) | instid1(VALU_DEP_2)
	v_lshlrev_b64 v[2:3], 2, v[2:3]
	v_lshlrev_b64 v[6:7], 2, v[6:7]
	s_delay_alu instid0(VALU_DEP_2) | instskip(NEXT) | instid1(VALU_DEP_3)
	v_add_co_u32 v2, vcc_lo, s10, v2
	v_add_co_ci_u32_e32 v3, vcc_lo, s11, v3, vcc_lo
	s_delay_alu instid0(VALU_DEP_3) | instskip(NEXT) | instid1(VALU_DEP_4)
	v_add_co_u32 v6, vcc_lo, s10, v6
	v_add_co_ci_u32_e32 v7, vcc_lo, s11, v7, vcc_lo
	s_set_inst_prefetch_distance 0x1
	s_branch .LBB878_408
	.p2align	6
.LBB878_407:                            ;   in Loop: Header=BB878_408 Depth=1
	s_or_b32 exec_lo, exec_lo, s0
	s_delay_alu instid0(SALU_CYCLE_1) | instskip(NEXT) | instid1(SALU_CYCLE_1)
	s_and_b32 s0, exec_lo, s27
	s_or_b32 s25, s0, s25
	s_and_not1_b32 s0, s30, exec_lo
	s_and_b32 s30, s29, exec_lo
	s_and_not1_b32 s26, s26, exec_lo
	s_and_b32 s31, s28, exec_lo
	s_or_b32 s30, s0, s30
	s_or_b32 s26, s26, s31
	s_and_not1_b32 exec_lo, exec_lo, s25
	s_cbranch_execz .LBB878_410
.LBB878_408:                            ; =>This Inner Loop Header: Depth=1
	global_load_b32 v18, v[2:3], off
	global_load_b32 v19, v[6:7], off
	s_and_not1_b32 s28, s28, exec_lo
	s_and_not1_b32 s29, s29, exec_lo
	s_or_b32 s27, s27, exec_lo
	s_waitcnt vmcnt(0)
	v_cmp_ngt_f32_e32 vcc_lo, v18, v19
	v_cmp_lt_f32_e64 s0, v18, v19
	s_and_b32 s31, vcc_lo, s30
	s_delay_alu instid0(VALU_DEP_1) | instid1(SALU_CYCLE_1)
	s_or_b32 s31, s0, s31
	s_delay_alu instid0(SALU_CYCLE_1) | instskip(NEXT) | instid1(SALU_CYCLE_1)
	s_and_b32 s0, s31, exec_lo
	s_or_b32 s28, s28, s0
	s_mov_b32 s0, exec_lo
	v_cmpx_nlg_f32_e32 v18, v19
	s_cbranch_execz .LBB878_407
; %bb.409:                              ;   in Loop: Header=BB878_408 Depth=1
	s_add_u32 s20, s20, -1
	s_addc_u32 s21, s21, -1
	v_add_co_u32 v2, vcc_lo, v2, 4
	s_cmp_eq_u64 s[20:21], 0
	v_add_co_ci_u32_e32 v3, vcc_lo, 0, v3, vcc_lo
	v_add_co_u32 v6, vcc_lo, v6, 4
	s_cselect_b32 s30, -1, 0
	v_add_co_ci_u32_e32 v7, vcc_lo, 0, v7, vcc_lo
	s_and_not1_b32 s29, s29, exec_lo
	s_and_b32 s31, s31, exec_lo
	s_and_not1_b32 s27, s27, exec_lo
	s_and_b32 s30, s30, exec_lo
	s_or_b32 s29, s29, s31
	s_and_not1_b32 s28, s28, exec_lo
	s_or_b32 s27, s27, s30
                                        ; implicit-def: $sgpr30
	s_branch .LBB878_407
.LBB878_410:
	s_set_inst_prefetch_distance 0x2
	s_or_b32 exec_lo, exec_lo, s25
	s_xor_b32 s0, s26, -1
	s_and_not1_b32 s20, s22, exec_lo
	s_and_b32 s0, s0, exec_lo
	s_delay_alu instid0(SALU_CYCLE_1)
	s_or_b32 s22, s20, s0
.LBB878_411:
	s_or_b32 exec_lo, exec_lo, s24
	s_delay_alu instid0(SALU_CYCLE_1)
	s_or_not1_b32 s22, s22, exec_lo
.LBB878_412:
	s_or_b32 exec_lo, exec_lo, s23
	v_cndmask_b32_e64 v2, v17, v9, s22
	v_cndmask_b32_e64 v3, 0x3ff, v8, s22
	s_mov_b32 s23, exec_lo
	s_delay_alu instid0(VALU_DEP_2) | instskip(NEXT) | instid1(VALU_DEP_1)
	v_add_nc_u32_e32 v6, 1, v2
	v_min_u32_e32 v2, v6, v3
	v_cndmask_b32_e64 v20, v6, v17, s22
	v_cndmask_b32_e64 v17, v9, v6, s22
	s_delay_alu instid0(VALU_DEP_3)
	v_lshlrev_b32_e32 v2, 3, v2
	ds_load_b64 v[2:3], v2
	s_waitcnt lgkmcnt(0)
	v_cndmask_b32_e64 v18, v3, v10, s22
	v_cndmask_b32_e64 v19, v2, v11, s22
	;; [unrolled: 1-line block ×4, first 2 shown]
	v_cmpx_gt_u32_e32 0x400, v20
	s_cbranch_execz .LBB878_420
; %bb.413:
	v_cmp_lt_u32_e64 s19, v17, v15
	s_xor_b32 s0, s12, -1
	s_delay_alu instid0(VALU_DEP_1) | instid1(SALU_CYCLE_1)
	s_and_b32 s0, s19, s0
	s_delay_alu instid0(SALU_CYCLE_1)
	s_and_saveexec_b32 s24, s0
	s_cbranch_execz .LBB878_419
; %bb.414:
	v_mul_lo_u32 v9, v18, s8
	v_mul_lo_u32 v37, v19, s9
	v_mad_u64_u32 v[2:3], null, v19, s8, 0
	v_mul_lo_u32 v38, v21, s8
	v_mul_lo_u32 v39, v36, s9
	v_mad_u64_u32 v[6:7], null, v36, s8, 0
	s_mov_b32 s25, 0
	s_mov_b64 s[20:21], s[8:9]
	s_delay_alu instid0(VALU_DEP_4) | instskip(NEXT) | instid1(VALU_DEP_2)
	v_add3_u32 v3, v3, v37, v9
                                        ; implicit-def: $sgpr26
                                        ; implicit-def: $sgpr27
                                        ; implicit-def: $sgpr28
                                        ; implicit-def: $sgpr29
                                        ; implicit-def: $sgpr30
	v_add3_u32 v7, v7, v39, v38
	s_delay_alu instid0(VALU_DEP_2) | instskip(NEXT) | instid1(VALU_DEP_2)
	v_lshlrev_b64 v[2:3], 2, v[2:3]
	v_lshlrev_b64 v[6:7], 2, v[6:7]
	s_delay_alu instid0(VALU_DEP_2) | instskip(NEXT) | instid1(VALU_DEP_3)
	v_add_co_u32 v2, vcc_lo, s10, v2
	v_add_co_ci_u32_e32 v3, vcc_lo, s11, v3, vcc_lo
	s_delay_alu instid0(VALU_DEP_3) | instskip(NEXT) | instid1(VALU_DEP_4)
	v_add_co_u32 v6, vcc_lo, s10, v6
	v_add_co_ci_u32_e32 v7, vcc_lo, s11, v7, vcc_lo
	s_set_inst_prefetch_distance 0x1
	s_branch .LBB878_416
	.p2align	6
.LBB878_415:                            ;   in Loop: Header=BB878_416 Depth=1
	s_or_b32 exec_lo, exec_lo, s0
	s_delay_alu instid0(SALU_CYCLE_1) | instskip(NEXT) | instid1(SALU_CYCLE_1)
	s_and_b32 s0, exec_lo, s27
	s_or_b32 s25, s0, s25
	s_and_not1_b32 s0, s30, exec_lo
	s_and_b32 s30, s29, exec_lo
	s_and_not1_b32 s26, s26, exec_lo
	s_and_b32 s31, s28, exec_lo
	s_or_b32 s30, s0, s30
	s_or_b32 s26, s26, s31
	s_and_not1_b32 exec_lo, exec_lo, s25
	s_cbranch_execz .LBB878_418
.LBB878_416:                            ; =>This Inner Loop Header: Depth=1
	global_load_b32 v9, v[2:3], off
	global_load_b32 v37, v[6:7], off
	s_and_not1_b32 s28, s28, exec_lo
	s_and_not1_b32 s29, s29, exec_lo
	s_or_b32 s27, s27, exec_lo
	s_waitcnt vmcnt(0)
	v_cmp_ngt_f32_e32 vcc_lo, v9, v37
	v_cmp_lt_f32_e64 s0, v9, v37
	s_and_b32 s31, vcc_lo, s30
	s_delay_alu instid0(VALU_DEP_1) | instid1(SALU_CYCLE_1)
	s_or_b32 s31, s0, s31
	s_delay_alu instid0(SALU_CYCLE_1) | instskip(NEXT) | instid1(SALU_CYCLE_1)
	s_and_b32 s0, s31, exec_lo
	s_or_b32 s28, s28, s0
	s_mov_b32 s0, exec_lo
	v_cmpx_nlg_f32_e32 v9, v37
	s_cbranch_execz .LBB878_415
; %bb.417:                              ;   in Loop: Header=BB878_416 Depth=1
	s_add_u32 s20, s20, -1
	s_addc_u32 s21, s21, -1
	v_add_co_u32 v2, vcc_lo, v2, 4
	s_cmp_eq_u64 s[20:21], 0
	v_add_co_ci_u32_e32 v3, vcc_lo, 0, v3, vcc_lo
	v_add_co_u32 v6, vcc_lo, v6, 4
	s_cselect_b32 s30, -1, 0
	v_add_co_ci_u32_e32 v7, vcc_lo, 0, v7, vcc_lo
	s_and_not1_b32 s29, s29, exec_lo
	s_and_b32 s31, s31, exec_lo
	s_and_not1_b32 s27, s27, exec_lo
	s_and_b32 s30, s30, exec_lo
	s_or_b32 s29, s29, s31
	s_and_not1_b32 s28, s28, exec_lo
	s_or_b32 s27, s27, s30
                                        ; implicit-def: $sgpr30
	s_branch .LBB878_415
.LBB878_418:
	s_set_inst_prefetch_distance 0x2
	s_or_b32 exec_lo, exec_lo, s25
	s_xor_b32 s0, s26, -1
	s_and_not1_b32 s19, s19, exec_lo
	s_and_b32 s0, s0, exec_lo
	s_delay_alu instid0(SALU_CYCLE_1)
	s_or_b32 s19, s19, s0
.LBB878_419:
	s_or_b32 exec_lo, exec_lo, s24
	s_delay_alu instid0(SALU_CYCLE_1)
	s_or_not1_b32 s19, s19, exec_lo
.LBB878_420:
	s_or_b32 exec_lo, exec_lo, s23
	v_cndmask_b32_e64 v2, v20, v17, s19
	v_cndmask_b32_e64 v3, 0x3ff, v8, s19
	;; [unrolled: 1-line block ×5, first 2 shown]
	v_add_nc_u32_e32 v37, 1, v2
	v_cndmask_b32_e64 v4, v19, v36, s19
	s_mov_b32 s1, exec_lo
	s_delay_alu instid0(VALU_DEP_2) | instskip(SKIP_2) | instid1(VALU_DEP_3)
	v_min_u32_e32 v2, v37, v3
	v_cndmask_b32_e64 v3, v10, v14, s22
	v_cndmask_b32_e64 v10, v37, v20, s19
	v_lshlrev_b32_e32 v2, 3, v2
	ds_load_b64 v[8:9], v2
	v_cndmask_b32_e64 v2, v11, v16, s22
	s_waitcnt lgkmcnt(0)
	v_cndmask_b32_e64 v7, v21, v9, s19
	v_cndmask_b32_e64 v6, v36, v8, s19
	v_cmpx_gt_u32_e32 0x400, v10
	s_cbranch_execz .LBB878_428
; %bb.421:
	v_cndmask_b32_e64 v10, v17, v37, s19
	v_cndmask_b32_e64 v14, v9, v18, s19
	;; [unrolled: 1-line block ×3, first 2 shown]
	s_delay_alu instid0(VALU_DEP_3) | instskip(NEXT) | instid1(VALU_DEP_2)
	v_cmp_ge_u32_e32 vcc_lo, v10, v15
	v_dual_cndmask_b32 v9, v7, v14 :: v_dual_cndmask_b32 v8, v6, v16
	s_or_b32 s0, vcc_lo, s12
	s_delay_alu instid0(SALU_CYCLE_1) | instskip(NEXT) | instid1(SALU_CYCLE_1)
	s_xor_b32 s0, s0, -1
	s_and_saveexec_b32 s12, s0
	s_cbranch_execz .LBB878_427
; %bb.422:
	v_mul_lo_u32 v15, v14, s8
	v_mul_lo_u32 v17, v16, s9
	v_mad_u64_u32 v[8:9], null, v16, s8, 0
	v_mul_lo_u32 v18, v7, s8
	v_mul_lo_u32 v19, v6, s9
	v_mad_u64_u32 v[10:11], null, v6, s8, 0
	s_mov_b32 s19, 0
	s_mov_b64 s[20:21], s[8:9]
	s_delay_alu instid0(VALU_DEP_4) | instskip(NEXT) | instid1(VALU_DEP_2)
	v_add3_u32 v9, v9, v17, v15
                                        ; implicit-def: $sgpr22
                                        ; implicit-def: $sgpr23
                                        ; implicit-def: $sgpr24
                                        ; implicit-def: $sgpr25
                                        ; implicit-def: $sgpr26
	v_add3_u32 v11, v11, v19, v18
	s_delay_alu instid0(VALU_DEP_2) | instskip(NEXT) | instid1(VALU_DEP_2)
	v_lshlrev_b64 v[8:9], 2, v[8:9]
	v_lshlrev_b64 v[10:11], 2, v[10:11]
	s_delay_alu instid0(VALU_DEP_2) | instskip(NEXT) | instid1(VALU_DEP_3)
	v_add_co_u32 v8, vcc_lo, s10, v8
	v_add_co_ci_u32_e32 v9, vcc_lo, s11, v9, vcc_lo
	s_delay_alu instid0(VALU_DEP_3) | instskip(NEXT) | instid1(VALU_DEP_4)
	v_add_co_u32 v10, vcc_lo, s10, v10
	v_add_co_ci_u32_e32 v11, vcc_lo, s11, v11, vcc_lo
	s_set_inst_prefetch_distance 0x1
	s_branch .LBB878_424
	.p2align	6
.LBB878_423:                            ;   in Loop: Header=BB878_424 Depth=1
	s_or_b32 exec_lo, exec_lo, s0
	s_delay_alu instid0(SALU_CYCLE_1) | instskip(NEXT) | instid1(SALU_CYCLE_1)
	s_and_b32 s0, exec_lo, s23
	s_or_b32 s19, s0, s19
	s_and_not1_b32 s0, s26, exec_lo
	s_and_b32 s26, s25, exec_lo
	s_and_not1_b32 s22, s22, exec_lo
	s_and_b32 s27, s24, exec_lo
	s_or_b32 s26, s0, s26
	s_or_b32 s22, s22, s27
	s_and_not1_b32 exec_lo, exec_lo, s19
	s_cbranch_execz .LBB878_426
.LBB878_424:                            ; =>This Inner Loop Header: Depth=1
	global_load_b32 v15, v[8:9], off
	global_load_b32 v17, v[10:11], off
	s_and_not1_b32 s24, s24, exec_lo
	s_and_not1_b32 s25, s25, exec_lo
	s_or_b32 s23, s23, exec_lo
	s_waitcnt vmcnt(0)
	v_cmp_ngt_f32_e32 vcc_lo, v15, v17
	v_cmp_lt_f32_e64 s0, v15, v17
	s_and_b32 s27, vcc_lo, s26
	s_delay_alu instid0(VALU_DEP_1) | instid1(SALU_CYCLE_1)
	s_or_b32 s27, s0, s27
	s_delay_alu instid0(SALU_CYCLE_1) | instskip(NEXT) | instid1(SALU_CYCLE_1)
	s_and_b32 s0, s27, exec_lo
	s_or_b32 s24, s24, s0
	s_mov_b32 s0, exec_lo
	v_cmpx_nlg_f32_e32 v15, v17
	s_cbranch_execz .LBB878_423
; %bb.425:                              ;   in Loop: Header=BB878_424 Depth=1
	s_add_u32 s20, s20, -1
	s_addc_u32 s21, s21, -1
	v_add_co_u32 v8, vcc_lo, v8, 4
	s_cmp_eq_u64 s[20:21], 0
	v_add_co_ci_u32_e32 v9, vcc_lo, 0, v9, vcc_lo
	v_add_co_u32 v10, vcc_lo, v10, 4
	s_cselect_b32 s26, -1, 0
	v_add_co_ci_u32_e32 v11, vcc_lo, 0, v11, vcc_lo
	s_and_not1_b32 s25, s25, exec_lo
	s_and_b32 s27, s27, exec_lo
	s_and_not1_b32 s23, s23, exec_lo
	s_and_b32 s26, s26, exec_lo
	s_or_b32 s25, s25, s27
	s_and_not1_b32 s24, s24, exec_lo
	s_or_b32 s23, s23, s26
                                        ; implicit-def: $sgpr26
	s_branch .LBB878_423
.LBB878_426:
	s_set_inst_prefetch_distance 0x2
	s_or_b32 exec_lo, exec_lo, s19
	v_cndmask_b32_e64 v9, v7, v14, s22
	v_cndmask_b32_e64 v8, v6, v16, s22
.LBB878_427:
	s_or_b32 exec_lo, exec_lo, s12
	s_delay_alu instid0(VALU_DEP_1)
	v_dual_mov_b32 v6, v8 :: v_dual_mov_b32 v7, v9
.LBB878_428:
	s_or_b32 exec_lo, exec_lo, s1
.LBB878_429:
	s_delay_alu instid0(SALU_CYCLE_1)
	s_or_b32 exec_lo, exec_lo, s17
	s_barrier
	buffer_gl0_inv
	s_barrier
	buffer_gl0_inv
	ds_store_2addr_b64 v35, v[0:1], v[2:3] offset1:1
	ds_store_2addr_b64 v35, v[4:5], v[6:7] offset0:2 offset1:3
	s_waitcnt lgkmcnt(0)
	s_barrier
	buffer_gl0_inv
	ds_load_b64 v[2:3], v34 offset:2048
	ds_load_b64 v[4:5], v31
	ds_load_b64 v[6:7], v32 offset:4096
	ds_load_b64 v[0:1], v33 offset:6144
	v_add_co_u32 v8, s0, s6, v22
	s_delay_alu instid0(VALU_DEP_1) | instskip(NEXT) | instid1(VALU_DEP_2)
	v_add_co_ci_u32_e64 v9, null, s7, 0, s0
	v_add_co_u32 v8, vcc_lo, 0x1000, v8
	s_delay_alu instid0(VALU_DEP_2)
	v_add_co_ci_u32_e32 v9, vcc_lo, 0, v9, vcc_lo
	s_mov_b32 s17, -1
	s_waitcnt lgkmcnt(3)
	global_store_b64 v22, v[2:3], s[6:7] offset:2048
	s_waitcnt lgkmcnt(2)
	global_store_b64 v22, v[4:5], s[6:7]
	s_waitcnt lgkmcnt(1)
	global_store_b64 v[8:9], v[6:7], off
	s_branch .LBB878_724
.LBB878_430:
	s_lshl_b64 s[0:1], s[2:3], 10
                                        ; implicit-def: $vgpr0_vgpr1_vgpr2_vgpr3_vgpr4_vgpr5_vgpr6_vgpr7
	s_delay_alu instid0(SALU_CYCLE_1) | instskip(NEXT) | instid1(SALU_CYCLE_1)
	s_sub_i32 s18, s18, s0
	v_cmp_gt_u32_e64 s0, s18, v12
	s_delay_alu instid0(VALU_DEP_1)
	s_and_saveexec_b32 s1, s0
	s_cbranch_execnz .LBB878_440
; %bb.431:
	s_or_b32 exec_lo, exec_lo, s1
	v_cmp_gt_u32_e64 s1, s18, v30
	s_delay_alu instid0(VALU_DEP_1)
	s_and_saveexec_b32 s2, s1
	s_cbranch_execnz .LBB878_441
.LBB878_432:
	s_or_b32 exec_lo, exec_lo, s2
	v_cmp_gt_u32_e64 s2, s18, v29
	s_delay_alu instid0(VALU_DEP_1)
	s_and_saveexec_b32 s3, s2
	s_cbranch_execnz .LBB878_442
.LBB878_433:
	s_or_b32 exec_lo, exec_lo, s3
	v_cmp_gt_u32_e64 s17, s18, v28
	s_delay_alu instid0(VALU_DEP_1)
	s_and_saveexec_b32 s3, s17
	s_cbranch_execz .LBB878_435
.LBB878_434:
	v_lshlrev_b32_e32 v6, 3, v28
	global_load_b64 v[6:7], v6, s[14:15]
.LBB878_435:
	s_or_b32 exec_lo, exec_lo, s3
	v_lshrrev_b32_e32 v8, 2, v30
	v_lshrrev_b32_e32 v9, 2, v29
	;; [unrolled: 1-line block ×3, first 2 shown]
	v_and_b32_e32 v11, 0xf8, v27
	v_add_lshl_u32 v17, v26, v23, 3
	v_and_b32_e32 v8, 0x1f8, v8
	v_and_b32_e32 v9, 0x1f8, v9
	;; [unrolled: 1-line block ×3, first 2 shown]
	v_cmp_lt_i64_e64 s14, s[8:9], 1
	s_mov_b32 s19, 0
	v_dual_mov_b32 v8, 0 :: v_dual_add_nc_u32 v13, v8, v22
	v_add_nc_u32_e32 v14, v11, v22
	v_add_nc_u32_e32 v15, v9, v22
	;; [unrolled: 1-line block ×3, first 2 shown]
	s_waitcnt vmcnt(0) lgkmcnt(0)
	ds_store_b64 v14, v[0:1]
	ds_store_b64 v13, v[2:3] offset:2048
	ds_store_b64 v15, v[4:5] offset:4096
	;; [unrolled: 1-line block ×3, first 2 shown]
	s_waitcnt lgkmcnt(0)
	s_waitcnt_vscnt null, 0x0
	s_barrier
	buffer_gl0_inv
	ds_load_2addr_b64 v[0:3], v17 offset1:1
	ds_load_2addr_b64 v[4:7], v17 offset0:2 offset1:3
	s_waitcnt lgkmcnt(0)
	s_barrier
	buffer_gl0_inv
	s_load_b32 s3, s[4:5], 0xc
	s_waitcnt lgkmcnt(0)
	s_lshr_b32 s3, s3, 16
	s_cmp_lt_u32 s13, s16
	v_mad_u32_u24 v9, v25, s3, v24
	s_cselect_b32 s12, 12, 18
	v_cmp_gt_i64_e64 s16, s[8:9], 0
	s_add_u32 s4, s4, s12
	s_addc_u32 s5, s5, 0
	global_load_u16 v8, v8, s[4:5]
	s_waitcnt vmcnt(0)
	v_mul_lo_u32 v8, v9, v8
	s_delay_alu instid0(VALU_DEP_1) | instskip(NEXT) | instid1(VALU_DEP_1)
	v_add_lshl_u32 v18, v8, v12, 2
	v_sub_nc_u32_e64 v19, s18, v18 clamp
	s_delay_alu instid0(VALU_DEP_1) | instskip(SKIP_1) | instid1(SALU_CYCLE_1)
	v_cmp_lt_u32_e32 vcc_lo, 1, v19
	s_and_b32 s5, vcc_lo, s16
	s_and_saveexec_b32 s15, s5
	s_cbranch_execz .LBB878_446
; %bb.436:
	v_mul_lo_u32 v20, v3, s8
	v_mul_lo_u32 v21, v2, s9
	v_mad_u64_u32 v[8:9], null, v2, s8, 0
	v_mul_lo_u32 v24, v1, s8
	v_mul_lo_u32 v25, v0, s9
	v_mad_u64_u32 v[10:11], null, v0, s8, 0
	s_mov_b64 s[12:13], s[8:9]
                                        ; implicit-def: $sgpr20
                                        ; implicit-def: $sgpr21
                                        ; implicit-def: $sgpr23
                                        ; implicit-def: $sgpr22
                                        ; implicit-def: $sgpr24
                                        ; implicit-def: $sgpr25
	s_delay_alu instid0(VALU_DEP_4) | instskip(NEXT) | instid1(VALU_DEP_2)
	v_add3_u32 v9, v9, v21, v20
	v_add3_u32 v11, v11, v25, v24
	s_delay_alu instid0(VALU_DEP_2) | instskip(NEXT) | instid1(VALU_DEP_2)
	v_lshlrev_b64 v[8:9], 2, v[8:9]
	v_lshlrev_b64 v[10:11], 2, v[10:11]
	s_delay_alu instid0(VALU_DEP_2) | instskip(NEXT) | instid1(VALU_DEP_3)
	v_add_co_u32 v8, vcc_lo, s10, v8
	v_add_co_ci_u32_e32 v9, vcc_lo, s11, v9, vcc_lo
	s_delay_alu instid0(VALU_DEP_3) | instskip(NEXT) | instid1(VALU_DEP_4)
	v_add_co_u32 v10, vcc_lo, s10, v10
	v_add_co_ci_u32_e32 v11, vcc_lo, s11, v11, vcc_lo
	s_set_inst_prefetch_distance 0x1
	s_branch .LBB878_438
	.p2align	6
.LBB878_437:                            ;   in Loop: Header=BB878_438 Depth=1
	s_or_b32 exec_lo, exec_lo, s26
	s_delay_alu instid0(SALU_CYCLE_1) | instskip(NEXT) | instid1(SALU_CYCLE_1)
	s_and_b32 s4, exec_lo, s23
	s_or_b32 s19, s4, s19
	s_and_not1_b32 s4, s25, exec_lo
	s_and_b32 s25, s24, exec_lo
	s_and_not1_b32 s21, s21, exec_lo
	s_or_b32 s25, s4, s25
	s_and_b32 s4, s22, exec_lo
	s_and_not1_b32 s20, s20, exec_lo
	s_and_b32 s3, s3, exec_lo
	s_or_b32 s21, s21, s4
	s_or_b32 s20, s20, s3
	s_and_not1_b32 exec_lo, exec_lo, s19
	s_cbranch_execz .LBB878_443
.LBB878_438:                            ; =>This Inner Loop Header: Depth=1
	global_load_b32 v20, v[8:9], off
	global_load_b32 v21, v[10:11], off
	s_and_not1_b32 s24, s24, exec_lo
	s_or_b32 s22, s22, exec_lo
	s_or_b32 s23, s23, exec_lo
	s_waitcnt vmcnt(0)
	v_cmp_ngt_f32_e32 vcc_lo, v20, v21
	v_cmp_lt_f32_e64 s3, v20, v21
	s_and_b32 s26, vcc_lo, s25
	s_delay_alu instid0(VALU_DEP_1) | instid1(SALU_CYCLE_1)
	s_or_b32 s3, s3, s26
	s_mov_b32 s26, exec_lo
	v_cmpx_nlg_f32_e32 v20, v21
	s_cbranch_execz .LBB878_437
; %bb.439:                              ;   in Loop: Header=BB878_438 Depth=1
	s_add_u32 s12, s12, -1
	s_addc_u32 s13, s13, -1
	v_add_co_u32 v8, vcc_lo, v8, 4
	s_cmp_eq_u64 s[12:13], 0
	v_add_co_ci_u32_e32 v9, vcc_lo, 0, v9, vcc_lo
	v_add_co_u32 v10, vcc_lo, v10, 4
	s_cselect_b32 s4, -1, 0
	v_add_co_ci_u32_e32 v11, vcc_lo, 0, v11, vcc_lo
	s_and_not1_b32 s24, s24, exec_lo
	s_and_b32 s25, s3, exec_lo
	s_and_not1_b32 s23, s23, exec_lo
	s_and_b32 s4, s4, exec_lo
	s_or_b32 s24, s24, s25
	s_and_not1_b32 s22, s22, exec_lo
	s_or_b32 s23, s23, s4
                                        ; implicit-def: $sgpr25
	s_branch .LBB878_437
.LBB878_440:
	s_waitcnt lgkmcnt(0)
	global_load_b64 v[0:1], v22, s[14:15]
	s_or_b32 exec_lo, exec_lo, s1
	v_cmp_gt_u32_e64 s1, s18, v30
	s_delay_alu instid0(VALU_DEP_1)
	s_and_saveexec_b32 s2, s1
	s_cbranch_execz .LBB878_432
.LBB878_441:
	global_load_b64 v[2:3], v22, s[14:15] offset:2048
	s_or_b32 exec_lo, exec_lo, s2
	v_cmp_gt_u32_e64 s2, s18, v29
	s_delay_alu instid0(VALU_DEP_1)
	s_and_saveexec_b32 s3, s2
	s_cbranch_execz .LBB878_433
.LBB878_442:
	v_lshlrev_b32_e32 v4, 3, v29
	global_load_b64 v[4:5], v4, s[14:15]
	s_or_b32 exec_lo, exec_lo, s3
	v_cmp_gt_u32_e64 s17, s18, v28
	s_delay_alu instid0(VALU_DEP_1)
	s_and_saveexec_b32 s3, s17
	s_cbranch_execnz .LBB878_434
	s_branch .LBB878_435
.LBB878_443:
	s_set_inst_prefetch_distance 0x2
	s_or_b32 exec_lo, exec_lo, s19
	s_and_saveexec_b32 s3, s21
	s_delay_alu instid0(SALU_CYCLE_1)
	s_xor_b32 s3, exec_lo, s3
; %bb.444:
	v_cndmask_b32_e64 v24, v0, v2, s20
	v_cndmask_b32_e64 v27, v3, v1, s20
	;; [unrolled: 1-line block ×4, first 2 shown]
	v_dual_mov_b32 v28, v4 :: v_dual_mov_b32 v29, v5
	v_dual_mov_b32 v30, v6 :: v_dual_mov_b32 v31, v7
	s_delay_alu instid0(VALU_DEP_3) | instskip(SKIP_1) | instid1(VALU_DEP_4)
	v_dual_mov_b32 v0, v24 :: v_dual_mov_b32 v1, v25
	v_dual_mov_b32 v2, v26 :: v_dual_mov_b32 v3, v27
	;; [unrolled: 1-line block ×3, first 2 shown]
	s_delay_alu instid0(VALU_DEP_4)
	v_dual_mov_b32 v6, v30 :: v_dual_mov_b32 v7, v31
; %bb.445:
	s_or_b32 exec_lo, exec_lo, s3
.LBB878_446:
	s_delay_alu instid0(SALU_CYCLE_1) | instskip(SKIP_2) | instid1(SALU_CYCLE_1)
	s_or_b32 exec_lo, exec_lo, s15
	v_cmp_lt_u32_e32 vcc_lo, 3, v19
	s_xor_b32 s15, s14, -1
	s_and_b32 s19, vcc_lo, s15
	s_delay_alu instid0(SALU_CYCLE_1)
	s_and_saveexec_b32 s20, s19
	s_cbranch_execz .LBB878_454
; %bb.447:
	v_mul_lo_u32 v20, v7, s8
	v_mul_lo_u32 v21, v6, s9
	v_mad_u64_u32 v[8:9], null, v6, s8, 0
	v_mul_lo_u32 v24, v5, s8
	v_mul_lo_u32 v25, v4, s9
	v_mad_u64_u32 v[10:11], null, v4, s8, 0
	s_mov_b32 s22, 0
	s_mov_b64 s[12:13], s[8:9]
	s_delay_alu instid0(VALU_DEP_4) | instskip(NEXT) | instid1(VALU_DEP_2)
	v_add3_u32 v9, v9, v21, v20
                                        ; implicit-def: $sgpr21
                                        ; implicit-def: $sgpr23
                                        ; implicit-def: $sgpr25
                                        ; implicit-def: $sgpr24
                                        ; implicit-def: $sgpr26
                                        ; implicit-def: $sgpr27
	v_add3_u32 v11, v11, v25, v24
	s_delay_alu instid0(VALU_DEP_2) | instskip(NEXT) | instid1(VALU_DEP_2)
	v_lshlrev_b64 v[8:9], 2, v[8:9]
	v_lshlrev_b64 v[10:11], 2, v[10:11]
	s_delay_alu instid0(VALU_DEP_2) | instskip(NEXT) | instid1(VALU_DEP_3)
	v_add_co_u32 v8, vcc_lo, s10, v8
	v_add_co_ci_u32_e32 v9, vcc_lo, s11, v9, vcc_lo
	s_delay_alu instid0(VALU_DEP_3) | instskip(NEXT) | instid1(VALU_DEP_4)
	v_add_co_u32 v10, vcc_lo, s10, v10
	v_add_co_ci_u32_e32 v11, vcc_lo, s11, v11, vcc_lo
	s_set_inst_prefetch_distance 0x1
	s_branch .LBB878_449
	.p2align	6
.LBB878_448:                            ;   in Loop: Header=BB878_449 Depth=1
	s_or_b32 exec_lo, exec_lo, s28
	s_delay_alu instid0(SALU_CYCLE_1) | instskip(NEXT) | instid1(SALU_CYCLE_1)
	s_and_b32 s4, exec_lo, s25
	s_or_b32 s22, s4, s22
	s_and_not1_b32 s4, s27, exec_lo
	s_and_b32 s27, s26, exec_lo
	s_and_not1_b32 s23, s23, exec_lo
	s_or_b32 s27, s4, s27
	s_and_b32 s4, s24, exec_lo
	s_and_not1_b32 s21, s21, exec_lo
	s_and_b32 s3, s3, exec_lo
	s_or_b32 s23, s23, s4
	s_or_b32 s21, s21, s3
	s_and_not1_b32 exec_lo, exec_lo, s22
	s_cbranch_execz .LBB878_451
.LBB878_449:                            ; =>This Inner Loop Header: Depth=1
	global_load_b32 v20, v[8:9], off
	global_load_b32 v21, v[10:11], off
	s_and_not1_b32 s26, s26, exec_lo
	s_or_b32 s24, s24, exec_lo
	s_or_b32 s25, s25, exec_lo
	s_waitcnt vmcnt(0)
	v_cmp_ngt_f32_e32 vcc_lo, v20, v21
	v_cmp_lt_f32_e64 s3, v20, v21
	s_and_b32 s28, vcc_lo, s27
	s_delay_alu instid0(VALU_DEP_1) | instid1(SALU_CYCLE_1)
	s_or_b32 s3, s3, s28
	s_mov_b32 s28, exec_lo
	v_cmpx_nlg_f32_e32 v20, v21
	s_cbranch_execz .LBB878_448
; %bb.450:                              ;   in Loop: Header=BB878_449 Depth=1
	s_add_u32 s12, s12, -1
	s_addc_u32 s13, s13, -1
	v_add_co_u32 v8, vcc_lo, v8, 4
	s_cmp_eq_u64 s[12:13], 0
	v_add_co_ci_u32_e32 v9, vcc_lo, 0, v9, vcc_lo
	v_add_co_u32 v10, vcc_lo, v10, 4
	s_cselect_b32 s4, -1, 0
	v_add_co_ci_u32_e32 v11, vcc_lo, 0, v11, vcc_lo
	s_and_not1_b32 s26, s26, exec_lo
	s_and_b32 s27, s3, exec_lo
	s_and_not1_b32 s25, s25, exec_lo
	s_and_b32 s4, s4, exec_lo
	s_or_b32 s26, s26, s27
	s_and_not1_b32 s24, s24, exec_lo
	s_or_b32 s25, s25, s4
                                        ; implicit-def: $sgpr27
	s_branch .LBB878_448
.LBB878_451:
	s_set_inst_prefetch_distance 0x2
	s_or_b32 exec_lo, exec_lo, s22
	s_and_saveexec_b32 s3, s23
	s_delay_alu instid0(SALU_CYCLE_1)
	s_xor_b32 s3, exec_lo, s3
; %bb.452:
	v_cndmask_b32_e64 v8, v6, v4, s21
	v_cndmask_b32_e64 v9, v7, v5, s21
	;; [unrolled: 1-line block ×4, first 2 shown]
	s_delay_alu instid0(VALU_DEP_3)
	v_dual_mov_b32 v6, v8 :: v_dual_mov_b32 v7, v9
; %bb.453:
	s_or_b32 exec_lo, exec_lo, s3
.LBB878_454:
	s_delay_alu instid0(SALU_CYCLE_1) | instskip(SKIP_2) | instid1(SALU_CYCLE_1)
	s_or_b32 exec_lo, exec_lo, s20
	v_cmp_lt_u32_e32 vcc_lo, 2, v19
	s_and_b32 s20, vcc_lo, s15
	s_and_saveexec_b32 s3, s20
	s_delay_alu instid0(SALU_CYCLE_1)
	s_xor_b32 s21, exec_lo, s3
	s_cbranch_execnz .LBB878_458
; %bb.455:
	s_or_b32 exec_lo, exec_lo, s21
	s_and_saveexec_b32 s21, s5
	s_cbranch_execnz .LBB878_465
.LBB878_456:
	s_or_b32 exec_lo, exec_lo, s21
	s_and_saveexec_b32 s5, s19
	s_cbranch_execnz .LBB878_472
.LBB878_457:
	s_or_b32 exec_lo, exec_lo, s5
	s_and_saveexec_b32 s5, s20
	s_cbranch_execnz .LBB878_479
	s_branch .LBB878_486
.LBB878_458:
	v_mul_lo_u32 v19, v5, s8
	v_mul_lo_u32 v20, v4, s9
	v_mad_u64_u32 v[8:9], null, v4, s8, 0
	v_mul_lo_u32 v21, v3, s8
	v_mul_lo_u32 v24, v2, s9
	v_mad_u64_u32 v[10:11], null, v2, s8, 0
	s_mov_b32 s23, 0
	s_mov_b64 s[12:13], s[8:9]
	s_delay_alu instid0(VALU_DEP_4) | instskip(NEXT) | instid1(VALU_DEP_2)
	v_add3_u32 v9, v9, v20, v19
                                        ; implicit-def: $sgpr22
                                        ; implicit-def: $sgpr24
                                        ; implicit-def: $sgpr26
                                        ; implicit-def: $sgpr25
                                        ; implicit-def: $sgpr27
                                        ; implicit-def: $sgpr28
	v_add3_u32 v11, v11, v24, v21
	s_delay_alu instid0(VALU_DEP_2) | instskip(NEXT) | instid1(VALU_DEP_2)
	v_lshlrev_b64 v[8:9], 2, v[8:9]
	v_lshlrev_b64 v[10:11], 2, v[10:11]
	s_delay_alu instid0(VALU_DEP_2) | instskip(NEXT) | instid1(VALU_DEP_3)
	v_add_co_u32 v8, vcc_lo, s10, v8
	v_add_co_ci_u32_e32 v9, vcc_lo, s11, v9, vcc_lo
	s_delay_alu instid0(VALU_DEP_3) | instskip(NEXT) | instid1(VALU_DEP_4)
	v_add_co_u32 v10, vcc_lo, s10, v10
	v_add_co_ci_u32_e32 v11, vcc_lo, s11, v11, vcc_lo
	s_set_inst_prefetch_distance 0x1
	s_branch .LBB878_460
	.p2align	6
.LBB878_459:                            ;   in Loop: Header=BB878_460 Depth=1
	s_or_b32 exec_lo, exec_lo, s29
	s_delay_alu instid0(SALU_CYCLE_1) | instskip(NEXT) | instid1(SALU_CYCLE_1)
	s_and_b32 s4, exec_lo, s26
	s_or_b32 s23, s4, s23
	s_and_not1_b32 s4, s28, exec_lo
	s_and_b32 s28, s27, exec_lo
	s_and_not1_b32 s24, s24, exec_lo
	s_or_b32 s28, s4, s28
	s_and_b32 s4, s25, exec_lo
	s_and_not1_b32 s22, s22, exec_lo
	s_and_b32 s3, s3, exec_lo
	s_or_b32 s24, s24, s4
	s_or_b32 s22, s22, s3
	s_and_not1_b32 exec_lo, exec_lo, s23
	s_cbranch_execz .LBB878_462
.LBB878_460:                            ; =>This Inner Loop Header: Depth=1
	global_load_b32 v19, v[8:9], off
	global_load_b32 v20, v[10:11], off
	s_and_not1_b32 s27, s27, exec_lo
	s_or_b32 s25, s25, exec_lo
	s_or_b32 s26, s26, exec_lo
	s_waitcnt vmcnt(0)
	v_cmp_ngt_f32_e32 vcc_lo, v19, v20
	v_cmp_lt_f32_e64 s3, v19, v20
	s_and_b32 s29, vcc_lo, s28
	s_delay_alu instid0(VALU_DEP_1) | instid1(SALU_CYCLE_1)
	s_or_b32 s3, s3, s29
	s_mov_b32 s29, exec_lo
	v_cmpx_nlg_f32_e32 v19, v20
	s_cbranch_execz .LBB878_459
; %bb.461:                              ;   in Loop: Header=BB878_460 Depth=1
	s_add_u32 s12, s12, -1
	s_addc_u32 s13, s13, -1
	v_add_co_u32 v8, vcc_lo, v8, 4
	s_cmp_eq_u64 s[12:13], 0
	v_add_co_ci_u32_e32 v9, vcc_lo, 0, v9, vcc_lo
	v_add_co_u32 v10, vcc_lo, v10, 4
	s_cselect_b32 s4, -1, 0
	v_add_co_ci_u32_e32 v11, vcc_lo, 0, v11, vcc_lo
	s_and_not1_b32 s27, s27, exec_lo
	s_and_b32 s28, s3, exec_lo
	s_and_not1_b32 s26, s26, exec_lo
	s_and_b32 s4, s4, exec_lo
	s_or_b32 s27, s27, s28
	s_and_not1_b32 s25, s25, exec_lo
	s_or_b32 s26, s26, s4
                                        ; implicit-def: $sgpr28
	s_branch .LBB878_459
.LBB878_462:
	s_set_inst_prefetch_distance 0x2
	s_or_b32 exec_lo, exec_lo, s23
	s_and_saveexec_b32 s3, s24
	s_delay_alu instid0(SALU_CYCLE_1)
	s_xor_b32 s3, exec_lo, s3
; %bb.463:
	v_cndmask_b32_e64 v8, v4, v2, s22
	v_cndmask_b32_e64 v9, v5, v3, s22
	;; [unrolled: 1-line block ×4, first 2 shown]
	s_delay_alu instid0(VALU_DEP_3)
	v_dual_mov_b32 v4, v8 :: v_dual_mov_b32 v5, v9
; %bb.464:
	s_or_b32 exec_lo, exec_lo, s3
	s_delay_alu instid0(SALU_CYCLE_1)
	s_or_b32 exec_lo, exec_lo, s21
	s_and_saveexec_b32 s21, s5
	s_cbranch_execz .LBB878_456
.LBB878_465:
	v_mul_lo_u32 v19, v3, s8
	v_mul_lo_u32 v20, v2, s9
	v_mad_u64_u32 v[8:9], null, v2, s8, 0
	v_mul_lo_u32 v21, v1, s8
	v_mul_lo_u32 v24, v0, s9
	v_mad_u64_u32 v[10:11], null, v0, s8, 0
	s_mov_b32 s5, 0
	s_mov_b64 s[12:13], s[8:9]
	s_delay_alu instid0(VALU_DEP_4) | instskip(NEXT) | instid1(VALU_DEP_2)
	v_add3_u32 v9, v9, v20, v19
                                        ; implicit-def: $sgpr22
                                        ; implicit-def: $sgpr23
                                        ; implicit-def: $sgpr25
                                        ; implicit-def: $sgpr24
                                        ; implicit-def: $sgpr26
                                        ; implicit-def: $sgpr27
	v_add3_u32 v11, v11, v24, v21
	s_delay_alu instid0(VALU_DEP_2) | instskip(NEXT) | instid1(VALU_DEP_2)
	v_lshlrev_b64 v[8:9], 2, v[8:9]
	v_lshlrev_b64 v[10:11], 2, v[10:11]
	s_delay_alu instid0(VALU_DEP_2) | instskip(NEXT) | instid1(VALU_DEP_3)
	v_add_co_u32 v8, vcc_lo, s10, v8
	v_add_co_ci_u32_e32 v9, vcc_lo, s11, v9, vcc_lo
	s_delay_alu instid0(VALU_DEP_3) | instskip(NEXT) | instid1(VALU_DEP_4)
	v_add_co_u32 v10, vcc_lo, s10, v10
	v_add_co_ci_u32_e32 v11, vcc_lo, s11, v11, vcc_lo
	s_set_inst_prefetch_distance 0x1
	s_branch .LBB878_467
	.p2align	6
.LBB878_466:                            ;   in Loop: Header=BB878_467 Depth=1
	s_or_b32 exec_lo, exec_lo, s28
	s_delay_alu instid0(SALU_CYCLE_1) | instskip(NEXT) | instid1(SALU_CYCLE_1)
	s_and_b32 s4, exec_lo, s25
	s_or_b32 s5, s4, s5
	s_and_not1_b32 s4, s27, exec_lo
	s_and_b32 s27, s26, exec_lo
	s_and_not1_b32 s23, s23, exec_lo
	s_or_b32 s27, s4, s27
	s_and_b32 s4, s24, exec_lo
	s_and_not1_b32 s22, s22, exec_lo
	s_and_b32 s3, s3, exec_lo
	s_or_b32 s23, s23, s4
	s_or_b32 s22, s22, s3
	s_and_not1_b32 exec_lo, exec_lo, s5
	s_cbranch_execz .LBB878_469
.LBB878_467:                            ; =>This Inner Loop Header: Depth=1
	global_load_b32 v19, v[8:9], off
	global_load_b32 v20, v[10:11], off
	s_and_not1_b32 s26, s26, exec_lo
	s_or_b32 s24, s24, exec_lo
	s_or_b32 s25, s25, exec_lo
	s_waitcnt vmcnt(0)
	v_cmp_ngt_f32_e32 vcc_lo, v19, v20
	v_cmp_lt_f32_e64 s3, v19, v20
	s_and_b32 s28, vcc_lo, s27
	s_delay_alu instid0(VALU_DEP_1) | instid1(SALU_CYCLE_1)
	s_or_b32 s3, s3, s28
	s_mov_b32 s28, exec_lo
	v_cmpx_nlg_f32_e32 v19, v20
	s_cbranch_execz .LBB878_466
; %bb.468:                              ;   in Loop: Header=BB878_467 Depth=1
	s_add_u32 s12, s12, -1
	s_addc_u32 s13, s13, -1
	v_add_co_u32 v8, vcc_lo, v8, 4
	s_cmp_eq_u64 s[12:13], 0
	v_add_co_ci_u32_e32 v9, vcc_lo, 0, v9, vcc_lo
	v_add_co_u32 v10, vcc_lo, v10, 4
	s_cselect_b32 s4, -1, 0
	v_add_co_ci_u32_e32 v11, vcc_lo, 0, v11, vcc_lo
	s_and_not1_b32 s26, s26, exec_lo
	s_and_b32 s27, s3, exec_lo
	s_and_not1_b32 s25, s25, exec_lo
	s_and_b32 s4, s4, exec_lo
	s_or_b32 s26, s26, s27
	s_and_not1_b32 s24, s24, exec_lo
	s_or_b32 s25, s25, s4
                                        ; implicit-def: $sgpr27
	s_branch .LBB878_466
.LBB878_469:
	s_set_inst_prefetch_distance 0x2
	s_or_b32 exec_lo, exec_lo, s5
	s_and_saveexec_b32 s3, s23
	s_delay_alu instid0(SALU_CYCLE_1)
	s_xor_b32 s3, exec_lo, s3
; %bb.470:
	v_cndmask_b32_e64 v24, v0, v2, s22
	v_cndmask_b32_e64 v27, v3, v1, s22
	;; [unrolled: 1-line block ×4, first 2 shown]
	v_dual_mov_b32 v28, v4 :: v_dual_mov_b32 v29, v5
	v_dual_mov_b32 v30, v6 :: v_dual_mov_b32 v31, v7
	s_delay_alu instid0(VALU_DEP_3) | instskip(SKIP_1) | instid1(VALU_DEP_4)
	v_dual_mov_b32 v0, v24 :: v_dual_mov_b32 v1, v25
	v_dual_mov_b32 v2, v26 :: v_dual_mov_b32 v3, v27
	;; [unrolled: 1-line block ×3, first 2 shown]
	s_delay_alu instid0(VALU_DEP_4)
	v_dual_mov_b32 v6, v30 :: v_dual_mov_b32 v7, v31
; %bb.471:
	s_or_b32 exec_lo, exec_lo, s3
	s_delay_alu instid0(SALU_CYCLE_1)
	s_or_b32 exec_lo, exec_lo, s21
	s_and_saveexec_b32 s5, s19
	s_cbranch_execz .LBB878_457
.LBB878_472:
	v_mul_lo_u32 v19, v7, s8
	v_mul_lo_u32 v20, v6, s9
	v_mad_u64_u32 v[8:9], null, v6, s8, 0
	v_mul_lo_u32 v21, v5, s8
	v_mul_lo_u32 v24, v4, s9
	v_mad_u64_u32 v[10:11], null, v4, s8, 0
	s_mov_b32 s21, 0
	s_mov_b64 s[12:13], s[8:9]
	s_delay_alu instid0(VALU_DEP_4) | instskip(NEXT) | instid1(VALU_DEP_2)
	v_add3_u32 v9, v9, v20, v19
                                        ; implicit-def: $sgpr19
                                        ; implicit-def: $sgpr22
                                        ; implicit-def: $sgpr24
                                        ; implicit-def: $sgpr23
                                        ; implicit-def: $sgpr25
                                        ; implicit-def: $sgpr26
	v_add3_u32 v11, v11, v24, v21
	s_delay_alu instid0(VALU_DEP_2) | instskip(NEXT) | instid1(VALU_DEP_2)
	v_lshlrev_b64 v[8:9], 2, v[8:9]
	v_lshlrev_b64 v[10:11], 2, v[10:11]
	s_delay_alu instid0(VALU_DEP_2) | instskip(NEXT) | instid1(VALU_DEP_3)
	v_add_co_u32 v8, vcc_lo, s10, v8
	v_add_co_ci_u32_e32 v9, vcc_lo, s11, v9, vcc_lo
	s_delay_alu instid0(VALU_DEP_3) | instskip(NEXT) | instid1(VALU_DEP_4)
	v_add_co_u32 v10, vcc_lo, s10, v10
	v_add_co_ci_u32_e32 v11, vcc_lo, s11, v11, vcc_lo
	s_set_inst_prefetch_distance 0x1
	s_branch .LBB878_474
	.p2align	6
.LBB878_473:                            ;   in Loop: Header=BB878_474 Depth=1
	s_or_b32 exec_lo, exec_lo, s27
	s_delay_alu instid0(SALU_CYCLE_1) | instskip(NEXT) | instid1(SALU_CYCLE_1)
	s_and_b32 s4, exec_lo, s24
	s_or_b32 s21, s4, s21
	s_and_not1_b32 s4, s26, exec_lo
	s_and_b32 s26, s25, exec_lo
	s_and_not1_b32 s22, s22, exec_lo
	s_or_b32 s26, s4, s26
	s_and_b32 s4, s23, exec_lo
	s_and_not1_b32 s19, s19, exec_lo
	s_and_b32 s3, s3, exec_lo
	s_or_b32 s22, s22, s4
	s_or_b32 s19, s19, s3
	s_and_not1_b32 exec_lo, exec_lo, s21
	s_cbranch_execz .LBB878_476
.LBB878_474:                            ; =>This Inner Loop Header: Depth=1
	global_load_b32 v19, v[8:9], off
	global_load_b32 v20, v[10:11], off
	s_and_not1_b32 s25, s25, exec_lo
	s_or_b32 s23, s23, exec_lo
	s_or_b32 s24, s24, exec_lo
	s_waitcnt vmcnt(0)
	v_cmp_ngt_f32_e32 vcc_lo, v19, v20
	v_cmp_lt_f32_e64 s3, v19, v20
	s_and_b32 s27, vcc_lo, s26
	s_delay_alu instid0(VALU_DEP_1) | instid1(SALU_CYCLE_1)
	s_or_b32 s3, s3, s27
	s_mov_b32 s27, exec_lo
	v_cmpx_nlg_f32_e32 v19, v20
	s_cbranch_execz .LBB878_473
; %bb.475:                              ;   in Loop: Header=BB878_474 Depth=1
	s_add_u32 s12, s12, -1
	s_addc_u32 s13, s13, -1
	v_add_co_u32 v8, vcc_lo, v8, 4
	s_cmp_eq_u64 s[12:13], 0
	v_add_co_ci_u32_e32 v9, vcc_lo, 0, v9, vcc_lo
	v_add_co_u32 v10, vcc_lo, v10, 4
	s_cselect_b32 s4, -1, 0
	v_add_co_ci_u32_e32 v11, vcc_lo, 0, v11, vcc_lo
	s_and_not1_b32 s25, s25, exec_lo
	s_and_b32 s26, s3, exec_lo
	s_and_not1_b32 s24, s24, exec_lo
	s_and_b32 s4, s4, exec_lo
	s_or_b32 s25, s25, s26
	s_and_not1_b32 s23, s23, exec_lo
	s_or_b32 s24, s24, s4
                                        ; implicit-def: $sgpr26
	s_branch .LBB878_473
.LBB878_476:
	s_set_inst_prefetch_distance 0x2
	s_or_b32 exec_lo, exec_lo, s21
	s_and_saveexec_b32 s3, s22
	s_delay_alu instid0(SALU_CYCLE_1)
	s_xor_b32 s3, exec_lo, s3
; %bb.477:
	v_cndmask_b32_e64 v8, v6, v4, s19
	v_cndmask_b32_e64 v9, v7, v5, s19
	;; [unrolled: 1-line block ×4, first 2 shown]
	s_delay_alu instid0(VALU_DEP_3)
	v_dual_mov_b32 v6, v8 :: v_dual_mov_b32 v7, v9
; %bb.478:
	s_or_b32 exec_lo, exec_lo, s3
	s_delay_alu instid0(SALU_CYCLE_1)
	s_or_b32 exec_lo, exec_lo, s5
	s_and_saveexec_b32 s5, s20
	s_cbranch_execz .LBB878_486
.LBB878_479:
	v_mul_lo_u32 v19, v5, s8
	v_mul_lo_u32 v20, v4, s9
	v_mad_u64_u32 v[8:9], null, v4, s8, 0
	v_mul_lo_u32 v21, v3, s8
	v_mul_lo_u32 v24, v2, s9
	v_mad_u64_u32 v[10:11], null, v2, s8, 0
	s_mov_b32 s20, 0
	s_mov_b64 s[12:13], s[8:9]
	s_delay_alu instid0(VALU_DEP_4) | instskip(NEXT) | instid1(VALU_DEP_2)
	v_add3_u32 v9, v9, v20, v19
                                        ; implicit-def: $sgpr19
                                        ; implicit-def: $sgpr21
                                        ; implicit-def: $sgpr23
                                        ; implicit-def: $sgpr22
                                        ; implicit-def: $sgpr24
                                        ; implicit-def: $sgpr25
	v_add3_u32 v11, v11, v24, v21
	s_delay_alu instid0(VALU_DEP_2) | instskip(NEXT) | instid1(VALU_DEP_2)
	v_lshlrev_b64 v[8:9], 2, v[8:9]
	v_lshlrev_b64 v[10:11], 2, v[10:11]
	s_delay_alu instid0(VALU_DEP_2) | instskip(NEXT) | instid1(VALU_DEP_3)
	v_add_co_u32 v8, vcc_lo, s10, v8
	v_add_co_ci_u32_e32 v9, vcc_lo, s11, v9, vcc_lo
	s_delay_alu instid0(VALU_DEP_3) | instskip(NEXT) | instid1(VALU_DEP_4)
	v_add_co_u32 v10, vcc_lo, s10, v10
	v_add_co_ci_u32_e32 v11, vcc_lo, s11, v11, vcc_lo
	s_set_inst_prefetch_distance 0x1
	s_branch .LBB878_481
	.p2align	6
.LBB878_480:                            ;   in Loop: Header=BB878_481 Depth=1
	s_or_b32 exec_lo, exec_lo, s26
	s_delay_alu instid0(SALU_CYCLE_1) | instskip(NEXT) | instid1(SALU_CYCLE_1)
	s_and_b32 s4, exec_lo, s23
	s_or_b32 s20, s4, s20
	s_and_not1_b32 s4, s25, exec_lo
	s_and_b32 s25, s24, exec_lo
	s_and_not1_b32 s21, s21, exec_lo
	s_or_b32 s25, s4, s25
	s_and_b32 s4, s22, exec_lo
	s_and_not1_b32 s19, s19, exec_lo
	s_and_b32 s3, s3, exec_lo
	s_or_b32 s21, s21, s4
	s_or_b32 s19, s19, s3
	s_and_not1_b32 exec_lo, exec_lo, s20
	s_cbranch_execz .LBB878_483
.LBB878_481:                            ; =>This Inner Loop Header: Depth=1
	global_load_b32 v19, v[8:9], off
	global_load_b32 v20, v[10:11], off
	s_and_not1_b32 s24, s24, exec_lo
	s_or_b32 s22, s22, exec_lo
	s_or_b32 s23, s23, exec_lo
	s_waitcnt vmcnt(0)
	v_cmp_ngt_f32_e32 vcc_lo, v19, v20
	v_cmp_lt_f32_e64 s3, v19, v20
	s_and_b32 s26, vcc_lo, s25
	s_delay_alu instid0(VALU_DEP_1) | instid1(SALU_CYCLE_1)
	s_or_b32 s3, s3, s26
	s_mov_b32 s26, exec_lo
	v_cmpx_nlg_f32_e32 v19, v20
	s_cbranch_execz .LBB878_480
; %bb.482:                              ;   in Loop: Header=BB878_481 Depth=1
	s_add_u32 s12, s12, -1
	s_addc_u32 s13, s13, -1
	v_add_co_u32 v8, vcc_lo, v8, 4
	s_cmp_eq_u64 s[12:13], 0
	v_add_co_ci_u32_e32 v9, vcc_lo, 0, v9, vcc_lo
	v_add_co_u32 v10, vcc_lo, v10, 4
	s_cselect_b32 s4, -1, 0
	v_add_co_ci_u32_e32 v11, vcc_lo, 0, v11, vcc_lo
	s_and_not1_b32 s24, s24, exec_lo
	s_and_b32 s25, s3, exec_lo
	s_and_not1_b32 s23, s23, exec_lo
	s_and_b32 s4, s4, exec_lo
	s_or_b32 s24, s24, s25
	s_and_not1_b32 s22, s22, exec_lo
	s_or_b32 s23, s23, s4
                                        ; implicit-def: $sgpr25
	s_branch .LBB878_480
.LBB878_483:
	s_set_inst_prefetch_distance 0x2
	s_or_b32 exec_lo, exec_lo, s20
	s_and_saveexec_b32 s3, s21
	s_delay_alu instid0(SALU_CYCLE_1)
	s_xor_b32 s3, exec_lo, s3
; %bb.484:
	v_cndmask_b32_e64 v8, v4, v2, s19
	v_cndmask_b32_e64 v9, v5, v3, s19
	;; [unrolled: 1-line block ×4, first 2 shown]
	s_delay_alu instid0(VALU_DEP_3)
	v_dual_mov_b32 v4, v8 :: v_dual_mov_b32 v5, v9
; %bb.485:
	s_or_b32 exec_lo, exec_lo, s3
.LBB878_486:
	s_delay_alu instid0(SALU_CYCLE_1)
	s_or_b32 exec_lo, exec_lo, s5
	v_mbcnt_lo_u32_b32 v8, -1, 0
	v_and_b32_e32 v9, 0xffffff80, v18
	v_cndmask_b32_e64 v18, 0, 1, s16
	s_mov_b32 s19, 0
	s_mov_b32 s20, exec_lo
	v_lshlrev_b32_e32 v21, 2, v8
	v_sub_nc_u32_e64 v20, s18, v9 clamp
	v_lshlrev_b32_e32 v19, 3, v9
	s_delay_alu instid0(VALU_DEP_3) | instskip(SKIP_2) | instid1(VALU_DEP_4)
	v_or_b32_e32 v10, 4, v21
	v_and_b32_e32 v11, 4, v21
	v_and_b32_e32 v29, 0x78, v21
	v_lshl_or_b32 v24, v8, 5, v19
	ds_store_b128 v24, v[0:3]
	ds_store_b128 v24, v[4:7] offset:16
	v_min_u32_e32 v25, v20, v10
	v_min_u32_e32 v30, v20, v11
	v_lshl_or_b32 v28, v29, 3, v19
	; wave barrier
	s_delay_alu instid0(VALU_DEP_3) | instskip(NEXT) | instid1(VALU_DEP_1)
	v_add_nc_u32_e32 v10, 4, v25
	v_min_u32_e32 v26, v20, v10
	v_sub_nc_u32_e32 v10, v25, v29
	s_delay_alu instid0(VALU_DEP_2) | instskip(NEXT) | instid1(VALU_DEP_2)
	v_sub_nc_u32_e32 v11, v26, v25
	v_min_u32_e32 v31, v30, v10
	s_delay_alu instid0(VALU_DEP_2) | instskip(NEXT) | instid1(VALU_DEP_1)
	v_sub_nc_u32_e64 v27, v30, v11 clamp
	v_cmpx_lt_u32_e64 v27, v31
	s_cbranch_execz .LBB878_496
; %bb.487:
	v_lshlrev_b32_e32 v8, 3, v25
	v_lshlrev_b32_e32 v9, 3, v30
	s_lshl_b64 s[4:5], s[8:9], 2
	s_delay_alu instid0(VALU_DEP_1)
	v_add3_u32 v32, v19, v8, v9
	s_branch .LBB878_490
.LBB878_488:                            ;   in Loop: Header=BB878_490 Depth=1
	s_set_inst_prefetch_distance 0x2
	s_or_b32 exec_lo, exec_lo, s22
.LBB878_489:                            ;   in Loop: Header=BB878_490 Depth=1
	s_delay_alu instid0(VALU_DEP_1) | instskip(SKIP_1) | instid1(VALU_DEP_2)
	v_add_nc_u32_e32 v8, 1, v33
	v_cndmask_b32_e64 v31, v31, v33, s21
	v_cndmask_b32_e64 v27, v8, v27, s21
	s_delay_alu instid0(VALU_DEP_1) | instskip(SKIP_1) | instid1(SALU_CYCLE_1)
	v_cmp_ge_u32_e32 vcc_lo, v27, v31
	s_or_b32 s19, vcc_lo, s19
	s_and_not1_b32 exec_lo, exec_lo, s19
	s_cbranch_execz .LBB878_495
.LBB878_490:                            ; =>This Loop Header: Depth=1
                                        ;     Child Loop BB878_493 Depth 2
	v_add_nc_u32_e32 v8, v31, v27
	s_and_not1_b32 vcc_lo, exec_lo, s16
	s_mov_b32 s21, 0
	s_delay_alu instid0(VALU_DEP_1)
	v_lshrrev_b32_e32 v33, 1, v8
	s_cbranch_vccnz .LBB878_489
; %bb.491:                              ;   in Loop: Header=BB878_490 Depth=1
	s_delay_alu instid0(VALU_DEP_1) | instskip(SKIP_3) | instid1(VALU_DEP_2)
	v_not_b32_e32 v8, v33
	v_lshl_add_u32 v9, v33, 3, v28
	s_mov_b32 s22, 0
	s_mov_b64 s[12:13], s[8:9]
                                        ; implicit-def: $sgpr21
                                        ; implicit-def: $sgpr23
                                        ; implicit-def: $sgpr24
                                        ; implicit-def: $sgpr25
                                        ; implicit-def: $sgpr26
	v_lshl_add_u32 v8, v8, 3, v32
	ds_load_b64 v[10:11], v8
	ds_load_b64 v[34:35], v9
	s_waitcnt lgkmcnt(1)
	v_mul_lo_u32 v36, s4, v11
	v_mul_lo_u32 v37, s5, v10
	v_mad_u64_u32 v[8:9], null, s4, v10, s[10:11]
	s_waitcnt lgkmcnt(0)
	v_mul_lo_u32 v35, s4, v35
	v_mul_lo_u32 v38, s5, v34
	v_mad_u64_u32 v[10:11], null, s4, v34, s[10:11]
	s_delay_alu instid0(VALU_DEP_4) | instskip(NEXT) | instid1(VALU_DEP_2)
	v_add3_u32 v9, v37, v9, v36
	v_add3_u32 v11, v38, v11, v35
	s_set_inst_prefetch_distance 0x1
	s_branch .LBB878_493
	.p2align	6
.LBB878_492:                            ;   in Loop: Header=BB878_493 Depth=2
	s_or_b32 exec_lo, exec_lo, s3
	s_delay_alu instid0(SALU_CYCLE_1) | instskip(NEXT) | instid1(SALU_CYCLE_1)
	s_and_b32 s3, exec_lo, s23
	s_or_b32 s22, s3, s22
	s_and_not1_b32 s3, s26, exec_lo
	s_and_b32 s26, s24, exec_lo
	s_and_not1_b32 s21, s21, exec_lo
	s_and_b32 s27, s25, exec_lo
	s_or_b32 s26, s3, s26
	s_or_b32 s21, s21, s27
	s_and_not1_b32 exec_lo, exec_lo, s22
	s_cbranch_execz .LBB878_488
.LBB878_493:                            ;   Parent Loop BB878_490 Depth=1
                                        ; =>  This Inner Loop Header: Depth=2
	global_load_b32 v34, v[8:9], off
	global_load_b32 v35, v[10:11], off
	s_and_not1_b32 s25, s25, exec_lo
	s_and_not1_b32 s24, s24, exec_lo
	s_or_b32 s23, s23, exec_lo
	s_waitcnt vmcnt(0)
	v_cmp_ngt_f32_e32 vcc_lo, v34, v35
	v_cmp_lt_f32_e64 s3, v34, v35
	s_and_b32 s27, vcc_lo, s26
	s_delay_alu instid0(VALU_DEP_1) | instid1(SALU_CYCLE_1)
	s_or_b32 s27, s3, s27
	s_delay_alu instid0(SALU_CYCLE_1) | instskip(NEXT) | instid1(SALU_CYCLE_1)
	s_and_b32 s3, s27, exec_lo
	s_or_b32 s25, s25, s3
	s_mov_b32 s3, exec_lo
	v_cmpx_nlg_f32_e32 v34, v35
	s_cbranch_execz .LBB878_492
; %bb.494:                              ;   in Loop: Header=BB878_493 Depth=2
	s_add_u32 s12, s12, -1
	s_addc_u32 s13, s13, -1
	v_add_co_u32 v8, vcc_lo, v8, 4
	v_add_co_ci_u32_e32 v9, vcc_lo, 0, v9, vcc_lo
	s_cmp_eq_u64 s[12:13], 0
	v_add_co_u32 v10, vcc_lo, v10, 4
	s_cselect_b32 s26, -1, 0
	v_add_co_ci_u32_e32 v11, vcc_lo, 0, v11, vcc_lo
	s_and_not1_b32 s24, s24, exec_lo
	s_and_b32 s27, s27, exec_lo
	s_and_not1_b32 s23, s23, exec_lo
	s_and_b32 s26, s26, exec_lo
	s_and_not1_b32 s25, s25, exec_lo
	s_or_b32 s24, s24, s27
	s_or_b32 s23, s23, s26
                                        ; implicit-def: $sgpr26
	s_branch .LBB878_492
.LBB878_495:
	s_or_b32 exec_lo, exec_lo, s19
.LBB878_496:
	s_delay_alu instid0(SALU_CYCLE_1) | instskip(SKIP_2) | instid1(VALU_DEP_2)
	s_or_b32 exec_lo, exec_lo, s20
	v_add_nc_u32_e32 v9, v25, v30
	v_add_nc_u32_e32 v8, v27, v29
	v_sub_nc_u32_e32 v9, v9, v27
	s_delay_alu instid0(VALU_DEP_2) | instskip(NEXT) | instid1(VALU_DEP_2)
	v_cmp_le_u32_e32 vcc_lo, v8, v25
	v_cmp_le_u32_e64 s3, v9, v26
	s_delay_alu instid0(VALU_DEP_1) | instskip(NEXT) | instid1(SALU_CYCLE_1)
	s_or_b32 s3, vcc_lo, s3
	s_and_saveexec_b32 s12, s3
	s_cbranch_execz .LBB878_532
; %bb.497:
	v_cmp_ge_u32_e32 vcc_lo, v8, v25
	s_mov_b32 s4, exec_lo
                                        ; implicit-def: $vgpr0_vgpr1
	v_cmpx_lt_u32_e64 v8, v25
	s_cbranch_execz .LBB878_499
; %bb.498:
	v_lshl_add_u32 v0, v27, 3, v28
	ds_load_b64 v[0:1], v0
.LBB878_499:
	s_or_b32 exec_lo, exec_lo, s4
	v_cmp_ge_u32_e64 s3, v9, v26
	s_mov_b32 s5, exec_lo
                                        ; implicit-def: $vgpr2_vgpr3
	v_cmpx_lt_u32_e64 v9, v26
	s_cbranch_execz .LBB878_501
; %bb.500:
	v_lshl_add_u32 v2, v9, 3, v19
	ds_load_b64 v[2:3], v2
.LBB878_501:
	s_or_b32 exec_lo, exec_lo, s5
	s_or_b32 s4, vcc_lo, s3
	s_xor_b32 s5, vcc_lo, -1
	s_or_b32 s4, s4, s14
	s_or_b32 s13, s3, s5
	s_xor_b32 s4, s4, -1
	s_delay_alu instid0(SALU_CYCLE_1)
	s_and_saveexec_b32 s16, s4
	s_cbranch_execz .LBB878_507
; %bb.502:
	s_waitcnt lgkmcnt(0)
	v_mul_lo_u32 v10, v3, s8
	v_mul_lo_u32 v11, v2, s9
	v_mad_u64_u32 v[4:5], null, v2, s8, 0
	v_mul_lo_u32 v27, v1, s8
	v_mul_lo_u32 v28, v0, s9
	v_mad_u64_u32 v[6:7], null, v0, s8, 0
	s_mov_b32 s19, 0
	s_mov_b64 s[4:5], s[8:9]
	s_delay_alu instid0(VALU_DEP_4) | instskip(NEXT) | instid1(VALU_DEP_2)
	v_add3_u32 v5, v5, v11, v10
                                        ; implicit-def: $sgpr20
                                        ; implicit-def: $sgpr21
                                        ; implicit-def: $sgpr22
                                        ; implicit-def: $sgpr23
                                        ; implicit-def: $sgpr24
	v_add3_u32 v7, v7, v28, v27
	s_delay_alu instid0(VALU_DEP_2) | instskip(NEXT) | instid1(VALU_DEP_2)
	v_lshlrev_b64 v[4:5], 2, v[4:5]
	v_lshlrev_b64 v[6:7], 2, v[6:7]
	s_delay_alu instid0(VALU_DEP_2) | instskip(NEXT) | instid1(VALU_DEP_3)
	v_add_co_u32 v4, vcc_lo, s10, v4
	v_add_co_ci_u32_e32 v5, vcc_lo, s11, v5, vcc_lo
	s_delay_alu instid0(VALU_DEP_3) | instskip(NEXT) | instid1(VALU_DEP_4)
	v_add_co_u32 v6, vcc_lo, s10, v6
	v_add_co_ci_u32_e32 v7, vcc_lo, s11, v7, vcc_lo
	s_set_inst_prefetch_distance 0x1
	s_branch .LBB878_504
	.p2align	6
.LBB878_503:                            ;   in Loop: Header=BB878_504 Depth=1
	s_or_b32 exec_lo, exec_lo, s3
	s_delay_alu instid0(SALU_CYCLE_1) | instskip(NEXT) | instid1(SALU_CYCLE_1)
	s_and_b32 s3, exec_lo, s21
	s_or_b32 s19, s3, s19
	s_and_not1_b32 s3, s24, exec_lo
	s_and_b32 s24, s23, exec_lo
	s_and_not1_b32 s20, s20, exec_lo
	s_and_b32 s25, s22, exec_lo
	s_or_b32 s24, s3, s24
	s_or_b32 s20, s20, s25
	s_and_not1_b32 exec_lo, exec_lo, s19
	s_cbranch_execz .LBB878_506
.LBB878_504:                            ; =>This Inner Loop Header: Depth=1
	global_load_b32 v10, v[4:5], off
	global_load_b32 v11, v[6:7], off
	s_and_not1_b32 s22, s22, exec_lo
	s_and_not1_b32 s23, s23, exec_lo
	s_or_b32 s21, s21, exec_lo
	s_waitcnt vmcnt(0)
	v_cmp_ngt_f32_e32 vcc_lo, v10, v11
	v_cmp_lt_f32_e64 s3, v10, v11
	s_and_b32 s25, vcc_lo, s24
	s_delay_alu instid0(VALU_DEP_1) | instid1(SALU_CYCLE_1)
	s_or_b32 s25, s3, s25
	s_delay_alu instid0(SALU_CYCLE_1) | instskip(NEXT) | instid1(SALU_CYCLE_1)
	s_and_b32 s3, s25, exec_lo
	s_or_b32 s22, s22, s3
	s_mov_b32 s3, exec_lo
	v_cmpx_nlg_f32_e32 v10, v11
	s_cbranch_execz .LBB878_503
; %bb.505:                              ;   in Loop: Header=BB878_504 Depth=1
	s_add_u32 s4, s4, -1
	s_addc_u32 s5, s5, -1
	v_add_co_u32 v4, vcc_lo, v4, 4
	s_cmp_eq_u64 s[4:5], 0
	v_add_co_ci_u32_e32 v5, vcc_lo, 0, v5, vcc_lo
	v_add_co_u32 v6, vcc_lo, v6, 4
	s_cselect_b32 s24, -1, 0
	v_add_co_ci_u32_e32 v7, vcc_lo, 0, v7, vcc_lo
	s_and_not1_b32 s23, s23, exec_lo
	s_and_b32 s25, s25, exec_lo
	s_and_not1_b32 s21, s21, exec_lo
	s_and_b32 s24, s24, exec_lo
	s_or_b32 s23, s23, s25
	s_and_not1_b32 s22, s22, exec_lo
	s_or_b32 s21, s21, s24
                                        ; implicit-def: $sgpr24
	s_branch .LBB878_503
.LBB878_506:
	s_set_inst_prefetch_distance 0x2
	s_or_b32 exec_lo, exec_lo, s19
	s_xor_b32 s3, s20, -1
	s_and_not1_b32 s4, s13, exec_lo
	s_and_b32 s3, s3, exec_lo
	s_delay_alu instid0(SALU_CYCLE_1)
	s_or_b32 s13, s4, s3
.LBB878_507:
	s_or_b32 exec_lo, exec_lo, s16
	v_cndmask_b32_e64 v4, v9, v8, s13
	v_cndmask_b32_e64 v5, v26, v25, s13
	s_mov_b32 s16, -1
	s_mov_b32 s19, -1
	s_mov_b32 s20, exec_lo
	v_add_nc_u32_e32 v6, 1, v4
	v_add_nc_u32_e32 v4, -1, v5
	s_delay_alu instid0(VALU_DEP_2) | instskip(NEXT) | instid1(VALU_DEP_2)
	v_cndmask_b32_e64 v9, v6, v9, s13
	v_min_u32_e32 v4, v6, v4
	v_cndmask_b32_e64 v8, v8, v6, s13
	s_delay_alu instid0(VALU_DEP_2)
	v_lshl_add_u32 v4, v4, 3, v19
	ds_load_b64 v[4:5], v4
	s_waitcnt lgkmcnt(0)
	v_cndmask_b32_e64 v10, v5, v3, s13
	v_cndmask_b32_e64 v11, v4, v2, s13
	v_cndmask_b32_e64 v27, v1, v5, s13
	v_cndmask_b32_e64 v28, v0, v4, s13
	v_cmpx_lt_u32_e64 v9, v26
	s_cbranch_execz .LBB878_515
; %bb.508:
	v_cmp_lt_u32_e64 s19, v8, v25
	s_delay_alu instid0(VALU_DEP_1) | instskip(NEXT) | instid1(SALU_CYCLE_1)
	s_and_b32 s3, s19, s15
	s_and_saveexec_b32 s21, s3
	s_cbranch_execz .LBB878_514
; %bb.509:
	v_mul_lo_u32 v29, v10, s8
	v_mul_lo_u32 v30, v11, s9
	v_mad_u64_u32 v[4:5], null, v11, s8, 0
	v_mul_lo_u32 v31, v27, s8
	v_mul_lo_u32 v32, v28, s9
	v_mad_u64_u32 v[6:7], null, v28, s8, 0
	s_mov_b32 s22, 0
	s_mov_b64 s[4:5], s[8:9]
	s_delay_alu instid0(VALU_DEP_4) | instskip(NEXT) | instid1(VALU_DEP_2)
	v_add3_u32 v5, v5, v30, v29
                                        ; implicit-def: $sgpr23
                                        ; implicit-def: $sgpr24
                                        ; implicit-def: $sgpr25
                                        ; implicit-def: $sgpr26
                                        ; implicit-def: $sgpr27
	v_add3_u32 v7, v7, v32, v31
	s_delay_alu instid0(VALU_DEP_2) | instskip(NEXT) | instid1(VALU_DEP_2)
	v_lshlrev_b64 v[4:5], 2, v[4:5]
	v_lshlrev_b64 v[6:7], 2, v[6:7]
	s_delay_alu instid0(VALU_DEP_2) | instskip(NEXT) | instid1(VALU_DEP_3)
	v_add_co_u32 v4, vcc_lo, s10, v4
	v_add_co_ci_u32_e32 v5, vcc_lo, s11, v5, vcc_lo
	s_delay_alu instid0(VALU_DEP_3) | instskip(NEXT) | instid1(VALU_DEP_4)
	v_add_co_u32 v6, vcc_lo, s10, v6
	v_add_co_ci_u32_e32 v7, vcc_lo, s11, v7, vcc_lo
	s_set_inst_prefetch_distance 0x1
	s_branch .LBB878_511
	.p2align	6
.LBB878_510:                            ;   in Loop: Header=BB878_511 Depth=1
	s_or_b32 exec_lo, exec_lo, s3
	s_delay_alu instid0(SALU_CYCLE_1) | instskip(NEXT) | instid1(SALU_CYCLE_1)
	s_and_b32 s3, exec_lo, s24
	s_or_b32 s22, s3, s22
	s_and_not1_b32 s3, s27, exec_lo
	s_and_b32 s27, s26, exec_lo
	s_and_not1_b32 s23, s23, exec_lo
	s_and_b32 s28, s25, exec_lo
	s_or_b32 s27, s3, s27
	s_or_b32 s23, s23, s28
	s_and_not1_b32 exec_lo, exec_lo, s22
	s_cbranch_execz .LBB878_513
.LBB878_511:                            ; =>This Inner Loop Header: Depth=1
	global_load_b32 v29, v[4:5], off
	global_load_b32 v30, v[6:7], off
	s_and_not1_b32 s25, s25, exec_lo
	s_and_not1_b32 s26, s26, exec_lo
	s_or_b32 s24, s24, exec_lo
	s_waitcnt vmcnt(0)
	v_cmp_ngt_f32_e32 vcc_lo, v29, v30
	v_cmp_lt_f32_e64 s3, v29, v30
	s_and_b32 s28, vcc_lo, s27
	s_delay_alu instid0(VALU_DEP_1) | instid1(SALU_CYCLE_1)
	s_or_b32 s28, s3, s28
	s_delay_alu instid0(SALU_CYCLE_1) | instskip(NEXT) | instid1(SALU_CYCLE_1)
	s_and_b32 s3, s28, exec_lo
	s_or_b32 s25, s25, s3
	s_mov_b32 s3, exec_lo
	v_cmpx_nlg_f32_e32 v29, v30
	s_cbranch_execz .LBB878_510
; %bb.512:                              ;   in Loop: Header=BB878_511 Depth=1
	s_add_u32 s4, s4, -1
	s_addc_u32 s5, s5, -1
	v_add_co_u32 v4, vcc_lo, v4, 4
	s_cmp_eq_u64 s[4:5], 0
	v_add_co_ci_u32_e32 v5, vcc_lo, 0, v5, vcc_lo
	v_add_co_u32 v6, vcc_lo, v6, 4
	s_cselect_b32 s27, -1, 0
	v_add_co_ci_u32_e32 v7, vcc_lo, 0, v7, vcc_lo
	s_and_not1_b32 s26, s26, exec_lo
	s_and_b32 s28, s28, exec_lo
	s_and_not1_b32 s24, s24, exec_lo
	s_and_b32 s27, s27, exec_lo
	s_or_b32 s26, s26, s28
	s_and_not1_b32 s25, s25, exec_lo
	s_or_b32 s24, s24, s27
                                        ; implicit-def: $sgpr27
	s_branch .LBB878_510
.LBB878_513:
	s_set_inst_prefetch_distance 0x2
	s_or_b32 exec_lo, exec_lo, s22
	s_xor_b32 s3, s23, -1
	s_and_not1_b32 s4, s19, exec_lo
	s_and_b32 s3, s3, exec_lo
	s_delay_alu instid0(SALU_CYCLE_1)
	s_or_b32 s19, s4, s3
.LBB878_514:
	s_or_b32 exec_lo, exec_lo, s21
	s_delay_alu instid0(SALU_CYCLE_1)
	s_or_not1_b32 s19, s19, exec_lo
.LBB878_515:
	s_or_b32 exec_lo, exec_lo, s20
	v_cndmask_b32_e64 v4, v9, v8, s19
	v_cndmask_b32_e64 v5, v26, v25, s19
	s_mov_b32 s20, exec_lo
	s_delay_alu instid0(VALU_DEP_2) | instskip(NEXT) | instid1(VALU_DEP_2)
	v_add_nc_u32_e32 v6, 1, v4
	v_add_nc_u32_e32 v4, -1, v5
	s_delay_alu instid0(VALU_DEP_2) | instskip(NEXT) | instid1(VALU_DEP_2)
	v_cndmask_b32_e64 v9, v6, v9, s19
	v_min_u32_e32 v4, v6, v4
	v_cndmask_b32_e64 v8, v8, v6, s19
	s_delay_alu instid0(VALU_DEP_2)
	v_lshl_add_u32 v4, v4, 3, v19
	ds_load_b64 v[4:5], v4
	s_waitcnt lgkmcnt(0)
	v_cndmask_b32_e64 v29, v5, v10, s19
	v_cndmask_b32_e64 v30, v4, v11, s19
	;; [unrolled: 1-line block ×4, first 2 shown]
	v_cmpx_lt_u32_e64 v9, v26
	s_cbranch_execz .LBB878_523
; %bb.516:
	v_cmp_lt_u32_e64 s16, v8, v25
	s_delay_alu instid0(VALU_DEP_1) | instskip(NEXT) | instid1(SALU_CYCLE_1)
	s_and_b32 s3, s16, s15
	s_and_saveexec_b32 s21, s3
	s_cbranch_execz .LBB878_522
; %bb.517:
	v_mul_lo_u32 v33, v29, s8
	v_mul_lo_u32 v34, v30, s9
	v_mad_u64_u32 v[4:5], null, v30, s8, 0
	v_mul_lo_u32 v35, v31, s8
	v_mul_lo_u32 v36, v32, s9
	v_mad_u64_u32 v[6:7], null, v32, s8, 0
	s_mov_b32 s22, 0
	s_mov_b64 s[4:5], s[8:9]
	s_delay_alu instid0(VALU_DEP_4) | instskip(NEXT) | instid1(VALU_DEP_2)
	v_add3_u32 v5, v5, v34, v33
                                        ; implicit-def: $sgpr23
                                        ; implicit-def: $sgpr24
                                        ; implicit-def: $sgpr25
                                        ; implicit-def: $sgpr26
                                        ; implicit-def: $sgpr27
	v_add3_u32 v7, v7, v36, v35
	s_delay_alu instid0(VALU_DEP_2) | instskip(NEXT) | instid1(VALU_DEP_2)
	v_lshlrev_b64 v[4:5], 2, v[4:5]
	v_lshlrev_b64 v[6:7], 2, v[6:7]
	s_delay_alu instid0(VALU_DEP_2) | instskip(NEXT) | instid1(VALU_DEP_3)
	v_add_co_u32 v4, vcc_lo, s10, v4
	v_add_co_ci_u32_e32 v5, vcc_lo, s11, v5, vcc_lo
	s_delay_alu instid0(VALU_DEP_3) | instskip(NEXT) | instid1(VALU_DEP_4)
	v_add_co_u32 v6, vcc_lo, s10, v6
	v_add_co_ci_u32_e32 v7, vcc_lo, s11, v7, vcc_lo
	s_set_inst_prefetch_distance 0x1
	s_branch .LBB878_519
	.p2align	6
.LBB878_518:                            ;   in Loop: Header=BB878_519 Depth=1
	s_or_b32 exec_lo, exec_lo, s3
	s_delay_alu instid0(SALU_CYCLE_1) | instskip(NEXT) | instid1(SALU_CYCLE_1)
	s_and_b32 s3, exec_lo, s24
	s_or_b32 s22, s3, s22
	s_and_not1_b32 s3, s27, exec_lo
	s_and_b32 s27, s26, exec_lo
	s_and_not1_b32 s23, s23, exec_lo
	s_and_b32 s28, s25, exec_lo
	s_or_b32 s27, s3, s27
	s_or_b32 s23, s23, s28
	s_and_not1_b32 exec_lo, exec_lo, s22
	s_cbranch_execz .LBB878_521
.LBB878_519:                            ; =>This Inner Loop Header: Depth=1
	global_load_b32 v33, v[4:5], off
	global_load_b32 v34, v[6:7], off
	s_and_not1_b32 s25, s25, exec_lo
	s_and_not1_b32 s26, s26, exec_lo
	s_or_b32 s24, s24, exec_lo
	s_waitcnt vmcnt(0)
	v_cmp_ngt_f32_e32 vcc_lo, v33, v34
	v_cmp_lt_f32_e64 s3, v33, v34
	s_and_b32 s28, vcc_lo, s27
	s_delay_alu instid0(VALU_DEP_1) | instid1(SALU_CYCLE_1)
	s_or_b32 s28, s3, s28
	s_delay_alu instid0(SALU_CYCLE_1) | instskip(NEXT) | instid1(SALU_CYCLE_1)
	s_and_b32 s3, s28, exec_lo
	s_or_b32 s25, s25, s3
	s_mov_b32 s3, exec_lo
	v_cmpx_nlg_f32_e32 v33, v34
	s_cbranch_execz .LBB878_518
; %bb.520:                              ;   in Loop: Header=BB878_519 Depth=1
	s_add_u32 s4, s4, -1
	s_addc_u32 s5, s5, -1
	v_add_co_u32 v4, vcc_lo, v4, 4
	s_cmp_eq_u64 s[4:5], 0
	v_add_co_ci_u32_e32 v5, vcc_lo, 0, v5, vcc_lo
	v_add_co_u32 v6, vcc_lo, v6, 4
	s_cselect_b32 s27, -1, 0
	v_add_co_ci_u32_e32 v7, vcc_lo, 0, v7, vcc_lo
	s_and_not1_b32 s26, s26, exec_lo
	s_and_b32 s28, s28, exec_lo
	s_and_not1_b32 s24, s24, exec_lo
	s_and_b32 s27, s27, exec_lo
	s_or_b32 s26, s26, s28
	s_and_not1_b32 s25, s25, exec_lo
	s_or_b32 s24, s24, s27
                                        ; implicit-def: $sgpr27
	s_branch .LBB878_518
.LBB878_521:
	s_set_inst_prefetch_distance 0x2
	s_or_b32 exec_lo, exec_lo, s22
	s_xor_b32 s3, s23, -1
	s_and_not1_b32 s4, s16, exec_lo
	s_and_b32 s3, s3, exec_lo
	s_delay_alu instid0(SALU_CYCLE_1)
	s_or_b32 s16, s4, s3
.LBB878_522:
	s_or_b32 exec_lo, exec_lo, s21
	s_delay_alu instid0(SALU_CYCLE_1)
	s_or_not1_b32 s16, s16, exec_lo
.LBB878_523:
	s_or_b32 exec_lo, exec_lo, s20
	v_cndmask_b32_e64 v4, v9, v8, s16
	v_cndmask_b32_e64 v5, v26, v25, s16
	s_mov_b32 s20, exec_lo
	s_delay_alu instid0(VALU_DEP_2) | instskip(NEXT) | instid1(VALU_DEP_2)
	v_add_nc_u32_e32 v33, 1, v4
	v_add_nc_u32_e32 v4, -1, v5
	s_delay_alu instid0(VALU_DEP_2) | instskip(NEXT) | instid1(VALU_DEP_2)
	v_cndmask_b32_e64 v9, v33, v9, s16
	v_min_u32_e32 v4, v33, v4
	s_delay_alu instid0(VALU_DEP_1)
	v_lshl_add_u32 v4, v4, 3, v19
	ds_load_b64 v[4:5], v4
	s_waitcnt lgkmcnt(0)
	v_cndmask_b32_e64 v7, v31, v5, s16
	v_cndmask_b32_e64 v6, v32, v4, s16
	v_cmpx_lt_u32_e64 v9, v26
	s_cbranch_execz .LBB878_531
; %bb.524:
	v_cndmask_b32_e64 v8, v8, v33, s16
	v_cndmask_b32_e64 v26, v5, v29, s16
	;; [unrolled: 1-line block ×3, first 2 shown]
	s_delay_alu instid0(VALU_DEP_3) | instskip(NEXT) | instid1(VALU_DEP_2)
	v_cmp_ge_u32_e32 vcc_lo, v8, v25
	v_dual_cndmask_b32 v5, v7, v26 :: v_dual_cndmask_b32 v4, v6, v33
	s_or_b32 s3, vcc_lo, s14
	s_delay_alu instid0(SALU_CYCLE_1) | instskip(NEXT) | instid1(SALU_CYCLE_1)
	s_xor_b32 s3, s3, -1
	s_and_saveexec_b32 s21, s3
	s_cbranch_execz .LBB878_530
; %bb.525:
	v_mul_lo_u32 v25, v26, s8
	v_mul_lo_u32 v34, v33, s9
	v_mad_u64_u32 v[4:5], null, v33, s8, 0
	v_mul_lo_u32 v35, v7, s8
	v_mul_lo_u32 v36, v6, s9
	v_mad_u64_u32 v[8:9], null, v6, s8, 0
	s_mov_b32 s22, 0
	s_mov_b64 s[4:5], s[8:9]
	s_delay_alu instid0(VALU_DEP_4) | instskip(NEXT) | instid1(VALU_DEP_2)
	v_add3_u32 v5, v5, v34, v25
                                        ; implicit-def: $sgpr23
                                        ; implicit-def: $sgpr24
                                        ; implicit-def: $sgpr25
                                        ; implicit-def: $sgpr26
                                        ; implicit-def: $sgpr27
	v_add3_u32 v9, v9, v36, v35
	s_delay_alu instid0(VALU_DEP_2) | instskip(NEXT) | instid1(VALU_DEP_2)
	v_lshlrev_b64 v[4:5], 2, v[4:5]
	v_lshlrev_b64 v[8:9], 2, v[8:9]
	s_delay_alu instid0(VALU_DEP_2) | instskip(NEXT) | instid1(VALU_DEP_3)
	v_add_co_u32 v4, vcc_lo, s10, v4
	v_add_co_ci_u32_e32 v5, vcc_lo, s11, v5, vcc_lo
	s_delay_alu instid0(VALU_DEP_3) | instskip(NEXT) | instid1(VALU_DEP_4)
	v_add_co_u32 v8, vcc_lo, s10, v8
	v_add_co_ci_u32_e32 v9, vcc_lo, s11, v9, vcc_lo
	s_set_inst_prefetch_distance 0x1
	s_branch .LBB878_527
	.p2align	6
.LBB878_526:                            ;   in Loop: Header=BB878_527 Depth=1
	s_or_b32 exec_lo, exec_lo, s3
	s_delay_alu instid0(SALU_CYCLE_1) | instskip(NEXT) | instid1(SALU_CYCLE_1)
	s_and_b32 s3, exec_lo, s24
	s_or_b32 s22, s3, s22
	s_and_not1_b32 s3, s27, exec_lo
	s_and_b32 s27, s26, exec_lo
	s_and_not1_b32 s23, s23, exec_lo
	s_and_b32 s28, s25, exec_lo
	s_or_b32 s27, s3, s27
	s_or_b32 s23, s23, s28
	s_and_not1_b32 exec_lo, exec_lo, s22
	s_cbranch_execz .LBB878_529
.LBB878_527:                            ; =>This Inner Loop Header: Depth=1
	global_load_b32 v25, v[4:5], off
	global_load_b32 v34, v[8:9], off
	s_and_not1_b32 s25, s25, exec_lo
	s_and_not1_b32 s26, s26, exec_lo
	s_or_b32 s24, s24, exec_lo
	s_waitcnt vmcnt(0)
	v_cmp_ngt_f32_e32 vcc_lo, v25, v34
	v_cmp_lt_f32_e64 s3, v25, v34
	s_and_b32 s28, vcc_lo, s27
	s_delay_alu instid0(VALU_DEP_1) | instid1(SALU_CYCLE_1)
	s_or_b32 s28, s3, s28
	s_delay_alu instid0(SALU_CYCLE_1) | instskip(NEXT) | instid1(SALU_CYCLE_1)
	s_and_b32 s3, s28, exec_lo
	s_or_b32 s25, s25, s3
	s_mov_b32 s3, exec_lo
	v_cmpx_nlg_f32_e32 v25, v34
	s_cbranch_execz .LBB878_526
; %bb.528:                              ;   in Loop: Header=BB878_527 Depth=1
	s_add_u32 s4, s4, -1
	s_addc_u32 s5, s5, -1
	v_add_co_u32 v4, vcc_lo, v4, 4
	s_cmp_eq_u64 s[4:5], 0
	v_add_co_ci_u32_e32 v5, vcc_lo, 0, v5, vcc_lo
	v_add_co_u32 v8, vcc_lo, v8, 4
	s_cselect_b32 s27, -1, 0
	v_add_co_ci_u32_e32 v9, vcc_lo, 0, v9, vcc_lo
	s_and_not1_b32 s26, s26, exec_lo
	s_and_b32 s28, s28, exec_lo
	s_and_not1_b32 s24, s24, exec_lo
	s_and_b32 s27, s27, exec_lo
	s_or_b32 s26, s26, s28
	s_and_not1_b32 s25, s25, exec_lo
	s_or_b32 s24, s24, s27
                                        ; implicit-def: $sgpr27
	s_branch .LBB878_526
.LBB878_529:
	s_set_inst_prefetch_distance 0x2
	s_or_b32 exec_lo, exec_lo, s22
	v_cndmask_b32_e64 v5, v7, v26, s23
	v_cndmask_b32_e64 v4, v6, v33, s23
.LBB878_530:
	s_or_b32 exec_lo, exec_lo, s21
	s_delay_alu instid0(VALU_DEP_1)
	v_dual_mov_b32 v7, v5 :: v_dual_mov_b32 v6, v4
.LBB878_531:
	s_or_b32 exec_lo, exec_lo, s20
	v_cndmask_b32_e64 v1, v3, v1, s13
	v_cndmask_b32_e64 v0, v2, v0, s13
	;; [unrolled: 1-line block ×6, first 2 shown]
.LBB878_532:
	s_or_b32 exec_lo, exec_lo, s12
	v_and_b32_e32 v29, 0x70, v21
	v_and_b32_e32 v9, 12, v21
	s_mov_b32 s16, exec_lo
	; wave barrier
	s_delay_alu instid0(VALU_DEP_2) | instskip(NEXT) | instid1(VALU_DEP_2)
	v_or_b32_e32 v8, 8, v29
	v_min_u32_e32 v30, v20, v9
	v_lshl_add_u32 v28, v29, 3, v19
	ds_store_b128 v24, v[0:3]
	ds_store_b128 v24, v[4:7] offset:16
	v_min_u32_e32 v25, v20, v8
	; wave barrier
	s_delay_alu instid0(VALU_DEP_1) | instskip(SKIP_1) | instid1(VALU_DEP_2)
	v_add_nc_u32_e32 v8, 8, v25
	v_sub_nc_u32_e32 v9, v25, v29
	v_min_u32_e32 v26, v20, v8
	s_delay_alu instid0(VALU_DEP_2) | instskip(NEXT) | instid1(VALU_DEP_2)
	v_min_u32_e32 v31, v30, v9
	v_sub_nc_u32_e32 v8, v26, v25
	s_delay_alu instid0(VALU_DEP_1) | instskip(NEXT) | instid1(VALU_DEP_1)
	v_sub_nc_u32_e64 v27, v30, v8 clamp
	v_cmpx_lt_u32_e64 v27, v31
	s_cbranch_execz .LBB878_542
; %bb.533:
	v_lshlrev_b32_e32 v8, 3, v25
	v_lshlrev_b32_e32 v9, 3, v30
	s_lshl_b64 s[4:5], s[8:9], 2
	s_mov_b32 s19, 0
	s_delay_alu instid0(VALU_DEP_1)
	v_add3_u32 v32, v19, v8, v9
	s_branch .LBB878_536
.LBB878_534:                            ;   in Loop: Header=BB878_536 Depth=1
	s_set_inst_prefetch_distance 0x2
	s_or_b32 exec_lo, exec_lo, s20
.LBB878_535:                            ;   in Loop: Header=BB878_536 Depth=1
	s_delay_alu instid0(VALU_DEP_1) | instskip(SKIP_1) | instid1(VALU_DEP_2)
	v_add_nc_u32_e32 v8, 1, v33
	v_cndmask_b32_e64 v31, v31, v33, s21
	v_cndmask_b32_e64 v27, v8, v27, s21
	s_delay_alu instid0(VALU_DEP_1) | instskip(SKIP_1) | instid1(SALU_CYCLE_1)
	v_cmp_ge_u32_e32 vcc_lo, v27, v31
	s_or_b32 s19, vcc_lo, s19
	s_and_not1_b32 exec_lo, exec_lo, s19
	s_cbranch_execz .LBB878_541
.LBB878_536:                            ; =>This Loop Header: Depth=1
                                        ;     Child Loop BB878_539 Depth 2
	v_add_nc_u32_e32 v8, v31, v27
	v_cmp_ne_u32_e32 vcc_lo, 1, v18
	s_mov_b32 s21, 0
	s_delay_alu instid0(VALU_DEP_2)
	v_lshrrev_b32_e32 v33, 1, v8
	s_cbranch_vccnz .LBB878_535
; %bb.537:                              ;   in Loop: Header=BB878_536 Depth=1
	s_delay_alu instid0(VALU_DEP_1) | instskip(SKIP_3) | instid1(VALU_DEP_2)
	v_not_b32_e32 v8, v33
	v_lshl_add_u32 v9, v33, 3, v28
	s_mov_b32 s20, 0
	s_mov_b64 s[12:13], s[8:9]
                                        ; implicit-def: $sgpr21
                                        ; implicit-def: $sgpr22
                                        ; implicit-def: $sgpr23
                                        ; implicit-def: $sgpr24
                                        ; implicit-def: $sgpr25
	v_lshl_add_u32 v8, v8, 3, v32
	ds_load_b64 v[10:11], v8
	ds_load_b64 v[34:35], v9
	s_waitcnt lgkmcnt(1)
	v_mul_lo_u32 v36, s4, v11
	v_mul_lo_u32 v37, s5, v10
	v_mad_u64_u32 v[8:9], null, s4, v10, s[10:11]
	s_waitcnt lgkmcnt(0)
	v_mul_lo_u32 v35, s4, v35
	v_mul_lo_u32 v38, s5, v34
	v_mad_u64_u32 v[10:11], null, s4, v34, s[10:11]
	s_delay_alu instid0(VALU_DEP_4) | instskip(NEXT) | instid1(VALU_DEP_2)
	v_add3_u32 v9, v37, v9, v36
	v_add3_u32 v11, v38, v11, v35
	s_set_inst_prefetch_distance 0x1
	s_branch .LBB878_539
	.p2align	6
.LBB878_538:                            ;   in Loop: Header=BB878_539 Depth=2
	s_or_b32 exec_lo, exec_lo, s26
	s_delay_alu instid0(SALU_CYCLE_1) | instskip(NEXT) | instid1(SALU_CYCLE_1)
	s_and_b32 s3, exec_lo, s22
	s_or_b32 s20, s3, s20
	s_and_not1_b32 s3, s25, exec_lo
	s_and_b32 s25, s23, exec_lo
	s_and_not1_b32 s21, s21, exec_lo
	s_and_b32 s26, s24, exec_lo
	s_or_b32 s25, s3, s25
	s_or_b32 s21, s21, s26
	s_and_not1_b32 exec_lo, exec_lo, s20
	s_cbranch_execz .LBB878_534
.LBB878_539:                            ;   Parent Loop BB878_536 Depth=1
                                        ; =>  This Inner Loop Header: Depth=2
	global_load_b32 v34, v[8:9], off
	global_load_b32 v35, v[10:11], off
	s_and_not1_b32 s24, s24, exec_lo
	s_and_not1_b32 s23, s23, exec_lo
	s_or_b32 s22, s22, exec_lo
	s_waitcnt vmcnt(0)
	v_cmp_ngt_f32_e32 vcc_lo, v34, v35
	v_cmp_lt_f32_e64 s3, v34, v35
	s_and_b32 s26, vcc_lo, s25
	s_delay_alu instid0(VALU_DEP_1) | instid1(SALU_CYCLE_1)
	s_or_b32 s3, s3, s26
	s_delay_alu instid0(SALU_CYCLE_1) | instskip(NEXT) | instid1(SALU_CYCLE_1)
	s_and_b32 s26, s3, exec_lo
	s_or_b32 s24, s24, s26
	s_mov_b32 s26, exec_lo
	v_cmpx_nlg_f32_e32 v34, v35
	s_cbranch_execz .LBB878_538
; %bb.540:                              ;   in Loop: Header=BB878_539 Depth=2
	s_add_u32 s12, s12, -1
	s_addc_u32 s13, s13, -1
	v_add_co_u32 v8, vcc_lo, v8, 4
	v_add_co_ci_u32_e32 v9, vcc_lo, 0, v9, vcc_lo
	s_cmp_eq_u64 s[12:13], 0
	v_add_co_u32 v10, vcc_lo, v10, 4
	s_cselect_b32 s25, -1, 0
	v_add_co_ci_u32_e32 v11, vcc_lo, 0, v11, vcc_lo
	s_and_not1_b32 s23, s23, exec_lo
	s_and_b32 s3, s3, exec_lo
	s_and_not1_b32 s22, s22, exec_lo
	s_and_b32 s25, s25, exec_lo
	s_and_not1_b32 s24, s24, exec_lo
	s_or_b32 s23, s23, s3
	s_or_b32 s22, s22, s25
                                        ; implicit-def: $sgpr25
	s_branch .LBB878_538
.LBB878_541:
	s_or_b32 exec_lo, exec_lo, s19
.LBB878_542:
	s_delay_alu instid0(SALU_CYCLE_1) | instskip(SKIP_2) | instid1(VALU_DEP_2)
	s_or_b32 exec_lo, exec_lo, s16
	v_add_nc_u32_e32 v9, v25, v30
	v_add_nc_u32_e32 v8, v27, v29
	v_sub_nc_u32_e32 v9, v9, v27
	s_delay_alu instid0(VALU_DEP_2) | instskip(NEXT) | instid1(VALU_DEP_2)
	v_cmp_le_u32_e32 vcc_lo, v8, v25
	v_cmp_le_u32_e64 s3, v9, v26
	s_delay_alu instid0(VALU_DEP_1) | instskip(NEXT) | instid1(SALU_CYCLE_1)
	s_or_b32 s3, vcc_lo, s3
	s_and_saveexec_b32 s12, s3
	s_cbranch_execz .LBB878_578
; %bb.543:
	v_cmp_ge_u32_e32 vcc_lo, v8, v25
	s_mov_b32 s4, exec_lo
                                        ; implicit-def: $vgpr0_vgpr1
	v_cmpx_lt_u32_e64 v8, v25
	s_cbranch_execz .LBB878_545
; %bb.544:
	v_lshl_add_u32 v0, v27, 3, v28
	ds_load_b64 v[0:1], v0
.LBB878_545:
	s_or_b32 exec_lo, exec_lo, s4
	v_cmp_ge_u32_e64 s3, v9, v26
	s_mov_b32 s5, exec_lo
                                        ; implicit-def: $vgpr2_vgpr3
	v_cmpx_lt_u32_e64 v9, v26
	s_cbranch_execz .LBB878_547
; %bb.546:
	v_lshl_add_u32 v2, v9, 3, v19
	ds_load_b64 v[2:3], v2
.LBB878_547:
	s_or_b32 exec_lo, exec_lo, s5
	s_or_b32 s4, vcc_lo, s3
	s_xor_b32 s5, vcc_lo, -1
	s_or_b32 s4, s4, s14
	s_or_b32 s13, s3, s5
	s_xor_b32 s4, s4, -1
	s_delay_alu instid0(SALU_CYCLE_1)
	s_and_saveexec_b32 s16, s4
	s_cbranch_execz .LBB878_553
; %bb.548:
	s_waitcnt lgkmcnt(0)
	v_mul_lo_u32 v10, v3, s8
	v_mul_lo_u32 v11, v2, s9
	v_mad_u64_u32 v[4:5], null, v2, s8, 0
	v_mul_lo_u32 v27, v1, s8
	v_mul_lo_u32 v28, v0, s9
	v_mad_u64_u32 v[6:7], null, v0, s8, 0
	s_mov_b32 s19, 0
	s_mov_b64 s[4:5], s[8:9]
	s_delay_alu instid0(VALU_DEP_4) | instskip(NEXT) | instid1(VALU_DEP_2)
	v_add3_u32 v5, v5, v11, v10
                                        ; implicit-def: $sgpr20
                                        ; implicit-def: $sgpr21
                                        ; implicit-def: $sgpr22
                                        ; implicit-def: $sgpr23
                                        ; implicit-def: $sgpr24
	v_add3_u32 v7, v7, v28, v27
	s_delay_alu instid0(VALU_DEP_2) | instskip(NEXT) | instid1(VALU_DEP_2)
	v_lshlrev_b64 v[4:5], 2, v[4:5]
	v_lshlrev_b64 v[6:7], 2, v[6:7]
	s_delay_alu instid0(VALU_DEP_2) | instskip(NEXT) | instid1(VALU_DEP_3)
	v_add_co_u32 v4, vcc_lo, s10, v4
	v_add_co_ci_u32_e32 v5, vcc_lo, s11, v5, vcc_lo
	s_delay_alu instid0(VALU_DEP_3) | instskip(NEXT) | instid1(VALU_DEP_4)
	v_add_co_u32 v6, vcc_lo, s10, v6
	v_add_co_ci_u32_e32 v7, vcc_lo, s11, v7, vcc_lo
	s_set_inst_prefetch_distance 0x1
	s_branch .LBB878_550
	.p2align	6
.LBB878_549:                            ;   in Loop: Header=BB878_550 Depth=1
	s_or_b32 exec_lo, exec_lo, s3
	s_delay_alu instid0(SALU_CYCLE_1) | instskip(NEXT) | instid1(SALU_CYCLE_1)
	s_and_b32 s3, exec_lo, s21
	s_or_b32 s19, s3, s19
	s_and_not1_b32 s3, s24, exec_lo
	s_and_b32 s24, s23, exec_lo
	s_and_not1_b32 s20, s20, exec_lo
	s_and_b32 s25, s22, exec_lo
	s_or_b32 s24, s3, s24
	s_or_b32 s20, s20, s25
	s_and_not1_b32 exec_lo, exec_lo, s19
	s_cbranch_execz .LBB878_552
.LBB878_550:                            ; =>This Inner Loop Header: Depth=1
	global_load_b32 v10, v[4:5], off
	global_load_b32 v11, v[6:7], off
	s_and_not1_b32 s22, s22, exec_lo
	s_and_not1_b32 s23, s23, exec_lo
	s_or_b32 s21, s21, exec_lo
	s_waitcnt vmcnt(0)
	v_cmp_ngt_f32_e32 vcc_lo, v10, v11
	v_cmp_lt_f32_e64 s3, v10, v11
	s_and_b32 s25, vcc_lo, s24
	s_delay_alu instid0(VALU_DEP_1) | instid1(SALU_CYCLE_1)
	s_or_b32 s25, s3, s25
	s_delay_alu instid0(SALU_CYCLE_1) | instskip(NEXT) | instid1(SALU_CYCLE_1)
	s_and_b32 s3, s25, exec_lo
	s_or_b32 s22, s22, s3
	s_mov_b32 s3, exec_lo
	v_cmpx_nlg_f32_e32 v10, v11
	s_cbranch_execz .LBB878_549
; %bb.551:                              ;   in Loop: Header=BB878_550 Depth=1
	s_add_u32 s4, s4, -1
	s_addc_u32 s5, s5, -1
	v_add_co_u32 v4, vcc_lo, v4, 4
	s_cmp_eq_u64 s[4:5], 0
	v_add_co_ci_u32_e32 v5, vcc_lo, 0, v5, vcc_lo
	v_add_co_u32 v6, vcc_lo, v6, 4
	s_cselect_b32 s24, -1, 0
	v_add_co_ci_u32_e32 v7, vcc_lo, 0, v7, vcc_lo
	s_and_not1_b32 s23, s23, exec_lo
	s_and_b32 s25, s25, exec_lo
	s_and_not1_b32 s21, s21, exec_lo
	s_and_b32 s24, s24, exec_lo
	s_or_b32 s23, s23, s25
	s_and_not1_b32 s22, s22, exec_lo
	s_or_b32 s21, s21, s24
                                        ; implicit-def: $sgpr24
	s_branch .LBB878_549
.LBB878_552:
	s_set_inst_prefetch_distance 0x2
	s_or_b32 exec_lo, exec_lo, s19
	s_xor_b32 s3, s20, -1
	s_and_not1_b32 s4, s13, exec_lo
	s_and_b32 s3, s3, exec_lo
	s_delay_alu instid0(SALU_CYCLE_1)
	s_or_b32 s13, s4, s3
.LBB878_553:
	s_or_b32 exec_lo, exec_lo, s16
	v_cndmask_b32_e64 v4, v9, v8, s13
	v_cndmask_b32_e64 v5, v26, v25, s13
	s_mov_b32 s16, -1
	s_mov_b32 s19, -1
	s_mov_b32 s20, exec_lo
	v_add_nc_u32_e32 v6, 1, v4
	v_add_nc_u32_e32 v4, -1, v5
	s_delay_alu instid0(VALU_DEP_2) | instskip(NEXT) | instid1(VALU_DEP_2)
	v_cndmask_b32_e64 v9, v6, v9, s13
	v_min_u32_e32 v4, v6, v4
	v_cndmask_b32_e64 v8, v8, v6, s13
	s_delay_alu instid0(VALU_DEP_2)
	v_lshl_add_u32 v4, v4, 3, v19
	ds_load_b64 v[4:5], v4
	s_waitcnt lgkmcnt(0)
	v_cndmask_b32_e64 v10, v5, v3, s13
	v_cndmask_b32_e64 v11, v4, v2, s13
	v_cndmask_b32_e64 v27, v1, v5, s13
	v_cndmask_b32_e64 v28, v0, v4, s13
	v_cmpx_lt_u32_e64 v9, v26
	s_cbranch_execz .LBB878_561
; %bb.554:
	v_cmp_lt_u32_e64 s19, v8, v25
	s_delay_alu instid0(VALU_DEP_1) | instskip(NEXT) | instid1(SALU_CYCLE_1)
	s_and_b32 s3, s19, s15
	s_and_saveexec_b32 s21, s3
	s_cbranch_execz .LBB878_560
; %bb.555:
	v_mul_lo_u32 v29, v10, s8
	v_mul_lo_u32 v30, v11, s9
	v_mad_u64_u32 v[4:5], null, v11, s8, 0
	v_mul_lo_u32 v31, v27, s8
	v_mul_lo_u32 v32, v28, s9
	v_mad_u64_u32 v[6:7], null, v28, s8, 0
	s_mov_b32 s22, 0
	s_mov_b64 s[4:5], s[8:9]
	s_delay_alu instid0(VALU_DEP_4) | instskip(NEXT) | instid1(VALU_DEP_2)
	v_add3_u32 v5, v5, v30, v29
                                        ; implicit-def: $sgpr23
                                        ; implicit-def: $sgpr24
                                        ; implicit-def: $sgpr25
                                        ; implicit-def: $sgpr26
                                        ; implicit-def: $sgpr27
	v_add3_u32 v7, v7, v32, v31
	s_delay_alu instid0(VALU_DEP_2) | instskip(NEXT) | instid1(VALU_DEP_2)
	v_lshlrev_b64 v[4:5], 2, v[4:5]
	v_lshlrev_b64 v[6:7], 2, v[6:7]
	s_delay_alu instid0(VALU_DEP_2) | instskip(NEXT) | instid1(VALU_DEP_3)
	v_add_co_u32 v4, vcc_lo, s10, v4
	v_add_co_ci_u32_e32 v5, vcc_lo, s11, v5, vcc_lo
	s_delay_alu instid0(VALU_DEP_3) | instskip(NEXT) | instid1(VALU_DEP_4)
	v_add_co_u32 v6, vcc_lo, s10, v6
	v_add_co_ci_u32_e32 v7, vcc_lo, s11, v7, vcc_lo
	s_set_inst_prefetch_distance 0x1
	s_branch .LBB878_557
	.p2align	6
.LBB878_556:                            ;   in Loop: Header=BB878_557 Depth=1
	s_or_b32 exec_lo, exec_lo, s3
	s_delay_alu instid0(SALU_CYCLE_1) | instskip(NEXT) | instid1(SALU_CYCLE_1)
	s_and_b32 s3, exec_lo, s24
	s_or_b32 s22, s3, s22
	s_and_not1_b32 s3, s27, exec_lo
	s_and_b32 s27, s26, exec_lo
	s_and_not1_b32 s23, s23, exec_lo
	s_and_b32 s28, s25, exec_lo
	s_or_b32 s27, s3, s27
	s_or_b32 s23, s23, s28
	s_and_not1_b32 exec_lo, exec_lo, s22
	s_cbranch_execz .LBB878_559
.LBB878_557:                            ; =>This Inner Loop Header: Depth=1
	global_load_b32 v29, v[4:5], off
	global_load_b32 v30, v[6:7], off
	s_and_not1_b32 s25, s25, exec_lo
	s_and_not1_b32 s26, s26, exec_lo
	s_or_b32 s24, s24, exec_lo
	s_waitcnt vmcnt(0)
	v_cmp_ngt_f32_e32 vcc_lo, v29, v30
	v_cmp_lt_f32_e64 s3, v29, v30
	s_and_b32 s28, vcc_lo, s27
	s_delay_alu instid0(VALU_DEP_1) | instid1(SALU_CYCLE_1)
	s_or_b32 s28, s3, s28
	s_delay_alu instid0(SALU_CYCLE_1) | instskip(NEXT) | instid1(SALU_CYCLE_1)
	s_and_b32 s3, s28, exec_lo
	s_or_b32 s25, s25, s3
	s_mov_b32 s3, exec_lo
	v_cmpx_nlg_f32_e32 v29, v30
	s_cbranch_execz .LBB878_556
; %bb.558:                              ;   in Loop: Header=BB878_557 Depth=1
	s_add_u32 s4, s4, -1
	s_addc_u32 s5, s5, -1
	v_add_co_u32 v4, vcc_lo, v4, 4
	s_cmp_eq_u64 s[4:5], 0
	v_add_co_ci_u32_e32 v5, vcc_lo, 0, v5, vcc_lo
	v_add_co_u32 v6, vcc_lo, v6, 4
	s_cselect_b32 s27, -1, 0
	v_add_co_ci_u32_e32 v7, vcc_lo, 0, v7, vcc_lo
	s_and_not1_b32 s26, s26, exec_lo
	s_and_b32 s28, s28, exec_lo
	s_and_not1_b32 s24, s24, exec_lo
	s_and_b32 s27, s27, exec_lo
	s_or_b32 s26, s26, s28
	s_and_not1_b32 s25, s25, exec_lo
	s_or_b32 s24, s24, s27
                                        ; implicit-def: $sgpr27
	s_branch .LBB878_556
.LBB878_559:
	s_set_inst_prefetch_distance 0x2
	s_or_b32 exec_lo, exec_lo, s22
	s_xor_b32 s3, s23, -1
	s_and_not1_b32 s4, s19, exec_lo
	s_and_b32 s3, s3, exec_lo
	s_delay_alu instid0(SALU_CYCLE_1)
	s_or_b32 s19, s4, s3
.LBB878_560:
	s_or_b32 exec_lo, exec_lo, s21
	s_delay_alu instid0(SALU_CYCLE_1)
	s_or_not1_b32 s19, s19, exec_lo
.LBB878_561:
	s_or_b32 exec_lo, exec_lo, s20
	v_cndmask_b32_e64 v4, v9, v8, s19
	v_cndmask_b32_e64 v5, v26, v25, s19
	s_mov_b32 s20, exec_lo
	s_delay_alu instid0(VALU_DEP_2) | instskip(NEXT) | instid1(VALU_DEP_2)
	v_add_nc_u32_e32 v6, 1, v4
	v_add_nc_u32_e32 v4, -1, v5
	s_delay_alu instid0(VALU_DEP_2) | instskip(NEXT) | instid1(VALU_DEP_2)
	v_cndmask_b32_e64 v9, v6, v9, s19
	v_min_u32_e32 v4, v6, v4
	v_cndmask_b32_e64 v8, v8, v6, s19
	s_delay_alu instid0(VALU_DEP_2)
	v_lshl_add_u32 v4, v4, 3, v19
	ds_load_b64 v[4:5], v4
	s_waitcnt lgkmcnt(0)
	v_cndmask_b32_e64 v29, v5, v10, s19
	v_cndmask_b32_e64 v30, v4, v11, s19
	;; [unrolled: 1-line block ×4, first 2 shown]
	v_cmpx_lt_u32_e64 v9, v26
	s_cbranch_execz .LBB878_569
; %bb.562:
	v_cmp_lt_u32_e64 s16, v8, v25
	s_delay_alu instid0(VALU_DEP_1) | instskip(NEXT) | instid1(SALU_CYCLE_1)
	s_and_b32 s3, s16, s15
	s_and_saveexec_b32 s21, s3
	s_cbranch_execz .LBB878_568
; %bb.563:
	v_mul_lo_u32 v33, v29, s8
	v_mul_lo_u32 v34, v30, s9
	v_mad_u64_u32 v[4:5], null, v30, s8, 0
	v_mul_lo_u32 v35, v31, s8
	v_mul_lo_u32 v36, v32, s9
	v_mad_u64_u32 v[6:7], null, v32, s8, 0
	s_mov_b32 s22, 0
	s_mov_b64 s[4:5], s[8:9]
	s_delay_alu instid0(VALU_DEP_4) | instskip(NEXT) | instid1(VALU_DEP_2)
	v_add3_u32 v5, v5, v34, v33
                                        ; implicit-def: $sgpr23
                                        ; implicit-def: $sgpr24
                                        ; implicit-def: $sgpr25
                                        ; implicit-def: $sgpr26
                                        ; implicit-def: $sgpr27
	v_add3_u32 v7, v7, v36, v35
	s_delay_alu instid0(VALU_DEP_2) | instskip(NEXT) | instid1(VALU_DEP_2)
	v_lshlrev_b64 v[4:5], 2, v[4:5]
	v_lshlrev_b64 v[6:7], 2, v[6:7]
	s_delay_alu instid0(VALU_DEP_2) | instskip(NEXT) | instid1(VALU_DEP_3)
	v_add_co_u32 v4, vcc_lo, s10, v4
	v_add_co_ci_u32_e32 v5, vcc_lo, s11, v5, vcc_lo
	s_delay_alu instid0(VALU_DEP_3) | instskip(NEXT) | instid1(VALU_DEP_4)
	v_add_co_u32 v6, vcc_lo, s10, v6
	v_add_co_ci_u32_e32 v7, vcc_lo, s11, v7, vcc_lo
	s_set_inst_prefetch_distance 0x1
	s_branch .LBB878_565
	.p2align	6
.LBB878_564:                            ;   in Loop: Header=BB878_565 Depth=1
	s_or_b32 exec_lo, exec_lo, s3
	s_delay_alu instid0(SALU_CYCLE_1) | instskip(NEXT) | instid1(SALU_CYCLE_1)
	s_and_b32 s3, exec_lo, s24
	s_or_b32 s22, s3, s22
	s_and_not1_b32 s3, s27, exec_lo
	s_and_b32 s27, s26, exec_lo
	s_and_not1_b32 s23, s23, exec_lo
	s_and_b32 s28, s25, exec_lo
	s_or_b32 s27, s3, s27
	s_or_b32 s23, s23, s28
	s_and_not1_b32 exec_lo, exec_lo, s22
	s_cbranch_execz .LBB878_567
.LBB878_565:                            ; =>This Inner Loop Header: Depth=1
	global_load_b32 v33, v[4:5], off
	global_load_b32 v34, v[6:7], off
	s_and_not1_b32 s25, s25, exec_lo
	s_and_not1_b32 s26, s26, exec_lo
	s_or_b32 s24, s24, exec_lo
	s_waitcnt vmcnt(0)
	v_cmp_ngt_f32_e32 vcc_lo, v33, v34
	v_cmp_lt_f32_e64 s3, v33, v34
	s_and_b32 s28, vcc_lo, s27
	s_delay_alu instid0(VALU_DEP_1) | instid1(SALU_CYCLE_1)
	s_or_b32 s28, s3, s28
	s_delay_alu instid0(SALU_CYCLE_1) | instskip(NEXT) | instid1(SALU_CYCLE_1)
	s_and_b32 s3, s28, exec_lo
	s_or_b32 s25, s25, s3
	s_mov_b32 s3, exec_lo
	v_cmpx_nlg_f32_e32 v33, v34
	s_cbranch_execz .LBB878_564
; %bb.566:                              ;   in Loop: Header=BB878_565 Depth=1
	s_add_u32 s4, s4, -1
	s_addc_u32 s5, s5, -1
	v_add_co_u32 v4, vcc_lo, v4, 4
	s_cmp_eq_u64 s[4:5], 0
	v_add_co_ci_u32_e32 v5, vcc_lo, 0, v5, vcc_lo
	v_add_co_u32 v6, vcc_lo, v6, 4
	s_cselect_b32 s27, -1, 0
	v_add_co_ci_u32_e32 v7, vcc_lo, 0, v7, vcc_lo
	s_and_not1_b32 s26, s26, exec_lo
	s_and_b32 s28, s28, exec_lo
	s_and_not1_b32 s24, s24, exec_lo
	s_and_b32 s27, s27, exec_lo
	s_or_b32 s26, s26, s28
	s_and_not1_b32 s25, s25, exec_lo
	s_or_b32 s24, s24, s27
                                        ; implicit-def: $sgpr27
	s_branch .LBB878_564
.LBB878_567:
	s_set_inst_prefetch_distance 0x2
	s_or_b32 exec_lo, exec_lo, s22
	s_xor_b32 s3, s23, -1
	s_and_not1_b32 s4, s16, exec_lo
	s_and_b32 s3, s3, exec_lo
	s_delay_alu instid0(SALU_CYCLE_1)
	s_or_b32 s16, s4, s3
.LBB878_568:
	s_or_b32 exec_lo, exec_lo, s21
	s_delay_alu instid0(SALU_CYCLE_1)
	s_or_not1_b32 s16, s16, exec_lo
.LBB878_569:
	s_or_b32 exec_lo, exec_lo, s20
	v_cndmask_b32_e64 v4, v9, v8, s16
	v_cndmask_b32_e64 v5, v26, v25, s16
	s_mov_b32 s20, exec_lo
	s_delay_alu instid0(VALU_DEP_2) | instskip(NEXT) | instid1(VALU_DEP_2)
	v_add_nc_u32_e32 v33, 1, v4
	v_add_nc_u32_e32 v4, -1, v5
	s_delay_alu instid0(VALU_DEP_2) | instskip(NEXT) | instid1(VALU_DEP_2)
	v_cndmask_b32_e64 v9, v33, v9, s16
	v_min_u32_e32 v4, v33, v4
	s_delay_alu instid0(VALU_DEP_1)
	v_lshl_add_u32 v4, v4, 3, v19
	ds_load_b64 v[4:5], v4
	s_waitcnt lgkmcnt(0)
	v_cndmask_b32_e64 v7, v31, v5, s16
	v_cndmask_b32_e64 v6, v32, v4, s16
	v_cmpx_lt_u32_e64 v9, v26
	s_cbranch_execz .LBB878_577
; %bb.570:
	v_cndmask_b32_e64 v8, v8, v33, s16
	v_cndmask_b32_e64 v26, v5, v29, s16
	;; [unrolled: 1-line block ×3, first 2 shown]
	s_delay_alu instid0(VALU_DEP_3) | instskip(NEXT) | instid1(VALU_DEP_2)
	v_cmp_ge_u32_e32 vcc_lo, v8, v25
	v_dual_cndmask_b32 v5, v7, v26 :: v_dual_cndmask_b32 v4, v6, v33
	s_or_b32 s3, vcc_lo, s14
	s_delay_alu instid0(SALU_CYCLE_1) | instskip(NEXT) | instid1(SALU_CYCLE_1)
	s_xor_b32 s3, s3, -1
	s_and_saveexec_b32 s21, s3
	s_cbranch_execz .LBB878_576
; %bb.571:
	v_mul_lo_u32 v25, v26, s8
	v_mul_lo_u32 v34, v33, s9
	v_mad_u64_u32 v[4:5], null, v33, s8, 0
	v_mul_lo_u32 v35, v7, s8
	v_mul_lo_u32 v36, v6, s9
	v_mad_u64_u32 v[8:9], null, v6, s8, 0
	s_mov_b32 s22, 0
	s_mov_b64 s[4:5], s[8:9]
	s_delay_alu instid0(VALU_DEP_4) | instskip(NEXT) | instid1(VALU_DEP_2)
	v_add3_u32 v5, v5, v34, v25
                                        ; implicit-def: $sgpr23
                                        ; implicit-def: $sgpr24
                                        ; implicit-def: $sgpr25
                                        ; implicit-def: $sgpr26
                                        ; implicit-def: $sgpr27
	v_add3_u32 v9, v9, v36, v35
	s_delay_alu instid0(VALU_DEP_2) | instskip(NEXT) | instid1(VALU_DEP_2)
	v_lshlrev_b64 v[4:5], 2, v[4:5]
	v_lshlrev_b64 v[8:9], 2, v[8:9]
	s_delay_alu instid0(VALU_DEP_2) | instskip(NEXT) | instid1(VALU_DEP_3)
	v_add_co_u32 v4, vcc_lo, s10, v4
	v_add_co_ci_u32_e32 v5, vcc_lo, s11, v5, vcc_lo
	s_delay_alu instid0(VALU_DEP_3) | instskip(NEXT) | instid1(VALU_DEP_4)
	v_add_co_u32 v8, vcc_lo, s10, v8
	v_add_co_ci_u32_e32 v9, vcc_lo, s11, v9, vcc_lo
	s_set_inst_prefetch_distance 0x1
	s_branch .LBB878_573
	.p2align	6
.LBB878_572:                            ;   in Loop: Header=BB878_573 Depth=1
	s_or_b32 exec_lo, exec_lo, s3
	s_delay_alu instid0(SALU_CYCLE_1) | instskip(NEXT) | instid1(SALU_CYCLE_1)
	s_and_b32 s3, exec_lo, s24
	s_or_b32 s22, s3, s22
	s_and_not1_b32 s3, s27, exec_lo
	s_and_b32 s27, s26, exec_lo
	s_and_not1_b32 s23, s23, exec_lo
	s_and_b32 s28, s25, exec_lo
	s_or_b32 s27, s3, s27
	s_or_b32 s23, s23, s28
	s_and_not1_b32 exec_lo, exec_lo, s22
	s_cbranch_execz .LBB878_575
.LBB878_573:                            ; =>This Inner Loop Header: Depth=1
	global_load_b32 v25, v[4:5], off
	global_load_b32 v34, v[8:9], off
	s_and_not1_b32 s25, s25, exec_lo
	s_and_not1_b32 s26, s26, exec_lo
	s_or_b32 s24, s24, exec_lo
	s_waitcnt vmcnt(0)
	v_cmp_ngt_f32_e32 vcc_lo, v25, v34
	v_cmp_lt_f32_e64 s3, v25, v34
	s_and_b32 s28, vcc_lo, s27
	s_delay_alu instid0(VALU_DEP_1) | instid1(SALU_CYCLE_1)
	s_or_b32 s28, s3, s28
	s_delay_alu instid0(SALU_CYCLE_1) | instskip(NEXT) | instid1(SALU_CYCLE_1)
	s_and_b32 s3, s28, exec_lo
	s_or_b32 s25, s25, s3
	s_mov_b32 s3, exec_lo
	v_cmpx_nlg_f32_e32 v25, v34
	s_cbranch_execz .LBB878_572
; %bb.574:                              ;   in Loop: Header=BB878_573 Depth=1
	s_add_u32 s4, s4, -1
	s_addc_u32 s5, s5, -1
	v_add_co_u32 v4, vcc_lo, v4, 4
	s_cmp_eq_u64 s[4:5], 0
	v_add_co_ci_u32_e32 v5, vcc_lo, 0, v5, vcc_lo
	v_add_co_u32 v8, vcc_lo, v8, 4
	s_cselect_b32 s27, -1, 0
	v_add_co_ci_u32_e32 v9, vcc_lo, 0, v9, vcc_lo
	s_and_not1_b32 s26, s26, exec_lo
	s_and_b32 s28, s28, exec_lo
	s_and_not1_b32 s24, s24, exec_lo
	s_and_b32 s27, s27, exec_lo
	s_or_b32 s26, s26, s28
	s_and_not1_b32 s25, s25, exec_lo
	s_or_b32 s24, s24, s27
                                        ; implicit-def: $sgpr27
	s_branch .LBB878_572
.LBB878_575:
	s_set_inst_prefetch_distance 0x2
	s_or_b32 exec_lo, exec_lo, s22
	v_cndmask_b32_e64 v5, v7, v26, s23
	v_cndmask_b32_e64 v4, v6, v33, s23
.LBB878_576:
	s_or_b32 exec_lo, exec_lo, s21
	s_delay_alu instid0(VALU_DEP_1)
	v_dual_mov_b32 v7, v5 :: v_dual_mov_b32 v6, v4
.LBB878_577:
	s_or_b32 exec_lo, exec_lo, s20
	v_cndmask_b32_e64 v1, v3, v1, s13
	v_cndmask_b32_e64 v0, v2, v0, s13
	;; [unrolled: 1-line block ×6, first 2 shown]
.LBB878_578:
	s_or_b32 exec_lo, exec_lo, s12
	v_and_b32_e32 v29, 0x60, v21
	v_and_b32_e32 v9, 28, v21
	s_mov_b32 s16, exec_lo
	; wave barrier
	s_delay_alu instid0(VALU_DEP_2) | instskip(NEXT) | instid1(VALU_DEP_2)
	v_or_b32_e32 v8, 16, v29
	v_min_u32_e32 v30, v20, v9
	v_lshl_add_u32 v28, v29, 3, v19
	ds_store_b128 v24, v[0:3]
	ds_store_b128 v24, v[4:7] offset:16
	v_min_u32_e32 v25, v20, v8
	; wave barrier
	s_delay_alu instid0(VALU_DEP_1) | instskip(SKIP_1) | instid1(VALU_DEP_2)
	v_add_nc_u32_e32 v8, 16, v25
	v_sub_nc_u32_e32 v9, v25, v29
	v_min_u32_e32 v26, v20, v8
	s_delay_alu instid0(VALU_DEP_2) | instskip(NEXT) | instid1(VALU_DEP_2)
	v_min_u32_e32 v31, v30, v9
	v_sub_nc_u32_e32 v8, v26, v25
	s_delay_alu instid0(VALU_DEP_1) | instskip(NEXT) | instid1(VALU_DEP_1)
	v_sub_nc_u32_e64 v27, v30, v8 clamp
	v_cmpx_lt_u32_e64 v27, v31
	s_cbranch_execz .LBB878_588
; %bb.579:
	v_lshlrev_b32_e32 v8, 3, v25
	v_lshlrev_b32_e32 v9, 3, v30
	s_lshl_b64 s[4:5], s[8:9], 2
	s_mov_b32 s19, 0
	s_delay_alu instid0(VALU_DEP_1)
	v_add3_u32 v32, v19, v8, v9
	s_branch .LBB878_582
.LBB878_580:                            ;   in Loop: Header=BB878_582 Depth=1
	s_set_inst_prefetch_distance 0x2
	s_or_b32 exec_lo, exec_lo, s20
.LBB878_581:                            ;   in Loop: Header=BB878_582 Depth=1
	s_delay_alu instid0(VALU_DEP_1) | instskip(SKIP_1) | instid1(VALU_DEP_2)
	v_add_nc_u32_e32 v8, 1, v33
	v_cndmask_b32_e64 v31, v31, v33, s21
	v_cndmask_b32_e64 v27, v8, v27, s21
	s_delay_alu instid0(VALU_DEP_1) | instskip(SKIP_1) | instid1(SALU_CYCLE_1)
	v_cmp_ge_u32_e32 vcc_lo, v27, v31
	s_or_b32 s19, vcc_lo, s19
	s_and_not1_b32 exec_lo, exec_lo, s19
	s_cbranch_execz .LBB878_587
.LBB878_582:                            ; =>This Loop Header: Depth=1
                                        ;     Child Loop BB878_585 Depth 2
	v_add_nc_u32_e32 v8, v31, v27
	v_cmp_ne_u32_e32 vcc_lo, 1, v18
	s_mov_b32 s21, 0
	s_delay_alu instid0(VALU_DEP_2)
	v_lshrrev_b32_e32 v33, 1, v8
	s_cbranch_vccnz .LBB878_581
; %bb.583:                              ;   in Loop: Header=BB878_582 Depth=1
	s_delay_alu instid0(VALU_DEP_1) | instskip(SKIP_3) | instid1(VALU_DEP_2)
	v_not_b32_e32 v8, v33
	v_lshl_add_u32 v9, v33, 3, v28
	s_mov_b32 s20, 0
	s_mov_b64 s[12:13], s[8:9]
                                        ; implicit-def: $sgpr21
                                        ; implicit-def: $sgpr22
                                        ; implicit-def: $sgpr23
                                        ; implicit-def: $sgpr24
                                        ; implicit-def: $sgpr25
	v_lshl_add_u32 v8, v8, 3, v32
	ds_load_b64 v[10:11], v8
	ds_load_b64 v[34:35], v9
	s_waitcnt lgkmcnt(1)
	v_mul_lo_u32 v36, s4, v11
	v_mul_lo_u32 v37, s5, v10
	v_mad_u64_u32 v[8:9], null, s4, v10, s[10:11]
	s_waitcnt lgkmcnt(0)
	v_mul_lo_u32 v35, s4, v35
	v_mul_lo_u32 v38, s5, v34
	v_mad_u64_u32 v[10:11], null, s4, v34, s[10:11]
	s_delay_alu instid0(VALU_DEP_4) | instskip(NEXT) | instid1(VALU_DEP_2)
	v_add3_u32 v9, v37, v9, v36
	v_add3_u32 v11, v38, v11, v35
	s_set_inst_prefetch_distance 0x1
	s_branch .LBB878_585
	.p2align	6
.LBB878_584:                            ;   in Loop: Header=BB878_585 Depth=2
	s_or_b32 exec_lo, exec_lo, s26
	s_delay_alu instid0(SALU_CYCLE_1) | instskip(NEXT) | instid1(SALU_CYCLE_1)
	s_and_b32 s3, exec_lo, s22
	s_or_b32 s20, s3, s20
	s_and_not1_b32 s3, s25, exec_lo
	s_and_b32 s25, s23, exec_lo
	s_and_not1_b32 s21, s21, exec_lo
	s_and_b32 s26, s24, exec_lo
	s_or_b32 s25, s3, s25
	s_or_b32 s21, s21, s26
	s_and_not1_b32 exec_lo, exec_lo, s20
	s_cbranch_execz .LBB878_580
.LBB878_585:                            ;   Parent Loop BB878_582 Depth=1
                                        ; =>  This Inner Loop Header: Depth=2
	global_load_b32 v34, v[8:9], off
	global_load_b32 v35, v[10:11], off
	s_and_not1_b32 s24, s24, exec_lo
	s_and_not1_b32 s23, s23, exec_lo
	s_or_b32 s22, s22, exec_lo
	s_waitcnt vmcnt(0)
	v_cmp_ngt_f32_e32 vcc_lo, v34, v35
	v_cmp_lt_f32_e64 s3, v34, v35
	s_and_b32 s26, vcc_lo, s25
	s_delay_alu instid0(VALU_DEP_1) | instid1(SALU_CYCLE_1)
	s_or_b32 s3, s3, s26
	s_delay_alu instid0(SALU_CYCLE_1) | instskip(NEXT) | instid1(SALU_CYCLE_1)
	s_and_b32 s26, s3, exec_lo
	s_or_b32 s24, s24, s26
	s_mov_b32 s26, exec_lo
	v_cmpx_nlg_f32_e32 v34, v35
	s_cbranch_execz .LBB878_584
; %bb.586:                              ;   in Loop: Header=BB878_585 Depth=2
	s_add_u32 s12, s12, -1
	s_addc_u32 s13, s13, -1
	v_add_co_u32 v8, vcc_lo, v8, 4
	v_add_co_ci_u32_e32 v9, vcc_lo, 0, v9, vcc_lo
	s_cmp_eq_u64 s[12:13], 0
	v_add_co_u32 v10, vcc_lo, v10, 4
	s_cselect_b32 s25, -1, 0
	v_add_co_ci_u32_e32 v11, vcc_lo, 0, v11, vcc_lo
	s_and_not1_b32 s23, s23, exec_lo
	s_and_b32 s3, s3, exec_lo
	s_and_not1_b32 s22, s22, exec_lo
	s_and_b32 s25, s25, exec_lo
	s_and_not1_b32 s24, s24, exec_lo
	s_or_b32 s23, s23, s3
	s_or_b32 s22, s22, s25
                                        ; implicit-def: $sgpr25
	s_branch .LBB878_584
.LBB878_587:
	s_or_b32 exec_lo, exec_lo, s19
.LBB878_588:
	s_delay_alu instid0(SALU_CYCLE_1) | instskip(SKIP_2) | instid1(VALU_DEP_2)
	s_or_b32 exec_lo, exec_lo, s16
	v_add_nc_u32_e32 v9, v25, v30
	v_add_nc_u32_e32 v8, v27, v29
	v_sub_nc_u32_e32 v9, v9, v27
	s_delay_alu instid0(VALU_DEP_2) | instskip(NEXT) | instid1(VALU_DEP_2)
	v_cmp_le_u32_e32 vcc_lo, v8, v25
	v_cmp_le_u32_e64 s3, v9, v26
	s_delay_alu instid0(VALU_DEP_1) | instskip(NEXT) | instid1(SALU_CYCLE_1)
	s_or_b32 s3, vcc_lo, s3
	s_and_saveexec_b32 s12, s3
	s_cbranch_execz .LBB878_624
; %bb.589:
	v_cmp_ge_u32_e32 vcc_lo, v8, v25
	s_mov_b32 s4, exec_lo
                                        ; implicit-def: $vgpr0_vgpr1
	v_cmpx_lt_u32_e64 v8, v25
	s_cbranch_execz .LBB878_591
; %bb.590:
	v_lshl_add_u32 v0, v27, 3, v28
	ds_load_b64 v[0:1], v0
.LBB878_591:
	s_or_b32 exec_lo, exec_lo, s4
	v_cmp_ge_u32_e64 s3, v9, v26
	s_mov_b32 s5, exec_lo
                                        ; implicit-def: $vgpr2_vgpr3
	v_cmpx_lt_u32_e64 v9, v26
	s_cbranch_execz .LBB878_593
; %bb.592:
	v_lshl_add_u32 v2, v9, 3, v19
	ds_load_b64 v[2:3], v2
.LBB878_593:
	s_or_b32 exec_lo, exec_lo, s5
	s_or_b32 s4, vcc_lo, s3
	s_xor_b32 s5, vcc_lo, -1
	s_or_b32 s4, s4, s14
	s_or_b32 s13, s3, s5
	s_xor_b32 s4, s4, -1
	s_delay_alu instid0(SALU_CYCLE_1)
	s_and_saveexec_b32 s16, s4
	s_cbranch_execz .LBB878_599
; %bb.594:
	s_waitcnt lgkmcnt(0)
	v_mul_lo_u32 v10, v3, s8
	v_mul_lo_u32 v11, v2, s9
	v_mad_u64_u32 v[4:5], null, v2, s8, 0
	v_mul_lo_u32 v27, v1, s8
	v_mul_lo_u32 v28, v0, s9
	v_mad_u64_u32 v[6:7], null, v0, s8, 0
	s_mov_b32 s19, 0
	s_mov_b64 s[4:5], s[8:9]
	s_delay_alu instid0(VALU_DEP_4) | instskip(NEXT) | instid1(VALU_DEP_2)
	v_add3_u32 v5, v5, v11, v10
                                        ; implicit-def: $sgpr20
                                        ; implicit-def: $sgpr21
                                        ; implicit-def: $sgpr22
                                        ; implicit-def: $sgpr23
                                        ; implicit-def: $sgpr24
	v_add3_u32 v7, v7, v28, v27
	s_delay_alu instid0(VALU_DEP_2) | instskip(NEXT) | instid1(VALU_DEP_2)
	v_lshlrev_b64 v[4:5], 2, v[4:5]
	v_lshlrev_b64 v[6:7], 2, v[6:7]
	s_delay_alu instid0(VALU_DEP_2) | instskip(NEXT) | instid1(VALU_DEP_3)
	v_add_co_u32 v4, vcc_lo, s10, v4
	v_add_co_ci_u32_e32 v5, vcc_lo, s11, v5, vcc_lo
	s_delay_alu instid0(VALU_DEP_3) | instskip(NEXT) | instid1(VALU_DEP_4)
	v_add_co_u32 v6, vcc_lo, s10, v6
	v_add_co_ci_u32_e32 v7, vcc_lo, s11, v7, vcc_lo
	s_set_inst_prefetch_distance 0x1
	s_branch .LBB878_596
	.p2align	6
.LBB878_595:                            ;   in Loop: Header=BB878_596 Depth=1
	s_or_b32 exec_lo, exec_lo, s3
	s_delay_alu instid0(SALU_CYCLE_1) | instskip(NEXT) | instid1(SALU_CYCLE_1)
	s_and_b32 s3, exec_lo, s21
	s_or_b32 s19, s3, s19
	s_and_not1_b32 s3, s24, exec_lo
	s_and_b32 s24, s23, exec_lo
	s_and_not1_b32 s20, s20, exec_lo
	s_and_b32 s25, s22, exec_lo
	s_or_b32 s24, s3, s24
	s_or_b32 s20, s20, s25
	s_and_not1_b32 exec_lo, exec_lo, s19
	s_cbranch_execz .LBB878_598
.LBB878_596:                            ; =>This Inner Loop Header: Depth=1
	global_load_b32 v10, v[4:5], off
	global_load_b32 v11, v[6:7], off
	s_and_not1_b32 s22, s22, exec_lo
	s_and_not1_b32 s23, s23, exec_lo
	s_or_b32 s21, s21, exec_lo
	s_waitcnt vmcnt(0)
	v_cmp_ngt_f32_e32 vcc_lo, v10, v11
	v_cmp_lt_f32_e64 s3, v10, v11
	s_and_b32 s25, vcc_lo, s24
	s_delay_alu instid0(VALU_DEP_1) | instid1(SALU_CYCLE_1)
	s_or_b32 s25, s3, s25
	s_delay_alu instid0(SALU_CYCLE_1) | instskip(NEXT) | instid1(SALU_CYCLE_1)
	s_and_b32 s3, s25, exec_lo
	s_or_b32 s22, s22, s3
	s_mov_b32 s3, exec_lo
	v_cmpx_nlg_f32_e32 v10, v11
	s_cbranch_execz .LBB878_595
; %bb.597:                              ;   in Loop: Header=BB878_596 Depth=1
	s_add_u32 s4, s4, -1
	s_addc_u32 s5, s5, -1
	v_add_co_u32 v4, vcc_lo, v4, 4
	s_cmp_eq_u64 s[4:5], 0
	v_add_co_ci_u32_e32 v5, vcc_lo, 0, v5, vcc_lo
	v_add_co_u32 v6, vcc_lo, v6, 4
	s_cselect_b32 s24, -1, 0
	v_add_co_ci_u32_e32 v7, vcc_lo, 0, v7, vcc_lo
	s_and_not1_b32 s23, s23, exec_lo
	s_and_b32 s25, s25, exec_lo
	s_and_not1_b32 s21, s21, exec_lo
	s_and_b32 s24, s24, exec_lo
	s_or_b32 s23, s23, s25
	s_and_not1_b32 s22, s22, exec_lo
	s_or_b32 s21, s21, s24
                                        ; implicit-def: $sgpr24
	s_branch .LBB878_595
.LBB878_598:
	s_set_inst_prefetch_distance 0x2
	s_or_b32 exec_lo, exec_lo, s19
	s_xor_b32 s3, s20, -1
	s_and_not1_b32 s4, s13, exec_lo
	s_and_b32 s3, s3, exec_lo
	s_delay_alu instid0(SALU_CYCLE_1)
	s_or_b32 s13, s4, s3
.LBB878_599:
	s_or_b32 exec_lo, exec_lo, s16
	v_cndmask_b32_e64 v4, v9, v8, s13
	v_cndmask_b32_e64 v5, v26, v25, s13
	s_mov_b32 s16, -1
	s_mov_b32 s19, -1
	s_mov_b32 s20, exec_lo
	v_add_nc_u32_e32 v6, 1, v4
	v_add_nc_u32_e32 v4, -1, v5
	s_delay_alu instid0(VALU_DEP_2) | instskip(NEXT) | instid1(VALU_DEP_2)
	v_cndmask_b32_e64 v9, v6, v9, s13
	v_min_u32_e32 v4, v6, v4
	v_cndmask_b32_e64 v8, v8, v6, s13
	s_delay_alu instid0(VALU_DEP_2)
	v_lshl_add_u32 v4, v4, 3, v19
	ds_load_b64 v[4:5], v4
	s_waitcnt lgkmcnt(0)
	v_cndmask_b32_e64 v10, v5, v3, s13
	v_cndmask_b32_e64 v11, v4, v2, s13
	;; [unrolled: 1-line block ×4, first 2 shown]
	v_cmpx_lt_u32_e64 v9, v26
	s_cbranch_execz .LBB878_607
; %bb.600:
	v_cmp_lt_u32_e64 s19, v8, v25
	s_delay_alu instid0(VALU_DEP_1) | instskip(NEXT) | instid1(SALU_CYCLE_1)
	s_and_b32 s3, s19, s15
	s_and_saveexec_b32 s21, s3
	s_cbranch_execz .LBB878_606
; %bb.601:
	v_mul_lo_u32 v29, v10, s8
	v_mul_lo_u32 v30, v11, s9
	v_mad_u64_u32 v[4:5], null, v11, s8, 0
	v_mul_lo_u32 v31, v27, s8
	v_mul_lo_u32 v32, v28, s9
	v_mad_u64_u32 v[6:7], null, v28, s8, 0
	s_mov_b32 s22, 0
	s_mov_b64 s[4:5], s[8:9]
	s_delay_alu instid0(VALU_DEP_4) | instskip(NEXT) | instid1(VALU_DEP_2)
	v_add3_u32 v5, v5, v30, v29
                                        ; implicit-def: $sgpr23
                                        ; implicit-def: $sgpr24
                                        ; implicit-def: $sgpr25
                                        ; implicit-def: $sgpr26
                                        ; implicit-def: $sgpr27
	v_add3_u32 v7, v7, v32, v31
	s_delay_alu instid0(VALU_DEP_2) | instskip(NEXT) | instid1(VALU_DEP_2)
	v_lshlrev_b64 v[4:5], 2, v[4:5]
	v_lshlrev_b64 v[6:7], 2, v[6:7]
	s_delay_alu instid0(VALU_DEP_2) | instskip(NEXT) | instid1(VALU_DEP_3)
	v_add_co_u32 v4, vcc_lo, s10, v4
	v_add_co_ci_u32_e32 v5, vcc_lo, s11, v5, vcc_lo
	s_delay_alu instid0(VALU_DEP_3) | instskip(NEXT) | instid1(VALU_DEP_4)
	v_add_co_u32 v6, vcc_lo, s10, v6
	v_add_co_ci_u32_e32 v7, vcc_lo, s11, v7, vcc_lo
	s_set_inst_prefetch_distance 0x1
	s_branch .LBB878_603
	.p2align	6
.LBB878_602:                            ;   in Loop: Header=BB878_603 Depth=1
	s_or_b32 exec_lo, exec_lo, s3
	s_delay_alu instid0(SALU_CYCLE_1) | instskip(NEXT) | instid1(SALU_CYCLE_1)
	s_and_b32 s3, exec_lo, s24
	s_or_b32 s22, s3, s22
	s_and_not1_b32 s3, s27, exec_lo
	s_and_b32 s27, s26, exec_lo
	s_and_not1_b32 s23, s23, exec_lo
	s_and_b32 s28, s25, exec_lo
	s_or_b32 s27, s3, s27
	s_or_b32 s23, s23, s28
	s_and_not1_b32 exec_lo, exec_lo, s22
	s_cbranch_execz .LBB878_605
.LBB878_603:                            ; =>This Inner Loop Header: Depth=1
	global_load_b32 v29, v[4:5], off
	global_load_b32 v30, v[6:7], off
	s_and_not1_b32 s25, s25, exec_lo
	s_and_not1_b32 s26, s26, exec_lo
	s_or_b32 s24, s24, exec_lo
	s_waitcnt vmcnt(0)
	v_cmp_ngt_f32_e32 vcc_lo, v29, v30
	v_cmp_lt_f32_e64 s3, v29, v30
	s_and_b32 s28, vcc_lo, s27
	s_delay_alu instid0(VALU_DEP_1) | instid1(SALU_CYCLE_1)
	s_or_b32 s28, s3, s28
	s_delay_alu instid0(SALU_CYCLE_1) | instskip(NEXT) | instid1(SALU_CYCLE_1)
	s_and_b32 s3, s28, exec_lo
	s_or_b32 s25, s25, s3
	s_mov_b32 s3, exec_lo
	v_cmpx_nlg_f32_e32 v29, v30
	s_cbranch_execz .LBB878_602
; %bb.604:                              ;   in Loop: Header=BB878_603 Depth=1
	s_add_u32 s4, s4, -1
	s_addc_u32 s5, s5, -1
	v_add_co_u32 v4, vcc_lo, v4, 4
	s_cmp_eq_u64 s[4:5], 0
	v_add_co_ci_u32_e32 v5, vcc_lo, 0, v5, vcc_lo
	v_add_co_u32 v6, vcc_lo, v6, 4
	s_cselect_b32 s27, -1, 0
	v_add_co_ci_u32_e32 v7, vcc_lo, 0, v7, vcc_lo
	s_and_not1_b32 s26, s26, exec_lo
	s_and_b32 s28, s28, exec_lo
	s_and_not1_b32 s24, s24, exec_lo
	s_and_b32 s27, s27, exec_lo
	s_or_b32 s26, s26, s28
	s_and_not1_b32 s25, s25, exec_lo
	s_or_b32 s24, s24, s27
                                        ; implicit-def: $sgpr27
	s_branch .LBB878_602
.LBB878_605:
	s_set_inst_prefetch_distance 0x2
	s_or_b32 exec_lo, exec_lo, s22
	s_xor_b32 s3, s23, -1
	s_and_not1_b32 s4, s19, exec_lo
	s_and_b32 s3, s3, exec_lo
	s_delay_alu instid0(SALU_CYCLE_1)
	s_or_b32 s19, s4, s3
.LBB878_606:
	s_or_b32 exec_lo, exec_lo, s21
	s_delay_alu instid0(SALU_CYCLE_1)
	s_or_not1_b32 s19, s19, exec_lo
.LBB878_607:
	s_or_b32 exec_lo, exec_lo, s20
	v_cndmask_b32_e64 v4, v9, v8, s19
	v_cndmask_b32_e64 v5, v26, v25, s19
	s_mov_b32 s20, exec_lo
	s_delay_alu instid0(VALU_DEP_2) | instskip(NEXT) | instid1(VALU_DEP_2)
	v_add_nc_u32_e32 v6, 1, v4
	v_add_nc_u32_e32 v4, -1, v5
	s_delay_alu instid0(VALU_DEP_2) | instskip(NEXT) | instid1(VALU_DEP_2)
	v_cndmask_b32_e64 v9, v6, v9, s19
	v_min_u32_e32 v4, v6, v4
	v_cndmask_b32_e64 v8, v8, v6, s19
	s_delay_alu instid0(VALU_DEP_2)
	v_lshl_add_u32 v4, v4, 3, v19
	ds_load_b64 v[4:5], v4
	s_waitcnt lgkmcnt(0)
	v_cndmask_b32_e64 v29, v5, v10, s19
	v_cndmask_b32_e64 v30, v4, v11, s19
	;; [unrolled: 1-line block ×4, first 2 shown]
	v_cmpx_lt_u32_e64 v9, v26
	s_cbranch_execz .LBB878_615
; %bb.608:
	v_cmp_lt_u32_e64 s16, v8, v25
	s_delay_alu instid0(VALU_DEP_1) | instskip(NEXT) | instid1(SALU_CYCLE_1)
	s_and_b32 s3, s16, s15
	s_and_saveexec_b32 s21, s3
	s_cbranch_execz .LBB878_614
; %bb.609:
	v_mul_lo_u32 v33, v29, s8
	v_mul_lo_u32 v34, v30, s9
	v_mad_u64_u32 v[4:5], null, v30, s8, 0
	v_mul_lo_u32 v35, v31, s8
	v_mul_lo_u32 v36, v32, s9
	v_mad_u64_u32 v[6:7], null, v32, s8, 0
	s_mov_b32 s22, 0
	s_mov_b64 s[4:5], s[8:9]
	s_delay_alu instid0(VALU_DEP_4) | instskip(NEXT) | instid1(VALU_DEP_2)
	v_add3_u32 v5, v5, v34, v33
                                        ; implicit-def: $sgpr23
                                        ; implicit-def: $sgpr24
                                        ; implicit-def: $sgpr25
                                        ; implicit-def: $sgpr26
                                        ; implicit-def: $sgpr27
	v_add3_u32 v7, v7, v36, v35
	s_delay_alu instid0(VALU_DEP_2) | instskip(NEXT) | instid1(VALU_DEP_2)
	v_lshlrev_b64 v[4:5], 2, v[4:5]
	v_lshlrev_b64 v[6:7], 2, v[6:7]
	s_delay_alu instid0(VALU_DEP_2) | instskip(NEXT) | instid1(VALU_DEP_3)
	v_add_co_u32 v4, vcc_lo, s10, v4
	v_add_co_ci_u32_e32 v5, vcc_lo, s11, v5, vcc_lo
	s_delay_alu instid0(VALU_DEP_3) | instskip(NEXT) | instid1(VALU_DEP_4)
	v_add_co_u32 v6, vcc_lo, s10, v6
	v_add_co_ci_u32_e32 v7, vcc_lo, s11, v7, vcc_lo
	s_set_inst_prefetch_distance 0x1
	s_branch .LBB878_611
	.p2align	6
.LBB878_610:                            ;   in Loop: Header=BB878_611 Depth=1
	s_or_b32 exec_lo, exec_lo, s3
	s_delay_alu instid0(SALU_CYCLE_1) | instskip(NEXT) | instid1(SALU_CYCLE_1)
	s_and_b32 s3, exec_lo, s24
	s_or_b32 s22, s3, s22
	s_and_not1_b32 s3, s27, exec_lo
	s_and_b32 s27, s26, exec_lo
	s_and_not1_b32 s23, s23, exec_lo
	s_and_b32 s28, s25, exec_lo
	s_or_b32 s27, s3, s27
	s_or_b32 s23, s23, s28
	s_and_not1_b32 exec_lo, exec_lo, s22
	s_cbranch_execz .LBB878_613
.LBB878_611:                            ; =>This Inner Loop Header: Depth=1
	global_load_b32 v33, v[4:5], off
	global_load_b32 v34, v[6:7], off
	s_and_not1_b32 s25, s25, exec_lo
	s_and_not1_b32 s26, s26, exec_lo
	s_or_b32 s24, s24, exec_lo
	s_waitcnt vmcnt(0)
	v_cmp_ngt_f32_e32 vcc_lo, v33, v34
	v_cmp_lt_f32_e64 s3, v33, v34
	s_and_b32 s28, vcc_lo, s27
	s_delay_alu instid0(VALU_DEP_1) | instid1(SALU_CYCLE_1)
	s_or_b32 s28, s3, s28
	s_delay_alu instid0(SALU_CYCLE_1) | instskip(NEXT) | instid1(SALU_CYCLE_1)
	s_and_b32 s3, s28, exec_lo
	s_or_b32 s25, s25, s3
	s_mov_b32 s3, exec_lo
	v_cmpx_nlg_f32_e32 v33, v34
	s_cbranch_execz .LBB878_610
; %bb.612:                              ;   in Loop: Header=BB878_611 Depth=1
	s_add_u32 s4, s4, -1
	s_addc_u32 s5, s5, -1
	v_add_co_u32 v4, vcc_lo, v4, 4
	s_cmp_eq_u64 s[4:5], 0
	v_add_co_ci_u32_e32 v5, vcc_lo, 0, v5, vcc_lo
	v_add_co_u32 v6, vcc_lo, v6, 4
	s_cselect_b32 s27, -1, 0
	v_add_co_ci_u32_e32 v7, vcc_lo, 0, v7, vcc_lo
	s_and_not1_b32 s26, s26, exec_lo
	s_and_b32 s28, s28, exec_lo
	s_and_not1_b32 s24, s24, exec_lo
	s_and_b32 s27, s27, exec_lo
	s_or_b32 s26, s26, s28
	s_and_not1_b32 s25, s25, exec_lo
	s_or_b32 s24, s24, s27
                                        ; implicit-def: $sgpr27
	s_branch .LBB878_610
.LBB878_613:
	s_set_inst_prefetch_distance 0x2
	s_or_b32 exec_lo, exec_lo, s22
	s_xor_b32 s3, s23, -1
	s_and_not1_b32 s4, s16, exec_lo
	s_and_b32 s3, s3, exec_lo
	s_delay_alu instid0(SALU_CYCLE_1)
	s_or_b32 s16, s4, s3
.LBB878_614:
	s_or_b32 exec_lo, exec_lo, s21
	s_delay_alu instid0(SALU_CYCLE_1)
	s_or_not1_b32 s16, s16, exec_lo
.LBB878_615:
	s_or_b32 exec_lo, exec_lo, s20
	v_cndmask_b32_e64 v4, v9, v8, s16
	v_cndmask_b32_e64 v5, v26, v25, s16
	s_mov_b32 s20, exec_lo
	s_delay_alu instid0(VALU_DEP_2) | instskip(NEXT) | instid1(VALU_DEP_2)
	v_add_nc_u32_e32 v33, 1, v4
	v_add_nc_u32_e32 v4, -1, v5
	s_delay_alu instid0(VALU_DEP_2) | instskip(NEXT) | instid1(VALU_DEP_2)
	v_cndmask_b32_e64 v9, v33, v9, s16
	v_min_u32_e32 v4, v33, v4
	s_delay_alu instid0(VALU_DEP_1)
	v_lshl_add_u32 v4, v4, 3, v19
	ds_load_b64 v[4:5], v4
	s_waitcnt lgkmcnt(0)
	v_cndmask_b32_e64 v7, v31, v5, s16
	v_cndmask_b32_e64 v6, v32, v4, s16
	v_cmpx_lt_u32_e64 v9, v26
	s_cbranch_execz .LBB878_623
; %bb.616:
	v_cndmask_b32_e64 v8, v8, v33, s16
	v_cndmask_b32_e64 v26, v5, v29, s16
	;; [unrolled: 1-line block ×3, first 2 shown]
	s_delay_alu instid0(VALU_DEP_3) | instskip(NEXT) | instid1(VALU_DEP_2)
	v_cmp_ge_u32_e32 vcc_lo, v8, v25
	v_dual_cndmask_b32 v5, v7, v26 :: v_dual_cndmask_b32 v4, v6, v33
	s_or_b32 s3, vcc_lo, s14
	s_delay_alu instid0(SALU_CYCLE_1) | instskip(NEXT) | instid1(SALU_CYCLE_1)
	s_xor_b32 s3, s3, -1
	s_and_saveexec_b32 s21, s3
	s_cbranch_execz .LBB878_622
; %bb.617:
	v_mul_lo_u32 v25, v26, s8
	v_mul_lo_u32 v34, v33, s9
	v_mad_u64_u32 v[4:5], null, v33, s8, 0
	v_mul_lo_u32 v35, v7, s8
	v_mul_lo_u32 v36, v6, s9
	v_mad_u64_u32 v[8:9], null, v6, s8, 0
	s_mov_b32 s22, 0
	s_mov_b64 s[4:5], s[8:9]
	s_delay_alu instid0(VALU_DEP_4) | instskip(NEXT) | instid1(VALU_DEP_2)
	v_add3_u32 v5, v5, v34, v25
                                        ; implicit-def: $sgpr23
                                        ; implicit-def: $sgpr24
                                        ; implicit-def: $sgpr25
                                        ; implicit-def: $sgpr26
                                        ; implicit-def: $sgpr27
	v_add3_u32 v9, v9, v36, v35
	s_delay_alu instid0(VALU_DEP_2) | instskip(NEXT) | instid1(VALU_DEP_2)
	v_lshlrev_b64 v[4:5], 2, v[4:5]
	v_lshlrev_b64 v[8:9], 2, v[8:9]
	s_delay_alu instid0(VALU_DEP_2) | instskip(NEXT) | instid1(VALU_DEP_3)
	v_add_co_u32 v4, vcc_lo, s10, v4
	v_add_co_ci_u32_e32 v5, vcc_lo, s11, v5, vcc_lo
	s_delay_alu instid0(VALU_DEP_3) | instskip(NEXT) | instid1(VALU_DEP_4)
	v_add_co_u32 v8, vcc_lo, s10, v8
	v_add_co_ci_u32_e32 v9, vcc_lo, s11, v9, vcc_lo
	s_set_inst_prefetch_distance 0x1
	s_branch .LBB878_619
	.p2align	6
.LBB878_618:                            ;   in Loop: Header=BB878_619 Depth=1
	s_or_b32 exec_lo, exec_lo, s3
	s_delay_alu instid0(SALU_CYCLE_1) | instskip(NEXT) | instid1(SALU_CYCLE_1)
	s_and_b32 s3, exec_lo, s24
	s_or_b32 s22, s3, s22
	s_and_not1_b32 s3, s27, exec_lo
	s_and_b32 s27, s26, exec_lo
	s_and_not1_b32 s23, s23, exec_lo
	s_and_b32 s28, s25, exec_lo
	s_or_b32 s27, s3, s27
	s_or_b32 s23, s23, s28
	s_and_not1_b32 exec_lo, exec_lo, s22
	s_cbranch_execz .LBB878_621
.LBB878_619:                            ; =>This Inner Loop Header: Depth=1
	global_load_b32 v25, v[4:5], off
	global_load_b32 v34, v[8:9], off
	s_and_not1_b32 s25, s25, exec_lo
	s_and_not1_b32 s26, s26, exec_lo
	s_or_b32 s24, s24, exec_lo
	s_waitcnt vmcnt(0)
	v_cmp_ngt_f32_e32 vcc_lo, v25, v34
	v_cmp_lt_f32_e64 s3, v25, v34
	s_and_b32 s28, vcc_lo, s27
	s_delay_alu instid0(VALU_DEP_1) | instid1(SALU_CYCLE_1)
	s_or_b32 s28, s3, s28
	s_delay_alu instid0(SALU_CYCLE_1) | instskip(NEXT) | instid1(SALU_CYCLE_1)
	s_and_b32 s3, s28, exec_lo
	s_or_b32 s25, s25, s3
	s_mov_b32 s3, exec_lo
	v_cmpx_nlg_f32_e32 v25, v34
	s_cbranch_execz .LBB878_618
; %bb.620:                              ;   in Loop: Header=BB878_619 Depth=1
	s_add_u32 s4, s4, -1
	s_addc_u32 s5, s5, -1
	v_add_co_u32 v4, vcc_lo, v4, 4
	s_cmp_eq_u64 s[4:5], 0
	v_add_co_ci_u32_e32 v5, vcc_lo, 0, v5, vcc_lo
	v_add_co_u32 v8, vcc_lo, v8, 4
	s_cselect_b32 s27, -1, 0
	v_add_co_ci_u32_e32 v9, vcc_lo, 0, v9, vcc_lo
	s_and_not1_b32 s26, s26, exec_lo
	s_and_b32 s28, s28, exec_lo
	s_and_not1_b32 s24, s24, exec_lo
	s_and_b32 s27, s27, exec_lo
	s_or_b32 s26, s26, s28
	s_and_not1_b32 s25, s25, exec_lo
	s_or_b32 s24, s24, s27
                                        ; implicit-def: $sgpr27
	s_branch .LBB878_618
.LBB878_621:
	s_set_inst_prefetch_distance 0x2
	s_or_b32 exec_lo, exec_lo, s22
	v_cndmask_b32_e64 v5, v7, v26, s23
	v_cndmask_b32_e64 v4, v6, v33, s23
.LBB878_622:
	s_or_b32 exec_lo, exec_lo, s21
	s_delay_alu instid0(VALU_DEP_1)
	v_dual_mov_b32 v7, v5 :: v_dual_mov_b32 v6, v4
.LBB878_623:
	s_or_b32 exec_lo, exec_lo, s20
	v_cndmask_b32_e64 v1, v3, v1, s13
	v_cndmask_b32_e64 v0, v2, v0, s13
	;; [unrolled: 1-line block ×6, first 2 shown]
.LBB878_624:
	s_or_b32 exec_lo, exec_lo, s12
	v_and_b32_e32 v27, 64, v21
	v_and_b32_e32 v9, 60, v21
	s_mov_b32 s16, exec_lo
	; wave barrier
	s_delay_alu instid0(VALU_DEP_2) | instskip(NEXT) | instid1(VALU_DEP_2)
	v_or_b32_e32 v8, 32, v27
	v_min_u32_e32 v28, v20, v9
	v_lshl_add_u32 v26, v27, 3, v19
	ds_store_b128 v24, v[0:3]
	ds_store_b128 v24, v[4:7] offset:16
	v_min_u32_e32 v25, v20, v8
	; wave barrier
	s_delay_alu instid0(VALU_DEP_1) | instskip(SKIP_1) | instid1(VALU_DEP_2)
	v_add_nc_u32_e32 v8, 32, v25
	v_sub_nc_u32_e32 v9, v25, v27
	v_min_u32_e32 v21, v20, v8
	s_delay_alu instid0(VALU_DEP_2) | instskip(NEXT) | instid1(VALU_DEP_2)
	v_min_u32_e32 v29, v28, v9
	v_sub_nc_u32_e32 v8, v21, v25
	s_delay_alu instid0(VALU_DEP_1) | instskip(NEXT) | instid1(VALU_DEP_1)
	v_sub_nc_u32_e64 v20, v28, v8 clamp
	v_cmpx_lt_u32_e64 v20, v29
	s_cbranch_execz .LBB878_634
; %bb.625:
	v_lshlrev_b32_e32 v8, 3, v25
	v_lshlrev_b32_e32 v9, 3, v28
	s_lshl_b64 s[4:5], s[8:9], 2
	s_mov_b32 s19, 0
	s_delay_alu instid0(VALU_DEP_1)
	v_add3_u32 v24, v19, v8, v9
	s_branch .LBB878_628
.LBB878_626:                            ;   in Loop: Header=BB878_628 Depth=1
	s_set_inst_prefetch_distance 0x2
	s_or_b32 exec_lo, exec_lo, s20
.LBB878_627:                            ;   in Loop: Header=BB878_628 Depth=1
	s_delay_alu instid0(VALU_DEP_1) | instskip(SKIP_1) | instid1(VALU_DEP_2)
	v_add_nc_u32_e32 v8, 1, v30
	v_cndmask_b32_e64 v29, v29, v30, s21
	v_cndmask_b32_e64 v20, v8, v20, s21
	s_delay_alu instid0(VALU_DEP_1) | instskip(SKIP_1) | instid1(SALU_CYCLE_1)
	v_cmp_ge_u32_e32 vcc_lo, v20, v29
	s_or_b32 s19, vcc_lo, s19
	s_and_not1_b32 exec_lo, exec_lo, s19
	s_cbranch_execz .LBB878_633
.LBB878_628:                            ; =>This Loop Header: Depth=1
                                        ;     Child Loop BB878_631 Depth 2
	v_add_nc_u32_e32 v8, v29, v20
	v_cmp_ne_u32_e32 vcc_lo, 1, v18
	s_mov_b32 s21, 0
	s_delay_alu instid0(VALU_DEP_2)
	v_lshrrev_b32_e32 v30, 1, v8
	s_cbranch_vccnz .LBB878_627
; %bb.629:                              ;   in Loop: Header=BB878_628 Depth=1
	s_delay_alu instid0(VALU_DEP_1) | instskip(SKIP_3) | instid1(VALU_DEP_2)
	v_not_b32_e32 v8, v30
	v_lshl_add_u32 v9, v30, 3, v26
	s_mov_b32 s20, 0
	s_mov_b64 s[12:13], s[8:9]
                                        ; implicit-def: $sgpr21
                                        ; implicit-def: $sgpr22
                                        ; implicit-def: $sgpr23
                                        ; implicit-def: $sgpr24
                                        ; implicit-def: $sgpr25
	v_lshl_add_u32 v8, v8, 3, v24
	ds_load_b64 v[10:11], v8
	ds_load_b64 v[31:32], v9
	s_waitcnt lgkmcnt(1)
	v_mul_lo_u32 v33, s4, v11
	v_mul_lo_u32 v34, s5, v10
	v_mad_u64_u32 v[8:9], null, s4, v10, s[10:11]
	s_waitcnt lgkmcnt(0)
	v_mul_lo_u32 v32, s4, v32
	v_mul_lo_u32 v35, s5, v31
	v_mad_u64_u32 v[10:11], null, s4, v31, s[10:11]
	s_delay_alu instid0(VALU_DEP_4) | instskip(NEXT) | instid1(VALU_DEP_2)
	v_add3_u32 v9, v34, v9, v33
	v_add3_u32 v11, v35, v11, v32
	s_set_inst_prefetch_distance 0x1
	s_branch .LBB878_631
	.p2align	6
.LBB878_630:                            ;   in Loop: Header=BB878_631 Depth=2
	s_or_b32 exec_lo, exec_lo, s26
	s_delay_alu instid0(SALU_CYCLE_1) | instskip(NEXT) | instid1(SALU_CYCLE_1)
	s_and_b32 s3, exec_lo, s22
	s_or_b32 s20, s3, s20
	s_and_not1_b32 s3, s25, exec_lo
	s_and_b32 s25, s23, exec_lo
	s_and_not1_b32 s21, s21, exec_lo
	s_and_b32 s26, s24, exec_lo
	s_or_b32 s25, s3, s25
	s_or_b32 s21, s21, s26
	s_and_not1_b32 exec_lo, exec_lo, s20
	s_cbranch_execz .LBB878_626
.LBB878_631:                            ;   Parent Loop BB878_628 Depth=1
                                        ; =>  This Inner Loop Header: Depth=2
	global_load_b32 v31, v[8:9], off
	global_load_b32 v32, v[10:11], off
	s_and_not1_b32 s24, s24, exec_lo
	s_and_not1_b32 s23, s23, exec_lo
	s_or_b32 s22, s22, exec_lo
	s_waitcnt vmcnt(0)
	v_cmp_ngt_f32_e32 vcc_lo, v31, v32
	v_cmp_lt_f32_e64 s3, v31, v32
	s_and_b32 s26, vcc_lo, s25
	s_delay_alu instid0(VALU_DEP_1) | instid1(SALU_CYCLE_1)
	s_or_b32 s3, s3, s26
	s_delay_alu instid0(SALU_CYCLE_1) | instskip(NEXT) | instid1(SALU_CYCLE_1)
	s_and_b32 s26, s3, exec_lo
	s_or_b32 s24, s24, s26
	s_mov_b32 s26, exec_lo
	v_cmpx_nlg_f32_e32 v31, v32
	s_cbranch_execz .LBB878_630
; %bb.632:                              ;   in Loop: Header=BB878_631 Depth=2
	s_add_u32 s12, s12, -1
	s_addc_u32 s13, s13, -1
	v_add_co_u32 v8, vcc_lo, v8, 4
	v_add_co_ci_u32_e32 v9, vcc_lo, 0, v9, vcc_lo
	s_cmp_eq_u64 s[12:13], 0
	v_add_co_u32 v10, vcc_lo, v10, 4
	s_cselect_b32 s25, -1, 0
	v_add_co_ci_u32_e32 v11, vcc_lo, 0, v11, vcc_lo
	s_and_not1_b32 s23, s23, exec_lo
	s_and_b32 s3, s3, exec_lo
	s_and_not1_b32 s22, s22, exec_lo
	s_and_b32 s25, s25, exec_lo
	s_and_not1_b32 s24, s24, exec_lo
	s_or_b32 s23, s23, s3
	s_or_b32 s22, s22, s25
                                        ; implicit-def: $sgpr25
	s_branch .LBB878_630
.LBB878_633:
	s_or_b32 exec_lo, exec_lo, s19
.LBB878_634:
	s_delay_alu instid0(SALU_CYCLE_1) | instskip(SKIP_2) | instid1(VALU_DEP_2)
	s_or_b32 exec_lo, exec_lo, s16
	v_add_nc_u32_e32 v9, v25, v28
	v_add_nc_u32_e32 v8, v20, v27
	v_sub_nc_u32_e32 v9, v9, v20
	s_delay_alu instid0(VALU_DEP_2) | instskip(NEXT) | instid1(VALU_DEP_2)
	v_cmp_le_u32_e32 vcc_lo, v8, v25
	v_cmp_le_u32_e64 s3, v9, v21
	s_delay_alu instid0(VALU_DEP_1) | instskip(NEXT) | instid1(SALU_CYCLE_1)
	s_or_b32 s3, vcc_lo, s3
	s_and_saveexec_b32 s12, s3
	s_cbranch_execz .LBB878_670
; %bb.635:
	v_cmp_ge_u32_e32 vcc_lo, v8, v25
	s_mov_b32 s4, exec_lo
                                        ; implicit-def: $vgpr0_vgpr1
	v_cmpx_lt_u32_e64 v8, v25
	s_cbranch_execz .LBB878_637
; %bb.636:
	v_lshl_add_u32 v0, v20, 3, v26
	ds_load_b64 v[0:1], v0
.LBB878_637:
	s_or_b32 exec_lo, exec_lo, s4
	v_cmp_ge_u32_e64 s3, v9, v21
	s_mov_b32 s5, exec_lo
                                        ; implicit-def: $vgpr2_vgpr3
	v_cmpx_lt_u32_e64 v9, v21
	s_cbranch_execz .LBB878_639
; %bb.638:
	v_lshl_add_u32 v2, v9, 3, v19
	ds_load_b64 v[2:3], v2
.LBB878_639:
	s_or_b32 exec_lo, exec_lo, s5
	s_or_b32 s4, vcc_lo, s3
	s_xor_b32 s5, vcc_lo, -1
	s_or_b32 s4, s4, s14
	s_or_b32 s13, s3, s5
	s_xor_b32 s4, s4, -1
	s_delay_alu instid0(SALU_CYCLE_1)
	s_and_saveexec_b32 s16, s4
	s_cbranch_execz .LBB878_645
; %bb.640:
	s_waitcnt lgkmcnt(0)
	v_mul_lo_u32 v10, v3, s8
	v_mul_lo_u32 v11, v2, s9
	v_mad_u64_u32 v[4:5], null, v2, s8, 0
	v_mul_lo_u32 v20, v1, s8
	v_mul_lo_u32 v24, v0, s9
	v_mad_u64_u32 v[6:7], null, v0, s8, 0
	s_mov_b32 s19, 0
	s_mov_b64 s[4:5], s[8:9]
	s_delay_alu instid0(VALU_DEP_4) | instskip(NEXT) | instid1(VALU_DEP_2)
	v_add3_u32 v5, v5, v11, v10
                                        ; implicit-def: $sgpr20
                                        ; implicit-def: $sgpr21
                                        ; implicit-def: $sgpr22
                                        ; implicit-def: $sgpr23
                                        ; implicit-def: $sgpr24
	v_add3_u32 v7, v7, v24, v20
	s_delay_alu instid0(VALU_DEP_2) | instskip(NEXT) | instid1(VALU_DEP_2)
	v_lshlrev_b64 v[4:5], 2, v[4:5]
	v_lshlrev_b64 v[6:7], 2, v[6:7]
	s_delay_alu instid0(VALU_DEP_2) | instskip(NEXT) | instid1(VALU_DEP_3)
	v_add_co_u32 v4, vcc_lo, s10, v4
	v_add_co_ci_u32_e32 v5, vcc_lo, s11, v5, vcc_lo
	s_delay_alu instid0(VALU_DEP_3) | instskip(NEXT) | instid1(VALU_DEP_4)
	v_add_co_u32 v6, vcc_lo, s10, v6
	v_add_co_ci_u32_e32 v7, vcc_lo, s11, v7, vcc_lo
	s_set_inst_prefetch_distance 0x1
	s_branch .LBB878_642
	.p2align	6
.LBB878_641:                            ;   in Loop: Header=BB878_642 Depth=1
	s_or_b32 exec_lo, exec_lo, s3
	s_delay_alu instid0(SALU_CYCLE_1) | instskip(NEXT) | instid1(SALU_CYCLE_1)
	s_and_b32 s3, exec_lo, s21
	s_or_b32 s19, s3, s19
	s_and_not1_b32 s3, s24, exec_lo
	s_and_b32 s24, s23, exec_lo
	s_and_not1_b32 s20, s20, exec_lo
	s_and_b32 s25, s22, exec_lo
	s_or_b32 s24, s3, s24
	s_or_b32 s20, s20, s25
	s_and_not1_b32 exec_lo, exec_lo, s19
	s_cbranch_execz .LBB878_644
.LBB878_642:                            ; =>This Inner Loop Header: Depth=1
	global_load_b32 v10, v[4:5], off
	global_load_b32 v11, v[6:7], off
	s_and_not1_b32 s22, s22, exec_lo
	s_and_not1_b32 s23, s23, exec_lo
	s_or_b32 s21, s21, exec_lo
	s_waitcnt vmcnt(0)
	v_cmp_ngt_f32_e32 vcc_lo, v10, v11
	v_cmp_lt_f32_e64 s3, v10, v11
	s_and_b32 s25, vcc_lo, s24
	s_delay_alu instid0(VALU_DEP_1) | instid1(SALU_CYCLE_1)
	s_or_b32 s25, s3, s25
	s_delay_alu instid0(SALU_CYCLE_1) | instskip(NEXT) | instid1(SALU_CYCLE_1)
	s_and_b32 s3, s25, exec_lo
	s_or_b32 s22, s22, s3
	s_mov_b32 s3, exec_lo
	v_cmpx_nlg_f32_e32 v10, v11
	s_cbranch_execz .LBB878_641
; %bb.643:                              ;   in Loop: Header=BB878_642 Depth=1
	s_add_u32 s4, s4, -1
	s_addc_u32 s5, s5, -1
	v_add_co_u32 v4, vcc_lo, v4, 4
	s_cmp_eq_u64 s[4:5], 0
	v_add_co_ci_u32_e32 v5, vcc_lo, 0, v5, vcc_lo
	v_add_co_u32 v6, vcc_lo, v6, 4
	s_cselect_b32 s24, -1, 0
	v_add_co_ci_u32_e32 v7, vcc_lo, 0, v7, vcc_lo
	s_and_not1_b32 s23, s23, exec_lo
	s_and_b32 s25, s25, exec_lo
	s_and_not1_b32 s21, s21, exec_lo
	s_and_b32 s24, s24, exec_lo
	s_or_b32 s23, s23, s25
	s_and_not1_b32 s22, s22, exec_lo
	s_or_b32 s21, s21, s24
                                        ; implicit-def: $sgpr24
	s_branch .LBB878_641
.LBB878_644:
	s_set_inst_prefetch_distance 0x2
	s_or_b32 exec_lo, exec_lo, s19
	s_xor_b32 s3, s20, -1
	s_and_not1_b32 s4, s13, exec_lo
	s_and_b32 s3, s3, exec_lo
	s_delay_alu instid0(SALU_CYCLE_1)
	s_or_b32 s13, s4, s3
.LBB878_645:
	s_or_b32 exec_lo, exec_lo, s16
	v_cndmask_b32_e64 v4, v9, v8, s13
	v_cndmask_b32_e64 v5, v21, v25, s13
	s_mov_b32 s16, -1
	s_mov_b32 s19, -1
	s_mov_b32 s20, exec_lo
	v_add_nc_u32_e32 v6, 1, v4
	v_add_nc_u32_e32 v4, -1, v5
	s_delay_alu instid0(VALU_DEP_2) | instskip(NEXT) | instid1(VALU_DEP_2)
	v_cndmask_b32_e64 v9, v6, v9, s13
	v_min_u32_e32 v4, v6, v4
	v_cndmask_b32_e64 v8, v8, v6, s13
	s_delay_alu instid0(VALU_DEP_2)
	v_lshl_add_u32 v4, v4, 3, v19
	ds_load_b64 v[4:5], v4
	s_waitcnt lgkmcnt(0)
	v_cndmask_b32_e64 v10, v5, v3, s13
	v_cndmask_b32_e64 v11, v4, v2, s13
	;; [unrolled: 1-line block ×4, first 2 shown]
	v_cmpx_lt_u32_e64 v9, v21
	s_cbranch_execz .LBB878_653
; %bb.646:
	v_cmp_lt_u32_e64 s19, v8, v25
	s_delay_alu instid0(VALU_DEP_1) | instskip(NEXT) | instid1(SALU_CYCLE_1)
	s_and_b32 s3, s19, s15
	s_and_saveexec_b32 s21, s3
	s_cbranch_execz .LBB878_652
; %bb.647:
	v_mul_lo_u32 v26, v10, s8
	v_mul_lo_u32 v27, v11, s9
	v_mad_u64_u32 v[4:5], null, v11, s8, 0
	v_mul_lo_u32 v28, v20, s8
	v_mul_lo_u32 v29, v24, s9
	v_mad_u64_u32 v[6:7], null, v24, s8, 0
	s_mov_b32 s22, 0
	s_mov_b64 s[4:5], s[8:9]
	s_delay_alu instid0(VALU_DEP_4) | instskip(NEXT) | instid1(VALU_DEP_2)
	v_add3_u32 v5, v5, v27, v26
                                        ; implicit-def: $sgpr23
                                        ; implicit-def: $sgpr24
                                        ; implicit-def: $sgpr25
                                        ; implicit-def: $sgpr26
                                        ; implicit-def: $sgpr27
	v_add3_u32 v7, v7, v29, v28
	s_delay_alu instid0(VALU_DEP_2) | instskip(NEXT) | instid1(VALU_DEP_2)
	v_lshlrev_b64 v[4:5], 2, v[4:5]
	v_lshlrev_b64 v[6:7], 2, v[6:7]
	s_delay_alu instid0(VALU_DEP_2) | instskip(NEXT) | instid1(VALU_DEP_3)
	v_add_co_u32 v4, vcc_lo, s10, v4
	v_add_co_ci_u32_e32 v5, vcc_lo, s11, v5, vcc_lo
	s_delay_alu instid0(VALU_DEP_3) | instskip(NEXT) | instid1(VALU_DEP_4)
	v_add_co_u32 v6, vcc_lo, s10, v6
	v_add_co_ci_u32_e32 v7, vcc_lo, s11, v7, vcc_lo
	s_set_inst_prefetch_distance 0x1
	s_branch .LBB878_649
	.p2align	6
.LBB878_648:                            ;   in Loop: Header=BB878_649 Depth=1
	s_or_b32 exec_lo, exec_lo, s3
	s_delay_alu instid0(SALU_CYCLE_1) | instskip(NEXT) | instid1(SALU_CYCLE_1)
	s_and_b32 s3, exec_lo, s24
	s_or_b32 s22, s3, s22
	s_and_not1_b32 s3, s27, exec_lo
	s_and_b32 s27, s26, exec_lo
	s_and_not1_b32 s23, s23, exec_lo
	s_and_b32 s28, s25, exec_lo
	s_or_b32 s27, s3, s27
	s_or_b32 s23, s23, s28
	s_and_not1_b32 exec_lo, exec_lo, s22
	s_cbranch_execz .LBB878_651
.LBB878_649:                            ; =>This Inner Loop Header: Depth=1
	global_load_b32 v26, v[4:5], off
	global_load_b32 v27, v[6:7], off
	s_and_not1_b32 s25, s25, exec_lo
	s_and_not1_b32 s26, s26, exec_lo
	s_or_b32 s24, s24, exec_lo
	s_waitcnt vmcnt(0)
	v_cmp_ngt_f32_e32 vcc_lo, v26, v27
	v_cmp_lt_f32_e64 s3, v26, v27
	s_and_b32 s28, vcc_lo, s27
	s_delay_alu instid0(VALU_DEP_1) | instid1(SALU_CYCLE_1)
	s_or_b32 s28, s3, s28
	s_delay_alu instid0(SALU_CYCLE_1) | instskip(NEXT) | instid1(SALU_CYCLE_1)
	s_and_b32 s3, s28, exec_lo
	s_or_b32 s25, s25, s3
	s_mov_b32 s3, exec_lo
	v_cmpx_nlg_f32_e32 v26, v27
	s_cbranch_execz .LBB878_648
; %bb.650:                              ;   in Loop: Header=BB878_649 Depth=1
	s_add_u32 s4, s4, -1
	s_addc_u32 s5, s5, -1
	v_add_co_u32 v4, vcc_lo, v4, 4
	s_cmp_eq_u64 s[4:5], 0
	v_add_co_ci_u32_e32 v5, vcc_lo, 0, v5, vcc_lo
	v_add_co_u32 v6, vcc_lo, v6, 4
	s_cselect_b32 s27, -1, 0
	v_add_co_ci_u32_e32 v7, vcc_lo, 0, v7, vcc_lo
	s_and_not1_b32 s26, s26, exec_lo
	s_and_b32 s28, s28, exec_lo
	s_and_not1_b32 s24, s24, exec_lo
	s_and_b32 s27, s27, exec_lo
	s_or_b32 s26, s26, s28
	s_and_not1_b32 s25, s25, exec_lo
	s_or_b32 s24, s24, s27
                                        ; implicit-def: $sgpr27
	s_branch .LBB878_648
.LBB878_651:
	s_set_inst_prefetch_distance 0x2
	s_or_b32 exec_lo, exec_lo, s22
	s_xor_b32 s3, s23, -1
	s_and_not1_b32 s4, s19, exec_lo
	s_and_b32 s3, s3, exec_lo
	s_delay_alu instid0(SALU_CYCLE_1)
	s_or_b32 s19, s4, s3
.LBB878_652:
	s_or_b32 exec_lo, exec_lo, s21
	s_delay_alu instid0(SALU_CYCLE_1)
	s_or_not1_b32 s19, s19, exec_lo
.LBB878_653:
	s_or_b32 exec_lo, exec_lo, s20
	v_cndmask_b32_e64 v4, v9, v8, s19
	v_cndmask_b32_e64 v5, v21, v25, s19
	s_mov_b32 s20, exec_lo
	s_delay_alu instid0(VALU_DEP_2) | instskip(NEXT) | instid1(VALU_DEP_2)
	v_add_nc_u32_e32 v6, 1, v4
	v_add_nc_u32_e32 v4, -1, v5
	s_delay_alu instid0(VALU_DEP_2) | instskip(NEXT) | instid1(VALU_DEP_2)
	v_cndmask_b32_e64 v9, v6, v9, s19
	v_min_u32_e32 v4, v6, v4
	v_cndmask_b32_e64 v8, v8, v6, s19
	s_delay_alu instid0(VALU_DEP_2)
	v_lshl_add_u32 v4, v4, 3, v19
	ds_load_b64 v[4:5], v4
	s_waitcnt lgkmcnt(0)
	v_cndmask_b32_e64 v26, v5, v10, s19
	v_cndmask_b32_e64 v27, v4, v11, s19
	;; [unrolled: 1-line block ×4, first 2 shown]
	v_cmpx_lt_u32_e64 v9, v21
	s_cbranch_execz .LBB878_661
; %bb.654:
	v_cmp_lt_u32_e64 s16, v8, v25
	s_delay_alu instid0(VALU_DEP_1) | instskip(NEXT) | instid1(SALU_CYCLE_1)
	s_and_b32 s3, s16, s15
	s_and_saveexec_b32 s21, s3
	s_cbranch_execz .LBB878_660
; %bb.655:
	v_mul_lo_u32 v30, v26, s8
	v_mul_lo_u32 v31, v27, s9
	v_mad_u64_u32 v[4:5], null, v27, s8, 0
	v_mul_lo_u32 v32, v28, s8
	v_mul_lo_u32 v33, v29, s9
	v_mad_u64_u32 v[6:7], null, v29, s8, 0
	s_mov_b32 s22, 0
	s_mov_b64 s[4:5], s[8:9]
	s_delay_alu instid0(VALU_DEP_4) | instskip(NEXT) | instid1(VALU_DEP_2)
	v_add3_u32 v5, v5, v31, v30
                                        ; implicit-def: $sgpr23
                                        ; implicit-def: $sgpr24
                                        ; implicit-def: $sgpr25
                                        ; implicit-def: $sgpr26
                                        ; implicit-def: $sgpr27
	v_add3_u32 v7, v7, v33, v32
	s_delay_alu instid0(VALU_DEP_2) | instskip(NEXT) | instid1(VALU_DEP_2)
	v_lshlrev_b64 v[4:5], 2, v[4:5]
	v_lshlrev_b64 v[6:7], 2, v[6:7]
	s_delay_alu instid0(VALU_DEP_2) | instskip(NEXT) | instid1(VALU_DEP_3)
	v_add_co_u32 v4, vcc_lo, s10, v4
	v_add_co_ci_u32_e32 v5, vcc_lo, s11, v5, vcc_lo
	s_delay_alu instid0(VALU_DEP_3) | instskip(NEXT) | instid1(VALU_DEP_4)
	v_add_co_u32 v6, vcc_lo, s10, v6
	v_add_co_ci_u32_e32 v7, vcc_lo, s11, v7, vcc_lo
	s_set_inst_prefetch_distance 0x1
	s_branch .LBB878_657
	.p2align	6
.LBB878_656:                            ;   in Loop: Header=BB878_657 Depth=1
	s_or_b32 exec_lo, exec_lo, s3
	s_delay_alu instid0(SALU_CYCLE_1) | instskip(NEXT) | instid1(SALU_CYCLE_1)
	s_and_b32 s3, exec_lo, s24
	s_or_b32 s22, s3, s22
	s_and_not1_b32 s3, s27, exec_lo
	s_and_b32 s27, s26, exec_lo
	s_and_not1_b32 s23, s23, exec_lo
	s_and_b32 s28, s25, exec_lo
	s_or_b32 s27, s3, s27
	s_or_b32 s23, s23, s28
	s_and_not1_b32 exec_lo, exec_lo, s22
	s_cbranch_execz .LBB878_659
.LBB878_657:                            ; =>This Inner Loop Header: Depth=1
	global_load_b32 v30, v[4:5], off
	global_load_b32 v31, v[6:7], off
	s_and_not1_b32 s25, s25, exec_lo
	s_and_not1_b32 s26, s26, exec_lo
	s_or_b32 s24, s24, exec_lo
	s_waitcnt vmcnt(0)
	v_cmp_ngt_f32_e32 vcc_lo, v30, v31
	v_cmp_lt_f32_e64 s3, v30, v31
	s_and_b32 s28, vcc_lo, s27
	s_delay_alu instid0(VALU_DEP_1) | instid1(SALU_CYCLE_1)
	s_or_b32 s28, s3, s28
	s_delay_alu instid0(SALU_CYCLE_1) | instskip(NEXT) | instid1(SALU_CYCLE_1)
	s_and_b32 s3, s28, exec_lo
	s_or_b32 s25, s25, s3
	s_mov_b32 s3, exec_lo
	v_cmpx_nlg_f32_e32 v30, v31
	s_cbranch_execz .LBB878_656
; %bb.658:                              ;   in Loop: Header=BB878_657 Depth=1
	s_add_u32 s4, s4, -1
	s_addc_u32 s5, s5, -1
	v_add_co_u32 v4, vcc_lo, v4, 4
	s_cmp_eq_u64 s[4:5], 0
	v_add_co_ci_u32_e32 v5, vcc_lo, 0, v5, vcc_lo
	v_add_co_u32 v6, vcc_lo, v6, 4
	s_cselect_b32 s27, -1, 0
	v_add_co_ci_u32_e32 v7, vcc_lo, 0, v7, vcc_lo
	s_and_not1_b32 s26, s26, exec_lo
	s_and_b32 s28, s28, exec_lo
	s_and_not1_b32 s24, s24, exec_lo
	s_and_b32 s27, s27, exec_lo
	s_or_b32 s26, s26, s28
	s_and_not1_b32 s25, s25, exec_lo
	s_or_b32 s24, s24, s27
                                        ; implicit-def: $sgpr27
	s_branch .LBB878_656
.LBB878_659:
	s_set_inst_prefetch_distance 0x2
	s_or_b32 exec_lo, exec_lo, s22
	s_xor_b32 s3, s23, -1
	s_and_not1_b32 s4, s16, exec_lo
	s_and_b32 s3, s3, exec_lo
	s_delay_alu instid0(SALU_CYCLE_1)
	s_or_b32 s16, s4, s3
.LBB878_660:
	s_or_b32 exec_lo, exec_lo, s21
	s_delay_alu instid0(SALU_CYCLE_1)
	s_or_not1_b32 s16, s16, exec_lo
.LBB878_661:
	s_or_b32 exec_lo, exec_lo, s20
	v_cndmask_b32_e64 v4, v9, v8, s16
	v_cndmask_b32_e64 v5, v21, v25, s16
	s_mov_b32 s20, exec_lo
	s_delay_alu instid0(VALU_DEP_2) | instskip(NEXT) | instid1(VALU_DEP_2)
	v_add_nc_u32_e32 v30, 1, v4
	v_add_nc_u32_e32 v4, -1, v5
	s_delay_alu instid0(VALU_DEP_2) | instskip(NEXT) | instid1(VALU_DEP_2)
	v_cndmask_b32_e64 v9, v30, v9, s16
	v_min_u32_e32 v4, v30, v4
	s_delay_alu instid0(VALU_DEP_1)
	v_lshl_add_u32 v4, v4, 3, v19
	ds_load_b64 v[4:5], v4
	s_waitcnt lgkmcnt(0)
	v_cndmask_b32_e64 v7, v28, v5, s16
	v_cndmask_b32_e64 v6, v29, v4, s16
	v_cmpx_lt_u32_e64 v9, v21
	s_cbranch_execz .LBB878_669
; %bb.662:
	v_cndmask_b32_e64 v8, v8, v30, s16
	v_cndmask_b32_e64 v19, v5, v26, s16
	;; [unrolled: 1-line block ×3, first 2 shown]
	s_delay_alu instid0(VALU_DEP_3) | instskip(NEXT) | instid1(VALU_DEP_2)
	v_cmp_ge_u32_e32 vcc_lo, v8, v25
	v_dual_cndmask_b32 v5, v7, v19 :: v_dual_cndmask_b32 v4, v6, v21
	s_or_b32 s3, vcc_lo, s14
	s_delay_alu instid0(SALU_CYCLE_1) | instskip(NEXT) | instid1(SALU_CYCLE_1)
	s_xor_b32 s3, s3, -1
	s_and_saveexec_b32 s21, s3
	s_cbranch_execz .LBB878_668
; %bb.663:
	v_mul_lo_u32 v25, v19, s8
	v_mul_lo_u32 v30, v21, s9
	v_mad_u64_u32 v[4:5], null, v21, s8, 0
	v_mul_lo_u32 v31, v7, s8
	v_mul_lo_u32 v32, v6, s9
	v_mad_u64_u32 v[8:9], null, v6, s8, 0
	s_mov_b32 s22, 0
	s_mov_b64 s[4:5], s[8:9]
	s_delay_alu instid0(VALU_DEP_4) | instskip(NEXT) | instid1(VALU_DEP_2)
	v_add3_u32 v5, v5, v30, v25
                                        ; implicit-def: $sgpr23
                                        ; implicit-def: $sgpr24
                                        ; implicit-def: $sgpr25
                                        ; implicit-def: $sgpr26
                                        ; implicit-def: $sgpr27
	v_add3_u32 v9, v9, v32, v31
	s_delay_alu instid0(VALU_DEP_2) | instskip(NEXT) | instid1(VALU_DEP_2)
	v_lshlrev_b64 v[4:5], 2, v[4:5]
	v_lshlrev_b64 v[8:9], 2, v[8:9]
	s_delay_alu instid0(VALU_DEP_2) | instskip(NEXT) | instid1(VALU_DEP_3)
	v_add_co_u32 v4, vcc_lo, s10, v4
	v_add_co_ci_u32_e32 v5, vcc_lo, s11, v5, vcc_lo
	s_delay_alu instid0(VALU_DEP_3) | instskip(NEXT) | instid1(VALU_DEP_4)
	v_add_co_u32 v8, vcc_lo, s10, v8
	v_add_co_ci_u32_e32 v9, vcc_lo, s11, v9, vcc_lo
	s_set_inst_prefetch_distance 0x1
	s_branch .LBB878_665
	.p2align	6
.LBB878_664:                            ;   in Loop: Header=BB878_665 Depth=1
	s_or_b32 exec_lo, exec_lo, s3
	s_delay_alu instid0(SALU_CYCLE_1) | instskip(NEXT) | instid1(SALU_CYCLE_1)
	s_and_b32 s3, exec_lo, s24
	s_or_b32 s22, s3, s22
	s_and_not1_b32 s3, s27, exec_lo
	s_and_b32 s27, s26, exec_lo
	s_and_not1_b32 s23, s23, exec_lo
	s_and_b32 s28, s25, exec_lo
	s_or_b32 s27, s3, s27
	s_or_b32 s23, s23, s28
	s_and_not1_b32 exec_lo, exec_lo, s22
	s_cbranch_execz .LBB878_667
.LBB878_665:                            ; =>This Inner Loop Header: Depth=1
	global_load_b32 v25, v[4:5], off
	global_load_b32 v30, v[8:9], off
	s_and_not1_b32 s25, s25, exec_lo
	s_and_not1_b32 s26, s26, exec_lo
	s_or_b32 s24, s24, exec_lo
	s_waitcnt vmcnt(0)
	v_cmp_ngt_f32_e32 vcc_lo, v25, v30
	v_cmp_lt_f32_e64 s3, v25, v30
	s_and_b32 s28, vcc_lo, s27
	s_delay_alu instid0(VALU_DEP_1) | instid1(SALU_CYCLE_1)
	s_or_b32 s28, s3, s28
	s_delay_alu instid0(SALU_CYCLE_1) | instskip(NEXT) | instid1(SALU_CYCLE_1)
	s_and_b32 s3, s28, exec_lo
	s_or_b32 s25, s25, s3
	s_mov_b32 s3, exec_lo
	v_cmpx_nlg_f32_e32 v25, v30
	s_cbranch_execz .LBB878_664
; %bb.666:                              ;   in Loop: Header=BB878_665 Depth=1
	s_add_u32 s4, s4, -1
	s_addc_u32 s5, s5, -1
	v_add_co_u32 v4, vcc_lo, v4, 4
	s_cmp_eq_u64 s[4:5], 0
	v_add_co_ci_u32_e32 v5, vcc_lo, 0, v5, vcc_lo
	v_add_co_u32 v8, vcc_lo, v8, 4
	s_cselect_b32 s27, -1, 0
	v_add_co_ci_u32_e32 v9, vcc_lo, 0, v9, vcc_lo
	s_and_not1_b32 s26, s26, exec_lo
	s_and_b32 s28, s28, exec_lo
	s_and_not1_b32 s24, s24, exec_lo
	s_and_b32 s27, s27, exec_lo
	s_or_b32 s26, s26, s28
	s_and_not1_b32 s25, s25, exec_lo
	s_or_b32 s24, s24, s27
                                        ; implicit-def: $sgpr27
	s_branch .LBB878_664
.LBB878_667:
	s_set_inst_prefetch_distance 0x2
	s_or_b32 exec_lo, exec_lo, s22
	v_cndmask_b32_e64 v5, v7, v19, s23
	v_cndmask_b32_e64 v4, v6, v21, s23
.LBB878_668:
	s_or_b32 exec_lo, exec_lo, s21
	s_delay_alu instid0(VALU_DEP_1)
	v_dual_mov_b32 v7, v5 :: v_dual_mov_b32 v6, v4
.LBB878_669:
	s_or_b32 exec_lo, exec_lo, s20
	v_cndmask_b32_e64 v1, v3, v1, s13
	v_cndmask_b32_e64 v0, v2, v0, s13
	;; [unrolled: 1-line block ×6, first 2 shown]
.LBB878_670:
	s_or_b32 exec_lo, exec_lo, s12
	s_cmpk_lt_u32 s18, 0x41
	; wave barrier
	s_waitcnt lgkmcnt(0)
	s_barrier
	buffer_gl0_inv
	s_cbranch_scc1 .LBB878_719
; %bb.671:
	v_lshlrev_b32_e32 v19, 3, v23
	s_lshl_b64 s[12:13], s[8:9], 2
	s_mov_b32 s16, 64
	s_branch .LBB878_676
.LBB878_672:                            ;   in Loop: Header=BB878_676 Depth=1
	s_set_inst_prefetch_distance 0x2
	s_or_b32 exec_lo, exec_lo, s25
	v_cndmask_b32_e64 v5, v7, v21, s26
	v_cndmask_b32_e64 v4, v6, v30, s26
.LBB878_673:                            ;   in Loop: Header=BB878_676 Depth=1
	s_or_b32 exec_lo, exec_lo, s24
	s_delay_alu instid0(VALU_DEP_1)
	v_dual_mov_b32 v7, v5 :: v_dual_mov_b32 v6, v4
.LBB878_674:                            ;   in Loop: Header=BB878_676 Depth=1
	s_or_b32 exec_lo, exec_lo, s23
	v_cndmask_b32_e64 v1, v3, v1, s20
	v_cndmask_b32_e64 v0, v2, v0, s20
	v_cndmask_b32_e64 v3, v10, v24, s22
	v_cndmask_b32_e64 v2, v11, v25, s22
	v_cndmask_b32_e64 v5, v26, v28, s21
	v_cndmask_b32_e64 v4, v27, v29, s21
.LBB878_675:                            ;   in Loop: Header=BB878_676 Depth=1
	s_or_b32 exec_lo, exec_lo, s19
	s_cmp_lt_u32 s16, s18
	s_barrier
	buffer_gl0_inv
	s_cbranch_scc0 .LBB878_719
.LBB878_676:                            ; =>This Loop Header: Depth=1
                                        ;     Child Loop BB878_680 Depth 2
                                        ;       Child Loop BB878_683 Depth 3
                                        ;     Child Loop BB878_694 Depth 2
                                        ;     Child Loop BB878_701 Depth 2
                                        ;     Child Loop BB878_709 Depth 2
                                        ;     Child Loop BB878_717 Depth 2
	s_mov_b32 s3, s16
	s_lshl_b32 s16, s16, 1
	s_mov_b32 s19, exec_lo
	s_sub_i32 s4, 0, s16
	ds_store_b128 v19, v[0:3]
	ds_store_b128 v19, v[4:7] offset:16
	v_and_b32_e32 v26, s4, v23
	s_waitcnt lgkmcnt(0)
	s_barrier
	buffer_gl0_inv
	v_add_nc_u32_e32 v8, s3, v26
	v_lshlrev_b32_e32 v25, 3, v26
	s_delay_alu instid0(VALU_DEP_2) | instskip(NEXT) | instid1(VALU_DEP_1)
	v_min_u32_e32 v20, s18, v8
	v_add_nc_u32_e32 v8, s3, v20
	s_add_i32 s3, s16, -1
	s_delay_alu instid0(SALU_CYCLE_1) | instskip(NEXT) | instid1(VALU_DEP_2)
	v_and_b32_e32 v9, s3, v23
	v_min_u32_e32 v21, s18, v8
	v_sub_nc_u32_e32 v8, v20, v26
	s_delay_alu instid0(VALU_DEP_3) | instskip(NEXT) | instid1(VALU_DEP_3)
	v_min_u32_e32 v27, s18, v9
	v_sub_nc_u32_e32 v9, v21, v20
	s_delay_alu instid0(VALU_DEP_2) | instskip(NEXT) | instid1(VALU_DEP_2)
	v_min_u32_e32 v28, v27, v8
	v_sub_nc_u32_e64 v24, v27, v9 clamp
	s_delay_alu instid0(VALU_DEP_1)
	v_cmpx_lt_u32_e64 v24, v28
	s_cbranch_execz .LBB878_686
; %bb.677:                              ;   in Loop: Header=BB878_676 Depth=1
	v_lshlrev_b32_e32 v8, 3, v27
	s_mov_b32 s20, 0
	s_delay_alu instid0(VALU_DEP_1)
	v_lshl_add_u32 v29, v20, 3, v8
	s_branch .LBB878_680
.LBB878_678:                            ;   in Loop: Header=BB878_680 Depth=2
	s_set_inst_prefetch_distance 0x2
	s_or_b32 exec_lo, exec_lo, s21
.LBB878_679:                            ;   in Loop: Header=BB878_680 Depth=2
	s_delay_alu instid0(VALU_DEP_1) | instskip(SKIP_1) | instid1(VALU_DEP_2)
	v_add_nc_u32_e32 v8, 1, v30
	v_cndmask_b32_e64 v28, v28, v30, s22
	v_cndmask_b32_e64 v24, v8, v24, s22
	s_delay_alu instid0(VALU_DEP_1) | instskip(SKIP_1) | instid1(SALU_CYCLE_1)
	v_cmp_ge_u32_e32 vcc_lo, v24, v28
	s_or_b32 s20, vcc_lo, s20
	s_and_not1_b32 exec_lo, exec_lo, s20
	s_cbranch_execz .LBB878_685
.LBB878_680:                            ;   Parent Loop BB878_676 Depth=1
                                        ; =>  This Loop Header: Depth=2
                                        ;       Child Loop BB878_683 Depth 3
	v_add_nc_u32_e32 v8, v28, v24
	v_cmp_ne_u32_e32 vcc_lo, 1, v18
	s_mov_b32 s22, 0
	s_delay_alu instid0(VALU_DEP_2)
	v_lshrrev_b32_e32 v30, 1, v8
	s_cbranch_vccnz .LBB878_679
; %bb.681:                              ;   in Loop: Header=BB878_680 Depth=2
	s_delay_alu instid0(VALU_DEP_1) | instskip(SKIP_3) | instid1(VALU_DEP_2)
	v_not_b32_e32 v8, v30
	v_lshl_add_u32 v9, v30, 3, v25
	s_mov_b32 s21, 0
	s_mov_b64 s[4:5], s[8:9]
                                        ; implicit-def: $sgpr22
                                        ; implicit-def: $sgpr23
                                        ; implicit-def: $sgpr24
                                        ; implicit-def: $sgpr25
                                        ; implicit-def: $sgpr26
	v_lshl_add_u32 v8, v8, 3, v29
	ds_load_b64 v[10:11], v8
	ds_load_b64 v[31:32], v9
	s_waitcnt lgkmcnt(1)
	v_mul_lo_u32 v33, s12, v11
	v_mul_lo_u32 v34, s13, v10
	v_mad_u64_u32 v[8:9], null, s12, v10, s[10:11]
	s_waitcnt lgkmcnt(0)
	v_mul_lo_u32 v32, s12, v32
	v_mul_lo_u32 v35, s13, v31
	v_mad_u64_u32 v[10:11], null, s12, v31, s[10:11]
	s_delay_alu instid0(VALU_DEP_4) | instskip(NEXT) | instid1(VALU_DEP_2)
	v_add3_u32 v9, v34, v9, v33
	v_add3_u32 v11, v35, v11, v32
	s_set_inst_prefetch_distance 0x1
	s_branch .LBB878_683
	.p2align	6
.LBB878_682:                            ;   in Loop: Header=BB878_683 Depth=3
	s_or_b32 exec_lo, exec_lo, s3
	s_delay_alu instid0(SALU_CYCLE_1) | instskip(NEXT) | instid1(SALU_CYCLE_1)
	s_and_b32 s3, exec_lo, s23
	s_or_b32 s21, s3, s21
	s_and_not1_b32 s3, s26, exec_lo
	s_and_b32 s26, s24, exec_lo
	s_and_not1_b32 s22, s22, exec_lo
	s_and_b32 s27, s25, exec_lo
	s_or_b32 s26, s3, s26
	s_or_b32 s22, s22, s27
	s_and_not1_b32 exec_lo, exec_lo, s21
	s_cbranch_execz .LBB878_678
.LBB878_683:                            ;   Parent Loop BB878_676 Depth=1
                                        ;     Parent Loop BB878_680 Depth=2
                                        ; =>    This Inner Loop Header: Depth=3
	global_load_b32 v31, v[8:9], off
	global_load_b32 v32, v[10:11], off
	s_and_not1_b32 s25, s25, exec_lo
	s_and_not1_b32 s24, s24, exec_lo
	s_or_b32 s23, s23, exec_lo
	s_waitcnt vmcnt(0)
	v_cmp_ngt_f32_e32 vcc_lo, v31, v32
	v_cmp_lt_f32_e64 s3, v31, v32
	s_and_b32 s27, vcc_lo, s26
	s_delay_alu instid0(VALU_DEP_1) | instid1(SALU_CYCLE_1)
	s_or_b32 s27, s3, s27
	s_delay_alu instid0(SALU_CYCLE_1) | instskip(NEXT) | instid1(SALU_CYCLE_1)
	s_and_b32 s3, s27, exec_lo
	s_or_b32 s25, s25, s3
	s_mov_b32 s3, exec_lo
	v_cmpx_nlg_f32_e32 v31, v32
	s_cbranch_execz .LBB878_682
; %bb.684:                              ;   in Loop: Header=BB878_683 Depth=3
	s_add_u32 s4, s4, -1
	s_addc_u32 s5, s5, -1
	v_add_co_u32 v8, vcc_lo, v8, 4
	v_add_co_ci_u32_e32 v9, vcc_lo, 0, v9, vcc_lo
	s_cmp_eq_u64 s[4:5], 0
	v_add_co_u32 v10, vcc_lo, v10, 4
	s_cselect_b32 s26, -1, 0
	v_add_co_ci_u32_e32 v11, vcc_lo, 0, v11, vcc_lo
	s_and_not1_b32 s24, s24, exec_lo
	s_and_b32 s27, s27, exec_lo
	s_and_not1_b32 s23, s23, exec_lo
	s_and_b32 s26, s26, exec_lo
	s_and_not1_b32 s25, s25, exec_lo
	s_or_b32 s24, s24, s27
	s_or_b32 s23, s23, s26
                                        ; implicit-def: $sgpr26
	s_branch .LBB878_682
.LBB878_685:                            ;   in Loop: Header=BB878_676 Depth=1
	s_or_b32 exec_lo, exec_lo, s20
.LBB878_686:                            ;   in Loop: Header=BB878_676 Depth=1
	s_delay_alu instid0(SALU_CYCLE_1) | instskip(SKIP_2) | instid1(VALU_DEP_2)
	s_or_b32 exec_lo, exec_lo, s19
	v_sub_nc_u32_e32 v9, v27, v24
	v_add_nc_u32_e32 v8, v24, v26
	v_add_nc_u32_e32 v9, v9, v20
	s_delay_alu instid0(VALU_DEP_2) | instskip(NEXT) | instid1(VALU_DEP_2)
	v_cmp_le_u32_e32 vcc_lo, v8, v20
	v_cmp_le_u32_e64 s3, v9, v21
	s_delay_alu instid0(VALU_DEP_1) | instskip(NEXT) | instid1(SALU_CYCLE_1)
	s_or_b32 s3, vcc_lo, s3
	s_and_saveexec_b32 s19, s3
	s_cbranch_execz .LBB878_675
; %bb.687:                              ;   in Loop: Header=BB878_676 Depth=1
	v_cmp_ge_u32_e32 vcc_lo, v8, v20
	s_mov_b32 s4, exec_lo
                                        ; implicit-def: $vgpr0_vgpr1
	v_cmpx_lt_u32_e64 v8, v20
	s_cbranch_execz .LBB878_689
; %bb.688:                              ;   in Loop: Header=BB878_676 Depth=1
	v_lshl_add_u32 v0, v24, 3, v25
	ds_load_b64 v[0:1], v0
.LBB878_689:                            ;   in Loop: Header=BB878_676 Depth=1
	s_or_b32 exec_lo, exec_lo, s4
	v_cmp_ge_u32_e64 s3, v9, v21
	s_mov_b32 s5, exec_lo
                                        ; implicit-def: $vgpr2_vgpr3
	v_cmpx_lt_u32_e64 v9, v21
	s_cbranch_execz .LBB878_691
; %bb.690:                              ;   in Loop: Header=BB878_676 Depth=1
	v_lshlrev_b32_e32 v2, 3, v9
	ds_load_b64 v[2:3], v2
.LBB878_691:                            ;   in Loop: Header=BB878_676 Depth=1
	s_or_b32 exec_lo, exec_lo, s5
	s_or_b32 s4, vcc_lo, s3
	s_xor_b32 s5, vcc_lo, -1
	s_or_b32 s4, s4, s14
	s_or_b32 s20, s3, s5
	s_xor_b32 s4, s4, -1
	s_delay_alu instid0(SALU_CYCLE_1)
	s_and_saveexec_b32 s21, s4
	s_cbranch_execz .LBB878_697
; %bb.692:                              ;   in Loop: Header=BB878_676 Depth=1
	s_waitcnt lgkmcnt(0)
	v_mad_u64_u32 v[4:5], null, s12, v2, s[10:11]
	v_mul_lo_u32 v10, s12, v3
	v_mul_lo_u32 v11, s13, v2
	v_mad_u64_u32 v[6:7], null, s12, v0, s[10:11]
	v_mul_lo_u32 v24, s12, v1
	v_mul_lo_u32 v25, s13, v0
	s_mov_b32 s22, 0
	s_mov_b64 s[4:5], s[8:9]
                                        ; implicit-def: $sgpr23
                                        ; implicit-def: $sgpr24
                                        ; implicit-def: $sgpr25
                                        ; implicit-def: $sgpr26
                                        ; implicit-def: $sgpr27
	s_delay_alu instid0(VALU_DEP_4) | instskip(NEXT) | instid1(VALU_DEP_2)
	v_add3_u32 v5, v11, v5, v10
	v_add3_u32 v7, v25, v7, v24
	s_set_inst_prefetch_distance 0x1
	s_branch .LBB878_694
	.p2align	6
.LBB878_693:                            ;   in Loop: Header=BB878_694 Depth=2
	s_or_b32 exec_lo, exec_lo, s3
	s_delay_alu instid0(SALU_CYCLE_1) | instskip(NEXT) | instid1(SALU_CYCLE_1)
	s_and_b32 s3, exec_lo, s24
	s_or_b32 s22, s3, s22
	s_and_not1_b32 s3, s27, exec_lo
	s_and_b32 s27, s26, exec_lo
	s_and_not1_b32 s23, s23, exec_lo
	s_and_b32 s28, s25, exec_lo
	s_or_b32 s27, s3, s27
	s_or_b32 s23, s23, s28
	s_and_not1_b32 exec_lo, exec_lo, s22
	s_cbranch_execz .LBB878_696
.LBB878_694:                            ;   Parent Loop BB878_676 Depth=1
                                        ; =>  This Inner Loop Header: Depth=2
	global_load_b32 v10, v[4:5], off
	global_load_b32 v11, v[6:7], off
	s_and_not1_b32 s25, s25, exec_lo
	s_and_not1_b32 s26, s26, exec_lo
	s_or_b32 s24, s24, exec_lo
	s_waitcnt vmcnt(0)
	v_cmp_ngt_f32_e32 vcc_lo, v10, v11
	v_cmp_lt_f32_e64 s3, v10, v11
	s_and_b32 s28, vcc_lo, s27
	s_delay_alu instid0(VALU_DEP_1) | instid1(SALU_CYCLE_1)
	s_or_b32 s28, s3, s28
	s_delay_alu instid0(SALU_CYCLE_1) | instskip(NEXT) | instid1(SALU_CYCLE_1)
	s_and_b32 s3, s28, exec_lo
	s_or_b32 s25, s25, s3
	s_mov_b32 s3, exec_lo
	v_cmpx_nlg_f32_e32 v10, v11
	s_cbranch_execz .LBB878_693
; %bb.695:                              ;   in Loop: Header=BB878_694 Depth=2
	s_add_u32 s4, s4, -1
	s_addc_u32 s5, s5, -1
	v_add_co_u32 v4, vcc_lo, v4, 4
	s_cmp_eq_u64 s[4:5], 0
	v_add_co_ci_u32_e32 v5, vcc_lo, 0, v5, vcc_lo
	v_add_co_u32 v6, vcc_lo, v6, 4
	s_cselect_b32 s27, -1, 0
	v_add_co_ci_u32_e32 v7, vcc_lo, 0, v7, vcc_lo
	s_and_not1_b32 s26, s26, exec_lo
	s_and_b32 s28, s28, exec_lo
	s_and_not1_b32 s24, s24, exec_lo
	s_and_b32 s27, s27, exec_lo
	s_or_b32 s26, s26, s28
	s_and_not1_b32 s25, s25, exec_lo
	s_or_b32 s24, s24, s27
                                        ; implicit-def: $sgpr27
	s_branch .LBB878_693
.LBB878_696:                            ;   in Loop: Header=BB878_676 Depth=1
	s_set_inst_prefetch_distance 0x2
	s_or_b32 exec_lo, exec_lo, s22
	s_xor_b32 s3, s23, -1
	s_and_not1_b32 s4, s20, exec_lo
	s_and_b32 s3, s3, exec_lo
	s_delay_alu instid0(SALU_CYCLE_1)
	s_or_b32 s20, s4, s3
.LBB878_697:                            ;   in Loop: Header=BB878_676 Depth=1
	s_or_b32 exec_lo, exec_lo, s21
	v_cndmask_b32_e64 v4, v9, v8, s20
	v_cndmask_b32_e64 v5, v21, v20, s20
	s_mov_b32 s21, -1
	s_mov_b32 s22, -1
	s_mov_b32 s23, exec_lo
	v_add_nc_u32_e32 v6, 1, v4
	v_add_nc_u32_e32 v4, -1, v5
	s_delay_alu instid0(VALU_DEP_2) | instskip(NEXT) | instid1(VALU_DEP_2)
	v_cndmask_b32_e64 v9, v6, v9, s20
	v_min_u32_e32 v4, v6, v4
	v_cndmask_b32_e64 v8, v8, v6, s20
	s_delay_alu instid0(VALU_DEP_2)
	v_lshlrev_b32_e32 v4, 3, v4
	ds_load_b64 v[4:5], v4
	s_waitcnt lgkmcnt(0)
	v_cndmask_b32_e64 v10, v5, v3, s20
	v_cndmask_b32_e64 v11, v4, v2, s20
	;; [unrolled: 1-line block ×4, first 2 shown]
	v_cmpx_lt_u32_e64 v9, v21
	s_cbranch_execz .LBB878_705
; %bb.698:                              ;   in Loop: Header=BB878_676 Depth=1
	v_cmp_lt_u32_e64 s22, v8, v20
	s_delay_alu instid0(VALU_DEP_1) | instskip(NEXT) | instid1(SALU_CYCLE_1)
	s_and_b32 s3, s22, s15
	s_and_saveexec_b32 s24, s3
	s_cbranch_execz .LBB878_704
; %bb.699:                              ;   in Loop: Header=BB878_676 Depth=1
	v_mad_u64_u32 v[4:5], null, s12, v11, s[10:11]
	v_mul_lo_u32 v26, s12, v10
	v_mul_lo_u32 v27, s13, v11
	v_mad_u64_u32 v[6:7], null, s12, v25, s[10:11]
	v_mul_lo_u32 v28, s12, v24
	v_mul_lo_u32 v29, s13, v25
	s_mov_b32 s25, 0
	s_mov_b64 s[4:5], s[8:9]
                                        ; implicit-def: $sgpr26
                                        ; implicit-def: $sgpr27
                                        ; implicit-def: $sgpr28
                                        ; implicit-def: $sgpr29
                                        ; implicit-def: $sgpr30
	s_delay_alu instid0(VALU_DEP_4) | instskip(NEXT) | instid1(VALU_DEP_2)
	v_add3_u32 v5, v27, v5, v26
	v_add3_u32 v7, v29, v7, v28
	s_set_inst_prefetch_distance 0x1
	s_branch .LBB878_701
	.p2align	6
.LBB878_700:                            ;   in Loop: Header=BB878_701 Depth=2
	s_or_b32 exec_lo, exec_lo, s3
	s_delay_alu instid0(SALU_CYCLE_1) | instskip(NEXT) | instid1(SALU_CYCLE_1)
	s_and_b32 s3, exec_lo, s27
	s_or_b32 s25, s3, s25
	s_and_not1_b32 s3, s30, exec_lo
	s_and_b32 s30, s29, exec_lo
	s_and_not1_b32 s26, s26, exec_lo
	s_and_b32 s31, s28, exec_lo
	s_or_b32 s30, s3, s30
	s_or_b32 s26, s26, s31
	s_and_not1_b32 exec_lo, exec_lo, s25
	s_cbranch_execz .LBB878_703
.LBB878_701:                            ;   Parent Loop BB878_676 Depth=1
                                        ; =>  This Inner Loop Header: Depth=2
	global_load_b32 v26, v[4:5], off
	global_load_b32 v27, v[6:7], off
	s_and_not1_b32 s28, s28, exec_lo
	s_and_not1_b32 s29, s29, exec_lo
	s_or_b32 s27, s27, exec_lo
	s_waitcnt vmcnt(0)
	v_cmp_ngt_f32_e32 vcc_lo, v26, v27
	v_cmp_lt_f32_e64 s3, v26, v27
	s_and_b32 s31, vcc_lo, s30
	s_delay_alu instid0(VALU_DEP_1) | instid1(SALU_CYCLE_1)
	s_or_b32 s31, s3, s31
	s_delay_alu instid0(SALU_CYCLE_1) | instskip(NEXT) | instid1(SALU_CYCLE_1)
	s_and_b32 s3, s31, exec_lo
	s_or_b32 s28, s28, s3
	s_mov_b32 s3, exec_lo
	v_cmpx_nlg_f32_e32 v26, v27
	s_cbranch_execz .LBB878_700
; %bb.702:                              ;   in Loop: Header=BB878_701 Depth=2
	s_add_u32 s4, s4, -1
	s_addc_u32 s5, s5, -1
	v_add_co_u32 v4, vcc_lo, v4, 4
	s_cmp_eq_u64 s[4:5], 0
	v_add_co_ci_u32_e32 v5, vcc_lo, 0, v5, vcc_lo
	v_add_co_u32 v6, vcc_lo, v6, 4
	s_cselect_b32 s30, -1, 0
	v_add_co_ci_u32_e32 v7, vcc_lo, 0, v7, vcc_lo
	s_and_not1_b32 s29, s29, exec_lo
	s_and_b32 s31, s31, exec_lo
	s_and_not1_b32 s27, s27, exec_lo
	s_and_b32 s30, s30, exec_lo
	s_or_b32 s29, s29, s31
	s_and_not1_b32 s28, s28, exec_lo
	s_or_b32 s27, s27, s30
                                        ; implicit-def: $sgpr30
	s_branch .LBB878_700
.LBB878_703:                            ;   in Loop: Header=BB878_676 Depth=1
	s_set_inst_prefetch_distance 0x2
	s_or_b32 exec_lo, exec_lo, s25
	s_xor_b32 s3, s26, -1
	s_and_not1_b32 s4, s22, exec_lo
	s_and_b32 s3, s3, exec_lo
	s_delay_alu instid0(SALU_CYCLE_1)
	s_or_b32 s22, s4, s3
.LBB878_704:                            ;   in Loop: Header=BB878_676 Depth=1
	s_or_b32 exec_lo, exec_lo, s24
	s_delay_alu instid0(SALU_CYCLE_1)
	s_or_not1_b32 s22, s22, exec_lo
.LBB878_705:                            ;   in Loop: Header=BB878_676 Depth=1
	s_or_b32 exec_lo, exec_lo, s23
	v_cndmask_b32_e64 v4, v9, v8, s22
	v_cndmask_b32_e64 v5, v21, v20, s22
	s_mov_b32 s23, exec_lo
	s_delay_alu instid0(VALU_DEP_2) | instskip(NEXT) | instid1(VALU_DEP_2)
	v_add_nc_u32_e32 v6, 1, v4
	v_add_nc_u32_e32 v4, -1, v5
	s_delay_alu instid0(VALU_DEP_2) | instskip(NEXT) | instid1(VALU_DEP_2)
	v_cndmask_b32_e64 v9, v6, v9, s22
	v_min_u32_e32 v4, v6, v4
	v_cndmask_b32_e64 v8, v8, v6, s22
	s_delay_alu instid0(VALU_DEP_2)
	v_lshlrev_b32_e32 v4, 3, v4
	ds_load_b64 v[4:5], v4
	s_waitcnt lgkmcnt(0)
	v_cndmask_b32_e64 v26, v5, v10, s22
	v_cndmask_b32_e64 v27, v4, v11, s22
	;; [unrolled: 1-line block ×4, first 2 shown]
	v_cmpx_lt_u32_e64 v9, v21
	s_cbranch_execz .LBB878_713
; %bb.706:                              ;   in Loop: Header=BB878_676 Depth=1
	v_cmp_lt_u32_e64 s21, v8, v20
	s_delay_alu instid0(VALU_DEP_1) | instskip(NEXT) | instid1(SALU_CYCLE_1)
	s_and_b32 s3, s21, s15
	s_and_saveexec_b32 s24, s3
	s_cbranch_execz .LBB878_712
; %bb.707:                              ;   in Loop: Header=BB878_676 Depth=1
	v_mad_u64_u32 v[4:5], null, s12, v27, s[10:11]
	v_mul_lo_u32 v30, s12, v26
	v_mul_lo_u32 v31, s13, v27
	v_mad_u64_u32 v[6:7], null, s12, v29, s[10:11]
	v_mul_lo_u32 v32, s12, v28
	v_mul_lo_u32 v33, s13, v29
	s_mov_b32 s25, 0
	s_mov_b64 s[4:5], s[8:9]
                                        ; implicit-def: $sgpr26
                                        ; implicit-def: $sgpr27
                                        ; implicit-def: $sgpr28
                                        ; implicit-def: $sgpr29
                                        ; implicit-def: $sgpr30
	s_delay_alu instid0(VALU_DEP_4) | instskip(NEXT) | instid1(VALU_DEP_2)
	v_add3_u32 v5, v31, v5, v30
	v_add3_u32 v7, v33, v7, v32
	s_set_inst_prefetch_distance 0x1
	s_branch .LBB878_709
	.p2align	6
.LBB878_708:                            ;   in Loop: Header=BB878_709 Depth=2
	s_or_b32 exec_lo, exec_lo, s3
	s_delay_alu instid0(SALU_CYCLE_1) | instskip(NEXT) | instid1(SALU_CYCLE_1)
	s_and_b32 s3, exec_lo, s27
	s_or_b32 s25, s3, s25
	s_and_not1_b32 s3, s30, exec_lo
	s_and_b32 s30, s29, exec_lo
	s_and_not1_b32 s26, s26, exec_lo
	s_and_b32 s31, s28, exec_lo
	s_or_b32 s30, s3, s30
	s_or_b32 s26, s26, s31
	s_and_not1_b32 exec_lo, exec_lo, s25
	s_cbranch_execz .LBB878_711
.LBB878_709:                            ;   Parent Loop BB878_676 Depth=1
                                        ; =>  This Inner Loop Header: Depth=2
	global_load_b32 v30, v[4:5], off
	global_load_b32 v31, v[6:7], off
	s_and_not1_b32 s28, s28, exec_lo
	s_and_not1_b32 s29, s29, exec_lo
	s_or_b32 s27, s27, exec_lo
	s_waitcnt vmcnt(0)
	v_cmp_ngt_f32_e32 vcc_lo, v30, v31
	v_cmp_lt_f32_e64 s3, v30, v31
	s_and_b32 s31, vcc_lo, s30
	s_delay_alu instid0(VALU_DEP_1) | instid1(SALU_CYCLE_1)
	s_or_b32 s31, s3, s31
	s_delay_alu instid0(SALU_CYCLE_1) | instskip(NEXT) | instid1(SALU_CYCLE_1)
	s_and_b32 s3, s31, exec_lo
	s_or_b32 s28, s28, s3
	s_mov_b32 s3, exec_lo
	v_cmpx_nlg_f32_e32 v30, v31
	s_cbranch_execz .LBB878_708
; %bb.710:                              ;   in Loop: Header=BB878_709 Depth=2
	s_add_u32 s4, s4, -1
	s_addc_u32 s5, s5, -1
	v_add_co_u32 v4, vcc_lo, v4, 4
	s_cmp_eq_u64 s[4:5], 0
	v_add_co_ci_u32_e32 v5, vcc_lo, 0, v5, vcc_lo
	v_add_co_u32 v6, vcc_lo, v6, 4
	s_cselect_b32 s30, -1, 0
	v_add_co_ci_u32_e32 v7, vcc_lo, 0, v7, vcc_lo
	s_and_not1_b32 s29, s29, exec_lo
	s_and_b32 s31, s31, exec_lo
	s_and_not1_b32 s27, s27, exec_lo
	s_and_b32 s30, s30, exec_lo
	s_or_b32 s29, s29, s31
	s_and_not1_b32 s28, s28, exec_lo
	s_or_b32 s27, s27, s30
                                        ; implicit-def: $sgpr30
	s_branch .LBB878_708
.LBB878_711:                            ;   in Loop: Header=BB878_676 Depth=1
	s_set_inst_prefetch_distance 0x2
	s_or_b32 exec_lo, exec_lo, s25
	s_xor_b32 s3, s26, -1
	s_and_not1_b32 s4, s21, exec_lo
	s_and_b32 s3, s3, exec_lo
	s_delay_alu instid0(SALU_CYCLE_1)
	s_or_b32 s21, s4, s3
.LBB878_712:                            ;   in Loop: Header=BB878_676 Depth=1
	s_or_b32 exec_lo, exec_lo, s24
	s_delay_alu instid0(SALU_CYCLE_1)
	s_or_not1_b32 s21, s21, exec_lo
.LBB878_713:                            ;   in Loop: Header=BB878_676 Depth=1
	s_or_b32 exec_lo, exec_lo, s23
	v_cndmask_b32_e64 v4, v9, v8, s21
	v_cndmask_b32_e64 v5, v21, v20, s21
	s_mov_b32 s23, exec_lo
	s_delay_alu instid0(VALU_DEP_2) | instskip(NEXT) | instid1(VALU_DEP_2)
	v_add_nc_u32_e32 v30, 1, v4
	v_add_nc_u32_e32 v4, -1, v5
	s_delay_alu instid0(VALU_DEP_2) | instskip(NEXT) | instid1(VALU_DEP_2)
	v_cndmask_b32_e64 v9, v30, v9, s21
	v_min_u32_e32 v4, v30, v4
	s_delay_alu instid0(VALU_DEP_1)
	v_lshlrev_b32_e32 v4, 3, v4
	ds_load_b64 v[4:5], v4
	s_waitcnt lgkmcnt(0)
	v_cndmask_b32_e64 v7, v28, v5, s21
	v_cndmask_b32_e64 v6, v29, v4, s21
	v_cmpx_lt_u32_e64 v9, v21
	s_cbranch_execz .LBB878_674
; %bb.714:                              ;   in Loop: Header=BB878_676 Depth=1
	v_cndmask_b32_e64 v8, v8, v30, s21
	v_cndmask_b32_e64 v21, v5, v26, s21
	;; [unrolled: 1-line block ×3, first 2 shown]
	s_delay_alu instid0(VALU_DEP_3) | instskip(NEXT) | instid1(VALU_DEP_2)
	v_cmp_ge_u32_e32 vcc_lo, v8, v20
	v_dual_cndmask_b32 v5, v7, v21 :: v_dual_cndmask_b32 v4, v6, v30
	s_or_b32 s3, vcc_lo, s14
	s_delay_alu instid0(SALU_CYCLE_1) | instskip(NEXT) | instid1(SALU_CYCLE_1)
	s_xor_b32 s3, s3, -1
	s_and_saveexec_b32 s24, s3
	s_cbranch_execz .LBB878_673
; %bb.715:                              ;   in Loop: Header=BB878_676 Depth=1
	v_mad_u64_u32 v[4:5], null, s12, v30, s[10:11]
	v_mul_lo_u32 v20, s12, v21
	v_mul_lo_u32 v31, s13, v30
	v_mad_u64_u32 v[8:9], null, s12, v6, s[10:11]
	v_mul_lo_u32 v32, s12, v7
	v_mul_lo_u32 v33, s13, v6
	s_mov_b32 s25, 0
	s_mov_b64 s[4:5], s[8:9]
                                        ; implicit-def: $sgpr26
                                        ; implicit-def: $sgpr27
                                        ; implicit-def: $sgpr28
                                        ; implicit-def: $sgpr29
                                        ; implicit-def: $sgpr30
	s_delay_alu instid0(VALU_DEP_4) | instskip(NEXT) | instid1(VALU_DEP_2)
	v_add3_u32 v5, v31, v5, v20
	v_add3_u32 v9, v33, v9, v32
	s_set_inst_prefetch_distance 0x1
	s_branch .LBB878_717
	.p2align	6
.LBB878_716:                            ;   in Loop: Header=BB878_717 Depth=2
	s_or_b32 exec_lo, exec_lo, s3
	s_delay_alu instid0(SALU_CYCLE_1) | instskip(NEXT) | instid1(SALU_CYCLE_1)
	s_and_b32 s3, exec_lo, s27
	s_or_b32 s25, s3, s25
	s_and_not1_b32 s3, s30, exec_lo
	s_and_b32 s30, s29, exec_lo
	s_and_not1_b32 s26, s26, exec_lo
	s_and_b32 s31, s28, exec_lo
	s_or_b32 s30, s3, s30
	s_or_b32 s26, s26, s31
	s_and_not1_b32 exec_lo, exec_lo, s25
	s_cbranch_execz .LBB878_672
.LBB878_717:                            ;   Parent Loop BB878_676 Depth=1
                                        ; =>  This Inner Loop Header: Depth=2
	global_load_b32 v20, v[4:5], off
	global_load_b32 v31, v[8:9], off
	s_and_not1_b32 s28, s28, exec_lo
	s_and_not1_b32 s29, s29, exec_lo
	s_or_b32 s27, s27, exec_lo
	s_waitcnt vmcnt(0)
	v_cmp_ngt_f32_e32 vcc_lo, v20, v31
	v_cmp_lt_f32_e64 s3, v20, v31
	s_and_b32 s31, vcc_lo, s30
	s_delay_alu instid0(VALU_DEP_1) | instid1(SALU_CYCLE_1)
	s_or_b32 s31, s3, s31
	s_delay_alu instid0(SALU_CYCLE_1) | instskip(NEXT) | instid1(SALU_CYCLE_1)
	s_and_b32 s3, s31, exec_lo
	s_or_b32 s28, s28, s3
	s_mov_b32 s3, exec_lo
	v_cmpx_nlg_f32_e32 v20, v31
	s_cbranch_execz .LBB878_716
; %bb.718:                              ;   in Loop: Header=BB878_717 Depth=2
	s_add_u32 s4, s4, -1
	s_addc_u32 s5, s5, -1
	v_add_co_u32 v4, vcc_lo, v4, 4
	s_cmp_eq_u64 s[4:5], 0
	v_add_co_ci_u32_e32 v5, vcc_lo, 0, v5, vcc_lo
	v_add_co_u32 v8, vcc_lo, v8, 4
	s_cselect_b32 s30, -1, 0
	v_add_co_ci_u32_e32 v9, vcc_lo, 0, v9, vcc_lo
	s_and_not1_b32 s29, s29, exec_lo
	s_and_b32 s31, s31, exec_lo
	s_and_not1_b32 s27, s27, exec_lo
	s_and_b32 s30, s30, exec_lo
	s_or_b32 s29, s29, s31
	s_and_not1_b32 s28, s28, exec_lo
	s_or_b32 s27, s27, s30
                                        ; implicit-def: $sgpr30
	s_branch .LBB878_716
.LBB878_719:
	s_barrier
	buffer_gl0_inv
	ds_store_2addr_b64 v17, v[0:1], v[2:3] offset1:1
	ds_store_2addr_b64 v17, v[4:5], v[6:7] offset0:2 offset1:3
	s_waitcnt lgkmcnt(0)
	s_barrier
	buffer_gl0_inv
	ds_load_b64 v[6:7], v13 offset:2048
	ds_load_b64 v[2:3], v15 offset:4096
	;; [unrolled: 1-line block ×3, first 2 shown]
	v_add_co_u32 v4, s3, s6, v22
	v_mov_b32_e32 v13, 0
	v_add_co_ci_u32_e64 v5, null, s7, 0, s3
	s_and_saveexec_b32 s3, s0
	s_cbranch_execnz .LBB878_727
; %bb.720:
	s_or_b32 exec_lo, exec_lo, s3
	s_and_saveexec_b32 s0, s1
	s_cbranch_execnz .LBB878_728
.LBB878_721:
	s_or_b32 exec_lo, exec_lo, s0
	s_and_saveexec_b32 s0, s2
	s_cbranch_execz .LBB878_723
.LBB878_722:
	v_add_co_u32 v4, vcc_lo, 0x1000, v4
	v_add_co_ci_u32_e32 v5, vcc_lo, 0, v5, vcc_lo
	s_waitcnt lgkmcnt(1)
	global_store_b64 v[4:5], v[2:3], off
.LBB878_723:
	s_or_b32 exec_lo, exec_lo, s0
.LBB878_724:
	s_and_saveexec_b32 s0, s17
	s_cbranch_execz .LBB878_726
; %bb.725:
	s_waitcnt lgkmcnt(1)
	v_lshlrev_b64 v[2:3], 3, v[12:13]
	s_delay_alu instid0(VALU_DEP_1) | instskip(NEXT) | instid1(VALU_DEP_2)
	v_add_co_u32 v2, vcc_lo, s6, v2
	v_add_co_ci_u32_e32 v3, vcc_lo, s7, v3, vcc_lo
	s_delay_alu instid0(VALU_DEP_2) | instskip(NEXT) | instid1(VALU_DEP_2)
	v_add_co_u32 v2, vcc_lo, 0x1000, v2
	v_add_co_ci_u32_e32 v3, vcc_lo, 0, v3, vcc_lo
	s_waitcnt lgkmcnt(0)
	global_store_b64 v[2:3], v[0:1], off offset:2048
.LBB878_726:
	s_nop 0
	s_sendmsg sendmsg(MSG_DEALLOC_VGPRS)
	s_endpgm
.LBB878_727:
	ds_load_b64 v[8:9], v14
	s_waitcnt lgkmcnt(0)
	global_store_b64 v[4:5], v[8:9], off
	s_or_b32 exec_lo, exec_lo, s3
	s_and_saveexec_b32 s0, s1
	s_cbranch_execz .LBB878_721
.LBB878_728:
	s_waitcnt lgkmcnt(2)
	global_store_b64 v[4:5], v[6:7], off offset:2048
	s_or_b32 exec_lo, exec_lo, s0
	s_and_saveexec_b32 s0, s2
	s_cbranch_execnz .LBB878_722
	s_branch .LBB878_723
	.section	.rodata,"a",@progbits
	.p2align	6, 0x0
	.amdhsa_kernel _ZN7rocprim17ROCPRIM_400000_NS6detail17trampoline_kernelINS0_14default_configENS1_37merge_sort_block_sort_config_selectorIlNS0_10empty_typeEEEZNS1_21merge_sort_block_sortIS3_PlS8_PS5_S9_ZN2at6native12_GLOBAL__N_124unique_dim_cuda_templateIfEESt5tupleIJNSA_6TensorESF_SF_EERKSF_lbbbEUlllE_EE10hipError_tT0_T1_T2_T3_mRjT4_P12ihipStream_tbNS1_7vsmem_tEEUlT_E_NS1_11comp_targetILNS1_3genE9ELNS1_11target_archE1100ELNS1_3gpuE3ELNS1_3repE0EEENS1_30default_config_static_selectorELNS0_4arch9wavefront6targetE0EEEvSM_
		.amdhsa_group_segment_fixed_size 8448
		.amdhsa_private_segment_fixed_size 0
		.amdhsa_kernarg_size 328
		.amdhsa_user_sgpr_count 13
		.amdhsa_user_sgpr_dispatch_ptr 0
		.amdhsa_user_sgpr_queue_ptr 0
		.amdhsa_user_sgpr_kernarg_segment_ptr 1
		.amdhsa_user_sgpr_dispatch_id 0
		.amdhsa_user_sgpr_private_segment_size 0
		.amdhsa_wavefront_size32 1
		.amdhsa_uses_dynamic_stack 0
		.amdhsa_enable_private_segment 0
		.amdhsa_system_sgpr_workgroup_id_x 1
		.amdhsa_system_sgpr_workgroup_id_y 1
		.amdhsa_system_sgpr_workgroup_id_z 1
		.amdhsa_system_sgpr_workgroup_info 0
		.amdhsa_system_vgpr_workitem_id 2
		.amdhsa_next_free_vgpr 47
		.amdhsa_next_free_sgpr 32
		.amdhsa_reserve_vcc 1
		.amdhsa_float_round_mode_32 0
		.amdhsa_float_round_mode_16_64 0
		.amdhsa_float_denorm_mode_32 3
		.amdhsa_float_denorm_mode_16_64 3
		.amdhsa_dx10_clamp 1
		.amdhsa_ieee_mode 1
		.amdhsa_fp16_overflow 0
		.amdhsa_workgroup_processor_mode 1
		.amdhsa_memory_ordered 1
		.amdhsa_forward_progress 0
		.amdhsa_shared_vgpr_count 0
		.amdhsa_exception_fp_ieee_invalid_op 0
		.amdhsa_exception_fp_denorm_src 0
		.amdhsa_exception_fp_ieee_div_zero 0
		.amdhsa_exception_fp_ieee_overflow 0
		.amdhsa_exception_fp_ieee_underflow 0
		.amdhsa_exception_fp_ieee_inexact 0
		.amdhsa_exception_int_div_zero 0
	.end_amdhsa_kernel
	.section	.text._ZN7rocprim17ROCPRIM_400000_NS6detail17trampoline_kernelINS0_14default_configENS1_37merge_sort_block_sort_config_selectorIlNS0_10empty_typeEEEZNS1_21merge_sort_block_sortIS3_PlS8_PS5_S9_ZN2at6native12_GLOBAL__N_124unique_dim_cuda_templateIfEESt5tupleIJNSA_6TensorESF_SF_EERKSF_lbbbEUlllE_EE10hipError_tT0_T1_T2_T3_mRjT4_P12ihipStream_tbNS1_7vsmem_tEEUlT_E_NS1_11comp_targetILNS1_3genE9ELNS1_11target_archE1100ELNS1_3gpuE3ELNS1_3repE0EEENS1_30default_config_static_selectorELNS0_4arch9wavefront6targetE0EEEvSM_,"axG",@progbits,_ZN7rocprim17ROCPRIM_400000_NS6detail17trampoline_kernelINS0_14default_configENS1_37merge_sort_block_sort_config_selectorIlNS0_10empty_typeEEEZNS1_21merge_sort_block_sortIS3_PlS8_PS5_S9_ZN2at6native12_GLOBAL__N_124unique_dim_cuda_templateIfEESt5tupleIJNSA_6TensorESF_SF_EERKSF_lbbbEUlllE_EE10hipError_tT0_T1_T2_T3_mRjT4_P12ihipStream_tbNS1_7vsmem_tEEUlT_E_NS1_11comp_targetILNS1_3genE9ELNS1_11target_archE1100ELNS1_3gpuE3ELNS1_3repE0EEENS1_30default_config_static_selectorELNS0_4arch9wavefront6targetE0EEEvSM_,comdat
.Lfunc_end878:
	.size	_ZN7rocprim17ROCPRIM_400000_NS6detail17trampoline_kernelINS0_14default_configENS1_37merge_sort_block_sort_config_selectorIlNS0_10empty_typeEEEZNS1_21merge_sort_block_sortIS3_PlS8_PS5_S9_ZN2at6native12_GLOBAL__N_124unique_dim_cuda_templateIfEESt5tupleIJNSA_6TensorESF_SF_EERKSF_lbbbEUlllE_EE10hipError_tT0_T1_T2_T3_mRjT4_P12ihipStream_tbNS1_7vsmem_tEEUlT_E_NS1_11comp_targetILNS1_3genE9ELNS1_11target_archE1100ELNS1_3gpuE3ELNS1_3repE0EEENS1_30default_config_static_selectorELNS0_4arch9wavefront6targetE0EEEvSM_, .Lfunc_end878-_ZN7rocprim17ROCPRIM_400000_NS6detail17trampoline_kernelINS0_14default_configENS1_37merge_sort_block_sort_config_selectorIlNS0_10empty_typeEEEZNS1_21merge_sort_block_sortIS3_PlS8_PS5_S9_ZN2at6native12_GLOBAL__N_124unique_dim_cuda_templateIfEESt5tupleIJNSA_6TensorESF_SF_EERKSF_lbbbEUlllE_EE10hipError_tT0_T1_T2_T3_mRjT4_P12ihipStream_tbNS1_7vsmem_tEEUlT_E_NS1_11comp_targetILNS1_3genE9ELNS1_11target_archE1100ELNS1_3gpuE3ELNS1_3repE0EEENS1_30default_config_static_selectorELNS0_4arch9wavefront6targetE0EEEvSM_
                                        ; -- End function
	.section	.AMDGPU.csdata,"",@progbits
; Kernel info:
; codeLenInByte = 42616
; NumSgprs: 34
; NumVgprs: 47
; ScratchSize: 0
; MemoryBound: 0
; FloatMode: 240
; IeeeMode: 1
; LDSByteSize: 8448 bytes/workgroup (compile time only)
; SGPRBlocks: 4
; VGPRBlocks: 5
; NumSGPRsForWavesPerEU: 34
; NumVGPRsForWavesPerEU: 47
; Occupancy: 16
; WaveLimiterHint : 1
; COMPUTE_PGM_RSRC2:SCRATCH_EN: 0
; COMPUTE_PGM_RSRC2:USER_SGPR: 13
; COMPUTE_PGM_RSRC2:TRAP_HANDLER: 0
; COMPUTE_PGM_RSRC2:TGID_X_EN: 1
; COMPUTE_PGM_RSRC2:TGID_Y_EN: 1
; COMPUTE_PGM_RSRC2:TGID_Z_EN: 1
; COMPUTE_PGM_RSRC2:TIDIG_COMP_CNT: 2
	.section	.text._ZN7rocprim17ROCPRIM_400000_NS6detail17trampoline_kernelINS0_14default_configENS1_37merge_sort_block_sort_config_selectorIlNS0_10empty_typeEEEZNS1_21merge_sort_block_sortIS3_PlS8_PS5_S9_ZN2at6native12_GLOBAL__N_124unique_dim_cuda_templateIfEESt5tupleIJNSA_6TensorESF_SF_EERKSF_lbbbEUlllE_EE10hipError_tT0_T1_T2_T3_mRjT4_P12ihipStream_tbNS1_7vsmem_tEEUlT_E_NS1_11comp_targetILNS1_3genE8ELNS1_11target_archE1030ELNS1_3gpuE2ELNS1_3repE0EEENS1_30default_config_static_selectorELNS0_4arch9wavefront6targetE0EEEvSM_,"axG",@progbits,_ZN7rocprim17ROCPRIM_400000_NS6detail17trampoline_kernelINS0_14default_configENS1_37merge_sort_block_sort_config_selectorIlNS0_10empty_typeEEEZNS1_21merge_sort_block_sortIS3_PlS8_PS5_S9_ZN2at6native12_GLOBAL__N_124unique_dim_cuda_templateIfEESt5tupleIJNSA_6TensorESF_SF_EERKSF_lbbbEUlllE_EE10hipError_tT0_T1_T2_T3_mRjT4_P12ihipStream_tbNS1_7vsmem_tEEUlT_E_NS1_11comp_targetILNS1_3genE8ELNS1_11target_archE1030ELNS1_3gpuE2ELNS1_3repE0EEENS1_30default_config_static_selectorELNS0_4arch9wavefront6targetE0EEEvSM_,comdat
	.globl	_ZN7rocprim17ROCPRIM_400000_NS6detail17trampoline_kernelINS0_14default_configENS1_37merge_sort_block_sort_config_selectorIlNS0_10empty_typeEEEZNS1_21merge_sort_block_sortIS3_PlS8_PS5_S9_ZN2at6native12_GLOBAL__N_124unique_dim_cuda_templateIfEESt5tupleIJNSA_6TensorESF_SF_EERKSF_lbbbEUlllE_EE10hipError_tT0_T1_T2_T3_mRjT4_P12ihipStream_tbNS1_7vsmem_tEEUlT_E_NS1_11comp_targetILNS1_3genE8ELNS1_11target_archE1030ELNS1_3gpuE2ELNS1_3repE0EEENS1_30default_config_static_selectorELNS0_4arch9wavefront6targetE0EEEvSM_ ; -- Begin function _ZN7rocprim17ROCPRIM_400000_NS6detail17trampoline_kernelINS0_14default_configENS1_37merge_sort_block_sort_config_selectorIlNS0_10empty_typeEEEZNS1_21merge_sort_block_sortIS3_PlS8_PS5_S9_ZN2at6native12_GLOBAL__N_124unique_dim_cuda_templateIfEESt5tupleIJNSA_6TensorESF_SF_EERKSF_lbbbEUlllE_EE10hipError_tT0_T1_T2_T3_mRjT4_P12ihipStream_tbNS1_7vsmem_tEEUlT_E_NS1_11comp_targetILNS1_3genE8ELNS1_11target_archE1030ELNS1_3gpuE2ELNS1_3repE0EEENS1_30default_config_static_selectorELNS0_4arch9wavefront6targetE0EEEvSM_
	.p2align	8
	.type	_ZN7rocprim17ROCPRIM_400000_NS6detail17trampoline_kernelINS0_14default_configENS1_37merge_sort_block_sort_config_selectorIlNS0_10empty_typeEEEZNS1_21merge_sort_block_sortIS3_PlS8_PS5_S9_ZN2at6native12_GLOBAL__N_124unique_dim_cuda_templateIfEESt5tupleIJNSA_6TensorESF_SF_EERKSF_lbbbEUlllE_EE10hipError_tT0_T1_T2_T3_mRjT4_P12ihipStream_tbNS1_7vsmem_tEEUlT_E_NS1_11comp_targetILNS1_3genE8ELNS1_11target_archE1030ELNS1_3gpuE2ELNS1_3repE0EEENS1_30default_config_static_selectorELNS0_4arch9wavefront6targetE0EEEvSM_,@function
_ZN7rocprim17ROCPRIM_400000_NS6detail17trampoline_kernelINS0_14default_configENS1_37merge_sort_block_sort_config_selectorIlNS0_10empty_typeEEEZNS1_21merge_sort_block_sortIS3_PlS8_PS5_S9_ZN2at6native12_GLOBAL__N_124unique_dim_cuda_templateIfEESt5tupleIJNSA_6TensorESF_SF_EERKSF_lbbbEUlllE_EE10hipError_tT0_T1_T2_T3_mRjT4_P12ihipStream_tbNS1_7vsmem_tEEUlT_E_NS1_11comp_targetILNS1_3genE8ELNS1_11target_archE1030ELNS1_3gpuE2ELNS1_3repE0EEENS1_30default_config_static_selectorELNS0_4arch9wavefront6targetE0EEEvSM_: ; @_ZN7rocprim17ROCPRIM_400000_NS6detail17trampoline_kernelINS0_14default_configENS1_37merge_sort_block_sort_config_selectorIlNS0_10empty_typeEEEZNS1_21merge_sort_block_sortIS3_PlS8_PS5_S9_ZN2at6native12_GLOBAL__N_124unique_dim_cuda_templateIfEESt5tupleIJNSA_6TensorESF_SF_EERKSF_lbbbEUlllE_EE10hipError_tT0_T1_T2_T3_mRjT4_P12ihipStream_tbNS1_7vsmem_tEEUlT_E_NS1_11comp_targetILNS1_3genE8ELNS1_11target_archE1030ELNS1_3gpuE2ELNS1_3repE0EEENS1_30default_config_static_selectorELNS0_4arch9wavefront6targetE0EEEvSM_
; %bb.0:
	.section	.rodata,"a",@progbits
	.p2align	6, 0x0
	.amdhsa_kernel _ZN7rocprim17ROCPRIM_400000_NS6detail17trampoline_kernelINS0_14default_configENS1_37merge_sort_block_sort_config_selectorIlNS0_10empty_typeEEEZNS1_21merge_sort_block_sortIS3_PlS8_PS5_S9_ZN2at6native12_GLOBAL__N_124unique_dim_cuda_templateIfEESt5tupleIJNSA_6TensorESF_SF_EERKSF_lbbbEUlllE_EE10hipError_tT0_T1_T2_T3_mRjT4_P12ihipStream_tbNS1_7vsmem_tEEUlT_E_NS1_11comp_targetILNS1_3genE8ELNS1_11target_archE1030ELNS1_3gpuE2ELNS1_3repE0EEENS1_30default_config_static_selectorELNS0_4arch9wavefront6targetE0EEEvSM_
		.amdhsa_group_segment_fixed_size 0
		.amdhsa_private_segment_fixed_size 0
		.amdhsa_kernarg_size 72
		.amdhsa_user_sgpr_count 15
		.amdhsa_user_sgpr_dispatch_ptr 0
		.amdhsa_user_sgpr_queue_ptr 0
		.amdhsa_user_sgpr_kernarg_segment_ptr 1
		.amdhsa_user_sgpr_dispatch_id 0
		.amdhsa_user_sgpr_private_segment_size 0
		.amdhsa_wavefront_size32 1
		.amdhsa_uses_dynamic_stack 0
		.amdhsa_enable_private_segment 0
		.amdhsa_system_sgpr_workgroup_id_x 1
		.amdhsa_system_sgpr_workgroup_id_y 0
		.amdhsa_system_sgpr_workgroup_id_z 0
		.amdhsa_system_sgpr_workgroup_info 0
		.amdhsa_system_vgpr_workitem_id 0
		.amdhsa_next_free_vgpr 1
		.amdhsa_next_free_sgpr 1
		.amdhsa_reserve_vcc 0
		.amdhsa_float_round_mode_32 0
		.amdhsa_float_round_mode_16_64 0
		.amdhsa_float_denorm_mode_32 3
		.amdhsa_float_denorm_mode_16_64 3
		.amdhsa_dx10_clamp 1
		.amdhsa_ieee_mode 1
		.amdhsa_fp16_overflow 0
		.amdhsa_workgroup_processor_mode 1
		.amdhsa_memory_ordered 1
		.amdhsa_forward_progress 0
		.amdhsa_shared_vgpr_count 0
		.amdhsa_exception_fp_ieee_invalid_op 0
		.amdhsa_exception_fp_denorm_src 0
		.amdhsa_exception_fp_ieee_div_zero 0
		.amdhsa_exception_fp_ieee_overflow 0
		.amdhsa_exception_fp_ieee_underflow 0
		.amdhsa_exception_fp_ieee_inexact 0
		.amdhsa_exception_int_div_zero 0
	.end_amdhsa_kernel
	.section	.text._ZN7rocprim17ROCPRIM_400000_NS6detail17trampoline_kernelINS0_14default_configENS1_37merge_sort_block_sort_config_selectorIlNS0_10empty_typeEEEZNS1_21merge_sort_block_sortIS3_PlS8_PS5_S9_ZN2at6native12_GLOBAL__N_124unique_dim_cuda_templateIfEESt5tupleIJNSA_6TensorESF_SF_EERKSF_lbbbEUlllE_EE10hipError_tT0_T1_T2_T3_mRjT4_P12ihipStream_tbNS1_7vsmem_tEEUlT_E_NS1_11comp_targetILNS1_3genE8ELNS1_11target_archE1030ELNS1_3gpuE2ELNS1_3repE0EEENS1_30default_config_static_selectorELNS0_4arch9wavefront6targetE0EEEvSM_,"axG",@progbits,_ZN7rocprim17ROCPRIM_400000_NS6detail17trampoline_kernelINS0_14default_configENS1_37merge_sort_block_sort_config_selectorIlNS0_10empty_typeEEEZNS1_21merge_sort_block_sortIS3_PlS8_PS5_S9_ZN2at6native12_GLOBAL__N_124unique_dim_cuda_templateIfEESt5tupleIJNSA_6TensorESF_SF_EERKSF_lbbbEUlllE_EE10hipError_tT0_T1_T2_T3_mRjT4_P12ihipStream_tbNS1_7vsmem_tEEUlT_E_NS1_11comp_targetILNS1_3genE8ELNS1_11target_archE1030ELNS1_3gpuE2ELNS1_3repE0EEENS1_30default_config_static_selectorELNS0_4arch9wavefront6targetE0EEEvSM_,comdat
.Lfunc_end879:
	.size	_ZN7rocprim17ROCPRIM_400000_NS6detail17trampoline_kernelINS0_14default_configENS1_37merge_sort_block_sort_config_selectorIlNS0_10empty_typeEEEZNS1_21merge_sort_block_sortIS3_PlS8_PS5_S9_ZN2at6native12_GLOBAL__N_124unique_dim_cuda_templateIfEESt5tupleIJNSA_6TensorESF_SF_EERKSF_lbbbEUlllE_EE10hipError_tT0_T1_T2_T3_mRjT4_P12ihipStream_tbNS1_7vsmem_tEEUlT_E_NS1_11comp_targetILNS1_3genE8ELNS1_11target_archE1030ELNS1_3gpuE2ELNS1_3repE0EEENS1_30default_config_static_selectorELNS0_4arch9wavefront6targetE0EEEvSM_, .Lfunc_end879-_ZN7rocprim17ROCPRIM_400000_NS6detail17trampoline_kernelINS0_14default_configENS1_37merge_sort_block_sort_config_selectorIlNS0_10empty_typeEEEZNS1_21merge_sort_block_sortIS3_PlS8_PS5_S9_ZN2at6native12_GLOBAL__N_124unique_dim_cuda_templateIfEESt5tupleIJNSA_6TensorESF_SF_EERKSF_lbbbEUlllE_EE10hipError_tT0_T1_T2_T3_mRjT4_P12ihipStream_tbNS1_7vsmem_tEEUlT_E_NS1_11comp_targetILNS1_3genE8ELNS1_11target_archE1030ELNS1_3gpuE2ELNS1_3repE0EEENS1_30default_config_static_selectorELNS0_4arch9wavefront6targetE0EEEvSM_
                                        ; -- End function
	.section	.AMDGPU.csdata,"",@progbits
; Kernel info:
; codeLenInByte = 0
; NumSgprs: 0
; NumVgprs: 0
; ScratchSize: 0
; MemoryBound: 0
; FloatMode: 240
; IeeeMode: 1
; LDSByteSize: 0 bytes/workgroup (compile time only)
; SGPRBlocks: 0
; VGPRBlocks: 0
; NumSGPRsForWavesPerEU: 1
; NumVGPRsForWavesPerEU: 1
; Occupancy: 16
; WaveLimiterHint : 0
; COMPUTE_PGM_RSRC2:SCRATCH_EN: 0
; COMPUTE_PGM_RSRC2:USER_SGPR: 15
; COMPUTE_PGM_RSRC2:TRAP_HANDLER: 0
; COMPUTE_PGM_RSRC2:TGID_X_EN: 1
; COMPUTE_PGM_RSRC2:TGID_Y_EN: 0
; COMPUTE_PGM_RSRC2:TGID_Z_EN: 0
; COMPUTE_PGM_RSRC2:TIDIG_COMP_CNT: 0
	.section	.text._ZN7rocprim17ROCPRIM_400000_NS6detail17trampoline_kernelINS0_14default_configENS1_38merge_sort_block_merge_config_selectorIlNS0_10empty_typeEEEZZNS1_27merge_sort_block_merge_implIS3_PlPS5_mZN2at6native12_GLOBAL__N_124unique_dim_cuda_templateIfEESt5tupleIJNSA_6TensorESF_SF_EERKSF_lbbbEUlllE_EE10hipError_tT0_T1_T2_jT3_P12ihipStream_tbPNSt15iterator_traitsISL_E10value_typeEPNSR_ISM_E10value_typeEPSN_NS1_7vsmem_tEENKUlT_SL_SM_SN_E_clIS8_S8_S9_S9_EESK_S10_SL_SM_SN_EUlS10_E_NS1_11comp_targetILNS1_3genE0ELNS1_11target_archE4294967295ELNS1_3gpuE0ELNS1_3repE0EEENS1_48merge_mergepath_partition_config_static_selectorELNS0_4arch9wavefront6targetE0EEEvSM_,"axG",@progbits,_ZN7rocprim17ROCPRIM_400000_NS6detail17trampoline_kernelINS0_14default_configENS1_38merge_sort_block_merge_config_selectorIlNS0_10empty_typeEEEZZNS1_27merge_sort_block_merge_implIS3_PlPS5_mZN2at6native12_GLOBAL__N_124unique_dim_cuda_templateIfEESt5tupleIJNSA_6TensorESF_SF_EERKSF_lbbbEUlllE_EE10hipError_tT0_T1_T2_jT3_P12ihipStream_tbPNSt15iterator_traitsISL_E10value_typeEPNSR_ISM_E10value_typeEPSN_NS1_7vsmem_tEENKUlT_SL_SM_SN_E_clIS8_S8_S9_S9_EESK_S10_SL_SM_SN_EUlS10_E_NS1_11comp_targetILNS1_3genE0ELNS1_11target_archE4294967295ELNS1_3gpuE0ELNS1_3repE0EEENS1_48merge_mergepath_partition_config_static_selectorELNS0_4arch9wavefront6targetE0EEEvSM_,comdat
	.globl	_ZN7rocprim17ROCPRIM_400000_NS6detail17trampoline_kernelINS0_14default_configENS1_38merge_sort_block_merge_config_selectorIlNS0_10empty_typeEEEZZNS1_27merge_sort_block_merge_implIS3_PlPS5_mZN2at6native12_GLOBAL__N_124unique_dim_cuda_templateIfEESt5tupleIJNSA_6TensorESF_SF_EERKSF_lbbbEUlllE_EE10hipError_tT0_T1_T2_jT3_P12ihipStream_tbPNSt15iterator_traitsISL_E10value_typeEPNSR_ISM_E10value_typeEPSN_NS1_7vsmem_tEENKUlT_SL_SM_SN_E_clIS8_S8_S9_S9_EESK_S10_SL_SM_SN_EUlS10_E_NS1_11comp_targetILNS1_3genE0ELNS1_11target_archE4294967295ELNS1_3gpuE0ELNS1_3repE0EEENS1_48merge_mergepath_partition_config_static_selectorELNS0_4arch9wavefront6targetE0EEEvSM_ ; -- Begin function _ZN7rocprim17ROCPRIM_400000_NS6detail17trampoline_kernelINS0_14default_configENS1_38merge_sort_block_merge_config_selectorIlNS0_10empty_typeEEEZZNS1_27merge_sort_block_merge_implIS3_PlPS5_mZN2at6native12_GLOBAL__N_124unique_dim_cuda_templateIfEESt5tupleIJNSA_6TensorESF_SF_EERKSF_lbbbEUlllE_EE10hipError_tT0_T1_T2_jT3_P12ihipStream_tbPNSt15iterator_traitsISL_E10value_typeEPNSR_ISM_E10value_typeEPSN_NS1_7vsmem_tEENKUlT_SL_SM_SN_E_clIS8_S8_S9_S9_EESK_S10_SL_SM_SN_EUlS10_E_NS1_11comp_targetILNS1_3genE0ELNS1_11target_archE4294967295ELNS1_3gpuE0ELNS1_3repE0EEENS1_48merge_mergepath_partition_config_static_selectorELNS0_4arch9wavefront6targetE0EEEvSM_
	.p2align	8
	.type	_ZN7rocprim17ROCPRIM_400000_NS6detail17trampoline_kernelINS0_14default_configENS1_38merge_sort_block_merge_config_selectorIlNS0_10empty_typeEEEZZNS1_27merge_sort_block_merge_implIS3_PlPS5_mZN2at6native12_GLOBAL__N_124unique_dim_cuda_templateIfEESt5tupleIJNSA_6TensorESF_SF_EERKSF_lbbbEUlllE_EE10hipError_tT0_T1_T2_jT3_P12ihipStream_tbPNSt15iterator_traitsISL_E10value_typeEPNSR_ISM_E10value_typeEPSN_NS1_7vsmem_tEENKUlT_SL_SM_SN_E_clIS8_S8_S9_S9_EESK_S10_SL_SM_SN_EUlS10_E_NS1_11comp_targetILNS1_3genE0ELNS1_11target_archE4294967295ELNS1_3gpuE0ELNS1_3repE0EEENS1_48merge_mergepath_partition_config_static_selectorELNS0_4arch9wavefront6targetE0EEEvSM_,@function
_ZN7rocprim17ROCPRIM_400000_NS6detail17trampoline_kernelINS0_14default_configENS1_38merge_sort_block_merge_config_selectorIlNS0_10empty_typeEEEZZNS1_27merge_sort_block_merge_implIS3_PlPS5_mZN2at6native12_GLOBAL__N_124unique_dim_cuda_templateIfEESt5tupleIJNSA_6TensorESF_SF_EERKSF_lbbbEUlllE_EE10hipError_tT0_T1_T2_jT3_P12ihipStream_tbPNSt15iterator_traitsISL_E10value_typeEPNSR_ISM_E10value_typeEPSN_NS1_7vsmem_tEENKUlT_SL_SM_SN_E_clIS8_S8_S9_S9_EESK_S10_SL_SM_SN_EUlS10_E_NS1_11comp_targetILNS1_3genE0ELNS1_11target_archE4294967295ELNS1_3gpuE0ELNS1_3repE0EEENS1_48merge_mergepath_partition_config_static_selectorELNS0_4arch9wavefront6targetE0EEEvSM_: ; @_ZN7rocprim17ROCPRIM_400000_NS6detail17trampoline_kernelINS0_14default_configENS1_38merge_sort_block_merge_config_selectorIlNS0_10empty_typeEEEZZNS1_27merge_sort_block_merge_implIS3_PlPS5_mZN2at6native12_GLOBAL__N_124unique_dim_cuda_templateIfEESt5tupleIJNSA_6TensorESF_SF_EERKSF_lbbbEUlllE_EE10hipError_tT0_T1_T2_jT3_P12ihipStream_tbPNSt15iterator_traitsISL_E10value_typeEPNSR_ISM_E10value_typeEPSN_NS1_7vsmem_tEENKUlT_SL_SM_SN_E_clIS8_S8_S9_S9_EESK_S10_SL_SM_SN_EUlS10_E_NS1_11comp_targetILNS1_3genE0ELNS1_11target_archE4294967295ELNS1_3gpuE0ELNS1_3repE0EEENS1_48merge_mergepath_partition_config_static_selectorELNS0_4arch9wavefront6targetE0EEEvSM_
; %bb.0:
	.section	.rodata,"a",@progbits
	.p2align	6, 0x0
	.amdhsa_kernel _ZN7rocprim17ROCPRIM_400000_NS6detail17trampoline_kernelINS0_14default_configENS1_38merge_sort_block_merge_config_selectorIlNS0_10empty_typeEEEZZNS1_27merge_sort_block_merge_implIS3_PlPS5_mZN2at6native12_GLOBAL__N_124unique_dim_cuda_templateIfEESt5tupleIJNSA_6TensorESF_SF_EERKSF_lbbbEUlllE_EE10hipError_tT0_T1_T2_jT3_P12ihipStream_tbPNSt15iterator_traitsISL_E10value_typeEPNSR_ISM_E10value_typeEPSN_NS1_7vsmem_tEENKUlT_SL_SM_SN_E_clIS8_S8_S9_S9_EESK_S10_SL_SM_SN_EUlS10_E_NS1_11comp_targetILNS1_3genE0ELNS1_11target_archE4294967295ELNS1_3gpuE0ELNS1_3repE0EEENS1_48merge_mergepath_partition_config_static_selectorELNS0_4arch9wavefront6targetE0EEEvSM_
		.amdhsa_group_segment_fixed_size 0
		.amdhsa_private_segment_fixed_size 0
		.amdhsa_kernarg_size 56
		.amdhsa_user_sgpr_count 15
		.amdhsa_user_sgpr_dispatch_ptr 0
		.amdhsa_user_sgpr_queue_ptr 0
		.amdhsa_user_sgpr_kernarg_segment_ptr 1
		.amdhsa_user_sgpr_dispatch_id 0
		.amdhsa_user_sgpr_private_segment_size 0
		.amdhsa_wavefront_size32 1
		.amdhsa_uses_dynamic_stack 0
		.amdhsa_enable_private_segment 0
		.amdhsa_system_sgpr_workgroup_id_x 1
		.amdhsa_system_sgpr_workgroup_id_y 0
		.amdhsa_system_sgpr_workgroup_id_z 0
		.amdhsa_system_sgpr_workgroup_info 0
		.amdhsa_system_vgpr_workitem_id 0
		.amdhsa_next_free_vgpr 1
		.amdhsa_next_free_sgpr 1
		.amdhsa_reserve_vcc 0
		.amdhsa_float_round_mode_32 0
		.amdhsa_float_round_mode_16_64 0
		.amdhsa_float_denorm_mode_32 3
		.amdhsa_float_denorm_mode_16_64 3
		.amdhsa_dx10_clamp 1
		.amdhsa_ieee_mode 1
		.amdhsa_fp16_overflow 0
		.amdhsa_workgroup_processor_mode 1
		.amdhsa_memory_ordered 1
		.amdhsa_forward_progress 0
		.amdhsa_shared_vgpr_count 0
		.amdhsa_exception_fp_ieee_invalid_op 0
		.amdhsa_exception_fp_denorm_src 0
		.amdhsa_exception_fp_ieee_div_zero 0
		.amdhsa_exception_fp_ieee_overflow 0
		.amdhsa_exception_fp_ieee_underflow 0
		.amdhsa_exception_fp_ieee_inexact 0
		.amdhsa_exception_int_div_zero 0
	.end_amdhsa_kernel
	.section	.text._ZN7rocprim17ROCPRIM_400000_NS6detail17trampoline_kernelINS0_14default_configENS1_38merge_sort_block_merge_config_selectorIlNS0_10empty_typeEEEZZNS1_27merge_sort_block_merge_implIS3_PlPS5_mZN2at6native12_GLOBAL__N_124unique_dim_cuda_templateIfEESt5tupleIJNSA_6TensorESF_SF_EERKSF_lbbbEUlllE_EE10hipError_tT0_T1_T2_jT3_P12ihipStream_tbPNSt15iterator_traitsISL_E10value_typeEPNSR_ISM_E10value_typeEPSN_NS1_7vsmem_tEENKUlT_SL_SM_SN_E_clIS8_S8_S9_S9_EESK_S10_SL_SM_SN_EUlS10_E_NS1_11comp_targetILNS1_3genE0ELNS1_11target_archE4294967295ELNS1_3gpuE0ELNS1_3repE0EEENS1_48merge_mergepath_partition_config_static_selectorELNS0_4arch9wavefront6targetE0EEEvSM_,"axG",@progbits,_ZN7rocprim17ROCPRIM_400000_NS6detail17trampoline_kernelINS0_14default_configENS1_38merge_sort_block_merge_config_selectorIlNS0_10empty_typeEEEZZNS1_27merge_sort_block_merge_implIS3_PlPS5_mZN2at6native12_GLOBAL__N_124unique_dim_cuda_templateIfEESt5tupleIJNSA_6TensorESF_SF_EERKSF_lbbbEUlllE_EE10hipError_tT0_T1_T2_jT3_P12ihipStream_tbPNSt15iterator_traitsISL_E10value_typeEPNSR_ISM_E10value_typeEPSN_NS1_7vsmem_tEENKUlT_SL_SM_SN_E_clIS8_S8_S9_S9_EESK_S10_SL_SM_SN_EUlS10_E_NS1_11comp_targetILNS1_3genE0ELNS1_11target_archE4294967295ELNS1_3gpuE0ELNS1_3repE0EEENS1_48merge_mergepath_partition_config_static_selectorELNS0_4arch9wavefront6targetE0EEEvSM_,comdat
.Lfunc_end880:
	.size	_ZN7rocprim17ROCPRIM_400000_NS6detail17trampoline_kernelINS0_14default_configENS1_38merge_sort_block_merge_config_selectorIlNS0_10empty_typeEEEZZNS1_27merge_sort_block_merge_implIS3_PlPS5_mZN2at6native12_GLOBAL__N_124unique_dim_cuda_templateIfEESt5tupleIJNSA_6TensorESF_SF_EERKSF_lbbbEUlllE_EE10hipError_tT0_T1_T2_jT3_P12ihipStream_tbPNSt15iterator_traitsISL_E10value_typeEPNSR_ISM_E10value_typeEPSN_NS1_7vsmem_tEENKUlT_SL_SM_SN_E_clIS8_S8_S9_S9_EESK_S10_SL_SM_SN_EUlS10_E_NS1_11comp_targetILNS1_3genE0ELNS1_11target_archE4294967295ELNS1_3gpuE0ELNS1_3repE0EEENS1_48merge_mergepath_partition_config_static_selectorELNS0_4arch9wavefront6targetE0EEEvSM_, .Lfunc_end880-_ZN7rocprim17ROCPRIM_400000_NS6detail17trampoline_kernelINS0_14default_configENS1_38merge_sort_block_merge_config_selectorIlNS0_10empty_typeEEEZZNS1_27merge_sort_block_merge_implIS3_PlPS5_mZN2at6native12_GLOBAL__N_124unique_dim_cuda_templateIfEESt5tupleIJNSA_6TensorESF_SF_EERKSF_lbbbEUlllE_EE10hipError_tT0_T1_T2_jT3_P12ihipStream_tbPNSt15iterator_traitsISL_E10value_typeEPNSR_ISM_E10value_typeEPSN_NS1_7vsmem_tEENKUlT_SL_SM_SN_E_clIS8_S8_S9_S9_EESK_S10_SL_SM_SN_EUlS10_E_NS1_11comp_targetILNS1_3genE0ELNS1_11target_archE4294967295ELNS1_3gpuE0ELNS1_3repE0EEENS1_48merge_mergepath_partition_config_static_selectorELNS0_4arch9wavefront6targetE0EEEvSM_
                                        ; -- End function
	.section	.AMDGPU.csdata,"",@progbits
; Kernel info:
; codeLenInByte = 0
; NumSgprs: 0
; NumVgprs: 0
; ScratchSize: 0
; MemoryBound: 0
; FloatMode: 240
; IeeeMode: 1
; LDSByteSize: 0 bytes/workgroup (compile time only)
; SGPRBlocks: 0
; VGPRBlocks: 0
; NumSGPRsForWavesPerEU: 1
; NumVGPRsForWavesPerEU: 1
; Occupancy: 16
; WaveLimiterHint : 0
; COMPUTE_PGM_RSRC2:SCRATCH_EN: 0
; COMPUTE_PGM_RSRC2:USER_SGPR: 15
; COMPUTE_PGM_RSRC2:TRAP_HANDLER: 0
; COMPUTE_PGM_RSRC2:TGID_X_EN: 1
; COMPUTE_PGM_RSRC2:TGID_Y_EN: 0
; COMPUTE_PGM_RSRC2:TGID_Z_EN: 0
; COMPUTE_PGM_RSRC2:TIDIG_COMP_CNT: 0
	.section	.text._ZN7rocprim17ROCPRIM_400000_NS6detail17trampoline_kernelINS0_14default_configENS1_38merge_sort_block_merge_config_selectorIlNS0_10empty_typeEEEZZNS1_27merge_sort_block_merge_implIS3_PlPS5_mZN2at6native12_GLOBAL__N_124unique_dim_cuda_templateIfEESt5tupleIJNSA_6TensorESF_SF_EERKSF_lbbbEUlllE_EE10hipError_tT0_T1_T2_jT3_P12ihipStream_tbPNSt15iterator_traitsISL_E10value_typeEPNSR_ISM_E10value_typeEPSN_NS1_7vsmem_tEENKUlT_SL_SM_SN_E_clIS8_S8_S9_S9_EESK_S10_SL_SM_SN_EUlS10_E_NS1_11comp_targetILNS1_3genE10ELNS1_11target_archE1201ELNS1_3gpuE5ELNS1_3repE0EEENS1_48merge_mergepath_partition_config_static_selectorELNS0_4arch9wavefront6targetE0EEEvSM_,"axG",@progbits,_ZN7rocprim17ROCPRIM_400000_NS6detail17trampoline_kernelINS0_14default_configENS1_38merge_sort_block_merge_config_selectorIlNS0_10empty_typeEEEZZNS1_27merge_sort_block_merge_implIS3_PlPS5_mZN2at6native12_GLOBAL__N_124unique_dim_cuda_templateIfEESt5tupleIJNSA_6TensorESF_SF_EERKSF_lbbbEUlllE_EE10hipError_tT0_T1_T2_jT3_P12ihipStream_tbPNSt15iterator_traitsISL_E10value_typeEPNSR_ISM_E10value_typeEPSN_NS1_7vsmem_tEENKUlT_SL_SM_SN_E_clIS8_S8_S9_S9_EESK_S10_SL_SM_SN_EUlS10_E_NS1_11comp_targetILNS1_3genE10ELNS1_11target_archE1201ELNS1_3gpuE5ELNS1_3repE0EEENS1_48merge_mergepath_partition_config_static_selectorELNS0_4arch9wavefront6targetE0EEEvSM_,comdat
	.globl	_ZN7rocprim17ROCPRIM_400000_NS6detail17trampoline_kernelINS0_14default_configENS1_38merge_sort_block_merge_config_selectorIlNS0_10empty_typeEEEZZNS1_27merge_sort_block_merge_implIS3_PlPS5_mZN2at6native12_GLOBAL__N_124unique_dim_cuda_templateIfEESt5tupleIJNSA_6TensorESF_SF_EERKSF_lbbbEUlllE_EE10hipError_tT0_T1_T2_jT3_P12ihipStream_tbPNSt15iterator_traitsISL_E10value_typeEPNSR_ISM_E10value_typeEPSN_NS1_7vsmem_tEENKUlT_SL_SM_SN_E_clIS8_S8_S9_S9_EESK_S10_SL_SM_SN_EUlS10_E_NS1_11comp_targetILNS1_3genE10ELNS1_11target_archE1201ELNS1_3gpuE5ELNS1_3repE0EEENS1_48merge_mergepath_partition_config_static_selectorELNS0_4arch9wavefront6targetE0EEEvSM_ ; -- Begin function _ZN7rocprim17ROCPRIM_400000_NS6detail17trampoline_kernelINS0_14default_configENS1_38merge_sort_block_merge_config_selectorIlNS0_10empty_typeEEEZZNS1_27merge_sort_block_merge_implIS3_PlPS5_mZN2at6native12_GLOBAL__N_124unique_dim_cuda_templateIfEESt5tupleIJNSA_6TensorESF_SF_EERKSF_lbbbEUlllE_EE10hipError_tT0_T1_T2_jT3_P12ihipStream_tbPNSt15iterator_traitsISL_E10value_typeEPNSR_ISM_E10value_typeEPSN_NS1_7vsmem_tEENKUlT_SL_SM_SN_E_clIS8_S8_S9_S9_EESK_S10_SL_SM_SN_EUlS10_E_NS1_11comp_targetILNS1_3genE10ELNS1_11target_archE1201ELNS1_3gpuE5ELNS1_3repE0EEENS1_48merge_mergepath_partition_config_static_selectorELNS0_4arch9wavefront6targetE0EEEvSM_
	.p2align	8
	.type	_ZN7rocprim17ROCPRIM_400000_NS6detail17trampoline_kernelINS0_14default_configENS1_38merge_sort_block_merge_config_selectorIlNS0_10empty_typeEEEZZNS1_27merge_sort_block_merge_implIS3_PlPS5_mZN2at6native12_GLOBAL__N_124unique_dim_cuda_templateIfEESt5tupleIJNSA_6TensorESF_SF_EERKSF_lbbbEUlllE_EE10hipError_tT0_T1_T2_jT3_P12ihipStream_tbPNSt15iterator_traitsISL_E10value_typeEPNSR_ISM_E10value_typeEPSN_NS1_7vsmem_tEENKUlT_SL_SM_SN_E_clIS8_S8_S9_S9_EESK_S10_SL_SM_SN_EUlS10_E_NS1_11comp_targetILNS1_3genE10ELNS1_11target_archE1201ELNS1_3gpuE5ELNS1_3repE0EEENS1_48merge_mergepath_partition_config_static_selectorELNS0_4arch9wavefront6targetE0EEEvSM_,@function
_ZN7rocprim17ROCPRIM_400000_NS6detail17trampoline_kernelINS0_14default_configENS1_38merge_sort_block_merge_config_selectorIlNS0_10empty_typeEEEZZNS1_27merge_sort_block_merge_implIS3_PlPS5_mZN2at6native12_GLOBAL__N_124unique_dim_cuda_templateIfEESt5tupleIJNSA_6TensorESF_SF_EERKSF_lbbbEUlllE_EE10hipError_tT0_T1_T2_jT3_P12ihipStream_tbPNSt15iterator_traitsISL_E10value_typeEPNSR_ISM_E10value_typeEPSN_NS1_7vsmem_tEENKUlT_SL_SM_SN_E_clIS8_S8_S9_S9_EESK_S10_SL_SM_SN_EUlS10_E_NS1_11comp_targetILNS1_3genE10ELNS1_11target_archE1201ELNS1_3gpuE5ELNS1_3repE0EEENS1_48merge_mergepath_partition_config_static_selectorELNS0_4arch9wavefront6targetE0EEEvSM_: ; @_ZN7rocprim17ROCPRIM_400000_NS6detail17trampoline_kernelINS0_14default_configENS1_38merge_sort_block_merge_config_selectorIlNS0_10empty_typeEEEZZNS1_27merge_sort_block_merge_implIS3_PlPS5_mZN2at6native12_GLOBAL__N_124unique_dim_cuda_templateIfEESt5tupleIJNSA_6TensorESF_SF_EERKSF_lbbbEUlllE_EE10hipError_tT0_T1_T2_jT3_P12ihipStream_tbPNSt15iterator_traitsISL_E10value_typeEPNSR_ISM_E10value_typeEPSN_NS1_7vsmem_tEENKUlT_SL_SM_SN_E_clIS8_S8_S9_S9_EESK_S10_SL_SM_SN_EUlS10_E_NS1_11comp_targetILNS1_3genE10ELNS1_11target_archE1201ELNS1_3gpuE5ELNS1_3repE0EEENS1_48merge_mergepath_partition_config_static_selectorELNS0_4arch9wavefront6targetE0EEEvSM_
; %bb.0:
	.section	.rodata,"a",@progbits
	.p2align	6, 0x0
	.amdhsa_kernel _ZN7rocprim17ROCPRIM_400000_NS6detail17trampoline_kernelINS0_14default_configENS1_38merge_sort_block_merge_config_selectorIlNS0_10empty_typeEEEZZNS1_27merge_sort_block_merge_implIS3_PlPS5_mZN2at6native12_GLOBAL__N_124unique_dim_cuda_templateIfEESt5tupleIJNSA_6TensorESF_SF_EERKSF_lbbbEUlllE_EE10hipError_tT0_T1_T2_jT3_P12ihipStream_tbPNSt15iterator_traitsISL_E10value_typeEPNSR_ISM_E10value_typeEPSN_NS1_7vsmem_tEENKUlT_SL_SM_SN_E_clIS8_S8_S9_S9_EESK_S10_SL_SM_SN_EUlS10_E_NS1_11comp_targetILNS1_3genE10ELNS1_11target_archE1201ELNS1_3gpuE5ELNS1_3repE0EEENS1_48merge_mergepath_partition_config_static_selectorELNS0_4arch9wavefront6targetE0EEEvSM_
		.amdhsa_group_segment_fixed_size 0
		.amdhsa_private_segment_fixed_size 0
		.amdhsa_kernarg_size 56
		.amdhsa_user_sgpr_count 15
		.amdhsa_user_sgpr_dispatch_ptr 0
		.amdhsa_user_sgpr_queue_ptr 0
		.amdhsa_user_sgpr_kernarg_segment_ptr 1
		.amdhsa_user_sgpr_dispatch_id 0
		.amdhsa_user_sgpr_private_segment_size 0
		.amdhsa_wavefront_size32 1
		.amdhsa_uses_dynamic_stack 0
		.amdhsa_enable_private_segment 0
		.amdhsa_system_sgpr_workgroup_id_x 1
		.amdhsa_system_sgpr_workgroup_id_y 0
		.amdhsa_system_sgpr_workgroup_id_z 0
		.amdhsa_system_sgpr_workgroup_info 0
		.amdhsa_system_vgpr_workitem_id 0
		.amdhsa_next_free_vgpr 1
		.amdhsa_next_free_sgpr 1
		.amdhsa_reserve_vcc 0
		.amdhsa_float_round_mode_32 0
		.amdhsa_float_round_mode_16_64 0
		.amdhsa_float_denorm_mode_32 3
		.amdhsa_float_denorm_mode_16_64 3
		.amdhsa_dx10_clamp 1
		.amdhsa_ieee_mode 1
		.amdhsa_fp16_overflow 0
		.amdhsa_workgroup_processor_mode 1
		.amdhsa_memory_ordered 1
		.amdhsa_forward_progress 0
		.amdhsa_shared_vgpr_count 0
		.amdhsa_exception_fp_ieee_invalid_op 0
		.amdhsa_exception_fp_denorm_src 0
		.amdhsa_exception_fp_ieee_div_zero 0
		.amdhsa_exception_fp_ieee_overflow 0
		.amdhsa_exception_fp_ieee_underflow 0
		.amdhsa_exception_fp_ieee_inexact 0
		.amdhsa_exception_int_div_zero 0
	.end_amdhsa_kernel
	.section	.text._ZN7rocprim17ROCPRIM_400000_NS6detail17trampoline_kernelINS0_14default_configENS1_38merge_sort_block_merge_config_selectorIlNS0_10empty_typeEEEZZNS1_27merge_sort_block_merge_implIS3_PlPS5_mZN2at6native12_GLOBAL__N_124unique_dim_cuda_templateIfEESt5tupleIJNSA_6TensorESF_SF_EERKSF_lbbbEUlllE_EE10hipError_tT0_T1_T2_jT3_P12ihipStream_tbPNSt15iterator_traitsISL_E10value_typeEPNSR_ISM_E10value_typeEPSN_NS1_7vsmem_tEENKUlT_SL_SM_SN_E_clIS8_S8_S9_S9_EESK_S10_SL_SM_SN_EUlS10_E_NS1_11comp_targetILNS1_3genE10ELNS1_11target_archE1201ELNS1_3gpuE5ELNS1_3repE0EEENS1_48merge_mergepath_partition_config_static_selectorELNS0_4arch9wavefront6targetE0EEEvSM_,"axG",@progbits,_ZN7rocprim17ROCPRIM_400000_NS6detail17trampoline_kernelINS0_14default_configENS1_38merge_sort_block_merge_config_selectorIlNS0_10empty_typeEEEZZNS1_27merge_sort_block_merge_implIS3_PlPS5_mZN2at6native12_GLOBAL__N_124unique_dim_cuda_templateIfEESt5tupleIJNSA_6TensorESF_SF_EERKSF_lbbbEUlllE_EE10hipError_tT0_T1_T2_jT3_P12ihipStream_tbPNSt15iterator_traitsISL_E10value_typeEPNSR_ISM_E10value_typeEPSN_NS1_7vsmem_tEENKUlT_SL_SM_SN_E_clIS8_S8_S9_S9_EESK_S10_SL_SM_SN_EUlS10_E_NS1_11comp_targetILNS1_3genE10ELNS1_11target_archE1201ELNS1_3gpuE5ELNS1_3repE0EEENS1_48merge_mergepath_partition_config_static_selectorELNS0_4arch9wavefront6targetE0EEEvSM_,comdat
.Lfunc_end881:
	.size	_ZN7rocprim17ROCPRIM_400000_NS6detail17trampoline_kernelINS0_14default_configENS1_38merge_sort_block_merge_config_selectorIlNS0_10empty_typeEEEZZNS1_27merge_sort_block_merge_implIS3_PlPS5_mZN2at6native12_GLOBAL__N_124unique_dim_cuda_templateIfEESt5tupleIJNSA_6TensorESF_SF_EERKSF_lbbbEUlllE_EE10hipError_tT0_T1_T2_jT3_P12ihipStream_tbPNSt15iterator_traitsISL_E10value_typeEPNSR_ISM_E10value_typeEPSN_NS1_7vsmem_tEENKUlT_SL_SM_SN_E_clIS8_S8_S9_S9_EESK_S10_SL_SM_SN_EUlS10_E_NS1_11comp_targetILNS1_3genE10ELNS1_11target_archE1201ELNS1_3gpuE5ELNS1_3repE0EEENS1_48merge_mergepath_partition_config_static_selectorELNS0_4arch9wavefront6targetE0EEEvSM_, .Lfunc_end881-_ZN7rocprim17ROCPRIM_400000_NS6detail17trampoline_kernelINS0_14default_configENS1_38merge_sort_block_merge_config_selectorIlNS0_10empty_typeEEEZZNS1_27merge_sort_block_merge_implIS3_PlPS5_mZN2at6native12_GLOBAL__N_124unique_dim_cuda_templateIfEESt5tupleIJNSA_6TensorESF_SF_EERKSF_lbbbEUlllE_EE10hipError_tT0_T1_T2_jT3_P12ihipStream_tbPNSt15iterator_traitsISL_E10value_typeEPNSR_ISM_E10value_typeEPSN_NS1_7vsmem_tEENKUlT_SL_SM_SN_E_clIS8_S8_S9_S9_EESK_S10_SL_SM_SN_EUlS10_E_NS1_11comp_targetILNS1_3genE10ELNS1_11target_archE1201ELNS1_3gpuE5ELNS1_3repE0EEENS1_48merge_mergepath_partition_config_static_selectorELNS0_4arch9wavefront6targetE0EEEvSM_
                                        ; -- End function
	.section	.AMDGPU.csdata,"",@progbits
; Kernel info:
; codeLenInByte = 0
; NumSgprs: 0
; NumVgprs: 0
; ScratchSize: 0
; MemoryBound: 0
; FloatMode: 240
; IeeeMode: 1
; LDSByteSize: 0 bytes/workgroup (compile time only)
; SGPRBlocks: 0
; VGPRBlocks: 0
; NumSGPRsForWavesPerEU: 1
; NumVGPRsForWavesPerEU: 1
; Occupancy: 16
; WaveLimiterHint : 0
; COMPUTE_PGM_RSRC2:SCRATCH_EN: 0
; COMPUTE_PGM_RSRC2:USER_SGPR: 15
; COMPUTE_PGM_RSRC2:TRAP_HANDLER: 0
; COMPUTE_PGM_RSRC2:TGID_X_EN: 1
; COMPUTE_PGM_RSRC2:TGID_Y_EN: 0
; COMPUTE_PGM_RSRC2:TGID_Z_EN: 0
; COMPUTE_PGM_RSRC2:TIDIG_COMP_CNT: 0
	.section	.text._ZN7rocprim17ROCPRIM_400000_NS6detail17trampoline_kernelINS0_14default_configENS1_38merge_sort_block_merge_config_selectorIlNS0_10empty_typeEEEZZNS1_27merge_sort_block_merge_implIS3_PlPS5_mZN2at6native12_GLOBAL__N_124unique_dim_cuda_templateIfEESt5tupleIJNSA_6TensorESF_SF_EERKSF_lbbbEUlllE_EE10hipError_tT0_T1_T2_jT3_P12ihipStream_tbPNSt15iterator_traitsISL_E10value_typeEPNSR_ISM_E10value_typeEPSN_NS1_7vsmem_tEENKUlT_SL_SM_SN_E_clIS8_S8_S9_S9_EESK_S10_SL_SM_SN_EUlS10_E_NS1_11comp_targetILNS1_3genE5ELNS1_11target_archE942ELNS1_3gpuE9ELNS1_3repE0EEENS1_48merge_mergepath_partition_config_static_selectorELNS0_4arch9wavefront6targetE0EEEvSM_,"axG",@progbits,_ZN7rocprim17ROCPRIM_400000_NS6detail17trampoline_kernelINS0_14default_configENS1_38merge_sort_block_merge_config_selectorIlNS0_10empty_typeEEEZZNS1_27merge_sort_block_merge_implIS3_PlPS5_mZN2at6native12_GLOBAL__N_124unique_dim_cuda_templateIfEESt5tupleIJNSA_6TensorESF_SF_EERKSF_lbbbEUlllE_EE10hipError_tT0_T1_T2_jT3_P12ihipStream_tbPNSt15iterator_traitsISL_E10value_typeEPNSR_ISM_E10value_typeEPSN_NS1_7vsmem_tEENKUlT_SL_SM_SN_E_clIS8_S8_S9_S9_EESK_S10_SL_SM_SN_EUlS10_E_NS1_11comp_targetILNS1_3genE5ELNS1_11target_archE942ELNS1_3gpuE9ELNS1_3repE0EEENS1_48merge_mergepath_partition_config_static_selectorELNS0_4arch9wavefront6targetE0EEEvSM_,comdat
	.globl	_ZN7rocprim17ROCPRIM_400000_NS6detail17trampoline_kernelINS0_14default_configENS1_38merge_sort_block_merge_config_selectorIlNS0_10empty_typeEEEZZNS1_27merge_sort_block_merge_implIS3_PlPS5_mZN2at6native12_GLOBAL__N_124unique_dim_cuda_templateIfEESt5tupleIJNSA_6TensorESF_SF_EERKSF_lbbbEUlllE_EE10hipError_tT0_T1_T2_jT3_P12ihipStream_tbPNSt15iterator_traitsISL_E10value_typeEPNSR_ISM_E10value_typeEPSN_NS1_7vsmem_tEENKUlT_SL_SM_SN_E_clIS8_S8_S9_S9_EESK_S10_SL_SM_SN_EUlS10_E_NS1_11comp_targetILNS1_3genE5ELNS1_11target_archE942ELNS1_3gpuE9ELNS1_3repE0EEENS1_48merge_mergepath_partition_config_static_selectorELNS0_4arch9wavefront6targetE0EEEvSM_ ; -- Begin function _ZN7rocprim17ROCPRIM_400000_NS6detail17trampoline_kernelINS0_14default_configENS1_38merge_sort_block_merge_config_selectorIlNS0_10empty_typeEEEZZNS1_27merge_sort_block_merge_implIS3_PlPS5_mZN2at6native12_GLOBAL__N_124unique_dim_cuda_templateIfEESt5tupleIJNSA_6TensorESF_SF_EERKSF_lbbbEUlllE_EE10hipError_tT0_T1_T2_jT3_P12ihipStream_tbPNSt15iterator_traitsISL_E10value_typeEPNSR_ISM_E10value_typeEPSN_NS1_7vsmem_tEENKUlT_SL_SM_SN_E_clIS8_S8_S9_S9_EESK_S10_SL_SM_SN_EUlS10_E_NS1_11comp_targetILNS1_3genE5ELNS1_11target_archE942ELNS1_3gpuE9ELNS1_3repE0EEENS1_48merge_mergepath_partition_config_static_selectorELNS0_4arch9wavefront6targetE0EEEvSM_
	.p2align	8
	.type	_ZN7rocprim17ROCPRIM_400000_NS6detail17trampoline_kernelINS0_14default_configENS1_38merge_sort_block_merge_config_selectorIlNS0_10empty_typeEEEZZNS1_27merge_sort_block_merge_implIS3_PlPS5_mZN2at6native12_GLOBAL__N_124unique_dim_cuda_templateIfEESt5tupleIJNSA_6TensorESF_SF_EERKSF_lbbbEUlllE_EE10hipError_tT0_T1_T2_jT3_P12ihipStream_tbPNSt15iterator_traitsISL_E10value_typeEPNSR_ISM_E10value_typeEPSN_NS1_7vsmem_tEENKUlT_SL_SM_SN_E_clIS8_S8_S9_S9_EESK_S10_SL_SM_SN_EUlS10_E_NS1_11comp_targetILNS1_3genE5ELNS1_11target_archE942ELNS1_3gpuE9ELNS1_3repE0EEENS1_48merge_mergepath_partition_config_static_selectorELNS0_4arch9wavefront6targetE0EEEvSM_,@function
_ZN7rocprim17ROCPRIM_400000_NS6detail17trampoline_kernelINS0_14default_configENS1_38merge_sort_block_merge_config_selectorIlNS0_10empty_typeEEEZZNS1_27merge_sort_block_merge_implIS3_PlPS5_mZN2at6native12_GLOBAL__N_124unique_dim_cuda_templateIfEESt5tupleIJNSA_6TensorESF_SF_EERKSF_lbbbEUlllE_EE10hipError_tT0_T1_T2_jT3_P12ihipStream_tbPNSt15iterator_traitsISL_E10value_typeEPNSR_ISM_E10value_typeEPSN_NS1_7vsmem_tEENKUlT_SL_SM_SN_E_clIS8_S8_S9_S9_EESK_S10_SL_SM_SN_EUlS10_E_NS1_11comp_targetILNS1_3genE5ELNS1_11target_archE942ELNS1_3gpuE9ELNS1_3repE0EEENS1_48merge_mergepath_partition_config_static_selectorELNS0_4arch9wavefront6targetE0EEEvSM_: ; @_ZN7rocprim17ROCPRIM_400000_NS6detail17trampoline_kernelINS0_14default_configENS1_38merge_sort_block_merge_config_selectorIlNS0_10empty_typeEEEZZNS1_27merge_sort_block_merge_implIS3_PlPS5_mZN2at6native12_GLOBAL__N_124unique_dim_cuda_templateIfEESt5tupleIJNSA_6TensorESF_SF_EERKSF_lbbbEUlllE_EE10hipError_tT0_T1_T2_jT3_P12ihipStream_tbPNSt15iterator_traitsISL_E10value_typeEPNSR_ISM_E10value_typeEPSN_NS1_7vsmem_tEENKUlT_SL_SM_SN_E_clIS8_S8_S9_S9_EESK_S10_SL_SM_SN_EUlS10_E_NS1_11comp_targetILNS1_3genE5ELNS1_11target_archE942ELNS1_3gpuE9ELNS1_3repE0EEENS1_48merge_mergepath_partition_config_static_selectorELNS0_4arch9wavefront6targetE0EEEvSM_
; %bb.0:
	.section	.rodata,"a",@progbits
	.p2align	6, 0x0
	.amdhsa_kernel _ZN7rocprim17ROCPRIM_400000_NS6detail17trampoline_kernelINS0_14default_configENS1_38merge_sort_block_merge_config_selectorIlNS0_10empty_typeEEEZZNS1_27merge_sort_block_merge_implIS3_PlPS5_mZN2at6native12_GLOBAL__N_124unique_dim_cuda_templateIfEESt5tupleIJNSA_6TensorESF_SF_EERKSF_lbbbEUlllE_EE10hipError_tT0_T1_T2_jT3_P12ihipStream_tbPNSt15iterator_traitsISL_E10value_typeEPNSR_ISM_E10value_typeEPSN_NS1_7vsmem_tEENKUlT_SL_SM_SN_E_clIS8_S8_S9_S9_EESK_S10_SL_SM_SN_EUlS10_E_NS1_11comp_targetILNS1_3genE5ELNS1_11target_archE942ELNS1_3gpuE9ELNS1_3repE0EEENS1_48merge_mergepath_partition_config_static_selectorELNS0_4arch9wavefront6targetE0EEEvSM_
		.amdhsa_group_segment_fixed_size 0
		.amdhsa_private_segment_fixed_size 0
		.amdhsa_kernarg_size 56
		.amdhsa_user_sgpr_count 15
		.amdhsa_user_sgpr_dispatch_ptr 0
		.amdhsa_user_sgpr_queue_ptr 0
		.amdhsa_user_sgpr_kernarg_segment_ptr 1
		.amdhsa_user_sgpr_dispatch_id 0
		.amdhsa_user_sgpr_private_segment_size 0
		.amdhsa_wavefront_size32 1
		.amdhsa_uses_dynamic_stack 0
		.amdhsa_enable_private_segment 0
		.amdhsa_system_sgpr_workgroup_id_x 1
		.amdhsa_system_sgpr_workgroup_id_y 0
		.amdhsa_system_sgpr_workgroup_id_z 0
		.amdhsa_system_sgpr_workgroup_info 0
		.amdhsa_system_vgpr_workitem_id 0
		.amdhsa_next_free_vgpr 1
		.amdhsa_next_free_sgpr 1
		.amdhsa_reserve_vcc 0
		.amdhsa_float_round_mode_32 0
		.amdhsa_float_round_mode_16_64 0
		.amdhsa_float_denorm_mode_32 3
		.amdhsa_float_denorm_mode_16_64 3
		.amdhsa_dx10_clamp 1
		.amdhsa_ieee_mode 1
		.amdhsa_fp16_overflow 0
		.amdhsa_workgroup_processor_mode 1
		.amdhsa_memory_ordered 1
		.amdhsa_forward_progress 0
		.amdhsa_shared_vgpr_count 0
		.amdhsa_exception_fp_ieee_invalid_op 0
		.amdhsa_exception_fp_denorm_src 0
		.amdhsa_exception_fp_ieee_div_zero 0
		.amdhsa_exception_fp_ieee_overflow 0
		.amdhsa_exception_fp_ieee_underflow 0
		.amdhsa_exception_fp_ieee_inexact 0
		.amdhsa_exception_int_div_zero 0
	.end_amdhsa_kernel
	.section	.text._ZN7rocprim17ROCPRIM_400000_NS6detail17trampoline_kernelINS0_14default_configENS1_38merge_sort_block_merge_config_selectorIlNS0_10empty_typeEEEZZNS1_27merge_sort_block_merge_implIS3_PlPS5_mZN2at6native12_GLOBAL__N_124unique_dim_cuda_templateIfEESt5tupleIJNSA_6TensorESF_SF_EERKSF_lbbbEUlllE_EE10hipError_tT0_T1_T2_jT3_P12ihipStream_tbPNSt15iterator_traitsISL_E10value_typeEPNSR_ISM_E10value_typeEPSN_NS1_7vsmem_tEENKUlT_SL_SM_SN_E_clIS8_S8_S9_S9_EESK_S10_SL_SM_SN_EUlS10_E_NS1_11comp_targetILNS1_3genE5ELNS1_11target_archE942ELNS1_3gpuE9ELNS1_3repE0EEENS1_48merge_mergepath_partition_config_static_selectorELNS0_4arch9wavefront6targetE0EEEvSM_,"axG",@progbits,_ZN7rocprim17ROCPRIM_400000_NS6detail17trampoline_kernelINS0_14default_configENS1_38merge_sort_block_merge_config_selectorIlNS0_10empty_typeEEEZZNS1_27merge_sort_block_merge_implIS3_PlPS5_mZN2at6native12_GLOBAL__N_124unique_dim_cuda_templateIfEESt5tupleIJNSA_6TensorESF_SF_EERKSF_lbbbEUlllE_EE10hipError_tT0_T1_T2_jT3_P12ihipStream_tbPNSt15iterator_traitsISL_E10value_typeEPNSR_ISM_E10value_typeEPSN_NS1_7vsmem_tEENKUlT_SL_SM_SN_E_clIS8_S8_S9_S9_EESK_S10_SL_SM_SN_EUlS10_E_NS1_11comp_targetILNS1_3genE5ELNS1_11target_archE942ELNS1_3gpuE9ELNS1_3repE0EEENS1_48merge_mergepath_partition_config_static_selectorELNS0_4arch9wavefront6targetE0EEEvSM_,comdat
.Lfunc_end882:
	.size	_ZN7rocprim17ROCPRIM_400000_NS6detail17trampoline_kernelINS0_14default_configENS1_38merge_sort_block_merge_config_selectorIlNS0_10empty_typeEEEZZNS1_27merge_sort_block_merge_implIS3_PlPS5_mZN2at6native12_GLOBAL__N_124unique_dim_cuda_templateIfEESt5tupleIJNSA_6TensorESF_SF_EERKSF_lbbbEUlllE_EE10hipError_tT0_T1_T2_jT3_P12ihipStream_tbPNSt15iterator_traitsISL_E10value_typeEPNSR_ISM_E10value_typeEPSN_NS1_7vsmem_tEENKUlT_SL_SM_SN_E_clIS8_S8_S9_S9_EESK_S10_SL_SM_SN_EUlS10_E_NS1_11comp_targetILNS1_3genE5ELNS1_11target_archE942ELNS1_3gpuE9ELNS1_3repE0EEENS1_48merge_mergepath_partition_config_static_selectorELNS0_4arch9wavefront6targetE0EEEvSM_, .Lfunc_end882-_ZN7rocprim17ROCPRIM_400000_NS6detail17trampoline_kernelINS0_14default_configENS1_38merge_sort_block_merge_config_selectorIlNS0_10empty_typeEEEZZNS1_27merge_sort_block_merge_implIS3_PlPS5_mZN2at6native12_GLOBAL__N_124unique_dim_cuda_templateIfEESt5tupleIJNSA_6TensorESF_SF_EERKSF_lbbbEUlllE_EE10hipError_tT0_T1_T2_jT3_P12ihipStream_tbPNSt15iterator_traitsISL_E10value_typeEPNSR_ISM_E10value_typeEPSN_NS1_7vsmem_tEENKUlT_SL_SM_SN_E_clIS8_S8_S9_S9_EESK_S10_SL_SM_SN_EUlS10_E_NS1_11comp_targetILNS1_3genE5ELNS1_11target_archE942ELNS1_3gpuE9ELNS1_3repE0EEENS1_48merge_mergepath_partition_config_static_selectorELNS0_4arch9wavefront6targetE0EEEvSM_
                                        ; -- End function
	.section	.AMDGPU.csdata,"",@progbits
; Kernel info:
; codeLenInByte = 0
; NumSgprs: 0
; NumVgprs: 0
; ScratchSize: 0
; MemoryBound: 0
; FloatMode: 240
; IeeeMode: 1
; LDSByteSize: 0 bytes/workgroup (compile time only)
; SGPRBlocks: 0
; VGPRBlocks: 0
; NumSGPRsForWavesPerEU: 1
; NumVGPRsForWavesPerEU: 1
; Occupancy: 16
; WaveLimiterHint : 0
; COMPUTE_PGM_RSRC2:SCRATCH_EN: 0
; COMPUTE_PGM_RSRC2:USER_SGPR: 15
; COMPUTE_PGM_RSRC2:TRAP_HANDLER: 0
; COMPUTE_PGM_RSRC2:TGID_X_EN: 1
; COMPUTE_PGM_RSRC2:TGID_Y_EN: 0
; COMPUTE_PGM_RSRC2:TGID_Z_EN: 0
; COMPUTE_PGM_RSRC2:TIDIG_COMP_CNT: 0
	.section	.text._ZN7rocprim17ROCPRIM_400000_NS6detail17trampoline_kernelINS0_14default_configENS1_38merge_sort_block_merge_config_selectorIlNS0_10empty_typeEEEZZNS1_27merge_sort_block_merge_implIS3_PlPS5_mZN2at6native12_GLOBAL__N_124unique_dim_cuda_templateIfEESt5tupleIJNSA_6TensorESF_SF_EERKSF_lbbbEUlllE_EE10hipError_tT0_T1_T2_jT3_P12ihipStream_tbPNSt15iterator_traitsISL_E10value_typeEPNSR_ISM_E10value_typeEPSN_NS1_7vsmem_tEENKUlT_SL_SM_SN_E_clIS8_S8_S9_S9_EESK_S10_SL_SM_SN_EUlS10_E_NS1_11comp_targetILNS1_3genE4ELNS1_11target_archE910ELNS1_3gpuE8ELNS1_3repE0EEENS1_48merge_mergepath_partition_config_static_selectorELNS0_4arch9wavefront6targetE0EEEvSM_,"axG",@progbits,_ZN7rocprim17ROCPRIM_400000_NS6detail17trampoline_kernelINS0_14default_configENS1_38merge_sort_block_merge_config_selectorIlNS0_10empty_typeEEEZZNS1_27merge_sort_block_merge_implIS3_PlPS5_mZN2at6native12_GLOBAL__N_124unique_dim_cuda_templateIfEESt5tupleIJNSA_6TensorESF_SF_EERKSF_lbbbEUlllE_EE10hipError_tT0_T1_T2_jT3_P12ihipStream_tbPNSt15iterator_traitsISL_E10value_typeEPNSR_ISM_E10value_typeEPSN_NS1_7vsmem_tEENKUlT_SL_SM_SN_E_clIS8_S8_S9_S9_EESK_S10_SL_SM_SN_EUlS10_E_NS1_11comp_targetILNS1_3genE4ELNS1_11target_archE910ELNS1_3gpuE8ELNS1_3repE0EEENS1_48merge_mergepath_partition_config_static_selectorELNS0_4arch9wavefront6targetE0EEEvSM_,comdat
	.globl	_ZN7rocprim17ROCPRIM_400000_NS6detail17trampoline_kernelINS0_14default_configENS1_38merge_sort_block_merge_config_selectorIlNS0_10empty_typeEEEZZNS1_27merge_sort_block_merge_implIS3_PlPS5_mZN2at6native12_GLOBAL__N_124unique_dim_cuda_templateIfEESt5tupleIJNSA_6TensorESF_SF_EERKSF_lbbbEUlllE_EE10hipError_tT0_T1_T2_jT3_P12ihipStream_tbPNSt15iterator_traitsISL_E10value_typeEPNSR_ISM_E10value_typeEPSN_NS1_7vsmem_tEENKUlT_SL_SM_SN_E_clIS8_S8_S9_S9_EESK_S10_SL_SM_SN_EUlS10_E_NS1_11comp_targetILNS1_3genE4ELNS1_11target_archE910ELNS1_3gpuE8ELNS1_3repE0EEENS1_48merge_mergepath_partition_config_static_selectorELNS0_4arch9wavefront6targetE0EEEvSM_ ; -- Begin function _ZN7rocprim17ROCPRIM_400000_NS6detail17trampoline_kernelINS0_14default_configENS1_38merge_sort_block_merge_config_selectorIlNS0_10empty_typeEEEZZNS1_27merge_sort_block_merge_implIS3_PlPS5_mZN2at6native12_GLOBAL__N_124unique_dim_cuda_templateIfEESt5tupleIJNSA_6TensorESF_SF_EERKSF_lbbbEUlllE_EE10hipError_tT0_T1_T2_jT3_P12ihipStream_tbPNSt15iterator_traitsISL_E10value_typeEPNSR_ISM_E10value_typeEPSN_NS1_7vsmem_tEENKUlT_SL_SM_SN_E_clIS8_S8_S9_S9_EESK_S10_SL_SM_SN_EUlS10_E_NS1_11comp_targetILNS1_3genE4ELNS1_11target_archE910ELNS1_3gpuE8ELNS1_3repE0EEENS1_48merge_mergepath_partition_config_static_selectorELNS0_4arch9wavefront6targetE0EEEvSM_
	.p2align	8
	.type	_ZN7rocprim17ROCPRIM_400000_NS6detail17trampoline_kernelINS0_14default_configENS1_38merge_sort_block_merge_config_selectorIlNS0_10empty_typeEEEZZNS1_27merge_sort_block_merge_implIS3_PlPS5_mZN2at6native12_GLOBAL__N_124unique_dim_cuda_templateIfEESt5tupleIJNSA_6TensorESF_SF_EERKSF_lbbbEUlllE_EE10hipError_tT0_T1_T2_jT3_P12ihipStream_tbPNSt15iterator_traitsISL_E10value_typeEPNSR_ISM_E10value_typeEPSN_NS1_7vsmem_tEENKUlT_SL_SM_SN_E_clIS8_S8_S9_S9_EESK_S10_SL_SM_SN_EUlS10_E_NS1_11comp_targetILNS1_3genE4ELNS1_11target_archE910ELNS1_3gpuE8ELNS1_3repE0EEENS1_48merge_mergepath_partition_config_static_selectorELNS0_4arch9wavefront6targetE0EEEvSM_,@function
_ZN7rocprim17ROCPRIM_400000_NS6detail17trampoline_kernelINS0_14default_configENS1_38merge_sort_block_merge_config_selectorIlNS0_10empty_typeEEEZZNS1_27merge_sort_block_merge_implIS3_PlPS5_mZN2at6native12_GLOBAL__N_124unique_dim_cuda_templateIfEESt5tupleIJNSA_6TensorESF_SF_EERKSF_lbbbEUlllE_EE10hipError_tT0_T1_T2_jT3_P12ihipStream_tbPNSt15iterator_traitsISL_E10value_typeEPNSR_ISM_E10value_typeEPSN_NS1_7vsmem_tEENKUlT_SL_SM_SN_E_clIS8_S8_S9_S9_EESK_S10_SL_SM_SN_EUlS10_E_NS1_11comp_targetILNS1_3genE4ELNS1_11target_archE910ELNS1_3gpuE8ELNS1_3repE0EEENS1_48merge_mergepath_partition_config_static_selectorELNS0_4arch9wavefront6targetE0EEEvSM_: ; @_ZN7rocprim17ROCPRIM_400000_NS6detail17trampoline_kernelINS0_14default_configENS1_38merge_sort_block_merge_config_selectorIlNS0_10empty_typeEEEZZNS1_27merge_sort_block_merge_implIS3_PlPS5_mZN2at6native12_GLOBAL__N_124unique_dim_cuda_templateIfEESt5tupleIJNSA_6TensorESF_SF_EERKSF_lbbbEUlllE_EE10hipError_tT0_T1_T2_jT3_P12ihipStream_tbPNSt15iterator_traitsISL_E10value_typeEPNSR_ISM_E10value_typeEPSN_NS1_7vsmem_tEENKUlT_SL_SM_SN_E_clIS8_S8_S9_S9_EESK_S10_SL_SM_SN_EUlS10_E_NS1_11comp_targetILNS1_3genE4ELNS1_11target_archE910ELNS1_3gpuE8ELNS1_3repE0EEENS1_48merge_mergepath_partition_config_static_selectorELNS0_4arch9wavefront6targetE0EEEvSM_
; %bb.0:
	.section	.rodata,"a",@progbits
	.p2align	6, 0x0
	.amdhsa_kernel _ZN7rocprim17ROCPRIM_400000_NS6detail17trampoline_kernelINS0_14default_configENS1_38merge_sort_block_merge_config_selectorIlNS0_10empty_typeEEEZZNS1_27merge_sort_block_merge_implIS3_PlPS5_mZN2at6native12_GLOBAL__N_124unique_dim_cuda_templateIfEESt5tupleIJNSA_6TensorESF_SF_EERKSF_lbbbEUlllE_EE10hipError_tT0_T1_T2_jT3_P12ihipStream_tbPNSt15iterator_traitsISL_E10value_typeEPNSR_ISM_E10value_typeEPSN_NS1_7vsmem_tEENKUlT_SL_SM_SN_E_clIS8_S8_S9_S9_EESK_S10_SL_SM_SN_EUlS10_E_NS1_11comp_targetILNS1_3genE4ELNS1_11target_archE910ELNS1_3gpuE8ELNS1_3repE0EEENS1_48merge_mergepath_partition_config_static_selectorELNS0_4arch9wavefront6targetE0EEEvSM_
		.amdhsa_group_segment_fixed_size 0
		.amdhsa_private_segment_fixed_size 0
		.amdhsa_kernarg_size 56
		.amdhsa_user_sgpr_count 15
		.amdhsa_user_sgpr_dispatch_ptr 0
		.amdhsa_user_sgpr_queue_ptr 0
		.amdhsa_user_sgpr_kernarg_segment_ptr 1
		.amdhsa_user_sgpr_dispatch_id 0
		.amdhsa_user_sgpr_private_segment_size 0
		.amdhsa_wavefront_size32 1
		.amdhsa_uses_dynamic_stack 0
		.amdhsa_enable_private_segment 0
		.amdhsa_system_sgpr_workgroup_id_x 1
		.amdhsa_system_sgpr_workgroup_id_y 0
		.amdhsa_system_sgpr_workgroup_id_z 0
		.amdhsa_system_sgpr_workgroup_info 0
		.amdhsa_system_vgpr_workitem_id 0
		.amdhsa_next_free_vgpr 1
		.amdhsa_next_free_sgpr 1
		.amdhsa_reserve_vcc 0
		.amdhsa_float_round_mode_32 0
		.amdhsa_float_round_mode_16_64 0
		.amdhsa_float_denorm_mode_32 3
		.amdhsa_float_denorm_mode_16_64 3
		.amdhsa_dx10_clamp 1
		.amdhsa_ieee_mode 1
		.amdhsa_fp16_overflow 0
		.amdhsa_workgroup_processor_mode 1
		.amdhsa_memory_ordered 1
		.amdhsa_forward_progress 0
		.amdhsa_shared_vgpr_count 0
		.amdhsa_exception_fp_ieee_invalid_op 0
		.amdhsa_exception_fp_denorm_src 0
		.amdhsa_exception_fp_ieee_div_zero 0
		.amdhsa_exception_fp_ieee_overflow 0
		.amdhsa_exception_fp_ieee_underflow 0
		.amdhsa_exception_fp_ieee_inexact 0
		.amdhsa_exception_int_div_zero 0
	.end_amdhsa_kernel
	.section	.text._ZN7rocprim17ROCPRIM_400000_NS6detail17trampoline_kernelINS0_14default_configENS1_38merge_sort_block_merge_config_selectorIlNS0_10empty_typeEEEZZNS1_27merge_sort_block_merge_implIS3_PlPS5_mZN2at6native12_GLOBAL__N_124unique_dim_cuda_templateIfEESt5tupleIJNSA_6TensorESF_SF_EERKSF_lbbbEUlllE_EE10hipError_tT0_T1_T2_jT3_P12ihipStream_tbPNSt15iterator_traitsISL_E10value_typeEPNSR_ISM_E10value_typeEPSN_NS1_7vsmem_tEENKUlT_SL_SM_SN_E_clIS8_S8_S9_S9_EESK_S10_SL_SM_SN_EUlS10_E_NS1_11comp_targetILNS1_3genE4ELNS1_11target_archE910ELNS1_3gpuE8ELNS1_3repE0EEENS1_48merge_mergepath_partition_config_static_selectorELNS0_4arch9wavefront6targetE0EEEvSM_,"axG",@progbits,_ZN7rocprim17ROCPRIM_400000_NS6detail17trampoline_kernelINS0_14default_configENS1_38merge_sort_block_merge_config_selectorIlNS0_10empty_typeEEEZZNS1_27merge_sort_block_merge_implIS3_PlPS5_mZN2at6native12_GLOBAL__N_124unique_dim_cuda_templateIfEESt5tupleIJNSA_6TensorESF_SF_EERKSF_lbbbEUlllE_EE10hipError_tT0_T1_T2_jT3_P12ihipStream_tbPNSt15iterator_traitsISL_E10value_typeEPNSR_ISM_E10value_typeEPSN_NS1_7vsmem_tEENKUlT_SL_SM_SN_E_clIS8_S8_S9_S9_EESK_S10_SL_SM_SN_EUlS10_E_NS1_11comp_targetILNS1_3genE4ELNS1_11target_archE910ELNS1_3gpuE8ELNS1_3repE0EEENS1_48merge_mergepath_partition_config_static_selectorELNS0_4arch9wavefront6targetE0EEEvSM_,comdat
.Lfunc_end883:
	.size	_ZN7rocprim17ROCPRIM_400000_NS6detail17trampoline_kernelINS0_14default_configENS1_38merge_sort_block_merge_config_selectorIlNS0_10empty_typeEEEZZNS1_27merge_sort_block_merge_implIS3_PlPS5_mZN2at6native12_GLOBAL__N_124unique_dim_cuda_templateIfEESt5tupleIJNSA_6TensorESF_SF_EERKSF_lbbbEUlllE_EE10hipError_tT0_T1_T2_jT3_P12ihipStream_tbPNSt15iterator_traitsISL_E10value_typeEPNSR_ISM_E10value_typeEPSN_NS1_7vsmem_tEENKUlT_SL_SM_SN_E_clIS8_S8_S9_S9_EESK_S10_SL_SM_SN_EUlS10_E_NS1_11comp_targetILNS1_3genE4ELNS1_11target_archE910ELNS1_3gpuE8ELNS1_3repE0EEENS1_48merge_mergepath_partition_config_static_selectorELNS0_4arch9wavefront6targetE0EEEvSM_, .Lfunc_end883-_ZN7rocprim17ROCPRIM_400000_NS6detail17trampoline_kernelINS0_14default_configENS1_38merge_sort_block_merge_config_selectorIlNS0_10empty_typeEEEZZNS1_27merge_sort_block_merge_implIS3_PlPS5_mZN2at6native12_GLOBAL__N_124unique_dim_cuda_templateIfEESt5tupleIJNSA_6TensorESF_SF_EERKSF_lbbbEUlllE_EE10hipError_tT0_T1_T2_jT3_P12ihipStream_tbPNSt15iterator_traitsISL_E10value_typeEPNSR_ISM_E10value_typeEPSN_NS1_7vsmem_tEENKUlT_SL_SM_SN_E_clIS8_S8_S9_S9_EESK_S10_SL_SM_SN_EUlS10_E_NS1_11comp_targetILNS1_3genE4ELNS1_11target_archE910ELNS1_3gpuE8ELNS1_3repE0EEENS1_48merge_mergepath_partition_config_static_selectorELNS0_4arch9wavefront6targetE0EEEvSM_
                                        ; -- End function
	.section	.AMDGPU.csdata,"",@progbits
; Kernel info:
; codeLenInByte = 0
; NumSgprs: 0
; NumVgprs: 0
; ScratchSize: 0
; MemoryBound: 0
; FloatMode: 240
; IeeeMode: 1
; LDSByteSize: 0 bytes/workgroup (compile time only)
; SGPRBlocks: 0
; VGPRBlocks: 0
; NumSGPRsForWavesPerEU: 1
; NumVGPRsForWavesPerEU: 1
; Occupancy: 16
; WaveLimiterHint : 0
; COMPUTE_PGM_RSRC2:SCRATCH_EN: 0
; COMPUTE_PGM_RSRC2:USER_SGPR: 15
; COMPUTE_PGM_RSRC2:TRAP_HANDLER: 0
; COMPUTE_PGM_RSRC2:TGID_X_EN: 1
; COMPUTE_PGM_RSRC2:TGID_Y_EN: 0
; COMPUTE_PGM_RSRC2:TGID_Z_EN: 0
; COMPUTE_PGM_RSRC2:TIDIG_COMP_CNT: 0
	.section	.text._ZN7rocprim17ROCPRIM_400000_NS6detail17trampoline_kernelINS0_14default_configENS1_38merge_sort_block_merge_config_selectorIlNS0_10empty_typeEEEZZNS1_27merge_sort_block_merge_implIS3_PlPS5_mZN2at6native12_GLOBAL__N_124unique_dim_cuda_templateIfEESt5tupleIJNSA_6TensorESF_SF_EERKSF_lbbbEUlllE_EE10hipError_tT0_T1_T2_jT3_P12ihipStream_tbPNSt15iterator_traitsISL_E10value_typeEPNSR_ISM_E10value_typeEPSN_NS1_7vsmem_tEENKUlT_SL_SM_SN_E_clIS8_S8_S9_S9_EESK_S10_SL_SM_SN_EUlS10_E_NS1_11comp_targetILNS1_3genE3ELNS1_11target_archE908ELNS1_3gpuE7ELNS1_3repE0EEENS1_48merge_mergepath_partition_config_static_selectorELNS0_4arch9wavefront6targetE0EEEvSM_,"axG",@progbits,_ZN7rocprim17ROCPRIM_400000_NS6detail17trampoline_kernelINS0_14default_configENS1_38merge_sort_block_merge_config_selectorIlNS0_10empty_typeEEEZZNS1_27merge_sort_block_merge_implIS3_PlPS5_mZN2at6native12_GLOBAL__N_124unique_dim_cuda_templateIfEESt5tupleIJNSA_6TensorESF_SF_EERKSF_lbbbEUlllE_EE10hipError_tT0_T1_T2_jT3_P12ihipStream_tbPNSt15iterator_traitsISL_E10value_typeEPNSR_ISM_E10value_typeEPSN_NS1_7vsmem_tEENKUlT_SL_SM_SN_E_clIS8_S8_S9_S9_EESK_S10_SL_SM_SN_EUlS10_E_NS1_11comp_targetILNS1_3genE3ELNS1_11target_archE908ELNS1_3gpuE7ELNS1_3repE0EEENS1_48merge_mergepath_partition_config_static_selectorELNS0_4arch9wavefront6targetE0EEEvSM_,comdat
	.globl	_ZN7rocprim17ROCPRIM_400000_NS6detail17trampoline_kernelINS0_14default_configENS1_38merge_sort_block_merge_config_selectorIlNS0_10empty_typeEEEZZNS1_27merge_sort_block_merge_implIS3_PlPS5_mZN2at6native12_GLOBAL__N_124unique_dim_cuda_templateIfEESt5tupleIJNSA_6TensorESF_SF_EERKSF_lbbbEUlllE_EE10hipError_tT0_T1_T2_jT3_P12ihipStream_tbPNSt15iterator_traitsISL_E10value_typeEPNSR_ISM_E10value_typeEPSN_NS1_7vsmem_tEENKUlT_SL_SM_SN_E_clIS8_S8_S9_S9_EESK_S10_SL_SM_SN_EUlS10_E_NS1_11comp_targetILNS1_3genE3ELNS1_11target_archE908ELNS1_3gpuE7ELNS1_3repE0EEENS1_48merge_mergepath_partition_config_static_selectorELNS0_4arch9wavefront6targetE0EEEvSM_ ; -- Begin function _ZN7rocprim17ROCPRIM_400000_NS6detail17trampoline_kernelINS0_14default_configENS1_38merge_sort_block_merge_config_selectorIlNS0_10empty_typeEEEZZNS1_27merge_sort_block_merge_implIS3_PlPS5_mZN2at6native12_GLOBAL__N_124unique_dim_cuda_templateIfEESt5tupleIJNSA_6TensorESF_SF_EERKSF_lbbbEUlllE_EE10hipError_tT0_T1_T2_jT3_P12ihipStream_tbPNSt15iterator_traitsISL_E10value_typeEPNSR_ISM_E10value_typeEPSN_NS1_7vsmem_tEENKUlT_SL_SM_SN_E_clIS8_S8_S9_S9_EESK_S10_SL_SM_SN_EUlS10_E_NS1_11comp_targetILNS1_3genE3ELNS1_11target_archE908ELNS1_3gpuE7ELNS1_3repE0EEENS1_48merge_mergepath_partition_config_static_selectorELNS0_4arch9wavefront6targetE0EEEvSM_
	.p2align	8
	.type	_ZN7rocprim17ROCPRIM_400000_NS6detail17trampoline_kernelINS0_14default_configENS1_38merge_sort_block_merge_config_selectorIlNS0_10empty_typeEEEZZNS1_27merge_sort_block_merge_implIS3_PlPS5_mZN2at6native12_GLOBAL__N_124unique_dim_cuda_templateIfEESt5tupleIJNSA_6TensorESF_SF_EERKSF_lbbbEUlllE_EE10hipError_tT0_T1_T2_jT3_P12ihipStream_tbPNSt15iterator_traitsISL_E10value_typeEPNSR_ISM_E10value_typeEPSN_NS1_7vsmem_tEENKUlT_SL_SM_SN_E_clIS8_S8_S9_S9_EESK_S10_SL_SM_SN_EUlS10_E_NS1_11comp_targetILNS1_3genE3ELNS1_11target_archE908ELNS1_3gpuE7ELNS1_3repE0EEENS1_48merge_mergepath_partition_config_static_selectorELNS0_4arch9wavefront6targetE0EEEvSM_,@function
_ZN7rocprim17ROCPRIM_400000_NS6detail17trampoline_kernelINS0_14default_configENS1_38merge_sort_block_merge_config_selectorIlNS0_10empty_typeEEEZZNS1_27merge_sort_block_merge_implIS3_PlPS5_mZN2at6native12_GLOBAL__N_124unique_dim_cuda_templateIfEESt5tupleIJNSA_6TensorESF_SF_EERKSF_lbbbEUlllE_EE10hipError_tT0_T1_T2_jT3_P12ihipStream_tbPNSt15iterator_traitsISL_E10value_typeEPNSR_ISM_E10value_typeEPSN_NS1_7vsmem_tEENKUlT_SL_SM_SN_E_clIS8_S8_S9_S9_EESK_S10_SL_SM_SN_EUlS10_E_NS1_11comp_targetILNS1_3genE3ELNS1_11target_archE908ELNS1_3gpuE7ELNS1_3repE0EEENS1_48merge_mergepath_partition_config_static_selectorELNS0_4arch9wavefront6targetE0EEEvSM_: ; @_ZN7rocprim17ROCPRIM_400000_NS6detail17trampoline_kernelINS0_14default_configENS1_38merge_sort_block_merge_config_selectorIlNS0_10empty_typeEEEZZNS1_27merge_sort_block_merge_implIS3_PlPS5_mZN2at6native12_GLOBAL__N_124unique_dim_cuda_templateIfEESt5tupleIJNSA_6TensorESF_SF_EERKSF_lbbbEUlllE_EE10hipError_tT0_T1_T2_jT3_P12ihipStream_tbPNSt15iterator_traitsISL_E10value_typeEPNSR_ISM_E10value_typeEPSN_NS1_7vsmem_tEENKUlT_SL_SM_SN_E_clIS8_S8_S9_S9_EESK_S10_SL_SM_SN_EUlS10_E_NS1_11comp_targetILNS1_3genE3ELNS1_11target_archE908ELNS1_3gpuE7ELNS1_3repE0EEENS1_48merge_mergepath_partition_config_static_selectorELNS0_4arch9wavefront6targetE0EEEvSM_
; %bb.0:
	.section	.rodata,"a",@progbits
	.p2align	6, 0x0
	.amdhsa_kernel _ZN7rocprim17ROCPRIM_400000_NS6detail17trampoline_kernelINS0_14default_configENS1_38merge_sort_block_merge_config_selectorIlNS0_10empty_typeEEEZZNS1_27merge_sort_block_merge_implIS3_PlPS5_mZN2at6native12_GLOBAL__N_124unique_dim_cuda_templateIfEESt5tupleIJNSA_6TensorESF_SF_EERKSF_lbbbEUlllE_EE10hipError_tT0_T1_T2_jT3_P12ihipStream_tbPNSt15iterator_traitsISL_E10value_typeEPNSR_ISM_E10value_typeEPSN_NS1_7vsmem_tEENKUlT_SL_SM_SN_E_clIS8_S8_S9_S9_EESK_S10_SL_SM_SN_EUlS10_E_NS1_11comp_targetILNS1_3genE3ELNS1_11target_archE908ELNS1_3gpuE7ELNS1_3repE0EEENS1_48merge_mergepath_partition_config_static_selectorELNS0_4arch9wavefront6targetE0EEEvSM_
		.amdhsa_group_segment_fixed_size 0
		.amdhsa_private_segment_fixed_size 0
		.amdhsa_kernarg_size 56
		.amdhsa_user_sgpr_count 15
		.amdhsa_user_sgpr_dispatch_ptr 0
		.amdhsa_user_sgpr_queue_ptr 0
		.amdhsa_user_sgpr_kernarg_segment_ptr 1
		.amdhsa_user_sgpr_dispatch_id 0
		.amdhsa_user_sgpr_private_segment_size 0
		.amdhsa_wavefront_size32 1
		.amdhsa_uses_dynamic_stack 0
		.amdhsa_enable_private_segment 0
		.amdhsa_system_sgpr_workgroup_id_x 1
		.amdhsa_system_sgpr_workgroup_id_y 0
		.amdhsa_system_sgpr_workgroup_id_z 0
		.amdhsa_system_sgpr_workgroup_info 0
		.amdhsa_system_vgpr_workitem_id 0
		.amdhsa_next_free_vgpr 1
		.amdhsa_next_free_sgpr 1
		.amdhsa_reserve_vcc 0
		.amdhsa_float_round_mode_32 0
		.amdhsa_float_round_mode_16_64 0
		.amdhsa_float_denorm_mode_32 3
		.amdhsa_float_denorm_mode_16_64 3
		.amdhsa_dx10_clamp 1
		.amdhsa_ieee_mode 1
		.amdhsa_fp16_overflow 0
		.amdhsa_workgroup_processor_mode 1
		.amdhsa_memory_ordered 1
		.amdhsa_forward_progress 0
		.amdhsa_shared_vgpr_count 0
		.amdhsa_exception_fp_ieee_invalid_op 0
		.amdhsa_exception_fp_denorm_src 0
		.amdhsa_exception_fp_ieee_div_zero 0
		.amdhsa_exception_fp_ieee_overflow 0
		.amdhsa_exception_fp_ieee_underflow 0
		.amdhsa_exception_fp_ieee_inexact 0
		.amdhsa_exception_int_div_zero 0
	.end_amdhsa_kernel
	.section	.text._ZN7rocprim17ROCPRIM_400000_NS6detail17trampoline_kernelINS0_14default_configENS1_38merge_sort_block_merge_config_selectorIlNS0_10empty_typeEEEZZNS1_27merge_sort_block_merge_implIS3_PlPS5_mZN2at6native12_GLOBAL__N_124unique_dim_cuda_templateIfEESt5tupleIJNSA_6TensorESF_SF_EERKSF_lbbbEUlllE_EE10hipError_tT0_T1_T2_jT3_P12ihipStream_tbPNSt15iterator_traitsISL_E10value_typeEPNSR_ISM_E10value_typeEPSN_NS1_7vsmem_tEENKUlT_SL_SM_SN_E_clIS8_S8_S9_S9_EESK_S10_SL_SM_SN_EUlS10_E_NS1_11comp_targetILNS1_3genE3ELNS1_11target_archE908ELNS1_3gpuE7ELNS1_3repE0EEENS1_48merge_mergepath_partition_config_static_selectorELNS0_4arch9wavefront6targetE0EEEvSM_,"axG",@progbits,_ZN7rocprim17ROCPRIM_400000_NS6detail17trampoline_kernelINS0_14default_configENS1_38merge_sort_block_merge_config_selectorIlNS0_10empty_typeEEEZZNS1_27merge_sort_block_merge_implIS3_PlPS5_mZN2at6native12_GLOBAL__N_124unique_dim_cuda_templateIfEESt5tupleIJNSA_6TensorESF_SF_EERKSF_lbbbEUlllE_EE10hipError_tT0_T1_T2_jT3_P12ihipStream_tbPNSt15iterator_traitsISL_E10value_typeEPNSR_ISM_E10value_typeEPSN_NS1_7vsmem_tEENKUlT_SL_SM_SN_E_clIS8_S8_S9_S9_EESK_S10_SL_SM_SN_EUlS10_E_NS1_11comp_targetILNS1_3genE3ELNS1_11target_archE908ELNS1_3gpuE7ELNS1_3repE0EEENS1_48merge_mergepath_partition_config_static_selectorELNS0_4arch9wavefront6targetE0EEEvSM_,comdat
.Lfunc_end884:
	.size	_ZN7rocprim17ROCPRIM_400000_NS6detail17trampoline_kernelINS0_14default_configENS1_38merge_sort_block_merge_config_selectorIlNS0_10empty_typeEEEZZNS1_27merge_sort_block_merge_implIS3_PlPS5_mZN2at6native12_GLOBAL__N_124unique_dim_cuda_templateIfEESt5tupleIJNSA_6TensorESF_SF_EERKSF_lbbbEUlllE_EE10hipError_tT0_T1_T2_jT3_P12ihipStream_tbPNSt15iterator_traitsISL_E10value_typeEPNSR_ISM_E10value_typeEPSN_NS1_7vsmem_tEENKUlT_SL_SM_SN_E_clIS8_S8_S9_S9_EESK_S10_SL_SM_SN_EUlS10_E_NS1_11comp_targetILNS1_3genE3ELNS1_11target_archE908ELNS1_3gpuE7ELNS1_3repE0EEENS1_48merge_mergepath_partition_config_static_selectorELNS0_4arch9wavefront6targetE0EEEvSM_, .Lfunc_end884-_ZN7rocprim17ROCPRIM_400000_NS6detail17trampoline_kernelINS0_14default_configENS1_38merge_sort_block_merge_config_selectorIlNS0_10empty_typeEEEZZNS1_27merge_sort_block_merge_implIS3_PlPS5_mZN2at6native12_GLOBAL__N_124unique_dim_cuda_templateIfEESt5tupleIJNSA_6TensorESF_SF_EERKSF_lbbbEUlllE_EE10hipError_tT0_T1_T2_jT3_P12ihipStream_tbPNSt15iterator_traitsISL_E10value_typeEPNSR_ISM_E10value_typeEPSN_NS1_7vsmem_tEENKUlT_SL_SM_SN_E_clIS8_S8_S9_S9_EESK_S10_SL_SM_SN_EUlS10_E_NS1_11comp_targetILNS1_3genE3ELNS1_11target_archE908ELNS1_3gpuE7ELNS1_3repE0EEENS1_48merge_mergepath_partition_config_static_selectorELNS0_4arch9wavefront6targetE0EEEvSM_
                                        ; -- End function
	.section	.AMDGPU.csdata,"",@progbits
; Kernel info:
; codeLenInByte = 0
; NumSgprs: 0
; NumVgprs: 0
; ScratchSize: 0
; MemoryBound: 0
; FloatMode: 240
; IeeeMode: 1
; LDSByteSize: 0 bytes/workgroup (compile time only)
; SGPRBlocks: 0
; VGPRBlocks: 0
; NumSGPRsForWavesPerEU: 1
; NumVGPRsForWavesPerEU: 1
; Occupancy: 16
; WaveLimiterHint : 0
; COMPUTE_PGM_RSRC2:SCRATCH_EN: 0
; COMPUTE_PGM_RSRC2:USER_SGPR: 15
; COMPUTE_PGM_RSRC2:TRAP_HANDLER: 0
; COMPUTE_PGM_RSRC2:TGID_X_EN: 1
; COMPUTE_PGM_RSRC2:TGID_Y_EN: 0
; COMPUTE_PGM_RSRC2:TGID_Z_EN: 0
; COMPUTE_PGM_RSRC2:TIDIG_COMP_CNT: 0
	.section	.text._ZN7rocprim17ROCPRIM_400000_NS6detail17trampoline_kernelINS0_14default_configENS1_38merge_sort_block_merge_config_selectorIlNS0_10empty_typeEEEZZNS1_27merge_sort_block_merge_implIS3_PlPS5_mZN2at6native12_GLOBAL__N_124unique_dim_cuda_templateIfEESt5tupleIJNSA_6TensorESF_SF_EERKSF_lbbbEUlllE_EE10hipError_tT0_T1_T2_jT3_P12ihipStream_tbPNSt15iterator_traitsISL_E10value_typeEPNSR_ISM_E10value_typeEPSN_NS1_7vsmem_tEENKUlT_SL_SM_SN_E_clIS8_S8_S9_S9_EESK_S10_SL_SM_SN_EUlS10_E_NS1_11comp_targetILNS1_3genE2ELNS1_11target_archE906ELNS1_3gpuE6ELNS1_3repE0EEENS1_48merge_mergepath_partition_config_static_selectorELNS0_4arch9wavefront6targetE0EEEvSM_,"axG",@progbits,_ZN7rocprim17ROCPRIM_400000_NS6detail17trampoline_kernelINS0_14default_configENS1_38merge_sort_block_merge_config_selectorIlNS0_10empty_typeEEEZZNS1_27merge_sort_block_merge_implIS3_PlPS5_mZN2at6native12_GLOBAL__N_124unique_dim_cuda_templateIfEESt5tupleIJNSA_6TensorESF_SF_EERKSF_lbbbEUlllE_EE10hipError_tT0_T1_T2_jT3_P12ihipStream_tbPNSt15iterator_traitsISL_E10value_typeEPNSR_ISM_E10value_typeEPSN_NS1_7vsmem_tEENKUlT_SL_SM_SN_E_clIS8_S8_S9_S9_EESK_S10_SL_SM_SN_EUlS10_E_NS1_11comp_targetILNS1_3genE2ELNS1_11target_archE906ELNS1_3gpuE6ELNS1_3repE0EEENS1_48merge_mergepath_partition_config_static_selectorELNS0_4arch9wavefront6targetE0EEEvSM_,comdat
	.globl	_ZN7rocprim17ROCPRIM_400000_NS6detail17trampoline_kernelINS0_14default_configENS1_38merge_sort_block_merge_config_selectorIlNS0_10empty_typeEEEZZNS1_27merge_sort_block_merge_implIS3_PlPS5_mZN2at6native12_GLOBAL__N_124unique_dim_cuda_templateIfEESt5tupleIJNSA_6TensorESF_SF_EERKSF_lbbbEUlllE_EE10hipError_tT0_T1_T2_jT3_P12ihipStream_tbPNSt15iterator_traitsISL_E10value_typeEPNSR_ISM_E10value_typeEPSN_NS1_7vsmem_tEENKUlT_SL_SM_SN_E_clIS8_S8_S9_S9_EESK_S10_SL_SM_SN_EUlS10_E_NS1_11comp_targetILNS1_3genE2ELNS1_11target_archE906ELNS1_3gpuE6ELNS1_3repE0EEENS1_48merge_mergepath_partition_config_static_selectorELNS0_4arch9wavefront6targetE0EEEvSM_ ; -- Begin function _ZN7rocprim17ROCPRIM_400000_NS6detail17trampoline_kernelINS0_14default_configENS1_38merge_sort_block_merge_config_selectorIlNS0_10empty_typeEEEZZNS1_27merge_sort_block_merge_implIS3_PlPS5_mZN2at6native12_GLOBAL__N_124unique_dim_cuda_templateIfEESt5tupleIJNSA_6TensorESF_SF_EERKSF_lbbbEUlllE_EE10hipError_tT0_T1_T2_jT3_P12ihipStream_tbPNSt15iterator_traitsISL_E10value_typeEPNSR_ISM_E10value_typeEPSN_NS1_7vsmem_tEENKUlT_SL_SM_SN_E_clIS8_S8_S9_S9_EESK_S10_SL_SM_SN_EUlS10_E_NS1_11comp_targetILNS1_3genE2ELNS1_11target_archE906ELNS1_3gpuE6ELNS1_3repE0EEENS1_48merge_mergepath_partition_config_static_selectorELNS0_4arch9wavefront6targetE0EEEvSM_
	.p2align	8
	.type	_ZN7rocprim17ROCPRIM_400000_NS6detail17trampoline_kernelINS0_14default_configENS1_38merge_sort_block_merge_config_selectorIlNS0_10empty_typeEEEZZNS1_27merge_sort_block_merge_implIS3_PlPS5_mZN2at6native12_GLOBAL__N_124unique_dim_cuda_templateIfEESt5tupleIJNSA_6TensorESF_SF_EERKSF_lbbbEUlllE_EE10hipError_tT0_T1_T2_jT3_P12ihipStream_tbPNSt15iterator_traitsISL_E10value_typeEPNSR_ISM_E10value_typeEPSN_NS1_7vsmem_tEENKUlT_SL_SM_SN_E_clIS8_S8_S9_S9_EESK_S10_SL_SM_SN_EUlS10_E_NS1_11comp_targetILNS1_3genE2ELNS1_11target_archE906ELNS1_3gpuE6ELNS1_3repE0EEENS1_48merge_mergepath_partition_config_static_selectorELNS0_4arch9wavefront6targetE0EEEvSM_,@function
_ZN7rocprim17ROCPRIM_400000_NS6detail17trampoline_kernelINS0_14default_configENS1_38merge_sort_block_merge_config_selectorIlNS0_10empty_typeEEEZZNS1_27merge_sort_block_merge_implIS3_PlPS5_mZN2at6native12_GLOBAL__N_124unique_dim_cuda_templateIfEESt5tupleIJNSA_6TensorESF_SF_EERKSF_lbbbEUlllE_EE10hipError_tT0_T1_T2_jT3_P12ihipStream_tbPNSt15iterator_traitsISL_E10value_typeEPNSR_ISM_E10value_typeEPSN_NS1_7vsmem_tEENKUlT_SL_SM_SN_E_clIS8_S8_S9_S9_EESK_S10_SL_SM_SN_EUlS10_E_NS1_11comp_targetILNS1_3genE2ELNS1_11target_archE906ELNS1_3gpuE6ELNS1_3repE0EEENS1_48merge_mergepath_partition_config_static_selectorELNS0_4arch9wavefront6targetE0EEEvSM_: ; @_ZN7rocprim17ROCPRIM_400000_NS6detail17trampoline_kernelINS0_14default_configENS1_38merge_sort_block_merge_config_selectorIlNS0_10empty_typeEEEZZNS1_27merge_sort_block_merge_implIS3_PlPS5_mZN2at6native12_GLOBAL__N_124unique_dim_cuda_templateIfEESt5tupleIJNSA_6TensorESF_SF_EERKSF_lbbbEUlllE_EE10hipError_tT0_T1_T2_jT3_P12ihipStream_tbPNSt15iterator_traitsISL_E10value_typeEPNSR_ISM_E10value_typeEPSN_NS1_7vsmem_tEENKUlT_SL_SM_SN_E_clIS8_S8_S9_S9_EESK_S10_SL_SM_SN_EUlS10_E_NS1_11comp_targetILNS1_3genE2ELNS1_11target_archE906ELNS1_3gpuE6ELNS1_3repE0EEENS1_48merge_mergepath_partition_config_static_selectorELNS0_4arch9wavefront6targetE0EEEvSM_
; %bb.0:
	.section	.rodata,"a",@progbits
	.p2align	6, 0x0
	.amdhsa_kernel _ZN7rocprim17ROCPRIM_400000_NS6detail17trampoline_kernelINS0_14default_configENS1_38merge_sort_block_merge_config_selectorIlNS0_10empty_typeEEEZZNS1_27merge_sort_block_merge_implIS3_PlPS5_mZN2at6native12_GLOBAL__N_124unique_dim_cuda_templateIfEESt5tupleIJNSA_6TensorESF_SF_EERKSF_lbbbEUlllE_EE10hipError_tT0_T1_T2_jT3_P12ihipStream_tbPNSt15iterator_traitsISL_E10value_typeEPNSR_ISM_E10value_typeEPSN_NS1_7vsmem_tEENKUlT_SL_SM_SN_E_clIS8_S8_S9_S9_EESK_S10_SL_SM_SN_EUlS10_E_NS1_11comp_targetILNS1_3genE2ELNS1_11target_archE906ELNS1_3gpuE6ELNS1_3repE0EEENS1_48merge_mergepath_partition_config_static_selectorELNS0_4arch9wavefront6targetE0EEEvSM_
		.amdhsa_group_segment_fixed_size 0
		.amdhsa_private_segment_fixed_size 0
		.amdhsa_kernarg_size 56
		.amdhsa_user_sgpr_count 15
		.amdhsa_user_sgpr_dispatch_ptr 0
		.amdhsa_user_sgpr_queue_ptr 0
		.amdhsa_user_sgpr_kernarg_segment_ptr 1
		.amdhsa_user_sgpr_dispatch_id 0
		.amdhsa_user_sgpr_private_segment_size 0
		.amdhsa_wavefront_size32 1
		.amdhsa_uses_dynamic_stack 0
		.amdhsa_enable_private_segment 0
		.amdhsa_system_sgpr_workgroup_id_x 1
		.amdhsa_system_sgpr_workgroup_id_y 0
		.amdhsa_system_sgpr_workgroup_id_z 0
		.amdhsa_system_sgpr_workgroup_info 0
		.amdhsa_system_vgpr_workitem_id 0
		.amdhsa_next_free_vgpr 1
		.amdhsa_next_free_sgpr 1
		.amdhsa_reserve_vcc 0
		.amdhsa_float_round_mode_32 0
		.amdhsa_float_round_mode_16_64 0
		.amdhsa_float_denorm_mode_32 3
		.amdhsa_float_denorm_mode_16_64 3
		.amdhsa_dx10_clamp 1
		.amdhsa_ieee_mode 1
		.amdhsa_fp16_overflow 0
		.amdhsa_workgroup_processor_mode 1
		.amdhsa_memory_ordered 1
		.amdhsa_forward_progress 0
		.amdhsa_shared_vgpr_count 0
		.amdhsa_exception_fp_ieee_invalid_op 0
		.amdhsa_exception_fp_denorm_src 0
		.amdhsa_exception_fp_ieee_div_zero 0
		.amdhsa_exception_fp_ieee_overflow 0
		.amdhsa_exception_fp_ieee_underflow 0
		.amdhsa_exception_fp_ieee_inexact 0
		.amdhsa_exception_int_div_zero 0
	.end_amdhsa_kernel
	.section	.text._ZN7rocprim17ROCPRIM_400000_NS6detail17trampoline_kernelINS0_14default_configENS1_38merge_sort_block_merge_config_selectorIlNS0_10empty_typeEEEZZNS1_27merge_sort_block_merge_implIS3_PlPS5_mZN2at6native12_GLOBAL__N_124unique_dim_cuda_templateIfEESt5tupleIJNSA_6TensorESF_SF_EERKSF_lbbbEUlllE_EE10hipError_tT0_T1_T2_jT3_P12ihipStream_tbPNSt15iterator_traitsISL_E10value_typeEPNSR_ISM_E10value_typeEPSN_NS1_7vsmem_tEENKUlT_SL_SM_SN_E_clIS8_S8_S9_S9_EESK_S10_SL_SM_SN_EUlS10_E_NS1_11comp_targetILNS1_3genE2ELNS1_11target_archE906ELNS1_3gpuE6ELNS1_3repE0EEENS1_48merge_mergepath_partition_config_static_selectorELNS0_4arch9wavefront6targetE0EEEvSM_,"axG",@progbits,_ZN7rocprim17ROCPRIM_400000_NS6detail17trampoline_kernelINS0_14default_configENS1_38merge_sort_block_merge_config_selectorIlNS0_10empty_typeEEEZZNS1_27merge_sort_block_merge_implIS3_PlPS5_mZN2at6native12_GLOBAL__N_124unique_dim_cuda_templateIfEESt5tupleIJNSA_6TensorESF_SF_EERKSF_lbbbEUlllE_EE10hipError_tT0_T1_T2_jT3_P12ihipStream_tbPNSt15iterator_traitsISL_E10value_typeEPNSR_ISM_E10value_typeEPSN_NS1_7vsmem_tEENKUlT_SL_SM_SN_E_clIS8_S8_S9_S9_EESK_S10_SL_SM_SN_EUlS10_E_NS1_11comp_targetILNS1_3genE2ELNS1_11target_archE906ELNS1_3gpuE6ELNS1_3repE0EEENS1_48merge_mergepath_partition_config_static_selectorELNS0_4arch9wavefront6targetE0EEEvSM_,comdat
.Lfunc_end885:
	.size	_ZN7rocprim17ROCPRIM_400000_NS6detail17trampoline_kernelINS0_14default_configENS1_38merge_sort_block_merge_config_selectorIlNS0_10empty_typeEEEZZNS1_27merge_sort_block_merge_implIS3_PlPS5_mZN2at6native12_GLOBAL__N_124unique_dim_cuda_templateIfEESt5tupleIJNSA_6TensorESF_SF_EERKSF_lbbbEUlllE_EE10hipError_tT0_T1_T2_jT3_P12ihipStream_tbPNSt15iterator_traitsISL_E10value_typeEPNSR_ISM_E10value_typeEPSN_NS1_7vsmem_tEENKUlT_SL_SM_SN_E_clIS8_S8_S9_S9_EESK_S10_SL_SM_SN_EUlS10_E_NS1_11comp_targetILNS1_3genE2ELNS1_11target_archE906ELNS1_3gpuE6ELNS1_3repE0EEENS1_48merge_mergepath_partition_config_static_selectorELNS0_4arch9wavefront6targetE0EEEvSM_, .Lfunc_end885-_ZN7rocprim17ROCPRIM_400000_NS6detail17trampoline_kernelINS0_14default_configENS1_38merge_sort_block_merge_config_selectorIlNS0_10empty_typeEEEZZNS1_27merge_sort_block_merge_implIS3_PlPS5_mZN2at6native12_GLOBAL__N_124unique_dim_cuda_templateIfEESt5tupleIJNSA_6TensorESF_SF_EERKSF_lbbbEUlllE_EE10hipError_tT0_T1_T2_jT3_P12ihipStream_tbPNSt15iterator_traitsISL_E10value_typeEPNSR_ISM_E10value_typeEPSN_NS1_7vsmem_tEENKUlT_SL_SM_SN_E_clIS8_S8_S9_S9_EESK_S10_SL_SM_SN_EUlS10_E_NS1_11comp_targetILNS1_3genE2ELNS1_11target_archE906ELNS1_3gpuE6ELNS1_3repE0EEENS1_48merge_mergepath_partition_config_static_selectorELNS0_4arch9wavefront6targetE0EEEvSM_
                                        ; -- End function
	.section	.AMDGPU.csdata,"",@progbits
; Kernel info:
; codeLenInByte = 0
; NumSgprs: 0
; NumVgprs: 0
; ScratchSize: 0
; MemoryBound: 0
; FloatMode: 240
; IeeeMode: 1
; LDSByteSize: 0 bytes/workgroup (compile time only)
; SGPRBlocks: 0
; VGPRBlocks: 0
; NumSGPRsForWavesPerEU: 1
; NumVGPRsForWavesPerEU: 1
; Occupancy: 16
; WaveLimiterHint : 0
; COMPUTE_PGM_RSRC2:SCRATCH_EN: 0
; COMPUTE_PGM_RSRC2:USER_SGPR: 15
; COMPUTE_PGM_RSRC2:TRAP_HANDLER: 0
; COMPUTE_PGM_RSRC2:TGID_X_EN: 1
; COMPUTE_PGM_RSRC2:TGID_Y_EN: 0
; COMPUTE_PGM_RSRC2:TGID_Z_EN: 0
; COMPUTE_PGM_RSRC2:TIDIG_COMP_CNT: 0
	.section	.text._ZN7rocprim17ROCPRIM_400000_NS6detail17trampoline_kernelINS0_14default_configENS1_38merge_sort_block_merge_config_selectorIlNS0_10empty_typeEEEZZNS1_27merge_sort_block_merge_implIS3_PlPS5_mZN2at6native12_GLOBAL__N_124unique_dim_cuda_templateIfEESt5tupleIJNSA_6TensorESF_SF_EERKSF_lbbbEUlllE_EE10hipError_tT0_T1_T2_jT3_P12ihipStream_tbPNSt15iterator_traitsISL_E10value_typeEPNSR_ISM_E10value_typeEPSN_NS1_7vsmem_tEENKUlT_SL_SM_SN_E_clIS8_S8_S9_S9_EESK_S10_SL_SM_SN_EUlS10_E_NS1_11comp_targetILNS1_3genE9ELNS1_11target_archE1100ELNS1_3gpuE3ELNS1_3repE0EEENS1_48merge_mergepath_partition_config_static_selectorELNS0_4arch9wavefront6targetE0EEEvSM_,"axG",@progbits,_ZN7rocprim17ROCPRIM_400000_NS6detail17trampoline_kernelINS0_14default_configENS1_38merge_sort_block_merge_config_selectorIlNS0_10empty_typeEEEZZNS1_27merge_sort_block_merge_implIS3_PlPS5_mZN2at6native12_GLOBAL__N_124unique_dim_cuda_templateIfEESt5tupleIJNSA_6TensorESF_SF_EERKSF_lbbbEUlllE_EE10hipError_tT0_T1_T2_jT3_P12ihipStream_tbPNSt15iterator_traitsISL_E10value_typeEPNSR_ISM_E10value_typeEPSN_NS1_7vsmem_tEENKUlT_SL_SM_SN_E_clIS8_S8_S9_S9_EESK_S10_SL_SM_SN_EUlS10_E_NS1_11comp_targetILNS1_3genE9ELNS1_11target_archE1100ELNS1_3gpuE3ELNS1_3repE0EEENS1_48merge_mergepath_partition_config_static_selectorELNS0_4arch9wavefront6targetE0EEEvSM_,comdat
	.globl	_ZN7rocprim17ROCPRIM_400000_NS6detail17trampoline_kernelINS0_14default_configENS1_38merge_sort_block_merge_config_selectorIlNS0_10empty_typeEEEZZNS1_27merge_sort_block_merge_implIS3_PlPS5_mZN2at6native12_GLOBAL__N_124unique_dim_cuda_templateIfEESt5tupleIJNSA_6TensorESF_SF_EERKSF_lbbbEUlllE_EE10hipError_tT0_T1_T2_jT3_P12ihipStream_tbPNSt15iterator_traitsISL_E10value_typeEPNSR_ISM_E10value_typeEPSN_NS1_7vsmem_tEENKUlT_SL_SM_SN_E_clIS8_S8_S9_S9_EESK_S10_SL_SM_SN_EUlS10_E_NS1_11comp_targetILNS1_3genE9ELNS1_11target_archE1100ELNS1_3gpuE3ELNS1_3repE0EEENS1_48merge_mergepath_partition_config_static_selectorELNS0_4arch9wavefront6targetE0EEEvSM_ ; -- Begin function _ZN7rocprim17ROCPRIM_400000_NS6detail17trampoline_kernelINS0_14default_configENS1_38merge_sort_block_merge_config_selectorIlNS0_10empty_typeEEEZZNS1_27merge_sort_block_merge_implIS3_PlPS5_mZN2at6native12_GLOBAL__N_124unique_dim_cuda_templateIfEESt5tupleIJNSA_6TensorESF_SF_EERKSF_lbbbEUlllE_EE10hipError_tT0_T1_T2_jT3_P12ihipStream_tbPNSt15iterator_traitsISL_E10value_typeEPNSR_ISM_E10value_typeEPSN_NS1_7vsmem_tEENKUlT_SL_SM_SN_E_clIS8_S8_S9_S9_EESK_S10_SL_SM_SN_EUlS10_E_NS1_11comp_targetILNS1_3genE9ELNS1_11target_archE1100ELNS1_3gpuE3ELNS1_3repE0EEENS1_48merge_mergepath_partition_config_static_selectorELNS0_4arch9wavefront6targetE0EEEvSM_
	.p2align	8
	.type	_ZN7rocprim17ROCPRIM_400000_NS6detail17trampoline_kernelINS0_14default_configENS1_38merge_sort_block_merge_config_selectorIlNS0_10empty_typeEEEZZNS1_27merge_sort_block_merge_implIS3_PlPS5_mZN2at6native12_GLOBAL__N_124unique_dim_cuda_templateIfEESt5tupleIJNSA_6TensorESF_SF_EERKSF_lbbbEUlllE_EE10hipError_tT0_T1_T2_jT3_P12ihipStream_tbPNSt15iterator_traitsISL_E10value_typeEPNSR_ISM_E10value_typeEPSN_NS1_7vsmem_tEENKUlT_SL_SM_SN_E_clIS8_S8_S9_S9_EESK_S10_SL_SM_SN_EUlS10_E_NS1_11comp_targetILNS1_3genE9ELNS1_11target_archE1100ELNS1_3gpuE3ELNS1_3repE0EEENS1_48merge_mergepath_partition_config_static_selectorELNS0_4arch9wavefront6targetE0EEEvSM_,@function
_ZN7rocprim17ROCPRIM_400000_NS6detail17trampoline_kernelINS0_14default_configENS1_38merge_sort_block_merge_config_selectorIlNS0_10empty_typeEEEZZNS1_27merge_sort_block_merge_implIS3_PlPS5_mZN2at6native12_GLOBAL__N_124unique_dim_cuda_templateIfEESt5tupleIJNSA_6TensorESF_SF_EERKSF_lbbbEUlllE_EE10hipError_tT0_T1_T2_jT3_P12ihipStream_tbPNSt15iterator_traitsISL_E10value_typeEPNSR_ISM_E10value_typeEPSN_NS1_7vsmem_tEENKUlT_SL_SM_SN_E_clIS8_S8_S9_S9_EESK_S10_SL_SM_SN_EUlS10_E_NS1_11comp_targetILNS1_3genE9ELNS1_11target_archE1100ELNS1_3gpuE3ELNS1_3repE0EEENS1_48merge_mergepath_partition_config_static_selectorELNS0_4arch9wavefront6targetE0EEEvSM_: ; @_ZN7rocprim17ROCPRIM_400000_NS6detail17trampoline_kernelINS0_14default_configENS1_38merge_sort_block_merge_config_selectorIlNS0_10empty_typeEEEZZNS1_27merge_sort_block_merge_implIS3_PlPS5_mZN2at6native12_GLOBAL__N_124unique_dim_cuda_templateIfEESt5tupleIJNSA_6TensorESF_SF_EERKSF_lbbbEUlllE_EE10hipError_tT0_T1_T2_jT3_P12ihipStream_tbPNSt15iterator_traitsISL_E10value_typeEPNSR_ISM_E10value_typeEPSN_NS1_7vsmem_tEENKUlT_SL_SM_SN_E_clIS8_S8_S9_S9_EESK_S10_SL_SM_SN_EUlS10_E_NS1_11comp_targetILNS1_3genE9ELNS1_11target_archE1100ELNS1_3gpuE3ELNS1_3repE0EEENS1_48merge_mergepath_partition_config_static_selectorELNS0_4arch9wavefront6targetE0EEEvSM_
; %bb.0:
	s_load_b32 s2, s[0:1], 0x0
	v_lshl_or_b32 v0, s15, 7, v0
	s_waitcnt lgkmcnt(0)
	s_delay_alu instid0(VALU_DEP_1)
	v_cmp_gt_u32_e32 vcc_lo, s2, v0
	s_and_saveexec_b32 s2, vcc_lo
	s_cbranch_execz .LBB886_13
; %bb.1:
	s_load_b128 s[4:7], s[0:1], 0x8
	s_mov_b32 s12, 0
	v_mov_b32_e32 v2, 0
	s_waitcnt lgkmcnt(0)
	v_alignbit_b32 v1, s5, s4, 9
	s_delay_alu instid0(VALU_DEP_1) | instskip(NEXT) | instid1(VALU_DEP_1)
	v_and_b32_e32 v3, -2, v1
	v_sub_nc_u32_e32 v1, 0, v3
	s_delay_alu instid0(VALU_DEP_1) | instskip(NEXT) | instid1(VALU_DEP_1)
	v_and_b32_e32 v1, v0, v1
	v_lshlrev_b64 v[4:5], 10, v[1:2]
	v_add_nc_u32_e32 v1, -1, v3
	s_delay_alu instid0(VALU_DEP_1) | instskip(NEXT) | instid1(VALU_DEP_3)
	v_dual_mov_b32 v11, v2 :: v_dual_and_b32 v10, v1, v0
	v_add_co_u32 v6, vcc_lo, v4, s4
	s_delay_alu instid0(VALU_DEP_4) | instskip(NEXT) | instid1(VALU_DEP_1)
	v_add_co_ci_u32_e32 v7, vcc_lo, s5, v5, vcc_lo
	v_cmp_lt_u64_e32 vcc_lo, s[6:7], v[6:7]
	v_cndmask_b32_e64 v8, v6, s6, vcc_lo
	v_cndmask_b32_e64 v9, v7, s7, vcc_lo
	s_delay_alu instid0(VALU_DEP_2) | instskip(NEXT) | instid1(VALU_DEP_2)
	v_add_co_u32 v6, vcc_lo, v8, s4
	v_add_co_ci_u32_e32 v7, vcc_lo, s5, v9, vcc_lo
	v_cmp_lt_u64_e32 vcc_lo, s[6:7], v[4:5]
	s_delay_alu instid0(VALU_DEP_2) | instskip(SKIP_3) | instid1(VALU_DEP_4)
	v_cmp_lt_u64_e64 s2, s[6:7], v[6:7]
	v_cndmask_b32_e64 v2, v4, s6, vcc_lo
	v_cndmask_b32_e64 v3, v5, s7, vcc_lo
	v_lshlrev_b64 v[4:5], 10, v[10:11]
	v_cndmask_b32_e64 v12, v6, s6, s2
	v_cndmask_b32_e64 v1, v7, s7, s2
	s_load_b256 s[4:11], s[0:1], 0x18
	s_mov_b32 s1, exec_lo
	s_delay_alu instid0(VALU_DEP_2) | instskip(NEXT) | instid1(VALU_DEP_2)
	v_sub_co_u32 v6, vcc_lo, v12, v2
	v_sub_co_ci_u32_e32 v7, vcc_lo, v1, v3, vcc_lo
	s_delay_alu instid0(VALU_DEP_1) | instskip(SKIP_3) | instid1(VALU_DEP_2)
	v_cmp_lt_u64_e32 vcc_lo, v[6:7], v[4:5]
	v_dual_cndmask_b32 v11, v5, v7 :: v_dual_cndmask_b32 v10, v4, v6
	v_sub_co_u32 v4, vcc_lo, v8, v12
	v_sub_co_ci_u32_e32 v1, vcc_lo, v9, v1, vcc_lo
	v_add_co_u32 v4, vcc_lo, v10, v4
	s_delay_alu instid0(VALU_DEP_2) | instskip(SKIP_2) | instid1(VALU_DEP_3)
	v_add_co_ci_u32_e32 v5, vcc_lo, v11, v1, vcc_lo
	v_sub_co_u32 v6, vcc_lo, v8, v2
	v_sub_co_ci_u32_e32 v7, vcc_lo, v9, v3, vcc_lo
	v_cmp_gt_u64_e32 vcc_lo, v[4:5], v[10:11]
	s_delay_alu instid0(VALU_DEP_2) | instskip(SKIP_2) | instid1(VALU_DEP_3)
	v_cmp_lt_u64_e64 s0, v[10:11], v[6:7]
	v_cndmask_b32_e64 v5, v5, 0, vcc_lo
	v_cndmask_b32_e64 v4, v4, 0, vcc_lo
	v_cndmask_b32_e64 v7, v7, v11, s0
	v_cndmask_b32_e64 v6, v6, v10, s0
	s_delay_alu instid0(VALU_DEP_1)
	v_cmpx_lt_u64_e64 v[4:5], v[6:7]
	s_cbranch_execz .LBB886_12
; %bb.2:
	v_lshlrev_b64 v[8:9], 3, v[8:9]
	v_lshlrev_b64 v[12:13], 3, v[2:3]
	;; [unrolled: 1-line block ×3, first 2 shown]
	s_waitcnt lgkmcnt(0)
	v_cmp_gt_i64_e64 s13, s[6:7], 0
	s_lshl_b64 s[2:3], s[6:7], 2
	v_add_co_u32 v8, vcc_lo, s4, v8
	v_add_co_ci_u32_e32 v9, vcc_lo, s5, v9, vcc_lo
	v_add_co_u32 v1, vcc_lo, s4, v12
	v_add_co_ci_u32_e32 v14, vcc_lo, s5, v13, vcc_lo
	s_delay_alu instid0(VALU_DEP_4) | instskip(NEXT) | instid1(VALU_DEP_4)
	v_add_co_u32 v15, vcc_lo, v8, v10
	v_add_co_ci_u32_e32 v16, vcc_lo, v9, v11, vcc_lo
	s_branch .LBB886_5
.LBB886_3:                              ;   in Loop: Header=BB886_5 Depth=1
	s_set_inst_prefetch_distance 0x2
	s_or_b32 exec_lo, exec_lo, s15
.LBB886_4:                              ;   in Loop: Header=BB886_5 Depth=1
	s_delay_alu instid0(VALU_DEP_1) | instskip(NEXT) | instid1(VALU_DEP_2)
	v_add_co_u32 v10, vcc_lo, v8, 1
	v_add_co_ci_u32_e32 v11, vcc_lo, 0, v9, vcc_lo
	v_cndmask_b32_e64 v7, v7, v9, s14
	v_cndmask_b32_e64 v6, v6, v8, s14
	s_delay_alu instid0(VALU_DEP_4) | instskip(NEXT) | instid1(VALU_DEP_4)
	v_cndmask_b32_e64 v4, v10, v4, s14
	v_cndmask_b32_e64 v5, v11, v5, s14
	s_delay_alu instid0(VALU_DEP_1) | instskip(SKIP_1) | instid1(SALU_CYCLE_1)
	v_cmp_ge_u64_e32 vcc_lo, v[4:5], v[6:7]
	s_or_b32 s12, vcc_lo, s12
	s_and_not1_b32 exec_lo, exec_lo, s12
	s_cbranch_execz .LBB886_11
.LBB886_5:                              ; =>This Loop Header: Depth=1
                                        ;     Child Loop BB886_8 Depth 2
	v_add_co_u32 v8, vcc_lo, v6, v4
	v_add_co_ci_u32_e32 v9, vcc_lo, v7, v5, vcc_lo
	s_and_not1_b32 vcc_lo, exec_lo, s13
	s_delay_alu instid0(VALU_DEP_1)
	v_lshrrev_b64 v[8:9], 1, v[8:9]
	s_cbranch_vccnz .LBB886_10
; %bb.6:                                ;   in Loop: Header=BB886_5 Depth=1
	s_delay_alu instid0(VALU_DEP_1) | instskip(NEXT) | instid1(VALU_DEP_2)
	v_not_b32_e32 v11, v9
	v_not_b32_e32 v10, v8
	v_lshlrev_b64 v[12:13], 3, v[8:9]
	s_mov_b32 s15, 0
	s_mov_b64 s[4:5], s[6:7]
                                        ; implicit-def: $sgpr14
                                        ; implicit-def: $sgpr16
                                        ; implicit-def: $sgpr17
                                        ; implicit-def: $sgpr18
                                        ; implicit-def: $sgpr19
	s_delay_alu instid0(VALU_DEP_2) | instskip(NEXT) | instid1(VALU_DEP_1)
	v_lshlrev_b64 v[10:11], 3, v[10:11]
	v_add_co_u32 v10, vcc_lo, v15, v10
	s_delay_alu instid0(VALU_DEP_2)
	v_add_co_ci_u32_e32 v11, vcc_lo, v16, v11, vcc_lo
	v_add_co_u32 v12, vcc_lo, v1, v12
	v_add_co_ci_u32_e32 v13, vcc_lo, v14, v13, vcc_lo
	s_clause 0x1
	global_load_b64 v[17:18], v[10:11], off
	global_load_b64 v[19:20], v[12:13], off
	s_waitcnt vmcnt(1)
	v_mul_lo_u32 v18, s2, v18
	v_mul_lo_u32 v21, s3, v17
	v_mad_u64_u32 v[10:11], null, s2, v17, s[8:9]
	s_waitcnt vmcnt(0)
	v_mul_lo_u32 v17, s2, v20
	v_mul_lo_u32 v20, s3, v19
	v_mad_u64_u32 v[12:13], null, s2, v19, s[8:9]
	s_delay_alu instid0(VALU_DEP_4) | instskip(NEXT) | instid1(VALU_DEP_2)
	v_add3_u32 v11, v21, v11, v18
	v_add3_u32 v13, v20, v13, v17
	s_set_inst_prefetch_distance 0x1
	s_branch .LBB886_8
	.p2align	6
.LBB886_7:                              ;   in Loop: Header=BB886_8 Depth=2
	s_or_b32 exec_lo, exec_lo, s0
	s_delay_alu instid0(SALU_CYCLE_1) | instskip(NEXT) | instid1(SALU_CYCLE_1)
	s_and_b32 s0, exec_lo, s16
	s_or_b32 s15, s0, s15
	s_and_not1_b32 s0, s19, exec_lo
	s_and_b32 s19, s17, exec_lo
	s_and_not1_b32 s14, s14, exec_lo
	s_and_b32 s20, s18, exec_lo
	s_or_b32 s19, s0, s19
	s_or_b32 s14, s14, s20
	s_and_not1_b32 exec_lo, exec_lo, s15
	s_cbranch_execz .LBB886_3
.LBB886_8:                              ;   Parent Loop BB886_5 Depth=1
                                        ; =>  This Inner Loop Header: Depth=2
	global_load_b32 v17, v[10:11], off
	global_load_b32 v18, v[12:13], off
	s_and_not1_b32 s18, s18, exec_lo
	s_and_not1_b32 s17, s17, exec_lo
	s_or_b32 s16, s16, exec_lo
	s_waitcnt vmcnt(0)
	v_cmp_ngt_f32_e32 vcc_lo, v17, v18
	v_cmp_lt_f32_e64 s0, v17, v18
	s_and_b32 s20, vcc_lo, s19
	s_delay_alu instid0(VALU_DEP_1) | instid1(SALU_CYCLE_1)
	s_or_b32 s20, s0, s20
	s_delay_alu instid0(SALU_CYCLE_1) | instskip(NEXT) | instid1(SALU_CYCLE_1)
	s_and_b32 s0, s20, exec_lo
	s_or_b32 s18, s18, s0
	s_mov_b32 s0, exec_lo
	v_cmpx_nlg_f32_e32 v17, v18
	s_cbranch_execz .LBB886_7
; %bb.9:                                ;   in Loop: Header=BB886_8 Depth=2
	s_add_u32 s4, s4, -1
	s_addc_u32 s5, s5, -1
	v_add_co_u32 v10, vcc_lo, v10, 4
	s_cmp_eq_u64 s[4:5], 0
	v_add_co_ci_u32_e32 v11, vcc_lo, 0, v11, vcc_lo
	s_cselect_b32 s19, -1, 0
	v_add_co_u32 v12, vcc_lo, v12, 4
	s_and_not1_b32 s17, s17, exec_lo
	s_and_b32 s20, s20, exec_lo
	s_and_not1_b32 s16, s16, exec_lo
	s_and_b32 s19, s19, exec_lo
	v_add_co_ci_u32_e32 v13, vcc_lo, 0, v13, vcc_lo
	s_and_not1_b32 s18, s18, exec_lo
	s_or_b32 s17, s17, s20
	s_or_b32 s16, s16, s19
                                        ; implicit-def: $sgpr19
	s_branch .LBB886_7
.LBB886_10:                             ;   in Loop: Header=BB886_5 Depth=1
	s_mov_b32 s14, 0
	s_branch .LBB886_4
.LBB886_11:
	s_or_b32 exec_lo, exec_lo, s12
.LBB886_12:
	s_delay_alu instid0(SALU_CYCLE_1) | instskip(SKIP_3) | instid1(VALU_DEP_3)
	s_or_b32 exec_lo, exec_lo, s1
	v_mov_b32_e32 v1, 0
	v_add_co_u32 v2, vcc_lo, v4, v2
	v_add_co_ci_u32_e32 v3, vcc_lo, v5, v3, vcc_lo
	v_lshlrev_b64 v[0:1], 3, v[0:1]
	s_waitcnt lgkmcnt(0)
	s_delay_alu instid0(VALU_DEP_1) | instskip(NEXT) | instid1(VALU_DEP_2)
	v_add_co_u32 v0, vcc_lo, s10, v0
	v_add_co_ci_u32_e32 v1, vcc_lo, s11, v1, vcc_lo
	global_store_b64 v[0:1], v[2:3], off
.LBB886_13:
	s_nop 0
	s_sendmsg sendmsg(MSG_DEALLOC_VGPRS)
	s_endpgm
	.section	.rodata,"a",@progbits
	.p2align	6, 0x0
	.amdhsa_kernel _ZN7rocprim17ROCPRIM_400000_NS6detail17trampoline_kernelINS0_14default_configENS1_38merge_sort_block_merge_config_selectorIlNS0_10empty_typeEEEZZNS1_27merge_sort_block_merge_implIS3_PlPS5_mZN2at6native12_GLOBAL__N_124unique_dim_cuda_templateIfEESt5tupleIJNSA_6TensorESF_SF_EERKSF_lbbbEUlllE_EE10hipError_tT0_T1_T2_jT3_P12ihipStream_tbPNSt15iterator_traitsISL_E10value_typeEPNSR_ISM_E10value_typeEPSN_NS1_7vsmem_tEENKUlT_SL_SM_SN_E_clIS8_S8_S9_S9_EESK_S10_SL_SM_SN_EUlS10_E_NS1_11comp_targetILNS1_3genE9ELNS1_11target_archE1100ELNS1_3gpuE3ELNS1_3repE0EEENS1_48merge_mergepath_partition_config_static_selectorELNS0_4arch9wavefront6targetE0EEEvSM_
		.amdhsa_group_segment_fixed_size 0
		.amdhsa_private_segment_fixed_size 0
		.amdhsa_kernarg_size 56
		.amdhsa_user_sgpr_count 15
		.amdhsa_user_sgpr_dispatch_ptr 0
		.amdhsa_user_sgpr_queue_ptr 0
		.amdhsa_user_sgpr_kernarg_segment_ptr 1
		.amdhsa_user_sgpr_dispatch_id 0
		.amdhsa_user_sgpr_private_segment_size 0
		.amdhsa_wavefront_size32 1
		.amdhsa_uses_dynamic_stack 0
		.amdhsa_enable_private_segment 0
		.amdhsa_system_sgpr_workgroup_id_x 1
		.amdhsa_system_sgpr_workgroup_id_y 0
		.amdhsa_system_sgpr_workgroup_id_z 0
		.amdhsa_system_sgpr_workgroup_info 0
		.amdhsa_system_vgpr_workitem_id 0
		.amdhsa_next_free_vgpr 22
		.amdhsa_next_free_sgpr 21
		.amdhsa_reserve_vcc 1
		.amdhsa_float_round_mode_32 0
		.amdhsa_float_round_mode_16_64 0
		.amdhsa_float_denorm_mode_32 3
		.amdhsa_float_denorm_mode_16_64 3
		.amdhsa_dx10_clamp 1
		.amdhsa_ieee_mode 1
		.amdhsa_fp16_overflow 0
		.amdhsa_workgroup_processor_mode 1
		.amdhsa_memory_ordered 1
		.amdhsa_forward_progress 0
		.amdhsa_shared_vgpr_count 0
		.amdhsa_exception_fp_ieee_invalid_op 0
		.amdhsa_exception_fp_denorm_src 0
		.amdhsa_exception_fp_ieee_div_zero 0
		.amdhsa_exception_fp_ieee_overflow 0
		.amdhsa_exception_fp_ieee_underflow 0
		.amdhsa_exception_fp_ieee_inexact 0
		.amdhsa_exception_int_div_zero 0
	.end_amdhsa_kernel
	.section	.text._ZN7rocprim17ROCPRIM_400000_NS6detail17trampoline_kernelINS0_14default_configENS1_38merge_sort_block_merge_config_selectorIlNS0_10empty_typeEEEZZNS1_27merge_sort_block_merge_implIS3_PlPS5_mZN2at6native12_GLOBAL__N_124unique_dim_cuda_templateIfEESt5tupleIJNSA_6TensorESF_SF_EERKSF_lbbbEUlllE_EE10hipError_tT0_T1_T2_jT3_P12ihipStream_tbPNSt15iterator_traitsISL_E10value_typeEPNSR_ISM_E10value_typeEPSN_NS1_7vsmem_tEENKUlT_SL_SM_SN_E_clIS8_S8_S9_S9_EESK_S10_SL_SM_SN_EUlS10_E_NS1_11comp_targetILNS1_3genE9ELNS1_11target_archE1100ELNS1_3gpuE3ELNS1_3repE0EEENS1_48merge_mergepath_partition_config_static_selectorELNS0_4arch9wavefront6targetE0EEEvSM_,"axG",@progbits,_ZN7rocprim17ROCPRIM_400000_NS6detail17trampoline_kernelINS0_14default_configENS1_38merge_sort_block_merge_config_selectorIlNS0_10empty_typeEEEZZNS1_27merge_sort_block_merge_implIS3_PlPS5_mZN2at6native12_GLOBAL__N_124unique_dim_cuda_templateIfEESt5tupleIJNSA_6TensorESF_SF_EERKSF_lbbbEUlllE_EE10hipError_tT0_T1_T2_jT3_P12ihipStream_tbPNSt15iterator_traitsISL_E10value_typeEPNSR_ISM_E10value_typeEPSN_NS1_7vsmem_tEENKUlT_SL_SM_SN_E_clIS8_S8_S9_S9_EESK_S10_SL_SM_SN_EUlS10_E_NS1_11comp_targetILNS1_3genE9ELNS1_11target_archE1100ELNS1_3gpuE3ELNS1_3repE0EEENS1_48merge_mergepath_partition_config_static_selectorELNS0_4arch9wavefront6targetE0EEEvSM_,comdat
.Lfunc_end886:
	.size	_ZN7rocprim17ROCPRIM_400000_NS6detail17trampoline_kernelINS0_14default_configENS1_38merge_sort_block_merge_config_selectorIlNS0_10empty_typeEEEZZNS1_27merge_sort_block_merge_implIS3_PlPS5_mZN2at6native12_GLOBAL__N_124unique_dim_cuda_templateIfEESt5tupleIJNSA_6TensorESF_SF_EERKSF_lbbbEUlllE_EE10hipError_tT0_T1_T2_jT3_P12ihipStream_tbPNSt15iterator_traitsISL_E10value_typeEPNSR_ISM_E10value_typeEPSN_NS1_7vsmem_tEENKUlT_SL_SM_SN_E_clIS8_S8_S9_S9_EESK_S10_SL_SM_SN_EUlS10_E_NS1_11comp_targetILNS1_3genE9ELNS1_11target_archE1100ELNS1_3gpuE3ELNS1_3repE0EEENS1_48merge_mergepath_partition_config_static_selectorELNS0_4arch9wavefront6targetE0EEEvSM_, .Lfunc_end886-_ZN7rocprim17ROCPRIM_400000_NS6detail17trampoline_kernelINS0_14default_configENS1_38merge_sort_block_merge_config_selectorIlNS0_10empty_typeEEEZZNS1_27merge_sort_block_merge_implIS3_PlPS5_mZN2at6native12_GLOBAL__N_124unique_dim_cuda_templateIfEESt5tupleIJNSA_6TensorESF_SF_EERKSF_lbbbEUlllE_EE10hipError_tT0_T1_T2_jT3_P12ihipStream_tbPNSt15iterator_traitsISL_E10value_typeEPNSR_ISM_E10value_typeEPSN_NS1_7vsmem_tEENKUlT_SL_SM_SN_E_clIS8_S8_S9_S9_EESK_S10_SL_SM_SN_EUlS10_E_NS1_11comp_targetILNS1_3genE9ELNS1_11target_archE1100ELNS1_3gpuE3ELNS1_3repE0EEENS1_48merge_mergepath_partition_config_static_selectorELNS0_4arch9wavefront6targetE0EEEvSM_
                                        ; -- End function
	.section	.AMDGPU.csdata,"",@progbits
; Kernel info:
; codeLenInByte = 1016
; NumSgprs: 23
; NumVgprs: 22
; ScratchSize: 0
; MemoryBound: 0
; FloatMode: 240
; IeeeMode: 1
; LDSByteSize: 0 bytes/workgroup (compile time only)
; SGPRBlocks: 2
; VGPRBlocks: 2
; NumSGPRsForWavesPerEU: 23
; NumVGPRsForWavesPerEU: 22
; Occupancy: 16
; WaveLimiterHint : 0
; COMPUTE_PGM_RSRC2:SCRATCH_EN: 0
; COMPUTE_PGM_RSRC2:USER_SGPR: 15
; COMPUTE_PGM_RSRC2:TRAP_HANDLER: 0
; COMPUTE_PGM_RSRC2:TGID_X_EN: 1
; COMPUTE_PGM_RSRC2:TGID_Y_EN: 0
; COMPUTE_PGM_RSRC2:TGID_Z_EN: 0
; COMPUTE_PGM_RSRC2:TIDIG_COMP_CNT: 0
	.section	.text._ZN7rocprim17ROCPRIM_400000_NS6detail17trampoline_kernelINS0_14default_configENS1_38merge_sort_block_merge_config_selectorIlNS0_10empty_typeEEEZZNS1_27merge_sort_block_merge_implIS3_PlPS5_mZN2at6native12_GLOBAL__N_124unique_dim_cuda_templateIfEESt5tupleIJNSA_6TensorESF_SF_EERKSF_lbbbEUlllE_EE10hipError_tT0_T1_T2_jT3_P12ihipStream_tbPNSt15iterator_traitsISL_E10value_typeEPNSR_ISM_E10value_typeEPSN_NS1_7vsmem_tEENKUlT_SL_SM_SN_E_clIS8_S8_S9_S9_EESK_S10_SL_SM_SN_EUlS10_E_NS1_11comp_targetILNS1_3genE8ELNS1_11target_archE1030ELNS1_3gpuE2ELNS1_3repE0EEENS1_48merge_mergepath_partition_config_static_selectorELNS0_4arch9wavefront6targetE0EEEvSM_,"axG",@progbits,_ZN7rocprim17ROCPRIM_400000_NS6detail17trampoline_kernelINS0_14default_configENS1_38merge_sort_block_merge_config_selectorIlNS0_10empty_typeEEEZZNS1_27merge_sort_block_merge_implIS3_PlPS5_mZN2at6native12_GLOBAL__N_124unique_dim_cuda_templateIfEESt5tupleIJNSA_6TensorESF_SF_EERKSF_lbbbEUlllE_EE10hipError_tT0_T1_T2_jT3_P12ihipStream_tbPNSt15iterator_traitsISL_E10value_typeEPNSR_ISM_E10value_typeEPSN_NS1_7vsmem_tEENKUlT_SL_SM_SN_E_clIS8_S8_S9_S9_EESK_S10_SL_SM_SN_EUlS10_E_NS1_11comp_targetILNS1_3genE8ELNS1_11target_archE1030ELNS1_3gpuE2ELNS1_3repE0EEENS1_48merge_mergepath_partition_config_static_selectorELNS0_4arch9wavefront6targetE0EEEvSM_,comdat
	.globl	_ZN7rocprim17ROCPRIM_400000_NS6detail17trampoline_kernelINS0_14default_configENS1_38merge_sort_block_merge_config_selectorIlNS0_10empty_typeEEEZZNS1_27merge_sort_block_merge_implIS3_PlPS5_mZN2at6native12_GLOBAL__N_124unique_dim_cuda_templateIfEESt5tupleIJNSA_6TensorESF_SF_EERKSF_lbbbEUlllE_EE10hipError_tT0_T1_T2_jT3_P12ihipStream_tbPNSt15iterator_traitsISL_E10value_typeEPNSR_ISM_E10value_typeEPSN_NS1_7vsmem_tEENKUlT_SL_SM_SN_E_clIS8_S8_S9_S9_EESK_S10_SL_SM_SN_EUlS10_E_NS1_11comp_targetILNS1_3genE8ELNS1_11target_archE1030ELNS1_3gpuE2ELNS1_3repE0EEENS1_48merge_mergepath_partition_config_static_selectorELNS0_4arch9wavefront6targetE0EEEvSM_ ; -- Begin function _ZN7rocprim17ROCPRIM_400000_NS6detail17trampoline_kernelINS0_14default_configENS1_38merge_sort_block_merge_config_selectorIlNS0_10empty_typeEEEZZNS1_27merge_sort_block_merge_implIS3_PlPS5_mZN2at6native12_GLOBAL__N_124unique_dim_cuda_templateIfEESt5tupleIJNSA_6TensorESF_SF_EERKSF_lbbbEUlllE_EE10hipError_tT0_T1_T2_jT3_P12ihipStream_tbPNSt15iterator_traitsISL_E10value_typeEPNSR_ISM_E10value_typeEPSN_NS1_7vsmem_tEENKUlT_SL_SM_SN_E_clIS8_S8_S9_S9_EESK_S10_SL_SM_SN_EUlS10_E_NS1_11comp_targetILNS1_3genE8ELNS1_11target_archE1030ELNS1_3gpuE2ELNS1_3repE0EEENS1_48merge_mergepath_partition_config_static_selectorELNS0_4arch9wavefront6targetE0EEEvSM_
	.p2align	8
	.type	_ZN7rocprim17ROCPRIM_400000_NS6detail17trampoline_kernelINS0_14default_configENS1_38merge_sort_block_merge_config_selectorIlNS0_10empty_typeEEEZZNS1_27merge_sort_block_merge_implIS3_PlPS5_mZN2at6native12_GLOBAL__N_124unique_dim_cuda_templateIfEESt5tupleIJNSA_6TensorESF_SF_EERKSF_lbbbEUlllE_EE10hipError_tT0_T1_T2_jT3_P12ihipStream_tbPNSt15iterator_traitsISL_E10value_typeEPNSR_ISM_E10value_typeEPSN_NS1_7vsmem_tEENKUlT_SL_SM_SN_E_clIS8_S8_S9_S9_EESK_S10_SL_SM_SN_EUlS10_E_NS1_11comp_targetILNS1_3genE8ELNS1_11target_archE1030ELNS1_3gpuE2ELNS1_3repE0EEENS1_48merge_mergepath_partition_config_static_selectorELNS0_4arch9wavefront6targetE0EEEvSM_,@function
_ZN7rocprim17ROCPRIM_400000_NS6detail17trampoline_kernelINS0_14default_configENS1_38merge_sort_block_merge_config_selectorIlNS0_10empty_typeEEEZZNS1_27merge_sort_block_merge_implIS3_PlPS5_mZN2at6native12_GLOBAL__N_124unique_dim_cuda_templateIfEESt5tupleIJNSA_6TensorESF_SF_EERKSF_lbbbEUlllE_EE10hipError_tT0_T1_T2_jT3_P12ihipStream_tbPNSt15iterator_traitsISL_E10value_typeEPNSR_ISM_E10value_typeEPSN_NS1_7vsmem_tEENKUlT_SL_SM_SN_E_clIS8_S8_S9_S9_EESK_S10_SL_SM_SN_EUlS10_E_NS1_11comp_targetILNS1_3genE8ELNS1_11target_archE1030ELNS1_3gpuE2ELNS1_3repE0EEENS1_48merge_mergepath_partition_config_static_selectorELNS0_4arch9wavefront6targetE0EEEvSM_: ; @_ZN7rocprim17ROCPRIM_400000_NS6detail17trampoline_kernelINS0_14default_configENS1_38merge_sort_block_merge_config_selectorIlNS0_10empty_typeEEEZZNS1_27merge_sort_block_merge_implIS3_PlPS5_mZN2at6native12_GLOBAL__N_124unique_dim_cuda_templateIfEESt5tupleIJNSA_6TensorESF_SF_EERKSF_lbbbEUlllE_EE10hipError_tT0_T1_T2_jT3_P12ihipStream_tbPNSt15iterator_traitsISL_E10value_typeEPNSR_ISM_E10value_typeEPSN_NS1_7vsmem_tEENKUlT_SL_SM_SN_E_clIS8_S8_S9_S9_EESK_S10_SL_SM_SN_EUlS10_E_NS1_11comp_targetILNS1_3genE8ELNS1_11target_archE1030ELNS1_3gpuE2ELNS1_3repE0EEENS1_48merge_mergepath_partition_config_static_selectorELNS0_4arch9wavefront6targetE0EEEvSM_
; %bb.0:
	.section	.rodata,"a",@progbits
	.p2align	6, 0x0
	.amdhsa_kernel _ZN7rocprim17ROCPRIM_400000_NS6detail17trampoline_kernelINS0_14default_configENS1_38merge_sort_block_merge_config_selectorIlNS0_10empty_typeEEEZZNS1_27merge_sort_block_merge_implIS3_PlPS5_mZN2at6native12_GLOBAL__N_124unique_dim_cuda_templateIfEESt5tupleIJNSA_6TensorESF_SF_EERKSF_lbbbEUlllE_EE10hipError_tT0_T1_T2_jT3_P12ihipStream_tbPNSt15iterator_traitsISL_E10value_typeEPNSR_ISM_E10value_typeEPSN_NS1_7vsmem_tEENKUlT_SL_SM_SN_E_clIS8_S8_S9_S9_EESK_S10_SL_SM_SN_EUlS10_E_NS1_11comp_targetILNS1_3genE8ELNS1_11target_archE1030ELNS1_3gpuE2ELNS1_3repE0EEENS1_48merge_mergepath_partition_config_static_selectorELNS0_4arch9wavefront6targetE0EEEvSM_
		.amdhsa_group_segment_fixed_size 0
		.amdhsa_private_segment_fixed_size 0
		.amdhsa_kernarg_size 56
		.amdhsa_user_sgpr_count 15
		.amdhsa_user_sgpr_dispatch_ptr 0
		.amdhsa_user_sgpr_queue_ptr 0
		.amdhsa_user_sgpr_kernarg_segment_ptr 1
		.amdhsa_user_sgpr_dispatch_id 0
		.amdhsa_user_sgpr_private_segment_size 0
		.amdhsa_wavefront_size32 1
		.amdhsa_uses_dynamic_stack 0
		.amdhsa_enable_private_segment 0
		.amdhsa_system_sgpr_workgroup_id_x 1
		.amdhsa_system_sgpr_workgroup_id_y 0
		.amdhsa_system_sgpr_workgroup_id_z 0
		.amdhsa_system_sgpr_workgroup_info 0
		.amdhsa_system_vgpr_workitem_id 0
		.amdhsa_next_free_vgpr 1
		.amdhsa_next_free_sgpr 1
		.amdhsa_reserve_vcc 0
		.amdhsa_float_round_mode_32 0
		.amdhsa_float_round_mode_16_64 0
		.amdhsa_float_denorm_mode_32 3
		.amdhsa_float_denorm_mode_16_64 3
		.amdhsa_dx10_clamp 1
		.amdhsa_ieee_mode 1
		.amdhsa_fp16_overflow 0
		.amdhsa_workgroup_processor_mode 1
		.amdhsa_memory_ordered 1
		.amdhsa_forward_progress 0
		.amdhsa_shared_vgpr_count 0
		.amdhsa_exception_fp_ieee_invalid_op 0
		.amdhsa_exception_fp_denorm_src 0
		.amdhsa_exception_fp_ieee_div_zero 0
		.amdhsa_exception_fp_ieee_overflow 0
		.amdhsa_exception_fp_ieee_underflow 0
		.amdhsa_exception_fp_ieee_inexact 0
		.amdhsa_exception_int_div_zero 0
	.end_amdhsa_kernel
	.section	.text._ZN7rocprim17ROCPRIM_400000_NS6detail17trampoline_kernelINS0_14default_configENS1_38merge_sort_block_merge_config_selectorIlNS0_10empty_typeEEEZZNS1_27merge_sort_block_merge_implIS3_PlPS5_mZN2at6native12_GLOBAL__N_124unique_dim_cuda_templateIfEESt5tupleIJNSA_6TensorESF_SF_EERKSF_lbbbEUlllE_EE10hipError_tT0_T1_T2_jT3_P12ihipStream_tbPNSt15iterator_traitsISL_E10value_typeEPNSR_ISM_E10value_typeEPSN_NS1_7vsmem_tEENKUlT_SL_SM_SN_E_clIS8_S8_S9_S9_EESK_S10_SL_SM_SN_EUlS10_E_NS1_11comp_targetILNS1_3genE8ELNS1_11target_archE1030ELNS1_3gpuE2ELNS1_3repE0EEENS1_48merge_mergepath_partition_config_static_selectorELNS0_4arch9wavefront6targetE0EEEvSM_,"axG",@progbits,_ZN7rocprim17ROCPRIM_400000_NS6detail17trampoline_kernelINS0_14default_configENS1_38merge_sort_block_merge_config_selectorIlNS0_10empty_typeEEEZZNS1_27merge_sort_block_merge_implIS3_PlPS5_mZN2at6native12_GLOBAL__N_124unique_dim_cuda_templateIfEESt5tupleIJNSA_6TensorESF_SF_EERKSF_lbbbEUlllE_EE10hipError_tT0_T1_T2_jT3_P12ihipStream_tbPNSt15iterator_traitsISL_E10value_typeEPNSR_ISM_E10value_typeEPSN_NS1_7vsmem_tEENKUlT_SL_SM_SN_E_clIS8_S8_S9_S9_EESK_S10_SL_SM_SN_EUlS10_E_NS1_11comp_targetILNS1_3genE8ELNS1_11target_archE1030ELNS1_3gpuE2ELNS1_3repE0EEENS1_48merge_mergepath_partition_config_static_selectorELNS0_4arch9wavefront6targetE0EEEvSM_,comdat
.Lfunc_end887:
	.size	_ZN7rocprim17ROCPRIM_400000_NS6detail17trampoline_kernelINS0_14default_configENS1_38merge_sort_block_merge_config_selectorIlNS0_10empty_typeEEEZZNS1_27merge_sort_block_merge_implIS3_PlPS5_mZN2at6native12_GLOBAL__N_124unique_dim_cuda_templateIfEESt5tupleIJNSA_6TensorESF_SF_EERKSF_lbbbEUlllE_EE10hipError_tT0_T1_T2_jT3_P12ihipStream_tbPNSt15iterator_traitsISL_E10value_typeEPNSR_ISM_E10value_typeEPSN_NS1_7vsmem_tEENKUlT_SL_SM_SN_E_clIS8_S8_S9_S9_EESK_S10_SL_SM_SN_EUlS10_E_NS1_11comp_targetILNS1_3genE8ELNS1_11target_archE1030ELNS1_3gpuE2ELNS1_3repE0EEENS1_48merge_mergepath_partition_config_static_selectorELNS0_4arch9wavefront6targetE0EEEvSM_, .Lfunc_end887-_ZN7rocprim17ROCPRIM_400000_NS6detail17trampoline_kernelINS0_14default_configENS1_38merge_sort_block_merge_config_selectorIlNS0_10empty_typeEEEZZNS1_27merge_sort_block_merge_implIS3_PlPS5_mZN2at6native12_GLOBAL__N_124unique_dim_cuda_templateIfEESt5tupleIJNSA_6TensorESF_SF_EERKSF_lbbbEUlllE_EE10hipError_tT0_T1_T2_jT3_P12ihipStream_tbPNSt15iterator_traitsISL_E10value_typeEPNSR_ISM_E10value_typeEPSN_NS1_7vsmem_tEENKUlT_SL_SM_SN_E_clIS8_S8_S9_S9_EESK_S10_SL_SM_SN_EUlS10_E_NS1_11comp_targetILNS1_3genE8ELNS1_11target_archE1030ELNS1_3gpuE2ELNS1_3repE0EEENS1_48merge_mergepath_partition_config_static_selectorELNS0_4arch9wavefront6targetE0EEEvSM_
                                        ; -- End function
	.section	.AMDGPU.csdata,"",@progbits
; Kernel info:
; codeLenInByte = 0
; NumSgprs: 0
; NumVgprs: 0
; ScratchSize: 0
; MemoryBound: 0
; FloatMode: 240
; IeeeMode: 1
; LDSByteSize: 0 bytes/workgroup (compile time only)
; SGPRBlocks: 0
; VGPRBlocks: 0
; NumSGPRsForWavesPerEU: 1
; NumVGPRsForWavesPerEU: 1
; Occupancy: 16
; WaveLimiterHint : 0
; COMPUTE_PGM_RSRC2:SCRATCH_EN: 0
; COMPUTE_PGM_RSRC2:USER_SGPR: 15
; COMPUTE_PGM_RSRC2:TRAP_HANDLER: 0
; COMPUTE_PGM_RSRC2:TGID_X_EN: 1
; COMPUTE_PGM_RSRC2:TGID_Y_EN: 0
; COMPUTE_PGM_RSRC2:TGID_Z_EN: 0
; COMPUTE_PGM_RSRC2:TIDIG_COMP_CNT: 0
	.section	.text._ZN7rocprim17ROCPRIM_400000_NS6detail17trampoline_kernelINS0_14default_configENS1_38merge_sort_block_merge_config_selectorIlNS0_10empty_typeEEEZZNS1_27merge_sort_block_merge_implIS3_PlPS5_mZN2at6native12_GLOBAL__N_124unique_dim_cuda_templateIfEESt5tupleIJNSA_6TensorESF_SF_EERKSF_lbbbEUlllE_EE10hipError_tT0_T1_T2_jT3_P12ihipStream_tbPNSt15iterator_traitsISL_E10value_typeEPNSR_ISM_E10value_typeEPSN_NS1_7vsmem_tEENKUlT_SL_SM_SN_E_clIS8_S8_S9_S9_EESK_S10_SL_SM_SN_EUlS10_E0_NS1_11comp_targetILNS1_3genE0ELNS1_11target_archE4294967295ELNS1_3gpuE0ELNS1_3repE0EEENS1_38merge_mergepath_config_static_selectorELNS0_4arch9wavefront6targetE0EEEvSM_,"axG",@progbits,_ZN7rocprim17ROCPRIM_400000_NS6detail17trampoline_kernelINS0_14default_configENS1_38merge_sort_block_merge_config_selectorIlNS0_10empty_typeEEEZZNS1_27merge_sort_block_merge_implIS3_PlPS5_mZN2at6native12_GLOBAL__N_124unique_dim_cuda_templateIfEESt5tupleIJNSA_6TensorESF_SF_EERKSF_lbbbEUlllE_EE10hipError_tT0_T1_T2_jT3_P12ihipStream_tbPNSt15iterator_traitsISL_E10value_typeEPNSR_ISM_E10value_typeEPSN_NS1_7vsmem_tEENKUlT_SL_SM_SN_E_clIS8_S8_S9_S9_EESK_S10_SL_SM_SN_EUlS10_E0_NS1_11comp_targetILNS1_3genE0ELNS1_11target_archE4294967295ELNS1_3gpuE0ELNS1_3repE0EEENS1_38merge_mergepath_config_static_selectorELNS0_4arch9wavefront6targetE0EEEvSM_,comdat
	.globl	_ZN7rocprim17ROCPRIM_400000_NS6detail17trampoline_kernelINS0_14default_configENS1_38merge_sort_block_merge_config_selectorIlNS0_10empty_typeEEEZZNS1_27merge_sort_block_merge_implIS3_PlPS5_mZN2at6native12_GLOBAL__N_124unique_dim_cuda_templateIfEESt5tupleIJNSA_6TensorESF_SF_EERKSF_lbbbEUlllE_EE10hipError_tT0_T1_T2_jT3_P12ihipStream_tbPNSt15iterator_traitsISL_E10value_typeEPNSR_ISM_E10value_typeEPSN_NS1_7vsmem_tEENKUlT_SL_SM_SN_E_clIS8_S8_S9_S9_EESK_S10_SL_SM_SN_EUlS10_E0_NS1_11comp_targetILNS1_3genE0ELNS1_11target_archE4294967295ELNS1_3gpuE0ELNS1_3repE0EEENS1_38merge_mergepath_config_static_selectorELNS0_4arch9wavefront6targetE0EEEvSM_ ; -- Begin function _ZN7rocprim17ROCPRIM_400000_NS6detail17trampoline_kernelINS0_14default_configENS1_38merge_sort_block_merge_config_selectorIlNS0_10empty_typeEEEZZNS1_27merge_sort_block_merge_implIS3_PlPS5_mZN2at6native12_GLOBAL__N_124unique_dim_cuda_templateIfEESt5tupleIJNSA_6TensorESF_SF_EERKSF_lbbbEUlllE_EE10hipError_tT0_T1_T2_jT3_P12ihipStream_tbPNSt15iterator_traitsISL_E10value_typeEPNSR_ISM_E10value_typeEPSN_NS1_7vsmem_tEENKUlT_SL_SM_SN_E_clIS8_S8_S9_S9_EESK_S10_SL_SM_SN_EUlS10_E0_NS1_11comp_targetILNS1_3genE0ELNS1_11target_archE4294967295ELNS1_3gpuE0ELNS1_3repE0EEENS1_38merge_mergepath_config_static_selectorELNS0_4arch9wavefront6targetE0EEEvSM_
	.p2align	8
	.type	_ZN7rocprim17ROCPRIM_400000_NS6detail17trampoline_kernelINS0_14default_configENS1_38merge_sort_block_merge_config_selectorIlNS0_10empty_typeEEEZZNS1_27merge_sort_block_merge_implIS3_PlPS5_mZN2at6native12_GLOBAL__N_124unique_dim_cuda_templateIfEESt5tupleIJNSA_6TensorESF_SF_EERKSF_lbbbEUlllE_EE10hipError_tT0_T1_T2_jT3_P12ihipStream_tbPNSt15iterator_traitsISL_E10value_typeEPNSR_ISM_E10value_typeEPSN_NS1_7vsmem_tEENKUlT_SL_SM_SN_E_clIS8_S8_S9_S9_EESK_S10_SL_SM_SN_EUlS10_E0_NS1_11comp_targetILNS1_3genE0ELNS1_11target_archE4294967295ELNS1_3gpuE0ELNS1_3repE0EEENS1_38merge_mergepath_config_static_selectorELNS0_4arch9wavefront6targetE0EEEvSM_,@function
_ZN7rocprim17ROCPRIM_400000_NS6detail17trampoline_kernelINS0_14default_configENS1_38merge_sort_block_merge_config_selectorIlNS0_10empty_typeEEEZZNS1_27merge_sort_block_merge_implIS3_PlPS5_mZN2at6native12_GLOBAL__N_124unique_dim_cuda_templateIfEESt5tupleIJNSA_6TensorESF_SF_EERKSF_lbbbEUlllE_EE10hipError_tT0_T1_T2_jT3_P12ihipStream_tbPNSt15iterator_traitsISL_E10value_typeEPNSR_ISM_E10value_typeEPSN_NS1_7vsmem_tEENKUlT_SL_SM_SN_E_clIS8_S8_S9_S9_EESK_S10_SL_SM_SN_EUlS10_E0_NS1_11comp_targetILNS1_3genE0ELNS1_11target_archE4294967295ELNS1_3gpuE0ELNS1_3repE0EEENS1_38merge_mergepath_config_static_selectorELNS0_4arch9wavefront6targetE0EEEvSM_: ; @_ZN7rocprim17ROCPRIM_400000_NS6detail17trampoline_kernelINS0_14default_configENS1_38merge_sort_block_merge_config_selectorIlNS0_10empty_typeEEEZZNS1_27merge_sort_block_merge_implIS3_PlPS5_mZN2at6native12_GLOBAL__N_124unique_dim_cuda_templateIfEESt5tupleIJNSA_6TensorESF_SF_EERKSF_lbbbEUlllE_EE10hipError_tT0_T1_T2_jT3_P12ihipStream_tbPNSt15iterator_traitsISL_E10value_typeEPNSR_ISM_E10value_typeEPSN_NS1_7vsmem_tEENKUlT_SL_SM_SN_E_clIS8_S8_S9_S9_EESK_S10_SL_SM_SN_EUlS10_E0_NS1_11comp_targetILNS1_3genE0ELNS1_11target_archE4294967295ELNS1_3gpuE0ELNS1_3repE0EEENS1_38merge_mergepath_config_static_selectorELNS0_4arch9wavefront6targetE0EEEvSM_
; %bb.0:
	.section	.rodata,"a",@progbits
	.p2align	6, 0x0
	.amdhsa_kernel _ZN7rocprim17ROCPRIM_400000_NS6detail17trampoline_kernelINS0_14default_configENS1_38merge_sort_block_merge_config_selectorIlNS0_10empty_typeEEEZZNS1_27merge_sort_block_merge_implIS3_PlPS5_mZN2at6native12_GLOBAL__N_124unique_dim_cuda_templateIfEESt5tupleIJNSA_6TensorESF_SF_EERKSF_lbbbEUlllE_EE10hipError_tT0_T1_T2_jT3_P12ihipStream_tbPNSt15iterator_traitsISL_E10value_typeEPNSR_ISM_E10value_typeEPSN_NS1_7vsmem_tEENKUlT_SL_SM_SN_E_clIS8_S8_S9_S9_EESK_S10_SL_SM_SN_EUlS10_E0_NS1_11comp_targetILNS1_3genE0ELNS1_11target_archE4294967295ELNS1_3gpuE0ELNS1_3repE0EEENS1_38merge_mergepath_config_static_selectorELNS0_4arch9wavefront6targetE0EEEvSM_
		.amdhsa_group_segment_fixed_size 0
		.amdhsa_private_segment_fixed_size 0
		.amdhsa_kernarg_size 88
		.amdhsa_user_sgpr_count 15
		.amdhsa_user_sgpr_dispatch_ptr 0
		.amdhsa_user_sgpr_queue_ptr 0
		.amdhsa_user_sgpr_kernarg_segment_ptr 1
		.amdhsa_user_sgpr_dispatch_id 0
		.amdhsa_user_sgpr_private_segment_size 0
		.amdhsa_wavefront_size32 1
		.amdhsa_uses_dynamic_stack 0
		.amdhsa_enable_private_segment 0
		.amdhsa_system_sgpr_workgroup_id_x 1
		.amdhsa_system_sgpr_workgroup_id_y 0
		.amdhsa_system_sgpr_workgroup_id_z 0
		.amdhsa_system_sgpr_workgroup_info 0
		.amdhsa_system_vgpr_workitem_id 0
		.amdhsa_next_free_vgpr 1
		.amdhsa_next_free_sgpr 1
		.amdhsa_reserve_vcc 0
		.amdhsa_float_round_mode_32 0
		.amdhsa_float_round_mode_16_64 0
		.amdhsa_float_denorm_mode_32 3
		.amdhsa_float_denorm_mode_16_64 3
		.amdhsa_dx10_clamp 1
		.amdhsa_ieee_mode 1
		.amdhsa_fp16_overflow 0
		.amdhsa_workgroup_processor_mode 1
		.amdhsa_memory_ordered 1
		.amdhsa_forward_progress 0
		.amdhsa_shared_vgpr_count 0
		.amdhsa_exception_fp_ieee_invalid_op 0
		.amdhsa_exception_fp_denorm_src 0
		.amdhsa_exception_fp_ieee_div_zero 0
		.amdhsa_exception_fp_ieee_overflow 0
		.amdhsa_exception_fp_ieee_underflow 0
		.amdhsa_exception_fp_ieee_inexact 0
		.amdhsa_exception_int_div_zero 0
	.end_amdhsa_kernel
	.section	.text._ZN7rocprim17ROCPRIM_400000_NS6detail17trampoline_kernelINS0_14default_configENS1_38merge_sort_block_merge_config_selectorIlNS0_10empty_typeEEEZZNS1_27merge_sort_block_merge_implIS3_PlPS5_mZN2at6native12_GLOBAL__N_124unique_dim_cuda_templateIfEESt5tupleIJNSA_6TensorESF_SF_EERKSF_lbbbEUlllE_EE10hipError_tT0_T1_T2_jT3_P12ihipStream_tbPNSt15iterator_traitsISL_E10value_typeEPNSR_ISM_E10value_typeEPSN_NS1_7vsmem_tEENKUlT_SL_SM_SN_E_clIS8_S8_S9_S9_EESK_S10_SL_SM_SN_EUlS10_E0_NS1_11comp_targetILNS1_3genE0ELNS1_11target_archE4294967295ELNS1_3gpuE0ELNS1_3repE0EEENS1_38merge_mergepath_config_static_selectorELNS0_4arch9wavefront6targetE0EEEvSM_,"axG",@progbits,_ZN7rocprim17ROCPRIM_400000_NS6detail17trampoline_kernelINS0_14default_configENS1_38merge_sort_block_merge_config_selectorIlNS0_10empty_typeEEEZZNS1_27merge_sort_block_merge_implIS3_PlPS5_mZN2at6native12_GLOBAL__N_124unique_dim_cuda_templateIfEESt5tupleIJNSA_6TensorESF_SF_EERKSF_lbbbEUlllE_EE10hipError_tT0_T1_T2_jT3_P12ihipStream_tbPNSt15iterator_traitsISL_E10value_typeEPNSR_ISM_E10value_typeEPSN_NS1_7vsmem_tEENKUlT_SL_SM_SN_E_clIS8_S8_S9_S9_EESK_S10_SL_SM_SN_EUlS10_E0_NS1_11comp_targetILNS1_3genE0ELNS1_11target_archE4294967295ELNS1_3gpuE0ELNS1_3repE0EEENS1_38merge_mergepath_config_static_selectorELNS0_4arch9wavefront6targetE0EEEvSM_,comdat
.Lfunc_end888:
	.size	_ZN7rocprim17ROCPRIM_400000_NS6detail17trampoline_kernelINS0_14default_configENS1_38merge_sort_block_merge_config_selectorIlNS0_10empty_typeEEEZZNS1_27merge_sort_block_merge_implIS3_PlPS5_mZN2at6native12_GLOBAL__N_124unique_dim_cuda_templateIfEESt5tupleIJNSA_6TensorESF_SF_EERKSF_lbbbEUlllE_EE10hipError_tT0_T1_T2_jT3_P12ihipStream_tbPNSt15iterator_traitsISL_E10value_typeEPNSR_ISM_E10value_typeEPSN_NS1_7vsmem_tEENKUlT_SL_SM_SN_E_clIS8_S8_S9_S9_EESK_S10_SL_SM_SN_EUlS10_E0_NS1_11comp_targetILNS1_3genE0ELNS1_11target_archE4294967295ELNS1_3gpuE0ELNS1_3repE0EEENS1_38merge_mergepath_config_static_selectorELNS0_4arch9wavefront6targetE0EEEvSM_, .Lfunc_end888-_ZN7rocprim17ROCPRIM_400000_NS6detail17trampoline_kernelINS0_14default_configENS1_38merge_sort_block_merge_config_selectorIlNS0_10empty_typeEEEZZNS1_27merge_sort_block_merge_implIS3_PlPS5_mZN2at6native12_GLOBAL__N_124unique_dim_cuda_templateIfEESt5tupleIJNSA_6TensorESF_SF_EERKSF_lbbbEUlllE_EE10hipError_tT0_T1_T2_jT3_P12ihipStream_tbPNSt15iterator_traitsISL_E10value_typeEPNSR_ISM_E10value_typeEPSN_NS1_7vsmem_tEENKUlT_SL_SM_SN_E_clIS8_S8_S9_S9_EESK_S10_SL_SM_SN_EUlS10_E0_NS1_11comp_targetILNS1_3genE0ELNS1_11target_archE4294967295ELNS1_3gpuE0ELNS1_3repE0EEENS1_38merge_mergepath_config_static_selectorELNS0_4arch9wavefront6targetE0EEEvSM_
                                        ; -- End function
	.section	.AMDGPU.csdata,"",@progbits
; Kernel info:
; codeLenInByte = 0
; NumSgprs: 0
; NumVgprs: 0
; ScratchSize: 0
; MemoryBound: 0
; FloatMode: 240
; IeeeMode: 1
; LDSByteSize: 0 bytes/workgroup (compile time only)
; SGPRBlocks: 0
; VGPRBlocks: 0
; NumSGPRsForWavesPerEU: 1
; NumVGPRsForWavesPerEU: 1
; Occupancy: 16
; WaveLimiterHint : 0
; COMPUTE_PGM_RSRC2:SCRATCH_EN: 0
; COMPUTE_PGM_RSRC2:USER_SGPR: 15
; COMPUTE_PGM_RSRC2:TRAP_HANDLER: 0
; COMPUTE_PGM_RSRC2:TGID_X_EN: 1
; COMPUTE_PGM_RSRC2:TGID_Y_EN: 0
; COMPUTE_PGM_RSRC2:TGID_Z_EN: 0
; COMPUTE_PGM_RSRC2:TIDIG_COMP_CNT: 0
	.section	.text._ZN7rocprim17ROCPRIM_400000_NS6detail17trampoline_kernelINS0_14default_configENS1_38merge_sort_block_merge_config_selectorIlNS0_10empty_typeEEEZZNS1_27merge_sort_block_merge_implIS3_PlPS5_mZN2at6native12_GLOBAL__N_124unique_dim_cuda_templateIfEESt5tupleIJNSA_6TensorESF_SF_EERKSF_lbbbEUlllE_EE10hipError_tT0_T1_T2_jT3_P12ihipStream_tbPNSt15iterator_traitsISL_E10value_typeEPNSR_ISM_E10value_typeEPSN_NS1_7vsmem_tEENKUlT_SL_SM_SN_E_clIS8_S8_S9_S9_EESK_S10_SL_SM_SN_EUlS10_E0_NS1_11comp_targetILNS1_3genE10ELNS1_11target_archE1201ELNS1_3gpuE5ELNS1_3repE0EEENS1_38merge_mergepath_config_static_selectorELNS0_4arch9wavefront6targetE0EEEvSM_,"axG",@progbits,_ZN7rocprim17ROCPRIM_400000_NS6detail17trampoline_kernelINS0_14default_configENS1_38merge_sort_block_merge_config_selectorIlNS0_10empty_typeEEEZZNS1_27merge_sort_block_merge_implIS3_PlPS5_mZN2at6native12_GLOBAL__N_124unique_dim_cuda_templateIfEESt5tupleIJNSA_6TensorESF_SF_EERKSF_lbbbEUlllE_EE10hipError_tT0_T1_T2_jT3_P12ihipStream_tbPNSt15iterator_traitsISL_E10value_typeEPNSR_ISM_E10value_typeEPSN_NS1_7vsmem_tEENKUlT_SL_SM_SN_E_clIS8_S8_S9_S9_EESK_S10_SL_SM_SN_EUlS10_E0_NS1_11comp_targetILNS1_3genE10ELNS1_11target_archE1201ELNS1_3gpuE5ELNS1_3repE0EEENS1_38merge_mergepath_config_static_selectorELNS0_4arch9wavefront6targetE0EEEvSM_,comdat
	.globl	_ZN7rocprim17ROCPRIM_400000_NS6detail17trampoline_kernelINS0_14default_configENS1_38merge_sort_block_merge_config_selectorIlNS0_10empty_typeEEEZZNS1_27merge_sort_block_merge_implIS3_PlPS5_mZN2at6native12_GLOBAL__N_124unique_dim_cuda_templateIfEESt5tupleIJNSA_6TensorESF_SF_EERKSF_lbbbEUlllE_EE10hipError_tT0_T1_T2_jT3_P12ihipStream_tbPNSt15iterator_traitsISL_E10value_typeEPNSR_ISM_E10value_typeEPSN_NS1_7vsmem_tEENKUlT_SL_SM_SN_E_clIS8_S8_S9_S9_EESK_S10_SL_SM_SN_EUlS10_E0_NS1_11comp_targetILNS1_3genE10ELNS1_11target_archE1201ELNS1_3gpuE5ELNS1_3repE0EEENS1_38merge_mergepath_config_static_selectorELNS0_4arch9wavefront6targetE0EEEvSM_ ; -- Begin function _ZN7rocprim17ROCPRIM_400000_NS6detail17trampoline_kernelINS0_14default_configENS1_38merge_sort_block_merge_config_selectorIlNS0_10empty_typeEEEZZNS1_27merge_sort_block_merge_implIS3_PlPS5_mZN2at6native12_GLOBAL__N_124unique_dim_cuda_templateIfEESt5tupleIJNSA_6TensorESF_SF_EERKSF_lbbbEUlllE_EE10hipError_tT0_T1_T2_jT3_P12ihipStream_tbPNSt15iterator_traitsISL_E10value_typeEPNSR_ISM_E10value_typeEPSN_NS1_7vsmem_tEENKUlT_SL_SM_SN_E_clIS8_S8_S9_S9_EESK_S10_SL_SM_SN_EUlS10_E0_NS1_11comp_targetILNS1_3genE10ELNS1_11target_archE1201ELNS1_3gpuE5ELNS1_3repE0EEENS1_38merge_mergepath_config_static_selectorELNS0_4arch9wavefront6targetE0EEEvSM_
	.p2align	8
	.type	_ZN7rocprim17ROCPRIM_400000_NS6detail17trampoline_kernelINS0_14default_configENS1_38merge_sort_block_merge_config_selectorIlNS0_10empty_typeEEEZZNS1_27merge_sort_block_merge_implIS3_PlPS5_mZN2at6native12_GLOBAL__N_124unique_dim_cuda_templateIfEESt5tupleIJNSA_6TensorESF_SF_EERKSF_lbbbEUlllE_EE10hipError_tT0_T1_T2_jT3_P12ihipStream_tbPNSt15iterator_traitsISL_E10value_typeEPNSR_ISM_E10value_typeEPSN_NS1_7vsmem_tEENKUlT_SL_SM_SN_E_clIS8_S8_S9_S9_EESK_S10_SL_SM_SN_EUlS10_E0_NS1_11comp_targetILNS1_3genE10ELNS1_11target_archE1201ELNS1_3gpuE5ELNS1_3repE0EEENS1_38merge_mergepath_config_static_selectorELNS0_4arch9wavefront6targetE0EEEvSM_,@function
_ZN7rocprim17ROCPRIM_400000_NS6detail17trampoline_kernelINS0_14default_configENS1_38merge_sort_block_merge_config_selectorIlNS0_10empty_typeEEEZZNS1_27merge_sort_block_merge_implIS3_PlPS5_mZN2at6native12_GLOBAL__N_124unique_dim_cuda_templateIfEESt5tupleIJNSA_6TensorESF_SF_EERKSF_lbbbEUlllE_EE10hipError_tT0_T1_T2_jT3_P12ihipStream_tbPNSt15iterator_traitsISL_E10value_typeEPNSR_ISM_E10value_typeEPSN_NS1_7vsmem_tEENKUlT_SL_SM_SN_E_clIS8_S8_S9_S9_EESK_S10_SL_SM_SN_EUlS10_E0_NS1_11comp_targetILNS1_3genE10ELNS1_11target_archE1201ELNS1_3gpuE5ELNS1_3repE0EEENS1_38merge_mergepath_config_static_selectorELNS0_4arch9wavefront6targetE0EEEvSM_: ; @_ZN7rocprim17ROCPRIM_400000_NS6detail17trampoline_kernelINS0_14default_configENS1_38merge_sort_block_merge_config_selectorIlNS0_10empty_typeEEEZZNS1_27merge_sort_block_merge_implIS3_PlPS5_mZN2at6native12_GLOBAL__N_124unique_dim_cuda_templateIfEESt5tupleIJNSA_6TensorESF_SF_EERKSF_lbbbEUlllE_EE10hipError_tT0_T1_T2_jT3_P12ihipStream_tbPNSt15iterator_traitsISL_E10value_typeEPNSR_ISM_E10value_typeEPSN_NS1_7vsmem_tEENKUlT_SL_SM_SN_E_clIS8_S8_S9_S9_EESK_S10_SL_SM_SN_EUlS10_E0_NS1_11comp_targetILNS1_3genE10ELNS1_11target_archE1201ELNS1_3gpuE5ELNS1_3repE0EEENS1_38merge_mergepath_config_static_selectorELNS0_4arch9wavefront6targetE0EEEvSM_
; %bb.0:
	.section	.rodata,"a",@progbits
	.p2align	6, 0x0
	.amdhsa_kernel _ZN7rocprim17ROCPRIM_400000_NS6detail17trampoline_kernelINS0_14default_configENS1_38merge_sort_block_merge_config_selectorIlNS0_10empty_typeEEEZZNS1_27merge_sort_block_merge_implIS3_PlPS5_mZN2at6native12_GLOBAL__N_124unique_dim_cuda_templateIfEESt5tupleIJNSA_6TensorESF_SF_EERKSF_lbbbEUlllE_EE10hipError_tT0_T1_T2_jT3_P12ihipStream_tbPNSt15iterator_traitsISL_E10value_typeEPNSR_ISM_E10value_typeEPSN_NS1_7vsmem_tEENKUlT_SL_SM_SN_E_clIS8_S8_S9_S9_EESK_S10_SL_SM_SN_EUlS10_E0_NS1_11comp_targetILNS1_3genE10ELNS1_11target_archE1201ELNS1_3gpuE5ELNS1_3repE0EEENS1_38merge_mergepath_config_static_selectorELNS0_4arch9wavefront6targetE0EEEvSM_
		.amdhsa_group_segment_fixed_size 0
		.amdhsa_private_segment_fixed_size 0
		.amdhsa_kernarg_size 88
		.amdhsa_user_sgpr_count 15
		.amdhsa_user_sgpr_dispatch_ptr 0
		.amdhsa_user_sgpr_queue_ptr 0
		.amdhsa_user_sgpr_kernarg_segment_ptr 1
		.amdhsa_user_sgpr_dispatch_id 0
		.amdhsa_user_sgpr_private_segment_size 0
		.amdhsa_wavefront_size32 1
		.amdhsa_uses_dynamic_stack 0
		.amdhsa_enable_private_segment 0
		.amdhsa_system_sgpr_workgroup_id_x 1
		.amdhsa_system_sgpr_workgroup_id_y 0
		.amdhsa_system_sgpr_workgroup_id_z 0
		.amdhsa_system_sgpr_workgroup_info 0
		.amdhsa_system_vgpr_workitem_id 0
		.amdhsa_next_free_vgpr 1
		.amdhsa_next_free_sgpr 1
		.amdhsa_reserve_vcc 0
		.amdhsa_float_round_mode_32 0
		.amdhsa_float_round_mode_16_64 0
		.amdhsa_float_denorm_mode_32 3
		.amdhsa_float_denorm_mode_16_64 3
		.amdhsa_dx10_clamp 1
		.amdhsa_ieee_mode 1
		.amdhsa_fp16_overflow 0
		.amdhsa_workgroup_processor_mode 1
		.amdhsa_memory_ordered 1
		.amdhsa_forward_progress 0
		.amdhsa_shared_vgpr_count 0
		.amdhsa_exception_fp_ieee_invalid_op 0
		.amdhsa_exception_fp_denorm_src 0
		.amdhsa_exception_fp_ieee_div_zero 0
		.amdhsa_exception_fp_ieee_overflow 0
		.amdhsa_exception_fp_ieee_underflow 0
		.amdhsa_exception_fp_ieee_inexact 0
		.amdhsa_exception_int_div_zero 0
	.end_amdhsa_kernel
	.section	.text._ZN7rocprim17ROCPRIM_400000_NS6detail17trampoline_kernelINS0_14default_configENS1_38merge_sort_block_merge_config_selectorIlNS0_10empty_typeEEEZZNS1_27merge_sort_block_merge_implIS3_PlPS5_mZN2at6native12_GLOBAL__N_124unique_dim_cuda_templateIfEESt5tupleIJNSA_6TensorESF_SF_EERKSF_lbbbEUlllE_EE10hipError_tT0_T1_T2_jT3_P12ihipStream_tbPNSt15iterator_traitsISL_E10value_typeEPNSR_ISM_E10value_typeEPSN_NS1_7vsmem_tEENKUlT_SL_SM_SN_E_clIS8_S8_S9_S9_EESK_S10_SL_SM_SN_EUlS10_E0_NS1_11comp_targetILNS1_3genE10ELNS1_11target_archE1201ELNS1_3gpuE5ELNS1_3repE0EEENS1_38merge_mergepath_config_static_selectorELNS0_4arch9wavefront6targetE0EEEvSM_,"axG",@progbits,_ZN7rocprim17ROCPRIM_400000_NS6detail17trampoline_kernelINS0_14default_configENS1_38merge_sort_block_merge_config_selectorIlNS0_10empty_typeEEEZZNS1_27merge_sort_block_merge_implIS3_PlPS5_mZN2at6native12_GLOBAL__N_124unique_dim_cuda_templateIfEESt5tupleIJNSA_6TensorESF_SF_EERKSF_lbbbEUlllE_EE10hipError_tT0_T1_T2_jT3_P12ihipStream_tbPNSt15iterator_traitsISL_E10value_typeEPNSR_ISM_E10value_typeEPSN_NS1_7vsmem_tEENKUlT_SL_SM_SN_E_clIS8_S8_S9_S9_EESK_S10_SL_SM_SN_EUlS10_E0_NS1_11comp_targetILNS1_3genE10ELNS1_11target_archE1201ELNS1_3gpuE5ELNS1_3repE0EEENS1_38merge_mergepath_config_static_selectorELNS0_4arch9wavefront6targetE0EEEvSM_,comdat
.Lfunc_end889:
	.size	_ZN7rocprim17ROCPRIM_400000_NS6detail17trampoline_kernelINS0_14default_configENS1_38merge_sort_block_merge_config_selectorIlNS0_10empty_typeEEEZZNS1_27merge_sort_block_merge_implIS3_PlPS5_mZN2at6native12_GLOBAL__N_124unique_dim_cuda_templateIfEESt5tupleIJNSA_6TensorESF_SF_EERKSF_lbbbEUlllE_EE10hipError_tT0_T1_T2_jT3_P12ihipStream_tbPNSt15iterator_traitsISL_E10value_typeEPNSR_ISM_E10value_typeEPSN_NS1_7vsmem_tEENKUlT_SL_SM_SN_E_clIS8_S8_S9_S9_EESK_S10_SL_SM_SN_EUlS10_E0_NS1_11comp_targetILNS1_3genE10ELNS1_11target_archE1201ELNS1_3gpuE5ELNS1_3repE0EEENS1_38merge_mergepath_config_static_selectorELNS0_4arch9wavefront6targetE0EEEvSM_, .Lfunc_end889-_ZN7rocprim17ROCPRIM_400000_NS6detail17trampoline_kernelINS0_14default_configENS1_38merge_sort_block_merge_config_selectorIlNS0_10empty_typeEEEZZNS1_27merge_sort_block_merge_implIS3_PlPS5_mZN2at6native12_GLOBAL__N_124unique_dim_cuda_templateIfEESt5tupleIJNSA_6TensorESF_SF_EERKSF_lbbbEUlllE_EE10hipError_tT0_T1_T2_jT3_P12ihipStream_tbPNSt15iterator_traitsISL_E10value_typeEPNSR_ISM_E10value_typeEPSN_NS1_7vsmem_tEENKUlT_SL_SM_SN_E_clIS8_S8_S9_S9_EESK_S10_SL_SM_SN_EUlS10_E0_NS1_11comp_targetILNS1_3genE10ELNS1_11target_archE1201ELNS1_3gpuE5ELNS1_3repE0EEENS1_38merge_mergepath_config_static_selectorELNS0_4arch9wavefront6targetE0EEEvSM_
                                        ; -- End function
	.section	.AMDGPU.csdata,"",@progbits
; Kernel info:
; codeLenInByte = 0
; NumSgprs: 0
; NumVgprs: 0
; ScratchSize: 0
; MemoryBound: 0
; FloatMode: 240
; IeeeMode: 1
; LDSByteSize: 0 bytes/workgroup (compile time only)
; SGPRBlocks: 0
; VGPRBlocks: 0
; NumSGPRsForWavesPerEU: 1
; NumVGPRsForWavesPerEU: 1
; Occupancy: 16
; WaveLimiterHint : 0
; COMPUTE_PGM_RSRC2:SCRATCH_EN: 0
; COMPUTE_PGM_RSRC2:USER_SGPR: 15
; COMPUTE_PGM_RSRC2:TRAP_HANDLER: 0
; COMPUTE_PGM_RSRC2:TGID_X_EN: 1
; COMPUTE_PGM_RSRC2:TGID_Y_EN: 0
; COMPUTE_PGM_RSRC2:TGID_Z_EN: 0
; COMPUTE_PGM_RSRC2:TIDIG_COMP_CNT: 0
	.section	.text._ZN7rocprim17ROCPRIM_400000_NS6detail17trampoline_kernelINS0_14default_configENS1_38merge_sort_block_merge_config_selectorIlNS0_10empty_typeEEEZZNS1_27merge_sort_block_merge_implIS3_PlPS5_mZN2at6native12_GLOBAL__N_124unique_dim_cuda_templateIfEESt5tupleIJNSA_6TensorESF_SF_EERKSF_lbbbEUlllE_EE10hipError_tT0_T1_T2_jT3_P12ihipStream_tbPNSt15iterator_traitsISL_E10value_typeEPNSR_ISM_E10value_typeEPSN_NS1_7vsmem_tEENKUlT_SL_SM_SN_E_clIS8_S8_S9_S9_EESK_S10_SL_SM_SN_EUlS10_E0_NS1_11comp_targetILNS1_3genE5ELNS1_11target_archE942ELNS1_3gpuE9ELNS1_3repE0EEENS1_38merge_mergepath_config_static_selectorELNS0_4arch9wavefront6targetE0EEEvSM_,"axG",@progbits,_ZN7rocprim17ROCPRIM_400000_NS6detail17trampoline_kernelINS0_14default_configENS1_38merge_sort_block_merge_config_selectorIlNS0_10empty_typeEEEZZNS1_27merge_sort_block_merge_implIS3_PlPS5_mZN2at6native12_GLOBAL__N_124unique_dim_cuda_templateIfEESt5tupleIJNSA_6TensorESF_SF_EERKSF_lbbbEUlllE_EE10hipError_tT0_T1_T2_jT3_P12ihipStream_tbPNSt15iterator_traitsISL_E10value_typeEPNSR_ISM_E10value_typeEPSN_NS1_7vsmem_tEENKUlT_SL_SM_SN_E_clIS8_S8_S9_S9_EESK_S10_SL_SM_SN_EUlS10_E0_NS1_11comp_targetILNS1_3genE5ELNS1_11target_archE942ELNS1_3gpuE9ELNS1_3repE0EEENS1_38merge_mergepath_config_static_selectorELNS0_4arch9wavefront6targetE0EEEvSM_,comdat
	.globl	_ZN7rocprim17ROCPRIM_400000_NS6detail17trampoline_kernelINS0_14default_configENS1_38merge_sort_block_merge_config_selectorIlNS0_10empty_typeEEEZZNS1_27merge_sort_block_merge_implIS3_PlPS5_mZN2at6native12_GLOBAL__N_124unique_dim_cuda_templateIfEESt5tupleIJNSA_6TensorESF_SF_EERKSF_lbbbEUlllE_EE10hipError_tT0_T1_T2_jT3_P12ihipStream_tbPNSt15iterator_traitsISL_E10value_typeEPNSR_ISM_E10value_typeEPSN_NS1_7vsmem_tEENKUlT_SL_SM_SN_E_clIS8_S8_S9_S9_EESK_S10_SL_SM_SN_EUlS10_E0_NS1_11comp_targetILNS1_3genE5ELNS1_11target_archE942ELNS1_3gpuE9ELNS1_3repE0EEENS1_38merge_mergepath_config_static_selectorELNS0_4arch9wavefront6targetE0EEEvSM_ ; -- Begin function _ZN7rocprim17ROCPRIM_400000_NS6detail17trampoline_kernelINS0_14default_configENS1_38merge_sort_block_merge_config_selectorIlNS0_10empty_typeEEEZZNS1_27merge_sort_block_merge_implIS3_PlPS5_mZN2at6native12_GLOBAL__N_124unique_dim_cuda_templateIfEESt5tupleIJNSA_6TensorESF_SF_EERKSF_lbbbEUlllE_EE10hipError_tT0_T1_T2_jT3_P12ihipStream_tbPNSt15iterator_traitsISL_E10value_typeEPNSR_ISM_E10value_typeEPSN_NS1_7vsmem_tEENKUlT_SL_SM_SN_E_clIS8_S8_S9_S9_EESK_S10_SL_SM_SN_EUlS10_E0_NS1_11comp_targetILNS1_3genE5ELNS1_11target_archE942ELNS1_3gpuE9ELNS1_3repE0EEENS1_38merge_mergepath_config_static_selectorELNS0_4arch9wavefront6targetE0EEEvSM_
	.p2align	8
	.type	_ZN7rocprim17ROCPRIM_400000_NS6detail17trampoline_kernelINS0_14default_configENS1_38merge_sort_block_merge_config_selectorIlNS0_10empty_typeEEEZZNS1_27merge_sort_block_merge_implIS3_PlPS5_mZN2at6native12_GLOBAL__N_124unique_dim_cuda_templateIfEESt5tupleIJNSA_6TensorESF_SF_EERKSF_lbbbEUlllE_EE10hipError_tT0_T1_T2_jT3_P12ihipStream_tbPNSt15iterator_traitsISL_E10value_typeEPNSR_ISM_E10value_typeEPSN_NS1_7vsmem_tEENKUlT_SL_SM_SN_E_clIS8_S8_S9_S9_EESK_S10_SL_SM_SN_EUlS10_E0_NS1_11comp_targetILNS1_3genE5ELNS1_11target_archE942ELNS1_3gpuE9ELNS1_3repE0EEENS1_38merge_mergepath_config_static_selectorELNS0_4arch9wavefront6targetE0EEEvSM_,@function
_ZN7rocprim17ROCPRIM_400000_NS6detail17trampoline_kernelINS0_14default_configENS1_38merge_sort_block_merge_config_selectorIlNS0_10empty_typeEEEZZNS1_27merge_sort_block_merge_implIS3_PlPS5_mZN2at6native12_GLOBAL__N_124unique_dim_cuda_templateIfEESt5tupleIJNSA_6TensorESF_SF_EERKSF_lbbbEUlllE_EE10hipError_tT0_T1_T2_jT3_P12ihipStream_tbPNSt15iterator_traitsISL_E10value_typeEPNSR_ISM_E10value_typeEPSN_NS1_7vsmem_tEENKUlT_SL_SM_SN_E_clIS8_S8_S9_S9_EESK_S10_SL_SM_SN_EUlS10_E0_NS1_11comp_targetILNS1_3genE5ELNS1_11target_archE942ELNS1_3gpuE9ELNS1_3repE0EEENS1_38merge_mergepath_config_static_selectorELNS0_4arch9wavefront6targetE0EEEvSM_: ; @_ZN7rocprim17ROCPRIM_400000_NS6detail17trampoline_kernelINS0_14default_configENS1_38merge_sort_block_merge_config_selectorIlNS0_10empty_typeEEEZZNS1_27merge_sort_block_merge_implIS3_PlPS5_mZN2at6native12_GLOBAL__N_124unique_dim_cuda_templateIfEESt5tupleIJNSA_6TensorESF_SF_EERKSF_lbbbEUlllE_EE10hipError_tT0_T1_T2_jT3_P12ihipStream_tbPNSt15iterator_traitsISL_E10value_typeEPNSR_ISM_E10value_typeEPSN_NS1_7vsmem_tEENKUlT_SL_SM_SN_E_clIS8_S8_S9_S9_EESK_S10_SL_SM_SN_EUlS10_E0_NS1_11comp_targetILNS1_3genE5ELNS1_11target_archE942ELNS1_3gpuE9ELNS1_3repE0EEENS1_38merge_mergepath_config_static_selectorELNS0_4arch9wavefront6targetE0EEEvSM_
; %bb.0:
	.section	.rodata,"a",@progbits
	.p2align	6, 0x0
	.amdhsa_kernel _ZN7rocprim17ROCPRIM_400000_NS6detail17trampoline_kernelINS0_14default_configENS1_38merge_sort_block_merge_config_selectorIlNS0_10empty_typeEEEZZNS1_27merge_sort_block_merge_implIS3_PlPS5_mZN2at6native12_GLOBAL__N_124unique_dim_cuda_templateIfEESt5tupleIJNSA_6TensorESF_SF_EERKSF_lbbbEUlllE_EE10hipError_tT0_T1_T2_jT3_P12ihipStream_tbPNSt15iterator_traitsISL_E10value_typeEPNSR_ISM_E10value_typeEPSN_NS1_7vsmem_tEENKUlT_SL_SM_SN_E_clIS8_S8_S9_S9_EESK_S10_SL_SM_SN_EUlS10_E0_NS1_11comp_targetILNS1_3genE5ELNS1_11target_archE942ELNS1_3gpuE9ELNS1_3repE0EEENS1_38merge_mergepath_config_static_selectorELNS0_4arch9wavefront6targetE0EEEvSM_
		.amdhsa_group_segment_fixed_size 0
		.amdhsa_private_segment_fixed_size 0
		.amdhsa_kernarg_size 88
		.amdhsa_user_sgpr_count 15
		.amdhsa_user_sgpr_dispatch_ptr 0
		.amdhsa_user_sgpr_queue_ptr 0
		.amdhsa_user_sgpr_kernarg_segment_ptr 1
		.amdhsa_user_sgpr_dispatch_id 0
		.amdhsa_user_sgpr_private_segment_size 0
		.amdhsa_wavefront_size32 1
		.amdhsa_uses_dynamic_stack 0
		.amdhsa_enable_private_segment 0
		.amdhsa_system_sgpr_workgroup_id_x 1
		.amdhsa_system_sgpr_workgroup_id_y 0
		.amdhsa_system_sgpr_workgroup_id_z 0
		.amdhsa_system_sgpr_workgroup_info 0
		.amdhsa_system_vgpr_workitem_id 0
		.amdhsa_next_free_vgpr 1
		.amdhsa_next_free_sgpr 1
		.amdhsa_reserve_vcc 0
		.amdhsa_float_round_mode_32 0
		.amdhsa_float_round_mode_16_64 0
		.amdhsa_float_denorm_mode_32 3
		.amdhsa_float_denorm_mode_16_64 3
		.amdhsa_dx10_clamp 1
		.amdhsa_ieee_mode 1
		.amdhsa_fp16_overflow 0
		.amdhsa_workgroup_processor_mode 1
		.amdhsa_memory_ordered 1
		.amdhsa_forward_progress 0
		.amdhsa_shared_vgpr_count 0
		.amdhsa_exception_fp_ieee_invalid_op 0
		.amdhsa_exception_fp_denorm_src 0
		.amdhsa_exception_fp_ieee_div_zero 0
		.amdhsa_exception_fp_ieee_overflow 0
		.amdhsa_exception_fp_ieee_underflow 0
		.amdhsa_exception_fp_ieee_inexact 0
		.amdhsa_exception_int_div_zero 0
	.end_amdhsa_kernel
	.section	.text._ZN7rocprim17ROCPRIM_400000_NS6detail17trampoline_kernelINS0_14default_configENS1_38merge_sort_block_merge_config_selectorIlNS0_10empty_typeEEEZZNS1_27merge_sort_block_merge_implIS3_PlPS5_mZN2at6native12_GLOBAL__N_124unique_dim_cuda_templateIfEESt5tupleIJNSA_6TensorESF_SF_EERKSF_lbbbEUlllE_EE10hipError_tT0_T1_T2_jT3_P12ihipStream_tbPNSt15iterator_traitsISL_E10value_typeEPNSR_ISM_E10value_typeEPSN_NS1_7vsmem_tEENKUlT_SL_SM_SN_E_clIS8_S8_S9_S9_EESK_S10_SL_SM_SN_EUlS10_E0_NS1_11comp_targetILNS1_3genE5ELNS1_11target_archE942ELNS1_3gpuE9ELNS1_3repE0EEENS1_38merge_mergepath_config_static_selectorELNS0_4arch9wavefront6targetE0EEEvSM_,"axG",@progbits,_ZN7rocprim17ROCPRIM_400000_NS6detail17trampoline_kernelINS0_14default_configENS1_38merge_sort_block_merge_config_selectorIlNS0_10empty_typeEEEZZNS1_27merge_sort_block_merge_implIS3_PlPS5_mZN2at6native12_GLOBAL__N_124unique_dim_cuda_templateIfEESt5tupleIJNSA_6TensorESF_SF_EERKSF_lbbbEUlllE_EE10hipError_tT0_T1_T2_jT3_P12ihipStream_tbPNSt15iterator_traitsISL_E10value_typeEPNSR_ISM_E10value_typeEPSN_NS1_7vsmem_tEENKUlT_SL_SM_SN_E_clIS8_S8_S9_S9_EESK_S10_SL_SM_SN_EUlS10_E0_NS1_11comp_targetILNS1_3genE5ELNS1_11target_archE942ELNS1_3gpuE9ELNS1_3repE0EEENS1_38merge_mergepath_config_static_selectorELNS0_4arch9wavefront6targetE0EEEvSM_,comdat
.Lfunc_end890:
	.size	_ZN7rocprim17ROCPRIM_400000_NS6detail17trampoline_kernelINS0_14default_configENS1_38merge_sort_block_merge_config_selectorIlNS0_10empty_typeEEEZZNS1_27merge_sort_block_merge_implIS3_PlPS5_mZN2at6native12_GLOBAL__N_124unique_dim_cuda_templateIfEESt5tupleIJNSA_6TensorESF_SF_EERKSF_lbbbEUlllE_EE10hipError_tT0_T1_T2_jT3_P12ihipStream_tbPNSt15iterator_traitsISL_E10value_typeEPNSR_ISM_E10value_typeEPSN_NS1_7vsmem_tEENKUlT_SL_SM_SN_E_clIS8_S8_S9_S9_EESK_S10_SL_SM_SN_EUlS10_E0_NS1_11comp_targetILNS1_3genE5ELNS1_11target_archE942ELNS1_3gpuE9ELNS1_3repE0EEENS1_38merge_mergepath_config_static_selectorELNS0_4arch9wavefront6targetE0EEEvSM_, .Lfunc_end890-_ZN7rocprim17ROCPRIM_400000_NS6detail17trampoline_kernelINS0_14default_configENS1_38merge_sort_block_merge_config_selectorIlNS0_10empty_typeEEEZZNS1_27merge_sort_block_merge_implIS3_PlPS5_mZN2at6native12_GLOBAL__N_124unique_dim_cuda_templateIfEESt5tupleIJNSA_6TensorESF_SF_EERKSF_lbbbEUlllE_EE10hipError_tT0_T1_T2_jT3_P12ihipStream_tbPNSt15iterator_traitsISL_E10value_typeEPNSR_ISM_E10value_typeEPSN_NS1_7vsmem_tEENKUlT_SL_SM_SN_E_clIS8_S8_S9_S9_EESK_S10_SL_SM_SN_EUlS10_E0_NS1_11comp_targetILNS1_3genE5ELNS1_11target_archE942ELNS1_3gpuE9ELNS1_3repE0EEENS1_38merge_mergepath_config_static_selectorELNS0_4arch9wavefront6targetE0EEEvSM_
                                        ; -- End function
	.section	.AMDGPU.csdata,"",@progbits
; Kernel info:
; codeLenInByte = 0
; NumSgprs: 0
; NumVgprs: 0
; ScratchSize: 0
; MemoryBound: 0
; FloatMode: 240
; IeeeMode: 1
; LDSByteSize: 0 bytes/workgroup (compile time only)
; SGPRBlocks: 0
; VGPRBlocks: 0
; NumSGPRsForWavesPerEU: 1
; NumVGPRsForWavesPerEU: 1
; Occupancy: 16
; WaveLimiterHint : 0
; COMPUTE_PGM_RSRC2:SCRATCH_EN: 0
; COMPUTE_PGM_RSRC2:USER_SGPR: 15
; COMPUTE_PGM_RSRC2:TRAP_HANDLER: 0
; COMPUTE_PGM_RSRC2:TGID_X_EN: 1
; COMPUTE_PGM_RSRC2:TGID_Y_EN: 0
; COMPUTE_PGM_RSRC2:TGID_Z_EN: 0
; COMPUTE_PGM_RSRC2:TIDIG_COMP_CNT: 0
	.section	.text._ZN7rocprim17ROCPRIM_400000_NS6detail17trampoline_kernelINS0_14default_configENS1_38merge_sort_block_merge_config_selectorIlNS0_10empty_typeEEEZZNS1_27merge_sort_block_merge_implIS3_PlPS5_mZN2at6native12_GLOBAL__N_124unique_dim_cuda_templateIfEESt5tupleIJNSA_6TensorESF_SF_EERKSF_lbbbEUlllE_EE10hipError_tT0_T1_T2_jT3_P12ihipStream_tbPNSt15iterator_traitsISL_E10value_typeEPNSR_ISM_E10value_typeEPSN_NS1_7vsmem_tEENKUlT_SL_SM_SN_E_clIS8_S8_S9_S9_EESK_S10_SL_SM_SN_EUlS10_E0_NS1_11comp_targetILNS1_3genE4ELNS1_11target_archE910ELNS1_3gpuE8ELNS1_3repE0EEENS1_38merge_mergepath_config_static_selectorELNS0_4arch9wavefront6targetE0EEEvSM_,"axG",@progbits,_ZN7rocprim17ROCPRIM_400000_NS6detail17trampoline_kernelINS0_14default_configENS1_38merge_sort_block_merge_config_selectorIlNS0_10empty_typeEEEZZNS1_27merge_sort_block_merge_implIS3_PlPS5_mZN2at6native12_GLOBAL__N_124unique_dim_cuda_templateIfEESt5tupleIJNSA_6TensorESF_SF_EERKSF_lbbbEUlllE_EE10hipError_tT0_T1_T2_jT3_P12ihipStream_tbPNSt15iterator_traitsISL_E10value_typeEPNSR_ISM_E10value_typeEPSN_NS1_7vsmem_tEENKUlT_SL_SM_SN_E_clIS8_S8_S9_S9_EESK_S10_SL_SM_SN_EUlS10_E0_NS1_11comp_targetILNS1_3genE4ELNS1_11target_archE910ELNS1_3gpuE8ELNS1_3repE0EEENS1_38merge_mergepath_config_static_selectorELNS0_4arch9wavefront6targetE0EEEvSM_,comdat
	.globl	_ZN7rocprim17ROCPRIM_400000_NS6detail17trampoline_kernelINS0_14default_configENS1_38merge_sort_block_merge_config_selectorIlNS0_10empty_typeEEEZZNS1_27merge_sort_block_merge_implIS3_PlPS5_mZN2at6native12_GLOBAL__N_124unique_dim_cuda_templateIfEESt5tupleIJNSA_6TensorESF_SF_EERKSF_lbbbEUlllE_EE10hipError_tT0_T1_T2_jT3_P12ihipStream_tbPNSt15iterator_traitsISL_E10value_typeEPNSR_ISM_E10value_typeEPSN_NS1_7vsmem_tEENKUlT_SL_SM_SN_E_clIS8_S8_S9_S9_EESK_S10_SL_SM_SN_EUlS10_E0_NS1_11comp_targetILNS1_3genE4ELNS1_11target_archE910ELNS1_3gpuE8ELNS1_3repE0EEENS1_38merge_mergepath_config_static_selectorELNS0_4arch9wavefront6targetE0EEEvSM_ ; -- Begin function _ZN7rocprim17ROCPRIM_400000_NS6detail17trampoline_kernelINS0_14default_configENS1_38merge_sort_block_merge_config_selectorIlNS0_10empty_typeEEEZZNS1_27merge_sort_block_merge_implIS3_PlPS5_mZN2at6native12_GLOBAL__N_124unique_dim_cuda_templateIfEESt5tupleIJNSA_6TensorESF_SF_EERKSF_lbbbEUlllE_EE10hipError_tT0_T1_T2_jT3_P12ihipStream_tbPNSt15iterator_traitsISL_E10value_typeEPNSR_ISM_E10value_typeEPSN_NS1_7vsmem_tEENKUlT_SL_SM_SN_E_clIS8_S8_S9_S9_EESK_S10_SL_SM_SN_EUlS10_E0_NS1_11comp_targetILNS1_3genE4ELNS1_11target_archE910ELNS1_3gpuE8ELNS1_3repE0EEENS1_38merge_mergepath_config_static_selectorELNS0_4arch9wavefront6targetE0EEEvSM_
	.p2align	8
	.type	_ZN7rocprim17ROCPRIM_400000_NS6detail17trampoline_kernelINS0_14default_configENS1_38merge_sort_block_merge_config_selectorIlNS0_10empty_typeEEEZZNS1_27merge_sort_block_merge_implIS3_PlPS5_mZN2at6native12_GLOBAL__N_124unique_dim_cuda_templateIfEESt5tupleIJNSA_6TensorESF_SF_EERKSF_lbbbEUlllE_EE10hipError_tT0_T1_T2_jT3_P12ihipStream_tbPNSt15iterator_traitsISL_E10value_typeEPNSR_ISM_E10value_typeEPSN_NS1_7vsmem_tEENKUlT_SL_SM_SN_E_clIS8_S8_S9_S9_EESK_S10_SL_SM_SN_EUlS10_E0_NS1_11comp_targetILNS1_3genE4ELNS1_11target_archE910ELNS1_3gpuE8ELNS1_3repE0EEENS1_38merge_mergepath_config_static_selectorELNS0_4arch9wavefront6targetE0EEEvSM_,@function
_ZN7rocprim17ROCPRIM_400000_NS6detail17trampoline_kernelINS0_14default_configENS1_38merge_sort_block_merge_config_selectorIlNS0_10empty_typeEEEZZNS1_27merge_sort_block_merge_implIS3_PlPS5_mZN2at6native12_GLOBAL__N_124unique_dim_cuda_templateIfEESt5tupleIJNSA_6TensorESF_SF_EERKSF_lbbbEUlllE_EE10hipError_tT0_T1_T2_jT3_P12ihipStream_tbPNSt15iterator_traitsISL_E10value_typeEPNSR_ISM_E10value_typeEPSN_NS1_7vsmem_tEENKUlT_SL_SM_SN_E_clIS8_S8_S9_S9_EESK_S10_SL_SM_SN_EUlS10_E0_NS1_11comp_targetILNS1_3genE4ELNS1_11target_archE910ELNS1_3gpuE8ELNS1_3repE0EEENS1_38merge_mergepath_config_static_selectorELNS0_4arch9wavefront6targetE0EEEvSM_: ; @_ZN7rocprim17ROCPRIM_400000_NS6detail17trampoline_kernelINS0_14default_configENS1_38merge_sort_block_merge_config_selectorIlNS0_10empty_typeEEEZZNS1_27merge_sort_block_merge_implIS3_PlPS5_mZN2at6native12_GLOBAL__N_124unique_dim_cuda_templateIfEESt5tupleIJNSA_6TensorESF_SF_EERKSF_lbbbEUlllE_EE10hipError_tT0_T1_T2_jT3_P12ihipStream_tbPNSt15iterator_traitsISL_E10value_typeEPNSR_ISM_E10value_typeEPSN_NS1_7vsmem_tEENKUlT_SL_SM_SN_E_clIS8_S8_S9_S9_EESK_S10_SL_SM_SN_EUlS10_E0_NS1_11comp_targetILNS1_3genE4ELNS1_11target_archE910ELNS1_3gpuE8ELNS1_3repE0EEENS1_38merge_mergepath_config_static_selectorELNS0_4arch9wavefront6targetE0EEEvSM_
; %bb.0:
	.section	.rodata,"a",@progbits
	.p2align	6, 0x0
	.amdhsa_kernel _ZN7rocprim17ROCPRIM_400000_NS6detail17trampoline_kernelINS0_14default_configENS1_38merge_sort_block_merge_config_selectorIlNS0_10empty_typeEEEZZNS1_27merge_sort_block_merge_implIS3_PlPS5_mZN2at6native12_GLOBAL__N_124unique_dim_cuda_templateIfEESt5tupleIJNSA_6TensorESF_SF_EERKSF_lbbbEUlllE_EE10hipError_tT0_T1_T2_jT3_P12ihipStream_tbPNSt15iterator_traitsISL_E10value_typeEPNSR_ISM_E10value_typeEPSN_NS1_7vsmem_tEENKUlT_SL_SM_SN_E_clIS8_S8_S9_S9_EESK_S10_SL_SM_SN_EUlS10_E0_NS1_11comp_targetILNS1_3genE4ELNS1_11target_archE910ELNS1_3gpuE8ELNS1_3repE0EEENS1_38merge_mergepath_config_static_selectorELNS0_4arch9wavefront6targetE0EEEvSM_
		.amdhsa_group_segment_fixed_size 0
		.amdhsa_private_segment_fixed_size 0
		.amdhsa_kernarg_size 88
		.amdhsa_user_sgpr_count 15
		.amdhsa_user_sgpr_dispatch_ptr 0
		.amdhsa_user_sgpr_queue_ptr 0
		.amdhsa_user_sgpr_kernarg_segment_ptr 1
		.amdhsa_user_sgpr_dispatch_id 0
		.amdhsa_user_sgpr_private_segment_size 0
		.amdhsa_wavefront_size32 1
		.amdhsa_uses_dynamic_stack 0
		.amdhsa_enable_private_segment 0
		.amdhsa_system_sgpr_workgroup_id_x 1
		.amdhsa_system_sgpr_workgroup_id_y 0
		.amdhsa_system_sgpr_workgroup_id_z 0
		.amdhsa_system_sgpr_workgroup_info 0
		.amdhsa_system_vgpr_workitem_id 0
		.amdhsa_next_free_vgpr 1
		.amdhsa_next_free_sgpr 1
		.amdhsa_reserve_vcc 0
		.amdhsa_float_round_mode_32 0
		.amdhsa_float_round_mode_16_64 0
		.amdhsa_float_denorm_mode_32 3
		.amdhsa_float_denorm_mode_16_64 3
		.amdhsa_dx10_clamp 1
		.amdhsa_ieee_mode 1
		.amdhsa_fp16_overflow 0
		.amdhsa_workgroup_processor_mode 1
		.amdhsa_memory_ordered 1
		.amdhsa_forward_progress 0
		.amdhsa_shared_vgpr_count 0
		.amdhsa_exception_fp_ieee_invalid_op 0
		.amdhsa_exception_fp_denorm_src 0
		.amdhsa_exception_fp_ieee_div_zero 0
		.amdhsa_exception_fp_ieee_overflow 0
		.amdhsa_exception_fp_ieee_underflow 0
		.amdhsa_exception_fp_ieee_inexact 0
		.amdhsa_exception_int_div_zero 0
	.end_amdhsa_kernel
	.section	.text._ZN7rocprim17ROCPRIM_400000_NS6detail17trampoline_kernelINS0_14default_configENS1_38merge_sort_block_merge_config_selectorIlNS0_10empty_typeEEEZZNS1_27merge_sort_block_merge_implIS3_PlPS5_mZN2at6native12_GLOBAL__N_124unique_dim_cuda_templateIfEESt5tupleIJNSA_6TensorESF_SF_EERKSF_lbbbEUlllE_EE10hipError_tT0_T1_T2_jT3_P12ihipStream_tbPNSt15iterator_traitsISL_E10value_typeEPNSR_ISM_E10value_typeEPSN_NS1_7vsmem_tEENKUlT_SL_SM_SN_E_clIS8_S8_S9_S9_EESK_S10_SL_SM_SN_EUlS10_E0_NS1_11comp_targetILNS1_3genE4ELNS1_11target_archE910ELNS1_3gpuE8ELNS1_3repE0EEENS1_38merge_mergepath_config_static_selectorELNS0_4arch9wavefront6targetE0EEEvSM_,"axG",@progbits,_ZN7rocprim17ROCPRIM_400000_NS6detail17trampoline_kernelINS0_14default_configENS1_38merge_sort_block_merge_config_selectorIlNS0_10empty_typeEEEZZNS1_27merge_sort_block_merge_implIS3_PlPS5_mZN2at6native12_GLOBAL__N_124unique_dim_cuda_templateIfEESt5tupleIJNSA_6TensorESF_SF_EERKSF_lbbbEUlllE_EE10hipError_tT0_T1_T2_jT3_P12ihipStream_tbPNSt15iterator_traitsISL_E10value_typeEPNSR_ISM_E10value_typeEPSN_NS1_7vsmem_tEENKUlT_SL_SM_SN_E_clIS8_S8_S9_S9_EESK_S10_SL_SM_SN_EUlS10_E0_NS1_11comp_targetILNS1_3genE4ELNS1_11target_archE910ELNS1_3gpuE8ELNS1_3repE0EEENS1_38merge_mergepath_config_static_selectorELNS0_4arch9wavefront6targetE0EEEvSM_,comdat
.Lfunc_end891:
	.size	_ZN7rocprim17ROCPRIM_400000_NS6detail17trampoline_kernelINS0_14default_configENS1_38merge_sort_block_merge_config_selectorIlNS0_10empty_typeEEEZZNS1_27merge_sort_block_merge_implIS3_PlPS5_mZN2at6native12_GLOBAL__N_124unique_dim_cuda_templateIfEESt5tupleIJNSA_6TensorESF_SF_EERKSF_lbbbEUlllE_EE10hipError_tT0_T1_T2_jT3_P12ihipStream_tbPNSt15iterator_traitsISL_E10value_typeEPNSR_ISM_E10value_typeEPSN_NS1_7vsmem_tEENKUlT_SL_SM_SN_E_clIS8_S8_S9_S9_EESK_S10_SL_SM_SN_EUlS10_E0_NS1_11comp_targetILNS1_3genE4ELNS1_11target_archE910ELNS1_3gpuE8ELNS1_3repE0EEENS1_38merge_mergepath_config_static_selectorELNS0_4arch9wavefront6targetE0EEEvSM_, .Lfunc_end891-_ZN7rocprim17ROCPRIM_400000_NS6detail17trampoline_kernelINS0_14default_configENS1_38merge_sort_block_merge_config_selectorIlNS0_10empty_typeEEEZZNS1_27merge_sort_block_merge_implIS3_PlPS5_mZN2at6native12_GLOBAL__N_124unique_dim_cuda_templateIfEESt5tupleIJNSA_6TensorESF_SF_EERKSF_lbbbEUlllE_EE10hipError_tT0_T1_T2_jT3_P12ihipStream_tbPNSt15iterator_traitsISL_E10value_typeEPNSR_ISM_E10value_typeEPSN_NS1_7vsmem_tEENKUlT_SL_SM_SN_E_clIS8_S8_S9_S9_EESK_S10_SL_SM_SN_EUlS10_E0_NS1_11comp_targetILNS1_3genE4ELNS1_11target_archE910ELNS1_3gpuE8ELNS1_3repE0EEENS1_38merge_mergepath_config_static_selectorELNS0_4arch9wavefront6targetE0EEEvSM_
                                        ; -- End function
	.section	.AMDGPU.csdata,"",@progbits
; Kernel info:
; codeLenInByte = 0
; NumSgprs: 0
; NumVgprs: 0
; ScratchSize: 0
; MemoryBound: 0
; FloatMode: 240
; IeeeMode: 1
; LDSByteSize: 0 bytes/workgroup (compile time only)
; SGPRBlocks: 0
; VGPRBlocks: 0
; NumSGPRsForWavesPerEU: 1
; NumVGPRsForWavesPerEU: 1
; Occupancy: 16
; WaveLimiterHint : 0
; COMPUTE_PGM_RSRC2:SCRATCH_EN: 0
; COMPUTE_PGM_RSRC2:USER_SGPR: 15
; COMPUTE_PGM_RSRC2:TRAP_HANDLER: 0
; COMPUTE_PGM_RSRC2:TGID_X_EN: 1
; COMPUTE_PGM_RSRC2:TGID_Y_EN: 0
; COMPUTE_PGM_RSRC2:TGID_Z_EN: 0
; COMPUTE_PGM_RSRC2:TIDIG_COMP_CNT: 0
	.section	.text._ZN7rocprim17ROCPRIM_400000_NS6detail17trampoline_kernelINS0_14default_configENS1_38merge_sort_block_merge_config_selectorIlNS0_10empty_typeEEEZZNS1_27merge_sort_block_merge_implIS3_PlPS5_mZN2at6native12_GLOBAL__N_124unique_dim_cuda_templateIfEESt5tupleIJNSA_6TensorESF_SF_EERKSF_lbbbEUlllE_EE10hipError_tT0_T1_T2_jT3_P12ihipStream_tbPNSt15iterator_traitsISL_E10value_typeEPNSR_ISM_E10value_typeEPSN_NS1_7vsmem_tEENKUlT_SL_SM_SN_E_clIS8_S8_S9_S9_EESK_S10_SL_SM_SN_EUlS10_E0_NS1_11comp_targetILNS1_3genE3ELNS1_11target_archE908ELNS1_3gpuE7ELNS1_3repE0EEENS1_38merge_mergepath_config_static_selectorELNS0_4arch9wavefront6targetE0EEEvSM_,"axG",@progbits,_ZN7rocprim17ROCPRIM_400000_NS6detail17trampoline_kernelINS0_14default_configENS1_38merge_sort_block_merge_config_selectorIlNS0_10empty_typeEEEZZNS1_27merge_sort_block_merge_implIS3_PlPS5_mZN2at6native12_GLOBAL__N_124unique_dim_cuda_templateIfEESt5tupleIJNSA_6TensorESF_SF_EERKSF_lbbbEUlllE_EE10hipError_tT0_T1_T2_jT3_P12ihipStream_tbPNSt15iterator_traitsISL_E10value_typeEPNSR_ISM_E10value_typeEPSN_NS1_7vsmem_tEENKUlT_SL_SM_SN_E_clIS8_S8_S9_S9_EESK_S10_SL_SM_SN_EUlS10_E0_NS1_11comp_targetILNS1_3genE3ELNS1_11target_archE908ELNS1_3gpuE7ELNS1_3repE0EEENS1_38merge_mergepath_config_static_selectorELNS0_4arch9wavefront6targetE0EEEvSM_,comdat
	.globl	_ZN7rocprim17ROCPRIM_400000_NS6detail17trampoline_kernelINS0_14default_configENS1_38merge_sort_block_merge_config_selectorIlNS0_10empty_typeEEEZZNS1_27merge_sort_block_merge_implIS3_PlPS5_mZN2at6native12_GLOBAL__N_124unique_dim_cuda_templateIfEESt5tupleIJNSA_6TensorESF_SF_EERKSF_lbbbEUlllE_EE10hipError_tT0_T1_T2_jT3_P12ihipStream_tbPNSt15iterator_traitsISL_E10value_typeEPNSR_ISM_E10value_typeEPSN_NS1_7vsmem_tEENKUlT_SL_SM_SN_E_clIS8_S8_S9_S9_EESK_S10_SL_SM_SN_EUlS10_E0_NS1_11comp_targetILNS1_3genE3ELNS1_11target_archE908ELNS1_3gpuE7ELNS1_3repE0EEENS1_38merge_mergepath_config_static_selectorELNS0_4arch9wavefront6targetE0EEEvSM_ ; -- Begin function _ZN7rocprim17ROCPRIM_400000_NS6detail17trampoline_kernelINS0_14default_configENS1_38merge_sort_block_merge_config_selectorIlNS0_10empty_typeEEEZZNS1_27merge_sort_block_merge_implIS3_PlPS5_mZN2at6native12_GLOBAL__N_124unique_dim_cuda_templateIfEESt5tupleIJNSA_6TensorESF_SF_EERKSF_lbbbEUlllE_EE10hipError_tT0_T1_T2_jT3_P12ihipStream_tbPNSt15iterator_traitsISL_E10value_typeEPNSR_ISM_E10value_typeEPSN_NS1_7vsmem_tEENKUlT_SL_SM_SN_E_clIS8_S8_S9_S9_EESK_S10_SL_SM_SN_EUlS10_E0_NS1_11comp_targetILNS1_3genE3ELNS1_11target_archE908ELNS1_3gpuE7ELNS1_3repE0EEENS1_38merge_mergepath_config_static_selectorELNS0_4arch9wavefront6targetE0EEEvSM_
	.p2align	8
	.type	_ZN7rocprim17ROCPRIM_400000_NS6detail17trampoline_kernelINS0_14default_configENS1_38merge_sort_block_merge_config_selectorIlNS0_10empty_typeEEEZZNS1_27merge_sort_block_merge_implIS3_PlPS5_mZN2at6native12_GLOBAL__N_124unique_dim_cuda_templateIfEESt5tupleIJNSA_6TensorESF_SF_EERKSF_lbbbEUlllE_EE10hipError_tT0_T1_T2_jT3_P12ihipStream_tbPNSt15iterator_traitsISL_E10value_typeEPNSR_ISM_E10value_typeEPSN_NS1_7vsmem_tEENKUlT_SL_SM_SN_E_clIS8_S8_S9_S9_EESK_S10_SL_SM_SN_EUlS10_E0_NS1_11comp_targetILNS1_3genE3ELNS1_11target_archE908ELNS1_3gpuE7ELNS1_3repE0EEENS1_38merge_mergepath_config_static_selectorELNS0_4arch9wavefront6targetE0EEEvSM_,@function
_ZN7rocprim17ROCPRIM_400000_NS6detail17trampoline_kernelINS0_14default_configENS1_38merge_sort_block_merge_config_selectorIlNS0_10empty_typeEEEZZNS1_27merge_sort_block_merge_implIS3_PlPS5_mZN2at6native12_GLOBAL__N_124unique_dim_cuda_templateIfEESt5tupleIJNSA_6TensorESF_SF_EERKSF_lbbbEUlllE_EE10hipError_tT0_T1_T2_jT3_P12ihipStream_tbPNSt15iterator_traitsISL_E10value_typeEPNSR_ISM_E10value_typeEPSN_NS1_7vsmem_tEENKUlT_SL_SM_SN_E_clIS8_S8_S9_S9_EESK_S10_SL_SM_SN_EUlS10_E0_NS1_11comp_targetILNS1_3genE3ELNS1_11target_archE908ELNS1_3gpuE7ELNS1_3repE0EEENS1_38merge_mergepath_config_static_selectorELNS0_4arch9wavefront6targetE0EEEvSM_: ; @_ZN7rocprim17ROCPRIM_400000_NS6detail17trampoline_kernelINS0_14default_configENS1_38merge_sort_block_merge_config_selectorIlNS0_10empty_typeEEEZZNS1_27merge_sort_block_merge_implIS3_PlPS5_mZN2at6native12_GLOBAL__N_124unique_dim_cuda_templateIfEESt5tupleIJNSA_6TensorESF_SF_EERKSF_lbbbEUlllE_EE10hipError_tT0_T1_T2_jT3_P12ihipStream_tbPNSt15iterator_traitsISL_E10value_typeEPNSR_ISM_E10value_typeEPSN_NS1_7vsmem_tEENKUlT_SL_SM_SN_E_clIS8_S8_S9_S9_EESK_S10_SL_SM_SN_EUlS10_E0_NS1_11comp_targetILNS1_3genE3ELNS1_11target_archE908ELNS1_3gpuE7ELNS1_3repE0EEENS1_38merge_mergepath_config_static_selectorELNS0_4arch9wavefront6targetE0EEEvSM_
; %bb.0:
	.section	.rodata,"a",@progbits
	.p2align	6, 0x0
	.amdhsa_kernel _ZN7rocprim17ROCPRIM_400000_NS6detail17trampoline_kernelINS0_14default_configENS1_38merge_sort_block_merge_config_selectorIlNS0_10empty_typeEEEZZNS1_27merge_sort_block_merge_implIS3_PlPS5_mZN2at6native12_GLOBAL__N_124unique_dim_cuda_templateIfEESt5tupleIJNSA_6TensorESF_SF_EERKSF_lbbbEUlllE_EE10hipError_tT0_T1_T2_jT3_P12ihipStream_tbPNSt15iterator_traitsISL_E10value_typeEPNSR_ISM_E10value_typeEPSN_NS1_7vsmem_tEENKUlT_SL_SM_SN_E_clIS8_S8_S9_S9_EESK_S10_SL_SM_SN_EUlS10_E0_NS1_11comp_targetILNS1_3genE3ELNS1_11target_archE908ELNS1_3gpuE7ELNS1_3repE0EEENS1_38merge_mergepath_config_static_selectorELNS0_4arch9wavefront6targetE0EEEvSM_
		.amdhsa_group_segment_fixed_size 0
		.amdhsa_private_segment_fixed_size 0
		.amdhsa_kernarg_size 88
		.amdhsa_user_sgpr_count 15
		.amdhsa_user_sgpr_dispatch_ptr 0
		.amdhsa_user_sgpr_queue_ptr 0
		.amdhsa_user_sgpr_kernarg_segment_ptr 1
		.amdhsa_user_sgpr_dispatch_id 0
		.amdhsa_user_sgpr_private_segment_size 0
		.amdhsa_wavefront_size32 1
		.amdhsa_uses_dynamic_stack 0
		.amdhsa_enable_private_segment 0
		.amdhsa_system_sgpr_workgroup_id_x 1
		.amdhsa_system_sgpr_workgroup_id_y 0
		.amdhsa_system_sgpr_workgroup_id_z 0
		.amdhsa_system_sgpr_workgroup_info 0
		.amdhsa_system_vgpr_workitem_id 0
		.amdhsa_next_free_vgpr 1
		.amdhsa_next_free_sgpr 1
		.amdhsa_reserve_vcc 0
		.amdhsa_float_round_mode_32 0
		.amdhsa_float_round_mode_16_64 0
		.amdhsa_float_denorm_mode_32 3
		.amdhsa_float_denorm_mode_16_64 3
		.amdhsa_dx10_clamp 1
		.amdhsa_ieee_mode 1
		.amdhsa_fp16_overflow 0
		.amdhsa_workgroup_processor_mode 1
		.amdhsa_memory_ordered 1
		.amdhsa_forward_progress 0
		.amdhsa_shared_vgpr_count 0
		.amdhsa_exception_fp_ieee_invalid_op 0
		.amdhsa_exception_fp_denorm_src 0
		.amdhsa_exception_fp_ieee_div_zero 0
		.amdhsa_exception_fp_ieee_overflow 0
		.amdhsa_exception_fp_ieee_underflow 0
		.amdhsa_exception_fp_ieee_inexact 0
		.amdhsa_exception_int_div_zero 0
	.end_amdhsa_kernel
	.section	.text._ZN7rocprim17ROCPRIM_400000_NS6detail17trampoline_kernelINS0_14default_configENS1_38merge_sort_block_merge_config_selectorIlNS0_10empty_typeEEEZZNS1_27merge_sort_block_merge_implIS3_PlPS5_mZN2at6native12_GLOBAL__N_124unique_dim_cuda_templateIfEESt5tupleIJNSA_6TensorESF_SF_EERKSF_lbbbEUlllE_EE10hipError_tT0_T1_T2_jT3_P12ihipStream_tbPNSt15iterator_traitsISL_E10value_typeEPNSR_ISM_E10value_typeEPSN_NS1_7vsmem_tEENKUlT_SL_SM_SN_E_clIS8_S8_S9_S9_EESK_S10_SL_SM_SN_EUlS10_E0_NS1_11comp_targetILNS1_3genE3ELNS1_11target_archE908ELNS1_3gpuE7ELNS1_3repE0EEENS1_38merge_mergepath_config_static_selectorELNS0_4arch9wavefront6targetE0EEEvSM_,"axG",@progbits,_ZN7rocprim17ROCPRIM_400000_NS6detail17trampoline_kernelINS0_14default_configENS1_38merge_sort_block_merge_config_selectorIlNS0_10empty_typeEEEZZNS1_27merge_sort_block_merge_implIS3_PlPS5_mZN2at6native12_GLOBAL__N_124unique_dim_cuda_templateIfEESt5tupleIJNSA_6TensorESF_SF_EERKSF_lbbbEUlllE_EE10hipError_tT0_T1_T2_jT3_P12ihipStream_tbPNSt15iterator_traitsISL_E10value_typeEPNSR_ISM_E10value_typeEPSN_NS1_7vsmem_tEENKUlT_SL_SM_SN_E_clIS8_S8_S9_S9_EESK_S10_SL_SM_SN_EUlS10_E0_NS1_11comp_targetILNS1_3genE3ELNS1_11target_archE908ELNS1_3gpuE7ELNS1_3repE0EEENS1_38merge_mergepath_config_static_selectorELNS0_4arch9wavefront6targetE0EEEvSM_,comdat
.Lfunc_end892:
	.size	_ZN7rocprim17ROCPRIM_400000_NS6detail17trampoline_kernelINS0_14default_configENS1_38merge_sort_block_merge_config_selectorIlNS0_10empty_typeEEEZZNS1_27merge_sort_block_merge_implIS3_PlPS5_mZN2at6native12_GLOBAL__N_124unique_dim_cuda_templateIfEESt5tupleIJNSA_6TensorESF_SF_EERKSF_lbbbEUlllE_EE10hipError_tT0_T1_T2_jT3_P12ihipStream_tbPNSt15iterator_traitsISL_E10value_typeEPNSR_ISM_E10value_typeEPSN_NS1_7vsmem_tEENKUlT_SL_SM_SN_E_clIS8_S8_S9_S9_EESK_S10_SL_SM_SN_EUlS10_E0_NS1_11comp_targetILNS1_3genE3ELNS1_11target_archE908ELNS1_3gpuE7ELNS1_3repE0EEENS1_38merge_mergepath_config_static_selectorELNS0_4arch9wavefront6targetE0EEEvSM_, .Lfunc_end892-_ZN7rocprim17ROCPRIM_400000_NS6detail17trampoline_kernelINS0_14default_configENS1_38merge_sort_block_merge_config_selectorIlNS0_10empty_typeEEEZZNS1_27merge_sort_block_merge_implIS3_PlPS5_mZN2at6native12_GLOBAL__N_124unique_dim_cuda_templateIfEESt5tupleIJNSA_6TensorESF_SF_EERKSF_lbbbEUlllE_EE10hipError_tT0_T1_T2_jT3_P12ihipStream_tbPNSt15iterator_traitsISL_E10value_typeEPNSR_ISM_E10value_typeEPSN_NS1_7vsmem_tEENKUlT_SL_SM_SN_E_clIS8_S8_S9_S9_EESK_S10_SL_SM_SN_EUlS10_E0_NS1_11comp_targetILNS1_3genE3ELNS1_11target_archE908ELNS1_3gpuE7ELNS1_3repE0EEENS1_38merge_mergepath_config_static_selectorELNS0_4arch9wavefront6targetE0EEEvSM_
                                        ; -- End function
	.section	.AMDGPU.csdata,"",@progbits
; Kernel info:
; codeLenInByte = 0
; NumSgprs: 0
; NumVgprs: 0
; ScratchSize: 0
; MemoryBound: 0
; FloatMode: 240
; IeeeMode: 1
; LDSByteSize: 0 bytes/workgroup (compile time only)
; SGPRBlocks: 0
; VGPRBlocks: 0
; NumSGPRsForWavesPerEU: 1
; NumVGPRsForWavesPerEU: 1
; Occupancy: 16
; WaveLimiterHint : 0
; COMPUTE_PGM_RSRC2:SCRATCH_EN: 0
; COMPUTE_PGM_RSRC2:USER_SGPR: 15
; COMPUTE_PGM_RSRC2:TRAP_HANDLER: 0
; COMPUTE_PGM_RSRC2:TGID_X_EN: 1
; COMPUTE_PGM_RSRC2:TGID_Y_EN: 0
; COMPUTE_PGM_RSRC2:TGID_Z_EN: 0
; COMPUTE_PGM_RSRC2:TIDIG_COMP_CNT: 0
	.section	.text._ZN7rocprim17ROCPRIM_400000_NS6detail17trampoline_kernelINS0_14default_configENS1_38merge_sort_block_merge_config_selectorIlNS0_10empty_typeEEEZZNS1_27merge_sort_block_merge_implIS3_PlPS5_mZN2at6native12_GLOBAL__N_124unique_dim_cuda_templateIfEESt5tupleIJNSA_6TensorESF_SF_EERKSF_lbbbEUlllE_EE10hipError_tT0_T1_T2_jT3_P12ihipStream_tbPNSt15iterator_traitsISL_E10value_typeEPNSR_ISM_E10value_typeEPSN_NS1_7vsmem_tEENKUlT_SL_SM_SN_E_clIS8_S8_S9_S9_EESK_S10_SL_SM_SN_EUlS10_E0_NS1_11comp_targetILNS1_3genE2ELNS1_11target_archE906ELNS1_3gpuE6ELNS1_3repE0EEENS1_38merge_mergepath_config_static_selectorELNS0_4arch9wavefront6targetE0EEEvSM_,"axG",@progbits,_ZN7rocprim17ROCPRIM_400000_NS6detail17trampoline_kernelINS0_14default_configENS1_38merge_sort_block_merge_config_selectorIlNS0_10empty_typeEEEZZNS1_27merge_sort_block_merge_implIS3_PlPS5_mZN2at6native12_GLOBAL__N_124unique_dim_cuda_templateIfEESt5tupleIJNSA_6TensorESF_SF_EERKSF_lbbbEUlllE_EE10hipError_tT0_T1_T2_jT3_P12ihipStream_tbPNSt15iterator_traitsISL_E10value_typeEPNSR_ISM_E10value_typeEPSN_NS1_7vsmem_tEENKUlT_SL_SM_SN_E_clIS8_S8_S9_S9_EESK_S10_SL_SM_SN_EUlS10_E0_NS1_11comp_targetILNS1_3genE2ELNS1_11target_archE906ELNS1_3gpuE6ELNS1_3repE0EEENS1_38merge_mergepath_config_static_selectorELNS0_4arch9wavefront6targetE0EEEvSM_,comdat
	.globl	_ZN7rocprim17ROCPRIM_400000_NS6detail17trampoline_kernelINS0_14default_configENS1_38merge_sort_block_merge_config_selectorIlNS0_10empty_typeEEEZZNS1_27merge_sort_block_merge_implIS3_PlPS5_mZN2at6native12_GLOBAL__N_124unique_dim_cuda_templateIfEESt5tupleIJNSA_6TensorESF_SF_EERKSF_lbbbEUlllE_EE10hipError_tT0_T1_T2_jT3_P12ihipStream_tbPNSt15iterator_traitsISL_E10value_typeEPNSR_ISM_E10value_typeEPSN_NS1_7vsmem_tEENKUlT_SL_SM_SN_E_clIS8_S8_S9_S9_EESK_S10_SL_SM_SN_EUlS10_E0_NS1_11comp_targetILNS1_3genE2ELNS1_11target_archE906ELNS1_3gpuE6ELNS1_3repE0EEENS1_38merge_mergepath_config_static_selectorELNS0_4arch9wavefront6targetE0EEEvSM_ ; -- Begin function _ZN7rocprim17ROCPRIM_400000_NS6detail17trampoline_kernelINS0_14default_configENS1_38merge_sort_block_merge_config_selectorIlNS0_10empty_typeEEEZZNS1_27merge_sort_block_merge_implIS3_PlPS5_mZN2at6native12_GLOBAL__N_124unique_dim_cuda_templateIfEESt5tupleIJNSA_6TensorESF_SF_EERKSF_lbbbEUlllE_EE10hipError_tT0_T1_T2_jT3_P12ihipStream_tbPNSt15iterator_traitsISL_E10value_typeEPNSR_ISM_E10value_typeEPSN_NS1_7vsmem_tEENKUlT_SL_SM_SN_E_clIS8_S8_S9_S9_EESK_S10_SL_SM_SN_EUlS10_E0_NS1_11comp_targetILNS1_3genE2ELNS1_11target_archE906ELNS1_3gpuE6ELNS1_3repE0EEENS1_38merge_mergepath_config_static_selectorELNS0_4arch9wavefront6targetE0EEEvSM_
	.p2align	8
	.type	_ZN7rocprim17ROCPRIM_400000_NS6detail17trampoline_kernelINS0_14default_configENS1_38merge_sort_block_merge_config_selectorIlNS0_10empty_typeEEEZZNS1_27merge_sort_block_merge_implIS3_PlPS5_mZN2at6native12_GLOBAL__N_124unique_dim_cuda_templateIfEESt5tupleIJNSA_6TensorESF_SF_EERKSF_lbbbEUlllE_EE10hipError_tT0_T1_T2_jT3_P12ihipStream_tbPNSt15iterator_traitsISL_E10value_typeEPNSR_ISM_E10value_typeEPSN_NS1_7vsmem_tEENKUlT_SL_SM_SN_E_clIS8_S8_S9_S9_EESK_S10_SL_SM_SN_EUlS10_E0_NS1_11comp_targetILNS1_3genE2ELNS1_11target_archE906ELNS1_3gpuE6ELNS1_3repE0EEENS1_38merge_mergepath_config_static_selectorELNS0_4arch9wavefront6targetE0EEEvSM_,@function
_ZN7rocprim17ROCPRIM_400000_NS6detail17trampoline_kernelINS0_14default_configENS1_38merge_sort_block_merge_config_selectorIlNS0_10empty_typeEEEZZNS1_27merge_sort_block_merge_implIS3_PlPS5_mZN2at6native12_GLOBAL__N_124unique_dim_cuda_templateIfEESt5tupleIJNSA_6TensorESF_SF_EERKSF_lbbbEUlllE_EE10hipError_tT0_T1_T2_jT3_P12ihipStream_tbPNSt15iterator_traitsISL_E10value_typeEPNSR_ISM_E10value_typeEPSN_NS1_7vsmem_tEENKUlT_SL_SM_SN_E_clIS8_S8_S9_S9_EESK_S10_SL_SM_SN_EUlS10_E0_NS1_11comp_targetILNS1_3genE2ELNS1_11target_archE906ELNS1_3gpuE6ELNS1_3repE0EEENS1_38merge_mergepath_config_static_selectorELNS0_4arch9wavefront6targetE0EEEvSM_: ; @_ZN7rocprim17ROCPRIM_400000_NS6detail17trampoline_kernelINS0_14default_configENS1_38merge_sort_block_merge_config_selectorIlNS0_10empty_typeEEEZZNS1_27merge_sort_block_merge_implIS3_PlPS5_mZN2at6native12_GLOBAL__N_124unique_dim_cuda_templateIfEESt5tupleIJNSA_6TensorESF_SF_EERKSF_lbbbEUlllE_EE10hipError_tT0_T1_T2_jT3_P12ihipStream_tbPNSt15iterator_traitsISL_E10value_typeEPNSR_ISM_E10value_typeEPSN_NS1_7vsmem_tEENKUlT_SL_SM_SN_E_clIS8_S8_S9_S9_EESK_S10_SL_SM_SN_EUlS10_E0_NS1_11comp_targetILNS1_3genE2ELNS1_11target_archE906ELNS1_3gpuE6ELNS1_3repE0EEENS1_38merge_mergepath_config_static_selectorELNS0_4arch9wavefront6targetE0EEEvSM_
; %bb.0:
	.section	.rodata,"a",@progbits
	.p2align	6, 0x0
	.amdhsa_kernel _ZN7rocprim17ROCPRIM_400000_NS6detail17trampoline_kernelINS0_14default_configENS1_38merge_sort_block_merge_config_selectorIlNS0_10empty_typeEEEZZNS1_27merge_sort_block_merge_implIS3_PlPS5_mZN2at6native12_GLOBAL__N_124unique_dim_cuda_templateIfEESt5tupleIJNSA_6TensorESF_SF_EERKSF_lbbbEUlllE_EE10hipError_tT0_T1_T2_jT3_P12ihipStream_tbPNSt15iterator_traitsISL_E10value_typeEPNSR_ISM_E10value_typeEPSN_NS1_7vsmem_tEENKUlT_SL_SM_SN_E_clIS8_S8_S9_S9_EESK_S10_SL_SM_SN_EUlS10_E0_NS1_11comp_targetILNS1_3genE2ELNS1_11target_archE906ELNS1_3gpuE6ELNS1_3repE0EEENS1_38merge_mergepath_config_static_selectorELNS0_4arch9wavefront6targetE0EEEvSM_
		.amdhsa_group_segment_fixed_size 0
		.amdhsa_private_segment_fixed_size 0
		.amdhsa_kernarg_size 88
		.amdhsa_user_sgpr_count 15
		.amdhsa_user_sgpr_dispatch_ptr 0
		.amdhsa_user_sgpr_queue_ptr 0
		.amdhsa_user_sgpr_kernarg_segment_ptr 1
		.amdhsa_user_sgpr_dispatch_id 0
		.amdhsa_user_sgpr_private_segment_size 0
		.amdhsa_wavefront_size32 1
		.amdhsa_uses_dynamic_stack 0
		.amdhsa_enable_private_segment 0
		.amdhsa_system_sgpr_workgroup_id_x 1
		.amdhsa_system_sgpr_workgroup_id_y 0
		.amdhsa_system_sgpr_workgroup_id_z 0
		.amdhsa_system_sgpr_workgroup_info 0
		.amdhsa_system_vgpr_workitem_id 0
		.amdhsa_next_free_vgpr 1
		.amdhsa_next_free_sgpr 1
		.amdhsa_reserve_vcc 0
		.amdhsa_float_round_mode_32 0
		.amdhsa_float_round_mode_16_64 0
		.amdhsa_float_denorm_mode_32 3
		.amdhsa_float_denorm_mode_16_64 3
		.amdhsa_dx10_clamp 1
		.amdhsa_ieee_mode 1
		.amdhsa_fp16_overflow 0
		.amdhsa_workgroup_processor_mode 1
		.amdhsa_memory_ordered 1
		.amdhsa_forward_progress 0
		.amdhsa_shared_vgpr_count 0
		.amdhsa_exception_fp_ieee_invalid_op 0
		.amdhsa_exception_fp_denorm_src 0
		.amdhsa_exception_fp_ieee_div_zero 0
		.amdhsa_exception_fp_ieee_overflow 0
		.amdhsa_exception_fp_ieee_underflow 0
		.amdhsa_exception_fp_ieee_inexact 0
		.amdhsa_exception_int_div_zero 0
	.end_amdhsa_kernel
	.section	.text._ZN7rocprim17ROCPRIM_400000_NS6detail17trampoline_kernelINS0_14default_configENS1_38merge_sort_block_merge_config_selectorIlNS0_10empty_typeEEEZZNS1_27merge_sort_block_merge_implIS3_PlPS5_mZN2at6native12_GLOBAL__N_124unique_dim_cuda_templateIfEESt5tupleIJNSA_6TensorESF_SF_EERKSF_lbbbEUlllE_EE10hipError_tT0_T1_T2_jT3_P12ihipStream_tbPNSt15iterator_traitsISL_E10value_typeEPNSR_ISM_E10value_typeEPSN_NS1_7vsmem_tEENKUlT_SL_SM_SN_E_clIS8_S8_S9_S9_EESK_S10_SL_SM_SN_EUlS10_E0_NS1_11comp_targetILNS1_3genE2ELNS1_11target_archE906ELNS1_3gpuE6ELNS1_3repE0EEENS1_38merge_mergepath_config_static_selectorELNS0_4arch9wavefront6targetE0EEEvSM_,"axG",@progbits,_ZN7rocprim17ROCPRIM_400000_NS6detail17trampoline_kernelINS0_14default_configENS1_38merge_sort_block_merge_config_selectorIlNS0_10empty_typeEEEZZNS1_27merge_sort_block_merge_implIS3_PlPS5_mZN2at6native12_GLOBAL__N_124unique_dim_cuda_templateIfEESt5tupleIJNSA_6TensorESF_SF_EERKSF_lbbbEUlllE_EE10hipError_tT0_T1_T2_jT3_P12ihipStream_tbPNSt15iterator_traitsISL_E10value_typeEPNSR_ISM_E10value_typeEPSN_NS1_7vsmem_tEENKUlT_SL_SM_SN_E_clIS8_S8_S9_S9_EESK_S10_SL_SM_SN_EUlS10_E0_NS1_11comp_targetILNS1_3genE2ELNS1_11target_archE906ELNS1_3gpuE6ELNS1_3repE0EEENS1_38merge_mergepath_config_static_selectorELNS0_4arch9wavefront6targetE0EEEvSM_,comdat
.Lfunc_end893:
	.size	_ZN7rocprim17ROCPRIM_400000_NS6detail17trampoline_kernelINS0_14default_configENS1_38merge_sort_block_merge_config_selectorIlNS0_10empty_typeEEEZZNS1_27merge_sort_block_merge_implIS3_PlPS5_mZN2at6native12_GLOBAL__N_124unique_dim_cuda_templateIfEESt5tupleIJNSA_6TensorESF_SF_EERKSF_lbbbEUlllE_EE10hipError_tT0_T1_T2_jT3_P12ihipStream_tbPNSt15iterator_traitsISL_E10value_typeEPNSR_ISM_E10value_typeEPSN_NS1_7vsmem_tEENKUlT_SL_SM_SN_E_clIS8_S8_S9_S9_EESK_S10_SL_SM_SN_EUlS10_E0_NS1_11comp_targetILNS1_3genE2ELNS1_11target_archE906ELNS1_3gpuE6ELNS1_3repE0EEENS1_38merge_mergepath_config_static_selectorELNS0_4arch9wavefront6targetE0EEEvSM_, .Lfunc_end893-_ZN7rocprim17ROCPRIM_400000_NS6detail17trampoline_kernelINS0_14default_configENS1_38merge_sort_block_merge_config_selectorIlNS0_10empty_typeEEEZZNS1_27merge_sort_block_merge_implIS3_PlPS5_mZN2at6native12_GLOBAL__N_124unique_dim_cuda_templateIfEESt5tupleIJNSA_6TensorESF_SF_EERKSF_lbbbEUlllE_EE10hipError_tT0_T1_T2_jT3_P12ihipStream_tbPNSt15iterator_traitsISL_E10value_typeEPNSR_ISM_E10value_typeEPSN_NS1_7vsmem_tEENKUlT_SL_SM_SN_E_clIS8_S8_S9_S9_EESK_S10_SL_SM_SN_EUlS10_E0_NS1_11comp_targetILNS1_3genE2ELNS1_11target_archE906ELNS1_3gpuE6ELNS1_3repE0EEENS1_38merge_mergepath_config_static_selectorELNS0_4arch9wavefront6targetE0EEEvSM_
                                        ; -- End function
	.section	.AMDGPU.csdata,"",@progbits
; Kernel info:
; codeLenInByte = 0
; NumSgprs: 0
; NumVgprs: 0
; ScratchSize: 0
; MemoryBound: 0
; FloatMode: 240
; IeeeMode: 1
; LDSByteSize: 0 bytes/workgroup (compile time only)
; SGPRBlocks: 0
; VGPRBlocks: 0
; NumSGPRsForWavesPerEU: 1
; NumVGPRsForWavesPerEU: 1
; Occupancy: 16
; WaveLimiterHint : 0
; COMPUTE_PGM_RSRC2:SCRATCH_EN: 0
; COMPUTE_PGM_RSRC2:USER_SGPR: 15
; COMPUTE_PGM_RSRC2:TRAP_HANDLER: 0
; COMPUTE_PGM_RSRC2:TGID_X_EN: 1
; COMPUTE_PGM_RSRC2:TGID_Y_EN: 0
; COMPUTE_PGM_RSRC2:TGID_Z_EN: 0
; COMPUTE_PGM_RSRC2:TIDIG_COMP_CNT: 0
	.section	.text._ZN7rocprim17ROCPRIM_400000_NS6detail17trampoline_kernelINS0_14default_configENS1_38merge_sort_block_merge_config_selectorIlNS0_10empty_typeEEEZZNS1_27merge_sort_block_merge_implIS3_PlPS5_mZN2at6native12_GLOBAL__N_124unique_dim_cuda_templateIfEESt5tupleIJNSA_6TensorESF_SF_EERKSF_lbbbEUlllE_EE10hipError_tT0_T1_T2_jT3_P12ihipStream_tbPNSt15iterator_traitsISL_E10value_typeEPNSR_ISM_E10value_typeEPSN_NS1_7vsmem_tEENKUlT_SL_SM_SN_E_clIS8_S8_S9_S9_EESK_S10_SL_SM_SN_EUlS10_E0_NS1_11comp_targetILNS1_3genE9ELNS1_11target_archE1100ELNS1_3gpuE3ELNS1_3repE0EEENS1_38merge_mergepath_config_static_selectorELNS0_4arch9wavefront6targetE0EEEvSM_,"axG",@progbits,_ZN7rocprim17ROCPRIM_400000_NS6detail17trampoline_kernelINS0_14default_configENS1_38merge_sort_block_merge_config_selectorIlNS0_10empty_typeEEEZZNS1_27merge_sort_block_merge_implIS3_PlPS5_mZN2at6native12_GLOBAL__N_124unique_dim_cuda_templateIfEESt5tupleIJNSA_6TensorESF_SF_EERKSF_lbbbEUlllE_EE10hipError_tT0_T1_T2_jT3_P12ihipStream_tbPNSt15iterator_traitsISL_E10value_typeEPNSR_ISM_E10value_typeEPSN_NS1_7vsmem_tEENKUlT_SL_SM_SN_E_clIS8_S8_S9_S9_EESK_S10_SL_SM_SN_EUlS10_E0_NS1_11comp_targetILNS1_3genE9ELNS1_11target_archE1100ELNS1_3gpuE3ELNS1_3repE0EEENS1_38merge_mergepath_config_static_selectorELNS0_4arch9wavefront6targetE0EEEvSM_,comdat
	.globl	_ZN7rocprim17ROCPRIM_400000_NS6detail17trampoline_kernelINS0_14default_configENS1_38merge_sort_block_merge_config_selectorIlNS0_10empty_typeEEEZZNS1_27merge_sort_block_merge_implIS3_PlPS5_mZN2at6native12_GLOBAL__N_124unique_dim_cuda_templateIfEESt5tupleIJNSA_6TensorESF_SF_EERKSF_lbbbEUlllE_EE10hipError_tT0_T1_T2_jT3_P12ihipStream_tbPNSt15iterator_traitsISL_E10value_typeEPNSR_ISM_E10value_typeEPSN_NS1_7vsmem_tEENKUlT_SL_SM_SN_E_clIS8_S8_S9_S9_EESK_S10_SL_SM_SN_EUlS10_E0_NS1_11comp_targetILNS1_3genE9ELNS1_11target_archE1100ELNS1_3gpuE3ELNS1_3repE0EEENS1_38merge_mergepath_config_static_selectorELNS0_4arch9wavefront6targetE0EEEvSM_ ; -- Begin function _ZN7rocprim17ROCPRIM_400000_NS6detail17trampoline_kernelINS0_14default_configENS1_38merge_sort_block_merge_config_selectorIlNS0_10empty_typeEEEZZNS1_27merge_sort_block_merge_implIS3_PlPS5_mZN2at6native12_GLOBAL__N_124unique_dim_cuda_templateIfEESt5tupleIJNSA_6TensorESF_SF_EERKSF_lbbbEUlllE_EE10hipError_tT0_T1_T2_jT3_P12ihipStream_tbPNSt15iterator_traitsISL_E10value_typeEPNSR_ISM_E10value_typeEPSN_NS1_7vsmem_tEENKUlT_SL_SM_SN_E_clIS8_S8_S9_S9_EESK_S10_SL_SM_SN_EUlS10_E0_NS1_11comp_targetILNS1_3genE9ELNS1_11target_archE1100ELNS1_3gpuE3ELNS1_3repE0EEENS1_38merge_mergepath_config_static_selectorELNS0_4arch9wavefront6targetE0EEEvSM_
	.p2align	8
	.type	_ZN7rocprim17ROCPRIM_400000_NS6detail17trampoline_kernelINS0_14default_configENS1_38merge_sort_block_merge_config_selectorIlNS0_10empty_typeEEEZZNS1_27merge_sort_block_merge_implIS3_PlPS5_mZN2at6native12_GLOBAL__N_124unique_dim_cuda_templateIfEESt5tupleIJNSA_6TensorESF_SF_EERKSF_lbbbEUlllE_EE10hipError_tT0_T1_T2_jT3_P12ihipStream_tbPNSt15iterator_traitsISL_E10value_typeEPNSR_ISM_E10value_typeEPSN_NS1_7vsmem_tEENKUlT_SL_SM_SN_E_clIS8_S8_S9_S9_EESK_S10_SL_SM_SN_EUlS10_E0_NS1_11comp_targetILNS1_3genE9ELNS1_11target_archE1100ELNS1_3gpuE3ELNS1_3repE0EEENS1_38merge_mergepath_config_static_selectorELNS0_4arch9wavefront6targetE0EEEvSM_,@function
_ZN7rocprim17ROCPRIM_400000_NS6detail17trampoline_kernelINS0_14default_configENS1_38merge_sort_block_merge_config_selectorIlNS0_10empty_typeEEEZZNS1_27merge_sort_block_merge_implIS3_PlPS5_mZN2at6native12_GLOBAL__N_124unique_dim_cuda_templateIfEESt5tupleIJNSA_6TensorESF_SF_EERKSF_lbbbEUlllE_EE10hipError_tT0_T1_T2_jT3_P12ihipStream_tbPNSt15iterator_traitsISL_E10value_typeEPNSR_ISM_E10value_typeEPSN_NS1_7vsmem_tEENKUlT_SL_SM_SN_E_clIS8_S8_S9_S9_EESK_S10_SL_SM_SN_EUlS10_E0_NS1_11comp_targetILNS1_3genE9ELNS1_11target_archE1100ELNS1_3gpuE3ELNS1_3repE0EEENS1_38merge_mergepath_config_static_selectorELNS0_4arch9wavefront6targetE0EEEvSM_: ; @_ZN7rocprim17ROCPRIM_400000_NS6detail17trampoline_kernelINS0_14default_configENS1_38merge_sort_block_merge_config_selectorIlNS0_10empty_typeEEEZZNS1_27merge_sort_block_merge_implIS3_PlPS5_mZN2at6native12_GLOBAL__N_124unique_dim_cuda_templateIfEESt5tupleIJNSA_6TensorESF_SF_EERKSF_lbbbEUlllE_EE10hipError_tT0_T1_T2_jT3_P12ihipStream_tbPNSt15iterator_traitsISL_E10value_typeEPNSR_ISM_E10value_typeEPSN_NS1_7vsmem_tEENKUlT_SL_SM_SN_E_clIS8_S8_S9_S9_EESK_S10_SL_SM_SN_EUlS10_E0_NS1_11comp_targetILNS1_3genE9ELNS1_11target_archE1100ELNS1_3gpuE3ELNS1_3repE0EEENS1_38merge_mergepath_config_static_selectorELNS0_4arch9wavefront6targetE0EEEvSM_
; %bb.0:
	s_clause 0x1
	s_load_b64 s[24:25], s[0:1], 0x58
	s_load_b32 s3, s[0:1], 0x38
	s_add_u32 s22, s0, 0x58
	s_addc_u32 s23, s1, 0
	s_waitcnt lgkmcnt(0)
	s_mul_i32 s2, s25, s15
	s_delay_alu instid0(SALU_CYCLE_1) | instskip(NEXT) | instid1(SALU_CYCLE_1)
	s_add_i32 s2, s2, s14
	s_mul_i32 s2, s2, s24
	s_delay_alu instid0(SALU_CYCLE_1) | instskip(NEXT) | instid1(SALU_CYCLE_1)
	s_add_i32 s2, s2, s13
	s_cmp_ge_u32 s2, s3
	s_cbranch_scc1 .LBB894_49
; %bb.1:
	s_clause 0x1
	s_load_b128 s[4:7], s[0:1], 0x28
	s_load_b64 s[8:9], s[0:1], 0x50
	s_mov_b32 s3, 0
	s_delay_alu instid0(SALU_CYCLE_1)
	s_lshl_b64 s[10:11], s[2:3], 3
	s_waitcnt lgkmcnt(0)
	v_alignbit_b32 v1, s7, s6, 9
	s_add_u32 s8, s8, s10
	s_addc_u32 s9, s9, s11
	s_lshl_b64 s[20:21], s[2:3], 10
	s_load_b128 s[16:19], s[8:9], 0x0
	v_readfirstlane_b32 s10, v1
	s_mov_b32 s9, s3
	s_delay_alu instid0(VALU_DEP_1) | instskip(NEXT) | instid1(SALU_CYCLE_1)
	s_and_b32 s8, s10, -2
	s_sub_i32 s25, 0, s8
	s_delay_alu instid0(SALU_CYCLE_1) | instskip(NEXT) | instid1(SALU_CYCLE_1)
	s_and_b32 s8, s2, s25
	s_lshl_b64 s[14:15], s[8:9], 10
	s_delay_alu instid0(SALU_CYCLE_1)
	s_sub_u32 s12, s20, s14
	s_subb_u32 s30, s21, s15
	s_lshl_b64 s[26:27], s[8:9], 11
	s_load_b128 s[8:11], s[0:1], 0x8
	s_add_u32 s28, s26, s6
	s_addc_u32 s29, s27, s7
	s_add_u32 s12, s28, s12
	s_addc_u32 s26, s29, s30
	s_waitcnt lgkmcnt(0)
	s_sub_u32 s27, s12, s18
	s_subb_u32 s19, s26, s19
	s_add_u32 s30, s27, 0x400
	s_addc_u32 s31, s19, 0
	s_delay_alu instid0(SALU_CYCLE_1) | instskip(NEXT) | instid1(VALU_DEP_1)
	v_cmp_lt_u64_e64 s19, s[4:5], s[30:31]
	s_and_b32 s19, s19, exec_lo
	s_cselect_b32 s27, s4, s30
	s_or_b32 s19, s2, s25
	s_mov_b32 s25, -1
	s_cmp_lg_u32 s19, -1
	s_cbranch_scc1 .LBB894_3
; %bb.2:
	s_sub_u32 s14, s28, s14
	s_subb_u32 s15, s29, s15
	s_delay_alu instid0(SALU_CYCLE_1) | instskip(NEXT) | instid1(VALU_DEP_1)
	v_cmp_lt_u64_e64 s18, s[4:5], s[14:15]
	s_and_b32 s18, s18, exec_lo
	s_cselect_b32 s18, s4, s14
	s_add_u32 s6, s14, s6
	s_addc_u32 s7, s15, s7
	s_delay_alu instid0(SALU_CYCLE_1) | instskip(NEXT) | instid1(VALU_DEP_1)
	v_cmp_lt_u64_e64 s7, s[4:5], s[6:7]
	s_and_b32 s7, s7, exec_lo
	s_cselect_b32 s27, s4, s6
.LBB894_3:
	s_lshr_b64 s[28:29], s[4:5], 10
	v_mov_b32_e32 v2, 0
	s_cmp_lg_u64 s[28:29], s[2:3]
	v_lshlrev_b32_e32 v9, 3, v0
	s_cselect_b32 s19, -1, 0
	s_sub_u32 s6, s12, s16
	s_subb_u32 s7, s26, s17
	global_load_b32 v1, v2, s[22:23] offset:14
	v_cmp_lt_u64_e64 s12, s[4:5], s[6:7]
	s_delay_alu instid0(VALU_DEP_1)
	s_and_b32 s12, s12, exec_lo
	s_cselect_b32 s30, s4, s6
	s_cselect_b32 s31, s5, s7
	s_lshl_b64 s[14:15], s[16:17], 3
	s_sub_i32 s5, s18, s16
	s_sub_i32 s6, s27, s30
	s_add_u32 s12, s8, s14
	s_addc_u32 s14, s9, s15
	s_lshl_b64 s[16:17], s[30:31], 3
	s_delay_alu instid0(SALU_CYCLE_1) | instskip(SKIP_3) | instid1(SALU_CYCLE_1)
	s_add_u32 s7, s8, s16
	s_addc_u32 s9, s9, s17
	s_cmp_lt_u32 s13, s24
	s_cselect_b32 s8, 12, 18
	s_add_u32 s16, s22, s8
	s_addc_u32 s17, s23, 0
	s_cmp_eq_u64 s[28:29], s[2:3]
	global_load_u16 v3, v2, s[16:17]
	s_waitcnt vmcnt(1)
	v_lshrrev_b32_e32 v4, 16, v1
	v_and_b32_e32 v1, 0xffff, v1
	s_delay_alu instid0(VALU_DEP_1) | instskip(SKIP_1) | instid1(VALU_DEP_1)
	v_mul_lo_u32 v1, v1, v4
	s_waitcnt vmcnt(0)
	v_mul_lo_u32 v7, v1, v3
	s_cbranch_scc1 .LBB894_5
; %bb.4:
	v_subrev_nc_u32_e32 v1, s5, v0
	v_add_co_u32 v8, s2, s12, v9
	s_delay_alu instid0(VALU_DEP_1) | instskip(NEXT) | instid1(VALU_DEP_3)
	v_add_co_ci_u32_e64 v10, null, s14, 0, s2
	v_lshlrev_b64 v[3:4], 3, v[1:2]
	v_add_nc_u32_e32 v1, v7, v0
	s_add_i32 s8, s5, s6
	s_delay_alu instid0(VALU_DEP_1) | instskip(NEXT) | instid1(VALU_DEP_3)
	v_lshlrev_b64 v[5:6], 3, v[1:2]
	v_add_co_u32 v3, s2, s7, v3
	s_delay_alu instid0(VALU_DEP_1) | instskip(SKIP_1) | instid1(VALU_DEP_4)
	v_add_co_ci_u32_e64 v4, s2, s9, v4, s2
	v_cmp_gt_u32_e64 s2, s5, v0
	v_add_co_u32 v5, vcc_lo, s12, v5
	v_add_co_ci_u32_e32 v6, vcc_lo, s14, v6, vcc_lo
	v_cmp_gt_u32_e32 vcc_lo, s5, v1
	v_subrev_nc_u32_e32 v1, s5, v1
	s_delay_alu instid0(VALU_DEP_1) | instskip(NEXT) | instid1(VALU_DEP_1)
	v_lshlrev_b64 v[1:2], 3, v[1:2]
	v_add_co_u32 v11, s3, s7, v1
	s_delay_alu instid0(VALU_DEP_1) | instskip(SKIP_2) | instid1(VALU_DEP_3)
	v_add_co_ci_u32_e64 v12, s3, s9, v2, s3
	v_cndmask_b32_e64 v2, v4, v10, s2
	v_cndmask_b32_e64 v1, v3, v8, s2
	v_dual_cndmask_b32 v3, v11, v5 :: v_dual_cndmask_b32 v4, v12, v6
	global_load_b64 v[1:2], v[1:2], off
	global_load_b64 v[5:6], v[3:4], off
	s_cbranch_execz .LBB894_6
	s_branch .LBB894_11
.LBB894_5:
                                        ; implicit-def: $vgpr5_vgpr6
                                        ; implicit-def: $sgpr8
                                        ; implicit-def: $vgpr1_vgpr2_vgpr3_vgpr4
	s_and_not1_b32 vcc_lo, exec_lo, s25
	s_cbranch_vccnz .LBB894_11
.LBB894_6:
	s_add_i32 s8, s5, s6
	s_mov_b32 s2, exec_lo
                                        ; implicit-def: $vgpr1_vgpr2
	v_cmpx_gt_u32_e64 s8, v0
	s_cbranch_execz .LBB894_8
; %bb.7:
	s_waitcnt vmcnt(1)
	v_subrev_nc_u32_e32 v1, s5, v0
	v_add_co_u32 v3, s3, s12, v9
	v_mov_b32_e32 v2, 0
	v_add_co_ci_u32_e64 v4, null, s14, 0, s3
	s_delay_alu instid0(VALU_DEP_2) | instskip(NEXT) | instid1(VALU_DEP_1)
	v_lshlrev_b64 v[1:2], 3, v[1:2]
	v_add_co_u32 v1, vcc_lo, s7, v1
	s_delay_alu instid0(VALU_DEP_2) | instskip(SKIP_1) | instid1(VALU_DEP_2)
	v_add_co_ci_u32_e32 v2, vcc_lo, s9, v2, vcc_lo
	v_cmp_gt_u32_e32 vcc_lo, s5, v0
	v_dual_cndmask_b32 v1, v1, v3 :: v_dual_cndmask_b32 v2, v2, v4
	global_load_b64 v[1:2], v[1:2], off
.LBB894_8:
	s_or_b32 exec_lo, exec_lo, s2
	v_add_nc_u32_e32 v7, v7, v0
	s_mov_b32 s3, exec_lo
	s_delay_alu instid0(VALU_DEP_1)
	v_cmpx_gt_u32_e64 s8, v7
                                        ; implicit-def: $vgpr3_vgpr4_vgpr5_vgpr6
	s_cbranch_execz .LBB894_10
; %bb.9:
	v_mov_b32_e32 v8, 0
	s_delay_alu instid0(VALU_DEP_1) | instskip(SKIP_1) | instid1(VALU_DEP_1)
	v_lshlrev_b64 v[3:4], 3, v[7:8]
	s_waitcnt vmcnt(0)
	v_add_co_u32 v5, vcc_lo, s12, v3
	s_delay_alu instid0(VALU_DEP_2) | instskip(SKIP_2) | instid1(VALU_DEP_1)
	v_add_co_ci_u32_e32 v6, vcc_lo, s14, v4, vcc_lo
	v_cmp_gt_u32_e32 vcc_lo, s5, v7
	v_subrev_nc_u32_e32 v7, s5, v7
	v_lshlrev_b64 v[3:4], 3, v[7:8]
	s_delay_alu instid0(VALU_DEP_1) | instskip(NEXT) | instid1(VALU_DEP_1)
	v_add_co_u32 v3, s2, s7, v3
	v_add_co_ci_u32_e64 v4, s2, s9, v4, s2
	s_delay_alu instid0(VALU_DEP_1)
	v_dual_cndmask_b32 v3, v3, v5 :: v_dual_cndmask_b32 v4, v4, v6
	global_load_b64 v[5:6], v[3:4], off
.LBB894_10:
	s_or_b32 exec_lo, exec_lo, s3
.LBB894_11:
	s_load_b128 s[12:15], s[0:1], 0x40
	v_lshlrev_b32_e32 v10, 1, v0
	s_mov_b32 s1, exec_lo
	s_waitcnt vmcnt(0)
	ds_store_2addr_stride64_b64 v9, v[1:2], v[5:6] offset1:8
	s_waitcnt lgkmcnt(0)
	s_barrier
	v_min_u32_e32 v12, s8, v10
	buffer_gl0_inv
	v_sub_nc_u32_e64 v11, v12, s6 clamp
	v_min_u32_e32 v13, s5, v12
	s_delay_alu instid0(VALU_DEP_1)
	v_cmpx_lt_u32_e64 v11, v13
	s_cbranch_execz .LBB894_21
; %bb.12:
	v_lshlrev_b32_e32 v3, 3, v12
	v_cmp_gt_i64_e64 s9, s[12:13], 0
	s_lshl_b64 s[2:3], s[12:13], 2
	s_mov_b32 s16, 0
	s_delay_alu instid0(VALU_DEP_2)
	v_lshl_add_u32 v14, s5, 3, v3
	s_branch .LBB894_15
.LBB894_13:                             ;   in Loop: Header=BB894_15 Depth=1
	s_set_inst_prefetch_distance 0x2
	s_or_b32 exec_lo, exec_lo, s17
.LBB894_14:                             ;   in Loop: Header=BB894_15 Depth=1
	s_delay_alu instid0(VALU_DEP_1) | instskip(SKIP_1) | instid1(VALU_DEP_2)
	v_add_nc_u32_e32 v3, 1, v15
	v_cndmask_b32_e64 v13, v13, v15, s18
	v_cndmask_b32_e64 v11, v3, v11, s18
	s_delay_alu instid0(VALU_DEP_1) | instskip(SKIP_1) | instid1(SALU_CYCLE_1)
	v_cmp_ge_u32_e32 vcc_lo, v11, v13
	s_or_b32 s16, vcc_lo, s16
	s_and_not1_b32 exec_lo, exec_lo, s16
	s_cbranch_execz .LBB894_20
.LBB894_15:                             ; =>This Loop Header: Depth=1
                                        ;     Child Loop BB894_18 Depth 2
	v_add_nc_u32_e32 v3, v13, v11
	s_and_not1_b32 vcc_lo, exec_lo, s9
	s_mov_b32 s18, 0
	s_delay_alu instid0(VALU_DEP_1)
	v_lshrrev_b32_e32 v15, 1, v3
	s_cbranch_vccnz .LBB894_14
; %bb.16:                               ;   in Loop: Header=BB894_15 Depth=1
	s_delay_alu instid0(VALU_DEP_1) | instskip(SKIP_3) | instid1(VALU_DEP_2)
	v_not_b32_e32 v3, v15
	v_lshlrev_b32_e32 v4, 3, v15
	s_mov_b32 s17, 0
	s_mov_b64 s[6:7], s[12:13]
                                        ; implicit-def: $sgpr18
                                        ; implicit-def: $sgpr22
                                        ; implicit-def: $sgpr23
                                        ; implicit-def: $sgpr24
                                        ; implicit-def: $sgpr25
	v_lshl_add_u32 v3, v3, 3, v14
	ds_load_b64 v[7:8], v3
	ds_load_b64 v[16:17], v4
	s_waitcnt lgkmcnt(1)
	v_mul_lo_u32 v18, s2, v8
	v_mul_lo_u32 v19, s3, v7
	v_mad_u64_u32 v[3:4], null, s2, v7, s[14:15]
	s_waitcnt lgkmcnt(0)
	v_mul_lo_u32 v17, s2, v17
	v_mul_lo_u32 v20, s3, v16
	v_mad_u64_u32 v[7:8], null, s2, v16, s[14:15]
	s_delay_alu instid0(VALU_DEP_4) | instskip(NEXT) | instid1(VALU_DEP_2)
	v_add3_u32 v4, v19, v4, v18
	v_add3_u32 v8, v20, v8, v17
	s_set_inst_prefetch_distance 0x1
	s_branch .LBB894_18
	.p2align	6
.LBB894_17:                             ;   in Loop: Header=BB894_18 Depth=2
	s_or_b32 exec_lo, exec_lo, s0
	s_delay_alu instid0(SALU_CYCLE_1) | instskip(NEXT) | instid1(SALU_CYCLE_1)
	s_and_b32 s0, exec_lo, s22
	s_or_b32 s17, s0, s17
	s_and_not1_b32 s0, s25, exec_lo
	s_and_b32 s25, s23, exec_lo
	s_and_not1_b32 s18, s18, exec_lo
	s_and_b32 s26, s24, exec_lo
	s_or_b32 s25, s0, s25
	s_or_b32 s18, s18, s26
	s_and_not1_b32 exec_lo, exec_lo, s17
	s_cbranch_execz .LBB894_13
.LBB894_18:                             ;   Parent Loop BB894_15 Depth=1
                                        ; =>  This Inner Loop Header: Depth=2
	global_load_b32 v16, v[3:4], off
	global_load_b32 v17, v[7:8], off
	s_and_not1_b32 s24, s24, exec_lo
	s_and_not1_b32 s23, s23, exec_lo
	s_or_b32 s22, s22, exec_lo
	s_waitcnt vmcnt(0)
	v_cmp_ngt_f32_e32 vcc_lo, v16, v17
	v_cmp_lt_f32_e64 s0, v16, v17
	s_and_b32 s26, vcc_lo, s25
	s_delay_alu instid0(VALU_DEP_1) | instid1(SALU_CYCLE_1)
	s_or_b32 s26, s0, s26
	s_delay_alu instid0(SALU_CYCLE_1) | instskip(NEXT) | instid1(SALU_CYCLE_1)
	s_and_b32 s0, s26, exec_lo
	s_or_b32 s24, s24, s0
	s_mov_b32 s0, exec_lo
	v_cmpx_nlg_f32_e32 v16, v17
	s_cbranch_execz .LBB894_17
; %bb.19:                               ;   in Loop: Header=BB894_18 Depth=2
	s_add_u32 s6, s6, -1
	s_addc_u32 s7, s7, -1
	v_add_co_u32 v3, vcc_lo, v3, 4
	v_add_co_ci_u32_e32 v4, vcc_lo, 0, v4, vcc_lo
	s_cmp_eq_u64 s[6:7], 0
	v_add_co_u32 v7, vcc_lo, v7, 4
	s_cselect_b32 s25, -1, 0
	v_add_co_ci_u32_e32 v8, vcc_lo, 0, v8, vcc_lo
	s_and_not1_b32 s23, s23, exec_lo
	s_and_b32 s26, s26, exec_lo
	s_and_not1_b32 s22, s22, exec_lo
	s_and_b32 s25, s25, exec_lo
	s_and_not1_b32 s24, s24, exec_lo
	s_or_b32 s23, s23, s26
	s_or_b32 s22, s22, s25
                                        ; implicit-def: $sgpr25
	s_branch .LBB894_17
.LBB894_20:
	s_or_b32 exec_lo, exec_lo, s16
.LBB894_21:
	s_delay_alu instid0(SALU_CYCLE_1) | instskip(SKIP_2) | instid1(VALU_DEP_2)
	s_or_b32 exec_lo, exec_lo, s1
	v_sub_nc_u32_e32 v3, v12, v11
	v_cmp_ge_u32_e32 vcc_lo, s5, v11
	v_add_nc_u32_e32 v12, s5, v3
	s_delay_alu instid0(VALU_DEP_1) | instskip(NEXT) | instid1(VALU_DEP_1)
	v_cmp_ge_u32_e64 s0, s8, v12
	s_or_b32 s0, vcc_lo, s0
	s_delay_alu instid0(SALU_CYCLE_1)
	s_and_saveexec_b32 s6, s0
	s_cbranch_execz .LBB894_41
; %bb.22:
	v_cmp_le_u32_e32 vcc_lo, s5, v11
	s_mov_b32 s1, exec_lo
                                        ; implicit-def: $vgpr1_vgpr2
	v_cmpx_gt_u32_e64 s5, v11
	s_cbranch_execz .LBB894_24
; %bb.23:
	v_lshlrev_b32_e32 v1, 3, v11
	ds_load_b64 v[1:2], v1
.LBB894_24:
	s_or_b32 exec_lo, exec_lo, s1
	v_cmp_le_u32_e64 s0, s8, v12
	s_mov_b32 s2, exec_lo
                                        ; implicit-def: $vgpr3_vgpr4
	v_cmpx_gt_u32_e64 s8, v12
	s_cbranch_execz .LBB894_26
; %bb.25:
	v_lshlrev_b32_e32 v3, 3, v12
	ds_load_b64 v[3:4], v3
.LBB894_26:
	s_or_b32 exec_lo, exec_lo, s2
	v_cmp_lt_i64_e64 s7, s[12:13], 1
	s_or_b32 s1, vcc_lo, s0
	s_xor_b32 s2, vcc_lo, -1
	s_delay_alu instid0(VALU_DEP_1) | instskip(NEXT) | instid1(SALU_CYCLE_1)
	s_or_b32 s1, s1, s7
	s_xor_b32 s3, s1, -1
	s_or_b32 s1, s0, s2
	s_and_saveexec_b32 s9, s3
	s_cbranch_execz .LBB894_32
; %bb.27:
	s_waitcnt lgkmcnt(0)
	v_mul_lo_u32 v13, v4, s12
	v_mul_lo_u32 v14, v3, s13
	v_mad_u64_u32 v[5:6], null, v3, s12, 0
	v_mul_lo_u32 v15, v2, s12
	v_mul_lo_u32 v16, v1, s13
	v_mad_u64_u32 v[7:8], null, v1, s12, 0
	s_mov_b32 s16, 0
	s_mov_b64 s[2:3], s[12:13]
	s_delay_alu instid0(VALU_DEP_4) | instskip(NEXT) | instid1(VALU_DEP_2)
	v_add3_u32 v6, v6, v14, v13
                                        ; implicit-def: $sgpr17
                                        ; implicit-def: $sgpr18
                                        ; implicit-def: $sgpr22
                                        ; implicit-def: $sgpr23
                                        ; implicit-def: $sgpr24
	v_add3_u32 v8, v8, v16, v15
	s_delay_alu instid0(VALU_DEP_2) | instskip(NEXT) | instid1(VALU_DEP_2)
	v_lshlrev_b64 v[5:6], 2, v[5:6]
	v_lshlrev_b64 v[7:8], 2, v[7:8]
	s_delay_alu instid0(VALU_DEP_2) | instskip(NEXT) | instid1(VALU_DEP_3)
	v_add_co_u32 v5, vcc_lo, s14, v5
	v_add_co_ci_u32_e32 v6, vcc_lo, s15, v6, vcc_lo
	s_delay_alu instid0(VALU_DEP_3) | instskip(NEXT) | instid1(VALU_DEP_4)
	v_add_co_u32 v7, vcc_lo, s14, v7
	v_add_co_ci_u32_e32 v8, vcc_lo, s15, v8, vcc_lo
	s_set_inst_prefetch_distance 0x1
	s_branch .LBB894_29
	.p2align	6
.LBB894_28:                             ;   in Loop: Header=BB894_29 Depth=1
	s_or_b32 exec_lo, exec_lo, s0
	s_delay_alu instid0(SALU_CYCLE_1) | instskip(NEXT) | instid1(SALU_CYCLE_1)
	s_and_b32 s0, exec_lo, s18
	s_or_b32 s16, s0, s16
	s_and_not1_b32 s0, s24, exec_lo
	s_and_b32 s24, s23, exec_lo
	s_and_not1_b32 s17, s17, exec_lo
	s_and_b32 s25, s22, exec_lo
	s_or_b32 s24, s0, s24
	s_or_b32 s17, s17, s25
	s_and_not1_b32 exec_lo, exec_lo, s16
	s_cbranch_execz .LBB894_31
.LBB894_29:                             ; =>This Inner Loop Header: Depth=1
	global_load_b32 v13, v[5:6], off
	global_load_b32 v14, v[7:8], off
	s_and_not1_b32 s22, s22, exec_lo
	s_and_not1_b32 s23, s23, exec_lo
	s_or_b32 s18, s18, exec_lo
	s_waitcnt vmcnt(0)
	v_cmp_ngt_f32_e32 vcc_lo, v13, v14
	v_cmp_lt_f32_e64 s0, v13, v14
	s_and_b32 s25, vcc_lo, s24
	s_delay_alu instid0(VALU_DEP_1) | instid1(SALU_CYCLE_1)
	s_or_b32 s25, s0, s25
	s_delay_alu instid0(SALU_CYCLE_1) | instskip(NEXT) | instid1(SALU_CYCLE_1)
	s_and_b32 s0, s25, exec_lo
	s_or_b32 s22, s22, s0
	s_mov_b32 s0, exec_lo
	v_cmpx_nlg_f32_e32 v13, v14
	s_cbranch_execz .LBB894_28
; %bb.30:                               ;   in Loop: Header=BB894_29 Depth=1
	s_add_u32 s2, s2, -1
	s_addc_u32 s3, s3, -1
	v_add_co_u32 v5, vcc_lo, v5, 4
	s_cmp_eq_u64 s[2:3], 0
	v_add_co_ci_u32_e32 v6, vcc_lo, 0, v6, vcc_lo
	v_add_co_u32 v7, vcc_lo, v7, 4
	s_cselect_b32 s24, -1, 0
	v_add_co_ci_u32_e32 v8, vcc_lo, 0, v8, vcc_lo
	s_and_not1_b32 s23, s23, exec_lo
	s_and_b32 s25, s25, exec_lo
	s_and_not1_b32 s18, s18, exec_lo
	s_and_b32 s24, s24, exec_lo
	s_or_b32 s23, s23, s25
	s_and_not1_b32 s22, s22, exec_lo
	s_or_b32 s18, s18, s24
                                        ; implicit-def: $sgpr24
	s_branch .LBB894_28
.LBB894_31:
	s_set_inst_prefetch_distance 0x2
	s_or_b32 exec_lo, exec_lo, s16
	s_xor_b32 s0, s17, -1
	s_and_not1_b32 s1, s1, exec_lo
	s_and_b32 s0, s0, exec_lo
	s_delay_alu instid0(SALU_CYCLE_1)
	s_or_b32 s1, s1, s0
.LBB894_32:
	s_or_b32 exec_lo, exec_lo, s9
	v_mov_b32_e32 v5, s5
	v_cndmask_b32_e64 v6, v12, v11, s1
	s_mov_b32 s0, -1
	s_mov_b32 s2, exec_lo
	s_delay_alu instid0(VALU_DEP_2) | instskip(NEXT) | instid1(VALU_DEP_2)
	v_cndmask_b32_e64 v7, s8, v5, s1
	v_add_nc_u32_e32 v5, 1, v6
	s_delay_alu instid0(VALU_DEP_2) | instskip(NEXT) | instid1(VALU_DEP_2)
	v_add_nc_u32_e32 v6, -1, v7
	v_cndmask_b32_e64 v8, v5, v12, s1
	s_delay_alu instid0(VALU_DEP_2) | instskip(NEXT) | instid1(VALU_DEP_1)
	v_min_u32_e32 v6, v5, v6
	v_lshlrev_b32_e32 v6, 3, v6
	ds_load_b64 v[6:7], v6
	s_waitcnt lgkmcnt(0)
	v_cndmask_b32_e64 v12, v7, v4, s1
	v_cndmask_b32_e64 v13, v6, v3, s1
	;; [unrolled: 1-line block ×4, first 2 shown]
	v_cmpx_gt_u32_e64 s8, v8
	s_cbranch_execz .LBB894_40
; %bb.33:
	v_cndmask_b32_e64 v5, v11, v5, s1
	s_xor_b32 s0, s7, -1
	s_delay_alu instid0(VALU_DEP_1) | instskip(NEXT) | instid1(VALU_DEP_1)
	v_cmp_gt_u32_e64 s3, s5, v5
	s_and_b32 s0, s3, s0
	s_delay_alu instid0(SALU_CYCLE_1)
	s_and_saveexec_b32 s5, s0
	s_cbranch_execz .LBB894_39
; %bb.34:
	v_mul_lo_u32 v11, v12, s12
	v_mul_lo_u32 v16, v13, s13
	v_mad_u64_u32 v[5:6], null, v13, s12, 0
	v_mul_lo_u32 v17, v14, s12
	v_mul_lo_u32 v18, v15, s13
	v_mad_u64_u32 v[7:8], null, v15, s12, 0
	s_mov_b32 s7, 0
                                        ; implicit-def: $sgpr8
                                        ; implicit-def: $sgpr9
                                        ; implicit-def: $sgpr16
	s_delay_alu instid0(VALU_DEP_4) | instskip(NEXT) | instid1(VALU_DEP_2)
	v_add3_u32 v6, v6, v16, v11
	v_add3_u32 v8, v8, v18, v17
	s_delay_alu instid0(VALU_DEP_2) | instskip(NEXT) | instid1(VALU_DEP_2)
	v_lshlrev_b64 v[5:6], 2, v[5:6]
	v_lshlrev_b64 v[7:8], 2, v[7:8]
	s_delay_alu instid0(VALU_DEP_2) | instskip(NEXT) | instid1(VALU_DEP_3)
	v_add_co_u32 v5, vcc_lo, s14, v5
	v_add_co_ci_u32_e32 v6, vcc_lo, s15, v6, vcc_lo
	s_delay_alu instid0(VALU_DEP_3) | instskip(NEXT) | instid1(VALU_DEP_4)
	v_add_co_u32 v7, vcc_lo, s14, v7
	v_add_co_ci_u32_e32 v8, vcc_lo, s15, v8, vcc_lo
                                        ; implicit-def: $sgpr14
                                        ; implicit-def: $sgpr15
	s_set_inst_prefetch_distance 0x1
	s_branch .LBB894_36
	.p2align	6
.LBB894_35:                             ;   in Loop: Header=BB894_36 Depth=1
	s_or_b32 exec_lo, exec_lo, s0
	s_delay_alu instid0(SALU_CYCLE_1) | instskip(NEXT) | instid1(SALU_CYCLE_1)
	s_and_b32 s0, exec_lo, s9
	s_or_b32 s7, s0, s7
	s_and_not1_b32 s0, s16, exec_lo
	s_and_b32 s16, s15, exec_lo
	s_and_not1_b32 s8, s8, exec_lo
	s_and_b32 s17, s14, exec_lo
	s_or_b32 s16, s0, s16
	s_or_b32 s8, s8, s17
	s_and_not1_b32 exec_lo, exec_lo, s7
	s_cbranch_execz .LBB894_38
.LBB894_36:                             ; =>This Inner Loop Header: Depth=1
	global_load_b32 v11, v[5:6], off
	global_load_b32 v16, v[7:8], off
	s_and_not1_b32 s14, s14, exec_lo
	s_and_not1_b32 s15, s15, exec_lo
	s_or_b32 s9, s9, exec_lo
	s_waitcnt vmcnt(0)
	v_cmp_ngt_f32_e32 vcc_lo, v11, v16
	v_cmp_lt_f32_e64 s0, v11, v16
	s_and_b32 s17, vcc_lo, s16
	s_delay_alu instid0(VALU_DEP_1) | instid1(SALU_CYCLE_1)
	s_or_b32 s17, s0, s17
	s_delay_alu instid0(SALU_CYCLE_1) | instskip(NEXT) | instid1(SALU_CYCLE_1)
	s_and_b32 s0, s17, exec_lo
	s_or_b32 s14, s14, s0
	s_mov_b32 s0, exec_lo
	v_cmpx_nlg_f32_e32 v11, v16
	s_cbranch_execz .LBB894_35
; %bb.37:                               ;   in Loop: Header=BB894_36 Depth=1
	s_add_u32 s12, s12, -1
	s_addc_u32 s13, s13, -1
	v_add_co_u32 v5, vcc_lo, v5, 4
	s_cmp_eq_u64 s[12:13], 0
	v_add_co_ci_u32_e32 v6, vcc_lo, 0, v6, vcc_lo
	v_add_co_u32 v7, vcc_lo, v7, 4
	s_cselect_b32 s16, -1, 0
	v_add_co_ci_u32_e32 v8, vcc_lo, 0, v8, vcc_lo
	s_and_not1_b32 s15, s15, exec_lo
	s_and_b32 s17, s17, exec_lo
	s_and_not1_b32 s9, s9, exec_lo
	s_and_b32 s16, s16, exec_lo
	s_or_b32 s15, s15, s17
	s_and_not1_b32 s14, s14, exec_lo
	s_or_b32 s9, s9, s16
                                        ; implicit-def: $sgpr16
	s_branch .LBB894_35
.LBB894_38:
	s_set_inst_prefetch_distance 0x2
	s_or_b32 exec_lo, exec_lo, s7
	s_xor_b32 s0, s8, -1
	s_and_not1_b32 s3, s3, exec_lo
	s_and_b32 s0, s0, exec_lo
	s_delay_alu instid0(SALU_CYCLE_1)
	s_or_b32 s3, s3, s0
.LBB894_39:
	s_or_b32 exec_lo, exec_lo, s5
	s_delay_alu instid0(SALU_CYCLE_1)
	s_or_not1_b32 s0, s3, exec_lo
.LBB894_40:
	s_or_b32 exec_lo, exec_lo, s2
	v_cndmask_b32_e64 v2, v4, v2, s1
	v_cndmask_b32_e64 v1, v3, v1, s1
	;; [unrolled: 1-line block ×4, first 2 shown]
.LBB894_41:
	s_or_b32 exec_lo, exec_lo, s6
	v_lshrrev_b32_e32 v3, 1, v0
	v_or_b32_e32 v7, 0x200, v0
	v_lshrrev_b32_e32 v4, 2, v0
	s_lshl_b64 s[0:1], s[20:21], 3
	s_delay_alu instid0(VALU_DEP_3) | instskip(NEXT) | instid1(VALU_DEP_3)
	v_and_b32_e32 v3, 0xf8, v3
	v_lshrrev_b32_e32 v8, 2, v7
	s_delay_alu instid0(VALU_DEP_3)
	v_and_b32_e32 v4, 0x78, v4
	s_add_u32 s0, s10, s0
	s_barrier
	v_lshl_add_u32 v3, v10, 3, v3
	v_and_b32_e32 v8, 0xf8, v8
	buffer_gl0_inv
	s_barrier
	buffer_gl0_inv
	s_addc_u32 s1, s11, s1
	ds_store_2addr_b64 v3, v[1:2], v[5:6] offset1:1
	v_add_co_u32 v1, s0, s0, v9
	v_add_nc_u32_e32 v5, v9, v4
	v_add_nc_u32_e32 v6, v9, v8
	v_add_co_ci_u32_e64 v2, null, s1, 0, s0
	s_and_b32 vcc_lo, exec_lo, s19
	s_mov_b32 s0, 0
	s_waitcnt lgkmcnt(0)
	s_cbranch_vccz .LBB894_43
; %bb.42:
	s_barrier
	buffer_gl0_inv
	ds_load_b64 v[8:9], v5
	ds_load_b64 v[3:4], v6 offset:4096
	s_mov_b32 s0, -1
	s_waitcnt lgkmcnt(1)
	global_store_b64 v[1:2], v[8:9], off
	s_cbranch_execz .LBB894_44
	s_branch .LBB894_47
.LBB894_43:
                                        ; implicit-def: $vgpr3_vgpr4
.LBB894_44:
	s_waitcnt lgkmcnt(0)
	s_waitcnt_vscnt null, 0x0
	s_barrier
	buffer_gl0_inv
	ds_load_b64 v[3:4], v6 offset:4096
	s_sub_i32 s0, s4, s20
	s_mov_b32 s1, exec_lo
	v_cmpx_gt_u32_e64 s0, v0
	s_cbranch_execz .LBB894_46
; %bb.45:
	ds_load_b64 v[5:6], v5
	s_waitcnt lgkmcnt(0)
	global_store_b64 v[1:2], v[5:6], off
.LBB894_46:
	s_or_b32 exec_lo, exec_lo, s1
	v_cmp_gt_u32_e64 s0, s0, v7
.LBB894_47:
	s_delay_alu instid0(VALU_DEP_1)
	s_and_saveexec_b32 s1, s0
	s_cbranch_execz .LBB894_49
; %bb.48:
	v_add_co_u32 v0, vcc_lo, 0x1000, v1
	v_add_co_ci_u32_e32 v1, vcc_lo, 0, v2, vcc_lo
	s_waitcnt lgkmcnt(0)
	global_store_b64 v[0:1], v[3:4], off
.LBB894_49:
	s_nop 0
	s_sendmsg sendmsg(MSG_DEALLOC_VGPRS)
	s_endpgm
	.section	.rodata,"a",@progbits
	.p2align	6, 0x0
	.amdhsa_kernel _ZN7rocprim17ROCPRIM_400000_NS6detail17trampoline_kernelINS0_14default_configENS1_38merge_sort_block_merge_config_selectorIlNS0_10empty_typeEEEZZNS1_27merge_sort_block_merge_implIS3_PlPS5_mZN2at6native12_GLOBAL__N_124unique_dim_cuda_templateIfEESt5tupleIJNSA_6TensorESF_SF_EERKSF_lbbbEUlllE_EE10hipError_tT0_T1_T2_jT3_P12ihipStream_tbPNSt15iterator_traitsISL_E10value_typeEPNSR_ISM_E10value_typeEPSN_NS1_7vsmem_tEENKUlT_SL_SM_SN_E_clIS8_S8_S9_S9_EESK_S10_SL_SM_SN_EUlS10_E0_NS1_11comp_targetILNS1_3genE9ELNS1_11target_archE1100ELNS1_3gpuE3ELNS1_3repE0EEENS1_38merge_mergepath_config_static_selectorELNS0_4arch9wavefront6targetE0EEEvSM_
		.amdhsa_group_segment_fixed_size 8448
		.amdhsa_private_segment_fixed_size 0
		.amdhsa_kernarg_size 344
		.amdhsa_user_sgpr_count 13
		.amdhsa_user_sgpr_dispatch_ptr 0
		.amdhsa_user_sgpr_queue_ptr 0
		.amdhsa_user_sgpr_kernarg_segment_ptr 1
		.amdhsa_user_sgpr_dispatch_id 0
		.amdhsa_user_sgpr_private_segment_size 0
		.amdhsa_wavefront_size32 1
		.amdhsa_uses_dynamic_stack 0
		.amdhsa_enable_private_segment 0
		.amdhsa_system_sgpr_workgroup_id_x 1
		.amdhsa_system_sgpr_workgroup_id_y 1
		.amdhsa_system_sgpr_workgroup_id_z 1
		.amdhsa_system_sgpr_workgroup_info 0
		.amdhsa_system_vgpr_workitem_id 0
		.amdhsa_next_free_vgpr 21
		.amdhsa_next_free_sgpr 32
		.amdhsa_reserve_vcc 1
		.amdhsa_float_round_mode_32 0
		.amdhsa_float_round_mode_16_64 0
		.amdhsa_float_denorm_mode_32 3
		.amdhsa_float_denorm_mode_16_64 3
		.amdhsa_dx10_clamp 1
		.amdhsa_ieee_mode 1
		.amdhsa_fp16_overflow 0
		.amdhsa_workgroup_processor_mode 1
		.amdhsa_memory_ordered 1
		.amdhsa_forward_progress 0
		.amdhsa_shared_vgpr_count 0
		.amdhsa_exception_fp_ieee_invalid_op 0
		.amdhsa_exception_fp_denorm_src 0
		.amdhsa_exception_fp_ieee_div_zero 0
		.amdhsa_exception_fp_ieee_overflow 0
		.amdhsa_exception_fp_ieee_underflow 0
		.amdhsa_exception_fp_ieee_inexact 0
		.amdhsa_exception_int_div_zero 0
	.end_amdhsa_kernel
	.section	.text._ZN7rocprim17ROCPRIM_400000_NS6detail17trampoline_kernelINS0_14default_configENS1_38merge_sort_block_merge_config_selectorIlNS0_10empty_typeEEEZZNS1_27merge_sort_block_merge_implIS3_PlPS5_mZN2at6native12_GLOBAL__N_124unique_dim_cuda_templateIfEESt5tupleIJNSA_6TensorESF_SF_EERKSF_lbbbEUlllE_EE10hipError_tT0_T1_T2_jT3_P12ihipStream_tbPNSt15iterator_traitsISL_E10value_typeEPNSR_ISM_E10value_typeEPSN_NS1_7vsmem_tEENKUlT_SL_SM_SN_E_clIS8_S8_S9_S9_EESK_S10_SL_SM_SN_EUlS10_E0_NS1_11comp_targetILNS1_3genE9ELNS1_11target_archE1100ELNS1_3gpuE3ELNS1_3repE0EEENS1_38merge_mergepath_config_static_selectorELNS0_4arch9wavefront6targetE0EEEvSM_,"axG",@progbits,_ZN7rocprim17ROCPRIM_400000_NS6detail17trampoline_kernelINS0_14default_configENS1_38merge_sort_block_merge_config_selectorIlNS0_10empty_typeEEEZZNS1_27merge_sort_block_merge_implIS3_PlPS5_mZN2at6native12_GLOBAL__N_124unique_dim_cuda_templateIfEESt5tupleIJNSA_6TensorESF_SF_EERKSF_lbbbEUlllE_EE10hipError_tT0_T1_T2_jT3_P12ihipStream_tbPNSt15iterator_traitsISL_E10value_typeEPNSR_ISM_E10value_typeEPSN_NS1_7vsmem_tEENKUlT_SL_SM_SN_E_clIS8_S8_S9_S9_EESK_S10_SL_SM_SN_EUlS10_E0_NS1_11comp_targetILNS1_3genE9ELNS1_11target_archE1100ELNS1_3gpuE3ELNS1_3repE0EEENS1_38merge_mergepath_config_static_selectorELNS0_4arch9wavefront6targetE0EEEvSM_,comdat
.Lfunc_end894:
	.size	_ZN7rocprim17ROCPRIM_400000_NS6detail17trampoline_kernelINS0_14default_configENS1_38merge_sort_block_merge_config_selectorIlNS0_10empty_typeEEEZZNS1_27merge_sort_block_merge_implIS3_PlPS5_mZN2at6native12_GLOBAL__N_124unique_dim_cuda_templateIfEESt5tupleIJNSA_6TensorESF_SF_EERKSF_lbbbEUlllE_EE10hipError_tT0_T1_T2_jT3_P12ihipStream_tbPNSt15iterator_traitsISL_E10value_typeEPNSR_ISM_E10value_typeEPSN_NS1_7vsmem_tEENKUlT_SL_SM_SN_E_clIS8_S8_S9_S9_EESK_S10_SL_SM_SN_EUlS10_E0_NS1_11comp_targetILNS1_3genE9ELNS1_11target_archE1100ELNS1_3gpuE3ELNS1_3repE0EEENS1_38merge_mergepath_config_static_selectorELNS0_4arch9wavefront6targetE0EEEvSM_, .Lfunc_end894-_ZN7rocprim17ROCPRIM_400000_NS6detail17trampoline_kernelINS0_14default_configENS1_38merge_sort_block_merge_config_selectorIlNS0_10empty_typeEEEZZNS1_27merge_sort_block_merge_implIS3_PlPS5_mZN2at6native12_GLOBAL__N_124unique_dim_cuda_templateIfEESt5tupleIJNSA_6TensorESF_SF_EERKSF_lbbbEUlllE_EE10hipError_tT0_T1_T2_jT3_P12ihipStream_tbPNSt15iterator_traitsISL_E10value_typeEPNSR_ISM_E10value_typeEPSN_NS1_7vsmem_tEENKUlT_SL_SM_SN_E_clIS8_S8_S9_S9_EESK_S10_SL_SM_SN_EUlS10_E0_NS1_11comp_targetILNS1_3genE9ELNS1_11target_archE1100ELNS1_3gpuE3ELNS1_3repE0EEENS1_38merge_mergepath_config_static_selectorELNS0_4arch9wavefront6targetE0EEEvSM_
                                        ; -- End function
	.section	.AMDGPU.csdata,"",@progbits
; Kernel info:
; codeLenInByte = 2852
; NumSgprs: 34
; NumVgprs: 21
; ScratchSize: 0
; MemoryBound: 0
; FloatMode: 240
; IeeeMode: 1
; LDSByteSize: 8448 bytes/workgroup (compile time only)
; SGPRBlocks: 4
; VGPRBlocks: 2
; NumSGPRsForWavesPerEU: 34
; NumVGPRsForWavesPerEU: 21
; Occupancy: 16
; WaveLimiterHint : 1
; COMPUTE_PGM_RSRC2:SCRATCH_EN: 0
; COMPUTE_PGM_RSRC2:USER_SGPR: 13
; COMPUTE_PGM_RSRC2:TRAP_HANDLER: 0
; COMPUTE_PGM_RSRC2:TGID_X_EN: 1
; COMPUTE_PGM_RSRC2:TGID_Y_EN: 1
; COMPUTE_PGM_RSRC2:TGID_Z_EN: 1
; COMPUTE_PGM_RSRC2:TIDIG_COMP_CNT: 0
	.section	.text._ZN7rocprim17ROCPRIM_400000_NS6detail17trampoline_kernelINS0_14default_configENS1_38merge_sort_block_merge_config_selectorIlNS0_10empty_typeEEEZZNS1_27merge_sort_block_merge_implIS3_PlPS5_mZN2at6native12_GLOBAL__N_124unique_dim_cuda_templateIfEESt5tupleIJNSA_6TensorESF_SF_EERKSF_lbbbEUlllE_EE10hipError_tT0_T1_T2_jT3_P12ihipStream_tbPNSt15iterator_traitsISL_E10value_typeEPNSR_ISM_E10value_typeEPSN_NS1_7vsmem_tEENKUlT_SL_SM_SN_E_clIS8_S8_S9_S9_EESK_S10_SL_SM_SN_EUlS10_E0_NS1_11comp_targetILNS1_3genE8ELNS1_11target_archE1030ELNS1_3gpuE2ELNS1_3repE0EEENS1_38merge_mergepath_config_static_selectorELNS0_4arch9wavefront6targetE0EEEvSM_,"axG",@progbits,_ZN7rocprim17ROCPRIM_400000_NS6detail17trampoline_kernelINS0_14default_configENS1_38merge_sort_block_merge_config_selectorIlNS0_10empty_typeEEEZZNS1_27merge_sort_block_merge_implIS3_PlPS5_mZN2at6native12_GLOBAL__N_124unique_dim_cuda_templateIfEESt5tupleIJNSA_6TensorESF_SF_EERKSF_lbbbEUlllE_EE10hipError_tT0_T1_T2_jT3_P12ihipStream_tbPNSt15iterator_traitsISL_E10value_typeEPNSR_ISM_E10value_typeEPSN_NS1_7vsmem_tEENKUlT_SL_SM_SN_E_clIS8_S8_S9_S9_EESK_S10_SL_SM_SN_EUlS10_E0_NS1_11comp_targetILNS1_3genE8ELNS1_11target_archE1030ELNS1_3gpuE2ELNS1_3repE0EEENS1_38merge_mergepath_config_static_selectorELNS0_4arch9wavefront6targetE0EEEvSM_,comdat
	.globl	_ZN7rocprim17ROCPRIM_400000_NS6detail17trampoline_kernelINS0_14default_configENS1_38merge_sort_block_merge_config_selectorIlNS0_10empty_typeEEEZZNS1_27merge_sort_block_merge_implIS3_PlPS5_mZN2at6native12_GLOBAL__N_124unique_dim_cuda_templateIfEESt5tupleIJNSA_6TensorESF_SF_EERKSF_lbbbEUlllE_EE10hipError_tT0_T1_T2_jT3_P12ihipStream_tbPNSt15iterator_traitsISL_E10value_typeEPNSR_ISM_E10value_typeEPSN_NS1_7vsmem_tEENKUlT_SL_SM_SN_E_clIS8_S8_S9_S9_EESK_S10_SL_SM_SN_EUlS10_E0_NS1_11comp_targetILNS1_3genE8ELNS1_11target_archE1030ELNS1_3gpuE2ELNS1_3repE0EEENS1_38merge_mergepath_config_static_selectorELNS0_4arch9wavefront6targetE0EEEvSM_ ; -- Begin function _ZN7rocprim17ROCPRIM_400000_NS6detail17trampoline_kernelINS0_14default_configENS1_38merge_sort_block_merge_config_selectorIlNS0_10empty_typeEEEZZNS1_27merge_sort_block_merge_implIS3_PlPS5_mZN2at6native12_GLOBAL__N_124unique_dim_cuda_templateIfEESt5tupleIJNSA_6TensorESF_SF_EERKSF_lbbbEUlllE_EE10hipError_tT0_T1_T2_jT3_P12ihipStream_tbPNSt15iterator_traitsISL_E10value_typeEPNSR_ISM_E10value_typeEPSN_NS1_7vsmem_tEENKUlT_SL_SM_SN_E_clIS8_S8_S9_S9_EESK_S10_SL_SM_SN_EUlS10_E0_NS1_11comp_targetILNS1_3genE8ELNS1_11target_archE1030ELNS1_3gpuE2ELNS1_3repE0EEENS1_38merge_mergepath_config_static_selectorELNS0_4arch9wavefront6targetE0EEEvSM_
	.p2align	8
	.type	_ZN7rocprim17ROCPRIM_400000_NS6detail17trampoline_kernelINS0_14default_configENS1_38merge_sort_block_merge_config_selectorIlNS0_10empty_typeEEEZZNS1_27merge_sort_block_merge_implIS3_PlPS5_mZN2at6native12_GLOBAL__N_124unique_dim_cuda_templateIfEESt5tupleIJNSA_6TensorESF_SF_EERKSF_lbbbEUlllE_EE10hipError_tT0_T1_T2_jT3_P12ihipStream_tbPNSt15iterator_traitsISL_E10value_typeEPNSR_ISM_E10value_typeEPSN_NS1_7vsmem_tEENKUlT_SL_SM_SN_E_clIS8_S8_S9_S9_EESK_S10_SL_SM_SN_EUlS10_E0_NS1_11comp_targetILNS1_3genE8ELNS1_11target_archE1030ELNS1_3gpuE2ELNS1_3repE0EEENS1_38merge_mergepath_config_static_selectorELNS0_4arch9wavefront6targetE0EEEvSM_,@function
_ZN7rocprim17ROCPRIM_400000_NS6detail17trampoline_kernelINS0_14default_configENS1_38merge_sort_block_merge_config_selectorIlNS0_10empty_typeEEEZZNS1_27merge_sort_block_merge_implIS3_PlPS5_mZN2at6native12_GLOBAL__N_124unique_dim_cuda_templateIfEESt5tupleIJNSA_6TensorESF_SF_EERKSF_lbbbEUlllE_EE10hipError_tT0_T1_T2_jT3_P12ihipStream_tbPNSt15iterator_traitsISL_E10value_typeEPNSR_ISM_E10value_typeEPSN_NS1_7vsmem_tEENKUlT_SL_SM_SN_E_clIS8_S8_S9_S9_EESK_S10_SL_SM_SN_EUlS10_E0_NS1_11comp_targetILNS1_3genE8ELNS1_11target_archE1030ELNS1_3gpuE2ELNS1_3repE0EEENS1_38merge_mergepath_config_static_selectorELNS0_4arch9wavefront6targetE0EEEvSM_: ; @_ZN7rocprim17ROCPRIM_400000_NS6detail17trampoline_kernelINS0_14default_configENS1_38merge_sort_block_merge_config_selectorIlNS0_10empty_typeEEEZZNS1_27merge_sort_block_merge_implIS3_PlPS5_mZN2at6native12_GLOBAL__N_124unique_dim_cuda_templateIfEESt5tupleIJNSA_6TensorESF_SF_EERKSF_lbbbEUlllE_EE10hipError_tT0_T1_T2_jT3_P12ihipStream_tbPNSt15iterator_traitsISL_E10value_typeEPNSR_ISM_E10value_typeEPSN_NS1_7vsmem_tEENKUlT_SL_SM_SN_E_clIS8_S8_S9_S9_EESK_S10_SL_SM_SN_EUlS10_E0_NS1_11comp_targetILNS1_3genE8ELNS1_11target_archE1030ELNS1_3gpuE2ELNS1_3repE0EEENS1_38merge_mergepath_config_static_selectorELNS0_4arch9wavefront6targetE0EEEvSM_
; %bb.0:
	.section	.rodata,"a",@progbits
	.p2align	6, 0x0
	.amdhsa_kernel _ZN7rocprim17ROCPRIM_400000_NS6detail17trampoline_kernelINS0_14default_configENS1_38merge_sort_block_merge_config_selectorIlNS0_10empty_typeEEEZZNS1_27merge_sort_block_merge_implIS3_PlPS5_mZN2at6native12_GLOBAL__N_124unique_dim_cuda_templateIfEESt5tupleIJNSA_6TensorESF_SF_EERKSF_lbbbEUlllE_EE10hipError_tT0_T1_T2_jT3_P12ihipStream_tbPNSt15iterator_traitsISL_E10value_typeEPNSR_ISM_E10value_typeEPSN_NS1_7vsmem_tEENKUlT_SL_SM_SN_E_clIS8_S8_S9_S9_EESK_S10_SL_SM_SN_EUlS10_E0_NS1_11comp_targetILNS1_3genE8ELNS1_11target_archE1030ELNS1_3gpuE2ELNS1_3repE0EEENS1_38merge_mergepath_config_static_selectorELNS0_4arch9wavefront6targetE0EEEvSM_
		.amdhsa_group_segment_fixed_size 0
		.amdhsa_private_segment_fixed_size 0
		.amdhsa_kernarg_size 88
		.amdhsa_user_sgpr_count 15
		.amdhsa_user_sgpr_dispatch_ptr 0
		.amdhsa_user_sgpr_queue_ptr 0
		.amdhsa_user_sgpr_kernarg_segment_ptr 1
		.amdhsa_user_sgpr_dispatch_id 0
		.amdhsa_user_sgpr_private_segment_size 0
		.amdhsa_wavefront_size32 1
		.amdhsa_uses_dynamic_stack 0
		.amdhsa_enable_private_segment 0
		.amdhsa_system_sgpr_workgroup_id_x 1
		.amdhsa_system_sgpr_workgroup_id_y 0
		.amdhsa_system_sgpr_workgroup_id_z 0
		.amdhsa_system_sgpr_workgroup_info 0
		.amdhsa_system_vgpr_workitem_id 0
		.amdhsa_next_free_vgpr 1
		.amdhsa_next_free_sgpr 1
		.amdhsa_reserve_vcc 0
		.amdhsa_float_round_mode_32 0
		.amdhsa_float_round_mode_16_64 0
		.amdhsa_float_denorm_mode_32 3
		.amdhsa_float_denorm_mode_16_64 3
		.amdhsa_dx10_clamp 1
		.amdhsa_ieee_mode 1
		.amdhsa_fp16_overflow 0
		.amdhsa_workgroup_processor_mode 1
		.amdhsa_memory_ordered 1
		.amdhsa_forward_progress 0
		.amdhsa_shared_vgpr_count 0
		.amdhsa_exception_fp_ieee_invalid_op 0
		.amdhsa_exception_fp_denorm_src 0
		.amdhsa_exception_fp_ieee_div_zero 0
		.amdhsa_exception_fp_ieee_overflow 0
		.amdhsa_exception_fp_ieee_underflow 0
		.amdhsa_exception_fp_ieee_inexact 0
		.amdhsa_exception_int_div_zero 0
	.end_amdhsa_kernel
	.section	.text._ZN7rocprim17ROCPRIM_400000_NS6detail17trampoline_kernelINS0_14default_configENS1_38merge_sort_block_merge_config_selectorIlNS0_10empty_typeEEEZZNS1_27merge_sort_block_merge_implIS3_PlPS5_mZN2at6native12_GLOBAL__N_124unique_dim_cuda_templateIfEESt5tupleIJNSA_6TensorESF_SF_EERKSF_lbbbEUlllE_EE10hipError_tT0_T1_T2_jT3_P12ihipStream_tbPNSt15iterator_traitsISL_E10value_typeEPNSR_ISM_E10value_typeEPSN_NS1_7vsmem_tEENKUlT_SL_SM_SN_E_clIS8_S8_S9_S9_EESK_S10_SL_SM_SN_EUlS10_E0_NS1_11comp_targetILNS1_3genE8ELNS1_11target_archE1030ELNS1_3gpuE2ELNS1_3repE0EEENS1_38merge_mergepath_config_static_selectorELNS0_4arch9wavefront6targetE0EEEvSM_,"axG",@progbits,_ZN7rocprim17ROCPRIM_400000_NS6detail17trampoline_kernelINS0_14default_configENS1_38merge_sort_block_merge_config_selectorIlNS0_10empty_typeEEEZZNS1_27merge_sort_block_merge_implIS3_PlPS5_mZN2at6native12_GLOBAL__N_124unique_dim_cuda_templateIfEESt5tupleIJNSA_6TensorESF_SF_EERKSF_lbbbEUlllE_EE10hipError_tT0_T1_T2_jT3_P12ihipStream_tbPNSt15iterator_traitsISL_E10value_typeEPNSR_ISM_E10value_typeEPSN_NS1_7vsmem_tEENKUlT_SL_SM_SN_E_clIS8_S8_S9_S9_EESK_S10_SL_SM_SN_EUlS10_E0_NS1_11comp_targetILNS1_3genE8ELNS1_11target_archE1030ELNS1_3gpuE2ELNS1_3repE0EEENS1_38merge_mergepath_config_static_selectorELNS0_4arch9wavefront6targetE0EEEvSM_,comdat
.Lfunc_end895:
	.size	_ZN7rocprim17ROCPRIM_400000_NS6detail17trampoline_kernelINS0_14default_configENS1_38merge_sort_block_merge_config_selectorIlNS0_10empty_typeEEEZZNS1_27merge_sort_block_merge_implIS3_PlPS5_mZN2at6native12_GLOBAL__N_124unique_dim_cuda_templateIfEESt5tupleIJNSA_6TensorESF_SF_EERKSF_lbbbEUlllE_EE10hipError_tT0_T1_T2_jT3_P12ihipStream_tbPNSt15iterator_traitsISL_E10value_typeEPNSR_ISM_E10value_typeEPSN_NS1_7vsmem_tEENKUlT_SL_SM_SN_E_clIS8_S8_S9_S9_EESK_S10_SL_SM_SN_EUlS10_E0_NS1_11comp_targetILNS1_3genE8ELNS1_11target_archE1030ELNS1_3gpuE2ELNS1_3repE0EEENS1_38merge_mergepath_config_static_selectorELNS0_4arch9wavefront6targetE0EEEvSM_, .Lfunc_end895-_ZN7rocprim17ROCPRIM_400000_NS6detail17trampoline_kernelINS0_14default_configENS1_38merge_sort_block_merge_config_selectorIlNS0_10empty_typeEEEZZNS1_27merge_sort_block_merge_implIS3_PlPS5_mZN2at6native12_GLOBAL__N_124unique_dim_cuda_templateIfEESt5tupleIJNSA_6TensorESF_SF_EERKSF_lbbbEUlllE_EE10hipError_tT0_T1_T2_jT3_P12ihipStream_tbPNSt15iterator_traitsISL_E10value_typeEPNSR_ISM_E10value_typeEPSN_NS1_7vsmem_tEENKUlT_SL_SM_SN_E_clIS8_S8_S9_S9_EESK_S10_SL_SM_SN_EUlS10_E0_NS1_11comp_targetILNS1_3genE8ELNS1_11target_archE1030ELNS1_3gpuE2ELNS1_3repE0EEENS1_38merge_mergepath_config_static_selectorELNS0_4arch9wavefront6targetE0EEEvSM_
                                        ; -- End function
	.section	.AMDGPU.csdata,"",@progbits
; Kernel info:
; codeLenInByte = 0
; NumSgprs: 0
; NumVgprs: 0
; ScratchSize: 0
; MemoryBound: 0
; FloatMode: 240
; IeeeMode: 1
; LDSByteSize: 0 bytes/workgroup (compile time only)
; SGPRBlocks: 0
; VGPRBlocks: 0
; NumSGPRsForWavesPerEU: 1
; NumVGPRsForWavesPerEU: 1
; Occupancy: 16
; WaveLimiterHint : 0
; COMPUTE_PGM_RSRC2:SCRATCH_EN: 0
; COMPUTE_PGM_RSRC2:USER_SGPR: 15
; COMPUTE_PGM_RSRC2:TRAP_HANDLER: 0
; COMPUTE_PGM_RSRC2:TGID_X_EN: 1
; COMPUTE_PGM_RSRC2:TGID_Y_EN: 0
; COMPUTE_PGM_RSRC2:TGID_Z_EN: 0
; COMPUTE_PGM_RSRC2:TIDIG_COMP_CNT: 0
	.section	.text._ZN7rocprim17ROCPRIM_400000_NS6detail17trampoline_kernelINS0_14default_configENS1_38merge_sort_block_merge_config_selectorIlNS0_10empty_typeEEEZZNS1_27merge_sort_block_merge_implIS3_PlPS5_mZN2at6native12_GLOBAL__N_124unique_dim_cuda_templateIfEESt5tupleIJNSA_6TensorESF_SF_EERKSF_lbbbEUlllE_EE10hipError_tT0_T1_T2_jT3_P12ihipStream_tbPNSt15iterator_traitsISL_E10value_typeEPNSR_ISM_E10value_typeEPSN_NS1_7vsmem_tEENKUlT_SL_SM_SN_E_clIS8_S8_S9_S9_EESK_S10_SL_SM_SN_EUlS10_E1_NS1_11comp_targetILNS1_3genE0ELNS1_11target_archE4294967295ELNS1_3gpuE0ELNS1_3repE0EEENS1_36merge_oddeven_config_static_selectorELNS0_4arch9wavefront6targetE0EEEvSM_,"axG",@progbits,_ZN7rocprim17ROCPRIM_400000_NS6detail17trampoline_kernelINS0_14default_configENS1_38merge_sort_block_merge_config_selectorIlNS0_10empty_typeEEEZZNS1_27merge_sort_block_merge_implIS3_PlPS5_mZN2at6native12_GLOBAL__N_124unique_dim_cuda_templateIfEESt5tupleIJNSA_6TensorESF_SF_EERKSF_lbbbEUlllE_EE10hipError_tT0_T1_T2_jT3_P12ihipStream_tbPNSt15iterator_traitsISL_E10value_typeEPNSR_ISM_E10value_typeEPSN_NS1_7vsmem_tEENKUlT_SL_SM_SN_E_clIS8_S8_S9_S9_EESK_S10_SL_SM_SN_EUlS10_E1_NS1_11comp_targetILNS1_3genE0ELNS1_11target_archE4294967295ELNS1_3gpuE0ELNS1_3repE0EEENS1_36merge_oddeven_config_static_selectorELNS0_4arch9wavefront6targetE0EEEvSM_,comdat
	.globl	_ZN7rocprim17ROCPRIM_400000_NS6detail17trampoline_kernelINS0_14default_configENS1_38merge_sort_block_merge_config_selectorIlNS0_10empty_typeEEEZZNS1_27merge_sort_block_merge_implIS3_PlPS5_mZN2at6native12_GLOBAL__N_124unique_dim_cuda_templateIfEESt5tupleIJNSA_6TensorESF_SF_EERKSF_lbbbEUlllE_EE10hipError_tT0_T1_T2_jT3_P12ihipStream_tbPNSt15iterator_traitsISL_E10value_typeEPNSR_ISM_E10value_typeEPSN_NS1_7vsmem_tEENKUlT_SL_SM_SN_E_clIS8_S8_S9_S9_EESK_S10_SL_SM_SN_EUlS10_E1_NS1_11comp_targetILNS1_3genE0ELNS1_11target_archE4294967295ELNS1_3gpuE0ELNS1_3repE0EEENS1_36merge_oddeven_config_static_selectorELNS0_4arch9wavefront6targetE0EEEvSM_ ; -- Begin function _ZN7rocprim17ROCPRIM_400000_NS6detail17trampoline_kernelINS0_14default_configENS1_38merge_sort_block_merge_config_selectorIlNS0_10empty_typeEEEZZNS1_27merge_sort_block_merge_implIS3_PlPS5_mZN2at6native12_GLOBAL__N_124unique_dim_cuda_templateIfEESt5tupleIJNSA_6TensorESF_SF_EERKSF_lbbbEUlllE_EE10hipError_tT0_T1_T2_jT3_P12ihipStream_tbPNSt15iterator_traitsISL_E10value_typeEPNSR_ISM_E10value_typeEPSN_NS1_7vsmem_tEENKUlT_SL_SM_SN_E_clIS8_S8_S9_S9_EESK_S10_SL_SM_SN_EUlS10_E1_NS1_11comp_targetILNS1_3genE0ELNS1_11target_archE4294967295ELNS1_3gpuE0ELNS1_3repE0EEENS1_36merge_oddeven_config_static_selectorELNS0_4arch9wavefront6targetE0EEEvSM_
	.p2align	8
	.type	_ZN7rocprim17ROCPRIM_400000_NS6detail17trampoline_kernelINS0_14default_configENS1_38merge_sort_block_merge_config_selectorIlNS0_10empty_typeEEEZZNS1_27merge_sort_block_merge_implIS3_PlPS5_mZN2at6native12_GLOBAL__N_124unique_dim_cuda_templateIfEESt5tupleIJNSA_6TensorESF_SF_EERKSF_lbbbEUlllE_EE10hipError_tT0_T1_T2_jT3_P12ihipStream_tbPNSt15iterator_traitsISL_E10value_typeEPNSR_ISM_E10value_typeEPSN_NS1_7vsmem_tEENKUlT_SL_SM_SN_E_clIS8_S8_S9_S9_EESK_S10_SL_SM_SN_EUlS10_E1_NS1_11comp_targetILNS1_3genE0ELNS1_11target_archE4294967295ELNS1_3gpuE0ELNS1_3repE0EEENS1_36merge_oddeven_config_static_selectorELNS0_4arch9wavefront6targetE0EEEvSM_,@function
_ZN7rocprim17ROCPRIM_400000_NS6detail17trampoline_kernelINS0_14default_configENS1_38merge_sort_block_merge_config_selectorIlNS0_10empty_typeEEEZZNS1_27merge_sort_block_merge_implIS3_PlPS5_mZN2at6native12_GLOBAL__N_124unique_dim_cuda_templateIfEESt5tupleIJNSA_6TensorESF_SF_EERKSF_lbbbEUlllE_EE10hipError_tT0_T1_T2_jT3_P12ihipStream_tbPNSt15iterator_traitsISL_E10value_typeEPNSR_ISM_E10value_typeEPSN_NS1_7vsmem_tEENKUlT_SL_SM_SN_E_clIS8_S8_S9_S9_EESK_S10_SL_SM_SN_EUlS10_E1_NS1_11comp_targetILNS1_3genE0ELNS1_11target_archE4294967295ELNS1_3gpuE0ELNS1_3repE0EEENS1_36merge_oddeven_config_static_selectorELNS0_4arch9wavefront6targetE0EEEvSM_: ; @_ZN7rocprim17ROCPRIM_400000_NS6detail17trampoline_kernelINS0_14default_configENS1_38merge_sort_block_merge_config_selectorIlNS0_10empty_typeEEEZZNS1_27merge_sort_block_merge_implIS3_PlPS5_mZN2at6native12_GLOBAL__N_124unique_dim_cuda_templateIfEESt5tupleIJNSA_6TensorESF_SF_EERKSF_lbbbEUlllE_EE10hipError_tT0_T1_T2_jT3_P12ihipStream_tbPNSt15iterator_traitsISL_E10value_typeEPNSR_ISM_E10value_typeEPSN_NS1_7vsmem_tEENKUlT_SL_SM_SN_E_clIS8_S8_S9_S9_EESK_S10_SL_SM_SN_EUlS10_E1_NS1_11comp_targetILNS1_3genE0ELNS1_11target_archE4294967295ELNS1_3gpuE0ELNS1_3repE0EEENS1_36merge_oddeven_config_static_selectorELNS0_4arch9wavefront6targetE0EEEvSM_
; %bb.0:
	.section	.rodata,"a",@progbits
	.p2align	6, 0x0
	.amdhsa_kernel _ZN7rocprim17ROCPRIM_400000_NS6detail17trampoline_kernelINS0_14default_configENS1_38merge_sort_block_merge_config_selectorIlNS0_10empty_typeEEEZZNS1_27merge_sort_block_merge_implIS3_PlPS5_mZN2at6native12_GLOBAL__N_124unique_dim_cuda_templateIfEESt5tupleIJNSA_6TensorESF_SF_EERKSF_lbbbEUlllE_EE10hipError_tT0_T1_T2_jT3_P12ihipStream_tbPNSt15iterator_traitsISL_E10value_typeEPNSR_ISM_E10value_typeEPSN_NS1_7vsmem_tEENKUlT_SL_SM_SN_E_clIS8_S8_S9_S9_EESK_S10_SL_SM_SN_EUlS10_E1_NS1_11comp_targetILNS1_3genE0ELNS1_11target_archE4294967295ELNS1_3gpuE0ELNS1_3repE0EEENS1_36merge_oddeven_config_static_selectorELNS0_4arch9wavefront6targetE0EEEvSM_
		.amdhsa_group_segment_fixed_size 0
		.amdhsa_private_segment_fixed_size 0
		.amdhsa_kernarg_size 64
		.amdhsa_user_sgpr_count 15
		.amdhsa_user_sgpr_dispatch_ptr 0
		.amdhsa_user_sgpr_queue_ptr 0
		.amdhsa_user_sgpr_kernarg_segment_ptr 1
		.amdhsa_user_sgpr_dispatch_id 0
		.amdhsa_user_sgpr_private_segment_size 0
		.amdhsa_wavefront_size32 1
		.amdhsa_uses_dynamic_stack 0
		.amdhsa_enable_private_segment 0
		.amdhsa_system_sgpr_workgroup_id_x 1
		.amdhsa_system_sgpr_workgroup_id_y 0
		.amdhsa_system_sgpr_workgroup_id_z 0
		.amdhsa_system_sgpr_workgroup_info 0
		.amdhsa_system_vgpr_workitem_id 0
		.amdhsa_next_free_vgpr 1
		.amdhsa_next_free_sgpr 1
		.amdhsa_reserve_vcc 0
		.amdhsa_float_round_mode_32 0
		.amdhsa_float_round_mode_16_64 0
		.amdhsa_float_denorm_mode_32 3
		.amdhsa_float_denorm_mode_16_64 3
		.amdhsa_dx10_clamp 1
		.amdhsa_ieee_mode 1
		.amdhsa_fp16_overflow 0
		.amdhsa_workgroup_processor_mode 1
		.amdhsa_memory_ordered 1
		.amdhsa_forward_progress 0
		.amdhsa_shared_vgpr_count 0
		.amdhsa_exception_fp_ieee_invalid_op 0
		.amdhsa_exception_fp_denorm_src 0
		.amdhsa_exception_fp_ieee_div_zero 0
		.amdhsa_exception_fp_ieee_overflow 0
		.amdhsa_exception_fp_ieee_underflow 0
		.amdhsa_exception_fp_ieee_inexact 0
		.amdhsa_exception_int_div_zero 0
	.end_amdhsa_kernel
	.section	.text._ZN7rocprim17ROCPRIM_400000_NS6detail17trampoline_kernelINS0_14default_configENS1_38merge_sort_block_merge_config_selectorIlNS0_10empty_typeEEEZZNS1_27merge_sort_block_merge_implIS3_PlPS5_mZN2at6native12_GLOBAL__N_124unique_dim_cuda_templateIfEESt5tupleIJNSA_6TensorESF_SF_EERKSF_lbbbEUlllE_EE10hipError_tT0_T1_T2_jT3_P12ihipStream_tbPNSt15iterator_traitsISL_E10value_typeEPNSR_ISM_E10value_typeEPSN_NS1_7vsmem_tEENKUlT_SL_SM_SN_E_clIS8_S8_S9_S9_EESK_S10_SL_SM_SN_EUlS10_E1_NS1_11comp_targetILNS1_3genE0ELNS1_11target_archE4294967295ELNS1_3gpuE0ELNS1_3repE0EEENS1_36merge_oddeven_config_static_selectorELNS0_4arch9wavefront6targetE0EEEvSM_,"axG",@progbits,_ZN7rocprim17ROCPRIM_400000_NS6detail17trampoline_kernelINS0_14default_configENS1_38merge_sort_block_merge_config_selectorIlNS0_10empty_typeEEEZZNS1_27merge_sort_block_merge_implIS3_PlPS5_mZN2at6native12_GLOBAL__N_124unique_dim_cuda_templateIfEESt5tupleIJNSA_6TensorESF_SF_EERKSF_lbbbEUlllE_EE10hipError_tT0_T1_T2_jT3_P12ihipStream_tbPNSt15iterator_traitsISL_E10value_typeEPNSR_ISM_E10value_typeEPSN_NS1_7vsmem_tEENKUlT_SL_SM_SN_E_clIS8_S8_S9_S9_EESK_S10_SL_SM_SN_EUlS10_E1_NS1_11comp_targetILNS1_3genE0ELNS1_11target_archE4294967295ELNS1_3gpuE0ELNS1_3repE0EEENS1_36merge_oddeven_config_static_selectorELNS0_4arch9wavefront6targetE0EEEvSM_,comdat
.Lfunc_end896:
	.size	_ZN7rocprim17ROCPRIM_400000_NS6detail17trampoline_kernelINS0_14default_configENS1_38merge_sort_block_merge_config_selectorIlNS0_10empty_typeEEEZZNS1_27merge_sort_block_merge_implIS3_PlPS5_mZN2at6native12_GLOBAL__N_124unique_dim_cuda_templateIfEESt5tupleIJNSA_6TensorESF_SF_EERKSF_lbbbEUlllE_EE10hipError_tT0_T1_T2_jT3_P12ihipStream_tbPNSt15iterator_traitsISL_E10value_typeEPNSR_ISM_E10value_typeEPSN_NS1_7vsmem_tEENKUlT_SL_SM_SN_E_clIS8_S8_S9_S9_EESK_S10_SL_SM_SN_EUlS10_E1_NS1_11comp_targetILNS1_3genE0ELNS1_11target_archE4294967295ELNS1_3gpuE0ELNS1_3repE0EEENS1_36merge_oddeven_config_static_selectorELNS0_4arch9wavefront6targetE0EEEvSM_, .Lfunc_end896-_ZN7rocprim17ROCPRIM_400000_NS6detail17trampoline_kernelINS0_14default_configENS1_38merge_sort_block_merge_config_selectorIlNS0_10empty_typeEEEZZNS1_27merge_sort_block_merge_implIS3_PlPS5_mZN2at6native12_GLOBAL__N_124unique_dim_cuda_templateIfEESt5tupleIJNSA_6TensorESF_SF_EERKSF_lbbbEUlllE_EE10hipError_tT0_T1_T2_jT3_P12ihipStream_tbPNSt15iterator_traitsISL_E10value_typeEPNSR_ISM_E10value_typeEPSN_NS1_7vsmem_tEENKUlT_SL_SM_SN_E_clIS8_S8_S9_S9_EESK_S10_SL_SM_SN_EUlS10_E1_NS1_11comp_targetILNS1_3genE0ELNS1_11target_archE4294967295ELNS1_3gpuE0ELNS1_3repE0EEENS1_36merge_oddeven_config_static_selectorELNS0_4arch9wavefront6targetE0EEEvSM_
                                        ; -- End function
	.section	.AMDGPU.csdata,"",@progbits
; Kernel info:
; codeLenInByte = 0
; NumSgprs: 0
; NumVgprs: 0
; ScratchSize: 0
; MemoryBound: 0
; FloatMode: 240
; IeeeMode: 1
; LDSByteSize: 0 bytes/workgroup (compile time only)
; SGPRBlocks: 0
; VGPRBlocks: 0
; NumSGPRsForWavesPerEU: 1
; NumVGPRsForWavesPerEU: 1
; Occupancy: 16
; WaveLimiterHint : 0
; COMPUTE_PGM_RSRC2:SCRATCH_EN: 0
; COMPUTE_PGM_RSRC2:USER_SGPR: 15
; COMPUTE_PGM_RSRC2:TRAP_HANDLER: 0
; COMPUTE_PGM_RSRC2:TGID_X_EN: 1
; COMPUTE_PGM_RSRC2:TGID_Y_EN: 0
; COMPUTE_PGM_RSRC2:TGID_Z_EN: 0
; COMPUTE_PGM_RSRC2:TIDIG_COMP_CNT: 0
	.section	.text._ZN7rocprim17ROCPRIM_400000_NS6detail17trampoline_kernelINS0_14default_configENS1_38merge_sort_block_merge_config_selectorIlNS0_10empty_typeEEEZZNS1_27merge_sort_block_merge_implIS3_PlPS5_mZN2at6native12_GLOBAL__N_124unique_dim_cuda_templateIfEESt5tupleIJNSA_6TensorESF_SF_EERKSF_lbbbEUlllE_EE10hipError_tT0_T1_T2_jT3_P12ihipStream_tbPNSt15iterator_traitsISL_E10value_typeEPNSR_ISM_E10value_typeEPSN_NS1_7vsmem_tEENKUlT_SL_SM_SN_E_clIS8_S8_S9_S9_EESK_S10_SL_SM_SN_EUlS10_E1_NS1_11comp_targetILNS1_3genE10ELNS1_11target_archE1201ELNS1_3gpuE5ELNS1_3repE0EEENS1_36merge_oddeven_config_static_selectorELNS0_4arch9wavefront6targetE0EEEvSM_,"axG",@progbits,_ZN7rocprim17ROCPRIM_400000_NS6detail17trampoline_kernelINS0_14default_configENS1_38merge_sort_block_merge_config_selectorIlNS0_10empty_typeEEEZZNS1_27merge_sort_block_merge_implIS3_PlPS5_mZN2at6native12_GLOBAL__N_124unique_dim_cuda_templateIfEESt5tupleIJNSA_6TensorESF_SF_EERKSF_lbbbEUlllE_EE10hipError_tT0_T1_T2_jT3_P12ihipStream_tbPNSt15iterator_traitsISL_E10value_typeEPNSR_ISM_E10value_typeEPSN_NS1_7vsmem_tEENKUlT_SL_SM_SN_E_clIS8_S8_S9_S9_EESK_S10_SL_SM_SN_EUlS10_E1_NS1_11comp_targetILNS1_3genE10ELNS1_11target_archE1201ELNS1_3gpuE5ELNS1_3repE0EEENS1_36merge_oddeven_config_static_selectorELNS0_4arch9wavefront6targetE0EEEvSM_,comdat
	.globl	_ZN7rocprim17ROCPRIM_400000_NS6detail17trampoline_kernelINS0_14default_configENS1_38merge_sort_block_merge_config_selectorIlNS0_10empty_typeEEEZZNS1_27merge_sort_block_merge_implIS3_PlPS5_mZN2at6native12_GLOBAL__N_124unique_dim_cuda_templateIfEESt5tupleIJNSA_6TensorESF_SF_EERKSF_lbbbEUlllE_EE10hipError_tT0_T1_T2_jT3_P12ihipStream_tbPNSt15iterator_traitsISL_E10value_typeEPNSR_ISM_E10value_typeEPSN_NS1_7vsmem_tEENKUlT_SL_SM_SN_E_clIS8_S8_S9_S9_EESK_S10_SL_SM_SN_EUlS10_E1_NS1_11comp_targetILNS1_3genE10ELNS1_11target_archE1201ELNS1_3gpuE5ELNS1_3repE0EEENS1_36merge_oddeven_config_static_selectorELNS0_4arch9wavefront6targetE0EEEvSM_ ; -- Begin function _ZN7rocprim17ROCPRIM_400000_NS6detail17trampoline_kernelINS0_14default_configENS1_38merge_sort_block_merge_config_selectorIlNS0_10empty_typeEEEZZNS1_27merge_sort_block_merge_implIS3_PlPS5_mZN2at6native12_GLOBAL__N_124unique_dim_cuda_templateIfEESt5tupleIJNSA_6TensorESF_SF_EERKSF_lbbbEUlllE_EE10hipError_tT0_T1_T2_jT3_P12ihipStream_tbPNSt15iterator_traitsISL_E10value_typeEPNSR_ISM_E10value_typeEPSN_NS1_7vsmem_tEENKUlT_SL_SM_SN_E_clIS8_S8_S9_S9_EESK_S10_SL_SM_SN_EUlS10_E1_NS1_11comp_targetILNS1_3genE10ELNS1_11target_archE1201ELNS1_3gpuE5ELNS1_3repE0EEENS1_36merge_oddeven_config_static_selectorELNS0_4arch9wavefront6targetE0EEEvSM_
	.p2align	8
	.type	_ZN7rocprim17ROCPRIM_400000_NS6detail17trampoline_kernelINS0_14default_configENS1_38merge_sort_block_merge_config_selectorIlNS0_10empty_typeEEEZZNS1_27merge_sort_block_merge_implIS3_PlPS5_mZN2at6native12_GLOBAL__N_124unique_dim_cuda_templateIfEESt5tupleIJNSA_6TensorESF_SF_EERKSF_lbbbEUlllE_EE10hipError_tT0_T1_T2_jT3_P12ihipStream_tbPNSt15iterator_traitsISL_E10value_typeEPNSR_ISM_E10value_typeEPSN_NS1_7vsmem_tEENKUlT_SL_SM_SN_E_clIS8_S8_S9_S9_EESK_S10_SL_SM_SN_EUlS10_E1_NS1_11comp_targetILNS1_3genE10ELNS1_11target_archE1201ELNS1_3gpuE5ELNS1_3repE0EEENS1_36merge_oddeven_config_static_selectorELNS0_4arch9wavefront6targetE0EEEvSM_,@function
_ZN7rocprim17ROCPRIM_400000_NS6detail17trampoline_kernelINS0_14default_configENS1_38merge_sort_block_merge_config_selectorIlNS0_10empty_typeEEEZZNS1_27merge_sort_block_merge_implIS3_PlPS5_mZN2at6native12_GLOBAL__N_124unique_dim_cuda_templateIfEESt5tupleIJNSA_6TensorESF_SF_EERKSF_lbbbEUlllE_EE10hipError_tT0_T1_T2_jT3_P12ihipStream_tbPNSt15iterator_traitsISL_E10value_typeEPNSR_ISM_E10value_typeEPSN_NS1_7vsmem_tEENKUlT_SL_SM_SN_E_clIS8_S8_S9_S9_EESK_S10_SL_SM_SN_EUlS10_E1_NS1_11comp_targetILNS1_3genE10ELNS1_11target_archE1201ELNS1_3gpuE5ELNS1_3repE0EEENS1_36merge_oddeven_config_static_selectorELNS0_4arch9wavefront6targetE0EEEvSM_: ; @_ZN7rocprim17ROCPRIM_400000_NS6detail17trampoline_kernelINS0_14default_configENS1_38merge_sort_block_merge_config_selectorIlNS0_10empty_typeEEEZZNS1_27merge_sort_block_merge_implIS3_PlPS5_mZN2at6native12_GLOBAL__N_124unique_dim_cuda_templateIfEESt5tupleIJNSA_6TensorESF_SF_EERKSF_lbbbEUlllE_EE10hipError_tT0_T1_T2_jT3_P12ihipStream_tbPNSt15iterator_traitsISL_E10value_typeEPNSR_ISM_E10value_typeEPSN_NS1_7vsmem_tEENKUlT_SL_SM_SN_E_clIS8_S8_S9_S9_EESK_S10_SL_SM_SN_EUlS10_E1_NS1_11comp_targetILNS1_3genE10ELNS1_11target_archE1201ELNS1_3gpuE5ELNS1_3repE0EEENS1_36merge_oddeven_config_static_selectorELNS0_4arch9wavefront6targetE0EEEvSM_
; %bb.0:
	.section	.rodata,"a",@progbits
	.p2align	6, 0x0
	.amdhsa_kernel _ZN7rocprim17ROCPRIM_400000_NS6detail17trampoline_kernelINS0_14default_configENS1_38merge_sort_block_merge_config_selectorIlNS0_10empty_typeEEEZZNS1_27merge_sort_block_merge_implIS3_PlPS5_mZN2at6native12_GLOBAL__N_124unique_dim_cuda_templateIfEESt5tupleIJNSA_6TensorESF_SF_EERKSF_lbbbEUlllE_EE10hipError_tT0_T1_T2_jT3_P12ihipStream_tbPNSt15iterator_traitsISL_E10value_typeEPNSR_ISM_E10value_typeEPSN_NS1_7vsmem_tEENKUlT_SL_SM_SN_E_clIS8_S8_S9_S9_EESK_S10_SL_SM_SN_EUlS10_E1_NS1_11comp_targetILNS1_3genE10ELNS1_11target_archE1201ELNS1_3gpuE5ELNS1_3repE0EEENS1_36merge_oddeven_config_static_selectorELNS0_4arch9wavefront6targetE0EEEvSM_
		.amdhsa_group_segment_fixed_size 0
		.amdhsa_private_segment_fixed_size 0
		.amdhsa_kernarg_size 64
		.amdhsa_user_sgpr_count 15
		.amdhsa_user_sgpr_dispatch_ptr 0
		.amdhsa_user_sgpr_queue_ptr 0
		.amdhsa_user_sgpr_kernarg_segment_ptr 1
		.amdhsa_user_sgpr_dispatch_id 0
		.amdhsa_user_sgpr_private_segment_size 0
		.amdhsa_wavefront_size32 1
		.amdhsa_uses_dynamic_stack 0
		.amdhsa_enable_private_segment 0
		.amdhsa_system_sgpr_workgroup_id_x 1
		.amdhsa_system_sgpr_workgroup_id_y 0
		.amdhsa_system_sgpr_workgroup_id_z 0
		.amdhsa_system_sgpr_workgroup_info 0
		.amdhsa_system_vgpr_workitem_id 0
		.amdhsa_next_free_vgpr 1
		.amdhsa_next_free_sgpr 1
		.amdhsa_reserve_vcc 0
		.amdhsa_float_round_mode_32 0
		.amdhsa_float_round_mode_16_64 0
		.amdhsa_float_denorm_mode_32 3
		.amdhsa_float_denorm_mode_16_64 3
		.amdhsa_dx10_clamp 1
		.amdhsa_ieee_mode 1
		.amdhsa_fp16_overflow 0
		.amdhsa_workgroup_processor_mode 1
		.amdhsa_memory_ordered 1
		.amdhsa_forward_progress 0
		.amdhsa_shared_vgpr_count 0
		.amdhsa_exception_fp_ieee_invalid_op 0
		.amdhsa_exception_fp_denorm_src 0
		.amdhsa_exception_fp_ieee_div_zero 0
		.amdhsa_exception_fp_ieee_overflow 0
		.amdhsa_exception_fp_ieee_underflow 0
		.amdhsa_exception_fp_ieee_inexact 0
		.amdhsa_exception_int_div_zero 0
	.end_amdhsa_kernel
	.section	.text._ZN7rocprim17ROCPRIM_400000_NS6detail17trampoline_kernelINS0_14default_configENS1_38merge_sort_block_merge_config_selectorIlNS0_10empty_typeEEEZZNS1_27merge_sort_block_merge_implIS3_PlPS5_mZN2at6native12_GLOBAL__N_124unique_dim_cuda_templateIfEESt5tupleIJNSA_6TensorESF_SF_EERKSF_lbbbEUlllE_EE10hipError_tT0_T1_T2_jT3_P12ihipStream_tbPNSt15iterator_traitsISL_E10value_typeEPNSR_ISM_E10value_typeEPSN_NS1_7vsmem_tEENKUlT_SL_SM_SN_E_clIS8_S8_S9_S9_EESK_S10_SL_SM_SN_EUlS10_E1_NS1_11comp_targetILNS1_3genE10ELNS1_11target_archE1201ELNS1_3gpuE5ELNS1_3repE0EEENS1_36merge_oddeven_config_static_selectorELNS0_4arch9wavefront6targetE0EEEvSM_,"axG",@progbits,_ZN7rocprim17ROCPRIM_400000_NS6detail17trampoline_kernelINS0_14default_configENS1_38merge_sort_block_merge_config_selectorIlNS0_10empty_typeEEEZZNS1_27merge_sort_block_merge_implIS3_PlPS5_mZN2at6native12_GLOBAL__N_124unique_dim_cuda_templateIfEESt5tupleIJNSA_6TensorESF_SF_EERKSF_lbbbEUlllE_EE10hipError_tT0_T1_T2_jT3_P12ihipStream_tbPNSt15iterator_traitsISL_E10value_typeEPNSR_ISM_E10value_typeEPSN_NS1_7vsmem_tEENKUlT_SL_SM_SN_E_clIS8_S8_S9_S9_EESK_S10_SL_SM_SN_EUlS10_E1_NS1_11comp_targetILNS1_3genE10ELNS1_11target_archE1201ELNS1_3gpuE5ELNS1_3repE0EEENS1_36merge_oddeven_config_static_selectorELNS0_4arch9wavefront6targetE0EEEvSM_,comdat
.Lfunc_end897:
	.size	_ZN7rocprim17ROCPRIM_400000_NS6detail17trampoline_kernelINS0_14default_configENS1_38merge_sort_block_merge_config_selectorIlNS0_10empty_typeEEEZZNS1_27merge_sort_block_merge_implIS3_PlPS5_mZN2at6native12_GLOBAL__N_124unique_dim_cuda_templateIfEESt5tupleIJNSA_6TensorESF_SF_EERKSF_lbbbEUlllE_EE10hipError_tT0_T1_T2_jT3_P12ihipStream_tbPNSt15iterator_traitsISL_E10value_typeEPNSR_ISM_E10value_typeEPSN_NS1_7vsmem_tEENKUlT_SL_SM_SN_E_clIS8_S8_S9_S9_EESK_S10_SL_SM_SN_EUlS10_E1_NS1_11comp_targetILNS1_3genE10ELNS1_11target_archE1201ELNS1_3gpuE5ELNS1_3repE0EEENS1_36merge_oddeven_config_static_selectorELNS0_4arch9wavefront6targetE0EEEvSM_, .Lfunc_end897-_ZN7rocprim17ROCPRIM_400000_NS6detail17trampoline_kernelINS0_14default_configENS1_38merge_sort_block_merge_config_selectorIlNS0_10empty_typeEEEZZNS1_27merge_sort_block_merge_implIS3_PlPS5_mZN2at6native12_GLOBAL__N_124unique_dim_cuda_templateIfEESt5tupleIJNSA_6TensorESF_SF_EERKSF_lbbbEUlllE_EE10hipError_tT0_T1_T2_jT3_P12ihipStream_tbPNSt15iterator_traitsISL_E10value_typeEPNSR_ISM_E10value_typeEPSN_NS1_7vsmem_tEENKUlT_SL_SM_SN_E_clIS8_S8_S9_S9_EESK_S10_SL_SM_SN_EUlS10_E1_NS1_11comp_targetILNS1_3genE10ELNS1_11target_archE1201ELNS1_3gpuE5ELNS1_3repE0EEENS1_36merge_oddeven_config_static_selectorELNS0_4arch9wavefront6targetE0EEEvSM_
                                        ; -- End function
	.section	.AMDGPU.csdata,"",@progbits
; Kernel info:
; codeLenInByte = 0
; NumSgprs: 0
; NumVgprs: 0
; ScratchSize: 0
; MemoryBound: 0
; FloatMode: 240
; IeeeMode: 1
; LDSByteSize: 0 bytes/workgroup (compile time only)
; SGPRBlocks: 0
; VGPRBlocks: 0
; NumSGPRsForWavesPerEU: 1
; NumVGPRsForWavesPerEU: 1
; Occupancy: 16
; WaveLimiterHint : 0
; COMPUTE_PGM_RSRC2:SCRATCH_EN: 0
; COMPUTE_PGM_RSRC2:USER_SGPR: 15
; COMPUTE_PGM_RSRC2:TRAP_HANDLER: 0
; COMPUTE_PGM_RSRC2:TGID_X_EN: 1
; COMPUTE_PGM_RSRC2:TGID_Y_EN: 0
; COMPUTE_PGM_RSRC2:TGID_Z_EN: 0
; COMPUTE_PGM_RSRC2:TIDIG_COMP_CNT: 0
	.section	.text._ZN7rocprim17ROCPRIM_400000_NS6detail17trampoline_kernelINS0_14default_configENS1_38merge_sort_block_merge_config_selectorIlNS0_10empty_typeEEEZZNS1_27merge_sort_block_merge_implIS3_PlPS5_mZN2at6native12_GLOBAL__N_124unique_dim_cuda_templateIfEESt5tupleIJNSA_6TensorESF_SF_EERKSF_lbbbEUlllE_EE10hipError_tT0_T1_T2_jT3_P12ihipStream_tbPNSt15iterator_traitsISL_E10value_typeEPNSR_ISM_E10value_typeEPSN_NS1_7vsmem_tEENKUlT_SL_SM_SN_E_clIS8_S8_S9_S9_EESK_S10_SL_SM_SN_EUlS10_E1_NS1_11comp_targetILNS1_3genE5ELNS1_11target_archE942ELNS1_3gpuE9ELNS1_3repE0EEENS1_36merge_oddeven_config_static_selectorELNS0_4arch9wavefront6targetE0EEEvSM_,"axG",@progbits,_ZN7rocprim17ROCPRIM_400000_NS6detail17trampoline_kernelINS0_14default_configENS1_38merge_sort_block_merge_config_selectorIlNS0_10empty_typeEEEZZNS1_27merge_sort_block_merge_implIS3_PlPS5_mZN2at6native12_GLOBAL__N_124unique_dim_cuda_templateIfEESt5tupleIJNSA_6TensorESF_SF_EERKSF_lbbbEUlllE_EE10hipError_tT0_T1_T2_jT3_P12ihipStream_tbPNSt15iterator_traitsISL_E10value_typeEPNSR_ISM_E10value_typeEPSN_NS1_7vsmem_tEENKUlT_SL_SM_SN_E_clIS8_S8_S9_S9_EESK_S10_SL_SM_SN_EUlS10_E1_NS1_11comp_targetILNS1_3genE5ELNS1_11target_archE942ELNS1_3gpuE9ELNS1_3repE0EEENS1_36merge_oddeven_config_static_selectorELNS0_4arch9wavefront6targetE0EEEvSM_,comdat
	.globl	_ZN7rocprim17ROCPRIM_400000_NS6detail17trampoline_kernelINS0_14default_configENS1_38merge_sort_block_merge_config_selectorIlNS0_10empty_typeEEEZZNS1_27merge_sort_block_merge_implIS3_PlPS5_mZN2at6native12_GLOBAL__N_124unique_dim_cuda_templateIfEESt5tupleIJNSA_6TensorESF_SF_EERKSF_lbbbEUlllE_EE10hipError_tT0_T1_T2_jT3_P12ihipStream_tbPNSt15iterator_traitsISL_E10value_typeEPNSR_ISM_E10value_typeEPSN_NS1_7vsmem_tEENKUlT_SL_SM_SN_E_clIS8_S8_S9_S9_EESK_S10_SL_SM_SN_EUlS10_E1_NS1_11comp_targetILNS1_3genE5ELNS1_11target_archE942ELNS1_3gpuE9ELNS1_3repE0EEENS1_36merge_oddeven_config_static_selectorELNS0_4arch9wavefront6targetE0EEEvSM_ ; -- Begin function _ZN7rocprim17ROCPRIM_400000_NS6detail17trampoline_kernelINS0_14default_configENS1_38merge_sort_block_merge_config_selectorIlNS0_10empty_typeEEEZZNS1_27merge_sort_block_merge_implIS3_PlPS5_mZN2at6native12_GLOBAL__N_124unique_dim_cuda_templateIfEESt5tupleIJNSA_6TensorESF_SF_EERKSF_lbbbEUlllE_EE10hipError_tT0_T1_T2_jT3_P12ihipStream_tbPNSt15iterator_traitsISL_E10value_typeEPNSR_ISM_E10value_typeEPSN_NS1_7vsmem_tEENKUlT_SL_SM_SN_E_clIS8_S8_S9_S9_EESK_S10_SL_SM_SN_EUlS10_E1_NS1_11comp_targetILNS1_3genE5ELNS1_11target_archE942ELNS1_3gpuE9ELNS1_3repE0EEENS1_36merge_oddeven_config_static_selectorELNS0_4arch9wavefront6targetE0EEEvSM_
	.p2align	8
	.type	_ZN7rocprim17ROCPRIM_400000_NS6detail17trampoline_kernelINS0_14default_configENS1_38merge_sort_block_merge_config_selectorIlNS0_10empty_typeEEEZZNS1_27merge_sort_block_merge_implIS3_PlPS5_mZN2at6native12_GLOBAL__N_124unique_dim_cuda_templateIfEESt5tupleIJNSA_6TensorESF_SF_EERKSF_lbbbEUlllE_EE10hipError_tT0_T1_T2_jT3_P12ihipStream_tbPNSt15iterator_traitsISL_E10value_typeEPNSR_ISM_E10value_typeEPSN_NS1_7vsmem_tEENKUlT_SL_SM_SN_E_clIS8_S8_S9_S9_EESK_S10_SL_SM_SN_EUlS10_E1_NS1_11comp_targetILNS1_3genE5ELNS1_11target_archE942ELNS1_3gpuE9ELNS1_3repE0EEENS1_36merge_oddeven_config_static_selectorELNS0_4arch9wavefront6targetE0EEEvSM_,@function
_ZN7rocprim17ROCPRIM_400000_NS6detail17trampoline_kernelINS0_14default_configENS1_38merge_sort_block_merge_config_selectorIlNS0_10empty_typeEEEZZNS1_27merge_sort_block_merge_implIS3_PlPS5_mZN2at6native12_GLOBAL__N_124unique_dim_cuda_templateIfEESt5tupleIJNSA_6TensorESF_SF_EERKSF_lbbbEUlllE_EE10hipError_tT0_T1_T2_jT3_P12ihipStream_tbPNSt15iterator_traitsISL_E10value_typeEPNSR_ISM_E10value_typeEPSN_NS1_7vsmem_tEENKUlT_SL_SM_SN_E_clIS8_S8_S9_S9_EESK_S10_SL_SM_SN_EUlS10_E1_NS1_11comp_targetILNS1_3genE5ELNS1_11target_archE942ELNS1_3gpuE9ELNS1_3repE0EEENS1_36merge_oddeven_config_static_selectorELNS0_4arch9wavefront6targetE0EEEvSM_: ; @_ZN7rocprim17ROCPRIM_400000_NS6detail17trampoline_kernelINS0_14default_configENS1_38merge_sort_block_merge_config_selectorIlNS0_10empty_typeEEEZZNS1_27merge_sort_block_merge_implIS3_PlPS5_mZN2at6native12_GLOBAL__N_124unique_dim_cuda_templateIfEESt5tupleIJNSA_6TensorESF_SF_EERKSF_lbbbEUlllE_EE10hipError_tT0_T1_T2_jT3_P12ihipStream_tbPNSt15iterator_traitsISL_E10value_typeEPNSR_ISM_E10value_typeEPSN_NS1_7vsmem_tEENKUlT_SL_SM_SN_E_clIS8_S8_S9_S9_EESK_S10_SL_SM_SN_EUlS10_E1_NS1_11comp_targetILNS1_3genE5ELNS1_11target_archE942ELNS1_3gpuE9ELNS1_3repE0EEENS1_36merge_oddeven_config_static_selectorELNS0_4arch9wavefront6targetE0EEEvSM_
; %bb.0:
	.section	.rodata,"a",@progbits
	.p2align	6, 0x0
	.amdhsa_kernel _ZN7rocprim17ROCPRIM_400000_NS6detail17trampoline_kernelINS0_14default_configENS1_38merge_sort_block_merge_config_selectorIlNS0_10empty_typeEEEZZNS1_27merge_sort_block_merge_implIS3_PlPS5_mZN2at6native12_GLOBAL__N_124unique_dim_cuda_templateIfEESt5tupleIJNSA_6TensorESF_SF_EERKSF_lbbbEUlllE_EE10hipError_tT0_T1_T2_jT3_P12ihipStream_tbPNSt15iterator_traitsISL_E10value_typeEPNSR_ISM_E10value_typeEPSN_NS1_7vsmem_tEENKUlT_SL_SM_SN_E_clIS8_S8_S9_S9_EESK_S10_SL_SM_SN_EUlS10_E1_NS1_11comp_targetILNS1_3genE5ELNS1_11target_archE942ELNS1_3gpuE9ELNS1_3repE0EEENS1_36merge_oddeven_config_static_selectorELNS0_4arch9wavefront6targetE0EEEvSM_
		.amdhsa_group_segment_fixed_size 0
		.amdhsa_private_segment_fixed_size 0
		.amdhsa_kernarg_size 64
		.amdhsa_user_sgpr_count 15
		.amdhsa_user_sgpr_dispatch_ptr 0
		.amdhsa_user_sgpr_queue_ptr 0
		.amdhsa_user_sgpr_kernarg_segment_ptr 1
		.amdhsa_user_sgpr_dispatch_id 0
		.amdhsa_user_sgpr_private_segment_size 0
		.amdhsa_wavefront_size32 1
		.amdhsa_uses_dynamic_stack 0
		.amdhsa_enable_private_segment 0
		.amdhsa_system_sgpr_workgroup_id_x 1
		.amdhsa_system_sgpr_workgroup_id_y 0
		.amdhsa_system_sgpr_workgroup_id_z 0
		.amdhsa_system_sgpr_workgroup_info 0
		.amdhsa_system_vgpr_workitem_id 0
		.amdhsa_next_free_vgpr 1
		.amdhsa_next_free_sgpr 1
		.amdhsa_reserve_vcc 0
		.amdhsa_float_round_mode_32 0
		.amdhsa_float_round_mode_16_64 0
		.amdhsa_float_denorm_mode_32 3
		.amdhsa_float_denorm_mode_16_64 3
		.amdhsa_dx10_clamp 1
		.amdhsa_ieee_mode 1
		.amdhsa_fp16_overflow 0
		.amdhsa_workgroup_processor_mode 1
		.amdhsa_memory_ordered 1
		.amdhsa_forward_progress 0
		.amdhsa_shared_vgpr_count 0
		.amdhsa_exception_fp_ieee_invalid_op 0
		.amdhsa_exception_fp_denorm_src 0
		.amdhsa_exception_fp_ieee_div_zero 0
		.amdhsa_exception_fp_ieee_overflow 0
		.amdhsa_exception_fp_ieee_underflow 0
		.amdhsa_exception_fp_ieee_inexact 0
		.amdhsa_exception_int_div_zero 0
	.end_amdhsa_kernel
	.section	.text._ZN7rocprim17ROCPRIM_400000_NS6detail17trampoline_kernelINS0_14default_configENS1_38merge_sort_block_merge_config_selectorIlNS0_10empty_typeEEEZZNS1_27merge_sort_block_merge_implIS3_PlPS5_mZN2at6native12_GLOBAL__N_124unique_dim_cuda_templateIfEESt5tupleIJNSA_6TensorESF_SF_EERKSF_lbbbEUlllE_EE10hipError_tT0_T1_T2_jT3_P12ihipStream_tbPNSt15iterator_traitsISL_E10value_typeEPNSR_ISM_E10value_typeEPSN_NS1_7vsmem_tEENKUlT_SL_SM_SN_E_clIS8_S8_S9_S9_EESK_S10_SL_SM_SN_EUlS10_E1_NS1_11comp_targetILNS1_3genE5ELNS1_11target_archE942ELNS1_3gpuE9ELNS1_3repE0EEENS1_36merge_oddeven_config_static_selectorELNS0_4arch9wavefront6targetE0EEEvSM_,"axG",@progbits,_ZN7rocprim17ROCPRIM_400000_NS6detail17trampoline_kernelINS0_14default_configENS1_38merge_sort_block_merge_config_selectorIlNS0_10empty_typeEEEZZNS1_27merge_sort_block_merge_implIS3_PlPS5_mZN2at6native12_GLOBAL__N_124unique_dim_cuda_templateIfEESt5tupleIJNSA_6TensorESF_SF_EERKSF_lbbbEUlllE_EE10hipError_tT0_T1_T2_jT3_P12ihipStream_tbPNSt15iterator_traitsISL_E10value_typeEPNSR_ISM_E10value_typeEPSN_NS1_7vsmem_tEENKUlT_SL_SM_SN_E_clIS8_S8_S9_S9_EESK_S10_SL_SM_SN_EUlS10_E1_NS1_11comp_targetILNS1_3genE5ELNS1_11target_archE942ELNS1_3gpuE9ELNS1_3repE0EEENS1_36merge_oddeven_config_static_selectorELNS0_4arch9wavefront6targetE0EEEvSM_,comdat
.Lfunc_end898:
	.size	_ZN7rocprim17ROCPRIM_400000_NS6detail17trampoline_kernelINS0_14default_configENS1_38merge_sort_block_merge_config_selectorIlNS0_10empty_typeEEEZZNS1_27merge_sort_block_merge_implIS3_PlPS5_mZN2at6native12_GLOBAL__N_124unique_dim_cuda_templateIfEESt5tupleIJNSA_6TensorESF_SF_EERKSF_lbbbEUlllE_EE10hipError_tT0_T1_T2_jT3_P12ihipStream_tbPNSt15iterator_traitsISL_E10value_typeEPNSR_ISM_E10value_typeEPSN_NS1_7vsmem_tEENKUlT_SL_SM_SN_E_clIS8_S8_S9_S9_EESK_S10_SL_SM_SN_EUlS10_E1_NS1_11comp_targetILNS1_3genE5ELNS1_11target_archE942ELNS1_3gpuE9ELNS1_3repE0EEENS1_36merge_oddeven_config_static_selectorELNS0_4arch9wavefront6targetE0EEEvSM_, .Lfunc_end898-_ZN7rocprim17ROCPRIM_400000_NS6detail17trampoline_kernelINS0_14default_configENS1_38merge_sort_block_merge_config_selectorIlNS0_10empty_typeEEEZZNS1_27merge_sort_block_merge_implIS3_PlPS5_mZN2at6native12_GLOBAL__N_124unique_dim_cuda_templateIfEESt5tupleIJNSA_6TensorESF_SF_EERKSF_lbbbEUlllE_EE10hipError_tT0_T1_T2_jT3_P12ihipStream_tbPNSt15iterator_traitsISL_E10value_typeEPNSR_ISM_E10value_typeEPSN_NS1_7vsmem_tEENKUlT_SL_SM_SN_E_clIS8_S8_S9_S9_EESK_S10_SL_SM_SN_EUlS10_E1_NS1_11comp_targetILNS1_3genE5ELNS1_11target_archE942ELNS1_3gpuE9ELNS1_3repE0EEENS1_36merge_oddeven_config_static_selectorELNS0_4arch9wavefront6targetE0EEEvSM_
                                        ; -- End function
	.section	.AMDGPU.csdata,"",@progbits
; Kernel info:
; codeLenInByte = 0
; NumSgprs: 0
; NumVgprs: 0
; ScratchSize: 0
; MemoryBound: 0
; FloatMode: 240
; IeeeMode: 1
; LDSByteSize: 0 bytes/workgroup (compile time only)
; SGPRBlocks: 0
; VGPRBlocks: 0
; NumSGPRsForWavesPerEU: 1
; NumVGPRsForWavesPerEU: 1
; Occupancy: 16
; WaveLimiterHint : 0
; COMPUTE_PGM_RSRC2:SCRATCH_EN: 0
; COMPUTE_PGM_RSRC2:USER_SGPR: 15
; COMPUTE_PGM_RSRC2:TRAP_HANDLER: 0
; COMPUTE_PGM_RSRC2:TGID_X_EN: 1
; COMPUTE_PGM_RSRC2:TGID_Y_EN: 0
; COMPUTE_PGM_RSRC2:TGID_Z_EN: 0
; COMPUTE_PGM_RSRC2:TIDIG_COMP_CNT: 0
	.section	.text._ZN7rocprim17ROCPRIM_400000_NS6detail17trampoline_kernelINS0_14default_configENS1_38merge_sort_block_merge_config_selectorIlNS0_10empty_typeEEEZZNS1_27merge_sort_block_merge_implIS3_PlPS5_mZN2at6native12_GLOBAL__N_124unique_dim_cuda_templateIfEESt5tupleIJNSA_6TensorESF_SF_EERKSF_lbbbEUlllE_EE10hipError_tT0_T1_T2_jT3_P12ihipStream_tbPNSt15iterator_traitsISL_E10value_typeEPNSR_ISM_E10value_typeEPSN_NS1_7vsmem_tEENKUlT_SL_SM_SN_E_clIS8_S8_S9_S9_EESK_S10_SL_SM_SN_EUlS10_E1_NS1_11comp_targetILNS1_3genE4ELNS1_11target_archE910ELNS1_3gpuE8ELNS1_3repE0EEENS1_36merge_oddeven_config_static_selectorELNS0_4arch9wavefront6targetE0EEEvSM_,"axG",@progbits,_ZN7rocprim17ROCPRIM_400000_NS6detail17trampoline_kernelINS0_14default_configENS1_38merge_sort_block_merge_config_selectorIlNS0_10empty_typeEEEZZNS1_27merge_sort_block_merge_implIS3_PlPS5_mZN2at6native12_GLOBAL__N_124unique_dim_cuda_templateIfEESt5tupleIJNSA_6TensorESF_SF_EERKSF_lbbbEUlllE_EE10hipError_tT0_T1_T2_jT3_P12ihipStream_tbPNSt15iterator_traitsISL_E10value_typeEPNSR_ISM_E10value_typeEPSN_NS1_7vsmem_tEENKUlT_SL_SM_SN_E_clIS8_S8_S9_S9_EESK_S10_SL_SM_SN_EUlS10_E1_NS1_11comp_targetILNS1_3genE4ELNS1_11target_archE910ELNS1_3gpuE8ELNS1_3repE0EEENS1_36merge_oddeven_config_static_selectorELNS0_4arch9wavefront6targetE0EEEvSM_,comdat
	.globl	_ZN7rocprim17ROCPRIM_400000_NS6detail17trampoline_kernelINS0_14default_configENS1_38merge_sort_block_merge_config_selectorIlNS0_10empty_typeEEEZZNS1_27merge_sort_block_merge_implIS3_PlPS5_mZN2at6native12_GLOBAL__N_124unique_dim_cuda_templateIfEESt5tupleIJNSA_6TensorESF_SF_EERKSF_lbbbEUlllE_EE10hipError_tT0_T1_T2_jT3_P12ihipStream_tbPNSt15iterator_traitsISL_E10value_typeEPNSR_ISM_E10value_typeEPSN_NS1_7vsmem_tEENKUlT_SL_SM_SN_E_clIS8_S8_S9_S9_EESK_S10_SL_SM_SN_EUlS10_E1_NS1_11comp_targetILNS1_3genE4ELNS1_11target_archE910ELNS1_3gpuE8ELNS1_3repE0EEENS1_36merge_oddeven_config_static_selectorELNS0_4arch9wavefront6targetE0EEEvSM_ ; -- Begin function _ZN7rocprim17ROCPRIM_400000_NS6detail17trampoline_kernelINS0_14default_configENS1_38merge_sort_block_merge_config_selectorIlNS0_10empty_typeEEEZZNS1_27merge_sort_block_merge_implIS3_PlPS5_mZN2at6native12_GLOBAL__N_124unique_dim_cuda_templateIfEESt5tupleIJNSA_6TensorESF_SF_EERKSF_lbbbEUlllE_EE10hipError_tT0_T1_T2_jT3_P12ihipStream_tbPNSt15iterator_traitsISL_E10value_typeEPNSR_ISM_E10value_typeEPSN_NS1_7vsmem_tEENKUlT_SL_SM_SN_E_clIS8_S8_S9_S9_EESK_S10_SL_SM_SN_EUlS10_E1_NS1_11comp_targetILNS1_3genE4ELNS1_11target_archE910ELNS1_3gpuE8ELNS1_3repE0EEENS1_36merge_oddeven_config_static_selectorELNS0_4arch9wavefront6targetE0EEEvSM_
	.p2align	8
	.type	_ZN7rocprim17ROCPRIM_400000_NS6detail17trampoline_kernelINS0_14default_configENS1_38merge_sort_block_merge_config_selectorIlNS0_10empty_typeEEEZZNS1_27merge_sort_block_merge_implIS3_PlPS5_mZN2at6native12_GLOBAL__N_124unique_dim_cuda_templateIfEESt5tupleIJNSA_6TensorESF_SF_EERKSF_lbbbEUlllE_EE10hipError_tT0_T1_T2_jT3_P12ihipStream_tbPNSt15iterator_traitsISL_E10value_typeEPNSR_ISM_E10value_typeEPSN_NS1_7vsmem_tEENKUlT_SL_SM_SN_E_clIS8_S8_S9_S9_EESK_S10_SL_SM_SN_EUlS10_E1_NS1_11comp_targetILNS1_3genE4ELNS1_11target_archE910ELNS1_3gpuE8ELNS1_3repE0EEENS1_36merge_oddeven_config_static_selectorELNS0_4arch9wavefront6targetE0EEEvSM_,@function
_ZN7rocprim17ROCPRIM_400000_NS6detail17trampoline_kernelINS0_14default_configENS1_38merge_sort_block_merge_config_selectorIlNS0_10empty_typeEEEZZNS1_27merge_sort_block_merge_implIS3_PlPS5_mZN2at6native12_GLOBAL__N_124unique_dim_cuda_templateIfEESt5tupleIJNSA_6TensorESF_SF_EERKSF_lbbbEUlllE_EE10hipError_tT0_T1_T2_jT3_P12ihipStream_tbPNSt15iterator_traitsISL_E10value_typeEPNSR_ISM_E10value_typeEPSN_NS1_7vsmem_tEENKUlT_SL_SM_SN_E_clIS8_S8_S9_S9_EESK_S10_SL_SM_SN_EUlS10_E1_NS1_11comp_targetILNS1_3genE4ELNS1_11target_archE910ELNS1_3gpuE8ELNS1_3repE0EEENS1_36merge_oddeven_config_static_selectorELNS0_4arch9wavefront6targetE0EEEvSM_: ; @_ZN7rocprim17ROCPRIM_400000_NS6detail17trampoline_kernelINS0_14default_configENS1_38merge_sort_block_merge_config_selectorIlNS0_10empty_typeEEEZZNS1_27merge_sort_block_merge_implIS3_PlPS5_mZN2at6native12_GLOBAL__N_124unique_dim_cuda_templateIfEESt5tupleIJNSA_6TensorESF_SF_EERKSF_lbbbEUlllE_EE10hipError_tT0_T1_T2_jT3_P12ihipStream_tbPNSt15iterator_traitsISL_E10value_typeEPNSR_ISM_E10value_typeEPSN_NS1_7vsmem_tEENKUlT_SL_SM_SN_E_clIS8_S8_S9_S9_EESK_S10_SL_SM_SN_EUlS10_E1_NS1_11comp_targetILNS1_3genE4ELNS1_11target_archE910ELNS1_3gpuE8ELNS1_3repE0EEENS1_36merge_oddeven_config_static_selectorELNS0_4arch9wavefront6targetE0EEEvSM_
; %bb.0:
	.section	.rodata,"a",@progbits
	.p2align	6, 0x0
	.amdhsa_kernel _ZN7rocprim17ROCPRIM_400000_NS6detail17trampoline_kernelINS0_14default_configENS1_38merge_sort_block_merge_config_selectorIlNS0_10empty_typeEEEZZNS1_27merge_sort_block_merge_implIS3_PlPS5_mZN2at6native12_GLOBAL__N_124unique_dim_cuda_templateIfEESt5tupleIJNSA_6TensorESF_SF_EERKSF_lbbbEUlllE_EE10hipError_tT0_T1_T2_jT3_P12ihipStream_tbPNSt15iterator_traitsISL_E10value_typeEPNSR_ISM_E10value_typeEPSN_NS1_7vsmem_tEENKUlT_SL_SM_SN_E_clIS8_S8_S9_S9_EESK_S10_SL_SM_SN_EUlS10_E1_NS1_11comp_targetILNS1_3genE4ELNS1_11target_archE910ELNS1_3gpuE8ELNS1_3repE0EEENS1_36merge_oddeven_config_static_selectorELNS0_4arch9wavefront6targetE0EEEvSM_
		.amdhsa_group_segment_fixed_size 0
		.amdhsa_private_segment_fixed_size 0
		.amdhsa_kernarg_size 64
		.amdhsa_user_sgpr_count 15
		.amdhsa_user_sgpr_dispatch_ptr 0
		.amdhsa_user_sgpr_queue_ptr 0
		.amdhsa_user_sgpr_kernarg_segment_ptr 1
		.amdhsa_user_sgpr_dispatch_id 0
		.amdhsa_user_sgpr_private_segment_size 0
		.amdhsa_wavefront_size32 1
		.amdhsa_uses_dynamic_stack 0
		.amdhsa_enable_private_segment 0
		.amdhsa_system_sgpr_workgroup_id_x 1
		.amdhsa_system_sgpr_workgroup_id_y 0
		.amdhsa_system_sgpr_workgroup_id_z 0
		.amdhsa_system_sgpr_workgroup_info 0
		.amdhsa_system_vgpr_workitem_id 0
		.amdhsa_next_free_vgpr 1
		.amdhsa_next_free_sgpr 1
		.amdhsa_reserve_vcc 0
		.amdhsa_float_round_mode_32 0
		.amdhsa_float_round_mode_16_64 0
		.amdhsa_float_denorm_mode_32 3
		.amdhsa_float_denorm_mode_16_64 3
		.amdhsa_dx10_clamp 1
		.amdhsa_ieee_mode 1
		.amdhsa_fp16_overflow 0
		.amdhsa_workgroup_processor_mode 1
		.amdhsa_memory_ordered 1
		.amdhsa_forward_progress 0
		.amdhsa_shared_vgpr_count 0
		.amdhsa_exception_fp_ieee_invalid_op 0
		.amdhsa_exception_fp_denorm_src 0
		.amdhsa_exception_fp_ieee_div_zero 0
		.amdhsa_exception_fp_ieee_overflow 0
		.amdhsa_exception_fp_ieee_underflow 0
		.amdhsa_exception_fp_ieee_inexact 0
		.amdhsa_exception_int_div_zero 0
	.end_amdhsa_kernel
	.section	.text._ZN7rocprim17ROCPRIM_400000_NS6detail17trampoline_kernelINS0_14default_configENS1_38merge_sort_block_merge_config_selectorIlNS0_10empty_typeEEEZZNS1_27merge_sort_block_merge_implIS3_PlPS5_mZN2at6native12_GLOBAL__N_124unique_dim_cuda_templateIfEESt5tupleIJNSA_6TensorESF_SF_EERKSF_lbbbEUlllE_EE10hipError_tT0_T1_T2_jT3_P12ihipStream_tbPNSt15iterator_traitsISL_E10value_typeEPNSR_ISM_E10value_typeEPSN_NS1_7vsmem_tEENKUlT_SL_SM_SN_E_clIS8_S8_S9_S9_EESK_S10_SL_SM_SN_EUlS10_E1_NS1_11comp_targetILNS1_3genE4ELNS1_11target_archE910ELNS1_3gpuE8ELNS1_3repE0EEENS1_36merge_oddeven_config_static_selectorELNS0_4arch9wavefront6targetE0EEEvSM_,"axG",@progbits,_ZN7rocprim17ROCPRIM_400000_NS6detail17trampoline_kernelINS0_14default_configENS1_38merge_sort_block_merge_config_selectorIlNS0_10empty_typeEEEZZNS1_27merge_sort_block_merge_implIS3_PlPS5_mZN2at6native12_GLOBAL__N_124unique_dim_cuda_templateIfEESt5tupleIJNSA_6TensorESF_SF_EERKSF_lbbbEUlllE_EE10hipError_tT0_T1_T2_jT3_P12ihipStream_tbPNSt15iterator_traitsISL_E10value_typeEPNSR_ISM_E10value_typeEPSN_NS1_7vsmem_tEENKUlT_SL_SM_SN_E_clIS8_S8_S9_S9_EESK_S10_SL_SM_SN_EUlS10_E1_NS1_11comp_targetILNS1_3genE4ELNS1_11target_archE910ELNS1_3gpuE8ELNS1_3repE0EEENS1_36merge_oddeven_config_static_selectorELNS0_4arch9wavefront6targetE0EEEvSM_,comdat
.Lfunc_end899:
	.size	_ZN7rocprim17ROCPRIM_400000_NS6detail17trampoline_kernelINS0_14default_configENS1_38merge_sort_block_merge_config_selectorIlNS0_10empty_typeEEEZZNS1_27merge_sort_block_merge_implIS3_PlPS5_mZN2at6native12_GLOBAL__N_124unique_dim_cuda_templateIfEESt5tupleIJNSA_6TensorESF_SF_EERKSF_lbbbEUlllE_EE10hipError_tT0_T1_T2_jT3_P12ihipStream_tbPNSt15iterator_traitsISL_E10value_typeEPNSR_ISM_E10value_typeEPSN_NS1_7vsmem_tEENKUlT_SL_SM_SN_E_clIS8_S8_S9_S9_EESK_S10_SL_SM_SN_EUlS10_E1_NS1_11comp_targetILNS1_3genE4ELNS1_11target_archE910ELNS1_3gpuE8ELNS1_3repE0EEENS1_36merge_oddeven_config_static_selectorELNS0_4arch9wavefront6targetE0EEEvSM_, .Lfunc_end899-_ZN7rocprim17ROCPRIM_400000_NS6detail17trampoline_kernelINS0_14default_configENS1_38merge_sort_block_merge_config_selectorIlNS0_10empty_typeEEEZZNS1_27merge_sort_block_merge_implIS3_PlPS5_mZN2at6native12_GLOBAL__N_124unique_dim_cuda_templateIfEESt5tupleIJNSA_6TensorESF_SF_EERKSF_lbbbEUlllE_EE10hipError_tT0_T1_T2_jT3_P12ihipStream_tbPNSt15iterator_traitsISL_E10value_typeEPNSR_ISM_E10value_typeEPSN_NS1_7vsmem_tEENKUlT_SL_SM_SN_E_clIS8_S8_S9_S9_EESK_S10_SL_SM_SN_EUlS10_E1_NS1_11comp_targetILNS1_3genE4ELNS1_11target_archE910ELNS1_3gpuE8ELNS1_3repE0EEENS1_36merge_oddeven_config_static_selectorELNS0_4arch9wavefront6targetE0EEEvSM_
                                        ; -- End function
	.section	.AMDGPU.csdata,"",@progbits
; Kernel info:
; codeLenInByte = 0
; NumSgprs: 0
; NumVgprs: 0
; ScratchSize: 0
; MemoryBound: 0
; FloatMode: 240
; IeeeMode: 1
; LDSByteSize: 0 bytes/workgroup (compile time only)
; SGPRBlocks: 0
; VGPRBlocks: 0
; NumSGPRsForWavesPerEU: 1
; NumVGPRsForWavesPerEU: 1
; Occupancy: 16
; WaveLimiterHint : 0
; COMPUTE_PGM_RSRC2:SCRATCH_EN: 0
; COMPUTE_PGM_RSRC2:USER_SGPR: 15
; COMPUTE_PGM_RSRC2:TRAP_HANDLER: 0
; COMPUTE_PGM_RSRC2:TGID_X_EN: 1
; COMPUTE_PGM_RSRC2:TGID_Y_EN: 0
; COMPUTE_PGM_RSRC2:TGID_Z_EN: 0
; COMPUTE_PGM_RSRC2:TIDIG_COMP_CNT: 0
	.section	.text._ZN7rocprim17ROCPRIM_400000_NS6detail17trampoline_kernelINS0_14default_configENS1_38merge_sort_block_merge_config_selectorIlNS0_10empty_typeEEEZZNS1_27merge_sort_block_merge_implIS3_PlPS5_mZN2at6native12_GLOBAL__N_124unique_dim_cuda_templateIfEESt5tupleIJNSA_6TensorESF_SF_EERKSF_lbbbEUlllE_EE10hipError_tT0_T1_T2_jT3_P12ihipStream_tbPNSt15iterator_traitsISL_E10value_typeEPNSR_ISM_E10value_typeEPSN_NS1_7vsmem_tEENKUlT_SL_SM_SN_E_clIS8_S8_S9_S9_EESK_S10_SL_SM_SN_EUlS10_E1_NS1_11comp_targetILNS1_3genE3ELNS1_11target_archE908ELNS1_3gpuE7ELNS1_3repE0EEENS1_36merge_oddeven_config_static_selectorELNS0_4arch9wavefront6targetE0EEEvSM_,"axG",@progbits,_ZN7rocprim17ROCPRIM_400000_NS6detail17trampoline_kernelINS0_14default_configENS1_38merge_sort_block_merge_config_selectorIlNS0_10empty_typeEEEZZNS1_27merge_sort_block_merge_implIS3_PlPS5_mZN2at6native12_GLOBAL__N_124unique_dim_cuda_templateIfEESt5tupleIJNSA_6TensorESF_SF_EERKSF_lbbbEUlllE_EE10hipError_tT0_T1_T2_jT3_P12ihipStream_tbPNSt15iterator_traitsISL_E10value_typeEPNSR_ISM_E10value_typeEPSN_NS1_7vsmem_tEENKUlT_SL_SM_SN_E_clIS8_S8_S9_S9_EESK_S10_SL_SM_SN_EUlS10_E1_NS1_11comp_targetILNS1_3genE3ELNS1_11target_archE908ELNS1_3gpuE7ELNS1_3repE0EEENS1_36merge_oddeven_config_static_selectorELNS0_4arch9wavefront6targetE0EEEvSM_,comdat
	.globl	_ZN7rocprim17ROCPRIM_400000_NS6detail17trampoline_kernelINS0_14default_configENS1_38merge_sort_block_merge_config_selectorIlNS0_10empty_typeEEEZZNS1_27merge_sort_block_merge_implIS3_PlPS5_mZN2at6native12_GLOBAL__N_124unique_dim_cuda_templateIfEESt5tupleIJNSA_6TensorESF_SF_EERKSF_lbbbEUlllE_EE10hipError_tT0_T1_T2_jT3_P12ihipStream_tbPNSt15iterator_traitsISL_E10value_typeEPNSR_ISM_E10value_typeEPSN_NS1_7vsmem_tEENKUlT_SL_SM_SN_E_clIS8_S8_S9_S9_EESK_S10_SL_SM_SN_EUlS10_E1_NS1_11comp_targetILNS1_3genE3ELNS1_11target_archE908ELNS1_3gpuE7ELNS1_3repE0EEENS1_36merge_oddeven_config_static_selectorELNS0_4arch9wavefront6targetE0EEEvSM_ ; -- Begin function _ZN7rocprim17ROCPRIM_400000_NS6detail17trampoline_kernelINS0_14default_configENS1_38merge_sort_block_merge_config_selectorIlNS0_10empty_typeEEEZZNS1_27merge_sort_block_merge_implIS3_PlPS5_mZN2at6native12_GLOBAL__N_124unique_dim_cuda_templateIfEESt5tupleIJNSA_6TensorESF_SF_EERKSF_lbbbEUlllE_EE10hipError_tT0_T1_T2_jT3_P12ihipStream_tbPNSt15iterator_traitsISL_E10value_typeEPNSR_ISM_E10value_typeEPSN_NS1_7vsmem_tEENKUlT_SL_SM_SN_E_clIS8_S8_S9_S9_EESK_S10_SL_SM_SN_EUlS10_E1_NS1_11comp_targetILNS1_3genE3ELNS1_11target_archE908ELNS1_3gpuE7ELNS1_3repE0EEENS1_36merge_oddeven_config_static_selectorELNS0_4arch9wavefront6targetE0EEEvSM_
	.p2align	8
	.type	_ZN7rocprim17ROCPRIM_400000_NS6detail17trampoline_kernelINS0_14default_configENS1_38merge_sort_block_merge_config_selectorIlNS0_10empty_typeEEEZZNS1_27merge_sort_block_merge_implIS3_PlPS5_mZN2at6native12_GLOBAL__N_124unique_dim_cuda_templateIfEESt5tupleIJNSA_6TensorESF_SF_EERKSF_lbbbEUlllE_EE10hipError_tT0_T1_T2_jT3_P12ihipStream_tbPNSt15iterator_traitsISL_E10value_typeEPNSR_ISM_E10value_typeEPSN_NS1_7vsmem_tEENKUlT_SL_SM_SN_E_clIS8_S8_S9_S9_EESK_S10_SL_SM_SN_EUlS10_E1_NS1_11comp_targetILNS1_3genE3ELNS1_11target_archE908ELNS1_3gpuE7ELNS1_3repE0EEENS1_36merge_oddeven_config_static_selectorELNS0_4arch9wavefront6targetE0EEEvSM_,@function
_ZN7rocprim17ROCPRIM_400000_NS6detail17trampoline_kernelINS0_14default_configENS1_38merge_sort_block_merge_config_selectorIlNS0_10empty_typeEEEZZNS1_27merge_sort_block_merge_implIS3_PlPS5_mZN2at6native12_GLOBAL__N_124unique_dim_cuda_templateIfEESt5tupleIJNSA_6TensorESF_SF_EERKSF_lbbbEUlllE_EE10hipError_tT0_T1_T2_jT3_P12ihipStream_tbPNSt15iterator_traitsISL_E10value_typeEPNSR_ISM_E10value_typeEPSN_NS1_7vsmem_tEENKUlT_SL_SM_SN_E_clIS8_S8_S9_S9_EESK_S10_SL_SM_SN_EUlS10_E1_NS1_11comp_targetILNS1_3genE3ELNS1_11target_archE908ELNS1_3gpuE7ELNS1_3repE0EEENS1_36merge_oddeven_config_static_selectorELNS0_4arch9wavefront6targetE0EEEvSM_: ; @_ZN7rocprim17ROCPRIM_400000_NS6detail17trampoline_kernelINS0_14default_configENS1_38merge_sort_block_merge_config_selectorIlNS0_10empty_typeEEEZZNS1_27merge_sort_block_merge_implIS3_PlPS5_mZN2at6native12_GLOBAL__N_124unique_dim_cuda_templateIfEESt5tupleIJNSA_6TensorESF_SF_EERKSF_lbbbEUlllE_EE10hipError_tT0_T1_T2_jT3_P12ihipStream_tbPNSt15iterator_traitsISL_E10value_typeEPNSR_ISM_E10value_typeEPSN_NS1_7vsmem_tEENKUlT_SL_SM_SN_E_clIS8_S8_S9_S9_EESK_S10_SL_SM_SN_EUlS10_E1_NS1_11comp_targetILNS1_3genE3ELNS1_11target_archE908ELNS1_3gpuE7ELNS1_3repE0EEENS1_36merge_oddeven_config_static_selectorELNS0_4arch9wavefront6targetE0EEEvSM_
; %bb.0:
	.section	.rodata,"a",@progbits
	.p2align	6, 0x0
	.amdhsa_kernel _ZN7rocprim17ROCPRIM_400000_NS6detail17trampoline_kernelINS0_14default_configENS1_38merge_sort_block_merge_config_selectorIlNS0_10empty_typeEEEZZNS1_27merge_sort_block_merge_implIS3_PlPS5_mZN2at6native12_GLOBAL__N_124unique_dim_cuda_templateIfEESt5tupleIJNSA_6TensorESF_SF_EERKSF_lbbbEUlllE_EE10hipError_tT0_T1_T2_jT3_P12ihipStream_tbPNSt15iterator_traitsISL_E10value_typeEPNSR_ISM_E10value_typeEPSN_NS1_7vsmem_tEENKUlT_SL_SM_SN_E_clIS8_S8_S9_S9_EESK_S10_SL_SM_SN_EUlS10_E1_NS1_11comp_targetILNS1_3genE3ELNS1_11target_archE908ELNS1_3gpuE7ELNS1_3repE0EEENS1_36merge_oddeven_config_static_selectorELNS0_4arch9wavefront6targetE0EEEvSM_
		.amdhsa_group_segment_fixed_size 0
		.amdhsa_private_segment_fixed_size 0
		.amdhsa_kernarg_size 64
		.amdhsa_user_sgpr_count 15
		.amdhsa_user_sgpr_dispatch_ptr 0
		.amdhsa_user_sgpr_queue_ptr 0
		.amdhsa_user_sgpr_kernarg_segment_ptr 1
		.amdhsa_user_sgpr_dispatch_id 0
		.amdhsa_user_sgpr_private_segment_size 0
		.amdhsa_wavefront_size32 1
		.amdhsa_uses_dynamic_stack 0
		.amdhsa_enable_private_segment 0
		.amdhsa_system_sgpr_workgroup_id_x 1
		.amdhsa_system_sgpr_workgroup_id_y 0
		.amdhsa_system_sgpr_workgroup_id_z 0
		.amdhsa_system_sgpr_workgroup_info 0
		.amdhsa_system_vgpr_workitem_id 0
		.amdhsa_next_free_vgpr 1
		.amdhsa_next_free_sgpr 1
		.amdhsa_reserve_vcc 0
		.amdhsa_float_round_mode_32 0
		.amdhsa_float_round_mode_16_64 0
		.amdhsa_float_denorm_mode_32 3
		.amdhsa_float_denorm_mode_16_64 3
		.amdhsa_dx10_clamp 1
		.amdhsa_ieee_mode 1
		.amdhsa_fp16_overflow 0
		.amdhsa_workgroup_processor_mode 1
		.amdhsa_memory_ordered 1
		.amdhsa_forward_progress 0
		.amdhsa_shared_vgpr_count 0
		.amdhsa_exception_fp_ieee_invalid_op 0
		.amdhsa_exception_fp_denorm_src 0
		.amdhsa_exception_fp_ieee_div_zero 0
		.amdhsa_exception_fp_ieee_overflow 0
		.amdhsa_exception_fp_ieee_underflow 0
		.amdhsa_exception_fp_ieee_inexact 0
		.amdhsa_exception_int_div_zero 0
	.end_amdhsa_kernel
	.section	.text._ZN7rocprim17ROCPRIM_400000_NS6detail17trampoline_kernelINS0_14default_configENS1_38merge_sort_block_merge_config_selectorIlNS0_10empty_typeEEEZZNS1_27merge_sort_block_merge_implIS3_PlPS5_mZN2at6native12_GLOBAL__N_124unique_dim_cuda_templateIfEESt5tupleIJNSA_6TensorESF_SF_EERKSF_lbbbEUlllE_EE10hipError_tT0_T1_T2_jT3_P12ihipStream_tbPNSt15iterator_traitsISL_E10value_typeEPNSR_ISM_E10value_typeEPSN_NS1_7vsmem_tEENKUlT_SL_SM_SN_E_clIS8_S8_S9_S9_EESK_S10_SL_SM_SN_EUlS10_E1_NS1_11comp_targetILNS1_3genE3ELNS1_11target_archE908ELNS1_3gpuE7ELNS1_3repE0EEENS1_36merge_oddeven_config_static_selectorELNS0_4arch9wavefront6targetE0EEEvSM_,"axG",@progbits,_ZN7rocprim17ROCPRIM_400000_NS6detail17trampoline_kernelINS0_14default_configENS1_38merge_sort_block_merge_config_selectorIlNS0_10empty_typeEEEZZNS1_27merge_sort_block_merge_implIS3_PlPS5_mZN2at6native12_GLOBAL__N_124unique_dim_cuda_templateIfEESt5tupleIJNSA_6TensorESF_SF_EERKSF_lbbbEUlllE_EE10hipError_tT0_T1_T2_jT3_P12ihipStream_tbPNSt15iterator_traitsISL_E10value_typeEPNSR_ISM_E10value_typeEPSN_NS1_7vsmem_tEENKUlT_SL_SM_SN_E_clIS8_S8_S9_S9_EESK_S10_SL_SM_SN_EUlS10_E1_NS1_11comp_targetILNS1_3genE3ELNS1_11target_archE908ELNS1_3gpuE7ELNS1_3repE0EEENS1_36merge_oddeven_config_static_selectorELNS0_4arch9wavefront6targetE0EEEvSM_,comdat
.Lfunc_end900:
	.size	_ZN7rocprim17ROCPRIM_400000_NS6detail17trampoline_kernelINS0_14default_configENS1_38merge_sort_block_merge_config_selectorIlNS0_10empty_typeEEEZZNS1_27merge_sort_block_merge_implIS3_PlPS5_mZN2at6native12_GLOBAL__N_124unique_dim_cuda_templateIfEESt5tupleIJNSA_6TensorESF_SF_EERKSF_lbbbEUlllE_EE10hipError_tT0_T1_T2_jT3_P12ihipStream_tbPNSt15iterator_traitsISL_E10value_typeEPNSR_ISM_E10value_typeEPSN_NS1_7vsmem_tEENKUlT_SL_SM_SN_E_clIS8_S8_S9_S9_EESK_S10_SL_SM_SN_EUlS10_E1_NS1_11comp_targetILNS1_3genE3ELNS1_11target_archE908ELNS1_3gpuE7ELNS1_3repE0EEENS1_36merge_oddeven_config_static_selectorELNS0_4arch9wavefront6targetE0EEEvSM_, .Lfunc_end900-_ZN7rocprim17ROCPRIM_400000_NS6detail17trampoline_kernelINS0_14default_configENS1_38merge_sort_block_merge_config_selectorIlNS0_10empty_typeEEEZZNS1_27merge_sort_block_merge_implIS3_PlPS5_mZN2at6native12_GLOBAL__N_124unique_dim_cuda_templateIfEESt5tupleIJNSA_6TensorESF_SF_EERKSF_lbbbEUlllE_EE10hipError_tT0_T1_T2_jT3_P12ihipStream_tbPNSt15iterator_traitsISL_E10value_typeEPNSR_ISM_E10value_typeEPSN_NS1_7vsmem_tEENKUlT_SL_SM_SN_E_clIS8_S8_S9_S9_EESK_S10_SL_SM_SN_EUlS10_E1_NS1_11comp_targetILNS1_3genE3ELNS1_11target_archE908ELNS1_3gpuE7ELNS1_3repE0EEENS1_36merge_oddeven_config_static_selectorELNS0_4arch9wavefront6targetE0EEEvSM_
                                        ; -- End function
	.section	.AMDGPU.csdata,"",@progbits
; Kernel info:
; codeLenInByte = 0
; NumSgprs: 0
; NumVgprs: 0
; ScratchSize: 0
; MemoryBound: 0
; FloatMode: 240
; IeeeMode: 1
; LDSByteSize: 0 bytes/workgroup (compile time only)
; SGPRBlocks: 0
; VGPRBlocks: 0
; NumSGPRsForWavesPerEU: 1
; NumVGPRsForWavesPerEU: 1
; Occupancy: 16
; WaveLimiterHint : 0
; COMPUTE_PGM_RSRC2:SCRATCH_EN: 0
; COMPUTE_PGM_RSRC2:USER_SGPR: 15
; COMPUTE_PGM_RSRC2:TRAP_HANDLER: 0
; COMPUTE_PGM_RSRC2:TGID_X_EN: 1
; COMPUTE_PGM_RSRC2:TGID_Y_EN: 0
; COMPUTE_PGM_RSRC2:TGID_Z_EN: 0
; COMPUTE_PGM_RSRC2:TIDIG_COMP_CNT: 0
	.section	.text._ZN7rocprim17ROCPRIM_400000_NS6detail17trampoline_kernelINS0_14default_configENS1_38merge_sort_block_merge_config_selectorIlNS0_10empty_typeEEEZZNS1_27merge_sort_block_merge_implIS3_PlPS5_mZN2at6native12_GLOBAL__N_124unique_dim_cuda_templateIfEESt5tupleIJNSA_6TensorESF_SF_EERKSF_lbbbEUlllE_EE10hipError_tT0_T1_T2_jT3_P12ihipStream_tbPNSt15iterator_traitsISL_E10value_typeEPNSR_ISM_E10value_typeEPSN_NS1_7vsmem_tEENKUlT_SL_SM_SN_E_clIS8_S8_S9_S9_EESK_S10_SL_SM_SN_EUlS10_E1_NS1_11comp_targetILNS1_3genE2ELNS1_11target_archE906ELNS1_3gpuE6ELNS1_3repE0EEENS1_36merge_oddeven_config_static_selectorELNS0_4arch9wavefront6targetE0EEEvSM_,"axG",@progbits,_ZN7rocprim17ROCPRIM_400000_NS6detail17trampoline_kernelINS0_14default_configENS1_38merge_sort_block_merge_config_selectorIlNS0_10empty_typeEEEZZNS1_27merge_sort_block_merge_implIS3_PlPS5_mZN2at6native12_GLOBAL__N_124unique_dim_cuda_templateIfEESt5tupleIJNSA_6TensorESF_SF_EERKSF_lbbbEUlllE_EE10hipError_tT0_T1_T2_jT3_P12ihipStream_tbPNSt15iterator_traitsISL_E10value_typeEPNSR_ISM_E10value_typeEPSN_NS1_7vsmem_tEENKUlT_SL_SM_SN_E_clIS8_S8_S9_S9_EESK_S10_SL_SM_SN_EUlS10_E1_NS1_11comp_targetILNS1_3genE2ELNS1_11target_archE906ELNS1_3gpuE6ELNS1_3repE0EEENS1_36merge_oddeven_config_static_selectorELNS0_4arch9wavefront6targetE0EEEvSM_,comdat
	.globl	_ZN7rocprim17ROCPRIM_400000_NS6detail17trampoline_kernelINS0_14default_configENS1_38merge_sort_block_merge_config_selectorIlNS0_10empty_typeEEEZZNS1_27merge_sort_block_merge_implIS3_PlPS5_mZN2at6native12_GLOBAL__N_124unique_dim_cuda_templateIfEESt5tupleIJNSA_6TensorESF_SF_EERKSF_lbbbEUlllE_EE10hipError_tT0_T1_T2_jT3_P12ihipStream_tbPNSt15iterator_traitsISL_E10value_typeEPNSR_ISM_E10value_typeEPSN_NS1_7vsmem_tEENKUlT_SL_SM_SN_E_clIS8_S8_S9_S9_EESK_S10_SL_SM_SN_EUlS10_E1_NS1_11comp_targetILNS1_3genE2ELNS1_11target_archE906ELNS1_3gpuE6ELNS1_3repE0EEENS1_36merge_oddeven_config_static_selectorELNS0_4arch9wavefront6targetE0EEEvSM_ ; -- Begin function _ZN7rocprim17ROCPRIM_400000_NS6detail17trampoline_kernelINS0_14default_configENS1_38merge_sort_block_merge_config_selectorIlNS0_10empty_typeEEEZZNS1_27merge_sort_block_merge_implIS3_PlPS5_mZN2at6native12_GLOBAL__N_124unique_dim_cuda_templateIfEESt5tupleIJNSA_6TensorESF_SF_EERKSF_lbbbEUlllE_EE10hipError_tT0_T1_T2_jT3_P12ihipStream_tbPNSt15iterator_traitsISL_E10value_typeEPNSR_ISM_E10value_typeEPSN_NS1_7vsmem_tEENKUlT_SL_SM_SN_E_clIS8_S8_S9_S9_EESK_S10_SL_SM_SN_EUlS10_E1_NS1_11comp_targetILNS1_3genE2ELNS1_11target_archE906ELNS1_3gpuE6ELNS1_3repE0EEENS1_36merge_oddeven_config_static_selectorELNS0_4arch9wavefront6targetE0EEEvSM_
	.p2align	8
	.type	_ZN7rocprim17ROCPRIM_400000_NS6detail17trampoline_kernelINS0_14default_configENS1_38merge_sort_block_merge_config_selectorIlNS0_10empty_typeEEEZZNS1_27merge_sort_block_merge_implIS3_PlPS5_mZN2at6native12_GLOBAL__N_124unique_dim_cuda_templateIfEESt5tupleIJNSA_6TensorESF_SF_EERKSF_lbbbEUlllE_EE10hipError_tT0_T1_T2_jT3_P12ihipStream_tbPNSt15iterator_traitsISL_E10value_typeEPNSR_ISM_E10value_typeEPSN_NS1_7vsmem_tEENKUlT_SL_SM_SN_E_clIS8_S8_S9_S9_EESK_S10_SL_SM_SN_EUlS10_E1_NS1_11comp_targetILNS1_3genE2ELNS1_11target_archE906ELNS1_3gpuE6ELNS1_3repE0EEENS1_36merge_oddeven_config_static_selectorELNS0_4arch9wavefront6targetE0EEEvSM_,@function
_ZN7rocprim17ROCPRIM_400000_NS6detail17trampoline_kernelINS0_14default_configENS1_38merge_sort_block_merge_config_selectorIlNS0_10empty_typeEEEZZNS1_27merge_sort_block_merge_implIS3_PlPS5_mZN2at6native12_GLOBAL__N_124unique_dim_cuda_templateIfEESt5tupleIJNSA_6TensorESF_SF_EERKSF_lbbbEUlllE_EE10hipError_tT0_T1_T2_jT3_P12ihipStream_tbPNSt15iterator_traitsISL_E10value_typeEPNSR_ISM_E10value_typeEPSN_NS1_7vsmem_tEENKUlT_SL_SM_SN_E_clIS8_S8_S9_S9_EESK_S10_SL_SM_SN_EUlS10_E1_NS1_11comp_targetILNS1_3genE2ELNS1_11target_archE906ELNS1_3gpuE6ELNS1_3repE0EEENS1_36merge_oddeven_config_static_selectorELNS0_4arch9wavefront6targetE0EEEvSM_: ; @_ZN7rocprim17ROCPRIM_400000_NS6detail17trampoline_kernelINS0_14default_configENS1_38merge_sort_block_merge_config_selectorIlNS0_10empty_typeEEEZZNS1_27merge_sort_block_merge_implIS3_PlPS5_mZN2at6native12_GLOBAL__N_124unique_dim_cuda_templateIfEESt5tupleIJNSA_6TensorESF_SF_EERKSF_lbbbEUlllE_EE10hipError_tT0_T1_T2_jT3_P12ihipStream_tbPNSt15iterator_traitsISL_E10value_typeEPNSR_ISM_E10value_typeEPSN_NS1_7vsmem_tEENKUlT_SL_SM_SN_E_clIS8_S8_S9_S9_EESK_S10_SL_SM_SN_EUlS10_E1_NS1_11comp_targetILNS1_3genE2ELNS1_11target_archE906ELNS1_3gpuE6ELNS1_3repE0EEENS1_36merge_oddeven_config_static_selectorELNS0_4arch9wavefront6targetE0EEEvSM_
; %bb.0:
	.section	.rodata,"a",@progbits
	.p2align	6, 0x0
	.amdhsa_kernel _ZN7rocprim17ROCPRIM_400000_NS6detail17trampoline_kernelINS0_14default_configENS1_38merge_sort_block_merge_config_selectorIlNS0_10empty_typeEEEZZNS1_27merge_sort_block_merge_implIS3_PlPS5_mZN2at6native12_GLOBAL__N_124unique_dim_cuda_templateIfEESt5tupleIJNSA_6TensorESF_SF_EERKSF_lbbbEUlllE_EE10hipError_tT0_T1_T2_jT3_P12ihipStream_tbPNSt15iterator_traitsISL_E10value_typeEPNSR_ISM_E10value_typeEPSN_NS1_7vsmem_tEENKUlT_SL_SM_SN_E_clIS8_S8_S9_S9_EESK_S10_SL_SM_SN_EUlS10_E1_NS1_11comp_targetILNS1_3genE2ELNS1_11target_archE906ELNS1_3gpuE6ELNS1_3repE0EEENS1_36merge_oddeven_config_static_selectorELNS0_4arch9wavefront6targetE0EEEvSM_
		.amdhsa_group_segment_fixed_size 0
		.amdhsa_private_segment_fixed_size 0
		.amdhsa_kernarg_size 64
		.amdhsa_user_sgpr_count 15
		.amdhsa_user_sgpr_dispatch_ptr 0
		.amdhsa_user_sgpr_queue_ptr 0
		.amdhsa_user_sgpr_kernarg_segment_ptr 1
		.amdhsa_user_sgpr_dispatch_id 0
		.amdhsa_user_sgpr_private_segment_size 0
		.amdhsa_wavefront_size32 1
		.amdhsa_uses_dynamic_stack 0
		.amdhsa_enable_private_segment 0
		.amdhsa_system_sgpr_workgroup_id_x 1
		.amdhsa_system_sgpr_workgroup_id_y 0
		.amdhsa_system_sgpr_workgroup_id_z 0
		.amdhsa_system_sgpr_workgroup_info 0
		.amdhsa_system_vgpr_workitem_id 0
		.amdhsa_next_free_vgpr 1
		.amdhsa_next_free_sgpr 1
		.amdhsa_reserve_vcc 0
		.amdhsa_float_round_mode_32 0
		.amdhsa_float_round_mode_16_64 0
		.amdhsa_float_denorm_mode_32 3
		.amdhsa_float_denorm_mode_16_64 3
		.amdhsa_dx10_clamp 1
		.amdhsa_ieee_mode 1
		.amdhsa_fp16_overflow 0
		.amdhsa_workgroup_processor_mode 1
		.amdhsa_memory_ordered 1
		.amdhsa_forward_progress 0
		.amdhsa_shared_vgpr_count 0
		.amdhsa_exception_fp_ieee_invalid_op 0
		.amdhsa_exception_fp_denorm_src 0
		.amdhsa_exception_fp_ieee_div_zero 0
		.amdhsa_exception_fp_ieee_overflow 0
		.amdhsa_exception_fp_ieee_underflow 0
		.amdhsa_exception_fp_ieee_inexact 0
		.amdhsa_exception_int_div_zero 0
	.end_amdhsa_kernel
	.section	.text._ZN7rocprim17ROCPRIM_400000_NS6detail17trampoline_kernelINS0_14default_configENS1_38merge_sort_block_merge_config_selectorIlNS0_10empty_typeEEEZZNS1_27merge_sort_block_merge_implIS3_PlPS5_mZN2at6native12_GLOBAL__N_124unique_dim_cuda_templateIfEESt5tupleIJNSA_6TensorESF_SF_EERKSF_lbbbEUlllE_EE10hipError_tT0_T1_T2_jT3_P12ihipStream_tbPNSt15iterator_traitsISL_E10value_typeEPNSR_ISM_E10value_typeEPSN_NS1_7vsmem_tEENKUlT_SL_SM_SN_E_clIS8_S8_S9_S9_EESK_S10_SL_SM_SN_EUlS10_E1_NS1_11comp_targetILNS1_3genE2ELNS1_11target_archE906ELNS1_3gpuE6ELNS1_3repE0EEENS1_36merge_oddeven_config_static_selectorELNS0_4arch9wavefront6targetE0EEEvSM_,"axG",@progbits,_ZN7rocprim17ROCPRIM_400000_NS6detail17trampoline_kernelINS0_14default_configENS1_38merge_sort_block_merge_config_selectorIlNS0_10empty_typeEEEZZNS1_27merge_sort_block_merge_implIS3_PlPS5_mZN2at6native12_GLOBAL__N_124unique_dim_cuda_templateIfEESt5tupleIJNSA_6TensorESF_SF_EERKSF_lbbbEUlllE_EE10hipError_tT0_T1_T2_jT3_P12ihipStream_tbPNSt15iterator_traitsISL_E10value_typeEPNSR_ISM_E10value_typeEPSN_NS1_7vsmem_tEENKUlT_SL_SM_SN_E_clIS8_S8_S9_S9_EESK_S10_SL_SM_SN_EUlS10_E1_NS1_11comp_targetILNS1_3genE2ELNS1_11target_archE906ELNS1_3gpuE6ELNS1_3repE0EEENS1_36merge_oddeven_config_static_selectorELNS0_4arch9wavefront6targetE0EEEvSM_,comdat
.Lfunc_end901:
	.size	_ZN7rocprim17ROCPRIM_400000_NS6detail17trampoline_kernelINS0_14default_configENS1_38merge_sort_block_merge_config_selectorIlNS0_10empty_typeEEEZZNS1_27merge_sort_block_merge_implIS3_PlPS5_mZN2at6native12_GLOBAL__N_124unique_dim_cuda_templateIfEESt5tupleIJNSA_6TensorESF_SF_EERKSF_lbbbEUlllE_EE10hipError_tT0_T1_T2_jT3_P12ihipStream_tbPNSt15iterator_traitsISL_E10value_typeEPNSR_ISM_E10value_typeEPSN_NS1_7vsmem_tEENKUlT_SL_SM_SN_E_clIS8_S8_S9_S9_EESK_S10_SL_SM_SN_EUlS10_E1_NS1_11comp_targetILNS1_3genE2ELNS1_11target_archE906ELNS1_3gpuE6ELNS1_3repE0EEENS1_36merge_oddeven_config_static_selectorELNS0_4arch9wavefront6targetE0EEEvSM_, .Lfunc_end901-_ZN7rocprim17ROCPRIM_400000_NS6detail17trampoline_kernelINS0_14default_configENS1_38merge_sort_block_merge_config_selectorIlNS0_10empty_typeEEEZZNS1_27merge_sort_block_merge_implIS3_PlPS5_mZN2at6native12_GLOBAL__N_124unique_dim_cuda_templateIfEESt5tupleIJNSA_6TensorESF_SF_EERKSF_lbbbEUlllE_EE10hipError_tT0_T1_T2_jT3_P12ihipStream_tbPNSt15iterator_traitsISL_E10value_typeEPNSR_ISM_E10value_typeEPSN_NS1_7vsmem_tEENKUlT_SL_SM_SN_E_clIS8_S8_S9_S9_EESK_S10_SL_SM_SN_EUlS10_E1_NS1_11comp_targetILNS1_3genE2ELNS1_11target_archE906ELNS1_3gpuE6ELNS1_3repE0EEENS1_36merge_oddeven_config_static_selectorELNS0_4arch9wavefront6targetE0EEEvSM_
                                        ; -- End function
	.section	.AMDGPU.csdata,"",@progbits
; Kernel info:
; codeLenInByte = 0
; NumSgprs: 0
; NumVgprs: 0
; ScratchSize: 0
; MemoryBound: 0
; FloatMode: 240
; IeeeMode: 1
; LDSByteSize: 0 bytes/workgroup (compile time only)
; SGPRBlocks: 0
; VGPRBlocks: 0
; NumSGPRsForWavesPerEU: 1
; NumVGPRsForWavesPerEU: 1
; Occupancy: 16
; WaveLimiterHint : 0
; COMPUTE_PGM_RSRC2:SCRATCH_EN: 0
; COMPUTE_PGM_RSRC2:USER_SGPR: 15
; COMPUTE_PGM_RSRC2:TRAP_HANDLER: 0
; COMPUTE_PGM_RSRC2:TGID_X_EN: 1
; COMPUTE_PGM_RSRC2:TGID_Y_EN: 0
; COMPUTE_PGM_RSRC2:TGID_Z_EN: 0
; COMPUTE_PGM_RSRC2:TIDIG_COMP_CNT: 0
	.section	.text._ZN7rocprim17ROCPRIM_400000_NS6detail17trampoline_kernelINS0_14default_configENS1_38merge_sort_block_merge_config_selectorIlNS0_10empty_typeEEEZZNS1_27merge_sort_block_merge_implIS3_PlPS5_mZN2at6native12_GLOBAL__N_124unique_dim_cuda_templateIfEESt5tupleIJNSA_6TensorESF_SF_EERKSF_lbbbEUlllE_EE10hipError_tT0_T1_T2_jT3_P12ihipStream_tbPNSt15iterator_traitsISL_E10value_typeEPNSR_ISM_E10value_typeEPSN_NS1_7vsmem_tEENKUlT_SL_SM_SN_E_clIS8_S8_S9_S9_EESK_S10_SL_SM_SN_EUlS10_E1_NS1_11comp_targetILNS1_3genE9ELNS1_11target_archE1100ELNS1_3gpuE3ELNS1_3repE0EEENS1_36merge_oddeven_config_static_selectorELNS0_4arch9wavefront6targetE0EEEvSM_,"axG",@progbits,_ZN7rocprim17ROCPRIM_400000_NS6detail17trampoline_kernelINS0_14default_configENS1_38merge_sort_block_merge_config_selectorIlNS0_10empty_typeEEEZZNS1_27merge_sort_block_merge_implIS3_PlPS5_mZN2at6native12_GLOBAL__N_124unique_dim_cuda_templateIfEESt5tupleIJNSA_6TensorESF_SF_EERKSF_lbbbEUlllE_EE10hipError_tT0_T1_T2_jT3_P12ihipStream_tbPNSt15iterator_traitsISL_E10value_typeEPNSR_ISM_E10value_typeEPSN_NS1_7vsmem_tEENKUlT_SL_SM_SN_E_clIS8_S8_S9_S9_EESK_S10_SL_SM_SN_EUlS10_E1_NS1_11comp_targetILNS1_3genE9ELNS1_11target_archE1100ELNS1_3gpuE3ELNS1_3repE0EEENS1_36merge_oddeven_config_static_selectorELNS0_4arch9wavefront6targetE0EEEvSM_,comdat
	.globl	_ZN7rocprim17ROCPRIM_400000_NS6detail17trampoline_kernelINS0_14default_configENS1_38merge_sort_block_merge_config_selectorIlNS0_10empty_typeEEEZZNS1_27merge_sort_block_merge_implIS3_PlPS5_mZN2at6native12_GLOBAL__N_124unique_dim_cuda_templateIfEESt5tupleIJNSA_6TensorESF_SF_EERKSF_lbbbEUlllE_EE10hipError_tT0_T1_T2_jT3_P12ihipStream_tbPNSt15iterator_traitsISL_E10value_typeEPNSR_ISM_E10value_typeEPSN_NS1_7vsmem_tEENKUlT_SL_SM_SN_E_clIS8_S8_S9_S9_EESK_S10_SL_SM_SN_EUlS10_E1_NS1_11comp_targetILNS1_3genE9ELNS1_11target_archE1100ELNS1_3gpuE3ELNS1_3repE0EEENS1_36merge_oddeven_config_static_selectorELNS0_4arch9wavefront6targetE0EEEvSM_ ; -- Begin function _ZN7rocprim17ROCPRIM_400000_NS6detail17trampoline_kernelINS0_14default_configENS1_38merge_sort_block_merge_config_selectorIlNS0_10empty_typeEEEZZNS1_27merge_sort_block_merge_implIS3_PlPS5_mZN2at6native12_GLOBAL__N_124unique_dim_cuda_templateIfEESt5tupleIJNSA_6TensorESF_SF_EERKSF_lbbbEUlllE_EE10hipError_tT0_T1_T2_jT3_P12ihipStream_tbPNSt15iterator_traitsISL_E10value_typeEPNSR_ISM_E10value_typeEPSN_NS1_7vsmem_tEENKUlT_SL_SM_SN_E_clIS8_S8_S9_S9_EESK_S10_SL_SM_SN_EUlS10_E1_NS1_11comp_targetILNS1_3genE9ELNS1_11target_archE1100ELNS1_3gpuE3ELNS1_3repE0EEENS1_36merge_oddeven_config_static_selectorELNS0_4arch9wavefront6targetE0EEEvSM_
	.p2align	8
	.type	_ZN7rocprim17ROCPRIM_400000_NS6detail17trampoline_kernelINS0_14default_configENS1_38merge_sort_block_merge_config_selectorIlNS0_10empty_typeEEEZZNS1_27merge_sort_block_merge_implIS3_PlPS5_mZN2at6native12_GLOBAL__N_124unique_dim_cuda_templateIfEESt5tupleIJNSA_6TensorESF_SF_EERKSF_lbbbEUlllE_EE10hipError_tT0_T1_T2_jT3_P12ihipStream_tbPNSt15iterator_traitsISL_E10value_typeEPNSR_ISM_E10value_typeEPSN_NS1_7vsmem_tEENKUlT_SL_SM_SN_E_clIS8_S8_S9_S9_EESK_S10_SL_SM_SN_EUlS10_E1_NS1_11comp_targetILNS1_3genE9ELNS1_11target_archE1100ELNS1_3gpuE3ELNS1_3repE0EEENS1_36merge_oddeven_config_static_selectorELNS0_4arch9wavefront6targetE0EEEvSM_,@function
_ZN7rocprim17ROCPRIM_400000_NS6detail17trampoline_kernelINS0_14default_configENS1_38merge_sort_block_merge_config_selectorIlNS0_10empty_typeEEEZZNS1_27merge_sort_block_merge_implIS3_PlPS5_mZN2at6native12_GLOBAL__N_124unique_dim_cuda_templateIfEESt5tupleIJNSA_6TensorESF_SF_EERKSF_lbbbEUlllE_EE10hipError_tT0_T1_T2_jT3_P12ihipStream_tbPNSt15iterator_traitsISL_E10value_typeEPNSR_ISM_E10value_typeEPSN_NS1_7vsmem_tEENKUlT_SL_SM_SN_E_clIS8_S8_S9_S9_EESK_S10_SL_SM_SN_EUlS10_E1_NS1_11comp_targetILNS1_3genE9ELNS1_11target_archE1100ELNS1_3gpuE3ELNS1_3repE0EEENS1_36merge_oddeven_config_static_selectorELNS0_4arch9wavefront6targetE0EEEvSM_: ; @_ZN7rocprim17ROCPRIM_400000_NS6detail17trampoline_kernelINS0_14default_configENS1_38merge_sort_block_merge_config_selectorIlNS0_10empty_typeEEEZZNS1_27merge_sort_block_merge_implIS3_PlPS5_mZN2at6native12_GLOBAL__N_124unique_dim_cuda_templateIfEESt5tupleIJNSA_6TensorESF_SF_EERKSF_lbbbEUlllE_EE10hipError_tT0_T1_T2_jT3_P12ihipStream_tbPNSt15iterator_traitsISL_E10value_typeEPNSR_ISM_E10value_typeEPSN_NS1_7vsmem_tEENKUlT_SL_SM_SN_E_clIS8_S8_S9_S9_EESK_S10_SL_SM_SN_EUlS10_E1_NS1_11comp_targetILNS1_3genE9ELNS1_11target_archE1100ELNS1_3gpuE3ELNS1_3repE0EEENS1_36merge_oddeven_config_static_selectorELNS0_4arch9wavefront6targetE0EEEvSM_
; %bb.0:
	s_load_b32 s3, s[0:1], 0x20
	s_waitcnt lgkmcnt(0)
	s_lshr_b32 s2, s3, 8
	s_delay_alu instid0(SALU_CYCLE_1) | instskip(SKIP_4) | instid1(SALU_CYCLE_1)
	s_cmp_lg_u32 s15, s2
	s_cselect_b32 s8, -1, 0
	s_cmp_eq_u32 s15, s2
	s_cselect_b32 s14, -1, 0
	s_lshl_b32 s12, s15, 8
	s_sub_i32 s2, s3, s12
	s_delay_alu instid0(SALU_CYCLE_1) | instskip(NEXT) | instid1(VALU_DEP_1)
	v_cmp_gt_u32_e64 s2, s2, v0
	s_or_b32 s4, s8, s2
	s_delay_alu instid0(SALU_CYCLE_1)
	s_and_saveexec_b32 s5, s4
	s_cbranch_execz .LBB902_54
; %bb.1:
	s_clause 0x1
	s_load_b128 s[4:7], s[0:1], 0x0
	s_load_b32 s18, s[0:1], 0x28
	s_mov_b32 s13, 0
	v_lshlrev_b32_e32 v1, 3, v0
	s_lshl_b64 s[10:11], s[12:13], 3
	s_waitcnt lgkmcnt(0)
	s_add_u32 s10, s4, s10
	s_addc_u32 s11, s5, s11
	s_lshr_b32 s9, s18, 8
	global_load_b64 v[1:2], v1, s[10:11]
	s_sub_i32 s10, 0, s9
	s_delay_alu instid0(SALU_CYCLE_1) | instskip(NEXT) | instid1(SALU_CYCLE_1)
	s_and_b32 s10, s15, s10
	s_and_b32 s9, s10, s9
	s_delay_alu instid0(SALU_CYCLE_1)
	s_cmp_lg_u32 s9, 0
	s_cselect_b32 s16, -1, 0
	s_lshl_b32 s15, s10, 8
	s_sub_i32 s10, 0, s18
	s_cmp_eq_u32 s9, 0
	s_cselect_b32 s17, s18, s10
	s_delay_alu instid0(SALU_CYCLE_1) | instskip(NEXT) | instid1(SALU_CYCLE_1)
	s_add_i32 s17, s17, s15
	s_cmp_lt_u32 s17, s3
	s_cbranch_scc1 .LBB902_3
; %bb.2:
	v_add_nc_u32_e32 v3, s12, v0
	s_delay_alu instid0(VALU_DEP_1) | instskip(SKIP_1) | instid1(SALU_CYCLE_1)
	v_cmp_gt_u32_e32 vcc_lo, s3, v3
	s_or_b32 s9, vcc_lo, s8
	s_and_b32 s13, s9, exec_lo
	s_cbranch_execz .LBB902_4
	s_branch .LBB902_52
.LBB902_3:
                                        ; implicit-def: $vgpr3
.LBB902_4:
	s_load_b128 s[8:11], s[0:1], 0x30
	v_add_nc_u32_e32 v0, s12, v0
	s_min_u32 s1, s17, s3
	s_and_b32 vcc_lo, exec_lo, s14
	s_add_i32 s0, s15, s1
	s_add_i32 s12, s1, s18
	v_subrev_nc_u32_e32 v0, s0, v0
	s_min_u32 s0, s15, s1
	s_min_u32 s12, s12, s3
	s_delay_alu instid0(VALU_DEP_1)
	v_add_nc_u32_e32 v0, s0, v0
	s_cbranch_vccz .LBB902_26
; %bb.5:
                                        ; implicit-def: $vgpr3
	s_and_saveexec_b32 s18, s2
	s_cbranch_execz .LBB902_29
; %bb.6:
	v_mov_b32_e32 v13, s1
	s_cmp_ge_u32 s17, s12
	s_cbranch_scc1 .LBB902_28
; %bb.7:
	s_waitcnt vmcnt(0) lgkmcnt(0)
	v_mul_lo_u32 v5, v2, s8
	v_mul_lo_u32 v6, v1, s9
	v_mad_u64_u32 v[3:4], null, v1, s8, 0
	v_cmp_gt_i64_e64 s19, s[8:9], 0
	v_dual_mov_b32 v14, s12 :: v_dual_mov_b32 v13, s1
	s_lshl_b64 s[2:3], s[8:9], 2
	s_mov_b32 s20, 0
	s_delay_alu instid0(VALU_DEP_3) | instskip(NEXT) | instid1(VALU_DEP_1)
	v_add3_u32 v4, v4, v6, v5
	v_lshlrev_b64 v[5:6], 2, v[3:4]
	v_mov_b32_e32 v4, 0
	s_delay_alu instid0(VALU_DEP_2) | instskip(NEXT) | instid1(VALU_DEP_3)
	v_add_co_u32 v5, vcc_lo, s10, v5
	v_add_co_ci_u32_e32 v6, vcc_lo, s11, v6, vcc_lo
	s_branch .LBB902_10
.LBB902_8:                              ;   in Loop: Header=BB902_10 Depth=1
	s_set_inst_prefetch_distance 0x2
	s_or_b32 exec_lo, exec_lo, s22
.LBB902_9:                              ;   in Loop: Header=BB902_10 Depth=1
	s_waitcnt vmcnt(0)
	v_add_nc_u32_e32 v7, 1, v3
	v_cndmask_b32_e64 v14, v3, v14, s21
	s_delay_alu instid0(VALU_DEP_2) | instskip(NEXT) | instid1(VALU_DEP_1)
	v_cndmask_b32_e64 v13, v13, v7, s21
	v_cmp_ge_u32_e32 vcc_lo, v13, v14
	s_or_b32 s20, vcc_lo, s20
	s_delay_alu instid0(SALU_CYCLE_1)
	s_and_not1_b32 exec_lo, exec_lo, s20
	s_cbranch_execz .LBB902_27
.LBB902_10:                             ; =>This Loop Header: Depth=1
                                        ;     Child Loop BB902_14 Depth 2
                                        ;     Child Loop BB902_23 Depth 2
	v_add_nc_u32_e32 v3, v13, v14
	s_mov_b32 s0, -1
                                        ; implicit-def: $sgpr21
	s_delay_alu instid0(VALU_DEP_1) | instskip(NEXT) | instid1(VALU_DEP_1)
	v_lshrrev_b32_e32 v3, 1, v3
	v_lshlrev_b64 v[7:8], 3, v[3:4]
	s_delay_alu instid0(VALU_DEP_1) | instskip(NEXT) | instid1(VALU_DEP_2)
	v_add_co_u32 v7, vcc_lo, s4, v7
	v_add_co_ci_u32_e32 v8, vcc_lo, s5, v8, vcc_lo
	s_and_not1_b32 vcc_lo, exec_lo, s16
	global_load_b64 v[7:8], v[7:8], off
	s_cbranch_vccnz .LBB902_19
; %bb.11:                               ;   in Loop: Header=BB902_10 Depth=1
	s_and_not1_b32 vcc_lo, exec_lo, s19
	s_cbranch_vccnz .LBB902_17
; %bb.12:                               ;   in Loop: Header=BB902_10 Depth=1
	s_waitcnt vmcnt(0)
	v_mad_u64_u32 v[9:10], null, s2, v7, s[10:11]
	v_mul_lo_u32 v11, s2, v8
	v_mul_lo_u32 v12, s3, v7
	s_mov_b32 s22, 0
	s_mov_b64 s[14:15], s[8:9]
                                        ; implicit-def: $sgpr21
                                        ; implicit-def: $sgpr23
                                        ; implicit-def: $sgpr24
                                        ; implicit-def: $sgpr25
                                        ; implicit-def: $sgpr26
	s_delay_alu instid0(VALU_DEP_1)
	v_add3_u32 v10, v12, v10, v11
	v_dual_mov_b32 v12, v6 :: v_dual_mov_b32 v11, v5
	s_set_inst_prefetch_distance 0x1
	s_branch .LBB902_14
	.p2align	6
.LBB902_13:                             ;   in Loop: Header=BB902_14 Depth=2
	s_or_b32 exec_lo, exec_lo, s0
	s_delay_alu instid0(SALU_CYCLE_1) | instskip(NEXT) | instid1(SALU_CYCLE_1)
	s_and_b32 s0, exec_lo, s23
	s_or_b32 s22, s0, s22
	s_and_not1_b32 s0, s26, exec_lo
	s_and_b32 s26, s24, exec_lo
	s_and_not1_b32 s21, s21, exec_lo
	s_and_b32 s27, s25, exec_lo
	s_or_b32 s26, s0, s26
	s_or_b32 s21, s21, s27
	s_and_not1_b32 exec_lo, exec_lo, s22
	s_cbranch_execz .LBB902_16
.LBB902_14:                             ;   Parent Loop BB902_10 Depth=1
                                        ; =>  This Inner Loop Header: Depth=2
	global_load_b32 v15, v[11:12], off
	global_load_b32 v16, v[9:10], off
	s_and_not1_b32 s25, s25, exec_lo
	s_and_not1_b32 s24, s24, exec_lo
	s_or_b32 s23, s23, exec_lo
	s_waitcnt vmcnt(0)
	v_cmp_ngt_f32_e32 vcc_lo, v15, v16
	v_cmp_lt_f32_e64 s0, v15, v16
	s_and_b32 s27, vcc_lo, s26
	s_delay_alu instid0(VALU_DEP_1) | instid1(SALU_CYCLE_1)
	s_or_b32 s27, s0, s27
	s_delay_alu instid0(SALU_CYCLE_1) | instskip(NEXT) | instid1(SALU_CYCLE_1)
	s_and_b32 s0, s27, exec_lo
	s_or_b32 s25, s25, s0
	s_mov_b32 s0, exec_lo
	v_cmpx_nlg_f32_e32 v15, v16
	s_cbranch_execz .LBB902_13
; %bb.15:                               ;   in Loop: Header=BB902_14 Depth=2
	s_add_u32 s14, s14, -1
	s_addc_u32 s15, s15, -1
	v_add_co_u32 v11, vcc_lo, v11, 4
	s_cmp_eq_u64 s[14:15], 0
	v_add_co_ci_u32_e32 v12, vcc_lo, 0, v12, vcc_lo
	s_cselect_b32 s26, -1, 0
	v_add_co_u32 v9, vcc_lo, v9, 4
	s_and_not1_b32 s24, s24, exec_lo
	s_and_b32 s27, s27, exec_lo
	s_and_not1_b32 s23, s23, exec_lo
	s_and_b32 s26, s26, exec_lo
	v_add_co_ci_u32_e32 v10, vcc_lo, 0, v10, vcc_lo
	s_and_not1_b32 s25, s25, exec_lo
	s_or_b32 s24, s24, s27
	s_or_b32 s23, s23, s26
                                        ; implicit-def: $sgpr26
	s_branch .LBB902_13
.LBB902_16:                             ;   in Loop: Header=BB902_10 Depth=1
	s_set_inst_prefetch_distance 0x2
	s_or_b32 exec_lo, exec_lo, s22
	s_branch .LBB902_18
.LBB902_17:                             ;   in Loop: Header=BB902_10 Depth=1
	s_mov_b32 s21, 0
.LBB902_18:                             ;   in Loop: Header=BB902_10 Depth=1
	s_delay_alu instid0(SALU_CYCLE_1)
	s_xor_b32 s21, s21, -1
	s_mov_b32 s0, 0
.LBB902_19:                             ;   in Loop: Header=BB902_10 Depth=1
	s_delay_alu instid0(SALU_CYCLE_1)
	s_and_b32 vcc_lo, exec_lo, s0
	s_cbranch_vccz .LBB902_9
; %bb.20:                               ;   in Loop: Header=BB902_10 Depth=1
	s_and_not1_b32 vcc_lo, exec_lo, s19
	s_cbranch_vccnz .LBB902_25
; %bb.21:                               ;   in Loop: Header=BB902_10 Depth=1
	s_waitcnt vmcnt(0)
	v_mad_u64_u32 v[9:10], null, s2, v7, s[10:11]
	v_mul_lo_u32 v8, s2, v8
	v_mul_lo_u32 v7, s3, v7
	s_mov_b32 s22, 0
	s_mov_b64 s[14:15], s[8:9]
                                        ; implicit-def: $sgpr21
                                        ; implicit-def: $sgpr23
                                        ; implicit-def: $sgpr24
                                        ; implicit-def: $sgpr25
                                        ; implicit-def: $sgpr26
	s_delay_alu instid0(VALU_DEP_1)
	v_add3_u32 v10, v7, v10, v8
	v_dual_mov_b32 v8, v6 :: v_dual_mov_b32 v7, v5
	s_set_inst_prefetch_distance 0x1
	s_branch .LBB902_23
	.p2align	6
.LBB902_22:                             ;   in Loop: Header=BB902_23 Depth=2
	s_or_b32 exec_lo, exec_lo, s0
	s_delay_alu instid0(SALU_CYCLE_1) | instskip(NEXT) | instid1(SALU_CYCLE_1)
	s_and_b32 s0, exec_lo, s23
	s_or_b32 s22, s0, s22
	s_and_not1_b32 s0, s26, exec_lo
	s_and_b32 s26, s24, exec_lo
	s_and_not1_b32 s21, s21, exec_lo
	s_and_b32 s27, s25, exec_lo
	s_or_b32 s26, s0, s26
	s_or_b32 s21, s21, s27
	s_and_not1_b32 exec_lo, exec_lo, s22
	s_cbranch_execz .LBB902_8
.LBB902_23:                             ;   Parent Loop BB902_10 Depth=1
                                        ; =>  This Inner Loop Header: Depth=2
	global_load_b32 v11, v[9:10], off
	global_load_b32 v12, v[7:8], off
	s_and_not1_b32 s25, s25, exec_lo
	s_and_not1_b32 s24, s24, exec_lo
	s_or_b32 s23, s23, exec_lo
	s_waitcnt vmcnt(0)
	v_cmp_ngt_f32_e32 vcc_lo, v11, v12
	v_cmp_lt_f32_e64 s0, v11, v12
	s_and_b32 s27, vcc_lo, s26
	s_delay_alu instid0(VALU_DEP_1) | instid1(SALU_CYCLE_1)
	s_or_b32 s27, s0, s27
	s_delay_alu instid0(SALU_CYCLE_1) | instskip(NEXT) | instid1(SALU_CYCLE_1)
	s_and_b32 s0, s27, exec_lo
	s_or_b32 s25, s25, s0
	s_mov_b32 s0, exec_lo
	v_cmpx_nlg_f32_e32 v11, v12
	s_cbranch_execz .LBB902_22
; %bb.24:                               ;   in Loop: Header=BB902_23 Depth=2
	s_add_u32 s14, s14, -1
	s_addc_u32 s15, s15, -1
	v_add_co_u32 v9, vcc_lo, v9, 4
	s_cmp_eq_u64 s[14:15], 0
	v_add_co_ci_u32_e32 v10, vcc_lo, 0, v10, vcc_lo
	s_cselect_b32 s26, -1, 0
	v_add_co_u32 v7, vcc_lo, v7, 4
	s_and_not1_b32 s24, s24, exec_lo
	s_and_b32 s27, s27, exec_lo
	s_and_not1_b32 s23, s23, exec_lo
	s_and_b32 s26, s26, exec_lo
	v_add_co_ci_u32_e32 v8, vcc_lo, 0, v8, vcc_lo
	s_and_not1_b32 s25, s25, exec_lo
	s_or_b32 s24, s24, s27
	s_or_b32 s23, s23, s26
                                        ; implicit-def: $sgpr26
	s_branch .LBB902_22
.LBB902_25:                             ;   in Loop: Header=BB902_10 Depth=1
	s_mov_b32 s21, 0
	s_branch .LBB902_9
.LBB902_26:
                                        ; implicit-def: $vgpr3
	s_cbranch_execnz .LBB902_30
	s_branch .LBB902_52
.LBB902_27:
	s_or_b32 exec_lo, exec_lo, s20
.LBB902_28:
	s_delay_alu instid0(VALU_DEP_1)
	v_add_nc_u32_e32 v3, v13, v0
	s_or_b32 s13, s13, exec_lo
.LBB902_29:
	s_or_b32 exec_lo, exec_lo, s18
	s_branch .LBB902_52
.LBB902_30:
	v_mov_b32_e32 v13, s1
	s_cmp_ge_u32 s17, s12
	s_cbranch_scc1 .LBB902_51
; %bb.31:
	s_waitcnt vmcnt(0) lgkmcnt(0)
	v_mul_lo_u32 v5, v2, s8
	v_mul_lo_u32 v6, v1, s9
	v_mad_u64_u32 v[3:4], null, v1, s8, 0
	v_dual_mov_b32 v14, s12 :: v_dual_mov_b32 v13, s1
	v_cmp_gt_i64_e64 s1, s[8:9], 0
	s_lshl_b64 s[2:3], s[8:9], 2
	s_mov_b32 s14, 0
	s_delay_alu instid0(VALU_DEP_3) | instskip(NEXT) | instid1(VALU_DEP_2)
	v_add3_u32 v4, v4, v6, v5
	v_cndmask_b32_e64 v15, 0, 1, s1
	s_delay_alu instid0(VALU_DEP_2) | instskip(SKIP_1) | instid1(VALU_DEP_2)
	v_lshlrev_b64 v[5:6], 2, v[3:4]
	v_mov_b32_e32 v4, 0
	v_add_co_u32 v5, vcc_lo, s10, v5
	s_delay_alu instid0(VALU_DEP_3)
	v_add_co_ci_u32_e32 v6, vcc_lo, s11, v6, vcc_lo
	s_branch .LBB902_34
.LBB902_32:                             ;   in Loop: Header=BB902_34 Depth=1
	s_set_inst_prefetch_distance 0x2
	s_or_b32 exec_lo, exec_lo, s17
.LBB902_33:                             ;   in Loop: Header=BB902_34 Depth=1
	s_waitcnt vmcnt(0)
	v_add_nc_u32_e32 v7, 1, v3
	v_cndmask_b32_e64 v14, v3, v14, s15
	s_delay_alu instid0(VALU_DEP_2) | instskip(NEXT) | instid1(VALU_DEP_1)
	v_cndmask_b32_e64 v13, v13, v7, s15
	v_cmp_ge_u32_e32 vcc_lo, v13, v14
	s_or_b32 s14, vcc_lo, s14
	s_delay_alu instid0(SALU_CYCLE_1)
	s_and_not1_b32 exec_lo, exec_lo, s14
	s_cbranch_execz .LBB902_50
.LBB902_34:                             ; =>This Loop Header: Depth=1
                                        ;     Child Loop BB902_38 Depth 2
                                        ;     Child Loop BB902_47 Depth 2
	v_add_nc_u32_e32 v3, v13, v14
	v_cmp_ne_u32_e64 s0, 1, v15
	s_mov_b32 s12, -1
                                        ; implicit-def: $sgpr15
	s_delay_alu instid0(VALU_DEP_2) | instskip(NEXT) | instid1(VALU_DEP_1)
	v_lshrrev_b32_e32 v3, 1, v3
	v_lshlrev_b64 v[7:8], 3, v[3:4]
	s_delay_alu instid0(VALU_DEP_1) | instskip(NEXT) | instid1(VALU_DEP_2)
	v_add_co_u32 v7, vcc_lo, s4, v7
	v_add_co_ci_u32_e32 v8, vcc_lo, s5, v8, vcc_lo
	s_and_not1_b32 vcc_lo, exec_lo, s16
	global_load_b64 v[7:8], v[7:8], off
	s_cbranch_vccnz .LBB902_43
; %bb.35:                               ;   in Loop: Header=BB902_34 Depth=1
	s_and_b32 vcc_lo, exec_lo, s0
	s_cbranch_vccnz .LBB902_41
; %bb.36:                               ;   in Loop: Header=BB902_34 Depth=1
	s_waitcnt vmcnt(0)
	v_mad_u64_u32 v[9:10], null, s2, v7, s[10:11]
	v_mul_lo_u32 v11, s2, v8
	v_mul_lo_u32 v12, s3, v7
	s_mov_b32 s17, 0
	s_mov_b64 s[12:13], s[8:9]
                                        ; implicit-def: $sgpr15
                                        ; implicit-def: $sgpr18
                                        ; implicit-def: $sgpr19
                                        ; implicit-def: $sgpr20
                                        ; implicit-def: $sgpr21
	s_delay_alu instid0(VALU_DEP_1)
	v_add3_u32 v10, v12, v10, v11
	v_dual_mov_b32 v12, v6 :: v_dual_mov_b32 v11, v5
	s_set_inst_prefetch_distance 0x1
	s_branch .LBB902_38
	.p2align	6
.LBB902_37:                             ;   in Loop: Header=BB902_38 Depth=2
	s_or_b32 exec_lo, exec_lo, s0
	s_delay_alu instid0(SALU_CYCLE_1) | instskip(NEXT) | instid1(SALU_CYCLE_1)
	s_and_b32 s0, exec_lo, s18
	s_or_b32 s17, s0, s17
	s_and_not1_b32 s0, s21, exec_lo
	s_and_b32 s21, s19, exec_lo
	s_and_not1_b32 s15, s15, exec_lo
	s_and_b32 s22, s20, exec_lo
	s_or_b32 s21, s0, s21
	s_or_b32 s15, s15, s22
	s_and_not1_b32 exec_lo, exec_lo, s17
	s_cbranch_execz .LBB902_40
.LBB902_38:                             ;   Parent Loop BB902_34 Depth=1
                                        ; =>  This Inner Loop Header: Depth=2
	global_load_b32 v16, v[11:12], off
	global_load_b32 v17, v[9:10], off
	s_and_not1_b32 s20, s20, exec_lo
	s_and_not1_b32 s19, s19, exec_lo
	s_or_b32 s18, s18, exec_lo
	s_waitcnt vmcnt(0)
	v_cmp_ngt_f32_e32 vcc_lo, v16, v17
	v_cmp_lt_f32_e64 s0, v16, v17
	s_and_b32 s22, vcc_lo, s21
	s_delay_alu instid0(VALU_DEP_1) | instid1(SALU_CYCLE_1)
	s_or_b32 s22, s0, s22
	s_delay_alu instid0(SALU_CYCLE_1) | instskip(NEXT) | instid1(SALU_CYCLE_1)
	s_and_b32 s0, s22, exec_lo
	s_or_b32 s20, s20, s0
	s_mov_b32 s0, exec_lo
	v_cmpx_nlg_f32_e32 v16, v17
	s_cbranch_execz .LBB902_37
; %bb.39:                               ;   in Loop: Header=BB902_38 Depth=2
	s_add_u32 s12, s12, -1
	s_addc_u32 s13, s13, -1
	v_add_co_u32 v11, vcc_lo, v11, 4
	s_cmp_eq_u64 s[12:13], 0
	v_add_co_ci_u32_e32 v12, vcc_lo, 0, v12, vcc_lo
	s_cselect_b32 s21, -1, 0
	v_add_co_u32 v9, vcc_lo, v9, 4
	s_and_not1_b32 s19, s19, exec_lo
	s_and_b32 s22, s22, exec_lo
	s_and_not1_b32 s18, s18, exec_lo
	s_and_b32 s21, s21, exec_lo
	v_add_co_ci_u32_e32 v10, vcc_lo, 0, v10, vcc_lo
	s_and_not1_b32 s20, s20, exec_lo
	s_or_b32 s19, s19, s22
	s_or_b32 s18, s18, s21
                                        ; implicit-def: $sgpr21
	s_branch .LBB902_37
.LBB902_40:                             ;   in Loop: Header=BB902_34 Depth=1
	s_set_inst_prefetch_distance 0x2
	s_or_b32 exec_lo, exec_lo, s17
	s_branch .LBB902_42
.LBB902_41:                             ;   in Loop: Header=BB902_34 Depth=1
	s_mov_b32 s15, 0
.LBB902_42:                             ;   in Loop: Header=BB902_34 Depth=1
	s_delay_alu instid0(SALU_CYCLE_1)
	s_xor_b32 s15, s15, -1
	s_mov_b32 s12, 0
.LBB902_43:                             ;   in Loop: Header=BB902_34 Depth=1
	s_delay_alu instid0(SALU_CYCLE_1)
	s_and_b32 vcc_lo, exec_lo, s12
	s_cbranch_vccz .LBB902_33
; %bb.44:                               ;   in Loop: Header=BB902_34 Depth=1
	s_and_not1_b32 vcc_lo, exec_lo, s1
	s_cbranch_vccnz .LBB902_49
; %bb.45:                               ;   in Loop: Header=BB902_34 Depth=1
	s_waitcnt vmcnt(0)
	v_mad_u64_u32 v[9:10], null, s2, v7, s[10:11]
	v_mul_lo_u32 v8, s2, v8
	v_mul_lo_u32 v7, s3, v7
	s_mov_b32 s17, 0
	s_mov_b64 s[12:13], s[8:9]
                                        ; implicit-def: $sgpr15
                                        ; implicit-def: $sgpr18
                                        ; implicit-def: $sgpr19
                                        ; implicit-def: $sgpr20
                                        ; implicit-def: $sgpr21
	s_delay_alu instid0(VALU_DEP_1)
	v_add3_u32 v10, v7, v10, v8
	v_dual_mov_b32 v8, v6 :: v_dual_mov_b32 v7, v5
	s_set_inst_prefetch_distance 0x1
	s_branch .LBB902_47
	.p2align	6
.LBB902_46:                             ;   in Loop: Header=BB902_47 Depth=2
	s_or_b32 exec_lo, exec_lo, s0
	s_delay_alu instid0(SALU_CYCLE_1) | instskip(NEXT) | instid1(SALU_CYCLE_1)
	s_and_b32 s0, exec_lo, s18
	s_or_b32 s17, s0, s17
	s_and_not1_b32 s0, s21, exec_lo
	s_and_b32 s21, s19, exec_lo
	s_and_not1_b32 s15, s15, exec_lo
	s_and_b32 s22, s20, exec_lo
	s_or_b32 s21, s0, s21
	s_or_b32 s15, s15, s22
	s_and_not1_b32 exec_lo, exec_lo, s17
	s_cbranch_execz .LBB902_32
.LBB902_47:                             ;   Parent Loop BB902_34 Depth=1
                                        ; =>  This Inner Loop Header: Depth=2
	global_load_b32 v11, v[9:10], off
	global_load_b32 v12, v[7:8], off
	s_and_not1_b32 s20, s20, exec_lo
	s_and_not1_b32 s19, s19, exec_lo
	s_or_b32 s18, s18, exec_lo
	s_waitcnt vmcnt(0)
	v_cmp_ngt_f32_e32 vcc_lo, v11, v12
	v_cmp_lt_f32_e64 s0, v11, v12
	s_and_b32 s22, vcc_lo, s21
	s_delay_alu instid0(VALU_DEP_1) | instid1(SALU_CYCLE_1)
	s_or_b32 s22, s0, s22
	s_delay_alu instid0(SALU_CYCLE_1) | instskip(NEXT) | instid1(SALU_CYCLE_1)
	s_and_b32 s0, s22, exec_lo
	s_or_b32 s20, s20, s0
	s_mov_b32 s0, exec_lo
	v_cmpx_nlg_f32_e32 v11, v12
	s_cbranch_execz .LBB902_46
; %bb.48:                               ;   in Loop: Header=BB902_47 Depth=2
	s_add_u32 s12, s12, -1
	s_addc_u32 s13, s13, -1
	v_add_co_u32 v9, vcc_lo, v9, 4
	s_cmp_eq_u64 s[12:13], 0
	v_add_co_ci_u32_e32 v10, vcc_lo, 0, v10, vcc_lo
	s_cselect_b32 s21, -1, 0
	v_add_co_u32 v7, vcc_lo, v7, 4
	s_and_not1_b32 s19, s19, exec_lo
	s_and_b32 s22, s22, exec_lo
	s_and_not1_b32 s18, s18, exec_lo
	s_and_b32 s21, s21, exec_lo
	v_add_co_ci_u32_e32 v8, vcc_lo, 0, v8, vcc_lo
	s_and_not1_b32 s20, s20, exec_lo
	s_or_b32 s19, s19, s22
	s_or_b32 s18, s18, s21
                                        ; implicit-def: $sgpr21
	s_branch .LBB902_46
.LBB902_49:                             ;   in Loop: Header=BB902_34 Depth=1
	s_mov_b32 s15, 0
	s_branch .LBB902_33
.LBB902_50:
	s_or_b32 exec_lo, exec_lo, s14
.LBB902_51:
	s_delay_alu instid0(VALU_DEP_1)
	v_add_nc_u32_e32 v3, v13, v0
	s_mov_b32 s13, -1
.LBB902_52:
	s_delay_alu instid0(SALU_CYCLE_1)
	s_and_b32 exec_lo, exec_lo, s13
	s_cbranch_execz .LBB902_54
; %bb.53:
	v_mov_b32_e32 v4, 0
	s_delay_alu instid0(VALU_DEP_1) | instskip(NEXT) | instid1(VALU_DEP_1)
	v_lshlrev_b64 v[3:4], 3, v[3:4]
	v_add_co_u32 v3, vcc_lo, s6, v3
	s_delay_alu instid0(VALU_DEP_2)
	v_add_co_ci_u32_e32 v4, vcc_lo, s7, v4, vcc_lo
	s_waitcnt vmcnt(0)
	global_store_b64 v[3:4], v[1:2], off
.LBB902_54:
	s_nop 0
	s_sendmsg sendmsg(MSG_DEALLOC_VGPRS)
	s_endpgm
	.section	.rodata,"a",@progbits
	.p2align	6, 0x0
	.amdhsa_kernel _ZN7rocprim17ROCPRIM_400000_NS6detail17trampoline_kernelINS0_14default_configENS1_38merge_sort_block_merge_config_selectorIlNS0_10empty_typeEEEZZNS1_27merge_sort_block_merge_implIS3_PlPS5_mZN2at6native12_GLOBAL__N_124unique_dim_cuda_templateIfEESt5tupleIJNSA_6TensorESF_SF_EERKSF_lbbbEUlllE_EE10hipError_tT0_T1_T2_jT3_P12ihipStream_tbPNSt15iterator_traitsISL_E10value_typeEPNSR_ISM_E10value_typeEPSN_NS1_7vsmem_tEENKUlT_SL_SM_SN_E_clIS8_S8_S9_S9_EESK_S10_SL_SM_SN_EUlS10_E1_NS1_11comp_targetILNS1_3genE9ELNS1_11target_archE1100ELNS1_3gpuE3ELNS1_3repE0EEENS1_36merge_oddeven_config_static_selectorELNS0_4arch9wavefront6targetE0EEEvSM_
		.amdhsa_group_segment_fixed_size 0
		.amdhsa_private_segment_fixed_size 0
		.amdhsa_kernarg_size 64
		.amdhsa_user_sgpr_count 15
		.amdhsa_user_sgpr_dispatch_ptr 0
		.amdhsa_user_sgpr_queue_ptr 0
		.amdhsa_user_sgpr_kernarg_segment_ptr 1
		.amdhsa_user_sgpr_dispatch_id 0
		.amdhsa_user_sgpr_private_segment_size 0
		.amdhsa_wavefront_size32 1
		.amdhsa_uses_dynamic_stack 0
		.amdhsa_enable_private_segment 0
		.amdhsa_system_sgpr_workgroup_id_x 1
		.amdhsa_system_sgpr_workgroup_id_y 0
		.amdhsa_system_sgpr_workgroup_id_z 0
		.amdhsa_system_sgpr_workgroup_info 0
		.amdhsa_system_vgpr_workitem_id 0
		.amdhsa_next_free_vgpr 18
		.amdhsa_next_free_sgpr 28
		.amdhsa_reserve_vcc 1
		.amdhsa_float_round_mode_32 0
		.amdhsa_float_round_mode_16_64 0
		.amdhsa_float_denorm_mode_32 3
		.amdhsa_float_denorm_mode_16_64 3
		.amdhsa_dx10_clamp 1
		.amdhsa_ieee_mode 1
		.amdhsa_fp16_overflow 0
		.amdhsa_workgroup_processor_mode 1
		.amdhsa_memory_ordered 1
		.amdhsa_forward_progress 0
		.amdhsa_shared_vgpr_count 0
		.amdhsa_exception_fp_ieee_invalid_op 0
		.amdhsa_exception_fp_denorm_src 0
		.amdhsa_exception_fp_ieee_div_zero 0
		.amdhsa_exception_fp_ieee_overflow 0
		.amdhsa_exception_fp_ieee_underflow 0
		.amdhsa_exception_fp_ieee_inexact 0
		.amdhsa_exception_int_div_zero 0
	.end_amdhsa_kernel
	.section	.text._ZN7rocprim17ROCPRIM_400000_NS6detail17trampoline_kernelINS0_14default_configENS1_38merge_sort_block_merge_config_selectorIlNS0_10empty_typeEEEZZNS1_27merge_sort_block_merge_implIS3_PlPS5_mZN2at6native12_GLOBAL__N_124unique_dim_cuda_templateIfEESt5tupleIJNSA_6TensorESF_SF_EERKSF_lbbbEUlllE_EE10hipError_tT0_T1_T2_jT3_P12ihipStream_tbPNSt15iterator_traitsISL_E10value_typeEPNSR_ISM_E10value_typeEPSN_NS1_7vsmem_tEENKUlT_SL_SM_SN_E_clIS8_S8_S9_S9_EESK_S10_SL_SM_SN_EUlS10_E1_NS1_11comp_targetILNS1_3genE9ELNS1_11target_archE1100ELNS1_3gpuE3ELNS1_3repE0EEENS1_36merge_oddeven_config_static_selectorELNS0_4arch9wavefront6targetE0EEEvSM_,"axG",@progbits,_ZN7rocprim17ROCPRIM_400000_NS6detail17trampoline_kernelINS0_14default_configENS1_38merge_sort_block_merge_config_selectorIlNS0_10empty_typeEEEZZNS1_27merge_sort_block_merge_implIS3_PlPS5_mZN2at6native12_GLOBAL__N_124unique_dim_cuda_templateIfEESt5tupleIJNSA_6TensorESF_SF_EERKSF_lbbbEUlllE_EE10hipError_tT0_T1_T2_jT3_P12ihipStream_tbPNSt15iterator_traitsISL_E10value_typeEPNSR_ISM_E10value_typeEPSN_NS1_7vsmem_tEENKUlT_SL_SM_SN_E_clIS8_S8_S9_S9_EESK_S10_SL_SM_SN_EUlS10_E1_NS1_11comp_targetILNS1_3genE9ELNS1_11target_archE1100ELNS1_3gpuE3ELNS1_3repE0EEENS1_36merge_oddeven_config_static_selectorELNS0_4arch9wavefront6targetE0EEEvSM_,comdat
.Lfunc_end902:
	.size	_ZN7rocprim17ROCPRIM_400000_NS6detail17trampoline_kernelINS0_14default_configENS1_38merge_sort_block_merge_config_selectorIlNS0_10empty_typeEEEZZNS1_27merge_sort_block_merge_implIS3_PlPS5_mZN2at6native12_GLOBAL__N_124unique_dim_cuda_templateIfEESt5tupleIJNSA_6TensorESF_SF_EERKSF_lbbbEUlllE_EE10hipError_tT0_T1_T2_jT3_P12ihipStream_tbPNSt15iterator_traitsISL_E10value_typeEPNSR_ISM_E10value_typeEPSN_NS1_7vsmem_tEENKUlT_SL_SM_SN_E_clIS8_S8_S9_S9_EESK_S10_SL_SM_SN_EUlS10_E1_NS1_11comp_targetILNS1_3genE9ELNS1_11target_archE1100ELNS1_3gpuE3ELNS1_3repE0EEENS1_36merge_oddeven_config_static_selectorELNS0_4arch9wavefront6targetE0EEEvSM_, .Lfunc_end902-_ZN7rocprim17ROCPRIM_400000_NS6detail17trampoline_kernelINS0_14default_configENS1_38merge_sort_block_merge_config_selectorIlNS0_10empty_typeEEEZZNS1_27merge_sort_block_merge_implIS3_PlPS5_mZN2at6native12_GLOBAL__N_124unique_dim_cuda_templateIfEESt5tupleIJNSA_6TensorESF_SF_EERKSF_lbbbEUlllE_EE10hipError_tT0_T1_T2_jT3_P12ihipStream_tbPNSt15iterator_traitsISL_E10value_typeEPNSR_ISM_E10value_typeEPSN_NS1_7vsmem_tEENKUlT_SL_SM_SN_E_clIS8_S8_S9_S9_EESK_S10_SL_SM_SN_EUlS10_E1_NS1_11comp_targetILNS1_3genE9ELNS1_11target_archE1100ELNS1_3gpuE3ELNS1_3repE0EEENS1_36merge_oddeven_config_static_selectorELNS0_4arch9wavefront6targetE0EEEvSM_
                                        ; -- End function
	.section	.AMDGPU.csdata,"",@progbits
; Kernel info:
; codeLenInByte = 2036
; NumSgprs: 30
; NumVgprs: 18
; ScratchSize: 0
; MemoryBound: 0
; FloatMode: 240
; IeeeMode: 1
; LDSByteSize: 0 bytes/workgroup (compile time only)
; SGPRBlocks: 3
; VGPRBlocks: 2
; NumSGPRsForWavesPerEU: 30
; NumVGPRsForWavesPerEU: 18
; Occupancy: 16
; WaveLimiterHint : 0
; COMPUTE_PGM_RSRC2:SCRATCH_EN: 0
; COMPUTE_PGM_RSRC2:USER_SGPR: 15
; COMPUTE_PGM_RSRC2:TRAP_HANDLER: 0
; COMPUTE_PGM_RSRC2:TGID_X_EN: 1
; COMPUTE_PGM_RSRC2:TGID_Y_EN: 0
; COMPUTE_PGM_RSRC2:TGID_Z_EN: 0
; COMPUTE_PGM_RSRC2:TIDIG_COMP_CNT: 0
	.section	.text._ZN7rocprim17ROCPRIM_400000_NS6detail17trampoline_kernelINS0_14default_configENS1_38merge_sort_block_merge_config_selectorIlNS0_10empty_typeEEEZZNS1_27merge_sort_block_merge_implIS3_PlPS5_mZN2at6native12_GLOBAL__N_124unique_dim_cuda_templateIfEESt5tupleIJNSA_6TensorESF_SF_EERKSF_lbbbEUlllE_EE10hipError_tT0_T1_T2_jT3_P12ihipStream_tbPNSt15iterator_traitsISL_E10value_typeEPNSR_ISM_E10value_typeEPSN_NS1_7vsmem_tEENKUlT_SL_SM_SN_E_clIS8_S8_S9_S9_EESK_S10_SL_SM_SN_EUlS10_E1_NS1_11comp_targetILNS1_3genE8ELNS1_11target_archE1030ELNS1_3gpuE2ELNS1_3repE0EEENS1_36merge_oddeven_config_static_selectorELNS0_4arch9wavefront6targetE0EEEvSM_,"axG",@progbits,_ZN7rocprim17ROCPRIM_400000_NS6detail17trampoline_kernelINS0_14default_configENS1_38merge_sort_block_merge_config_selectorIlNS0_10empty_typeEEEZZNS1_27merge_sort_block_merge_implIS3_PlPS5_mZN2at6native12_GLOBAL__N_124unique_dim_cuda_templateIfEESt5tupleIJNSA_6TensorESF_SF_EERKSF_lbbbEUlllE_EE10hipError_tT0_T1_T2_jT3_P12ihipStream_tbPNSt15iterator_traitsISL_E10value_typeEPNSR_ISM_E10value_typeEPSN_NS1_7vsmem_tEENKUlT_SL_SM_SN_E_clIS8_S8_S9_S9_EESK_S10_SL_SM_SN_EUlS10_E1_NS1_11comp_targetILNS1_3genE8ELNS1_11target_archE1030ELNS1_3gpuE2ELNS1_3repE0EEENS1_36merge_oddeven_config_static_selectorELNS0_4arch9wavefront6targetE0EEEvSM_,comdat
	.globl	_ZN7rocprim17ROCPRIM_400000_NS6detail17trampoline_kernelINS0_14default_configENS1_38merge_sort_block_merge_config_selectorIlNS0_10empty_typeEEEZZNS1_27merge_sort_block_merge_implIS3_PlPS5_mZN2at6native12_GLOBAL__N_124unique_dim_cuda_templateIfEESt5tupleIJNSA_6TensorESF_SF_EERKSF_lbbbEUlllE_EE10hipError_tT0_T1_T2_jT3_P12ihipStream_tbPNSt15iterator_traitsISL_E10value_typeEPNSR_ISM_E10value_typeEPSN_NS1_7vsmem_tEENKUlT_SL_SM_SN_E_clIS8_S8_S9_S9_EESK_S10_SL_SM_SN_EUlS10_E1_NS1_11comp_targetILNS1_3genE8ELNS1_11target_archE1030ELNS1_3gpuE2ELNS1_3repE0EEENS1_36merge_oddeven_config_static_selectorELNS0_4arch9wavefront6targetE0EEEvSM_ ; -- Begin function _ZN7rocprim17ROCPRIM_400000_NS6detail17trampoline_kernelINS0_14default_configENS1_38merge_sort_block_merge_config_selectorIlNS0_10empty_typeEEEZZNS1_27merge_sort_block_merge_implIS3_PlPS5_mZN2at6native12_GLOBAL__N_124unique_dim_cuda_templateIfEESt5tupleIJNSA_6TensorESF_SF_EERKSF_lbbbEUlllE_EE10hipError_tT0_T1_T2_jT3_P12ihipStream_tbPNSt15iterator_traitsISL_E10value_typeEPNSR_ISM_E10value_typeEPSN_NS1_7vsmem_tEENKUlT_SL_SM_SN_E_clIS8_S8_S9_S9_EESK_S10_SL_SM_SN_EUlS10_E1_NS1_11comp_targetILNS1_3genE8ELNS1_11target_archE1030ELNS1_3gpuE2ELNS1_3repE0EEENS1_36merge_oddeven_config_static_selectorELNS0_4arch9wavefront6targetE0EEEvSM_
	.p2align	8
	.type	_ZN7rocprim17ROCPRIM_400000_NS6detail17trampoline_kernelINS0_14default_configENS1_38merge_sort_block_merge_config_selectorIlNS0_10empty_typeEEEZZNS1_27merge_sort_block_merge_implIS3_PlPS5_mZN2at6native12_GLOBAL__N_124unique_dim_cuda_templateIfEESt5tupleIJNSA_6TensorESF_SF_EERKSF_lbbbEUlllE_EE10hipError_tT0_T1_T2_jT3_P12ihipStream_tbPNSt15iterator_traitsISL_E10value_typeEPNSR_ISM_E10value_typeEPSN_NS1_7vsmem_tEENKUlT_SL_SM_SN_E_clIS8_S8_S9_S9_EESK_S10_SL_SM_SN_EUlS10_E1_NS1_11comp_targetILNS1_3genE8ELNS1_11target_archE1030ELNS1_3gpuE2ELNS1_3repE0EEENS1_36merge_oddeven_config_static_selectorELNS0_4arch9wavefront6targetE0EEEvSM_,@function
_ZN7rocprim17ROCPRIM_400000_NS6detail17trampoline_kernelINS0_14default_configENS1_38merge_sort_block_merge_config_selectorIlNS0_10empty_typeEEEZZNS1_27merge_sort_block_merge_implIS3_PlPS5_mZN2at6native12_GLOBAL__N_124unique_dim_cuda_templateIfEESt5tupleIJNSA_6TensorESF_SF_EERKSF_lbbbEUlllE_EE10hipError_tT0_T1_T2_jT3_P12ihipStream_tbPNSt15iterator_traitsISL_E10value_typeEPNSR_ISM_E10value_typeEPSN_NS1_7vsmem_tEENKUlT_SL_SM_SN_E_clIS8_S8_S9_S9_EESK_S10_SL_SM_SN_EUlS10_E1_NS1_11comp_targetILNS1_3genE8ELNS1_11target_archE1030ELNS1_3gpuE2ELNS1_3repE0EEENS1_36merge_oddeven_config_static_selectorELNS0_4arch9wavefront6targetE0EEEvSM_: ; @_ZN7rocprim17ROCPRIM_400000_NS6detail17trampoline_kernelINS0_14default_configENS1_38merge_sort_block_merge_config_selectorIlNS0_10empty_typeEEEZZNS1_27merge_sort_block_merge_implIS3_PlPS5_mZN2at6native12_GLOBAL__N_124unique_dim_cuda_templateIfEESt5tupleIJNSA_6TensorESF_SF_EERKSF_lbbbEUlllE_EE10hipError_tT0_T1_T2_jT3_P12ihipStream_tbPNSt15iterator_traitsISL_E10value_typeEPNSR_ISM_E10value_typeEPSN_NS1_7vsmem_tEENKUlT_SL_SM_SN_E_clIS8_S8_S9_S9_EESK_S10_SL_SM_SN_EUlS10_E1_NS1_11comp_targetILNS1_3genE8ELNS1_11target_archE1030ELNS1_3gpuE2ELNS1_3repE0EEENS1_36merge_oddeven_config_static_selectorELNS0_4arch9wavefront6targetE0EEEvSM_
; %bb.0:
	.section	.rodata,"a",@progbits
	.p2align	6, 0x0
	.amdhsa_kernel _ZN7rocprim17ROCPRIM_400000_NS6detail17trampoline_kernelINS0_14default_configENS1_38merge_sort_block_merge_config_selectorIlNS0_10empty_typeEEEZZNS1_27merge_sort_block_merge_implIS3_PlPS5_mZN2at6native12_GLOBAL__N_124unique_dim_cuda_templateIfEESt5tupleIJNSA_6TensorESF_SF_EERKSF_lbbbEUlllE_EE10hipError_tT0_T1_T2_jT3_P12ihipStream_tbPNSt15iterator_traitsISL_E10value_typeEPNSR_ISM_E10value_typeEPSN_NS1_7vsmem_tEENKUlT_SL_SM_SN_E_clIS8_S8_S9_S9_EESK_S10_SL_SM_SN_EUlS10_E1_NS1_11comp_targetILNS1_3genE8ELNS1_11target_archE1030ELNS1_3gpuE2ELNS1_3repE0EEENS1_36merge_oddeven_config_static_selectorELNS0_4arch9wavefront6targetE0EEEvSM_
		.amdhsa_group_segment_fixed_size 0
		.amdhsa_private_segment_fixed_size 0
		.amdhsa_kernarg_size 64
		.amdhsa_user_sgpr_count 15
		.amdhsa_user_sgpr_dispatch_ptr 0
		.amdhsa_user_sgpr_queue_ptr 0
		.amdhsa_user_sgpr_kernarg_segment_ptr 1
		.amdhsa_user_sgpr_dispatch_id 0
		.amdhsa_user_sgpr_private_segment_size 0
		.amdhsa_wavefront_size32 1
		.amdhsa_uses_dynamic_stack 0
		.amdhsa_enable_private_segment 0
		.amdhsa_system_sgpr_workgroup_id_x 1
		.amdhsa_system_sgpr_workgroup_id_y 0
		.amdhsa_system_sgpr_workgroup_id_z 0
		.amdhsa_system_sgpr_workgroup_info 0
		.amdhsa_system_vgpr_workitem_id 0
		.amdhsa_next_free_vgpr 1
		.amdhsa_next_free_sgpr 1
		.amdhsa_reserve_vcc 0
		.amdhsa_float_round_mode_32 0
		.amdhsa_float_round_mode_16_64 0
		.amdhsa_float_denorm_mode_32 3
		.amdhsa_float_denorm_mode_16_64 3
		.amdhsa_dx10_clamp 1
		.amdhsa_ieee_mode 1
		.amdhsa_fp16_overflow 0
		.amdhsa_workgroup_processor_mode 1
		.amdhsa_memory_ordered 1
		.amdhsa_forward_progress 0
		.amdhsa_shared_vgpr_count 0
		.amdhsa_exception_fp_ieee_invalid_op 0
		.amdhsa_exception_fp_denorm_src 0
		.amdhsa_exception_fp_ieee_div_zero 0
		.amdhsa_exception_fp_ieee_overflow 0
		.amdhsa_exception_fp_ieee_underflow 0
		.amdhsa_exception_fp_ieee_inexact 0
		.amdhsa_exception_int_div_zero 0
	.end_amdhsa_kernel
	.section	.text._ZN7rocprim17ROCPRIM_400000_NS6detail17trampoline_kernelINS0_14default_configENS1_38merge_sort_block_merge_config_selectorIlNS0_10empty_typeEEEZZNS1_27merge_sort_block_merge_implIS3_PlPS5_mZN2at6native12_GLOBAL__N_124unique_dim_cuda_templateIfEESt5tupleIJNSA_6TensorESF_SF_EERKSF_lbbbEUlllE_EE10hipError_tT0_T1_T2_jT3_P12ihipStream_tbPNSt15iterator_traitsISL_E10value_typeEPNSR_ISM_E10value_typeEPSN_NS1_7vsmem_tEENKUlT_SL_SM_SN_E_clIS8_S8_S9_S9_EESK_S10_SL_SM_SN_EUlS10_E1_NS1_11comp_targetILNS1_3genE8ELNS1_11target_archE1030ELNS1_3gpuE2ELNS1_3repE0EEENS1_36merge_oddeven_config_static_selectorELNS0_4arch9wavefront6targetE0EEEvSM_,"axG",@progbits,_ZN7rocprim17ROCPRIM_400000_NS6detail17trampoline_kernelINS0_14default_configENS1_38merge_sort_block_merge_config_selectorIlNS0_10empty_typeEEEZZNS1_27merge_sort_block_merge_implIS3_PlPS5_mZN2at6native12_GLOBAL__N_124unique_dim_cuda_templateIfEESt5tupleIJNSA_6TensorESF_SF_EERKSF_lbbbEUlllE_EE10hipError_tT0_T1_T2_jT3_P12ihipStream_tbPNSt15iterator_traitsISL_E10value_typeEPNSR_ISM_E10value_typeEPSN_NS1_7vsmem_tEENKUlT_SL_SM_SN_E_clIS8_S8_S9_S9_EESK_S10_SL_SM_SN_EUlS10_E1_NS1_11comp_targetILNS1_3genE8ELNS1_11target_archE1030ELNS1_3gpuE2ELNS1_3repE0EEENS1_36merge_oddeven_config_static_selectorELNS0_4arch9wavefront6targetE0EEEvSM_,comdat
.Lfunc_end903:
	.size	_ZN7rocprim17ROCPRIM_400000_NS6detail17trampoline_kernelINS0_14default_configENS1_38merge_sort_block_merge_config_selectorIlNS0_10empty_typeEEEZZNS1_27merge_sort_block_merge_implIS3_PlPS5_mZN2at6native12_GLOBAL__N_124unique_dim_cuda_templateIfEESt5tupleIJNSA_6TensorESF_SF_EERKSF_lbbbEUlllE_EE10hipError_tT0_T1_T2_jT3_P12ihipStream_tbPNSt15iterator_traitsISL_E10value_typeEPNSR_ISM_E10value_typeEPSN_NS1_7vsmem_tEENKUlT_SL_SM_SN_E_clIS8_S8_S9_S9_EESK_S10_SL_SM_SN_EUlS10_E1_NS1_11comp_targetILNS1_3genE8ELNS1_11target_archE1030ELNS1_3gpuE2ELNS1_3repE0EEENS1_36merge_oddeven_config_static_selectorELNS0_4arch9wavefront6targetE0EEEvSM_, .Lfunc_end903-_ZN7rocprim17ROCPRIM_400000_NS6detail17trampoline_kernelINS0_14default_configENS1_38merge_sort_block_merge_config_selectorIlNS0_10empty_typeEEEZZNS1_27merge_sort_block_merge_implIS3_PlPS5_mZN2at6native12_GLOBAL__N_124unique_dim_cuda_templateIfEESt5tupleIJNSA_6TensorESF_SF_EERKSF_lbbbEUlllE_EE10hipError_tT0_T1_T2_jT3_P12ihipStream_tbPNSt15iterator_traitsISL_E10value_typeEPNSR_ISM_E10value_typeEPSN_NS1_7vsmem_tEENKUlT_SL_SM_SN_E_clIS8_S8_S9_S9_EESK_S10_SL_SM_SN_EUlS10_E1_NS1_11comp_targetILNS1_3genE8ELNS1_11target_archE1030ELNS1_3gpuE2ELNS1_3repE0EEENS1_36merge_oddeven_config_static_selectorELNS0_4arch9wavefront6targetE0EEEvSM_
                                        ; -- End function
	.section	.AMDGPU.csdata,"",@progbits
; Kernel info:
; codeLenInByte = 0
; NumSgprs: 0
; NumVgprs: 0
; ScratchSize: 0
; MemoryBound: 0
; FloatMode: 240
; IeeeMode: 1
; LDSByteSize: 0 bytes/workgroup (compile time only)
; SGPRBlocks: 0
; VGPRBlocks: 0
; NumSGPRsForWavesPerEU: 1
; NumVGPRsForWavesPerEU: 1
; Occupancy: 16
; WaveLimiterHint : 0
; COMPUTE_PGM_RSRC2:SCRATCH_EN: 0
; COMPUTE_PGM_RSRC2:USER_SGPR: 15
; COMPUTE_PGM_RSRC2:TRAP_HANDLER: 0
; COMPUTE_PGM_RSRC2:TGID_X_EN: 1
; COMPUTE_PGM_RSRC2:TGID_Y_EN: 0
; COMPUTE_PGM_RSRC2:TGID_Z_EN: 0
; COMPUTE_PGM_RSRC2:TIDIG_COMP_CNT: 0
	.section	.text._ZN7rocprim17ROCPRIM_400000_NS6detail17trampoline_kernelINS0_14default_configENS1_35adjacent_difference_config_selectorILb0ElEEZNS1_24adjacent_difference_implIS3_Lb0ELb0EPlS7_ZN2at6native12_GLOBAL__N_124unique_dim_cuda_templateIfEESt5tupleIJNS8_6TensorESD_SD_EERKSD_lbbbEUlllE1_EE10hipError_tPvRmT2_T3_mT4_P12ihipStream_tbEUlT_E_NS1_11comp_targetILNS1_3genE0ELNS1_11target_archE4294967295ELNS1_3gpuE0ELNS1_3repE0EEENS1_30default_config_static_selectorELNS0_4arch9wavefront6targetE0EEEvT1_,"axG",@progbits,_ZN7rocprim17ROCPRIM_400000_NS6detail17trampoline_kernelINS0_14default_configENS1_35adjacent_difference_config_selectorILb0ElEEZNS1_24adjacent_difference_implIS3_Lb0ELb0EPlS7_ZN2at6native12_GLOBAL__N_124unique_dim_cuda_templateIfEESt5tupleIJNS8_6TensorESD_SD_EERKSD_lbbbEUlllE1_EE10hipError_tPvRmT2_T3_mT4_P12ihipStream_tbEUlT_E_NS1_11comp_targetILNS1_3genE0ELNS1_11target_archE4294967295ELNS1_3gpuE0ELNS1_3repE0EEENS1_30default_config_static_selectorELNS0_4arch9wavefront6targetE0EEEvT1_,comdat
	.globl	_ZN7rocprim17ROCPRIM_400000_NS6detail17trampoline_kernelINS0_14default_configENS1_35adjacent_difference_config_selectorILb0ElEEZNS1_24adjacent_difference_implIS3_Lb0ELb0EPlS7_ZN2at6native12_GLOBAL__N_124unique_dim_cuda_templateIfEESt5tupleIJNS8_6TensorESD_SD_EERKSD_lbbbEUlllE1_EE10hipError_tPvRmT2_T3_mT4_P12ihipStream_tbEUlT_E_NS1_11comp_targetILNS1_3genE0ELNS1_11target_archE4294967295ELNS1_3gpuE0ELNS1_3repE0EEENS1_30default_config_static_selectorELNS0_4arch9wavefront6targetE0EEEvT1_ ; -- Begin function _ZN7rocprim17ROCPRIM_400000_NS6detail17trampoline_kernelINS0_14default_configENS1_35adjacent_difference_config_selectorILb0ElEEZNS1_24adjacent_difference_implIS3_Lb0ELb0EPlS7_ZN2at6native12_GLOBAL__N_124unique_dim_cuda_templateIfEESt5tupleIJNS8_6TensorESD_SD_EERKSD_lbbbEUlllE1_EE10hipError_tPvRmT2_T3_mT4_P12ihipStream_tbEUlT_E_NS1_11comp_targetILNS1_3genE0ELNS1_11target_archE4294967295ELNS1_3gpuE0ELNS1_3repE0EEENS1_30default_config_static_selectorELNS0_4arch9wavefront6targetE0EEEvT1_
	.p2align	8
	.type	_ZN7rocprim17ROCPRIM_400000_NS6detail17trampoline_kernelINS0_14default_configENS1_35adjacent_difference_config_selectorILb0ElEEZNS1_24adjacent_difference_implIS3_Lb0ELb0EPlS7_ZN2at6native12_GLOBAL__N_124unique_dim_cuda_templateIfEESt5tupleIJNS8_6TensorESD_SD_EERKSD_lbbbEUlllE1_EE10hipError_tPvRmT2_T3_mT4_P12ihipStream_tbEUlT_E_NS1_11comp_targetILNS1_3genE0ELNS1_11target_archE4294967295ELNS1_3gpuE0ELNS1_3repE0EEENS1_30default_config_static_selectorELNS0_4arch9wavefront6targetE0EEEvT1_,@function
_ZN7rocprim17ROCPRIM_400000_NS6detail17trampoline_kernelINS0_14default_configENS1_35adjacent_difference_config_selectorILb0ElEEZNS1_24adjacent_difference_implIS3_Lb0ELb0EPlS7_ZN2at6native12_GLOBAL__N_124unique_dim_cuda_templateIfEESt5tupleIJNS8_6TensorESD_SD_EERKSD_lbbbEUlllE1_EE10hipError_tPvRmT2_T3_mT4_P12ihipStream_tbEUlT_E_NS1_11comp_targetILNS1_3genE0ELNS1_11target_archE4294967295ELNS1_3gpuE0ELNS1_3repE0EEENS1_30default_config_static_selectorELNS0_4arch9wavefront6targetE0EEEvT1_: ; @_ZN7rocprim17ROCPRIM_400000_NS6detail17trampoline_kernelINS0_14default_configENS1_35adjacent_difference_config_selectorILb0ElEEZNS1_24adjacent_difference_implIS3_Lb0ELb0EPlS7_ZN2at6native12_GLOBAL__N_124unique_dim_cuda_templateIfEESt5tupleIJNS8_6TensorESD_SD_EERKSD_lbbbEUlllE1_EE10hipError_tPvRmT2_T3_mT4_P12ihipStream_tbEUlT_E_NS1_11comp_targetILNS1_3genE0ELNS1_11target_archE4294967295ELNS1_3gpuE0ELNS1_3repE0EEENS1_30default_config_static_selectorELNS0_4arch9wavefront6targetE0EEEvT1_
; %bb.0:
	.section	.rodata,"a",@progbits
	.p2align	6, 0x0
	.amdhsa_kernel _ZN7rocprim17ROCPRIM_400000_NS6detail17trampoline_kernelINS0_14default_configENS1_35adjacent_difference_config_selectorILb0ElEEZNS1_24adjacent_difference_implIS3_Lb0ELb0EPlS7_ZN2at6native12_GLOBAL__N_124unique_dim_cuda_templateIfEESt5tupleIJNS8_6TensorESD_SD_EERKSD_lbbbEUlllE1_EE10hipError_tPvRmT2_T3_mT4_P12ihipStream_tbEUlT_E_NS1_11comp_targetILNS1_3genE0ELNS1_11target_archE4294967295ELNS1_3gpuE0ELNS1_3repE0EEENS1_30default_config_static_selectorELNS0_4arch9wavefront6targetE0EEEvT1_
		.amdhsa_group_segment_fixed_size 0
		.amdhsa_private_segment_fixed_size 0
		.amdhsa_kernarg_size 64
		.amdhsa_user_sgpr_count 15
		.amdhsa_user_sgpr_dispatch_ptr 0
		.amdhsa_user_sgpr_queue_ptr 0
		.amdhsa_user_sgpr_kernarg_segment_ptr 1
		.amdhsa_user_sgpr_dispatch_id 0
		.amdhsa_user_sgpr_private_segment_size 0
		.amdhsa_wavefront_size32 1
		.amdhsa_uses_dynamic_stack 0
		.amdhsa_enable_private_segment 0
		.amdhsa_system_sgpr_workgroup_id_x 1
		.amdhsa_system_sgpr_workgroup_id_y 0
		.amdhsa_system_sgpr_workgroup_id_z 0
		.amdhsa_system_sgpr_workgroup_info 0
		.amdhsa_system_vgpr_workitem_id 0
		.amdhsa_next_free_vgpr 1
		.amdhsa_next_free_sgpr 1
		.amdhsa_reserve_vcc 0
		.amdhsa_float_round_mode_32 0
		.amdhsa_float_round_mode_16_64 0
		.amdhsa_float_denorm_mode_32 3
		.amdhsa_float_denorm_mode_16_64 3
		.amdhsa_dx10_clamp 1
		.amdhsa_ieee_mode 1
		.amdhsa_fp16_overflow 0
		.amdhsa_workgroup_processor_mode 1
		.amdhsa_memory_ordered 1
		.amdhsa_forward_progress 0
		.amdhsa_shared_vgpr_count 0
		.amdhsa_exception_fp_ieee_invalid_op 0
		.amdhsa_exception_fp_denorm_src 0
		.amdhsa_exception_fp_ieee_div_zero 0
		.amdhsa_exception_fp_ieee_overflow 0
		.amdhsa_exception_fp_ieee_underflow 0
		.amdhsa_exception_fp_ieee_inexact 0
		.amdhsa_exception_int_div_zero 0
	.end_amdhsa_kernel
	.section	.text._ZN7rocprim17ROCPRIM_400000_NS6detail17trampoline_kernelINS0_14default_configENS1_35adjacent_difference_config_selectorILb0ElEEZNS1_24adjacent_difference_implIS3_Lb0ELb0EPlS7_ZN2at6native12_GLOBAL__N_124unique_dim_cuda_templateIfEESt5tupleIJNS8_6TensorESD_SD_EERKSD_lbbbEUlllE1_EE10hipError_tPvRmT2_T3_mT4_P12ihipStream_tbEUlT_E_NS1_11comp_targetILNS1_3genE0ELNS1_11target_archE4294967295ELNS1_3gpuE0ELNS1_3repE0EEENS1_30default_config_static_selectorELNS0_4arch9wavefront6targetE0EEEvT1_,"axG",@progbits,_ZN7rocprim17ROCPRIM_400000_NS6detail17trampoline_kernelINS0_14default_configENS1_35adjacent_difference_config_selectorILb0ElEEZNS1_24adjacent_difference_implIS3_Lb0ELb0EPlS7_ZN2at6native12_GLOBAL__N_124unique_dim_cuda_templateIfEESt5tupleIJNS8_6TensorESD_SD_EERKSD_lbbbEUlllE1_EE10hipError_tPvRmT2_T3_mT4_P12ihipStream_tbEUlT_E_NS1_11comp_targetILNS1_3genE0ELNS1_11target_archE4294967295ELNS1_3gpuE0ELNS1_3repE0EEENS1_30default_config_static_selectorELNS0_4arch9wavefront6targetE0EEEvT1_,comdat
.Lfunc_end904:
	.size	_ZN7rocprim17ROCPRIM_400000_NS6detail17trampoline_kernelINS0_14default_configENS1_35adjacent_difference_config_selectorILb0ElEEZNS1_24adjacent_difference_implIS3_Lb0ELb0EPlS7_ZN2at6native12_GLOBAL__N_124unique_dim_cuda_templateIfEESt5tupleIJNS8_6TensorESD_SD_EERKSD_lbbbEUlllE1_EE10hipError_tPvRmT2_T3_mT4_P12ihipStream_tbEUlT_E_NS1_11comp_targetILNS1_3genE0ELNS1_11target_archE4294967295ELNS1_3gpuE0ELNS1_3repE0EEENS1_30default_config_static_selectorELNS0_4arch9wavefront6targetE0EEEvT1_, .Lfunc_end904-_ZN7rocprim17ROCPRIM_400000_NS6detail17trampoline_kernelINS0_14default_configENS1_35adjacent_difference_config_selectorILb0ElEEZNS1_24adjacent_difference_implIS3_Lb0ELb0EPlS7_ZN2at6native12_GLOBAL__N_124unique_dim_cuda_templateIfEESt5tupleIJNS8_6TensorESD_SD_EERKSD_lbbbEUlllE1_EE10hipError_tPvRmT2_T3_mT4_P12ihipStream_tbEUlT_E_NS1_11comp_targetILNS1_3genE0ELNS1_11target_archE4294967295ELNS1_3gpuE0ELNS1_3repE0EEENS1_30default_config_static_selectorELNS0_4arch9wavefront6targetE0EEEvT1_
                                        ; -- End function
	.section	.AMDGPU.csdata,"",@progbits
; Kernel info:
; codeLenInByte = 0
; NumSgprs: 0
; NumVgprs: 0
; ScratchSize: 0
; MemoryBound: 0
; FloatMode: 240
; IeeeMode: 1
; LDSByteSize: 0 bytes/workgroup (compile time only)
; SGPRBlocks: 0
; VGPRBlocks: 0
; NumSGPRsForWavesPerEU: 1
; NumVGPRsForWavesPerEU: 1
; Occupancy: 16
; WaveLimiterHint : 0
; COMPUTE_PGM_RSRC2:SCRATCH_EN: 0
; COMPUTE_PGM_RSRC2:USER_SGPR: 15
; COMPUTE_PGM_RSRC2:TRAP_HANDLER: 0
; COMPUTE_PGM_RSRC2:TGID_X_EN: 1
; COMPUTE_PGM_RSRC2:TGID_Y_EN: 0
; COMPUTE_PGM_RSRC2:TGID_Z_EN: 0
; COMPUTE_PGM_RSRC2:TIDIG_COMP_CNT: 0
	.section	.text._ZN7rocprim17ROCPRIM_400000_NS6detail17trampoline_kernelINS0_14default_configENS1_35adjacent_difference_config_selectorILb0ElEEZNS1_24adjacent_difference_implIS3_Lb0ELb0EPlS7_ZN2at6native12_GLOBAL__N_124unique_dim_cuda_templateIfEESt5tupleIJNS8_6TensorESD_SD_EERKSD_lbbbEUlllE1_EE10hipError_tPvRmT2_T3_mT4_P12ihipStream_tbEUlT_E_NS1_11comp_targetILNS1_3genE10ELNS1_11target_archE1201ELNS1_3gpuE5ELNS1_3repE0EEENS1_30default_config_static_selectorELNS0_4arch9wavefront6targetE0EEEvT1_,"axG",@progbits,_ZN7rocprim17ROCPRIM_400000_NS6detail17trampoline_kernelINS0_14default_configENS1_35adjacent_difference_config_selectorILb0ElEEZNS1_24adjacent_difference_implIS3_Lb0ELb0EPlS7_ZN2at6native12_GLOBAL__N_124unique_dim_cuda_templateIfEESt5tupleIJNS8_6TensorESD_SD_EERKSD_lbbbEUlllE1_EE10hipError_tPvRmT2_T3_mT4_P12ihipStream_tbEUlT_E_NS1_11comp_targetILNS1_3genE10ELNS1_11target_archE1201ELNS1_3gpuE5ELNS1_3repE0EEENS1_30default_config_static_selectorELNS0_4arch9wavefront6targetE0EEEvT1_,comdat
	.globl	_ZN7rocprim17ROCPRIM_400000_NS6detail17trampoline_kernelINS0_14default_configENS1_35adjacent_difference_config_selectorILb0ElEEZNS1_24adjacent_difference_implIS3_Lb0ELb0EPlS7_ZN2at6native12_GLOBAL__N_124unique_dim_cuda_templateIfEESt5tupleIJNS8_6TensorESD_SD_EERKSD_lbbbEUlllE1_EE10hipError_tPvRmT2_T3_mT4_P12ihipStream_tbEUlT_E_NS1_11comp_targetILNS1_3genE10ELNS1_11target_archE1201ELNS1_3gpuE5ELNS1_3repE0EEENS1_30default_config_static_selectorELNS0_4arch9wavefront6targetE0EEEvT1_ ; -- Begin function _ZN7rocprim17ROCPRIM_400000_NS6detail17trampoline_kernelINS0_14default_configENS1_35adjacent_difference_config_selectorILb0ElEEZNS1_24adjacent_difference_implIS3_Lb0ELb0EPlS7_ZN2at6native12_GLOBAL__N_124unique_dim_cuda_templateIfEESt5tupleIJNS8_6TensorESD_SD_EERKSD_lbbbEUlllE1_EE10hipError_tPvRmT2_T3_mT4_P12ihipStream_tbEUlT_E_NS1_11comp_targetILNS1_3genE10ELNS1_11target_archE1201ELNS1_3gpuE5ELNS1_3repE0EEENS1_30default_config_static_selectorELNS0_4arch9wavefront6targetE0EEEvT1_
	.p2align	8
	.type	_ZN7rocprim17ROCPRIM_400000_NS6detail17trampoline_kernelINS0_14default_configENS1_35adjacent_difference_config_selectorILb0ElEEZNS1_24adjacent_difference_implIS3_Lb0ELb0EPlS7_ZN2at6native12_GLOBAL__N_124unique_dim_cuda_templateIfEESt5tupleIJNS8_6TensorESD_SD_EERKSD_lbbbEUlllE1_EE10hipError_tPvRmT2_T3_mT4_P12ihipStream_tbEUlT_E_NS1_11comp_targetILNS1_3genE10ELNS1_11target_archE1201ELNS1_3gpuE5ELNS1_3repE0EEENS1_30default_config_static_selectorELNS0_4arch9wavefront6targetE0EEEvT1_,@function
_ZN7rocprim17ROCPRIM_400000_NS6detail17trampoline_kernelINS0_14default_configENS1_35adjacent_difference_config_selectorILb0ElEEZNS1_24adjacent_difference_implIS3_Lb0ELb0EPlS7_ZN2at6native12_GLOBAL__N_124unique_dim_cuda_templateIfEESt5tupleIJNS8_6TensorESD_SD_EERKSD_lbbbEUlllE1_EE10hipError_tPvRmT2_T3_mT4_P12ihipStream_tbEUlT_E_NS1_11comp_targetILNS1_3genE10ELNS1_11target_archE1201ELNS1_3gpuE5ELNS1_3repE0EEENS1_30default_config_static_selectorELNS0_4arch9wavefront6targetE0EEEvT1_: ; @_ZN7rocprim17ROCPRIM_400000_NS6detail17trampoline_kernelINS0_14default_configENS1_35adjacent_difference_config_selectorILb0ElEEZNS1_24adjacent_difference_implIS3_Lb0ELb0EPlS7_ZN2at6native12_GLOBAL__N_124unique_dim_cuda_templateIfEESt5tupleIJNS8_6TensorESD_SD_EERKSD_lbbbEUlllE1_EE10hipError_tPvRmT2_T3_mT4_P12ihipStream_tbEUlT_E_NS1_11comp_targetILNS1_3genE10ELNS1_11target_archE1201ELNS1_3gpuE5ELNS1_3repE0EEENS1_30default_config_static_selectorELNS0_4arch9wavefront6targetE0EEEvT1_
; %bb.0:
	.section	.rodata,"a",@progbits
	.p2align	6, 0x0
	.amdhsa_kernel _ZN7rocprim17ROCPRIM_400000_NS6detail17trampoline_kernelINS0_14default_configENS1_35adjacent_difference_config_selectorILb0ElEEZNS1_24adjacent_difference_implIS3_Lb0ELb0EPlS7_ZN2at6native12_GLOBAL__N_124unique_dim_cuda_templateIfEESt5tupleIJNS8_6TensorESD_SD_EERKSD_lbbbEUlllE1_EE10hipError_tPvRmT2_T3_mT4_P12ihipStream_tbEUlT_E_NS1_11comp_targetILNS1_3genE10ELNS1_11target_archE1201ELNS1_3gpuE5ELNS1_3repE0EEENS1_30default_config_static_selectorELNS0_4arch9wavefront6targetE0EEEvT1_
		.amdhsa_group_segment_fixed_size 0
		.amdhsa_private_segment_fixed_size 0
		.amdhsa_kernarg_size 64
		.amdhsa_user_sgpr_count 15
		.amdhsa_user_sgpr_dispatch_ptr 0
		.amdhsa_user_sgpr_queue_ptr 0
		.amdhsa_user_sgpr_kernarg_segment_ptr 1
		.amdhsa_user_sgpr_dispatch_id 0
		.amdhsa_user_sgpr_private_segment_size 0
		.amdhsa_wavefront_size32 1
		.amdhsa_uses_dynamic_stack 0
		.amdhsa_enable_private_segment 0
		.amdhsa_system_sgpr_workgroup_id_x 1
		.amdhsa_system_sgpr_workgroup_id_y 0
		.amdhsa_system_sgpr_workgroup_id_z 0
		.amdhsa_system_sgpr_workgroup_info 0
		.amdhsa_system_vgpr_workitem_id 0
		.amdhsa_next_free_vgpr 1
		.amdhsa_next_free_sgpr 1
		.amdhsa_reserve_vcc 0
		.amdhsa_float_round_mode_32 0
		.amdhsa_float_round_mode_16_64 0
		.amdhsa_float_denorm_mode_32 3
		.amdhsa_float_denorm_mode_16_64 3
		.amdhsa_dx10_clamp 1
		.amdhsa_ieee_mode 1
		.amdhsa_fp16_overflow 0
		.amdhsa_workgroup_processor_mode 1
		.amdhsa_memory_ordered 1
		.amdhsa_forward_progress 0
		.amdhsa_shared_vgpr_count 0
		.amdhsa_exception_fp_ieee_invalid_op 0
		.amdhsa_exception_fp_denorm_src 0
		.amdhsa_exception_fp_ieee_div_zero 0
		.amdhsa_exception_fp_ieee_overflow 0
		.amdhsa_exception_fp_ieee_underflow 0
		.amdhsa_exception_fp_ieee_inexact 0
		.amdhsa_exception_int_div_zero 0
	.end_amdhsa_kernel
	.section	.text._ZN7rocprim17ROCPRIM_400000_NS6detail17trampoline_kernelINS0_14default_configENS1_35adjacent_difference_config_selectorILb0ElEEZNS1_24adjacent_difference_implIS3_Lb0ELb0EPlS7_ZN2at6native12_GLOBAL__N_124unique_dim_cuda_templateIfEESt5tupleIJNS8_6TensorESD_SD_EERKSD_lbbbEUlllE1_EE10hipError_tPvRmT2_T3_mT4_P12ihipStream_tbEUlT_E_NS1_11comp_targetILNS1_3genE10ELNS1_11target_archE1201ELNS1_3gpuE5ELNS1_3repE0EEENS1_30default_config_static_selectorELNS0_4arch9wavefront6targetE0EEEvT1_,"axG",@progbits,_ZN7rocprim17ROCPRIM_400000_NS6detail17trampoline_kernelINS0_14default_configENS1_35adjacent_difference_config_selectorILb0ElEEZNS1_24adjacent_difference_implIS3_Lb0ELb0EPlS7_ZN2at6native12_GLOBAL__N_124unique_dim_cuda_templateIfEESt5tupleIJNS8_6TensorESD_SD_EERKSD_lbbbEUlllE1_EE10hipError_tPvRmT2_T3_mT4_P12ihipStream_tbEUlT_E_NS1_11comp_targetILNS1_3genE10ELNS1_11target_archE1201ELNS1_3gpuE5ELNS1_3repE0EEENS1_30default_config_static_selectorELNS0_4arch9wavefront6targetE0EEEvT1_,comdat
.Lfunc_end905:
	.size	_ZN7rocprim17ROCPRIM_400000_NS6detail17trampoline_kernelINS0_14default_configENS1_35adjacent_difference_config_selectorILb0ElEEZNS1_24adjacent_difference_implIS3_Lb0ELb0EPlS7_ZN2at6native12_GLOBAL__N_124unique_dim_cuda_templateIfEESt5tupleIJNS8_6TensorESD_SD_EERKSD_lbbbEUlllE1_EE10hipError_tPvRmT2_T3_mT4_P12ihipStream_tbEUlT_E_NS1_11comp_targetILNS1_3genE10ELNS1_11target_archE1201ELNS1_3gpuE5ELNS1_3repE0EEENS1_30default_config_static_selectorELNS0_4arch9wavefront6targetE0EEEvT1_, .Lfunc_end905-_ZN7rocprim17ROCPRIM_400000_NS6detail17trampoline_kernelINS0_14default_configENS1_35adjacent_difference_config_selectorILb0ElEEZNS1_24adjacent_difference_implIS3_Lb0ELb0EPlS7_ZN2at6native12_GLOBAL__N_124unique_dim_cuda_templateIfEESt5tupleIJNS8_6TensorESD_SD_EERKSD_lbbbEUlllE1_EE10hipError_tPvRmT2_T3_mT4_P12ihipStream_tbEUlT_E_NS1_11comp_targetILNS1_3genE10ELNS1_11target_archE1201ELNS1_3gpuE5ELNS1_3repE0EEENS1_30default_config_static_selectorELNS0_4arch9wavefront6targetE0EEEvT1_
                                        ; -- End function
	.section	.AMDGPU.csdata,"",@progbits
; Kernel info:
; codeLenInByte = 0
; NumSgprs: 0
; NumVgprs: 0
; ScratchSize: 0
; MemoryBound: 0
; FloatMode: 240
; IeeeMode: 1
; LDSByteSize: 0 bytes/workgroup (compile time only)
; SGPRBlocks: 0
; VGPRBlocks: 0
; NumSGPRsForWavesPerEU: 1
; NumVGPRsForWavesPerEU: 1
; Occupancy: 16
; WaveLimiterHint : 0
; COMPUTE_PGM_RSRC2:SCRATCH_EN: 0
; COMPUTE_PGM_RSRC2:USER_SGPR: 15
; COMPUTE_PGM_RSRC2:TRAP_HANDLER: 0
; COMPUTE_PGM_RSRC2:TGID_X_EN: 1
; COMPUTE_PGM_RSRC2:TGID_Y_EN: 0
; COMPUTE_PGM_RSRC2:TGID_Z_EN: 0
; COMPUTE_PGM_RSRC2:TIDIG_COMP_CNT: 0
	.section	.text._ZN7rocprim17ROCPRIM_400000_NS6detail17trampoline_kernelINS0_14default_configENS1_35adjacent_difference_config_selectorILb0ElEEZNS1_24adjacent_difference_implIS3_Lb0ELb0EPlS7_ZN2at6native12_GLOBAL__N_124unique_dim_cuda_templateIfEESt5tupleIJNS8_6TensorESD_SD_EERKSD_lbbbEUlllE1_EE10hipError_tPvRmT2_T3_mT4_P12ihipStream_tbEUlT_E_NS1_11comp_targetILNS1_3genE5ELNS1_11target_archE942ELNS1_3gpuE9ELNS1_3repE0EEENS1_30default_config_static_selectorELNS0_4arch9wavefront6targetE0EEEvT1_,"axG",@progbits,_ZN7rocprim17ROCPRIM_400000_NS6detail17trampoline_kernelINS0_14default_configENS1_35adjacent_difference_config_selectorILb0ElEEZNS1_24adjacent_difference_implIS3_Lb0ELb0EPlS7_ZN2at6native12_GLOBAL__N_124unique_dim_cuda_templateIfEESt5tupleIJNS8_6TensorESD_SD_EERKSD_lbbbEUlllE1_EE10hipError_tPvRmT2_T3_mT4_P12ihipStream_tbEUlT_E_NS1_11comp_targetILNS1_3genE5ELNS1_11target_archE942ELNS1_3gpuE9ELNS1_3repE0EEENS1_30default_config_static_selectorELNS0_4arch9wavefront6targetE0EEEvT1_,comdat
	.globl	_ZN7rocprim17ROCPRIM_400000_NS6detail17trampoline_kernelINS0_14default_configENS1_35adjacent_difference_config_selectorILb0ElEEZNS1_24adjacent_difference_implIS3_Lb0ELb0EPlS7_ZN2at6native12_GLOBAL__N_124unique_dim_cuda_templateIfEESt5tupleIJNS8_6TensorESD_SD_EERKSD_lbbbEUlllE1_EE10hipError_tPvRmT2_T3_mT4_P12ihipStream_tbEUlT_E_NS1_11comp_targetILNS1_3genE5ELNS1_11target_archE942ELNS1_3gpuE9ELNS1_3repE0EEENS1_30default_config_static_selectorELNS0_4arch9wavefront6targetE0EEEvT1_ ; -- Begin function _ZN7rocprim17ROCPRIM_400000_NS6detail17trampoline_kernelINS0_14default_configENS1_35adjacent_difference_config_selectorILb0ElEEZNS1_24adjacent_difference_implIS3_Lb0ELb0EPlS7_ZN2at6native12_GLOBAL__N_124unique_dim_cuda_templateIfEESt5tupleIJNS8_6TensorESD_SD_EERKSD_lbbbEUlllE1_EE10hipError_tPvRmT2_T3_mT4_P12ihipStream_tbEUlT_E_NS1_11comp_targetILNS1_3genE5ELNS1_11target_archE942ELNS1_3gpuE9ELNS1_3repE0EEENS1_30default_config_static_selectorELNS0_4arch9wavefront6targetE0EEEvT1_
	.p2align	8
	.type	_ZN7rocprim17ROCPRIM_400000_NS6detail17trampoline_kernelINS0_14default_configENS1_35adjacent_difference_config_selectorILb0ElEEZNS1_24adjacent_difference_implIS3_Lb0ELb0EPlS7_ZN2at6native12_GLOBAL__N_124unique_dim_cuda_templateIfEESt5tupleIJNS8_6TensorESD_SD_EERKSD_lbbbEUlllE1_EE10hipError_tPvRmT2_T3_mT4_P12ihipStream_tbEUlT_E_NS1_11comp_targetILNS1_3genE5ELNS1_11target_archE942ELNS1_3gpuE9ELNS1_3repE0EEENS1_30default_config_static_selectorELNS0_4arch9wavefront6targetE0EEEvT1_,@function
_ZN7rocprim17ROCPRIM_400000_NS6detail17trampoline_kernelINS0_14default_configENS1_35adjacent_difference_config_selectorILb0ElEEZNS1_24adjacent_difference_implIS3_Lb0ELb0EPlS7_ZN2at6native12_GLOBAL__N_124unique_dim_cuda_templateIfEESt5tupleIJNS8_6TensorESD_SD_EERKSD_lbbbEUlllE1_EE10hipError_tPvRmT2_T3_mT4_P12ihipStream_tbEUlT_E_NS1_11comp_targetILNS1_3genE5ELNS1_11target_archE942ELNS1_3gpuE9ELNS1_3repE0EEENS1_30default_config_static_selectorELNS0_4arch9wavefront6targetE0EEEvT1_: ; @_ZN7rocprim17ROCPRIM_400000_NS6detail17trampoline_kernelINS0_14default_configENS1_35adjacent_difference_config_selectorILb0ElEEZNS1_24adjacent_difference_implIS3_Lb0ELb0EPlS7_ZN2at6native12_GLOBAL__N_124unique_dim_cuda_templateIfEESt5tupleIJNS8_6TensorESD_SD_EERKSD_lbbbEUlllE1_EE10hipError_tPvRmT2_T3_mT4_P12ihipStream_tbEUlT_E_NS1_11comp_targetILNS1_3genE5ELNS1_11target_archE942ELNS1_3gpuE9ELNS1_3repE0EEENS1_30default_config_static_selectorELNS0_4arch9wavefront6targetE0EEEvT1_
; %bb.0:
	.section	.rodata,"a",@progbits
	.p2align	6, 0x0
	.amdhsa_kernel _ZN7rocprim17ROCPRIM_400000_NS6detail17trampoline_kernelINS0_14default_configENS1_35adjacent_difference_config_selectorILb0ElEEZNS1_24adjacent_difference_implIS3_Lb0ELb0EPlS7_ZN2at6native12_GLOBAL__N_124unique_dim_cuda_templateIfEESt5tupleIJNS8_6TensorESD_SD_EERKSD_lbbbEUlllE1_EE10hipError_tPvRmT2_T3_mT4_P12ihipStream_tbEUlT_E_NS1_11comp_targetILNS1_3genE5ELNS1_11target_archE942ELNS1_3gpuE9ELNS1_3repE0EEENS1_30default_config_static_selectorELNS0_4arch9wavefront6targetE0EEEvT1_
		.amdhsa_group_segment_fixed_size 0
		.amdhsa_private_segment_fixed_size 0
		.amdhsa_kernarg_size 64
		.amdhsa_user_sgpr_count 15
		.amdhsa_user_sgpr_dispatch_ptr 0
		.amdhsa_user_sgpr_queue_ptr 0
		.amdhsa_user_sgpr_kernarg_segment_ptr 1
		.amdhsa_user_sgpr_dispatch_id 0
		.amdhsa_user_sgpr_private_segment_size 0
		.amdhsa_wavefront_size32 1
		.amdhsa_uses_dynamic_stack 0
		.amdhsa_enable_private_segment 0
		.amdhsa_system_sgpr_workgroup_id_x 1
		.amdhsa_system_sgpr_workgroup_id_y 0
		.amdhsa_system_sgpr_workgroup_id_z 0
		.amdhsa_system_sgpr_workgroup_info 0
		.amdhsa_system_vgpr_workitem_id 0
		.amdhsa_next_free_vgpr 1
		.amdhsa_next_free_sgpr 1
		.amdhsa_reserve_vcc 0
		.amdhsa_float_round_mode_32 0
		.amdhsa_float_round_mode_16_64 0
		.amdhsa_float_denorm_mode_32 3
		.amdhsa_float_denorm_mode_16_64 3
		.amdhsa_dx10_clamp 1
		.amdhsa_ieee_mode 1
		.amdhsa_fp16_overflow 0
		.amdhsa_workgroup_processor_mode 1
		.amdhsa_memory_ordered 1
		.amdhsa_forward_progress 0
		.amdhsa_shared_vgpr_count 0
		.amdhsa_exception_fp_ieee_invalid_op 0
		.amdhsa_exception_fp_denorm_src 0
		.amdhsa_exception_fp_ieee_div_zero 0
		.amdhsa_exception_fp_ieee_overflow 0
		.amdhsa_exception_fp_ieee_underflow 0
		.amdhsa_exception_fp_ieee_inexact 0
		.amdhsa_exception_int_div_zero 0
	.end_amdhsa_kernel
	.section	.text._ZN7rocprim17ROCPRIM_400000_NS6detail17trampoline_kernelINS0_14default_configENS1_35adjacent_difference_config_selectorILb0ElEEZNS1_24adjacent_difference_implIS3_Lb0ELb0EPlS7_ZN2at6native12_GLOBAL__N_124unique_dim_cuda_templateIfEESt5tupleIJNS8_6TensorESD_SD_EERKSD_lbbbEUlllE1_EE10hipError_tPvRmT2_T3_mT4_P12ihipStream_tbEUlT_E_NS1_11comp_targetILNS1_3genE5ELNS1_11target_archE942ELNS1_3gpuE9ELNS1_3repE0EEENS1_30default_config_static_selectorELNS0_4arch9wavefront6targetE0EEEvT1_,"axG",@progbits,_ZN7rocprim17ROCPRIM_400000_NS6detail17trampoline_kernelINS0_14default_configENS1_35adjacent_difference_config_selectorILb0ElEEZNS1_24adjacent_difference_implIS3_Lb0ELb0EPlS7_ZN2at6native12_GLOBAL__N_124unique_dim_cuda_templateIfEESt5tupleIJNS8_6TensorESD_SD_EERKSD_lbbbEUlllE1_EE10hipError_tPvRmT2_T3_mT4_P12ihipStream_tbEUlT_E_NS1_11comp_targetILNS1_3genE5ELNS1_11target_archE942ELNS1_3gpuE9ELNS1_3repE0EEENS1_30default_config_static_selectorELNS0_4arch9wavefront6targetE0EEEvT1_,comdat
.Lfunc_end906:
	.size	_ZN7rocprim17ROCPRIM_400000_NS6detail17trampoline_kernelINS0_14default_configENS1_35adjacent_difference_config_selectorILb0ElEEZNS1_24adjacent_difference_implIS3_Lb0ELb0EPlS7_ZN2at6native12_GLOBAL__N_124unique_dim_cuda_templateIfEESt5tupleIJNS8_6TensorESD_SD_EERKSD_lbbbEUlllE1_EE10hipError_tPvRmT2_T3_mT4_P12ihipStream_tbEUlT_E_NS1_11comp_targetILNS1_3genE5ELNS1_11target_archE942ELNS1_3gpuE9ELNS1_3repE0EEENS1_30default_config_static_selectorELNS0_4arch9wavefront6targetE0EEEvT1_, .Lfunc_end906-_ZN7rocprim17ROCPRIM_400000_NS6detail17trampoline_kernelINS0_14default_configENS1_35adjacent_difference_config_selectorILb0ElEEZNS1_24adjacent_difference_implIS3_Lb0ELb0EPlS7_ZN2at6native12_GLOBAL__N_124unique_dim_cuda_templateIfEESt5tupleIJNS8_6TensorESD_SD_EERKSD_lbbbEUlllE1_EE10hipError_tPvRmT2_T3_mT4_P12ihipStream_tbEUlT_E_NS1_11comp_targetILNS1_3genE5ELNS1_11target_archE942ELNS1_3gpuE9ELNS1_3repE0EEENS1_30default_config_static_selectorELNS0_4arch9wavefront6targetE0EEEvT1_
                                        ; -- End function
	.section	.AMDGPU.csdata,"",@progbits
; Kernel info:
; codeLenInByte = 0
; NumSgprs: 0
; NumVgprs: 0
; ScratchSize: 0
; MemoryBound: 0
; FloatMode: 240
; IeeeMode: 1
; LDSByteSize: 0 bytes/workgroup (compile time only)
; SGPRBlocks: 0
; VGPRBlocks: 0
; NumSGPRsForWavesPerEU: 1
; NumVGPRsForWavesPerEU: 1
; Occupancy: 16
; WaveLimiterHint : 0
; COMPUTE_PGM_RSRC2:SCRATCH_EN: 0
; COMPUTE_PGM_RSRC2:USER_SGPR: 15
; COMPUTE_PGM_RSRC2:TRAP_HANDLER: 0
; COMPUTE_PGM_RSRC2:TGID_X_EN: 1
; COMPUTE_PGM_RSRC2:TGID_Y_EN: 0
; COMPUTE_PGM_RSRC2:TGID_Z_EN: 0
; COMPUTE_PGM_RSRC2:TIDIG_COMP_CNT: 0
	.section	.text._ZN7rocprim17ROCPRIM_400000_NS6detail17trampoline_kernelINS0_14default_configENS1_35adjacent_difference_config_selectorILb0ElEEZNS1_24adjacent_difference_implIS3_Lb0ELb0EPlS7_ZN2at6native12_GLOBAL__N_124unique_dim_cuda_templateIfEESt5tupleIJNS8_6TensorESD_SD_EERKSD_lbbbEUlllE1_EE10hipError_tPvRmT2_T3_mT4_P12ihipStream_tbEUlT_E_NS1_11comp_targetILNS1_3genE4ELNS1_11target_archE910ELNS1_3gpuE8ELNS1_3repE0EEENS1_30default_config_static_selectorELNS0_4arch9wavefront6targetE0EEEvT1_,"axG",@progbits,_ZN7rocprim17ROCPRIM_400000_NS6detail17trampoline_kernelINS0_14default_configENS1_35adjacent_difference_config_selectorILb0ElEEZNS1_24adjacent_difference_implIS3_Lb0ELb0EPlS7_ZN2at6native12_GLOBAL__N_124unique_dim_cuda_templateIfEESt5tupleIJNS8_6TensorESD_SD_EERKSD_lbbbEUlllE1_EE10hipError_tPvRmT2_T3_mT4_P12ihipStream_tbEUlT_E_NS1_11comp_targetILNS1_3genE4ELNS1_11target_archE910ELNS1_3gpuE8ELNS1_3repE0EEENS1_30default_config_static_selectorELNS0_4arch9wavefront6targetE0EEEvT1_,comdat
	.globl	_ZN7rocprim17ROCPRIM_400000_NS6detail17trampoline_kernelINS0_14default_configENS1_35adjacent_difference_config_selectorILb0ElEEZNS1_24adjacent_difference_implIS3_Lb0ELb0EPlS7_ZN2at6native12_GLOBAL__N_124unique_dim_cuda_templateIfEESt5tupleIJNS8_6TensorESD_SD_EERKSD_lbbbEUlllE1_EE10hipError_tPvRmT2_T3_mT4_P12ihipStream_tbEUlT_E_NS1_11comp_targetILNS1_3genE4ELNS1_11target_archE910ELNS1_3gpuE8ELNS1_3repE0EEENS1_30default_config_static_selectorELNS0_4arch9wavefront6targetE0EEEvT1_ ; -- Begin function _ZN7rocprim17ROCPRIM_400000_NS6detail17trampoline_kernelINS0_14default_configENS1_35adjacent_difference_config_selectorILb0ElEEZNS1_24adjacent_difference_implIS3_Lb0ELb0EPlS7_ZN2at6native12_GLOBAL__N_124unique_dim_cuda_templateIfEESt5tupleIJNS8_6TensorESD_SD_EERKSD_lbbbEUlllE1_EE10hipError_tPvRmT2_T3_mT4_P12ihipStream_tbEUlT_E_NS1_11comp_targetILNS1_3genE4ELNS1_11target_archE910ELNS1_3gpuE8ELNS1_3repE0EEENS1_30default_config_static_selectorELNS0_4arch9wavefront6targetE0EEEvT1_
	.p2align	8
	.type	_ZN7rocprim17ROCPRIM_400000_NS6detail17trampoline_kernelINS0_14default_configENS1_35adjacent_difference_config_selectorILb0ElEEZNS1_24adjacent_difference_implIS3_Lb0ELb0EPlS7_ZN2at6native12_GLOBAL__N_124unique_dim_cuda_templateIfEESt5tupleIJNS8_6TensorESD_SD_EERKSD_lbbbEUlllE1_EE10hipError_tPvRmT2_T3_mT4_P12ihipStream_tbEUlT_E_NS1_11comp_targetILNS1_3genE4ELNS1_11target_archE910ELNS1_3gpuE8ELNS1_3repE0EEENS1_30default_config_static_selectorELNS0_4arch9wavefront6targetE0EEEvT1_,@function
_ZN7rocprim17ROCPRIM_400000_NS6detail17trampoline_kernelINS0_14default_configENS1_35adjacent_difference_config_selectorILb0ElEEZNS1_24adjacent_difference_implIS3_Lb0ELb0EPlS7_ZN2at6native12_GLOBAL__N_124unique_dim_cuda_templateIfEESt5tupleIJNS8_6TensorESD_SD_EERKSD_lbbbEUlllE1_EE10hipError_tPvRmT2_T3_mT4_P12ihipStream_tbEUlT_E_NS1_11comp_targetILNS1_3genE4ELNS1_11target_archE910ELNS1_3gpuE8ELNS1_3repE0EEENS1_30default_config_static_selectorELNS0_4arch9wavefront6targetE0EEEvT1_: ; @_ZN7rocprim17ROCPRIM_400000_NS6detail17trampoline_kernelINS0_14default_configENS1_35adjacent_difference_config_selectorILb0ElEEZNS1_24adjacent_difference_implIS3_Lb0ELb0EPlS7_ZN2at6native12_GLOBAL__N_124unique_dim_cuda_templateIfEESt5tupleIJNS8_6TensorESD_SD_EERKSD_lbbbEUlllE1_EE10hipError_tPvRmT2_T3_mT4_P12ihipStream_tbEUlT_E_NS1_11comp_targetILNS1_3genE4ELNS1_11target_archE910ELNS1_3gpuE8ELNS1_3repE0EEENS1_30default_config_static_selectorELNS0_4arch9wavefront6targetE0EEEvT1_
; %bb.0:
	.section	.rodata,"a",@progbits
	.p2align	6, 0x0
	.amdhsa_kernel _ZN7rocprim17ROCPRIM_400000_NS6detail17trampoline_kernelINS0_14default_configENS1_35adjacent_difference_config_selectorILb0ElEEZNS1_24adjacent_difference_implIS3_Lb0ELb0EPlS7_ZN2at6native12_GLOBAL__N_124unique_dim_cuda_templateIfEESt5tupleIJNS8_6TensorESD_SD_EERKSD_lbbbEUlllE1_EE10hipError_tPvRmT2_T3_mT4_P12ihipStream_tbEUlT_E_NS1_11comp_targetILNS1_3genE4ELNS1_11target_archE910ELNS1_3gpuE8ELNS1_3repE0EEENS1_30default_config_static_selectorELNS0_4arch9wavefront6targetE0EEEvT1_
		.amdhsa_group_segment_fixed_size 0
		.amdhsa_private_segment_fixed_size 0
		.amdhsa_kernarg_size 64
		.amdhsa_user_sgpr_count 15
		.amdhsa_user_sgpr_dispatch_ptr 0
		.amdhsa_user_sgpr_queue_ptr 0
		.amdhsa_user_sgpr_kernarg_segment_ptr 1
		.amdhsa_user_sgpr_dispatch_id 0
		.amdhsa_user_sgpr_private_segment_size 0
		.amdhsa_wavefront_size32 1
		.amdhsa_uses_dynamic_stack 0
		.amdhsa_enable_private_segment 0
		.amdhsa_system_sgpr_workgroup_id_x 1
		.amdhsa_system_sgpr_workgroup_id_y 0
		.amdhsa_system_sgpr_workgroup_id_z 0
		.amdhsa_system_sgpr_workgroup_info 0
		.amdhsa_system_vgpr_workitem_id 0
		.amdhsa_next_free_vgpr 1
		.amdhsa_next_free_sgpr 1
		.amdhsa_reserve_vcc 0
		.amdhsa_float_round_mode_32 0
		.amdhsa_float_round_mode_16_64 0
		.amdhsa_float_denorm_mode_32 3
		.amdhsa_float_denorm_mode_16_64 3
		.amdhsa_dx10_clamp 1
		.amdhsa_ieee_mode 1
		.amdhsa_fp16_overflow 0
		.amdhsa_workgroup_processor_mode 1
		.amdhsa_memory_ordered 1
		.amdhsa_forward_progress 0
		.amdhsa_shared_vgpr_count 0
		.amdhsa_exception_fp_ieee_invalid_op 0
		.amdhsa_exception_fp_denorm_src 0
		.amdhsa_exception_fp_ieee_div_zero 0
		.amdhsa_exception_fp_ieee_overflow 0
		.amdhsa_exception_fp_ieee_underflow 0
		.amdhsa_exception_fp_ieee_inexact 0
		.amdhsa_exception_int_div_zero 0
	.end_amdhsa_kernel
	.section	.text._ZN7rocprim17ROCPRIM_400000_NS6detail17trampoline_kernelINS0_14default_configENS1_35adjacent_difference_config_selectorILb0ElEEZNS1_24adjacent_difference_implIS3_Lb0ELb0EPlS7_ZN2at6native12_GLOBAL__N_124unique_dim_cuda_templateIfEESt5tupleIJNS8_6TensorESD_SD_EERKSD_lbbbEUlllE1_EE10hipError_tPvRmT2_T3_mT4_P12ihipStream_tbEUlT_E_NS1_11comp_targetILNS1_3genE4ELNS1_11target_archE910ELNS1_3gpuE8ELNS1_3repE0EEENS1_30default_config_static_selectorELNS0_4arch9wavefront6targetE0EEEvT1_,"axG",@progbits,_ZN7rocprim17ROCPRIM_400000_NS6detail17trampoline_kernelINS0_14default_configENS1_35adjacent_difference_config_selectorILb0ElEEZNS1_24adjacent_difference_implIS3_Lb0ELb0EPlS7_ZN2at6native12_GLOBAL__N_124unique_dim_cuda_templateIfEESt5tupleIJNS8_6TensorESD_SD_EERKSD_lbbbEUlllE1_EE10hipError_tPvRmT2_T3_mT4_P12ihipStream_tbEUlT_E_NS1_11comp_targetILNS1_3genE4ELNS1_11target_archE910ELNS1_3gpuE8ELNS1_3repE0EEENS1_30default_config_static_selectorELNS0_4arch9wavefront6targetE0EEEvT1_,comdat
.Lfunc_end907:
	.size	_ZN7rocprim17ROCPRIM_400000_NS6detail17trampoline_kernelINS0_14default_configENS1_35adjacent_difference_config_selectorILb0ElEEZNS1_24adjacent_difference_implIS3_Lb0ELb0EPlS7_ZN2at6native12_GLOBAL__N_124unique_dim_cuda_templateIfEESt5tupleIJNS8_6TensorESD_SD_EERKSD_lbbbEUlllE1_EE10hipError_tPvRmT2_T3_mT4_P12ihipStream_tbEUlT_E_NS1_11comp_targetILNS1_3genE4ELNS1_11target_archE910ELNS1_3gpuE8ELNS1_3repE0EEENS1_30default_config_static_selectorELNS0_4arch9wavefront6targetE0EEEvT1_, .Lfunc_end907-_ZN7rocprim17ROCPRIM_400000_NS6detail17trampoline_kernelINS0_14default_configENS1_35adjacent_difference_config_selectorILb0ElEEZNS1_24adjacent_difference_implIS3_Lb0ELb0EPlS7_ZN2at6native12_GLOBAL__N_124unique_dim_cuda_templateIfEESt5tupleIJNS8_6TensorESD_SD_EERKSD_lbbbEUlllE1_EE10hipError_tPvRmT2_T3_mT4_P12ihipStream_tbEUlT_E_NS1_11comp_targetILNS1_3genE4ELNS1_11target_archE910ELNS1_3gpuE8ELNS1_3repE0EEENS1_30default_config_static_selectorELNS0_4arch9wavefront6targetE0EEEvT1_
                                        ; -- End function
	.section	.AMDGPU.csdata,"",@progbits
; Kernel info:
; codeLenInByte = 0
; NumSgprs: 0
; NumVgprs: 0
; ScratchSize: 0
; MemoryBound: 0
; FloatMode: 240
; IeeeMode: 1
; LDSByteSize: 0 bytes/workgroup (compile time only)
; SGPRBlocks: 0
; VGPRBlocks: 0
; NumSGPRsForWavesPerEU: 1
; NumVGPRsForWavesPerEU: 1
; Occupancy: 16
; WaveLimiterHint : 0
; COMPUTE_PGM_RSRC2:SCRATCH_EN: 0
; COMPUTE_PGM_RSRC2:USER_SGPR: 15
; COMPUTE_PGM_RSRC2:TRAP_HANDLER: 0
; COMPUTE_PGM_RSRC2:TGID_X_EN: 1
; COMPUTE_PGM_RSRC2:TGID_Y_EN: 0
; COMPUTE_PGM_RSRC2:TGID_Z_EN: 0
; COMPUTE_PGM_RSRC2:TIDIG_COMP_CNT: 0
	.section	.text._ZN7rocprim17ROCPRIM_400000_NS6detail17trampoline_kernelINS0_14default_configENS1_35adjacent_difference_config_selectorILb0ElEEZNS1_24adjacent_difference_implIS3_Lb0ELb0EPlS7_ZN2at6native12_GLOBAL__N_124unique_dim_cuda_templateIfEESt5tupleIJNS8_6TensorESD_SD_EERKSD_lbbbEUlllE1_EE10hipError_tPvRmT2_T3_mT4_P12ihipStream_tbEUlT_E_NS1_11comp_targetILNS1_3genE3ELNS1_11target_archE908ELNS1_3gpuE7ELNS1_3repE0EEENS1_30default_config_static_selectorELNS0_4arch9wavefront6targetE0EEEvT1_,"axG",@progbits,_ZN7rocprim17ROCPRIM_400000_NS6detail17trampoline_kernelINS0_14default_configENS1_35adjacent_difference_config_selectorILb0ElEEZNS1_24adjacent_difference_implIS3_Lb0ELb0EPlS7_ZN2at6native12_GLOBAL__N_124unique_dim_cuda_templateIfEESt5tupleIJNS8_6TensorESD_SD_EERKSD_lbbbEUlllE1_EE10hipError_tPvRmT2_T3_mT4_P12ihipStream_tbEUlT_E_NS1_11comp_targetILNS1_3genE3ELNS1_11target_archE908ELNS1_3gpuE7ELNS1_3repE0EEENS1_30default_config_static_selectorELNS0_4arch9wavefront6targetE0EEEvT1_,comdat
	.globl	_ZN7rocprim17ROCPRIM_400000_NS6detail17trampoline_kernelINS0_14default_configENS1_35adjacent_difference_config_selectorILb0ElEEZNS1_24adjacent_difference_implIS3_Lb0ELb0EPlS7_ZN2at6native12_GLOBAL__N_124unique_dim_cuda_templateIfEESt5tupleIJNS8_6TensorESD_SD_EERKSD_lbbbEUlllE1_EE10hipError_tPvRmT2_T3_mT4_P12ihipStream_tbEUlT_E_NS1_11comp_targetILNS1_3genE3ELNS1_11target_archE908ELNS1_3gpuE7ELNS1_3repE0EEENS1_30default_config_static_selectorELNS0_4arch9wavefront6targetE0EEEvT1_ ; -- Begin function _ZN7rocprim17ROCPRIM_400000_NS6detail17trampoline_kernelINS0_14default_configENS1_35adjacent_difference_config_selectorILb0ElEEZNS1_24adjacent_difference_implIS3_Lb0ELb0EPlS7_ZN2at6native12_GLOBAL__N_124unique_dim_cuda_templateIfEESt5tupleIJNS8_6TensorESD_SD_EERKSD_lbbbEUlllE1_EE10hipError_tPvRmT2_T3_mT4_P12ihipStream_tbEUlT_E_NS1_11comp_targetILNS1_3genE3ELNS1_11target_archE908ELNS1_3gpuE7ELNS1_3repE0EEENS1_30default_config_static_selectorELNS0_4arch9wavefront6targetE0EEEvT1_
	.p2align	8
	.type	_ZN7rocprim17ROCPRIM_400000_NS6detail17trampoline_kernelINS0_14default_configENS1_35adjacent_difference_config_selectorILb0ElEEZNS1_24adjacent_difference_implIS3_Lb0ELb0EPlS7_ZN2at6native12_GLOBAL__N_124unique_dim_cuda_templateIfEESt5tupleIJNS8_6TensorESD_SD_EERKSD_lbbbEUlllE1_EE10hipError_tPvRmT2_T3_mT4_P12ihipStream_tbEUlT_E_NS1_11comp_targetILNS1_3genE3ELNS1_11target_archE908ELNS1_3gpuE7ELNS1_3repE0EEENS1_30default_config_static_selectorELNS0_4arch9wavefront6targetE0EEEvT1_,@function
_ZN7rocprim17ROCPRIM_400000_NS6detail17trampoline_kernelINS0_14default_configENS1_35adjacent_difference_config_selectorILb0ElEEZNS1_24adjacent_difference_implIS3_Lb0ELb0EPlS7_ZN2at6native12_GLOBAL__N_124unique_dim_cuda_templateIfEESt5tupleIJNS8_6TensorESD_SD_EERKSD_lbbbEUlllE1_EE10hipError_tPvRmT2_T3_mT4_P12ihipStream_tbEUlT_E_NS1_11comp_targetILNS1_3genE3ELNS1_11target_archE908ELNS1_3gpuE7ELNS1_3repE0EEENS1_30default_config_static_selectorELNS0_4arch9wavefront6targetE0EEEvT1_: ; @_ZN7rocprim17ROCPRIM_400000_NS6detail17trampoline_kernelINS0_14default_configENS1_35adjacent_difference_config_selectorILb0ElEEZNS1_24adjacent_difference_implIS3_Lb0ELb0EPlS7_ZN2at6native12_GLOBAL__N_124unique_dim_cuda_templateIfEESt5tupleIJNS8_6TensorESD_SD_EERKSD_lbbbEUlllE1_EE10hipError_tPvRmT2_T3_mT4_P12ihipStream_tbEUlT_E_NS1_11comp_targetILNS1_3genE3ELNS1_11target_archE908ELNS1_3gpuE7ELNS1_3repE0EEENS1_30default_config_static_selectorELNS0_4arch9wavefront6targetE0EEEvT1_
; %bb.0:
	.section	.rodata,"a",@progbits
	.p2align	6, 0x0
	.amdhsa_kernel _ZN7rocprim17ROCPRIM_400000_NS6detail17trampoline_kernelINS0_14default_configENS1_35adjacent_difference_config_selectorILb0ElEEZNS1_24adjacent_difference_implIS3_Lb0ELb0EPlS7_ZN2at6native12_GLOBAL__N_124unique_dim_cuda_templateIfEESt5tupleIJNS8_6TensorESD_SD_EERKSD_lbbbEUlllE1_EE10hipError_tPvRmT2_T3_mT4_P12ihipStream_tbEUlT_E_NS1_11comp_targetILNS1_3genE3ELNS1_11target_archE908ELNS1_3gpuE7ELNS1_3repE0EEENS1_30default_config_static_selectorELNS0_4arch9wavefront6targetE0EEEvT1_
		.amdhsa_group_segment_fixed_size 0
		.amdhsa_private_segment_fixed_size 0
		.amdhsa_kernarg_size 64
		.amdhsa_user_sgpr_count 15
		.amdhsa_user_sgpr_dispatch_ptr 0
		.amdhsa_user_sgpr_queue_ptr 0
		.amdhsa_user_sgpr_kernarg_segment_ptr 1
		.amdhsa_user_sgpr_dispatch_id 0
		.amdhsa_user_sgpr_private_segment_size 0
		.amdhsa_wavefront_size32 1
		.amdhsa_uses_dynamic_stack 0
		.amdhsa_enable_private_segment 0
		.amdhsa_system_sgpr_workgroup_id_x 1
		.amdhsa_system_sgpr_workgroup_id_y 0
		.amdhsa_system_sgpr_workgroup_id_z 0
		.amdhsa_system_sgpr_workgroup_info 0
		.amdhsa_system_vgpr_workitem_id 0
		.amdhsa_next_free_vgpr 1
		.amdhsa_next_free_sgpr 1
		.amdhsa_reserve_vcc 0
		.amdhsa_float_round_mode_32 0
		.amdhsa_float_round_mode_16_64 0
		.amdhsa_float_denorm_mode_32 3
		.amdhsa_float_denorm_mode_16_64 3
		.amdhsa_dx10_clamp 1
		.amdhsa_ieee_mode 1
		.amdhsa_fp16_overflow 0
		.amdhsa_workgroup_processor_mode 1
		.amdhsa_memory_ordered 1
		.amdhsa_forward_progress 0
		.amdhsa_shared_vgpr_count 0
		.amdhsa_exception_fp_ieee_invalid_op 0
		.amdhsa_exception_fp_denorm_src 0
		.amdhsa_exception_fp_ieee_div_zero 0
		.amdhsa_exception_fp_ieee_overflow 0
		.amdhsa_exception_fp_ieee_underflow 0
		.amdhsa_exception_fp_ieee_inexact 0
		.amdhsa_exception_int_div_zero 0
	.end_amdhsa_kernel
	.section	.text._ZN7rocprim17ROCPRIM_400000_NS6detail17trampoline_kernelINS0_14default_configENS1_35adjacent_difference_config_selectorILb0ElEEZNS1_24adjacent_difference_implIS3_Lb0ELb0EPlS7_ZN2at6native12_GLOBAL__N_124unique_dim_cuda_templateIfEESt5tupleIJNS8_6TensorESD_SD_EERKSD_lbbbEUlllE1_EE10hipError_tPvRmT2_T3_mT4_P12ihipStream_tbEUlT_E_NS1_11comp_targetILNS1_3genE3ELNS1_11target_archE908ELNS1_3gpuE7ELNS1_3repE0EEENS1_30default_config_static_selectorELNS0_4arch9wavefront6targetE0EEEvT1_,"axG",@progbits,_ZN7rocprim17ROCPRIM_400000_NS6detail17trampoline_kernelINS0_14default_configENS1_35adjacent_difference_config_selectorILb0ElEEZNS1_24adjacent_difference_implIS3_Lb0ELb0EPlS7_ZN2at6native12_GLOBAL__N_124unique_dim_cuda_templateIfEESt5tupleIJNS8_6TensorESD_SD_EERKSD_lbbbEUlllE1_EE10hipError_tPvRmT2_T3_mT4_P12ihipStream_tbEUlT_E_NS1_11comp_targetILNS1_3genE3ELNS1_11target_archE908ELNS1_3gpuE7ELNS1_3repE0EEENS1_30default_config_static_selectorELNS0_4arch9wavefront6targetE0EEEvT1_,comdat
.Lfunc_end908:
	.size	_ZN7rocprim17ROCPRIM_400000_NS6detail17trampoline_kernelINS0_14default_configENS1_35adjacent_difference_config_selectorILb0ElEEZNS1_24adjacent_difference_implIS3_Lb0ELb0EPlS7_ZN2at6native12_GLOBAL__N_124unique_dim_cuda_templateIfEESt5tupleIJNS8_6TensorESD_SD_EERKSD_lbbbEUlllE1_EE10hipError_tPvRmT2_T3_mT4_P12ihipStream_tbEUlT_E_NS1_11comp_targetILNS1_3genE3ELNS1_11target_archE908ELNS1_3gpuE7ELNS1_3repE0EEENS1_30default_config_static_selectorELNS0_4arch9wavefront6targetE0EEEvT1_, .Lfunc_end908-_ZN7rocprim17ROCPRIM_400000_NS6detail17trampoline_kernelINS0_14default_configENS1_35adjacent_difference_config_selectorILb0ElEEZNS1_24adjacent_difference_implIS3_Lb0ELb0EPlS7_ZN2at6native12_GLOBAL__N_124unique_dim_cuda_templateIfEESt5tupleIJNS8_6TensorESD_SD_EERKSD_lbbbEUlllE1_EE10hipError_tPvRmT2_T3_mT4_P12ihipStream_tbEUlT_E_NS1_11comp_targetILNS1_3genE3ELNS1_11target_archE908ELNS1_3gpuE7ELNS1_3repE0EEENS1_30default_config_static_selectorELNS0_4arch9wavefront6targetE0EEEvT1_
                                        ; -- End function
	.section	.AMDGPU.csdata,"",@progbits
; Kernel info:
; codeLenInByte = 0
; NumSgprs: 0
; NumVgprs: 0
; ScratchSize: 0
; MemoryBound: 0
; FloatMode: 240
; IeeeMode: 1
; LDSByteSize: 0 bytes/workgroup (compile time only)
; SGPRBlocks: 0
; VGPRBlocks: 0
; NumSGPRsForWavesPerEU: 1
; NumVGPRsForWavesPerEU: 1
; Occupancy: 16
; WaveLimiterHint : 0
; COMPUTE_PGM_RSRC2:SCRATCH_EN: 0
; COMPUTE_PGM_RSRC2:USER_SGPR: 15
; COMPUTE_PGM_RSRC2:TRAP_HANDLER: 0
; COMPUTE_PGM_RSRC2:TGID_X_EN: 1
; COMPUTE_PGM_RSRC2:TGID_Y_EN: 0
; COMPUTE_PGM_RSRC2:TGID_Z_EN: 0
; COMPUTE_PGM_RSRC2:TIDIG_COMP_CNT: 0
	.section	.text._ZN7rocprim17ROCPRIM_400000_NS6detail17trampoline_kernelINS0_14default_configENS1_35adjacent_difference_config_selectorILb0ElEEZNS1_24adjacent_difference_implIS3_Lb0ELb0EPlS7_ZN2at6native12_GLOBAL__N_124unique_dim_cuda_templateIfEESt5tupleIJNS8_6TensorESD_SD_EERKSD_lbbbEUlllE1_EE10hipError_tPvRmT2_T3_mT4_P12ihipStream_tbEUlT_E_NS1_11comp_targetILNS1_3genE2ELNS1_11target_archE906ELNS1_3gpuE6ELNS1_3repE0EEENS1_30default_config_static_selectorELNS0_4arch9wavefront6targetE0EEEvT1_,"axG",@progbits,_ZN7rocprim17ROCPRIM_400000_NS6detail17trampoline_kernelINS0_14default_configENS1_35adjacent_difference_config_selectorILb0ElEEZNS1_24adjacent_difference_implIS3_Lb0ELb0EPlS7_ZN2at6native12_GLOBAL__N_124unique_dim_cuda_templateIfEESt5tupleIJNS8_6TensorESD_SD_EERKSD_lbbbEUlllE1_EE10hipError_tPvRmT2_T3_mT4_P12ihipStream_tbEUlT_E_NS1_11comp_targetILNS1_3genE2ELNS1_11target_archE906ELNS1_3gpuE6ELNS1_3repE0EEENS1_30default_config_static_selectorELNS0_4arch9wavefront6targetE0EEEvT1_,comdat
	.globl	_ZN7rocprim17ROCPRIM_400000_NS6detail17trampoline_kernelINS0_14default_configENS1_35adjacent_difference_config_selectorILb0ElEEZNS1_24adjacent_difference_implIS3_Lb0ELb0EPlS7_ZN2at6native12_GLOBAL__N_124unique_dim_cuda_templateIfEESt5tupleIJNS8_6TensorESD_SD_EERKSD_lbbbEUlllE1_EE10hipError_tPvRmT2_T3_mT4_P12ihipStream_tbEUlT_E_NS1_11comp_targetILNS1_3genE2ELNS1_11target_archE906ELNS1_3gpuE6ELNS1_3repE0EEENS1_30default_config_static_selectorELNS0_4arch9wavefront6targetE0EEEvT1_ ; -- Begin function _ZN7rocprim17ROCPRIM_400000_NS6detail17trampoline_kernelINS0_14default_configENS1_35adjacent_difference_config_selectorILb0ElEEZNS1_24adjacent_difference_implIS3_Lb0ELb0EPlS7_ZN2at6native12_GLOBAL__N_124unique_dim_cuda_templateIfEESt5tupleIJNS8_6TensorESD_SD_EERKSD_lbbbEUlllE1_EE10hipError_tPvRmT2_T3_mT4_P12ihipStream_tbEUlT_E_NS1_11comp_targetILNS1_3genE2ELNS1_11target_archE906ELNS1_3gpuE6ELNS1_3repE0EEENS1_30default_config_static_selectorELNS0_4arch9wavefront6targetE0EEEvT1_
	.p2align	8
	.type	_ZN7rocprim17ROCPRIM_400000_NS6detail17trampoline_kernelINS0_14default_configENS1_35adjacent_difference_config_selectorILb0ElEEZNS1_24adjacent_difference_implIS3_Lb0ELb0EPlS7_ZN2at6native12_GLOBAL__N_124unique_dim_cuda_templateIfEESt5tupleIJNS8_6TensorESD_SD_EERKSD_lbbbEUlllE1_EE10hipError_tPvRmT2_T3_mT4_P12ihipStream_tbEUlT_E_NS1_11comp_targetILNS1_3genE2ELNS1_11target_archE906ELNS1_3gpuE6ELNS1_3repE0EEENS1_30default_config_static_selectorELNS0_4arch9wavefront6targetE0EEEvT1_,@function
_ZN7rocprim17ROCPRIM_400000_NS6detail17trampoline_kernelINS0_14default_configENS1_35adjacent_difference_config_selectorILb0ElEEZNS1_24adjacent_difference_implIS3_Lb0ELb0EPlS7_ZN2at6native12_GLOBAL__N_124unique_dim_cuda_templateIfEESt5tupleIJNS8_6TensorESD_SD_EERKSD_lbbbEUlllE1_EE10hipError_tPvRmT2_T3_mT4_P12ihipStream_tbEUlT_E_NS1_11comp_targetILNS1_3genE2ELNS1_11target_archE906ELNS1_3gpuE6ELNS1_3repE0EEENS1_30default_config_static_selectorELNS0_4arch9wavefront6targetE0EEEvT1_: ; @_ZN7rocprim17ROCPRIM_400000_NS6detail17trampoline_kernelINS0_14default_configENS1_35adjacent_difference_config_selectorILb0ElEEZNS1_24adjacent_difference_implIS3_Lb0ELb0EPlS7_ZN2at6native12_GLOBAL__N_124unique_dim_cuda_templateIfEESt5tupleIJNS8_6TensorESD_SD_EERKSD_lbbbEUlllE1_EE10hipError_tPvRmT2_T3_mT4_P12ihipStream_tbEUlT_E_NS1_11comp_targetILNS1_3genE2ELNS1_11target_archE906ELNS1_3gpuE6ELNS1_3repE0EEENS1_30default_config_static_selectorELNS0_4arch9wavefront6targetE0EEEvT1_
; %bb.0:
	.section	.rodata,"a",@progbits
	.p2align	6, 0x0
	.amdhsa_kernel _ZN7rocprim17ROCPRIM_400000_NS6detail17trampoline_kernelINS0_14default_configENS1_35adjacent_difference_config_selectorILb0ElEEZNS1_24adjacent_difference_implIS3_Lb0ELb0EPlS7_ZN2at6native12_GLOBAL__N_124unique_dim_cuda_templateIfEESt5tupleIJNS8_6TensorESD_SD_EERKSD_lbbbEUlllE1_EE10hipError_tPvRmT2_T3_mT4_P12ihipStream_tbEUlT_E_NS1_11comp_targetILNS1_3genE2ELNS1_11target_archE906ELNS1_3gpuE6ELNS1_3repE0EEENS1_30default_config_static_selectorELNS0_4arch9wavefront6targetE0EEEvT1_
		.amdhsa_group_segment_fixed_size 0
		.amdhsa_private_segment_fixed_size 0
		.amdhsa_kernarg_size 64
		.amdhsa_user_sgpr_count 15
		.amdhsa_user_sgpr_dispatch_ptr 0
		.amdhsa_user_sgpr_queue_ptr 0
		.amdhsa_user_sgpr_kernarg_segment_ptr 1
		.amdhsa_user_sgpr_dispatch_id 0
		.amdhsa_user_sgpr_private_segment_size 0
		.amdhsa_wavefront_size32 1
		.amdhsa_uses_dynamic_stack 0
		.amdhsa_enable_private_segment 0
		.amdhsa_system_sgpr_workgroup_id_x 1
		.amdhsa_system_sgpr_workgroup_id_y 0
		.amdhsa_system_sgpr_workgroup_id_z 0
		.amdhsa_system_sgpr_workgroup_info 0
		.amdhsa_system_vgpr_workitem_id 0
		.amdhsa_next_free_vgpr 1
		.amdhsa_next_free_sgpr 1
		.amdhsa_reserve_vcc 0
		.amdhsa_float_round_mode_32 0
		.amdhsa_float_round_mode_16_64 0
		.amdhsa_float_denorm_mode_32 3
		.amdhsa_float_denorm_mode_16_64 3
		.amdhsa_dx10_clamp 1
		.amdhsa_ieee_mode 1
		.amdhsa_fp16_overflow 0
		.amdhsa_workgroup_processor_mode 1
		.amdhsa_memory_ordered 1
		.amdhsa_forward_progress 0
		.amdhsa_shared_vgpr_count 0
		.amdhsa_exception_fp_ieee_invalid_op 0
		.amdhsa_exception_fp_denorm_src 0
		.amdhsa_exception_fp_ieee_div_zero 0
		.amdhsa_exception_fp_ieee_overflow 0
		.amdhsa_exception_fp_ieee_underflow 0
		.amdhsa_exception_fp_ieee_inexact 0
		.amdhsa_exception_int_div_zero 0
	.end_amdhsa_kernel
	.section	.text._ZN7rocprim17ROCPRIM_400000_NS6detail17trampoline_kernelINS0_14default_configENS1_35adjacent_difference_config_selectorILb0ElEEZNS1_24adjacent_difference_implIS3_Lb0ELb0EPlS7_ZN2at6native12_GLOBAL__N_124unique_dim_cuda_templateIfEESt5tupleIJNS8_6TensorESD_SD_EERKSD_lbbbEUlllE1_EE10hipError_tPvRmT2_T3_mT4_P12ihipStream_tbEUlT_E_NS1_11comp_targetILNS1_3genE2ELNS1_11target_archE906ELNS1_3gpuE6ELNS1_3repE0EEENS1_30default_config_static_selectorELNS0_4arch9wavefront6targetE0EEEvT1_,"axG",@progbits,_ZN7rocprim17ROCPRIM_400000_NS6detail17trampoline_kernelINS0_14default_configENS1_35adjacent_difference_config_selectorILb0ElEEZNS1_24adjacent_difference_implIS3_Lb0ELb0EPlS7_ZN2at6native12_GLOBAL__N_124unique_dim_cuda_templateIfEESt5tupleIJNS8_6TensorESD_SD_EERKSD_lbbbEUlllE1_EE10hipError_tPvRmT2_T3_mT4_P12ihipStream_tbEUlT_E_NS1_11comp_targetILNS1_3genE2ELNS1_11target_archE906ELNS1_3gpuE6ELNS1_3repE0EEENS1_30default_config_static_selectorELNS0_4arch9wavefront6targetE0EEEvT1_,comdat
.Lfunc_end909:
	.size	_ZN7rocprim17ROCPRIM_400000_NS6detail17trampoline_kernelINS0_14default_configENS1_35adjacent_difference_config_selectorILb0ElEEZNS1_24adjacent_difference_implIS3_Lb0ELb0EPlS7_ZN2at6native12_GLOBAL__N_124unique_dim_cuda_templateIfEESt5tupleIJNS8_6TensorESD_SD_EERKSD_lbbbEUlllE1_EE10hipError_tPvRmT2_T3_mT4_P12ihipStream_tbEUlT_E_NS1_11comp_targetILNS1_3genE2ELNS1_11target_archE906ELNS1_3gpuE6ELNS1_3repE0EEENS1_30default_config_static_selectorELNS0_4arch9wavefront6targetE0EEEvT1_, .Lfunc_end909-_ZN7rocprim17ROCPRIM_400000_NS6detail17trampoline_kernelINS0_14default_configENS1_35adjacent_difference_config_selectorILb0ElEEZNS1_24adjacent_difference_implIS3_Lb0ELb0EPlS7_ZN2at6native12_GLOBAL__N_124unique_dim_cuda_templateIfEESt5tupleIJNS8_6TensorESD_SD_EERKSD_lbbbEUlllE1_EE10hipError_tPvRmT2_T3_mT4_P12ihipStream_tbEUlT_E_NS1_11comp_targetILNS1_3genE2ELNS1_11target_archE906ELNS1_3gpuE6ELNS1_3repE0EEENS1_30default_config_static_selectorELNS0_4arch9wavefront6targetE0EEEvT1_
                                        ; -- End function
	.section	.AMDGPU.csdata,"",@progbits
; Kernel info:
; codeLenInByte = 0
; NumSgprs: 0
; NumVgprs: 0
; ScratchSize: 0
; MemoryBound: 0
; FloatMode: 240
; IeeeMode: 1
; LDSByteSize: 0 bytes/workgroup (compile time only)
; SGPRBlocks: 0
; VGPRBlocks: 0
; NumSGPRsForWavesPerEU: 1
; NumVGPRsForWavesPerEU: 1
; Occupancy: 16
; WaveLimiterHint : 0
; COMPUTE_PGM_RSRC2:SCRATCH_EN: 0
; COMPUTE_PGM_RSRC2:USER_SGPR: 15
; COMPUTE_PGM_RSRC2:TRAP_HANDLER: 0
; COMPUTE_PGM_RSRC2:TGID_X_EN: 1
; COMPUTE_PGM_RSRC2:TGID_Y_EN: 0
; COMPUTE_PGM_RSRC2:TGID_Z_EN: 0
; COMPUTE_PGM_RSRC2:TIDIG_COMP_CNT: 0
	.section	.text._ZN7rocprim17ROCPRIM_400000_NS6detail17trampoline_kernelINS0_14default_configENS1_35adjacent_difference_config_selectorILb0ElEEZNS1_24adjacent_difference_implIS3_Lb0ELb0EPlS7_ZN2at6native12_GLOBAL__N_124unique_dim_cuda_templateIfEESt5tupleIJNS8_6TensorESD_SD_EERKSD_lbbbEUlllE1_EE10hipError_tPvRmT2_T3_mT4_P12ihipStream_tbEUlT_E_NS1_11comp_targetILNS1_3genE9ELNS1_11target_archE1100ELNS1_3gpuE3ELNS1_3repE0EEENS1_30default_config_static_selectorELNS0_4arch9wavefront6targetE0EEEvT1_,"axG",@progbits,_ZN7rocprim17ROCPRIM_400000_NS6detail17trampoline_kernelINS0_14default_configENS1_35adjacent_difference_config_selectorILb0ElEEZNS1_24adjacent_difference_implIS3_Lb0ELb0EPlS7_ZN2at6native12_GLOBAL__N_124unique_dim_cuda_templateIfEESt5tupleIJNS8_6TensorESD_SD_EERKSD_lbbbEUlllE1_EE10hipError_tPvRmT2_T3_mT4_P12ihipStream_tbEUlT_E_NS1_11comp_targetILNS1_3genE9ELNS1_11target_archE1100ELNS1_3gpuE3ELNS1_3repE0EEENS1_30default_config_static_selectorELNS0_4arch9wavefront6targetE0EEEvT1_,comdat
	.globl	_ZN7rocprim17ROCPRIM_400000_NS6detail17trampoline_kernelINS0_14default_configENS1_35adjacent_difference_config_selectorILb0ElEEZNS1_24adjacent_difference_implIS3_Lb0ELb0EPlS7_ZN2at6native12_GLOBAL__N_124unique_dim_cuda_templateIfEESt5tupleIJNS8_6TensorESD_SD_EERKSD_lbbbEUlllE1_EE10hipError_tPvRmT2_T3_mT4_P12ihipStream_tbEUlT_E_NS1_11comp_targetILNS1_3genE9ELNS1_11target_archE1100ELNS1_3gpuE3ELNS1_3repE0EEENS1_30default_config_static_selectorELNS0_4arch9wavefront6targetE0EEEvT1_ ; -- Begin function _ZN7rocprim17ROCPRIM_400000_NS6detail17trampoline_kernelINS0_14default_configENS1_35adjacent_difference_config_selectorILb0ElEEZNS1_24adjacent_difference_implIS3_Lb0ELb0EPlS7_ZN2at6native12_GLOBAL__N_124unique_dim_cuda_templateIfEESt5tupleIJNS8_6TensorESD_SD_EERKSD_lbbbEUlllE1_EE10hipError_tPvRmT2_T3_mT4_P12ihipStream_tbEUlT_E_NS1_11comp_targetILNS1_3genE9ELNS1_11target_archE1100ELNS1_3gpuE3ELNS1_3repE0EEENS1_30default_config_static_selectorELNS0_4arch9wavefront6targetE0EEEvT1_
	.p2align	8
	.type	_ZN7rocprim17ROCPRIM_400000_NS6detail17trampoline_kernelINS0_14default_configENS1_35adjacent_difference_config_selectorILb0ElEEZNS1_24adjacent_difference_implIS3_Lb0ELb0EPlS7_ZN2at6native12_GLOBAL__N_124unique_dim_cuda_templateIfEESt5tupleIJNS8_6TensorESD_SD_EERKSD_lbbbEUlllE1_EE10hipError_tPvRmT2_T3_mT4_P12ihipStream_tbEUlT_E_NS1_11comp_targetILNS1_3genE9ELNS1_11target_archE1100ELNS1_3gpuE3ELNS1_3repE0EEENS1_30default_config_static_selectorELNS0_4arch9wavefront6targetE0EEEvT1_,@function
_ZN7rocprim17ROCPRIM_400000_NS6detail17trampoline_kernelINS0_14default_configENS1_35adjacent_difference_config_selectorILb0ElEEZNS1_24adjacent_difference_implIS3_Lb0ELb0EPlS7_ZN2at6native12_GLOBAL__N_124unique_dim_cuda_templateIfEESt5tupleIJNS8_6TensorESD_SD_EERKSD_lbbbEUlllE1_EE10hipError_tPvRmT2_T3_mT4_P12ihipStream_tbEUlT_E_NS1_11comp_targetILNS1_3genE9ELNS1_11target_archE1100ELNS1_3gpuE3ELNS1_3repE0EEENS1_30default_config_static_selectorELNS0_4arch9wavefront6targetE0EEEvT1_: ; @_ZN7rocprim17ROCPRIM_400000_NS6detail17trampoline_kernelINS0_14default_configENS1_35adjacent_difference_config_selectorILb0ElEEZNS1_24adjacent_difference_implIS3_Lb0ELb0EPlS7_ZN2at6native12_GLOBAL__N_124unique_dim_cuda_templateIfEESt5tupleIJNS8_6TensorESD_SD_EERKSD_lbbbEUlllE1_EE10hipError_tPvRmT2_T3_mT4_P12ihipStream_tbEUlT_E_NS1_11comp_targetILNS1_3genE9ELNS1_11target_archE1100ELNS1_3gpuE3ELNS1_3repE0EEENS1_30default_config_static_selectorELNS0_4arch9wavefront6targetE0EEEvT1_
; %bb.0:
	s_clause 0x1
	s_load_b256 s[4:11], s[0:1], 0x0
	s_load_b64 s[18:19], s[0:1], 0x38
	s_mov_b32 s17, 0
	s_waitcnt lgkmcnt(0)
	s_lshl_b64 s[12:13], s[6:7], 3
	s_delay_alu instid0(SALU_CYCLE_1)
	s_add_u32 s20, s4, s12
	s_addc_u32 s21, s5, s13
	s_load_b128 s[4:7], s[0:1], 0x20
	s_and_b32 s16, s10, 0x1ff
	s_lshl_b32 s2, s15, 9
	s_lshr_b64 s[22:23], s[10:11], 9
	s_cmp_lg_u64 s[16:17], 0
	s_cselect_b32 s3, -1, 0
	s_delay_alu instid0(SALU_CYCLE_1) | instskip(NEXT) | instid1(VALU_DEP_1)
	v_cndmask_b32_e64 v1, 0, 1, s3
	v_readfirstlane_b32 s3, v1
	s_delay_alu instid0(VALU_DEP_1)
	s_add_u32 s16, s22, s3
	s_addc_u32 s17, s23, 0
	s_add_u32 s18, s18, s15
	s_addc_u32 s19, s19, 0
	s_add_u32 s14, s16, -1
	s_addc_u32 s15, s17, -1
	s_delay_alu instid0(SALU_CYCLE_1) | instskip(NEXT) | instid1(VALU_DEP_1)
	v_cmp_ge_u64_e64 s1, s[18:19], s[14:15]
	s_and_b32 vcc_lo, exec_lo, s1
	s_cbranch_vccz .LBB910_4
; %bb.1:
	s_lshl_b32 s0, s14, 9
                                        ; implicit-def: $vgpr1_vgpr2
	s_delay_alu instid0(SALU_CYCLE_1) | instskip(NEXT) | instid1(SALU_CYCLE_1)
	s_sub_i32 s0, s10, s0
	v_cmp_gt_u32_e32 vcc_lo, s0, v0
	s_and_saveexec_b32 s0, vcc_lo
	s_cbranch_execz .LBB910_3
; %bb.2:
	s_mov_b32 s3, 0
	v_lshlrev_b32_e32 v1, 3, v0
	s_lshl_b64 s[22:23], s[2:3], 3
	s_delay_alu instid0(SALU_CYCLE_1)
	s_add_u32 s22, s20, s22
	s_addc_u32 s23, s21, s23
	global_load_b64 v[1:2], v1, s[22:23]
.LBB910_3:
	s_or_b32 exec_lo, exec_lo, s0
	v_lshlrev_b32_e32 v3, 3, v0
	s_waitcnt vmcnt(0)
	ds_store_b64 v3, v[1:2]
	s_waitcnt lgkmcnt(0)
	s_barrier
	v_lshlrev_b32_e32 v9, 3, v0
	s_branch .LBB910_6
.LBB910_4:
                                        ; implicit-def: $vgpr3
	v_lshlrev_b32_e32 v9, 3, v0
	s_cbranch_execz .LBB910_6
; %bb.5:
	s_mov_b32 s3, 0
	s_delay_alu instid0(VALU_DEP_1) | instskip(SKIP_1) | instid1(SALU_CYCLE_1)
	v_mov_b32_e32 v3, v9
	s_lshl_b64 s[22:23], s[2:3], 3
	s_add_u32 s22, s20, s22
	s_addc_u32 s23, s21, s23
	global_load_b64 v[1:2], v9, s[22:23]
	s_waitcnt vmcnt(0)
	ds_store_b64 v9, v[1:2]
	s_waitcnt lgkmcnt(0)
	s_barrier
.LBB910_6:
	s_waitcnt lgkmcnt(0)
	buffer_gl0_inv
	ds_load_b64 v[1:2], v3
	s_cmp_eq_u64 s[18:19], 0
	s_waitcnt lgkmcnt(0)
	s_barrier
	buffer_gl0_inv
	s_cbranch_scc1 .LBB910_17
; %bb.7:
	s_mov_b32 s3, 0
	s_delay_alu instid0(SALU_CYCLE_1) | instskip(NEXT) | instid1(SALU_CYCLE_1)
	s_lshl_b64 s[22:23], s[2:3], 3
	s_add_u32 s0, s20, s22
	s_addc_u32 s11, s21, s23
	s_add_u32 s20, s0, -8
	s_addc_u32 s21, s11, -1
	s_cmp_lg_u64 s[18:19], s[14:15]
	s_load_b64 s[20:21], s[20:21], 0x0
	s_cbranch_scc0 .LBB910_18
; %bb.8:
	s_waitcnt lgkmcnt(0)
	v_dual_mov_b32 v3, s20 :: v_dual_mov_b32 v4, s21
	s_mov_b32 s0, 0
	s_mov_b32 s3, exec_lo
	ds_store_b64 v9, v[1:2]
	s_waitcnt lgkmcnt(0)
	s_barrier
	buffer_gl0_inv
	v_cmpx_ne_u32_e32 0, v0
	s_cbranch_execz .LBB910_10
; %bb.9:
	v_add_nc_u32_e32 v3, -8, v9
	ds_load_b64 v[3:4], v3
.LBB910_10:
	s_or_b32 exec_lo, exec_lo, s3
	v_cmp_lt_i64_e64 s3, s[4:5], 1
	s_delay_alu instid0(VALU_DEP_1)
	s_and_b32 vcc_lo, exec_lo, s3
	s_cbranch_vccnz .LBB910_21
; %bb.11:
	v_mul_lo_u32 v10, v2, s4
	v_mul_lo_u32 v11, v1, s5
	v_mad_u64_u32 v[5:6], null, v1, s4, 0
	s_waitcnt lgkmcnt(0)
	v_mul_lo_u32 v4, v4, s4
	v_mul_lo_u32 v12, v3, s5
	v_mad_u64_u32 v[7:8], null, v3, s4, 0
	s_mov_b32 s0, -1
	s_mov_b32 s3, exec_lo
	s_delay_alu instid0(VALU_DEP_4) | instskip(NEXT) | instid1(VALU_DEP_2)
	v_add3_u32 v6, v6, v11, v10
	v_add3_u32 v8, v8, v12, v4
	s_delay_alu instid0(VALU_DEP_2) | instskip(NEXT) | instid1(VALU_DEP_2)
	v_lshlrev_b64 v[3:4], 2, v[5:6]
	v_lshlrev_b64 v[7:8], 2, v[7:8]
	s_delay_alu instid0(VALU_DEP_2) | instskip(NEXT) | instid1(VALU_DEP_3)
	v_add_co_u32 v5, vcc_lo, s6, v3
	v_add_co_ci_u32_e32 v6, vcc_lo, s7, v4, vcc_lo
	s_delay_alu instid0(VALU_DEP_3) | instskip(NEXT) | instid1(VALU_DEP_4)
	v_add_co_u32 v3, vcc_lo, s6, v7
	v_add_co_ci_u32_e32 v4, vcc_lo, s7, v8, vcc_lo
	s_clause 0x1
	global_load_b32 v7, v[5:6], off
	global_load_b32 v8, v[3:4], off
	s_waitcnt vmcnt(0)
	v_cmpx_eq_f32_e32 v7, v8
	s_cbranch_execz .LBB910_20
; %bb.12:
	v_add_co_u32 v3, vcc_lo, v3, 4
	v_add_co_ci_u32_e32 v4, vcc_lo, 0, v4, vcc_lo
	v_add_co_u32 v5, vcc_lo, v5, 4
	v_add_co_ci_u32_e32 v6, vcc_lo, 0, v6, vcc_lo
	s_add_u32 s22, s4, -1
	s_addc_u32 s23, s5, -1
	s_mov_b64 s[24:25], 0
	s_mov_b32 s11, 0
                                        ; implicit-def: $sgpr15
	s_set_inst_prefetch_distance 0x1
	s_branch .LBB910_15
	.p2align	6
.LBB910_13:                             ;   in Loop: Header=BB910_15 Depth=1
	global_load_b32 v7, v[5:6], off
	global_load_b32 v8, v[3:4], off
	v_add_co_u32 v3, vcc_lo, v3, 4
	v_add_co_ci_u32_e32 v4, vcc_lo, 0, v4, vcc_lo
	v_add_co_u32 v5, s0, v5, 4
	s_delay_alu instid0(VALU_DEP_1)
	v_add_co_ci_u32_e64 v6, s0, 0, v6, s0
	s_add_u32 s24, s24, 1
	s_addc_u32 s25, s25, 0
	s_and_not1_b32 s0, s15, exec_lo
	s_waitcnt vmcnt(0)
	v_cmp_neq_f32_e32 vcc_lo, v7, v8
	s_and_b32 s15, vcc_lo, exec_lo
	s_delay_alu instid0(SALU_CYCLE_1)
	s_or_b32 s15, s0, s15
.LBB910_14:                             ;   in Loop: Header=BB910_15 Depth=1
	v_dual_mov_b32 v7, s24 :: v_dual_mov_b32 v8, s25
	s_and_b32 s0, exec_lo, s15
	s_delay_alu instid0(SALU_CYCLE_1) | instskip(NEXT) | instid1(SALU_CYCLE_1)
	s_or_b32 s11, s0, s11
	s_and_not1_b32 exec_lo, exec_lo, s11
	s_cbranch_execz .LBB910_19
.LBB910_15:                             ; =>This Inner Loop Header: Depth=1
	s_or_b32 s15, s15, exec_lo
	s_cmp_eq_u64 s[22:23], s[24:25]
	s_cbranch_scc0 .LBB910_13
; %bb.16:                               ;   in Loop: Header=BB910_15 Depth=1
	s_mov_b64 s[24:25], s[4:5]
                                        ; implicit-def: $vgpr3_vgpr4
                                        ; implicit-def: $vgpr5_vgpr6
	s_branch .LBB910_14
.LBB910_17:
	s_mov_b32 s3, 0
                                        ; implicit-def: $sgpr0
	s_cbranch_execnz .LBB910_38
	s_branch .LBB910_65
.LBB910_18:
                                        ; implicit-def: $sgpr0
	s_cbranch_execnz .LBB910_22
	s_branch .LBB910_37
.LBB910_19:
	s_set_inst_prefetch_distance 0x2
	s_or_b32 exec_lo, exec_lo, s11
	v_cmp_gt_i64_e32 vcc_lo, s[4:5], v[7:8]
	s_or_not1_b32 s0, vcc_lo, exec_lo
.LBB910_20:
	s_or_b32 exec_lo, exec_lo, s3
.LBB910_21:
	s_mov_b32 s3, -1
	s_branch .LBB910_37
.LBB910_22:
	s_waitcnt lgkmcnt(0)
	v_dual_mov_b32 v3, s20 :: v_dual_mov_b32 v4, s21
	s_mov_b32 s0, exec_lo
	ds_store_b64 v9, v[1:2]
	s_waitcnt lgkmcnt(0)
	s_barrier
	buffer_gl0_inv
	v_cmpx_ne_u32_e32 0, v0
	s_cbranch_execz .LBB910_24
; %bb.23:
	v_add_nc_u32_e32 v3, -8, v9
	ds_load_b64 v[3:4], v3
.LBB910_24:
	s_or_b32 exec_lo, exec_lo, s0
	s_lshl_b32 s0, s18, 9
	s_delay_alu instid0(SALU_CYCLE_1) | instskip(NEXT) | instid1(SALU_CYCLE_1)
	s_sub_i32 s0, s10, s0
	v_cmp_gt_u32_e32 vcc_lo, s0, v0
                                        ; implicit-def: $sgpr0
	s_and_saveexec_b32 s11, vcc_lo
	s_cbranch_execz .LBB910_36
; %bb.25:
	v_cmp_lt_i64_e64 s0, s[4:5], 1
	s_delay_alu instid0(VALU_DEP_1)
	s_and_b32 vcc_lo, exec_lo, s0
	s_cbranch_vccnz .LBB910_32
; %bb.26:
	v_mul_lo_u32 v10, v2, s4
	v_mul_lo_u32 v11, v1, s5
	v_mad_u64_u32 v[5:6], null, v1, s4, 0
	s_waitcnt lgkmcnt(0)
	v_mul_lo_u32 v4, v4, s4
	v_mul_lo_u32 v12, v3, s5
	v_mad_u64_u32 v[7:8], null, v3, s4, 0
	s_mov_b32 s0, -1
	s_mov_b32 s15, exec_lo
	s_delay_alu instid0(VALU_DEP_4) | instskip(NEXT) | instid1(VALU_DEP_2)
	v_add3_u32 v6, v6, v11, v10
	v_add3_u32 v8, v8, v12, v4
	s_delay_alu instid0(VALU_DEP_2) | instskip(NEXT) | instid1(VALU_DEP_2)
	v_lshlrev_b64 v[3:4], 2, v[5:6]
	v_lshlrev_b64 v[7:8], 2, v[7:8]
	s_delay_alu instid0(VALU_DEP_2) | instskip(NEXT) | instid1(VALU_DEP_3)
	v_add_co_u32 v5, vcc_lo, s6, v3
	v_add_co_ci_u32_e32 v6, vcc_lo, s7, v4, vcc_lo
	s_delay_alu instid0(VALU_DEP_3) | instskip(NEXT) | instid1(VALU_DEP_4)
	v_add_co_u32 v3, vcc_lo, s6, v7
	v_add_co_ci_u32_e32 v4, vcc_lo, s7, v8, vcc_lo
	s_clause 0x1
	global_load_b32 v7, v[5:6], off
	global_load_b32 v8, v[3:4], off
	s_waitcnt vmcnt(0)
	v_cmpx_eq_f32_e32 v7, v8
	s_cbranch_execz .LBB910_34
; %bb.27:
	v_add_co_u32 v3, vcc_lo, v3, 4
	v_add_co_ci_u32_e32 v4, vcc_lo, 0, v4, vcc_lo
	v_add_co_u32 v5, vcc_lo, v5, 4
	v_add_co_ci_u32_e32 v6, vcc_lo, 0, v6, vcc_lo
	s_add_u32 s18, s4, -1
	s_addc_u32 s19, s5, -1
	s_mov_b64 s[20:21], 0
	s_mov_b32 s22, 0
                                        ; implicit-def: $sgpr23
	s_set_inst_prefetch_distance 0x1
	s_branch .LBB910_30
	.p2align	6
.LBB910_28:                             ;   in Loop: Header=BB910_30 Depth=1
	global_load_b32 v7, v[5:6], off
	global_load_b32 v8, v[3:4], off
	v_add_co_u32 v3, vcc_lo, v3, 4
	v_add_co_ci_u32_e32 v4, vcc_lo, 0, v4, vcc_lo
	v_add_co_u32 v5, s0, v5, 4
	s_delay_alu instid0(VALU_DEP_1)
	v_add_co_ci_u32_e64 v6, s0, 0, v6, s0
	s_add_u32 s20, s20, 1
	s_addc_u32 s21, s21, 0
	s_and_not1_b32 s0, s23, exec_lo
	s_waitcnt vmcnt(0)
	v_cmp_neq_f32_e32 vcc_lo, v7, v8
	s_and_b32 s23, vcc_lo, exec_lo
	s_delay_alu instid0(SALU_CYCLE_1)
	s_or_b32 s23, s0, s23
.LBB910_29:                             ;   in Loop: Header=BB910_30 Depth=1
	v_dual_mov_b32 v7, s20 :: v_dual_mov_b32 v8, s21
	s_and_b32 s0, exec_lo, s23
	s_delay_alu instid0(SALU_CYCLE_1) | instskip(NEXT) | instid1(SALU_CYCLE_1)
	s_or_b32 s22, s0, s22
	s_and_not1_b32 exec_lo, exec_lo, s22
	s_cbranch_execz .LBB910_33
.LBB910_30:                             ; =>This Inner Loop Header: Depth=1
	s_or_b32 s23, s23, exec_lo
	s_cmp_eq_u64 s[18:19], s[20:21]
	s_cbranch_scc0 .LBB910_28
; %bb.31:                               ;   in Loop: Header=BB910_30 Depth=1
	s_mov_b64 s[20:21], s[4:5]
                                        ; implicit-def: $vgpr3_vgpr4
                                        ; implicit-def: $vgpr5_vgpr6
	s_branch .LBB910_29
.LBB910_32:
	s_mov_b32 s0, 0
	s_branch .LBB910_35
.LBB910_33:
	s_set_inst_prefetch_distance 0x2
	s_or_b32 exec_lo, exec_lo, s22
	v_cmp_gt_i64_e32 vcc_lo, s[4:5], v[7:8]
	s_or_not1_b32 s0, vcc_lo, exec_lo
.LBB910_34:
	s_or_b32 exec_lo, exec_lo, s15
.LBB910_35:
	s_delay_alu instid0(SALU_CYCLE_1)
	s_and_b32 s0, s0, exec_lo
	s_or_b32 s3, s3, exec_lo
.LBB910_36:
	s_or_b32 exec_lo, exec_lo, s11
.LBB910_37:
	s_branch .LBB910_65
.LBB910_38:
	s_cmp_lg_u64 s[16:17], 1
	s_cbranch_scc0 .LBB910_47
; %bb.39:
	s_mov_b32 s11, 0
	s_mov_b32 s15, exec_lo
	ds_store_b64 v9, v[1:2]
	s_waitcnt lgkmcnt(0)
	s_barrier
	buffer_gl0_inv
                                        ; implicit-def: $sgpr0
	v_cmpx_ne_u32_e32 0, v0
	s_cbranch_execz .LBB910_48
; %bb.40:
	v_cmp_lt_i64_e64 s0, s[4:5], 1
	s_delay_alu instid0(VALU_DEP_1)
	s_and_b32 vcc_lo, exec_lo, s0
	s_cbranch_vccnz .LBB910_49
; %bb.41:
	v_add_nc_u32_e32 v3, -8, v9
	v_mul_lo_u32 v10, v2, s4
	v_mul_lo_u32 v11, v1, s5
	v_mad_u64_u32 v[5:6], null, v1, s4, 0
	ds_load_b64 v[3:4], v3
	s_mov_b32 s0, -1
	s_mov_b32 s20, exec_lo
	v_add3_u32 v6, v6, v11, v10
	s_waitcnt lgkmcnt(0)
	v_mul_lo_u32 v4, v4, s4
	v_mul_lo_u32 v12, v3, s5
	v_mad_u64_u32 v[7:8], null, v3, s4, 0
	s_delay_alu instid0(VALU_DEP_1) | instskip(SKIP_1) | instid1(VALU_DEP_2)
	v_add3_u32 v8, v8, v12, v4
	v_lshlrev_b64 v[3:4], 2, v[5:6]
	v_lshlrev_b64 v[7:8], 2, v[7:8]
	s_delay_alu instid0(VALU_DEP_2) | instskip(NEXT) | instid1(VALU_DEP_3)
	v_add_co_u32 v5, vcc_lo, s6, v3
	v_add_co_ci_u32_e32 v6, vcc_lo, s7, v4, vcc_lo
	s_delay_alu instid0(VALU_DEP_3) | instskip(NEXT) | instid1(VALU_DEP_4)
	v_add_co_u32 v3, vcc_lo, s6, v7
	v_add_co_ci_u32_e32 v4, vcc_lo, s7, v8, vcc_lo
	s_clause 0x1
	global_load_b32 v7, v[5:6], off
	global_load_b32 v8, v[3:4], off
	s_waitcnt vmcnt(0)
	v_cmpx_eq_f32_e32 v7, v8
	s_cbranch_execz .LBB910_51
; %bb.42:
	v_add_co_u32 v3, vcc_lo, v3, 4
	v_add_co_ci_u32_e32 v4, vcc_lo, 0, v4, vcc_lo
	v_add_co_u32 v5, vcc_lo, v5, 4
	v_add_co_ci_u32_e32 v6, vcc_lo, 0, v6, vcc_lo
	s_add_u32 s16, s4, -1
	s_addc_u32 s17, s5, -1
	s_mov_b64 s[18:19], 0
	s_mov_b32 s21, 0
                                        ; implicit-def: $sgpr22
	s_set_inst_prefetch_distance 0x1
	s_branch .LBB910_45
	.p2align	6
.LBB910_43:                             ;   in Loop: Header=BB910_45 Depth=1
	global_load_b32 v7, v[5:6], off
	global_load_b32 v8, v[3:4], off
	v_add_co_u32 v3, vcc_lo, v3, 4
	v_add_co_ci_u32_e32 v4, vcc_lo, 0, v4, vcc_lo
	v_add_co_u32 v5, s0, v5, 4
	s_delay_alu instid0(VALU_DEP_1)
	v_add_co_ci_u32_e64 v6, s0, 0, v6, s0
	s_add_u32 s18, s18, 1
	s_addc_u32 s19, s19, 0
	s_and_not1_b32 s0, s22, exec_lo
	s_waitcnt vmcnt(0)
	v_cmp_neq_f32_e32 vcc_lo, v7, v8
	s_and_b32 s22, vcc_lo, exec_lo
	s_delay_alu instid0(SALU_CYCLE_1)
	s_or_b32 s22, s0, s22
.LBB910_44:                             ;   in Loop: Header=BB910_45 Depth=1
	v_dual_mov_b32 v7, s18 :: v_dual_mov_b32 v8, s19
	s_and_b32 s0, exec_lo, s22
	s_delay_alu instid0(SALU_CYCLE_1) | instskip(NEXT) | instid1(SALU_CYCLE_1)
	s_or_b32 s21, s0, s21
	s_and_not1_b32 exec_lo, exec_lo, s21
	s_cbranch_execz .LBB910_50
.LBB910_45:                             ; =>This Inner Loop Header: Depth=1
	s_or_b32 s22, s22, exec_lo
	s_cmp_eq_u64 s[16:17], s[18:19]
	s_cbranch_scc0 .LBB910_43
; %bb.46:                               ;   in Loop: Header=BB910_45 Depth=1
	s_mov_b64 s[18:19], s[4:5]
                                        ; implicit-def: $vgpr3_vgpr4
                                        ; implicit-def: $vgpr5_vgpr6
	s_branch .LBB910_44
.LBB910_47:
                                        ; implicit-def: $sgpr0
	s_cbranch_execnz .LBB910_53
	s_branch .LBB910_65
.LBB910_48:
	s_or_b32 exec_lo, exec_lo, s15
	s_delay_alu instid0(SALU_CYCLE_1)
	s_and_b32 vcc_lo, exec_lo, s11
	s_cbranch_vccnz .LBB910_53
	s_branch .LBB910_65
.LBB910_49:
	s_mov_b32 s0, 0
	s_branch .LBB910_52
.LBB910_50:
	s_set_inst_prefetch_distance 0x2
	s_or_b32 exec_lo, exec_lo, s21
	v_cmp_gt_i64_e32 vcc_lo, s[4:5], v[7:8]
	s_or_not1_b32 s0, vcc_lo, exec_lo
.LBB910_51:
	s_or_b32 exec_lo, exec_lo, s20
.LBB910_52:
	s_delay_alu instid0(SALU_CYCLE_1) | instskip(SKIP_2) | instid1(SALU_CYCLE_1)
	s_and_b32 s0, s0, exec_lo
	s_or_b32 s3, s3, exec_lo
	s_or_b32 exec_lo, exec_lo, s15
	s_and_b32 vcc_lo, exec_lo, s11
	s_cbranch_vccz .LBB910_65
.LBB910_53:
	v_cmp_ne_u32_e32 vcc_lo, 0, v0
	v_cmp_gt_u32_e64 s0, s10, v0
	s_mov_b32 s16, 0
	ds_store_b64 v9, v[1:2]
	s_waitcnt lgkmcnt(0)
	s_barrier
	s_and_b32 s15, vcc_lo, s0
	buffer_gl0_inv
                                        ; implicit-def: $sgpr0
	s_and_saveexec_b32 s11, s15
	s_cbranch_execz .LBB910_64
; %bb.54:
	v_cmp_lt_i64_e64 s0, s[4:5], 1
	s_delay_alu instid0(VALU_DEP_1)
	s_and_b32 vcc_lo, exec_lo, s0
	s_cbranch_vccnz .LBB910_63
; %bb.55:
	v_add_nc_u32_e32 v3, -8, v9
	v_mul_lo_u32 v7, v2, s4
	v_mul_lo_u32 v8, v1, s5
	v_mad_u64_u32 v[5:6], null, v1, s4, 0
	ds_load_b64 v[3:4], v3
	s_mov_b32 s16, -1
	s_mov_b32 s15, exec_lo
	v_add3_u32 v6, v6, v8, v7
	s_waitcnt lgkmcnt(0)
	v_mul_lo_u32 v4, v4, s4
	v_mul_lo_u32 v10, v3, s5
	v_mad_u64_u32 v[1:2], null, v3, s4, 0
	s_delay_alu instid0(VALU_DEP_1) | instskip(SKIP_1) | instid1(VALU_DEP_2)
	v_add3_u32 v2, v2, v10, v4
	v_lshlrev_b64 v[3:4], 2, v[5:6]
	v_lshlrev_b64 v[1:2], 2, v[1:2]
	s_delay_alu instid0(VALU_DEP_2) | instskip(NEXT) | instid1(VALU_DEP_3)
	v_add_co_u32 v3, vcc_lo, s6, v3
	v_add_co_ci_u32_e32 v4, vcc_lo, s7, v4, vcc_lo
	s_delay_alu instid0(VALU_DEP_3) | instskip(NEXT) | instid1(VALU_DEP_4)
	v_add_co_u32 v1, vcc_lo, s6, v1
	v_add_co_ci_u32_e32 v2, vcc_lo, s7, v2, vcc_lo
	s_clause 0x1
	global_load_b32 v5, v[3:4], off
	global_load_b32 v6, v[1:2], off
	s_waitcnt vmcnt(0)
	v_cmpx_eq_f32_e32 v5, v6
	s_cbranch_execz .LBB910_62
; %bb.56:
	v_add_co_u32 v1, vcc_lo, v1, 4
	v_add_co_ci_u32_e32 v2, vcc_lo, 0, v2, vcc_lo
	v_add_co_u32 v3, vcc_lo, v3, 4
	v_add_co_ci_u32_e32 v4, vcc_lo, 0, v4, vcc_lo
	s_add_u32 s6, s4, -1
	s_addc_u32 s7, s5, -1
	s_mov_b64 s[16:17], 0
	s_mov_b32 s18, 0
                                        ; implicit-def: $sgpr19
	s_set_inst_prefetch_distance 0x1
	s_branch .LBB910_59
	.p2align	6
.LBB910_57:                             ;   in Loop: Header=BB910_59 Depth=1
	global_load_b32 v5, v[3:4], off
	global_load_b32 v6, v[1:2], off
	v_add_co_u32 v1, vcc_lo, v1, 4
	v_add_co_ci_u32_e32 v2, vcc_lo, 0, v2, vcc_lo
	v_add_co_u32 v3, s0, v3, 4
	s_delay_alu instid0(VALU_DEP_1)
	v_add_co_ci_u32_e64 v4, s0, 0, v4, s0
	s_add_u32 s16, s16, 1
	s_addc_u32 s17, s17, 0
	s_and_not1_b32 s0, s19, exec_lo
	s_waitcnt vmcnt(0)
	v_cmp_neq_f32_e32 vcc_lo, v5, v6
	s_and_b32 s19, vcc_lo, exec_lo
	s_delay_alu instid0(SALU_CYCLE_1)
	s_or_b32 s19, s0, s19
.LBB910_58:                             ;   in Loop: Header=BB910_59 Depth=1
	v_dual_mov_b32 v5, s16 :: v_dual_mov_b32 v6, s17
	s_and_b32 s0, exec_lo, s19
	s_delay_alu instid0(SALU_CYCLE_1) | instskip(NEXT) | instid1(SALU_CYCLE_1)
	s_or_b32 s18, s0, s18
	s_and_not1_b32 exec_lo, exec_lo, s18
	s_cbranch_execz .LBB910_61
.LBB910_59:                             ; =>This Inner Loop Header: Depth=1
	s_or_b32 s19, s19, exec_lo
	s_cmp_eq_u64 s[6:7], s[16:17]
	s_cbranch_scc0 .LBB910_57
; %bb.60:                               ;   in Loop: Header=BB910_59 Depth=1
	s_mov_b64 s[16:17], s[4:5]
                                        ; implicit-def: $vgpr1_vgpr2
                                        ; implicit-def: $vgpr3_vgpr4
	s_branch .LBB910_58
.LBB910_61:
	s_set_inst_prefetch_distance 0x2
	s_or_b32 exec_lo, exec_lo, s18
	v_cmp_gt_i64_e32 vcc_lo, s[4:5], v[5:6]
	s_or_not1_b32 s16, vcc_lo, exec_lo
.LBB910_62:
	s_or_b32 exec_lo, exec_lo, s15
.LBB910_63:
	s_delay_alu instid0(SALU_CYCLE_1)
	s_and_b32 s0, s16, exec_lo
	s_or_b32 s3, s3, exec_lo
                                        ; implicit-def: $vgpr1_vgpr2
.LBB910_64:
	s_or_b32 exec_lo, exec_lo, s11
.LBB910_65:
	s_and_saveexec_b32 s4, s3
; %bb.66:
	s_mov_b32 s3, 0
	v_cndmask_b32_e64 v1, 0, 1, s0
	v_mov_b32_e32 v2, s3
; %bb.67:
	s_or_b32 exec_lo, exec_lo, s4
	s_add_u32 s0, s8, s12
	s_addc_u32 s4, s9, s13
	s_and_b32 vcc_lo, exec_lo, s1
	s_mov_b32 s1, -1
	s_waitcnt lgkmcnt(0)
	s_barrier
	buffer_gl0_inv
	s_cbranch_vccnz .LBB910_70
; %bb.68:
	s_and_not1_b32 vcc_lo, exec_lo, s1
	s_cbranch_vccz .LBB910_73
.LBB910_69:
	s_nop 0
	s_sendmsg sendmsg(MSG_DEALLOC_VGPRS)
	s_endpgm
.LBB910_70:
	s_lshl_b32 s1, s14, 9
	ds_store_b64 v9, v[1:2]
	s_sub_i32 s1, s10, s1
	s_waitcnt lgkmcnt(0)
	v_cmp_gt_u32_e32 vcc_lo, s1, v0
	s_barrier
	buffer_gl0_inv
	s_and_saveexec_b32 s1, vcc_lo
	s_cbranch_execz .LBB910_72
; %bb.71:
	ds_load_b64 v[3:4], v9
	s_mov_b32 s3, 0
	s_delay_alu instid0(SALU_CYCLE_1) | instskip(NEXT) | instid1(SALU_CYCLE_1)
	s_lshl_b64 s[6:7], s[2:3], 3
	s_add_u32 s6, s0, s6
	s_addc_u32 s7, s4, s7
	s_waitcnt lgkmcnt(0)
	global_store_b64 v9, v[3:4], s[6:7]
.LBB910_72:
	s_or_b32 exec_lo, exec_lo, s1
	s_cbranch_execnz .LBB910_69
.LBB910_73:
	ds_store_b64 v9, v[1:2]
	s_waitcnt lgkmcnt(0)
	s_waitcnt_vscnt null, 0x0
	s_barrier
	buffer_gl0_inv
	ds_load_b64 v[0:1], v9
	s_mov_b32 s3, 0
	s_delay_alu instid0(SALU_CYCLE_1) | instskip(NEXT) | instid1(SALU_CYCLE_1)
	s_lshl_b64 s[2:3], s[2:3], 3
	s_add_u32 s0, s0, s2
	s_addc_u32 s1, s4, s3
	s_waitcnt lgkmcnt(0)
	global_store_b64 v9, v[0:1], s[0:1]
	s_nop 0
	s_sendmsg sendmsg(MSG_DEALLOC_VGPRS)
	s_endpgm
	.section	.rodata,"a",@progbits
	.p2align	6, 0x0
	.amdhsa_kernel _ZN7rocprim17ROCPRIM_400000_NS6detail17trampoline_kernelINS0_14default_configENS1_35adjacent_difference_config_selectorILb0ElEEZNS1_24adjacent_difference_implIS3_Lb0ELb0EPlS7_ZN2at6native12_GLOBAL__N_124unique_dim_cuda_templateIfEESt5tupleIJNS8_6TensorESD_SD_EERKSD_lbbbEUlllE1_EE10hipError_tPvRmT2_T3_mT4_P12ihipStream_tbEUlT_E_NS1_11comp_targetILNS1_3genE9ELNS1_11target_archE1100ELNS1_3gpuE3ELNS1_3repE0EEENS1_30default_config_static_selectorELNS0_4arch9wavefront6targetE0EEEvT1_
		.amdhsa_group_segment_fixed_size 8192
		.amdhsa_private_segment_fixed_size 0
		.amdhsa_kernarg_size 64
		.amdhsa_user_sgpr_count 15
		.amdhsa_user_sgpr_dispatch_ptr 0
		.amdhsa_user_sgpr_queue_ptr 0
		.amdhsa_user_sgpr_kernarg_segment_ptr 1
		.amdhsa_user_sgpr_dispatch_id 0
		.amdhsa_user_sgpr_private_segment_size 0
		.amdhsa_wavefront_size32 1
		.amdhsa_uses_dynamic_stack 0
		.amdhsa_enable_private_segment 0
		.amdhsa_system_sgpr_workgroup_id_x 1
		.amdhsa_system_sgpr_workgroup_id_y 0
		.amdhsa_system_sgpr_workgroup_id_z 0
		.amdhsa_system_sgpr_workgroup_info 0
		.amdhsa_system_vgpr_workitem_id 0
		.amdhsa_next_free_vgpr 13
		.amdhsa_next_free_sgpr 26
		.amdhsa_reserve_vcc 1
		.amdhsa_float_round_mode_32 0
		.amdhsa_float_round_mode_16_64 0
		.amdhsa_float_denorm_mode_32 3
		.amdhsa_float_denorm_mode_16_64 3
		.amdhsa_dx10_clamp 1
		.amdhsa_ieee_mode 1
		.amdhsa_fp16_overflow 0
		.amdhsa_workgroup_processor_mode 1
		.amdhsa_memory_ordered 1
		.amdhsa_forward_progress 0
		.amdhsa_shared_vgpr_count 0
		.amdhsa_exception_fp_ieee_invalid_op 0
		.amdhsa_exception_fp_denorm_src 0
		.amdhsa_exception_fp_ieee_div_zero 0
		.amdhsa_exception_fp_ieee_overflow 0
		.amdhsa_exception_fp_ieee_underflow 0
		.amdhsa_exception_fp_ieee_inexact 0
		.amdhsa_exception_int_div_zero 0
	.end_amdhsa_kernel
	.section	.text._ZN7rocprim17ROCPRIM_400000_NS6detail17trampoline_kernelINS0_14default_configENS1_35adjacent_difference_config_selectorILb0ElEEZNS1_24adjacent_difference_implIS3_Lb0ELb0EPlS7_ZN2at6native12_GLOBAL__N_124unique_dim_cuda_templateIfEESt5tupleIJNS8_6TensorESD_SD_EERKSD_lbbbEUlllE1_EE10hipError_tPvRmT2_T3_mT4_P12ihipStream_tbEUlT_E_NS1_11comp_targetILNS1_3genE9ELNS1_11target_archE1100ELNS1_3gpuE3ELNS1_3repE0EEENS1_30default_config_static_selectorELNS0_4arch9wavefront6targetE0EEEvT1_,"axG",@progbits,_ZN7rocprim17ROCPRIM_400000_NS6detail17trampoline_kernelINS0_14default_configENS1_35adjacent_difference_config_selectorILb0ElEEZNS1_24adjacent_difference_implIS3_Lb0ELb0EPlS7_ZN2at6native12_GLOBAL__N_124unique_dim_cuda_templateIfEESt5tupleIJNS8_6TensorESD_SD_EERKSD_lbbbEUlllE1_EE10hipError_tPvRmT2_T3_mT4_P12ihipStream_tbEUlT_E_NS1_11comp_targetILNS1_3genE9ELNS1_11target_archE1100ELNS1_3gpuE3ELNS1_3repE0EEENS1_30default_config_static_selectorELNS0_4arch9wavefront6targetE0EEEvT1_,comdat
.Lfunc_end910:
	.size	_ZN7rocprim17ROCPRIM_400000_NS6detail17trampoline_kernelINS0_14default_configENS1_35adjacent_difference_config_selectorILb0ElEEZNS1_24adjacent_difference_implIS3_Lb0ELb0EPlS7_ZN2at6native12_GLOBAL__N_124unique_dim_cuda_templateIfEESt5tupleIJNS8_6TensorESD_SD_EERKSD_lbbbEUlllE1_EE10hipError_tPvRmT2_T3_mT4_P12ihipStream_tbEUlT_E_NS1_11comp_targetILNS1_3genE9ELNS1_11target_archE1100ELNS1_3gpuE3ELNS1_3repE0EEENS1_30default_config_static_selectorELNS0_4arch9wavefront6targetE0EEEvT1_, .Lfunc_end910-_ZN7rocprim17ROCPRIM_400000_NS6detail17trampoline_kernelINS0_14default_configENS1_35adjacent_difference_config_selectorILb0ElEEZNS1_24adjacent_difference_implIS3_Lb0ELb0EPlS7_ZN2at6native12_GLOBAL__N_124unique_dim_cuda_templateIfEESt5tupleIJNS8_6TensorESD_SD_EERKSD_lbbbEUlllE1_EE10hipError_tPvRmT2_T3_mT4_P12ihipStream_tbEUlT_E_NS1_11comp_targetILNS1_3genE9ELNS1_11target_archE1100ELNS1_3gpuE3ELNS1_3repE0EEENS1_30default_config_static_selectorELNS0_4arch9wavefront6targetE0EEEvT1_
                                        ; -- End function
	.section	.AMDGPU.csdata,"",@progbits
; Kernel info:
; codeLenInByte = 2556
; NumSgprs: 28
; NumVgprs: 13
; ScratchSize: 0
; MemoryBound: 0
; FloatMode: 240
; IeeeMode: 1
; LDSByteSize: 8192 bytes/workgroup (compile time only)
; SGPRBlocks: 3
; VGPRBlocks: 1
; NumSGPRsForWavesPerEU: 28
; NumVGPRsForWavesPerEU: 13
; Occupancy: 16
; WaveLimiterHint : 0
; COMPUTE_PGM_RSRC2:SCRATCH_EN: 0
; COMPUTE_PGM_RSRC2:USER_SGPR: 15
; COMPUTE_PGM_RSRC2:TRAP_HANDLER: 0
; COMPUTE_PGM_RSRC2:TGID_X_EN: 1
; COMPUTE_PGM_RSRC2:TGID_Y_EN: 0
; COMPUTE_PGM_RSRC2:TGID_Z_EN: 0
; COMPUTE_PGM_RSRC2:TIDIG_COMP_CNT: 0
	.section	.text._ZN7rocprim17ROCPRIM_400000_NS6detail17trampoline_kernelINS0_14default_configENS1_35adjacent_difference_config_selectorILb0ElEEZNS1_24adjacent_difference_implIS3_Lb0ELb0EPlS7_ZN2at6native12_GLOBAL__N_124unique_dim_cuda_templateIfEESt5tupleIJNS8_6TensorESD_SD_EERKSD_lbbbEUlllE1_EE10hipError_tPvRmT2_T3_mT4_P12ihipStream_tbEUlT_E_NS1_11comp_targetILNS1_3genE8ELNS1_11target_archE1030ELNS1_3gpuE2ELNS1_3repE0EEENS1_30default_config_static_selectorELNS0_4arch9wavefront6targetE0EEEvT1_,"axG",@progbits,_ZN7rocprim17ROCPRIM_400000_NS6detail17trampoline_kernelINS0_14default_configENS1_35adjacent_difference_config_selectorILb0ElEEZNS1_24adjacent_difference_implIS3_Lb0ELb0EPlS7_ZN2at6native12_GLOBAL__N_124unique_dim_cuda_templateIfEESt5tupleIJNS8_6TensorESD_SD_EERKSD_lbbbEUlllE1_EE10hipError_tPvRmT2_T3_mT4_P12ihipStream_tbEUlT_E_NS1_11comp_targetILNS1_3genE8ELNS1_11target_archE1030ELNS1_3gpuE2ELNS1_3repE0EEENS1_30default_config_static_selectorELNS0_4arch9wavefront6targetE0EEEvT1_,comdat
	.globl	_ZN7rocprim17ROCPRIM_400000_NS6detail17trampoline_kernelINS0_14default_configENS1_35adjacent_difference_config_selectorILb0ElEEZNS1_24adjacent_difference_implIS3_Lb0ELb0EPlS7_ZN2at6native12_GLOBAL__N_124unique_dim_cuda_templateIfEESt5tupleIJNS8_6TensorESD_SD_EERKSD_lbbbEUlllE1_EE10hipError_tPvRmT2_T3_mT4_P12ihipStream_tbEUlT_E_NS1_11comp_targetILNS1_3genE8ELNS1_11target_archE1030ELNS1_3gpuE2ELNS1_3repE0EEENS1_30default_config_static_selectorELNS0_4arch9wavefront6targetE0EEEvT1_ ; -- Begin function _ZN7rocprim17ROCPRIM_400000_NS6detail17trampoline_kernelINS0_14default_configENS1_35adjacent_difference_config_selectorILb0ElEEZNS1_24adjacent_difference_implIS3_Lb0ELb0EPlS7_ZN2at6native12_GLOBAL__N_124unique_dim_cuda_templateIfEESt5tupleIJNS8_6TensorESD_SD_EERKSD_lbbbEUlllE1_EE10hipError_tPvRmT2_T3_mT4_P12ihipStream_tbEUlT_E_NS1_11comp_targetILNS1_3genE8ELNS1_11target_archE1030ELNS1_3gpuE2ELNS1_3repE0EEENS1_30default_config_static_selectorELNS0_4arch9wavefront6targetE0EEEvT1_
	.p2align	8
	.type	_ZN7rocprim17ROCPRIM_400000_NS6detail17trampoline_kernelINS0_14default_configENS1_35adjacent_difference_config_selectorILb0ElEEZNS1_24adjacent_difference_implIS3_Lb0ELb0EPlS7_ZN2at6native12_GLOBAL__N_124unique_dim_cuda_templateIfEESt5tupleIJNS8_6TensorESD_SD_EERKSD_lbbbEUlllE1_EE10hipError_tPvRmT2_T3_mT4_P12ihipStream_tbEUlT_E_NS1_11comp_targetILNS1_3genE8ELNS1_11target_archE1030ELNS1_3gpuE2ELNS1_3repE0EEENS1_30default_config_static_selectorELNS0_4arch9wavefront6targetE0EEEvT1_,@function
_ZN7rocprim17ROCPRIM_400000_NS6detail17trampoline_kernelINS0_14default_configENS1_35adjacent_difference_config_selectorILb0ElEEZNS1_24adjacent_difference_implIS3_Lb0ELb0EPlS7_ZN2at6native12_GLOBAL__N_124unique_dim_cuda_templateIfEESt5tupleIJNS8_6TensorESD_SD_EERKSD_lbbbEUlllE1_EE10hipError_tPvRmT2_T3_mT4_P12ihipStream_tbEUlT_E_NS1_11comp_targetILNS1_3genE8ELNS1_11target_archE1030ELNS1_3gpuE2ELNS1_3repE0EEENS1_30default_config_static_selectorELNS0_4arch9wavefront6targetE0EEEvT1_: ; @_ZN7rocprim17ROCPRIM_400000_NS6detail17trampoline_kernelINS0_14default_configENS1_35adjacent_difference_config_selectorILb0ElEEZNS1_24adjacent_difference_implIS3_Lb0ELb0EPlS7_ZN2at6native12_GLOBAL__N_124unique_dim_cuda_templateIfEESt5tupleIJNS8_6TensorESD_SD_EERKSD_lbbbEUlllE1_EE10hipError_tPvRmT2_T3_mT4_P12ihipStream_tbEUlT_E_NS1_11comp_targetILNS1_3genE8ELNS1_11target_archE1030ELNS1_3gpuE2ELNS1_3repE0EEENS1_30default_config_static_selectorELNS0_4arch9wavefront6targetE0EEEvT1_
; %bb.0:
	.section	.rodata,"a",@progbits
	.p2align	6, 0x0
	.amdhsa_kernel _ZN7rocprim17ROCPRIM_400000_NS6detail17trampoline_kernelINS0_14default_configENS1_35adjacent_difference_config_selectorILb0ElEEZNS1_24adjacent_difference_implIS3_Lb0ELb0EPlS7_ZN2at6native12_GLOBAL__N_124unique_dim_cuda_templateIfEESt5tupleIJNS8_6TensorESD_SD_EERKSD_lbbbEUlllE1_EE10hipError_tPvRmT2_T3_mT4_P12ihipStream_tbEUlT_E_NS1_11comp_targetILNS1_3genE8ELNS1_11target_archE1030ELNS1_3gpuE2ELNS1_3repE0EEENS1_30default_config_static_selectorELNS0_4arch9wavefront6targetE0EEEvT1_
		.amdhsa_group_segment_fixed_size 0
		.amdhsa_private_segment_fixed_size 0
		.amdhsa_kernarg_size 64
		.amdhsa_user_sgpr_count 15
		.amdhsa_user_sgpr_dispatch_ptr 0
		.amdhsa_user_sgpr_queue_ptr 0
		.amdhsa_user_sgpr_kernarg_segment_ptr 1
		.amdhsa_user_sgpr_dispatch_id 0
		.amdhsa_user_sgpr_private_segment_size 0
		.amdhsa_wavefront_size32 1
		.amdhsa_uses_dynamic_stack 0
		.amdhsa_enable_private_segment 0
		.amdhsa_system_sgpr_workgroup_id_x 1
		.amdhsa_system_sgpr_workgroup_id_y 0
		.amdhsa_system_sgpr_workgroup_id_z 0
		.amdhsa_system_sgpr_workgroup_info 0
		.amdhsa_system_vgpr_workitem_id 0
		.amdhsa_next_free_vgpr 1
		.amdhsa_next_free_sgpr 1
		.amdhsa_reserve_vcc 0
		.amdhsa_float_round_mode_32 0
		.amdhsa_float_round_mode_16_64 0
		.amdhsa_float_denorm_mode_32 3
		.amdhsa_float_denorm_mode_16_64 3
		.amdhsa_dx10_clamp 1
		.amdhsa_ieee_mode 1
		.amdhsa_fp16_overflow 0
		.amdhsa_workgroup_processor_mode 1
		.amdhsa_memory_ordered 1
		.amdhsa_forward_progress 0
		.amdhsa_shared_vgpr_count 0
		.amdhsa_exception_fp_ieee_invalid_op 0
		.amdhsa_exception_fp_denorm_src 0
		.amdhsa_exception_fp_ieee_div_zero 0
		.amdhsa_exception_fp_ieee_overflow 0
		.amdhsa_exception_fp_ieee_underflow 0
		.amdhsa_exception_fp_ieee_inexact 0
		.amdhsa_exception_int_div_zero 0
	.end_amdhsa_kernel
	.section	.text._ZN7rocprim17ROCPRIM_400000_NS6detail17trampoline_kernelINS0_14default_configENS1_35adjacent_difference_config_selectorILb0ElEEZNS1_24adjacent_difference_implIS3_Lb0ELb0EPlS7_ZN2at6native12_GLOBAL__N_124unique_dim_cuda_templateIfEESt5tupleIJNS8_6TensorESD_SD_EERKSD_lbbbEUlllE1_EE10hipError_tPvRmT2_T3_mT4_P12ihipStream_tbEUlT_E_NS1_11comp_targetILNS1_3genE8ELNS1_11target_archE1030ELNS1_3gpuE2ELNS1_3repE0EEENS1_30default_config_static_selectorELNS0_4arch9wavefront6targetE0EEEvT1_,"axG",@progbits,_ZN7rocprim17ROCPRIM_400000_NS6detail17trampoline_kernelINS0_14default_configENS1_35adjacent_difference_config_selectorILb0ElEEZNS1_24adjacent_difference_implIS3_Lb0ELb0EPlS7_ZN2at6native12_GLOBAL__N_124unique_dim_cuda_templateIfEESt5tupleIJNS8_6TensorESD_SD_EERKSD_lbbbEUlllE1_EE10hipError_tPvRmT2_T3_mT4_P12ihipStream_tbEUlT_E_NS1_11comp_targetILNS1_3genE8ELNS1_11target_archE1030ELNS1_3gpuE2ELNS1_3repE0EEENS1_30default_config_static_selectorELNS0_4arch9wavefront6targetE0EEEvT1_,comdat
.Lfunc_end911:
	.size	_ZN7rocprim17ROCPRIM_400000_NS6detail17trampoline_kernelINS0_14default_configENS1_35adjacent_difference_config_selectorILb0ElEEZNS1_24adjacent_difference_implIS3_Lb0ELb0EPlS7_ZN2at6native12_GLOBAL__N_124unique_dim_cuda_templateIfEESt5tupleIJNS8_6TensorESD_SD_EERKSD_lbbbEUlllE1_EE10hipError_tPvRmT2_T3_mT4_P12ihipStream_tbEUlT_E_NS1_11comp_targetILNS1_3genE8ELNS1_11target_archE1030ELNS1_3gpuE2ELNS1_3repE0EEENS1_30default_config_static_selectorELNS0_4arch9wavefront6targetE0EEEvT1_, .Lfunc_end911-_ZN7rocprim17ROCPRIM_400000_NS6detail17trampoline_kernelINS0_14default_configENS1_35adjacent_difference_config_selectorILb0ElEEZNS1_24adjacent_difference_implIS3_Lb0ELb0EPlS7_ZN2at6native12_GLOBAL__N_124unique_dim_cuda_templateIfEESt5tupleIJNS8_6TensorESD_SD_EERKSD_lbbbEUlllE1_EE10hipError_tPvRmT2_T3_mT4_P12ihipStream_tbEUlT_E_NS1_11comp_targetILNS1_3genE8ELNS1_11target_archE1030ELNS1_3gpuE2ELNS1_3repE0EEENS1_30default_config_static_selectorELNS0_4arch9wavefront6targetE0EEEvT1_
                                        ; -- End function
	.section	.AMDGPU.csdata,"",@progbits
; Kernel info:
; codeLenInByte = 0
; NumSgprs: 0
; NumVgprs: 0
; ScratchSize: 0
; MemoryBound: 0
; FloatMode: 240
; IeeeMode: 1
; LDSByteSize: 0 bytes/workgroup (compile time only)
; SGPRBlocks: 0
; VGPRBlocks: 0
; NumSGPRsForWavesPerEU: 1
; NumVGPRsForWavesPerEU: 1
; Occupancy: 16
; WaveLimiterHint : 0
; COMPUTE_PGM_RSRC2:SCRATCH_EN: 0
; COMPUTE_PGM_RSRC2:USER_SGPR: 15
; COMPUTE_PGM_RSRC2:TRAP_HANDLER: 0
; COMPUTE_PGM_RSRC2:TGID_X_EN: 1
; COMPUTE_PGM_RSRC2:TGID_Y_EN: 0
; COMPUTE_PGM_RSRC2:TGID_Z_EN: 0
; COMPUTE_PGM_RSRC2:TIDIG_COMP_CNT: 0
	.section	.text._ZN7rocprim17ROCPRIM_400000_NS6detail17trampoline_kernelINS0_14default_configENS1_25transform_config_selectorIlLb0EEEZNS1_14transform_implILb0ES3_S5_NS0_18transform_iteratorINS0_17counting_iteratorImlEEZNS1_24adjacent_difference_implIS3_Lb1ELb0EPlSB_ZN2at6native12_GLOBAL__N_124unique_dim_cuda_templateIfEESt5tupleIJNSC_6TensorESH_SH_EERKSH_lbbbEUlllE1_EE10hipError_tPvRmT2_T3_mT4_P12ihipStream_tbEUlmE_lEESB_NS0_8identityIvEEEESM_SP_SQ_mSR_ST_bEUlT_E_NS1_11comp_targetILNS1_3genE0ELNS1_11target_archE4294967295ELNS1_3gpuE0ELNS1_3repE0EEENS1_30default_config_static_selectorELNS0_4arch9wavefront6targetE0EEEvT1_,"axG",@progbits,_ZN7rocprim17ROCPRIM_400000_NS6detail17trampoline_kernelINS0_14default_configENS1_25transform_config_selectorIlLb0EEEZNS1_14transform_implILb0ES3_S5_NS0_18transform_iteratorINS0_17counting_iteratorImlEEZNS1_24adjacent_difference_implIS3_Lb1ELb0EPlSB_ZN2at6native12_GLOBAL__N_124unique_dim_cuda_templateIfEESt5tupleIJNSC_6TensorESH_SH_EERKSH_lbbbEUlllE1_EE10hipError_tPvRmT2_T3_mT4_P12ihipStream_tbEUlmE_lEESB_NS0_8identityIvEEEESM_SP_SQ_mSR_ST_bEUlT_E_NS1_11comp_targetILNS1_3genE0ELNS1_11target_archE4294967295ELNS1_3gpuE0ELNS1_3repE0EEENS1_30default_config_static_selectorELNS0_4arch9wavefront6targetE0EEEvT1_,comdat
	.globl	_ZN7rocprim17ROCPRIM_400000_NS6detail17trampoline_kernelINS0_14default_configENS1_25transform_config_selectorIlLb0EEEZNS1_14transform_implILb0ES3_S5_NS0_18transform_iteratorINS0_17counting_iteratorImlEEZNS1_24adjacent_difference_implIS3_Lb1ELb0EPlSB_ZN2at6native12_GLOBAL__N_124unique_dim_cuda_templateIfEESt5tupleIJNSC_6TensorESH_SH_EERKSH_lbbbEUlllE1_EE10hipError_tPvRmT2_T3_mT4_P12ihipStream_tbEUlmE_lEESB_NS0_8identityIvEEEESM_SP_SQ_mSR_ST_bEUlT_E_NS1_11comp_targetILNS1_3genE0ELNS1_11target_archE4294967295ELNS1_3gpuE0ELNS1_3repE0EEENS1_30default_config_static_selectorELNS0_4arch9wavefront6targetE0EEEvT1_ ; -- Begin function _ZN7rocprim17ROCPRIM_400000_NS6detail17trampoline_kernelINS0_14default_configENS1_25transform_config_selectorIlLb0EEEZNS1_14transform_implILb0ES3_S5_NS0_18transform_iteratorINS0_17counting_iteratorImlEEZNS1_24adjacent_difference_implIS3_Lb1ELb0EPlSB_ZN2at6native12_GLOBAL__N_124unique_dim_cuda_templateIfEESt5tupleIJNSC_6TensorESH_SH_EERKSH_lbbbEUlllE1_EE10hipError_tPvRmT2_T3_mT4_P12ihipStream_tbEUlmE_lEESB_NS0_8identityIvEEEESM_SP_SQ_mSR_ST_bEUlT_E_NS1_11comp_targetILNS1_3genE0ELNS1_11target_archE4294967295ELNS1_3gpuE0ELNS1_3repE0EEENS1_30default_config_static_selectorELNS0_4arch9wavefront6targetE0EEEvT1_
	.p2align	8
	.type	_ZN7rocprim17ROCPRIM_400000_NS6detail17trampoline_kernelINS0_14default_configENS1_25transform_config_selectorIlLb0EEEZNS1_14transform_implILb0ES3_S5_NS0_18transform_iteratorINS0_17counting_iteratorImlEEZNS1_24adjacent_difference_implIS3_Lb1ELb0EPlSB_ZN2at6native12_GLOBAL__N_124unique_dim_cuda_templateIfEESt5tupleIJNSC_6TensorESH_SH_EERKSH_lbbbEUlllE1_EE10hipError_tPvRmT2_T3_mT4_P12ihipStream_tbEUlmE_lEESB_NS0_8identityIvEEEESM_SP_SQ_mSR_ST_bEUlT_E_NS1_11comp_targetILNS1_3genE0ELNS1_11target_archE4294967295ELNS1_3gpuE0ELNS1_3repE0EEENS1_30default_config_static_selectorELNS0_4arch9wavefront6targetE0EEEvT1_,@function
_ZN7rocprim17ROCPRIM_400000_NS6detail17trampoline_kernelINS0_14default_configENS1_25transform_config_selectorIlLb0EEEZNS1_14transform_implILb0ES3_S5_NS0_18transform_iteratorINS0_17counting_iteratorImlEEZNS1_24adjacent_difference_implIS3_Lb1ELb0EPlSB_ZN2at6native12_GLOBAL__N_124unique_dim_cuda_templateIfEESt5tupleIJNSC_6TensorESH_SH_EERKSH_lbbbEUlllE1_EE10hipError_tPvRmT2_T3_mT4_P12ihipStream_tbEUlmE_lEESB_NS0_8identityIvEEEESM_SP_SQ_mSR_ST_bEUlT_E_NS1_11comp_targetILNS1_3genE0ELNS1_11target_archE4294967295ELNS1_3gpuE0ELNS1_3repE0EEENS1_30default_config_static_selectorELNS0_4arch9wavefront6targetE0EEEvT1_: ; @_ZN7rocprim17ROCPRIM_400000_NS6detail17trampoline_kernelINS0_14default_configENS1_25transform_config_selectorIlLb0EEEZNS1_14transform_implILb0ES3_S5_NS0_18transform_iteratorINS0_17counting_iteratorImlEEZNS1_24adjacent_difference_implIS3_Lb1ELb0EPlSB_ZN2at6native12_GLOBAL__N_124unique_dim_cuda_templateIfEESt5tupleIJNSC_6TensorESH_SH_EERKSH_lbbbEUlllE1_EE10hipError_tPvRmT2_T3_mT4_P12ihipStream_tbEUlmE_lEESB_NS0_8identityIvEEEESM_SP_SQ_mSR_ST_bEUlT_E_NS1_11comp_targetILNS1_3genE0ELNS1_11target_archE4294967295ELNS1_3gpuE0ELNS1_3repE0EEENS1_30default_config_static_selectorELNS0_4arch9wavefront6targetE0EEEvT1_
; %bb.0:
	.section	.rodata,"a",@progbits
	.p2align	6, 0x0
	.amdhsa_kernel _ZN7rocprim17ROCPRIM_400000_NS6detail17trampoline_kernelINS0_14default_configENS1_25transform_config_selectorIlLb0EEEZNS1_14transform_implILb0ES3_S5_NS0_18transform_iteratorINS0_17counting_iteratorImlEEZNS1_24adjacent_difference_implIS3_Lb1ELb0EPlSB_ZN2at6native12_GLOBAL__N_124unique_dim_cuda_templateIfEESt5tupleIJNSC_6TensorESH_SH_EERKSH_lbbbEUlllE1_EE10hipError_tPvRmT2_T3_mT4_P12ihipStream_tbEUlmE_lEESB_NS0_8identityIvEEEESM_SP_SQ_mSR_ST_bEUlT_E_NS1_11comp_targetILNS1_3genE0ELNS1_11target_archE4294967295ELNS1_3gpuE0ELNS1_3repE0EEENS1_30default_config_static_selectorELNS0_4arch9wavefront6targetE0EEEvT1_
		.amdhsa_group_segment_fixed_size 0
		.amdhsa_private_segment_fixed_size 0
		.amdhsa_kernarg_size 56
		.amdhsa_user_sgpr_count 15
		.amdhsa_user_sgpr_dispatch_ptr 0
		.amdhsa_user_sgpr_queue_ptr 0
		.amdhsa_user_sgpr_kernarg_segment_ptr 1
		.amdhsa_user_sgpr_dispatch_id 0
		.amdhsa_user_sgpr_private_segment_size 0
		.amdhsa_wavefront_size32 1
		.amdhsa_uses_dynamic_stack 0
		.amdhsa_enable_private_segment 0
		.amdhsa_system_sgpr_workgroup_id_x 1
		.amdhsa_system_sgpr_workgroup_id_y 0
		.amdhsa_system_sgpr_workgroup_id_z 0
		.amdhsa_system_sgpr_workgroup_info 0
		.amdhsa_system_vgpr_workitem_id 0
		.amdhsa_next_free_vgpr 1
		.amdhsa_next_free_sgpr 1
		.amdhsa_reserve_vcc 0
		.amdhsa_float_round_mode_32 0
		.amdhsa_float_round_mode_16_64 0
		.amdhsa_float_denorm_mode_32 3
		.amdhsa_float_denorm_mode_16_64 3
		.amdhsa_dx10_clamp 1
		.amdhsa_ieee_mode 1
		.amdhsa_fp16_overflow 0
		.amdhsa_workgroup_processor_mode 1
		.amdhsa_memory_ordered 1
		.amdhsa_forward_progress 0
		.amdhsa_shared_vgpr_count 0
		.amdhsa_exception_fp_ieee_invalid_op 0
		.amdhsa_exception_fp_denorm_src 0
		.amdhsa_exception_fp_ieee_div_zero 0
		.amdhsa_exception_fp_ieee_overflow 0
		.amdhsa_exception_fp_ieee_underflow 0
		.amdhsa_exception_fp_ieee_inexact 0
		.amdhsa_exception_int_div_zero 0
	.end_amdhsa_kernel
	.section	.text._ZN7rocprim17ROCPRIM_400000_NS6detail17trampoline_kernelINS0_14default_configENS1_25transform_config_selectorIlLb0EEEZNS1_14transform_implILb0ES3_S5_NS0_18transform_iteratorINS0_17counting_iteratorImlEEZNS1_24adjacent_difference_implIS3_Lb1ELb0EPlSB_ZN2at6native12_GLOBAL__N_124unique_dim_cuda_templateIfEESt5tupleIJNSC_6TensorESH_SH_EERKSH_lbbbEUlllE1_EE10hipError_tPvRmT2_T3_mT4_P12ihipStream_tbEUlmE_lEESB_NS0_8identityIvEEEESM_SP_SQ_mSR_ST_bEUlT_E_NS1_11comp_targetILNS1_3genE0ELNS1_11target_archE4294967295ELNS1_3gpuE0ELNS1_3repE0EEENS1_30default_config_static_selectorELNS0_4arch9wavefront6targetE0EEEvT1_,"axG",@progbits,_ZN7rocprim17ROCPRIM_400000_NS6detail17trampoline_kernelINS0_14default_configENS1_25transform_config_selectorIlLb0EEEZNS1_14transform_implILb0ES3_S5_NS0_18transform_iteratorINS0_17counting_iteratorImlEEZNS1_24adjacent_difference_implIS3_Lb1ELb0EPlSB_ZN2at6native12_GLOBAL__N_124unique_dim_cuda_templateIfEESt5tupleIJNSC_6TensorESH_SH_EERKSH_lbbbEUlllE1_EE10hipError_tPvRmT2_T3_mT4_P12ihipStream_tbEUlmE_lEESB_NS0_8identityIvEEEESM_SP_SQ_mSR_ST_bEUlT_E_NS1_11comp_targetILNS1_3genE0ELNS1_11target_archE4294967295ELNS1_3gpuE0ELNS1_3repE0EEENS1_30default_config_static_selectorELNS0_4arch9wavefront6targetE0EEEvT1_,comdat
.Lfunc_end912:
	.size	_ZN7rocprim17ROCPRIM_400000_NS6detail17trampoline_kernelINS0_14default_configENS1_25transform_config_selectorIlLb0EEEZNS1_14transform_implILb0ES3_S5_NS0_18transform_iteratorINS0_17counting_iteratorImlEEZNS1_24adjacent_difference_implIS3_Lb1ELb0EPlSB_ZN2at6native12_GLOBAL__N_124unique_dim_cuda_templateIfEESt5tupleIJNSC_6TensorESH_SH_EERKSH_lbbbEUlllE1_EE10hipError_tPvRmT2_T3_mT4_P12ihipStream_tbEUlmE_lEESB_NS0_8identityIvEEEESM_SP_SQ_mSR_ST_bEUlT_E_NS1_11comp_targetILNS1_3genE0ELNS1_11target_archE4294967295ELNS1_3gpuE0ELNS1_3repE0EEENS1_30default_config_static_selectorELNS0_4arch9wavefront6targetE0EEEvT1_, .Lfunc_end912-_ZN7rocprim17ROCPRIM_400000_NS6detail17trampoline_kernelINS0_14default_configENS1_25transform_config_selectorIlLb0EEEZNS1_14transform_implILb0ES3_S5_NS0_18transform_iteratorINS0_17counting_iteratorImlEEZNS1_24adjacent_difference_implIS3_Lb1ELb0EPlSB_ZN2at6native12_GLOBAL__N_124unique_dim_cuda_templateIfEESt5tupleIJNSC_6TensorESH_SH_EERKSH_lbbbEUlllE1_EE10hipError_tPvRmT2_T3_mT4_P12ihipStream_tbEUlmE_lEESB_NS0_8identityIvEEEESM_SP_SQ_mSR_ST_bEUlT_E_NS1_11comp_targetILNS1_3genE0ELNS1_11target_archE4294967295ELNS1_3gpuE0ELNS1_3repE0EEENS1_30default_config_static_selectorELNS0_4arch9wavefront6targetE0EEEvT1_
                                        ; -- End function
	.section	.AMDGPU.csdata,"",@progbits
; Kernel info:
; codeLenInByte = 0
; NumSgprs: 0
; NumVgprs: 0
; ScratchSize: 0
; MemoryBound: 0
; FloatMode: 240
; IeeeMode: 1
; LDSByteSize: 0 bytes/workgroup (compile time only)
; SGPRBlocks: 0
; VGPRBlocks: 0
; NumSGPRsForWavesPerEU: 1
; NumVGPRsForWavesPerEU: 1
; Occupancy: 16
; WaveLimiterHint : 0
; COMPUTE_PGM_RSRC2:SCRATCH_EN: 0
; COMPUTE_PGM_RSRC2:USER_SGPR: 15
; COMPUTE_PGM_RSRC2:TRAP_HANDLER: 0
; COMPUTE_PGM_RSRC2:TGID_X_EN: 1
; COMPUTE_PGM_RSRC2:TGID_Y_EN: 0
; COMPUTE_PGM_RSRC2:TGID_Z_EN: 0
; COMPUTE_PGM_RSRC2:TIDIG_COMP_CNT: 0
	.section	.text._ZN7rocprim17ROCPRIM_400000_NS6detail17trampoline_kernelINS0_14default_configENS1_25transform_config_selectorIlLb0EEEZNS1_14transform_implILb0ES3_S5_NS0_18transform_iteratorINS0_17counting_iteratorImlEEZNS1_24adjacent_difference_implIS3_Lb1ELb0EPlSB_ZN2at6native12_GLOBAL__N_124unique_dim_cuda_templateIfEESt5tupleIJNSC_6TensorESH_SH_EERKSH_lbbbEUlllE1_EE10hipError_tPvRmT2_T3_mT4_P12ihipStream_tbEUlmE_lEESB_NS0_8identityIvEEEESM_SP_SQ_mSR_ST_bEUlT_E_NS1_11comp_targetILNS1_3genE5ELNS1_11target_archE942ELNS1_3gpuE9ELNS1_3repE0EEENS1_30default_config_static_selectorELNS0_4arch9wavefront6targetE0EEEvT1_,"axG",@progbits,_ZN7rocprim17ROCPRIM_400000_NS6detail17trampoline_kernelINS0_14default_configENS1_25transform_config_selectorIlLb0EEEZNS1_14transform_implILb0ES3_S5_NS0_18transform_iteratorINS0_17counting_iteratorImlEEZNS1_24adjacent_difference_implIS3_Lb1ELb0EPlSB_ZN2at6native12_GLOBAL__N_124unique_dim_cuda_templateIfEESt5tupleIJNSC_6TensorESH_SH_EERKSH_lbbbEUlllE1_EE10hipError_tPvRmT2_T3_mT4_P12ihipStream_tbEUlmE_lEESB_NS0_8identityIvEEEESM_SP_SQ_mSR_ST_bEUlT_E_NS1_11comp_targetILNS1_3genE5ELNS1_11target_archE942ELNS1_3gpuE9ELNS1_3repE0EEENS1_30default_config_static_selectorELNS0_4arch9wavefront6targetE0EEEvT1_,comdat
	.globl	_ZN7rocprim17ROCPRIM_400000_NS6detail17trampoline_kernelINS0_14default_configENS1_25transform_config_selectorIlLb0EEEZNS1_14transform_implILb0ES3_S5_NS0_18transform_iteratorINS0_17counting_iteratorImlEEZNS1_24adjacent_difference_implIS3_Lb1ELb0EPlSB_ZN2at6native12_GLOBAL__N_124unique_dim_cuda_templateIfEESt5tupleIJNSC_6TensorESH_SH_EERKSH_lbbbEUlllE1_EE10hipError_tPvRmT2_T3_mT4_P12ihipStream_tbEUlmE_lEESB_NS0_8identityIvEEEESM_SP_SQ_mSR_ST_bEUlT_E_NS1_11comp_targetILNS1_3genE5ELNS1_11target_archE942ELNS1_3gpuE9ELNS1_3repE0EEENS1_30default_config_static_selectorELNS0_4arch9wavefront6targetE0EEEvT1_ ; -- Begin function _ZN7rocprim17ROCPRIM_400000_NS6detail17trampoline_kernelINS0_14default_configENS1_25transform_config_selectorIlLb0EEEZNS1_14transform_implILb0ES3_S5_NS0_18transform_iteratorINS0_17counting_iteratorImlEEZNS1_24adjacent_difference_implIS3_Lb1ELb0EPlSB_ZN2at6native12_GLOBAL__N_124unique_dim_cuda_templateIfEESt5tupleIJNSC_6TensorESH_SH_EERKSH_lbbbEUlllE1_EE10hipError_tPvRmT2_T3_mT4_P12ihipStream_tbEUlmE_lEESB_NS0_8identityIvEEEESM_SP_SQ_mSR_ST_bEUlT_E_NS1_11comp_targetILNS1_3genE5ELNS1_11target_archE942ELNS1_3gpuE9ELNS1_3repE0EEENS1_30default_config_static_selectorELNS0_4arch9wavefront6targetE0EEEvT1_
	.p2align	8
	.type	_ZN7rocprim17ROCPRIM_400000_NS6detail17trampoline_kernelINS0_14default_configENS1_25transform_config_selectorIlLb0EEEZNS1_14transform_implILb0ES3_S5_NS0_18transform_iteratorINS0_17counting_iteratorImlEEZNS1_24adjacent_difference_implIS3_Lb1ELb0EPlSB_ZN2at6native12_GLOBAL__N_124unique_dim_cuda_templateIfEESt5tupleIJNSC_6TensorESH_SH_EERKSH_lbbbEUlllE1_EE10hipError_tPvRmT2_T3_mT4_P12ihipStream_tbEUlmE_lEESB_NS0_8identityIvEEEESM_SP_SQ_mSR_ST_bEUlT_E_NS1_11comp_targetILNS1_3genE5ELNS1_11target_archE942ELNS1_3gpuE9ELNS1_3repE0EEENS1_30default_config_static_selectorELNS0_4arch9wavefront6targetE0EEEvT1_,@function
_ZN7rocprim17ROCPRIM_400000_NS6detail17trampoline_kernelINS0_14default_configENS1_25transform_config_selectorIlLb0EEEZNS1_14transform_implILb0ES3_S5_NS0_18transform_iteratorINS0_17counting_iteratorImlEEZNS1_24adjacent_difference_implIS3_Lb1ELb0EPlSB_ZN2at6native12_GLOBAL__N_124unique_dim_cuda_templateIfEESt5tupleIJNSC_6TensorESH_SH_EERKSH_lbbbEUlllE1_EE10hipError_tPvRmT2_T3_mT4_P12ihipStream_tbEUlmE_lEESB_NS0_8identityIvEEEESM_SP_SQ_mSR_ST_bEUlT_E_NS1_11comp_targetILNS1_3genE5ELNS1_11target_archE942ELNS1_3gpuE9ELNS1_3repE0EEENS1_30default_config_static_selectorELNS0_4arch9wavefront6targetE0EEEvT1_: ; @_ZN7rocprim17ROCPRIM_400000_NS6detail17trampoline_kernelINS0_14default_configENS1_25transform_config_selectorIlLb0EEEZNS1_14transform_implILb0ES3_S5_NS0_18transform_iteratorINS0_17counting_iteratorImlEEZNS1_24adjacent_difference_implIS3_Lb1ELb0EPlSB_ZN2at6native12_GLOBAL__N_124unique_dim_cuda_templateIfEESt5tupleIJNSC_6TensorESH_SH_EERKSH_lbbbEUlllE1_EE10hipError_tPvRmT2_T3_mT4_P12ihipStream_tbEUlmE_lEESB_NS0_8identityIvEEEESM_SP_SQ_mSR_ST_bEUlT_E_NS1_11comp_targetILNS1_3genE5ELNS1_11target_archE942ELNS1_3gpuE9ELNS1_3repE0EEENS1_30default_config_static_selectorELNS0_4arch9wavefront6targetE0EEEvT1_
; %bb.0:
	.section	.rodata,"a",@progbits
	.p2align	6, 0x0
	.amdhsa_kernel _ZN7rocprim17ROCPRIM_400000_NS6detail17trampoline_kernelINS0_14default_configENS1_25transform_config_selectorIlLb0EEEZNS1_14transform_implILb0ES3_S5_NS0_18transform_iteratorINS0_17counting_iteratorImlEEZNS1_24adjacent_difference_implIS3_Lb1ELb0EPlSB_ZN2at6native12_GLOBAL__N_124unique_dim_cuda_templateIfEESt5tupleIJNSC_6TensorESH_SH_EERKSH_lbbbEUlllE1_EE10hipError_tPvRmT2_T3_mT4_P12ihipStream_tbEUlmE_lEESB_NS0_8identityIvEEEESM_SP_SQ_mSR_ST_bEUlT_E_NS1_11comp_targetILNS1_3genE5ELNS1_11target_archE942ELNS1_3gpuE9ELNS1_3repE0EEENS1_30default_config_static_selectorELNS0_4arch9wavefront6targetE0EEEvT1_
		.amdhsa_group_segment_fixed_size 0
		.amdhsa_private_segment_fixed_size 0
		.amdhsa_kernarg_size 56
		.amdhsa_user_sgpr_count 15
		.amdhsa_user_sgpr_dispatch_ptr 0
		.amdhsa_user_sgpr_queue_ptr 0
		.amdhsa_user_sgpr_kernarg_segment_ptr 1
		.amdhsa_user_sgpr_dispatch_id 0
		.amdhsa_user_sgpr_private_segment_size 0
		.amdhsa_wavefront_size32 1
		.amdhsa_uses_dynamic_stack 0
		.amdhsa_enable_private_segment 0
		.amdhsa_system_sgpr_workgroup_id_x 1
		.amdhsa_system_sgpr_workgroup_id_y 0
		.amdhsa_system_sgpr_workgroup_id_z 0
		.amdhsa_system_sgpr_workgroup_info 0
		.amdhsa_system_vgpr_workitem_id 0
		.amdhsa_next_free_vgpr 1
		.amdhsa_next_free_sgpr 1
		.amdhsa_reserve_vcc 0
		.amdhsa_float_round_mode_32 0
		.amdhsa_float_round_mode_16_64 0
		.amdhsa_float_denorm_mode_32 3
		.amdhsa_float_denorm_mode_16_64 3
		.amdhsa_dx10_clamp 1
		.amdhsa_ieee_mode 1
		.amdhsa_fp16_overflow 0
		.amdhsa_workgroup_processor_mode 1
		.amdhsa_memory_ordered 1
		.amdhsa_forward_progress 0
		.amdhsa_shared_vgpr_count 0
		.amdhsa_exception_fp_ieee_invalid_op 0
		.amdhsa_exception_fp_denorm_src 0
		.amdhsa_exception_fp_ieee_div_zero 0
		.amdhsa_exception_fp_ieee_overflow 0
		.amdhsa_exception_fp_ieee_underflow 0
		.amdhsa_exception_fp_ieee_inexact 0
		.amdhsa_exception_int_div_zero 0
	.end_amdhsa_kernel
	.section	.text._ZN7rocprim17ROCPRIM_400000_NS6detail17trampoline_kernelINS0_14default_configENS1_25transform_config_selectorIlLb0EEEZNS1_14transform_implILb0ES3_S5_NS0_18transform_iteratorINS0_17counting_iteratorImlEEZNS1_24adjacent_difference_implIS3_Lb1ELb0EPlSB_ZN2at6native12_GLOBAL__N_124unique_dim_cuda_templateIfEESt5tupleIJNSC_6TensorESH_SH_EERKSH_lbbbEUlllE1_EE10hipError_tPvRmT2_T3_mT4_P12ihipStream_tbEUlmE_lEESB_NS0_8identityIvEEEESM_SP_SQ_mSR_ST_bEUlT_E_NS1_11comp_targetILNS1_3genE5ELNS1_11target_archE942ELNS1_3gpuE9ELNS1_3repE0EEENS1_30default_config_static_selectorELNS0_4arch9wavefront6targetE0EEEvT1_,"axG",@progbits,_ZN7rocprim17ROCPRIM_400000_NS6detail17trampoline_kernelINS0_14default_configENS1_25transform_config_selectorIlLb0EEEZNS1_14transform_implILb0ES3_S5_NS0_18transform_iteratorINS0_17counting_iteratorImlEEZNS1_24adjacent_difference_implIS3_Lb1ELb0EPlSB_ZN2at6native12_GLOBAL__N_124unique_dim_cuda_templateIfEESt5tupleIJNSC_6TensorESH_SH_EERKSH_lbbbEUlllE1_EE10hipError_tPvRmT2_T3_mT4_P12ihipStream_tbEUlmE_lEESB_NS0_8identityIvEEEESM_SP_SQ_mSR_ST_bEUlT_E_NS1_11comp_targetILNS1_3genE5ELNS1_11target_archE942ELNS1_3gpuE9ELNS1_3repE0EEENS1_30default_config_static_selectorELNS0_4arch9wavefront6targetE0EEEvT1_,comdat
.Lfunc_end913:
	.size	_ZN7rocprim17ROCPRIM_400000_NS6detail17trampoline_kernelINS0_14default_configENS1_25transform_config_selectorIlLb0EEEZNS1_14transform_implILb0ES3_S5_NS0_18transform_iteratorINS0_17counting_iteratorImlEEZNS1_24adjacent_difference_implIS3_Lb1ELb0EPlSB_ZN2at6native12_GLOBAL__N_124unique_dim_cuda_templateIfEESt5tupleIJNSC_6TensorESH_SH_EERKSH_lbbbEUlllE1_EE10hipError_tPvRmT2_T3_mT4_P12ihipStream_tbEUlmE_lEESB_NS0_8identityIvEEEESM_SP_SQ_mSR_ST_bEUlT_E_NS1_11comp_targetILNS1_3genE5ELNS1_11target_archE942ELNS1_3gpuE9ELNS1_3repE0EEENS1_30default_config_static_selectorELNS0_4arch9wavefront6targetE0EEEvT1_, .Lfunc_end913-_ZN7rocprim17ROCPRIM_400000_NS6detail17trampoline_kernelINS0_14default_configENS1_25transform_config_selectorIlLb0EEEZNS1_14transform_implILb0ES3_S5_NS0_18transform_iteratorINS0_17counting_iteratorImlEEZNS1_24adjacent_difference_implIS3_Lb1ELb0EPlSB_ZN2at6native12_GLOBAL__N_124unique_dim_cuda_templateIfEESt5tupleIJNSC_6TensorESH_SH_EERKSH_lbbbEUlllE1_EE10hipError_tPvRmT2_T3_mT4_P12ihipStream_tbEUlmE_lEESB_NS0_8identityIvEEEESM_SP_SQ_mSR_ST_bEUlT_E_NS1_11comp_targetILNS1_3genE5ELNS1_11target_archE942ELNS1_3gpuE9ELNS1_3repE0EEENS1_30default_config_static_selectorELNS0_4arch9wavefront6targetE0EEEvT1_
                                        ; -- End function
	.section	.AMDGPU.csdata,"",@progbits
; Kernel info:
; codeLenInByte = 0
; NumSgprs: 0
; NumVgprs: 0
; ScratchSize: 0
; MemoryBound: 0
; FloatMode: 240
; IeeeMode: 1
; LDSByteSize: 0 bytes/workgroup (compile time only)
; SGPRBlocks: 0
; VGPRBlocks: 0
; NumSGPRsForWavesPerEU: 1
; NumVGPRsForWavesPerEU: 1
; Occupancy: 16
; WaveLimiterHint : 0
; COMPUTE_PGM_RSRC2:SCRATCH_EN: 0
; COMPUTE_PGM_RSRC2:USER_SGPR: 15
; COMPUTE_PGM_RSRC2:TRAP_HANDLER: 0
; COMPUTE_PGM_RSRC2:TGID_X_EN: 1
; COMPUTE_PGM_RSRC2:TGID_Y_EN: 0
; COMPUTE_PGM_RSRC2:TGID_Z_EN: 0
; COMPUTE_PGM_RSRC2:TIDIG_COMP_CNT: 0
	.section	.text._ZN7rocprim17ROCPRIM_400000_NS6detail17trampoline_kernelINS0_14default_configENS1_25transform_config_selectorIlLb0EEEZNS1_14transform_implILb0ES3_S5_NS0_18transform_iteratorINS0_17counting_iteratorImlEEZNS1_24adjacent_difference_implIS3_Lb1ELb0EPlSB_ZN2at6native12_GLOBAL__N_124unique_dim_cuda_templateIfEESt5tupleIJNSC_6TensorESH_SH_EERKSH_lbbbEUlllE1_EE10hipError_tPvRmT2_T3_mT4_P12ihipStream_tbEUlmE_lEESB_NS0_8identityIvEEEESM_SP_SQ_mSR_ST_bEUlT_E_NS1_11comp_targetILNS1_3genE4ELNS1_11target_archE910ELNS1_3gpuE8ELNS1_3repE0EEENS1_30default_config_static_selectorELNS0_4arch9wavefront6targetE0EEEvT1_,"axG",@progbits,_ZN7rocprim17ROCPRIM_400000_NS6detail17trampoline_kernelINS0_14default_configENS1_25transform_config_selectorIlLb0EEEZNS1_14transform_implILb0ES3_S5_NS0_18transform_iteratorINS0_17counting_iteratorImlEEZNS1_24adjacent_difference_implIS3_Lb1ELb0EPlSB_ZN2at6native12_GLOBAL__N_124unique_dim_cuda_templateIfEESt5tupleIJNSC_6TensorESH_SH_EERKSH_lbbbEUlllE1_EE10hipError_tPvRmT2_T3_mT4_P12ihipStream_tbEUlmE_lEESB_NS0_8identityIvEEEESM_SP_SQ_mSR_ST_bEUlT_E_NS1_11comp_targetILNS1_3genE4ELNS1_11target_archE910ELNS1_3gpuE8ELNS1_3repE0EEENS1_30default_config_static_selectorELNS0_4arch9wavefront6targetE0EEEvT1_,comdat
	.globl	_ZN7rocprim17ROCPRIM_400000_NS6detail17trampoline_kernelINS0_14default_configENS1_25transform_config_selectorIlLb0EEEZNS1_14transform_implILb0ES3_S5_NS0_18transform_iteratorINS0_17counting_iteratorImlEEZNS1_24adjacent_difference_implIS3_Lb1ELb0EPlSB_ZN2at6native12_GLOBAL__N_124unique_dim_cuda_templateIfEESt5tupleIJNSC_6TensorESH_SH_EERKSH_lbbbEUlllE1_EE10hipError_tPvRmT2_T3_mT4_P12ihipStream_tbEUlmE_lEESB_NS0_8identityIvEEEESM_SP_SQ_mSR_ST_bEUlT_E_NS1_11comp_targetILNS1_3genE4ELNS1_11target_archE910ELNS1_3gpuE8ELNS1_3repE0EEENS1_30default_config_static_selectorELNS0_4arch9wavefront6targetE0EEEvT1_ ; -- Begin function _ZN7rocprim17ROCPRIM_400000_NS6detail17trampoline_kernelINS0_14default_configENS1_25transform_config_selectorIlLb0EEEZNS1_14transform_implILb0ES3_S5_NS0_18transform_iteratorINS0_17counting_iteratorImlEEZNS1_24adjacent_difference_implIS3_Lb1ELb0EPlSB_ZN2at6native12_GLOBAL__N_124unique_dim_cuda_templateIfEESt5tupleIJNSC_6TensorESH_SH_EERKSH_lbbbEUlllE1_EE10hipError_tPvRmT2_T3_mT4_P12ihipStream_tbEUlmE_lEESB_NS0_8identityIvEEEESM_SP_SQ_mSR_ST_bEUlT_E_NS1_11comp_targetILNS1_3genE4ELNS1_11target_archE910ELNS1_3gpuE8ELNS1_3repE0EEENS1_30default_config_static_selectorELNS0_4arch9wavefront6targetE0EEEvT1_
	.p2align	8
	.type	_ZN7rocprim17ROCPRIM_400000_NS6detail17trampoline_kernelINS0_14default_configENS1_25transform_config_selectorIlLb0EEEZNS1_14transform_implILb0ES3_S5_NS0_18transform_iteratorINS0_17counting_iteratorImlEEZNS1_24adjacent_difference_implIS3_Lb1ELb0EPlSB_ZN2at6native12_GLOBAL__N_124unique_dim_cuda_templateIfEESt5tupleIJNSC_6TensorESH_SH_EERKSH_lbbbEUlllE1_EE10hipError_tPvRmT2_T3_mT4_P12ihipStream_tbEUlmE_lEESB_NS0_8identityIvEEEESM_SP_SQ_mSR_ST_bEUlT_E_NS1_11comp_targetILNS1_3genE4ELNS1_11target_archE910ELNS1_3gpuE8ELNS1_3repE0EEENS1_30default_config_static_selectorELNS0_4arch9wavefront6targetE0EEEvT1_,@function
_ZN7rocprim17ROCPRIM_400000_NS6detail17trampoline_kernelINS0_14default_configENS1_25transform_config_selectorIlLb0EEEZNS1_14transform_implILb0ES3_S5_NS0_18transform_iteratorINS0_17counting_iteratorImlEEZNS1_24adjacent_difference_implIS3_Lb1ELb0EPlSB_ZN2at6native12_GLOBAL__N_124unique_dim_cuda_templateIfEESt5tupleIJNSC_6TensorESH_SH_EERKSH_lbbbEUlllE1_EE10hipError_tPvRmT2_T3_mT4_P12ihipStream_tbEUlmE_lEESB_NS0_8identityIvEEEESM_SP_SQ_mSR_ST_bEUlT_E_NS1_11comp_targetILNS1_3genE4ELNS1_11target_archE910ELNS1_3gpuE8ELNS1_3repE0EEENS1_30default_config_static_selectorELNS0_4arch9wavefront6targetE0EEEvT1_: ; @_ZN7rocprim17ROCPRIM_400000_NS6detail17trampoline_kernelINS0_14default_configENS1_25transform_config_selectorIlLb0EEEZNS1_14transform_implILb0ES3_S5_NS0_18transform_iteratorINS0_17counting_iteratorImlEEZNS1_24adjacent_difference_implIS3_Lb1ELb0EPlSB_ZN2at6native12_GLOBAL__N_124unique_dim_cuda_templateIfEESt5tupleIJNSC_6TensorESH_SH_EERKSH_lbbbEUlllE1_EE10hipError_tPvRmT2_T3_mT4_P12ihipStream_tbEUlmE_lEESB_NS0_8identityIvEEEESM_SP_SQ_mSR_ST_bEUlT_E_NS1_11comp_targetILNS1_3genE4ELNS1_11target_archE910ELNS1_3gpuE8ELNS1_3repE0EEENS1_30default_config_static_selectorELNS0_4arch9wavefront6targetE0EEEvT1_
; %bb.0:
	.section	.rodata,"a",@progbits
	.p2align	6, 0x0
	.amdhsa_kernel _ZN7rocprim17ROCPRIM_400000_NS6detail17trampoline_kernelINS0_14default_configENS1_25transform_config_selectorIlLb0EEEZNS1_14transform_implILb0ES3_S5_NS0_18transform_iteratorINS0_17counting_iteratorImlEEZNS1_24adjacent_difference_implIS3_Lb1ELb0EPlSB_ZN2at6native12_GLOBAL__N_124unique_dim_cuda_templateIfEESt5tupleIJNSC_6TensorESH_SH_EERKSH_lbbbEUlllE1_EE10hipError_tPvRmT2_T3_mT4_P12ihipStream_tbEUlmE_lEESB_NS0_8identityIvEEEESM_SP_SQ_mSR_ST_bEUlT_E_NS1_11comp_targetILNS1_3genE4ELNS1_11target_archE910ELNS1_3gpuE8ELNS1_3repE0EEENS1_30default_config_static_selectorELNS0_4arch9wavefront6targetE0EEEvT1_
		.amdhsa_group_segment_fixed_size 0
		.amdhsa_private_segment_fixed_size 0
		.amdhsa_kernarg_size 56
		.amdhsa_user_sgpr_count 15
		.amdhsa_user_sgpr_dispatch_ptr 0
		.amdhsa_user_sgpr_queue_ptr 0
		.amdhsa_user_sgpr_kernarg_segment_ptr 1
		.amdhsa_user_sgpr_dispatch_id 0
		.amdhsa_user_sgpr_private_segment_size 0
		.amdhsa_wavefront_size32 1
		.amdhsa_uses_dynamic_stack 0
		.amdhsa_enable_private_segment 0
		.amdhsa_system_sgpr_workgroup_id_x 1
		.amdhsa_system_sgpr_workgroup_id_y 0
		.amdhsa_system_sgpr_workgroup_id_z 0
		.amdhsa_system_sgpr_workgroup_info 0
		.amdhsa_system_vgpr_workitem_id 0
		.amdhsa_next_free_vgpr 1
		.amdhsa_next_free_sgpr 1
		.amdhsa_reserve_vcc 0
		.amdhsa_float_round_mode_32 0
		.amdhsa_float_round_mode_16_64 0
		.amdhsa_float_denorm_mode_32 3
		.amdhsa_float_denorm_mode_16_64 3
		.amdhsa_dx10_clamp 1
		.amdhsa_ieee_mode 1
		.amdhsa_fp16_overflow 0
		.amdhsa_workgroup_processor_mode 1
		.amdhsa_memory_ordered 1
		.amdhsa_forward_progress 0
		.amdhsa_shared_vgpr_count 0
		.amdhsa_exception_fp_ieee_invalid_op 0
		.amdhsa_exception_fp_denorm_src 0
		.amdhsa_exception_fp_ieee_div_zero 0
		.amdhsa_exception_fp_ieee_overflow 0
		.amdhsa_exception_fp_ieee_underflow 0
		.amdhsa_exception_fp_ieee_inexact 0
		.amdhsa_exception_int_div_zero 0
	.end_amdhsa_kernel
	.section	.text._ZN7rocprim17ROCPRIM_400000_NS6detail17trampoline_kernelINS0_14default_configENS1_25transform_config_selectorIlLb0EEEZNS1_14transform_implILb0ES3_S5_NS0_18transform_iteratorINS0_17counting_iteratorImlEEZNS1_24adjacent_difference_implIS3_Lb1ELb0EPlSB_ZN2at6native12_GLOBAL__N_124unique_dim_cuda_templateIfEESt5tupleIJNSC_6TensorESH_SH_EERKSH_lbbbEUlllE1_EE10hipError_tPvRmT2_T3_mT4_P12ihipStream_tbEUlmE_lEESB_NS0_8identityIvEEEESM_SP_SQ_mSR_ST_bEUlT_E_NS1_11comp_targetILNS1_3genE4ELNS1_11target_archE910ELNS1_3gpuE8ELNS1_3repE0EEENS1_30default_config_static_selectorELNS0_4arch9wavefront6targetE0EEEvT1_,"axG",@progbits,_ZN7rocprim17ROCPRIM_400000_NS6detail17trampoline_kernelINS0_14default_configENS1_25transform_config_selectorIlLb0EEEZNS1_14transform_implILb0ES3_S5_NS0_18transform_iteratorINS0_17counting_iteratorImlEEZNS1_24adjacent_difference_implIS3_Lb1ELb0EPlSB_ZN2at6native12_GLOBAL__N_124unique_dim_cuda_templateIfEESt5tupleIJNSC_6TensorESH_SH_EERKSH_lbbbEUlllE1_EE10hipError_tPvRmT2_T3_mT4_P12ihipStream_tbEUlmE_lEESB_NS0_8identityIvEEEESM_SP_SQ_mSR_ST_bEUlT_E_NS1_11comp_targetILNS1_3genE4ELNS1_11target_archE910ELNS1_3gpuE8ELNS1_3repE0EEENS1_30default_config_static_selectorELNS0_4arch9wavefront6targetE0EEEvT1_,comdat
.Lfunc_end914:
	.size	_ZN7rocprim17ROCPRIM_400000_NS6detail17trampoline_kernelINS0_14default_configENS1_25transform_config_selectorIlLb0EEEZNS1_14transform_implILb0ES3_S5_NS0_18transform_iteratorINS0_17counting_iteratorImlEEZNS1_24adjacent_difference_implIS3_Lb1ELb0EPlSB_ZN2at6native12_GLOBAL__N_124unique_dim_cuda_templateIfEESt5tupleIJNSC_6TensorESH_SH_EERKSH_lbbbEUlllE1_EE10hipError_tPvRmT2_T3_mT4_P12ihipStream_tbEUlmE_lEESB_NS0_8identityIvEEEESM_SP_SQ_mSR_ST_bEUlT_E_NS1_11comp_targetILNS1_3genE4ELNS1_11target_archE910ELNS1_3gpuE8ELNS1_3repE0EEENS1_30default_config_static_selectorELNS0_4arch9wavefront6targetE0EEEvT1_, .Lfunc_end914-_ZN7rocprim17ROCPRIM_400000_NS6detail17trampoline_kernelINS0_14default_configENS1_25transform_config_selectorIlLb0EEEZNS1_14transform_implILb0ES3_S5_NS0_18transform_iteratorINS0_17counting_iteratorImlEEZNS1_24adjacent_difference_implIS3_Lb1ELb0EPlSB_ZN2at6native12_GLOBAL__N_124unique_dim_cuda_templateIfEESt5tupleIJNSC_6TensorESH_SH_EERKSH_lbbbEUlllE1_EE10hipError_tPvRmT2_T3_mT4_P12ihipStream_tbEUlmE_lEESB_NS0_8identityIvEEEESM_SP_SQ_mSR_ST_bEUlT_E_NS1_11comp_targetILNS1_3genE4ELNS1_11target_archE910ELNS1_3gpuE8ELNS1_3repE0EEENS1_30default_config_static_selectorELNS0_4arch9wavefront6targetE0EEEvT1_
                                        ; -- End function
	.section	.AMDGPU.csdata,"",@progbits
; Kernel info:
; codeLenInByte = 0
; NumSgprs: 0
; NumVgprs: 0
; ScratchSize: 0
; MemoryBound: 0
; FloatMode: 240
; IeeeMode: 1
; LDSByteSize: 0 bytes/workgroup (compile time only)
; SGPRBlocks: 0
; VGPRBlocks: 0
; NumSGPRsForWavesPerEU: 1
; NumVGPRsForWavesPerEU: 1
; Occupancy: 16
; WaveLimiterHint : 0
; COMPUTE_PGM_RSRC2:SCRATCH_EN: 0
; COMPUTE_PGM_RSRC2:USER_SGPR: 15
; COMPUTE_PGM_RSRC2:TRAP_HANDLER: 0
; COMPUTE_PGM_RSRC2:TGID_X_EN: 1
; COMPUTE_PGM_RSRC2:TGID_Y_EN: 0
; COMPUTE_PGM_RSRC2:TGID_Z_EN: 0
; COMPUTE_PGM_RSRC2:TIDIG_COMP_CNT: 0
	.section	.text._ZN7rocprim17ROCPRIM_400000_NS6detail17trampoline_kernelINS0_14default_configENS1_25transform_config_selectorIlLb0EEEZNS1_14transform_implILb0ES3_S5_NS0_18transform_iteratorINS0_17counting_iteratorImlEEZNS1_24adjacent_difference_implIS3_Lb1ELb0EPlSB_ZN2at6native12_GLOBAL__N_124unique_dim_cuda_templateIfEESt5tupleIJNSC_6TensorESH_SH_EERKSH_lbbbEUlllE1_EE10hipError_tPvRmT2_T3_mT4_P12ihipStream_tbEUlmE_lEESB_NS0_8identityIvEEEESM_SP_SQ_mSR_ST_bEUlT_E_NS1_11comp_targetILNS1_3genE3ELNS1_11target_archE908ELNS1_3gpuE7ELNS1_3repE0EEENS1_30default_config_static_selectorELNS0_4arch9wavefront6targetE0EEEvT1_,"axG",@progbits,_ZN7rocprim17ROCPRIM_400000_NS6detail17trampoline_kernelINS0_14default_configENS1_25transform_config_selectorIlLb0EEEZNS1_14transform_implILb0ES3_S5_NS0_18transform_iteratorINS0_17counting_iteratorImlEEZNS1_24adjacent_difference_implIS3_Lb1ELb0EPlSB_ZN2at6native12_GLOBAL__N_124unique_dim_cuda_templateIfEESt5tupleIJNSC_6TensorESH_SH_EERKSH_lbbbEUlllE1_EE10hipError_tPvRmT2_T3_mT4_P12ihipStream_tbEUlmE_lEESB_NS0_8identityIvEEEESM_SP_SQ_mSR_ST_bEUlT_E_NS1_11comp_targetILNS1_3genE3ELNS1_11target_archE908ELNS1_3gpuE7ELNS1_3repE0EEENS1_30default_config_static_selectorELNS0_4arch9wavefront6targetE0EEEvT1_,comdat
	.globl	_ZN7rocprim17ROCPRIM_400000_NS6detail17trampoline_kernelINS0_14default_configENS1_25transform_config_selectorIlLb0EEEZNS1_14transform_implILb0ES3_S5_NS0_18transform_iteratorINS0_17counting_iteratorImlEEZNS1_24adjacent_difference_implIS3_Lb1ELb0EPlSB_ZN2at6native12_GLOBAL__N_124unique_dim_cuda_templateIfEESt5tupleIJNSC_6TensorESH_SH_EERKSH_lbbbEUlllE1_EE10hipError_tPvRmT2_T3_mT4_P12ihipStream_tbEUlmE_lEESB_NS0_8identityIvEEEESM_SP_SQ_mSR_ST_bEUlT_E_NS1_11comp_targetILNS1_3genE3ELNS1_11target_archE908ELNS1_3gpuE7ELNS1_3repE0EEENS1_30default_config_static_selectorELNS0_4arch9wavefront6targetE0EEEvT1_ ; -- Begin function _ZN7rocprim17ROCPRIM_400000_NS6detail17trampoline_kernelINS0_14default_configENS1_25transform_config_selectorIlLb0EEEZNS1_14transform_implILb0ES3_S5_NS0_18transform_iteratorINS0_17counting_iteratorImlEEZNS1_24adjacent_difference_implIS3_Lb1ELb0EPlSB_ZN2at6native12_GLOBAL__N_124unique_dim_cuda_templateIfEESt5tupleIJNSC_6TensorESH_SH_EERKSH_lbbbEUlllE1_EE10hipError_tPvRmT2_T3_mT4_P12ihipStream_tbEUlmE_lEESB_NS0_8identityIvEEEESM_SP_SQ_mSR_ST_bEUlT_E_NS1_11comp_targetILNS1_3genE3ELNS1_11target_archE908ELNS1_3gpuE7ELNS1_3repE0EEENS1_30default_config_static_selectorELNS0_4arch9wavefront6targetE0EEEvT1_
	.p2align	8
	.type	_ZN7rocprim17ROCPRIM_400000_NS6detail17trampoline_kernelINS0_14default_configENS1_25transform_config_selectorIlLb0EEEZNS1_14transform_implILb0ES3_S5_NS0_18transform_iteratorINS0_17counting_iteratorImlEEZNS1_24adjacent_difference_implIS3_Lb1ELb0EPlSB_ZN2at6native12_GLOBAL__N_124unique_dim_cuda_templateIfEESt5tupleIJNSC_6TensorESH_SH_EERKSH_lbbbEUlllE1_EE10hipError_tPvRmT2_T3_mT4_P12ihipStream_tbEUlmE_lEESB_NS0_8identityIvEEEESM_SP_SQ_mSR_ST_bEUlT_E_NS1_11comp_targetILNS1_3genE3ELNS1_11target_archE908ELNS1_3gpuE7ELNS1_3repE0EEENS1_30default_config_static_selectorELNS0_4arch9wavefront6targetE0EEEvT1_,@function
_ZN7rocprim17ROCPRIM_400000_NS6detail17trampoline_kernelINS0_14default_configENS1_25transform_config_selectorIlLb0EEEZNS1_14transform_implILb0ES3_S5_NS0_18transform_iteratorINS0_17counting_iteratorImlEEZNS1_24adjacent_difference_implIS3_Lb1ELb0EPlSB_ZN2at6native12_GLOBAL__N_124unique_dim_cuda_templateIfEESt5tupleIJNSC_6TensorESH_SH_EERKSH_lbbbEUlllE1_EE10hipError_tPvRmT2_T3_mT4_P12ihipStream_tbEUlmE_lEESB_NS0_8identityIvEEEESM_SP_SQ_mSR_ST_bEUlT_E_NS1_11comp_targetILNS1_3genE3ELNS1_11target_archE908ELNS1_3gpuE7ELNS1_3repE0EEENS1_30default_config_static_selectorELNS0_4arch9wavefront6targetE0EEEvT1_: ; @_ZN7rocprim17ROCPRIM_400000_NS6detail17trampoline_kernelINS0_14default_configENS1_25transform_config_selectorIlLb0EEEZNS1_14transform_implILb0ES3_S5_NS0_18transform_iteratorINS0_17counting_iteratorImlEEZNS1_24adjacent_difference_implIS3_Lb1ELb0EPlSB_ZN2at6native12_GLOBAL__N_124unique_dim_cuda_templateIfEESt5tupleIJNSC_6TensorESH_SH_EERKSH_lbbbEUlllE1_EE10hipError_tPvRmT2_T3_mT4_P12ihipStream_tbEUlmE_lEESB_NS0_8identityIvEEEESM_SP_SQ_mSR_ST_bEUlT_E_NS1_11comp_targetILNS1_3genE3ELNS1_11target_archE908ELNS1_3gpuE7ELNS1_3repE0EEENS1_30default_config_static_selectorELNS0_4arch9wavefront6targetE0EEEvT1_
; %bb.0:
	.section	.rodata,"a",@progbits
	.p2align	6, 0x0
	.amdhsa_kernel _ZN7rocprim17ROCPRIM_400000_NS6detail17trampoline_kernelINS0_14default_configENS1_25transform_config_selectorIlLb0EEEZNS1_14transform_implILb0ES3_S5_NS0_18transform_iteratorINS0_17counting_iteratorImlEEZNS1_24adjacent_difference_implIS3_Lb1ELb0EPlSB_ZN2at6native12_GLOBAL__N_124unique_dim_cuda_templateIfEESt5tupleIJNSC_6TensorESH_SH_EERKSH_lbbbEUlllE1_EE10hipError_tPvRmT2_T3_mT4_P12ihipStream_tbEUlmE_lEESB_NS0_8identityIvEEEESM_SP_SQ_mSR_ST_bEUlT_E_NS1_11comp_targetILNS1_3genE3ELNS1_11target_archE908ELNS1_3gpuE7ELNS1_3repE0EEENS1_30default_config_static_selectorELNS0_4arch9wavefront6targetE0EEEvT1_
		.amdhsa_group_segment_fixed_size 0
		.amdhsa_private_segment_fixed_size 0
		.amdhsa_kernarg_size 56
		.amdhsa_user_sgpr_count 15
		.amdhsa_user_sgpr_dispatch_ptr 0
		.amdhsa_user_sgpr_queue_ptr 0
		.amdhsa_user_sgpr_kernarg_segment_ptr 1
		.amdhsa_user_sgpr_dispatch_id 0
		.amdhsa_user_sgpr_private_segment_size 0
		.amdhsa_wavefront_size32 1
		.amdhsa_uses_dynamic_stack 0
		.amdhsa_enable_private_segment 0
		.amdhsa_system_sgpr_workgroup_id_x 1
		.amdhsa_system_sgpr_workgroup_id_y 0
		.amdhsa_system_sgpr_workgroup_id_z 0
		.amdhsa_system_sgpr_workgroup_info 0
		.amdhsa_system_vgpr_workitem_id 0
		.amdhsa_next_free_vgpr 1
		.amdhsa_next_free_sgpr 1
		.amdhsa_reserve_vcc 0
		.amdhsa_float_round_mode_32 0
		.amdhsa_float_round_mode_16_64 0
		.amdhsa_float_denorm_mode_32 3
		.amdhsa_float_denorm_mode_16_64 3
		.amdhsa_dx10_clamp 1
		.amdhsa_ieee_mode 1
		.amdhsa_fp16_overflow 0
		.amdhsa_workgroup_processor_mode 1
		.amdhsa_memory_ordered 1
		.amdhsa_forward_progress 0
		.amdhsa_shared_vgpr_count 0
		.amdhsa_exception_fp_ieee_invalid_op 0
		.amdhsa_exception_fp_denorm_src 0
		.amdhsa_exception_fp_ieee_div_zero 0
		.amdhsa_exception_fp_ieee_overflow 0
		.amdhsa_exception_fp_ieee_underflow 0
		.amdhsa_exception_fp_ieee_inexact 0
		.amdhsa_exception_int_div_zero 0
	.end_amdhsa_kernel
	.section	.text._ZN7rocprim17ROCPRIM_400000_NS6detail17trampoline_kernelINS0_14default_configENS1_25transform_config_selectorIlLb0EEEZNS1_14transform_implILb0ES3_S5_NS0_18transform_iteratorINS0_17counting_iteratorImlEEZNS1_24adjacent_difference_implIS3_Lb1ELb0EPlSB_ZN2at6native12_GLOBAL__N_124unique_dim_cuda_templateIfEESt5tupleIJNSC_6TensorESH_SH_EERKSH_lbbbEUlllE1_EE10hipError_tPvRmT2_T3_mT4_P12ihipStream_tbEUlmE_lEESB_NS0_8identityIvEEEESM_SP_SQ_mSR_ST_bEUlT_E_NS1_11comp_targetILNS1_3genE3ELNS1_11target_archE908ELNS1_3gpuE7ELNS1_3repE0EEENS1_30default_config_static_selectorELNS0_4arch9wavefront6targetE0EEEvT1_,"axG",@progbits,_ZN7rocprim17ROCPRIM_400000_NS6detail17trampoline_kernelINS0_14default_configENS1_25transform_config_selectorIlLb0EEEZNS1_14transform_implILb0ES3_S5_NS0_18transform_iteratorINS0_17counting_iteratorImlEEZNS1_24adjacent_difference_implIS3_Lb1ELb0EPlSB_ZN2at6native12_GLOBAL__N_124unique_dim_cuda_templateIfEESt5tupleIJNSC_6TensorESH_SH_EERKSH_lbbbEUlllE1_EE10hipError_tPvRmT2_T3_mT4_P12ihipStream_tbEUlmE_lEESB_NS0_8identityIvEEEESM_SP_SQ_mSR_ST_bEUlT_E_NS1_11comp_targetILNS1_3genE3ELNS1_11target_archE908ELNS1_3gpuE7ELNS1_3repE0EEENS1_30default_config_static_selectorELNS0_4arch9wavefront6targetE0EEEvT1_,comdat
.Lfunc_end915:
	.size	_ZN7rocprim17ROCPRIM_400000_NS6detail17trampoline_kernelINS0_14default_configENS1_25transform_config_selectorIlLb0EEEZNS1_14transform_implILb0ES3_S5_NS0_18transform_iteratorINS0_17counting_iteratorImlEEZNS1_24adjacent_difference_implIS3_Lb1ELb0EPlSB_ZN2at6native12_GLOBAL__N_124unique_dim_cuda_templateIfEESt5tupleIJNSC_6TensorESH_SH_EERKSH_lbbbEUlllE1_EE10hipError_tPvRmT2_T3_mT4_P12ihipStream_tbEUlmE_lEESB_NS0_8identityIvEEEESM_SP_SQ_mSR_ST_bEUlT_E_NS1_11comp_targetILNS1_3genE3ELNS1_11target_archE908ELNS1_3gpuE7ELNS1_3repE0EEENS1_30default_config_static_selectorELNS0_4arch9wavefront6targetE0EEEvT1_, .Lfunc_end915-_ZN7rocprim17ROCPRIM_400000_NS6detail17trampoline_kernelINS0_14default_configENS1_25transform_config_selectorIlLb0EEEZNS1_14transform_implILb0ES3_S5_NS0_18transform_iteratorINS0_17counting_iteratorImlEEZNS1_24adjacent_difference_implIS3_Lb1ELb0EPlSB_ZN2at6native12_GLOBAL__N_124unique_dim_cuda_templateIfEESt5tupleIJNSC_6TensorESH_SH_EERKSH_lbbbEUlllE1_EE10hipError_tPvRmT2_T3_mT4_P12ihipStream_tbEUlmE_lEESB_NS0_8identityIvEEEESM_SP_SQ_mSR_ST_bEUlT_E_NS1_11comp_targetILNS1_3genE3ELNS1_11target_archE908ELNS1_3gpuE7ELNS1_3repE0EEENS1_30default_config_static_selectorELNS0_4arch9wavefront6targetE0EEEvT1_
                                        ; -- End function
	.section	.AMDGPU.csdata,"",@progbits
; Kernel info:
; codeLenInByte = 0
; NumSgprs: 0
; NumVgprs: 0
; ScratchSize: 0
; MemoryBound: 0
; FloatMode: 240
; IeeeMode: 1
; LDSByteSize: 0 bytes/workgroup (compile time only)
; SGPRBlocks: 0
; VGPRBlocks: 0
; NumSGPRsForWavesPerEU: 1
; NumVGPRsForWavesPerEU: 1
; Occupancy: 16
; WaveLimiterHint : 0
; COMPUTE_PGM_RSRC2:SCRATCH_EN: 0
; COMPUTE_PGM_RSRC2:USER_SGPR: 15
; COMPUTE_PGM_RSRC2:TRAP_HANDLER: 0
; COMPUTE_PGM_RSRC2:TGID_X_EN: 1
; COMPUTE_PGM_RSRC2:TGID_Y_EN: 0
; COMPUTE_PGM_RSRC2:TGID_Z_EN: 0
; COMPUTE_PGM_RSRC2:TIDIG_COMP_CNT: 0
	.section	.text._ZN7rocprim17ROCPRIM_400000_NS6detail17trampoline_kernelINS0_14default_configENS1_25transform_config_selectorIlLb0EEEZNS1_14transform_implILb0ES3_S5_NS0_18transform_iteratorINS0_17counting_iteratorImlEEZNS1_24adjacent_difference_implIS3_Lb1ELb0EPlSB_ZN2at6native12_GLOBAL__N_124unique_dim_cuda_templateIfEESt5tupleIJNSC_6TensorESH_SH_EERKSH_lbbbEUlllE1_EE10hipError_tPvRmT2_T3_mT4_P12ihipStream_tbEUlmE_lEESB_NS0_8identityIvEEEESM_SP_SQ_mSR_ST_bEUlT_E_NS1_11comp_targetILNS1_3genE2ELNS1_11target_archE906ELNS1_3gpuE6ELNS1_3repE0EEENS1_30default_config_static_selectorELNS0_4arch9wavefront6targetE0EEEvT1_,"axG",@progbits,_ZN7rocprim17ROCPRIM_400000_NS6detail17trampoline_kernelINS0_14default_configENS1_25transform_config_selectorIlLb0EEEZNS1_14transform_implILb0ES3_S5_NS0_18transform_iteratorINS0_17counting_iteratorImlEEZNS1_24adjacent_difference_implIS3_Lb1ELb0EPlSB_ZN2at6native12_GLOBAL__N_124unique_dim_cuda_templateIfEESt5tupleIJNSC_6TensorESH_SH_EERKSH_lbbbEUlllE1_EE10hipError_tPvRmT2_T3_mT4_P12ihipStream_tbEUlmE_lEESB_NS0_8identityIvEEEESM_SP_SQ_mSR_ST_bEUlT_E_NS1_11comp_targetILNS1_3genE2ELNS1_11target_archE906ELNS1_3gpuE6ELNS1_3repE0EEENS1_30default_config_static_selectorELNS0_4arch9wavefront6targetE0EEEvT1_,comdat
	.globl	_ZN7rocprim17ROCPRIM_400000_NS6detail17trampoline_kernelINS0_14default_configENS1_25transform_config_selectorIlLb0EEEZNS1_14transform_implILb0ES3_S5_NS0_18transform_iteratorINS0_17counting_iteratorImlEEZNS1_24adjacent_difference_implIS3_Lb1ELb0EPlSB_ZN2at6native12_GLOBAL__N_124unique_dim_cuda_templateIfEESt5tupleIJNSC_6TensorESH_SH_EERKSH_lbbbEUlllE1_EE10hipError_tPvRmT2_T3_mT4_P12ihipStream_tbEUlmE_lEESB_NS0_8identityIvEEEESM_SP_SQ_mSR_ST_bEUlT_E_NS1_11comp_targetILNS1_3genE2ELNS1_11target_archE906ELNS1_3gpuE6ELNS1_3repE0EEENS1_30default_config_static_selectorELNS0_4arch9wavefront6targetE0EEEvT1_ ; -- Begin function _ZN7rocprim17ROCPRIM_400000_NS6detail17trampoline_kernelINS0_14default_configENS1_25transform_config_selectorIlLb0EEEZNS1_14transform_implILb0ES3_S5_NS0_18transform_iteratorINS0_17counting_iteratorImlEEZNS1_24adjacent_difference_implIS3_Lb1ELb0EPlSB_ZN2at6native12_GLOBAL__N_124unique_dim_cuda_templateIfEESt5tupleIJNSC_6TensorESH_SH_EERKSH_lbbbEUlllE1_EE10hipError_tPvRmT2_T3_mT4_P12ihipStream_tbEUlmE_lEESB_NS0_8identityIvEEEESM_SP_SQ_mSR_ST_bEUlT_E_NS1_11comp_targetILNS1_3genE2ELNS1_11target_archE906ELNS1_3gpuE6ELNS1_3repE0EEENS1_30default_config_static_selectorELNS0_4arch9wavefront6targetE0EEEvT1_
	.p2align	8
	.type	_ZN7rocprim17ROCPRIM_400000_NS6detail17trampoline_kernelINS0_14default_configENS1_25transform_config_selectorIlLb0EEEZNS1_14transform_implILb0ES3_S5_NS0_18transform_iteratorINS0_17counting_iteratorImlEEZNS1_24adjacent_difference_implIS3_Lb1ELb0EPlSB_ZN2at6native12_GLOBAL__N_124unique_dim_cuda_templateIfEESt5tupleIJNSC_6TensorESH_SH_EERKSH_lbbbEUlllE1_EE10hipError_tPvRmT2_T3_mT4_P12ihipStream_tbEUlmE_lEESB_NS0_8identityIvEEEESM_SP_SQ_mSR_ST_bEUlT_E_NS1_11comp_targetILNS1_3genE2ELNS1_11target_archE906ELNS1_3gpuE6ELNS1_3repE0EEENS1_30default_config_static_selectorELNS0_4arch9wavefront6targetE0EEEvT1_,@function
_ZN7rocprim17ROCPRIM_400000_NS6detail17trampoline_kernelINS0_14default_configENS1_25transform_config_selectorIlLb0EEEZNS1_14transform_implILb0ES3_S5_NS0_18transform_iteratorINS0_17counting_iteratorImlEEZNS1_24adjacent_difference_implIS3_Lb1ELb0EPlSB_ZN2at6native12_GLOBAL__N_124unique_dim_cuda_templateIfEESt5tupleIJNSC_6TensorESH_SH_EERKSH_lbbbEUlllE1_EE10hipError_tPvRmT2_T3_mT4_P12ihipStream_tbEUlmE_lEESB_NS0_8identityIvEEEESM_SP_SQ_mSR_ST_bEUlT_E_NS1_11comp_targetILNS1_3genE2ELNS1_11target_archE906ELNS1_3gpuE6ELNS1_3repE0EEENS1_30default_config_static_selectorELNS0_4arch9wavefront6targetE0EEEvT1_: ; @_ZN7rocprim17ROCPRIM_400000_NS6detail17trampoline_kernelINS0_14default_configENS1_25transform_config_selectorIlLb0EEEZNS1_14transform_implILb0ES3_S5_NS0_18transform_iteratorINS0_17counting_iteratorImlEEZNS1_24adjacent_difference_implIS3_Lb1ELb0EPlSB_ZN2at6native12_GLOBAL__N_124unique_dim_cuda_templateIfEESt5tupleIJNSC_6TensorESH_SH_EERKSH_lbbbEUlllE1_EE10hipError_tPvRmT2_T3_mT4_P12ihipStream_tbEUlmE_lEESB_NS0_8identityIvEEEESM_SP_SQ_mSR_ST_bEUlT_E_NS1_11comp_targetILNS1_3genE2ELNS1_11target_archE906ELNS1_3gpuE6ELNS1_3repE0EEENS1_30default_config_static_selectorELNS0_4arch9wavefront6targetE0EEEvT1_
; %bb.0:
	.section	.rodata,"a",@progbits
	.p2align	6, 0x0
	.amdhsa_kernel _ZN7rocprim17ROCPRIM_400000_NS6detail17trampoline_kernelINS0_14default_configENS1_25transform_config_selectorIlLb0EEEZNS1_14transform_implILb0ES3_S5_NS0_18transform_iteratorINS0_17counting_iteratorImlEEZNS1_24adjacent_difference_implIS3_Lb1ELb0EPlSB_ZN2at6native12_GLOBAL__N_124unique_dim_cuda_templateIfEESt5tupleIJNSC_6TensorESH_SH_EERKSH_lbbbEUlllE1_EE10hipError_tPvRmT2_T3_mT4_P12ihipStream_tbEUlmE_lEESB_NS0_8identityIvEEEESM_SP_SQ_mSR_ST_bEUlT_E_NS1_11comp_targetILNS1_3genE2ELNS1_11target_archE906ELNS1_3gpuE6ELNS1_3repE0EEENS1_30default_config_static_selectorELNS0_4arch9wavefront6targetE0EEEvT1_
		.amdhsa_group_segment_fixed_size 0
		.amdhsa_private_segment_fixed_size 0
		.amdhsa_kernarg_size 56
		.amdhsa_user_sgpr_count 15
		.amdhsa_user_sgpr_dispatch_ptr 0
		.amdhsa_user_sgpr_queue_ptr 0
		.amdhsa_user_sgpr_kernarg_segment_ptr 1
		.amdhsa_user_sgpr_dispatch_id 0
		.amdhsa_user_sgpr_private_segment_size 0
		.amdhsa_wavefront_size32 1
		.amdhsa_uses_dynamic_stack 0
		.amdhsa_enable_private_segment 0
		.amdhsa_system_sgpr_workgroup_id_x 1
		.amdhsa_system_sgpr_workgroup_id_y 0
		.amdhsa_system_sgpr_workgroup_id_z 0
		.amdhsa_system_sgpr_workgroup_info 0
		.amdhsa_system_vgpr_workitem_id 0
		.amdhsa_next_free_vgpr 1
		.amdhsa_next_free_sgpr 1
		.amdhsa_reserve_vcc 0
		.amdhsa_float_round_mode_32 0
		.amdhsa_float_round_mode_16_64 0
		.amdhsa_float_denorm_mode_32 3
		.amdhsa_float_denorm_mode_16_64 3
		.amdhsa_dx10_clamp 1
		.amdhsa_ieee_mode 1
		.amdhsa_fp16_overflow 0
		.amdhsa_workgroup_processor_mode 1
		.amdhsa_memory_ordered 1
		.amdhsa_forward_progress 0
		.amdhsa_shared_vgpr_count 0
		.amdhsa_exception_fp_ieee_invalid_op 0
		.amdhsa_exception_fp_denorm_src 0
		.amdhsa_exception_fp_ieee_div_zero 0
		.amdhsa_exception_fp_ieee_overflow 0
		.amdhsa_exception_fp_ieee_underflow 0
		.amdhsa_exception_fp_ieee_inexact 0
		.amdhsa_exception_int_div_zero 0
	.end_amdhsa_kernel
	.section	.text._ZN7rocprim17ROCPRIM_400000_NS6detail17trampoline_kernelINS0_14default_configENS1_25transform_config_selectorIlLb0EEEZNS1_14transform_implILb0ES3_S5_NS0_18transform_iteratorINS0_17counting_iteratorImlEEZNS1_24adjacent_difference_implIS3_Lb1ELb0EPlSB_ZN2at6native12_GLOBAL__N_124unique_dim_cuda_templateIfEESt5tupleIJNSC_6TensorESH_SH_EERKSH_lbbbEUlllE1_EE10hipError_tPvRmT2_T3_mT4_P12ihipStream_tbEUlmE_lEESB_NS0_8identityIvEEEESM_SP_SQ_mSR_ST_bEUlT_E_NS1_11comp_targetILNS1_3genE2ELNS1_11target_archE906ELNS1_3gpuE6ELNS1_3repE0EEENS1_30default_config_static_selectorELNS0_4arch9wavefront6targetE0EEEvT1_,"axG",@progbits,_ZN7rocprim17ROCPRIM_400000_NS6detail17trampoline_kernelINS0_14default_configENS1_25transform_config_selectorIlLb0EEEZNS1_14transform_implILb0ES3_S5_NS0_18transform_iteratorINS0_17counting_iteratorImlEEZNS1_24adjacent_difference_implIS3_Lb1ELb0EPlSB_ZN2at6native12_GLOBAL__N_124unique_dim_cuda_templateIfEESt5tupleIJNSC_6TensorESH_SH_EERKSH_lbbbEUlllE1_EE10hipError_tPvRmT2_T3_mT4_P12ihipStream_tbEUlmE_lEESB_NS0_8identityIvEEEESM_SP_SQ_mSR_ST_bEUlT_E_NS1_11comp_targetILNS1_3genE2ELNS1_11target_archE906ELNS1_3gpuE6ELNS1_3repE0EEENS1_30default_config_static_selectorELNS0_4arch9wavefront6targetE0EEEvT1_,comdat
.Lfunc_end916:
	.size	_ZN7rocprim17ROCPRIM_400000_NS6detail17trampoline_kernelINS0_14default_configENS1_25transform_config_selectorIlLb0EEEZNS1_14transform_implILb0ES3_S5_NS0_18transform_iteratorINS0_17counting_iteratorImlEEZNS1_24adjacent_difference_implIS3_Lb1ELb0EPlSB_ZN2at6native12_GLOBAL__N_124unique_dim_cuda_templateIfEESt5tupleIJNSC_6TensorESH_SH_EERKSH_lbbbEUlllE1_EE10hipError_tPvRmT2_T3_mT4_P12ihipStream_tbEUlmE_lEESB_NS0_8identityIvEEEESM_SP_SQ_mSR_ST_bEUlT_E_NS1_11comp_targetILNS1_3genE2ELNS1_11target_archE906ELNS1_3gpuE6ELNS1_3repE0EEENS1_30default_config_static_selectorELNS0_4arch9wavefront6targetE0EEEvT1_, .Lfunc_end916-_ZN7rocprim17ROCPRIM_400000_NS6detail17trampoline_kernelINS0_14default_configENS1_25transform_config_selectorIlLb0EEEZNS1_14transform_implILb0ES3_S5_NS0_18transform_iteratorINS0_17counting_iteratorImlEEZNS1_24adjacent_difference_implIS3_Lb1ELb0EPlSB_ZN2at6native12_GLOBAL__N_124unique_dim_cuda_templateIfEESt5tupleIJNSC_6TensorESH_SH_EERKSH_lbbbEUlllE1_EE10hipError_tPvRmT2_T3_mT4_P12ihipStream_tbEUlmE_lEESB_NS0_8identityIvEEEESM_SP_SQ_mSR_ST_bEUlT_E_NS1_11comp_targetILNS1_3genE2ELNS1_11target_archE906ELNS1_3gpuE6ELNS1_3repE0EEENS1_30default_config_static_selectorELNS0_4arch9wavefront6targetE0EEEvT1_
                                        ; -- End function
	.section	.AMDGPU.csdata,"",@progbits
; Kernel info:
; codeLenInByte = 0
; NumSgprs: 0
; NumVgprs: 0
; ScratchSize: 0
; MemoryBound: 0
; FloatMode: 240
; IeeeMode: 1
; LDSByteSize: 0 bytes/workgroup (compile time only)
; SGPRBlocks: 0
; VGPRBlocks: 0
; NumSGPRsForWavesPerEU: 1
; NumVGPRsForWavesPerEU: 1
; Occupancy: 16
; WaveLimiterHint : 0
; COMPUTE_PGM_RSRC2:SCRATCH_EN: 0
; COMPUTE_PGM_RSRC2:USER_SGPR: 15
; COMPUTE_PGM_RSRC2:TRAP_HANDLER: 0
; COMPUTE_PGM_RSRC2:TGID_X_EN: 1
; COMPUTE_PGM_RSRC2:TGID_Y_EN: 0
; COMPUTE_PGM_RSRC2:TGID_Z_EN: 0
; COMPUTE_PGM_RSRC2:TIDIG_COMP_CNT: 0
	.section	.text._ZN7rocprim17ROCPRIM_400000_NS6detail17trampoline_kernelINS0_14default_configENS1_25transform_config_selectorIlLb0EEEZNS1_14transform_implILb0ES3_S5_NS0_18transform_iteratorINS0_17counting_iteratorImlEEZNS1_24adjacent_difference_implIS3_Lb1ELb0EPlSB_ZN2at6native12_GLOBAL__N_124unique_dim_cuda_templateIfEESt5tupleIJNSC_6TensorESH_SH_EERKSH_lbbbEUlllE1_EE10hipError_tPvRmT2_T3_mT4_P12ihipStream_tbEUlmE_lEESB_NS0_8identityIvEEEESM_SP_SQ_mSR_ST_bEUlT_E_NS1_11comp_targetILNS1_3genE10ELNS1_11target_archE1201ELNS1_3gpuE5ELNS1_3repE0EEENS1_30default_config_static_selectorELNS0_4arch9wavefront6targetE0EEEvT1_,"axG",@progbits,_ZN7rocprim17ROCPRIM_400000_NS6detail17trampoline_kernelINS0_14default_configENS1_25transform_config_selectorIlLb0EEEZNS1_14transform_implILb0ES3_S5_NS0_18transform_iteratorINS0_17counting_iteratorImlEEZNS1_24adjacent_difference_implIS3_Lb1ELb0EPlSB_ZN2at6native12_GLOBAL__N_124unique_dim_cuda_templateIfEESt5tupleIJNSC_6TensorESH_SH_EERKSH_lbbbEUlllE1_EE10hipError_tPvRmT2_T3_mT4_P12ihipStream_tbEUlmE_lEESB_NS0_8identityIvEEEESM_SP_SQ_mSR_ST_bEUlT_E_NS1_11comp_targetILNS1_3genE10ELNS1_11target_archE1201ELNS1_3gpuE5ELNS1_3repE0EEENS1_30default_config_static_selectorELNS0_4arch9wavefront6targetE0EEEvT1_,comdat
	.globl	_ZN7rocprim17ROCPRIM_400000_NS6detail17trampoline_kernelINS0_14default_configENS1_25transform_config_selectorIlLb0EEEZNS1_14transform_implILb0ES3_S5_NS0_18transform_iteratorINS0_17counting_iteratorImlEEZNS1_24adjacent_difference_implIS3_Lb1ELb0EPlSB_ZN2at6native12_GLOBAL__N_124unique_dim_cuda_templateIfEESt5tupleIJNSC_6TensorESH_SH_EERKSH_lbbbEUlllE1_EE10hipError_tPvRmT2_T3_mT4_P12ihipStream_tbEUlmE_lEESB_NS0_8identityIvEEEESM_SP_SQ_mSR_ST_bEUlT_E_NS1_11comp_targetILNS1_3genE10ELNS1_11target_archE1201ELNS1_3gpuE5ELNS1_3repE0EEENS1_30default_config_static_selectorELNS0_4arch9wavefront6targetE0EEEvT1_ ; -- Begin function _ZN7rocprim17ROCPRIM_400000_NS6detail17trampoline_kernelINS0_14default_configENS1_25transform_config_selectorIlLb0EEEZNS1_14transform_implILb0ES3_S5_NS0_18transform_iteratorINS0_17counting_iteratorImlEEZNS1_24adjacent_difference_implIS3_Lb1ELb0EPlSB_ZN2at6native12_GLOBAL__N_124unique_dim_cuda_templateIfEESt5tupleIJNSC_6TensorESH_SH_EERKSH_lbbbEUlllE1_EE10hipError_tPvRmT2_T3_mT4_P12ihipStream_tbEUlmE_lEESB_NS0_8identityIvEEEESM_SP_SQ_mSR_ST_bEUlT_E_NS1_11comp_targetILNS1_3genE10ELNS1_11target_archE1201ELNS1_3gpuE5ELNS1_3repE0EEENS1_30default_config_static_selectorELNS0_4arch9wavefront6targetE0EEEvT1_
	.p2align	8
	.type	_ZN7rocprim17ROCPRIM_400000_NS6detail17trampoline_kernelINS0_14default_configENS1_25transform_config_selectorIlLb0EEEZNS1_14transform_implILb0ES3_S5_NS0_18transform_iteratorINS0_17counting_iteratorImlEEZNS1_24adjacent_difference_implIS3_Lb1ELb0EPlSB_ZN2at6native12_GLOBAL__N_124unique_dim_cuda_templateIfEESt5tupleIJNSC_6TensorESH_SH_EERKSH_lbbbEUlllE1_EE10hipError_tPvRmT2_T3_mT4_P12ihipStream_tbEUlmE_lEESB_NS0_8identityIvEEEESM_SP_SQ_mSR_ST_bEUlT_E_NS1_11comp_targetILNS1_3genE10ELNS1_11target_archE1201ELNS1_3gpuE5ELNS1_3repE0EEENS1_30default_config_static_selectorELNS0_4arch9wavefront6targetE0EEEvT1_,@function
_ZN7rocprim17ROCPRIM_400000_NS6detail17trampoline_kernelINS0_14default_configENS1_25transform_config_selectorIlLb0EEEZNS1_14transform_implILb0ES3_S5_NS0_18transform_iteratorINS0_17counting_iteratorImlEEZNS1_24adjacent_difference_implIS3_Lb1ELb0EPlSB_ZN2at6native12_GLOBAL__N_124unique_dim_cuda_templateIfEESt5tupleIJNSC_6TensorESH_SH_EERKSH_lbbbEUlllE1_EE10hipError_tPvRmT2_T3_mT4_P12ihipStream_tbEUlmE_lEESB_NS0_8identityIvEEEESM_SP_SQ_mSR_ST_bEUlT_E_NS1_11comp_targetILNS1_3genE10ELNS1_11target_archE1201ELNS1_3gpuE5ELNS1_3repE0EEENS1_30default_config_static_selectorELNS0_4arch9wavefront6targetE0EEEvT1_: ; @_ZN7rocprim17ROCPRIM_400000_NS6detail17trampoline_kernelINS0_14default_configENS1_25transform_config_selectorIlLb0EEEZNS1_14transform_implILb0ES3_S5_NS0_18transform_iteratorINS0_17counting_iteratorImlEEZNS1_24adjacent_difference_implIS3_Lb1ELb0EPlSB_ZN2at6native12_GLOBAL__N_124unique_dim_cuda_templateIfEESt5tupleIJNSC_6TensorESH_SH_EERKSH_lbbbEUlllE1_EE10hipError_tPvRmT2_T3_mT4_P12ihipStream_tbEUlmE_lEESB_NS0_8identityIvEEEESM_SP_SQ_mSR_ST_bEUlT_E_NS1_11comp_targetILNS1_3genE10ELNS1_11target_archE1201ELNS1_3gpuE5ELNS1_3repE0EEENS1_30default_config_static_selectorELNS0_4arch9wavefront6targetE0EEEvT1_
; %bb.0:
	.section	.rodata,"a",@progbits
	.p2align	6, 0x0
	.amdhsa_kernel _ZN7rocprim17ROCPRIM_400000_NS6detail17trampoline_kernelINS0_14default_configENS1_25transform_config_selectorIlLb0EEEZNS1_14transform_implILb0ES3_S5_NS0_18transform_iteratorINS0_17counting_iteratorImlEEZNS1_24adjacent_difference_implIS3_Lb1ELb0EPlSB_ZN2at6native12_GLOBAL__N_124unique_dim_cuda_templateIfEESt5tupleIJNSC_6TensorESH_SH_EERKSH_lbbbEUlllE1_EE10hipError_tPvRmT2_T3_mT4_P12ihipStream_tbEUlmE_lEESB_NS0_8identityIvEEEESM_SP_SQ_mSR_ST_bEUlT_E_NS1_11comp_targetILNS1_3genE10ELNS1_11target_archE1201ELNS1_3gpuE5ELNS1_3repE0EEENS1_30default_config_static_selectorELNS0_4arch9wavefront6targetE0EEEvT1_
		.amdhsa_group_segment_fixed_size 0
		.amdhsa_private_segment_fixed_size 0
		.amdhsa_kernarg_size 56
		.amdhsa_user_sgpr_count 15
		.amdhsa_user_sgpr_dispatch_ptr 0
		.amdhsa_user_sgpr_queue_ptr 0
		.amdhsa_user_sgpr_kernarg_segment_ptr 1
		.amdhsa_user_sgpr_dispatch_id 0
		.amdhsa_user_sgpr_private_segment_size 0
		.amdhsa_wavefront_size32 1
		.amdhsa_uses_dynamic_stack 0
		.amdhsa_enable_private_segment 0
		.amdhsa_system_sgpr_workgroup_id_x 1
		.amdhsa_system_sgpr_workgroup_id_y 0
		.amdhsa_system_sgpr_workgroup_id_z 0
		.amdhsa_system_sgpr_workgroup_info 0
		.amdhsa_system_vgpr_workitem_id 0
		.amdhsa_next_free_vgpr 1
		.amdhsa_next_free_sgpr 1
		.amdhsa_reserve_vcc 0
		.amdhsa_float_round_mode_32 0
		.amdhsa_float_round_mode_16_64 0
		.amdhsa_float_denorm_mode_32 3
		.amdhsa_float_denorm_mode_16_64 3
		.amdhsa_dx10_clamp 1
		.amdhsa_ieee_mode 1
		.amdhsa_fp16_overflow 0
		.amdhsa_workgroup_processor_mode 1
		.amdhsa_memory_ordered 1
		.amdhsa_forward_progress 0
		.amdhsa_shared_vgpr_count 0
		.amdhsa_exception_fp_ieee_invalid_op 0
		.amdhsa_exception_fp_denorm_src 0
		.amdhsa_exception_fp_ieee_div_zero 0
		.amdhsa_exception_fp_ieee_overflow 0
		.amdhsa_exception_fp_ieee_underflow 0
		.amdhsa_exception_fp_ieee_inexact 0
		.amdhsa_exception_int_div_zero 0
	.end_amdhsa_kernel
	.section	.text._ZN7rocprim17ROCPRIM_400000_NS6detail17trampoline_kernelINS0_14default_configENS1_25transform_config_selectorIlLb0EEEZNS1_14transform_implILb0ES3_S5_NS0_18transform_iteratorINS0_17counting_iteratorImlEEZNS1_24adjacent_difference_implIS3_Lb1ELb0EPlSB_ZN2at6native12_GLOBAL__N_124unique_dim_cuda_templateIfEESt5tupleIJNSC_6TensorESH_SH_EERKSH_lbbbEUlllE1_EE10hipError_tPvRmT2_T3_mT4_P12ihipStream_tbEUlmE_lEESB_NS0_8identityIvEEEESM_SP_SQ_mSR_ST_bEUlT_E_NS1_11comp_targetILNS1_3genE10ELNS1_11target_archE1201ELNS1_3gpuE5ELNS1_3repE0EEENS1_30default_config_static_selectorELNS0_4arch9wavefront6targetE0EEEvT1_,"axG",@progbits,_ZN7rocprim17ROCPRIM_400000_NS6detail17trampoline_kernelINS0_14default_configENS1_25transform_config_selectorIlLb0EEEZNS1_14transform_implILb0ES3_S5_NS0_18transform_iteratorINS0_17counting_iteratorImlEEZNS1_24adjacent_difference_implIS3_Lb1ELb0EPlSB_ZN2at6native12_GLOBAL__N_124unique_dim_cuda_templateIfEESt5tupleIJNSC_6TensorESH_SH_EERKSH_lbbbEUlllE1_EE10hipError_tPvRmT2_T3_mT4_P12ihipStream_tbEUlmE_lEESB_NS0_8identityIvEEEESM_SP_SQ_mSR_ST_bEUlT_E_NS1_11comp_targetILNS1_3genE10ELNS1_11target_archE1201ELNS1_3gpuE5ELNS1_3repE0EEENS1_30default_config_static_selectorELNS0_4arch9wavefront6targetE0EEEvT1_,comdat
.Lfunc_end917:
	.size	_ZN7rocprim17ROCPRIM_400000_NS6detail17trampoline_kernelINS0_14default_configENS1_25transform_config_selectorIlLb0EEEZNS1_14transform_implILb0ES3_S5_NS0_18transform_iteratorINS0_17counting_iteratorImlEEZNS1_24adjacent_difference_implIS3_Lb1ELb0EPlSB_ZN2at6native12_GLOBAL__N_124unique_dim_cuda_templateIfEESt5tupleIJNSC_6TensorESH_SH_EERKSH_lbbbEUlllE1_EE10hipError_tPvRmT2_T3_mT4_P12ihipStream_tbEUlmE_lEESB_NS0_8identityIvEEEESM_SP_SQ_mSR_ST_bEUlT_E_NS1_11comp_targetILNS1_3genE10ELNS1_11target_archE1201ELNS1_3gpuE5ELNS1_3repE0EEENS1_30default_config_static_selectorELNS0_4arch9wavefront6targetE0EEEvT1_, .Lfunc_end917-_ZN7rocprim17ROCPRIM_400000_NS6detail17trampoline_kernelINS0_14default_configENS1_25transform_config_selectorIlLb0EEEZNS1_14transform_implILb0ES3_S5_NS0_18transform_iteratorINS0_17counting_iteratorImlEEZNS1_24adjacent_difference_implIS3_Lb1ELb0EPlSB_ZN2at6native12_GLOBAL__N_124unique_dim_cuda_templateIfEESt5tupleIJNSC_6TensorESH_SH_EERKSH_lbbbEUlllE1_EE10hipError_tPvRmT2_T3_mT4_P12ihipStream_tbEUlmE_lEESB_NS0_8identityIvEEEESM_SP_SQ_mSR_ST_bEUlT_E_NS1_11comp_targetILNS1_3genE10ELNS1_11target_archE1201ELNS1_3gpuE5ELNS1_3repE0EEENS1_30default_config_static_selectorELNS0_4arch9wavefront6targetE0EEEvT1_
                                        ; -- End function
	.section	.AMDGPU.csdata,"",@progbits
; Kernel info:
; codeLenInByte = 0
; NumSgprs: 0
; NumVgprs: 0
; ScratchSize: 0
; MemoryBound: 0
; FloatMode: 240
; IeeeMode: 1
; LDSByteSize: 0 bytes/workgroup (compile time only)
; SGPRBlocks: 0
; VGPRBlocks: 0
; NumSGPRsForWavesPerEU: 1
; NumVGPRsForWavesPerEU: 1
; Occupancy: 16
; WaveLimiterHint : 0
; COMPUTE_PGM_RSRC2:SCRATCH_EN: 0
; COMPUTE_PGM_RSRC2:USER_SGPR: 15
; COMPUTE_PGM_RSRC2:TRAP_HANDLER: 0
; COMPUTE_PGM_RSRC2:TGID_X_EN: 1
; COMPUTE_PGM_RSRC2:TGID_Y_EN: 0
; COMPUTE_PGM_RSRC2:TGID_Z_EN: 0
; COMPUTE_PGM_RSRC2:TIDIG_COMP_CNT: 0
	.section	.text._ZN7rocprim17ROCPRIM_400000_NS6detail17trampoline_kernelINS0_14default_configENS1_25transform_config_selectorIlLb0EEEZNS1_14transform_implILb0ES3_S5_NS0_18transform_iteratorINS0_17counting_iteratorImlEEZNS1_24adjacent_difference_implIS3_Lb1ELb0EPlSB_ZN2at6native12_GLOBAL__N_124unique_dim_cuda_templateIfEESt5tupleIJNSC_6TensorESH_SH_EERKSH_lbbbEUlllE1_EE10hipError_tPvRmT2_T3_mT4_P12ihipStream_tbEUlmE_lEESB_NS0_8identityIvEEEESM_SP_SQ_mSR_ST_bEUlT_E_NS1_11comp_targetILNS1_3genE10ELNS1_11target_archE1200ELNS1_3gpuE4ELNS1_3repE0EEENS1_30default_config_static_selectorELNS0_4arch9wavefront6targetE0EEEvT1_,"axG",@progbits,_ZN7rocprim17ROCPRIM_400000_NS6detail17trampoline_kernelINS0_14default_configENS1_25transform_config_selectorIlLb0EEEZNS1_14transform_implILb0ES3_S5_NS0_18transform_iteratorINS0_17counting_iteratorImlEEZNS1_24adjacent_difference_implIS3_Lb1ELb0EPlSB_ZN2at6native12_GLOBAL__N_124unique_dim_cuda_templateIfEESt5tupleIJNSC_6TensorESH_SH_EERKSH_lbbbEUlllE1_EE10hipError_tPvRmT2_T3_mT4_P12ihipStream_tbEUlmE_lEESB_NS0_8identityIvEEEESM_SP_SQ_mSR_ST_bEUlT_E_NS1_11comp_targetILNS1_3genE10ELNS1_11target_archE1200ELNS1_3gpuE4ELNS1_3repE0EEENS1_30default_config_static_selectorELNS0_4arch9wavefront6targetE0EEEvT1_,comdat
	.globl	_ZN7rocprim17ROCPRIM_400000_NS6detail17trampoline_kernelINS0_14default_configENS1_25transform_config_selectorIlLb0EEEZNS1_14transform_implILb0ES3_S5_NS0_18transform_iteratorINS0_17counting_iteratorImlEEZNS1_24adjacent_difference_implIS3_Lb1ELb0EPlSB_ZN2at6native12_GLOBAL__N_124unique_dim_cuda_templateIfEESt5tupleIJNSC_6TensorESH_SH_EERKSH_lbbbEUlllE1_EE10hipError_tPvRmT2_T3_mT4_P12ihipStream_tbEUlmE_lEESB_NS0_8identityIvEEEESM_SP_SQ_mSR_ST_bEUlT_E_NS1_11comp_targetILNS1_3genE10ELNS1_11target_archE1200ELNS1_3gpuE4ELNS1_3repE0EEENS1_30default_config_static_selectorELNS0_4arch9wavefront6targetE0EEEvT1_ ; -- Begin function _ZN7rocprim17ROCPRIM_400000_NS6detail17trampoline_kernelINS0_14default_configENS1_25transform_config_selectorIlLb0EEEZNS1_14transform_implILb0ES3_S5_NS0_18transform_iteratorINS0_17counting_iteratorImlEEZNS1_24adjacent_difference_implIS3_Lb1ELb0EPlSB_ZN2at6native12_GLOBAL__N_124unique_dim_cuda_templateIfEESt5tupleIJNSC_6TensorESH_SH_EERKSH_lbbbEUlllE1_EE10hipError_tPvRmT2_T3_mT4_P12ihipStream_tbEUlmE_lEESB_NS0_8identityIvEEEESM_SP_SQ_mSR_ST_bEUlT_E_NS1_11comp_targetILNS1_3genE10ELNS1_11target_archE1200ELNS1_3gpuE4ELNS1_3repE0EEENS1_30default_config_static_selectorELNS0_4arch9wavefront6targetE0EEEvT1_
	.p2align	8
	.type	_ZN7rocprim17ROCPRIM_400000_NS6detail17trampoline_kernelINS0_14default_configENS1_25transform_config_selectorIlLb0EEEZNS1_14transform_implILb0ES3_S5_NS0_18transform_iteratorINS0_17counting_iteratorImlEEZNS1_24adjacent_difference_implIS3_Lb1ELb0EPlSB_ZN2at6native12_GLOBAL__N_124unique_dim_cuda_templateIfEESt5tupleIJNSC_6TensorESH_SH_EERKSH_lbbbEUlllE1_EE10hipError_tPvRmT2_T3_mT4_P12ihipStream_tbEUlmE_lEESB_NS0_8identityIvEEEESM_SP_SQ_mSR_ST_bEUlT_E_NS1_11comp_targetILNS1_3genE10ELNS1_11target_archE1200ELNS1_3gpuE4ELNS1_3repE0EEENS1_30default_config_static_selectorELNS0_4arch9wavefront6targetE0EEEvT1_,@function
_ZN7rocprim17ROCPRIM_400000_NS6detail17trampoline_kernelINS0_14default_configENS1_25transform_config_selectorIlLb0EEEZNS1_14transform_implILb0ES3_S5_NS0_18transform_iteratorINS0_17counting_iteratorImlEEZNS1_24adjacent_difference_implIS3_Lb1ELb0EPlSB_ZN2at6native12_GLOBAL__N_124unique_dim_cuda_templateIfEESt5tupleIJNSC_6TensorESH_SH_EERKSH_lbbbEUlllE1_EE10hipError_tPvRmT2_T3_mT4_P12ihipStream_tbEUlmE_lEESB_NS0_8identityIvEEEESM_SP_SQ_mSR_ST_bEUlT_E_NS1_11comp_targetILNS1_3genE10ELNS1_11target_archE1200ELNS1_3gpuE4ELNS1_3repE0EEENS1_30default_config_static_selectorELNS0_4arch9wavefront6targetE0EEEvT1_: ; @_ZN7rocprim17ROCPRIM_400000_NS6detail17trampoline_kernelINS0_14default_configENS1_25transform_config_selectorIlLb0EEEZNS1_14transform_implILb0ES3_S5_NS0_18transform_iteratorINS0_17counting_iteratorImlEEZNS1_24adjacent_difference_implIS3_Lb1ELb0EPlSB_ZN2at6native12_GLOBAL__N_124unique_dim_cuda_templateIfEESt5tupleIJNSC_6TensorESH_SH_EERKSH_lbbbEUlllE1_EE10hipError_tPvRmT2_T3_mT4_P12ihipStream_tbEUlmE_lEESB_NS0_8identityIvEEEESM_SP_SQ_mSR_ST_bEUlT_E_NS1_11comp_targetILNS1_3genE10ELNS1_11target_archE1200ELNS1_3gpuE4ELNS1_3repE0EEENS1_30default_config_static_selectorELNS0_4arch9wavefront6targetE0EEEvT1_
; %bb.0:
	.section	.rodata,"a",@progbits
	.p2align	6, 0x0
	.amdhsa_kernel _ZN7rocprim17ROCPRIM_400000_NS6detail17trampoline_kernelINS0_14default_configENS1_25transform_config_selectorIlLb0EEEZNS1_14transform_implILb0ES3_S5_NS0_18transform_iteratorINS0_17counting_iteratorImlEEZNS1_24adjacent_difference_implIS3_Lb1ELb0EPlSB_ZN2at6native12_GLOBAL__N_124unique_dim_cuda_templateIfEESt5tupleIJNSC_6TensorESH_SH_EERKSH_lbbbEUlllE1_EE10hipError_tPvRmT2_T3_mT4_P12ihipStream_tbEUlmE_lEESB_NS0_8identityIvEEEESM_SP_SQ_mSR_ST_bEUlT_E_NS1_11comp_targetILNS1_3genE10ELNS1_11target_archE1200ELNS1_3gpuE4ELNS1_3repE0EEENS1_30default_config_static_selectorELNS0_4arch9wavefront6targetE0EEEvT1_
		.amdhsa_group_segment_fixed_size 0
		.amdhsa_private_segment_fixed_size 0
		.amdhsa_kernarg_size 56
		.amdhsa_user_sgpr_count 15
		.amdhsa_user_sgpr_dispatch_ptr 0
		.amdhsa_user_sgpr_queue_ptr 0
		.amdhsa_user_sgpr_kernarg_segment_ptr 1
		.amdhsa_user_sgpr_dispatch_id 0
		.amdhsa_user_sgpr_private_segment_size 0
		.amdhsa_wavefront_size32 1
		.amdhsa_uses_dynamic_stack 0
		.amdhsa_enable_private_segment 0
		.amdhsa_system_sgpr_workgroup_id_x 1
		.amdhsa_system_sgpr_workgroup_id_y 0
		.amdhsa_system_sgpr_workgroup_id_z 0
		.amdhsa_system_sgpr_workgroup_info 0
		.amdhsa_system_vgpr_workitem_id 0
		.amdhsa_next_free_vgpr 1
		.amdhsa_next_free_sgpr 1
		.amdhsa_reserve_vcc 0
		.amdhsa_float_round_mode_32 0
		.amdhsa_float_round_mode_16_64 0
		.amdhsa_float_denorm_mode_32 3
		.amdhsa_float_denorm_mode_16_64 3
		.amdhsa_dx10_clamp 1
		.amdhsa_ieee_mode 1
		.amdhsa_fp16_overflow 0
		.amdhsa_workgroup_processor_mode 1
		.amdhsa_memory_ordered 1
		.amdhsa_forward_progress 0
		.amdhsa_shared_vgpr_count 0
		.amdhsa_exception_fp_ieee_invalid_op 0
		.amdhsa_exception_fp_denorm_src 0
		.amdhsa_exception_fp_ieee_div_zero 0
		.amdhsa_exception_fp_ieee_overflow 0
		.amdhsa_exception_fp_ieee_underflow 0
		.amdhsa_exception_fp_ieee_inexact 0
		.amdhsa_exception_int_div_zero 0
	.end_amdhsa_kernel
	.section	.text._ZN7rocprim17ROCPRIM_400000_NS6detail17trampoline_kernelINS0_14default_configENS1_25transform_config_selectorIlLb0EEEZNS1_14transform_implILb0ES3_S5_NS0_18transform_iteratorINS0_17counting_iteratorImlEEZNS1_24adjacent_difference_implIS3_Lb1ELb0EPlSB_ZN2at6native12_GLOBAL__N_124unique_dim_cuda_templateIfEESt5tupleIJNSC_6TensorESH_SH_EERKSH_lbbbEUlllE1_EE10hipError_tPvRmT2_T3_mT4_P12ihipStream_tbEUlmE_lEESB_NS0_8identityIvEEEESM_SP_SQ_mSR_ST_bEUlT_E_NS1_11comp_targetILNS1_3genE10ELNS1_11target_archE1200ELNS1_3gpuE4ELNS1_3repE0EEENS1_30default_config_static_selectorELNS0_4arch9wavefront6targetE0EEEvT1_,"axG",@progbits,_ZN7rocprim17ROCPRIM_400000_NS6detail17trampoline_kernelINS0_14default_configENS1_25transform_config_selectorIlLb0EEEZNS1_14transform_implILb0ES3_S5_NS0_18transform_iteratorINS0_17counting_iteratorImlEEZNS1_24adjacent_difference_implIS3_Lb1ELb0EPlSB_ZN2at6native12_GLOBAL__N_124unique_dim_cuda_templateIfEESt5tupleIJNSC_6TensorESH_SH_EERKSH_lbbbEUlllE1_EE10hipError_tPvRmT2_T3_mT4_P12ihipStream_tbEUlmE_lEESB_NS0_8identityIvEEEESM_SP_SQ_mSR_ST_bEUlT_E_NS1_11comp_targetILNS1_3genE10ELNS1_11target_archE1200ELNS1_3gpuE4ELNS1_3repE0EEENS1_30default_config_static_selectorELNS0_4arch9wavefront6targetE0EEEvT1_,comdat
.Lfunc_end918:
	.size	_ZN7rocprim17ROCPRIM_400000_NS6detail17trampoline_kernelINS0_14default_configENS1_25transform_config_selectorIlLb0EEEZNS1_14transform_implILb0ES3_S5_NS0_18transform_iteratorINS0_17counting_iteratorImlEEZNS1_24adjacent_difference_implIS3_Lb1ELb0EPlSB_ZN2at6native12_GLOBAL__N_124unique_dim_cuda_templateIfEESt5tupleIJNSC_6TensorESH_SH_EERKSH_lbbbEUlllE1_EE10hipError_tPvRmT2_T3_mT4_P12ihipStream_tbEUlmE_lEESB_NS0_8identityIvEEEESM_SP_SQ_mSR_ST_bEUlT_E_NS1_11comp_targetILNS1_3genE10ELNS1_11target_archE1200ELNS1_3gpuE4ELNS1_3repE0EEENS1_30default_config_static_selectorELNS0_4arch9wavefront6targetE0EEEvT1_, .Lfunc_end918-_ZN7rocprim17ROCPRIM_400000_NS6detail17trampoline_kernelINS0_14default_configENS1_25transform_config_selectorIlLb0EEEZNS1_14transform_implILb0ES3_S5_NS0_18transform_iteratorINS0_17counting_iteratorImlEEZNS1_24adjacent_difference_implIS3_Lb1ELb0EPlSB_ZN2at6native12_GLOBAL__N_124unique_dim_cuda_templateIfEESt5tupleIJNSC_6TensorESH_SH_EERKSH_lbbbEUlllE1_EE10hipError_tPvRmT2_T3_mT4_P12ihipStream_tbEUlmE_lEESB_NS0_8identityIvEEEESM_SP_SQ_mSR_ST_bEUlT_E_NS1_11comp_targetILNS1_3genE10ELNS1_11target_archE1200ELNS1_3gpuE4ELNS1_3repE0EEENS1_30default_config_static_selectorELNS0_4arch9wavefront6targetE0EEEvT1_
                                        ; -- End function
	.section	.AMDGPU.csdata,"",@progbits
; Kernel info:
; codeLenInByte = 0
; NumSgprs: 0
; NumVgprs: 0
; ScratchSize: 0
; MemoryBound: 0
; FloatMode: 240
; IeeeMode: 1
; LDSByteSize: 0 bytes/workgroup (compile time only)
; SGPRBlocks: 0
; VGPRBlocks: 0
; NumSGPRsForWavesPerEU: 1
; NumVGPRsForWavesPerEU: 1
; Occupancy: 16
; WaveLimiterHint : 0
; COMPUTE_PGM_RSRC2:SCRATCH_EN: 0
; COMPUTE_PGM_RSRC2:USER_SGPR: 15
; COMPUTE_PGM_RSRC2:TRAP_HANDLER: 0
; COMPUTE_PGM_RSRC2:TGID_X_EN: 1
; COMPUTE_PGM_RSRC2:TGID_Y_EN: 0
; COMPUTE_PGM_RSRC2:TGID_Z_EN: 0
; COMPUTE_PGM_RSRC2:TIDIG_COMP_CNT: 0
	.section	.text._ZN7rocprim17ROCPRIM_400000_NS6detail17trampoline_kernelINS0_14default_configENS1_25transform_config_selectorIlLb0EEEZNS1_14transform_implILb0ES3_S5_NS0_18transform_iteratorINS0_17counting_iteratorImlEEZNS1_24adjacent_difference_implIS3_Lb1ELb0EPlSB_ZN2at6native12_GLOBAL__N_124unique_dim_cuda_templateIfEESt5tupleIJNSC_6TensorESH_SH_EERKSH_lbbbEUlllE1_EE10hipError_tPvRmT2_T3_mT4_P12ihipStream_tbEUlmE_lEESB_NS0_8identityIvEEEESM_SP_SQ_mSR_ST_bEUlT_E_NS1_11comp_targetILNS1_3genE9ELNS1_11target_archE1100ELNS1_3gpuE3ELNS1_3repE0EEENS1_30default_config_static_selectorELNS0_4arch9wavefront6targetE0EEEvT1_,"axG",@progbits,_ZN7rocprim17ROCPRIM_400000_NS6detail17trampoline_kernelINS0_14default_configENS1_25transform_config_selectorIlLb0EEEZNS1_14transform_implILb0ES3_S5_NS0_18transform_iteratorINS0_17counting_iteratorImlEEZNS1_24adjacent_difference_implIS3_Lb1ELb0EPlSB_ZN2at6native12_GLOBAL__N_124unique_dim_cuda_templateIfEESt5tupleIJNSC_6TensorESH_SH_EERKSH_lbbbEUlllE1_EE10hipError_tPvRmT2_T3_mT4_P12ihipStream_tbEUlmE_lEESB_NS0_8identityIvEEEESM_SP_SQ_mSR_ST_bEUlT_E_NS1_11comp_targetILNS1_3genE9ELNS1_11target_archE1100ELNS1_3gpuE3ELNS1_3repE0EEENS1_30default_config_static_selectorELNS0_4arch9wavefront6targetE0EEEvT1_,comdat
	.globl	_ZN7rocprim17ROCPRIM_400000_NS6detail17trampoline_kernelINS0_14default_configENS1_25transform_config_selectorIlLb0EEEZNS1_14transform_implILb0ES3_S5_NS0_18transform_iteratorINS0_17counting_iteratorImlEEZNS1_24adjacent_difference_implIS3_Lb1ELb0EPlSB_ZN2at6native12_GLOBAL__N_124unique_dim_cuda_templateIfEESt5tupleIJNSC_6TensorESH_SH_EERKSH_lbbbEUlllE1_EE10hipError_tPvRmT2_T3_mT4_P12ihipStream_tbEUlmE_lEESB_NS0_8identityIvEEEESM_SP_SQ_mSR_ST_bEUlT_E_NS1_11comp_targetILNS1_3genE9ELNS1_11target_archE1100ELNS1_3gpuE3ELNS1_3repE0EEENS1_30default_config_static_selectorELNS0_4arch9wavefront6targetE0EEEvT1_ ; -- Begin function _ZN7rocprim17ROCPRIM_400000_NS6detail17trampoline_kernelINS0_14default_configENS1_25transform_config_selectorIlLb0EEEZNS1_14transform_implILb0ES3_S5_NS0_18transform_iteratorINS0_17counting_iteratorImlEEZNS1_24adjacent_difference_implIS3_Lb1ELb0EPlSB_ZN2at6native12_GLOBAL__N_124unique_dim_cuda_templateIfEESt5tupleIJNSC_6TensorESH_SH_EERKSH_lbbbEUlllE1_EE10hipError_tPvRmT2_T3_mT4_P12ihipStream_tbEUlmE_lEESB_NS0_8identityIvEEEESM_SP_SQ_mSR_ST_bEUlT_E_NS1_11comp_targetILNS1_3genE9ELNS1_11target_archE1100ELNS1_3gpuE3ELNS1_3repE0EEENS1_30default_config_static_selectorELNS0_4arch9wavefront6targetE0EEEvT1_
	.p2align	8
	.type	_ZN7rocprim17ROCPRIM_400000_NS6detail17trampoline_kernelINS0_14default_configENS1_25transform_config_selectorIlLb0EEEZNS1_14transform_implILb0ES3_S5_NS0_18transform_iteratorINS0_17counting_iteratorImlEEZNS1_24adjacent_difference_implIS3_Lb1ELb0EPlSB_ZN2at6native12_GLOBAL__N_124unique_dim_cuda_templateIfEESt5tupleIJNSC_6TensorESH_SH_EERKSH_lbbbEUlllE1_EE10hipError_tPvRmT2_T3_mT4_P12ihipStream_tbEUlmE_lEESB_NS0_8identityIvEEEESM_SP_SQ_mSR_ST_bEUlT_E_NS1_11comp_targetILNS1_3genE9ELNS1_11target_archE1100ELNS1_3gpuE3ELNS1_3repE0EEENS1_30default_config_static_selectorELNS0_4arch9wavefront6targetE0EEEvT1_,@function
_ZN7rocprim17ROCPRIM_400000_NS6detail17trampoline_kernelINS0_14default_configENS1_25transform_config_selectorIlLb0EEEZNS1_14transform_implILb0ES3_S5_NS0_18transform_iteratorINS0_17counting_iteratorImlEEZNS1_24adjacent_difference_implIS3_Lb1ELb0EPlSB_ZN2at6native12_GLOBAL__N_124unique_dim_cuda_templateIfEESt5tupleIJNSC_6TensorESH_SH_EERKSH_lbbbEUlllE1_EE10hipError_tPvRmT2_T3_mT4_P12ihipStream_tbEUlmE_lEESB_NS0_8identityIvEEEESM_SP_SQ_mSR_ST_bEUlT_E_NS1_11comp_targetILNS1_3genE9ELNS1_11target_archE1100ELNS1_3gpuE3ELNS1_3repE0EEENS1_30default_config_static_selectorELNS0_4arch9wavefront6targetE0EEEvT1_: ; @_ZN7rocprim17ROCPRIM_400000_NS6detail17trampoline_kernelINS0_14default_configENS1_25transform_config_selectorIlLb0EEEZNS1_14transform_implILb0ES3_S5_NS0_18transform_iteratorINS0_17counting_iteratorImlEEZNS1_24adjacent_difference_implIS3_Lb1ELb0EPlSB_ZN2at6native12_GLOBAL__N_124unique_dim_cuda_templateIfEESt5tupleIJNSC_6TensorESH_SH_EERKSH_lbbbEUlllE1_EE10hipError_tPvRmT2_T3_mT4_P12ihipStream_tbEUlmE_lEESB_NS0_8identityIvEEEESM_SP_SQ_mSR_ST_bEUlT_E_NS1_11comp_targetILNS1_3genE9ELNS1_11target_archE1100ELNS1_3gpuE3ELNS1_3repE0EEENS1_30default_config_static_selectorELNS0_4arch9wavefront6targetE0EEEvT1_
; %bb.0:
	s_clause 0x4
	s_load_b128 s[4:7], s[0:1], 0x0
	s_load_b64 s[2:3], s[0:1], 0x18
	s_load_b64 s[12:13], s[0:1], 0x28
	s_load_b32 s11, s[0:1], 0x38
	s_load_b32 s8, s[0:1], 0x10
	s_waitcnt lgkmcnt(0)
	s_add_u32 s9, s2, s4
	s_addc_u32 s10, s3, s5
	s_lshl_b64 s[2:3], s[2:3], 3
	s_delay_alu instid0(SALU_CYCLE_1)
	s_add_u32 s4, s12, s2
	s_addc_u32 s5, s13, s3
	s_add_i32 s11, s11, -1
	s_lshl_b32 s2, s15, 9
	s_mov_b32 s3, 0
	s_cmp_lg_u32 s15, s11
	s_mov_b32 s11, -1
	s_cbranch_scc0 .LBB919_2
; %bb.1:
	s_add_u32 s11, s9, s2
	s_addc_u32 s12, s10, 0
	v_add_co_u32 v3, s11, s11, v0
	s_delay_alu instid0(VALU_DEP_1) | instskip(SKIP_1) | instid1(VALU_DEP_2)
	v_add_co_ci_u32_e64 v5, null, s12, 0, s11
	s_lshl_b64 s[12:13], s[2:3], 3
	v_mad_u64_u32 v[1:2], null, v3, s8, 0
	s_add_u32 s12, s4, s12
	s_addc_u32 s13, s5, s13
	s_mov_b32 s11, s3
	s_delay_alu instid0(VALU_DEP_1) | instskip(NEXT) | instid1(VALU_DEP_1)
	v_mad_u64_u32 v[3:4], null, v5, s8, v[2:3]
	v_dual_mov_b32 v2, v3 :: v_dual_lshlrev_b32 v3, 3, v0
	s_delay_alu instid0(VALU_DEP_1) | instskip(NEXT) | instid1(VALU_DEP_1)
	v_lshlrev_b64 v[1:2], 3, v[1:2]
	v_add_co_u32 v1, vcc_lo, s6, v1
	s_delay_alu instid0(VALU_DEP_2)
	v_add_co_ci_u32_e32 v2, vcc_lo, s7, v2, vcc_lo
	global_load_b64 v[1:2], v[1:2], off
	s_waitcnt vmcnt(0)
	global_store_b64 v3, v[1:2], s[12:13]
.LBB919_2:
	s_and_not1_b32 vcc_lo, exec_lo, s11
	s_cbranch_vccnz .LBB919_7
; %bb.3:
	s_load_b32 s0, s[0:1], 0x20
                                        ; implicit-def: $vgpr1_vgpr2
	s_waitcnt lgkmcnt(0)
	s_sub_i32 s0, s0, s2
	s_delay_alu instid0(SALU_CYCLE_1)
	v_cmp_gt_u32_e32 vcc_lo, s0, v0
	s_and_saveexec_b32 s1, vcc_lo
	s_cbranch_execz .LBB919_5
; %bb.4:
	s_add_u32 s0, s9, s2
	s_addc_u32 s9, s10, 0
	v_add_co_u32 v3, s0, s0, v0
	s_delay_alu instid0(VALU_DEP_1) | instskip(NEXT) | instid1(VALU_DEP_2)
	v_add_co_ci_u32_e64 v5, null, s9, 0, s0
	v_mad_u64_u32 v[1:2], null, v3, s8, 0
	s_delay_alu instid0(VALU_DEP_1) | instskip(NEXT) | instid1(VALU_DEP_1)
	v_mad_u64_u32 v[3:4], null, v5, s8, v[2:3]
	v_mov_b32_e32 v2, v3
	s_delay_alu instid0(VALU_DEP_1) | instskip(NEXT) | instid1(VALU_DEP_1)
	v_lshlrev_b64 v[1:2], 3, v[1:2]
	v_add_co_u32 v1, s0, s6, v1
	s_delay_alu instid0(VALU_DEP_1)
	v_add_co_ci_u32_e64 v2, s0, s7, v2, s0
	global_load_b64 v[1:2], v[1:2], off
.LBB919_5:
	s_or_b32 exec_lo, exec_lo, s1
	s_and_saveexec_b32 s0, vcc_lo
	s_cbranch_execz .LBB919_7
; %bb.6:
	s_lshl_b64 s[0:1], s[2:3], 3
	v_lshlrev_b32_e32 v0, 3, v0
	s_add_u32 s0, s4, s0
	s_addc_u32 s1, s5, s1
	s_waitcnt vmcnt(0)
	global_store_b64 v0, v[1:2], s[0:1]
.LBB919_7:
	s_nop 0
	s_sendmsg sendmsg(MSG_DEALLOC_VGPRS)
	s_endpgm
	.section	.rodata,"a",@progbits
	.p2align	6, 0x0
	.amdhsa_kernel _ZN7rocprim17ROCPRIM_400000_NS6detail17trampoline_kernelINS0_14default_configENS1_25transform_config_selectorIlLb0EEEZNS1_14transform_implILb0ES3_S5_NS0_18transform_iteratorINS0_17counting_iteratorImlEEZNS1_24adjacent_difference_implIS3_Lb1ELb0EPlSB_ZN2at6native12_GLOBAL__N_124unique_dim_cuda_templateIfEESt5tupleIJNSC_6TensorESH_SH_EERKSH_lbbbEUlllE1_EE10hipError_tPvRmT2_T3_mT4_P12ihipStream_tbEUlmE_lEESB_NS0_8identityIvEEEESM_SP_SQ_mSR_ST_bEUlT_E_NS1_11comp_targetILNS1_3genE9ELNS1_11target_archE1100ELNS1_3gpuE3ELNS1_3repE0EEENS1_30default_config_static_selectorELNS0_4arch9wavefront6targetE0EEEvT1_
		.amdhsa_group_segment_fixed_size 0
		.amdhsa_private_segment_fixed_size 0
		.amdhsa_kernarg_size 312
		.amdhsa_user_sgpr_count 15
		.amdhsa_user_sgpr_dispatch_ptr 0
		.amdhsa_user_sgpr_queue_ptr 0
		.amdhsa_user_sgpr_kernarg_segment_ptr 1
		.amdhsa_user_sgpr_dispatch_id 0
		.amdhsa_user_sgpr_private_segment_size 0
		.amdhsa_wavefront_size32 1
		.amdhsa_uses_dynamic_stack 0
		.amdhsa_enable_private_segment 0
		.amdhsa_system_sgpr_workgroup_id_x 1
		.amdhsa_system_sgpr_workgroup_id_y 0
		.amdhsa_system_sgpr_workgroup_id_z 0
		.amdhsa_system_sgpr_workgroup_info 0
		.amdhsa_system_vgpr_workitem_id 0
		.amdhsa_next_free_vgpr 6
		.amdhsa_next_free_sgpr 16
		.amdhsa_reserve_vcc 1
		.amdhsa_float_round_mode_32 0
		.amdhsa_float_round_mode_16_64 0
		.amdhsa_float_denorm_mode_32 3
		.amdhsa_float_denorm_mode_16_64 3
		.amdhsa_dx10_clamp 1
		.amdhsa_ieee_mode 1
		.amdhsa_fp16_overflow 0
		.amdhsa_workgroup_processor_mode 1
		.amdhsa_memory_ordered 1
		.amdhsa_forward_progress 0
		.amdhsa_shared_vgpr_count 0
		.amdhsa_exception_fp_ieee_invalid_op 0
		.amdhsa_exception_fp_denorm_src 0
		.amdhsa_exception_fp_ieee_div_zero 0
		.amdhsa_exception_fp_ieee_overflow 0
		.amdhsa_exception_fp_ieee_underflow 0
		.amdhsa_exception_fp_ieee_inexact 0
		.amdhsa_exception_int_div_zero 0
	.end_amdhsa_kernel
	.section	.text._ZN7rocprim17ROCPRIM_400000_NS6detail17trampoline_kernelINS0_14default_configENS1_25transform_config_selectorIlLb0EEEZNS1_14transform_implILb0ES3_S5_NS0_18transform_iteratorINS0_17counting_iteratorImlEEZNS1_24adjacent_difference_implIS3_Lb1ELb0EPlSB_ZN2at6native12_GLOBAL__N_124unique_dim_cuda_templateIfEESt5tupleIJNSC_6TensorESH_SH_EERKSH_lbbbEUlllE1_EE10hipError_tPvRmT2_T3_mT4_P12ihipStream_tbEUlmE_lEESB_NS0_8identityIvEEEESM_SP_SQ_mSR_ST_bEUlT_E_NS1_11comp_targetILNS1_3genE9ELNS1_11target_archE1100ELNS1_3gpuE3ELNS1_3repE0EEENS1_30default_config_static_selectorELNS0_4arch9wavefront6targetE0EEEvT1_,"axG",@progbits,_ZN7rocprim17ROCPRIM_400000_NS6detail17trampoline_kernelINS0_14default_configENS1_25transform_config_selectorIlLb0EEEZNS1_14transform_implILb0ES3_S5_NS0_18transform_iteratorINS0_17counting_iteratorImlEEZNS1_24adjacent_difference_implIS3_Lb1ELb0EPlSB_ZN2at6native12_GLOBAL__N_124unique_dim_cuda_templateIfEESt5tupleIJNSC_6TensorESH_SH_EERKSH_lbbbEUlllE1_EE10hipError_tPvRmT2_T3_mT4_P12ihipStream_tbEUlmE_lEESB_NS0_8identityIvEEEESM_SP_SQ_mSR_ST_bEUlT_E_NS1_11comp_targetILNS1_3genE9ELNS1_11target_archE1100ELNS1_3gpuE3ELNS1_3repE0EEENS1_30default_config_static_selectorELNS0_4arch9wavefront6targetE0EEEvT1_,comdat
.Lfunc_end919:
	.size	_ZN7rocprim17ROCPRIM_400000_NS6detail17trampoline_kernelINS0_14default_configENS1_25transform_config_selectorIlLb0EEEZNS1_14transform_implILb0ES3_S5_NS0_18transform_iteratorINS0_17counting_iteratorImlEEZNS1_24adjacent_difference_implIS3_Lb1ELb0EPlSB_ZN2at6native12_GLOBAL__N_124unique_dim_cuda_templateIfEESt5tupleIJNSC_6TensorESH_SH_EERKSH_lbbbEUlllE1_EE10hipError_tPvRmT2_T3_mT4_P12ihipStream_tbEUlmE_lEESB_NS0_8identityIvEEEESM_SP_SQ_mSR_ST_bEUlT_E_NS1_11comp_targetILNS1_3genE9ELNS1_11target_archE1100ELNS1_3gpuE3ELNS1_3repE0EEENS1_30default_config_static_selectorELNS0_4arch9wavefront6targetE0EEEvT1_, .Lfunc_end919-_ZN7rocprim17ROCPRIM_400000_NS6detail17trampoline_kernelINS0_14default_configENS1_25transform_config_selectorIlLb0EEEZNS1_14transform_implILb0ES3_S5_NS0_18transform_iteratorINS0_17counting_iteratorImlEEZNS1_24adjacent_difference_implIS3_Lb1ELb0EPlSB_ZN2at6native12_GLOBAL__N_124unique_dim_cuda_templateIfEESt5tupleIJNSC_6TensorESH_SH_EERKSH_lbbbEUlllE1_EE10hipError_tPvRmT2_T3_mT4_P12ihipStream_tbEUlmE_lEESB_NS0_8identityIvEEEESM_SP_SQ_mSR_ST_bEUlT_E_NS1_11comp_targetILNS1_3genE9ELNS1_11target_archE1100ELNS1_3gpuE3ELNS1_3repE0EEENS1_30default_config_static_selectorELNS0_4arch9wavefront6targetE0EEEvT1_
                                        ; -- End function
	.section	.AMDGPU.csdata,"",@progbits
; Kernel info:
; codeLenInByte = 400
; NumSgprs: 18
; NumVgprs: 6
; ScratchSize: 0
; MemoryBound: 0
; FloatMode: 240
; IeeeMode: 1
; LDSByteSize: 0 bytes/workgroup (compile time only)
; SGPRBlocks: 2
; VGPRBlocks: 0
; NumSGPRsForWavesPerEU: 18
; NumVGPRsForWavesPerEU: 6
; Occupancy: 16
; WaveLimiterHint : 0
; COMPUTE_PGM_RSRC2:SCRATCH_EN: 0
; COMPUTE_PGM_RSRC2:USER_SGPR: 15
; COMPUTE_PGM_RSRC2:TRAP_HANDLER: 0
; COMPUTE_PGM_RSRC2:TGID_X_EN: 1
; COMPUTE_PGM_RSRC2:TGID_Y_EN: 0
; COMPUTE_PGM_RSRC2:TGID_Z_EN: 0
; COMPUTE_PGM_RSRC2:TIDIG_COMP_CNT: 0
	.section	.text._ZN7rocprim17ROCPRIM_400000_NS6detail17trampoline_kernelINS0_14default_configENS1_25transform_config_selectorIlLb0EEEZNS1_14transform_implILb0ES3_S5_NS0_18transform_iteratorINS0_17counting_iteratorImlEEZNS1_24adjacent_difference_implIS3_Lb1ELb0EPlSB_ZN2at6native12_GLOBAL__N_124unique_dim_cuda_templateIfEESt5tupleIJNSC_6TensorESH_SH_EERKSH_lbbbEUlllE1_EE10hipError_tPvRmT2_T3_mT4_P12ihipStream_tbEUlmE_lEESB_NS0_8identityIvEEEESM_SP_SQ_mSR_ST_bEUlT_E_NS1_11comp_targetILNS1_3genE8ELNS1_11target_archE1030ELNS1_3gpuE2ELNS1_3repE0EEENS1_30default_config_static_selectorELNS0_4arch9wavefront6targetE0EEEvT1_,"axG",@progbits,_ZN7rocprim17ROCPRIM_400000_NS6detail17trampoline_kernelINS0_14default_configENS1_25transform_config_selectorIlLb0EEEZNS1_14transform_implILb0ES3_S5_NS0_18transform_iteratorINS0_17counting_iteratorImlEEZNS1_24adjacent_difference_implIS3_Lb1ELb0EPlSB_ZN2at6native12_GLOBAL__N_124unique_dim_cuda_templateIfEESt5tupleIJNSC_6TensorESH_SH_EERKSH_lbbbEUlllE1_EE10hipError_tPvRmT2_T3_mT4_P12ihipStream_tbEUlmE_lEESB_NS0_8identityIvEEEESM_SP_SQ_mSR_ST_bEUlT_E_NS1_11comp_targetILNS1_3genE8ELNS1_11target_archE1030ELNS1_3gpuE2ELNS1_3repE0EEENS1_30default_config_static_selectorELNS0_4arch9wavefront6targetE0EEEvT1_,comdat
	.globl	_ZN7rocprim17ROCPRIM_400000_NS6detail17trampoline_kernelINS0_14default_configENS1_25transform_config_selectorIlLb0EEEZNS1_14transform_implILb0ES3_S5_NS0_18transform_iteratorINS0_17counting_iteratorImlEEZNS1_24adjacent_difference_implIS3_Lb1ELb0EPlSB_ZN2at6native12_GLOBAL__N_124unique_dim_cuda_templateIfEESt5tupleIJNSC_6TensorESH_SH_EERKSH_lbbbEUlllE1_EE10hipError_tPvRmT2_T3_mT4_P12ihipStream_tbEUlmE_lEESB_NS0_8identityIvEEEESM_SP_SQ_mSR_ST_bEUlT_E_NS1_11comp_targetILNS1_3genE8ELNS1_11target_archE1030ELNS1_3gpuE2ELNS1_3repE0EEENS1_30default_config_static_selectorELNS0_4arch9wavefront6targetE0EEEvT1_ ; -- Begin function _ZN7rocprim17ROCPRIM_400000_NS6detail17trampoline_kernelINS0_14default_configENS1_25transform_config_selectorIlLb0EEEZNS1_14transform_implILb0ES3_S5_NS0_18transform_iteratorINS0_17counting_iteratorImlEEZNS1_24adjacent_difference_implIS3_Lb1ELb0EPlSB_ZN2at6native12_GLOBAL__N_124unique_dim_cuda_templateIfEESt5tupleIJNSC_6TensorESH_SH_EERKSH_lbbbEUlllE1_EE10hipError_tPvRmT2_T3_mT4_P12ihipStream_tbEUlmE_lEESB_NS0_8identityIvEEEESM_SP_SQ_mSR_ST_bEUlT_E_NS1_11comp_targetILNS1_3genE8ELNS1_11target_archE1030ELNS1_3gpuE2ELNS1_3repE0EEENS1_30default_config_static_selectorELNS0_4arch9wavefront6targetE0EEEvT1_
	.p2align	8
	.type	_ZN7rocprim17ROCPRIM_400000_NS6detail17trampoline_kernelINS0_14default_configENS1_25transform_config_selectorIlLb0EEEZNS1_14transform_implILb0ES3_S5_NS0_18transform_iteratorINS0_17counting_iteratorImlEEZNS1_24adjacent_difference_implIS3_Lb1ELb0EPlSB_ZN2at6native12_GLOBAL__N_124unique_dim_cuda_templateIfEESt5tupleIJNSC_6TensorESH_SH_EERKSH_lbbbEUlllE1_EE10hipError_tPvRmT2_T3_mT4_P12ihipStream_tbEUlmE_lEESB_NS0_8identityIvEEEESM_SP_SQ_mSR_ST_bEUlT_E_NS1_11comp_targetILNS1_3genE8ELNS1_11target_archE1030ELNS1_3gpuE2ELNS1_3repE0EEENS1_30default_config_static_selectorELNS0_4arch9wavefront6targetE0EEEvT1_,@function
_ZN7rocprim17ROCPRIM_400000_NS6detail17trampoline_kernelINS0_14default_configENS1_25transform_config_selectorIlLb0EEEZNS1_14transform_implILb0ES3_S5_NS0_18transform_iteratorINS0_17counting_iteratorImlEEZNS1_24adjacent_difference_implIS3_Lb1ELb0EPlSB_ZN2at6native12_GLOBAL__N_124unique_dim_cuda_templateIfEESt5tupleIJNSC_6TensorESH_SH_EERKSH_lbbbEUlllE1_EE10hipError_tPvRmT2_T3_mT4_P12ihipStream_tbEUlmE_lEESB_NS0_8identityIvEEEESM_SP_SQ_mSR_ST_bEUlT_E_NS1_11comp_targetILNS1_3genE8ELNS1_11target_archE1030ELNS1_3gpuE2ELNS1_3repE0EEENS1_30default_config_static_selectorELNS0_4arch9wavefront6targetE0EEEvT1_: ; @_ZN7rocprim17ROCPRIM_400000_NS6detail17trampoline_kernelINS0_14default_configENS1_25transform_config_selectorIlLb0EEEZNS1_14transform_implILb0ES3_S5_NS0_18transform_iteratorINS0_17counting_iteratorImlEEZNS1_24adjacent_difference_implIS3_Lb1ELb0EPlSB_ZN2at6native12_GLOBAL__N_124unique_dim_cuda_templateIfEESt5tupleIJNSC_6TensorESH_SH_EERKSH_lbbbEUlllE1_EE10hipError_tPvRmT2_T3_mT4_P12ihipStream_tbEUlmE_lEESB_NS0_8identityIvEEEESM_SP_SQ_mSR_ST_bEUlT_E_NS1_11comp_targetILNS1_3genE8ELNS1_11target_archE1030ELNS1_3gpuE2ELNS1_3repE0EEENS1_30default_config_static_selectorELNS0_4arch9wavefront6targetE0EEEvT1_
; %bb.0:
	.section	.rodata,"a",@progbits
	.p2align	6, 0x0
	.amdhsa_kernel _ZN7rocprim17ROCPRIM_400000_NS6detail17trampoline_kernelINS0_14default_configENS1_25transform_config_selectorIlLb0EEEZNS1_14transform_implILb0ES3_S5_NS0_18transform_iteratorINS0_17counting_iteratorImlEEZNS1_24adjacent_difference_implIS3_Lb1ELb0EPlSB_ZN2at6native12_GLOBAL__N_124unique_dim_cuda_templateIfEESt5tupleIJNSC_6TensorESH_SH_EERKSH_lbbbEUlllE1_EE10hipError_tPvRmT2_T3_mT4_P12ihipStream_tbEUlmE_lEESB_NS0_8identityIvEEEESM_SP_SQ_mSR_ST_bEUlT_E_NS1_11comp_targetILNS1_3genE8ELNS1_11target_archE1030ELNS1_3gpuE2ELNS1_3repE0EEENS1_30default_config_static_selectorELNS0_4arch9wavefront6targetE0EEEvT1_
		.amdhsa_group_segment_fixed_size 0
		.amdhsa_private_segment_fixed_size 0
		.amdhsa_kernarg_size 56
		.amdhsa_user_sgpr_count 15
		.amdhsa_user_sgpr_dispatch_ptr 0
		.amdhsa_user_sgpr_queue_ptr 0
		.amdhsa_user_sgpr_kernarg_segment_ptr 1
		.amdhsa_user_sgpr_dispatch_id 0
		.amdhsa_user_sgpr_private_segment_size 0
		.amdhsa_wavefront_size32 1
		.amdhsa_uses_dynamic_stack 0
		.amdhsa_enable_private_segment 0
		.amdhsa_system_sgpr_workgroup_id_x 1
		.amdhsa_system_sgpr_workgroup_id_y 0
		.amdhsa_system_sgpr_workgroup_id_z 0
		.amdhsa_system_sgpr_workgroup_info 0
		.amdhsa_system_vgpr_workitem_id 0
		.amdhsa_next_free_vgpr 1
		.amdhsa_next_free_sgpr 1
		.amdhsa_reserve_vcc 0
		.amdhsa_float_round_mode_32 0
		.amdhsa_float_round_mode_16_64 0
		.amdhsa_float_denorm_mode_32 3
		.amdhsa_float_denorm_mode_16_64 3
		.amdhsa_dx10_clamp 1
		.amdhsa_ieee_mode 1
		.amdhsa_fp16_overflow 0
		.amdhsa_workgroup_processor_mode 1
		.amdhsa_memory_ordered 1
		.amdhsa_forward_progress 0
		.amdhsa_shared_vgpr_count 0
		.amdhsa_exception_fp_ieee_invalid_op 0
		.amdhsa_exception_fp_denorm_src 0
		.amdhsa_exception_fp_ieee_div_zero 0
		.amdhsa_exception_fp_ieee_overflow 0
		.amdhsa_exception_fp_ieee_underflow 0
		.amdhsa_exception_fp_ieee_inexact 0
		.amdhsa_exception_int_div_zero 0
	.end_amdhsa_kernel
	.section	.text._ZN7rocprim17ROCPRIM_400000_NS6detail17trampoline_kernelINS0_14default_configENS1_25transform_config_selectorIlLb0EEEZNS1_14transform_implILb0ES3_S5_NS0_18transform_iteratorINS0_17counting_iteratorImlEEZNS1_24adjacent_difference_implIS3_Lb1ELb0EPlSB_ZN2at6native12_GLOBAL__N_124unique_dim_cuda_templateIfEESt5tupleIJNSC_6TensorESH_SH_EERKSH_lbbbEUlllE1_EE10hipError_tPvRmT2_T3_mT4_P12ihipStream_tbEUlmE_lEESB_NS0_8identityIvEEEESM_SP_SQ_mSR_ST_bEUlT_E_NS1_11comp_targetILNS1_3genE8ELNS1_11target_archE1030ELNS1_3gpuE2ELNS1_3repE0EEENS1_30default_config_static_selectorELNS0_4arch9wavefront6targetE0EEEvT1_,"axG",@progbits,_ZN7rocprim17ROCPRIM_400000_NS6detail17trampoline_kernelINS0_14default_configENS1_25transform_config_selectorIlLb0EEEZNS1_14transform_implILb0ES3_S5_NS0_18transform_iteratorINS0_17counting_iteratorImlEEZNS1_24adjacent_difference_implIS3_Lb1ELb0EPlSB_ZN2at6native12_GLOBAL__N_124unique_dim_cuda_templateIfEESt5tupleIJNSC_6TensorESH_SH_EERKSH_lbbbEUlllE1_EE10hipError_tPvRmT2_T3_mT4_P12ihipStream_tbEUlmE_lEESB_NS0_8identityIvEEEESM_SP_SQ_mSR_ST_bEUlT_E_NS1_11comp_targetILNS1_3genE8ELNS1_11target_archE1030ELNS1_3gpuE2ELNS1_3repE0EEENS1_30default_config_static_selectorELNS0_4arch9wavefront6targetE0EEEvT1_,comdat
.Lfunc_end920:
	.size	_ZN7rocprim17ROCPRIM_400000_NS6detail17trampoline_kernelINS0_14default_configENS1_25transform_config_selectorIlLb0EEEZNS1_14transform_implILb0ES3_S5_NS0_18transform_iteratorINS0_17counting_iteratorImlEEZNS1_24adjacent_difference_implIS3_Lb1ELb0EPlSB_ZN2at6native12_GLOBAL__N_124unique_dim_cuda_templateIfEESt5tupleIJNSC_6TensorESH_SH_EERKSH_lbbbEUlllE1_EE10hipError_tPvRmT2_T3_mT4_P12ihipStream_tbEUlmE_lEESB_NS0_8identityIvEEEESM_SP_SQ_mSR_ST_bEUlT_E_NS1_11comp_targetILNS1_3genE8ELNS1_11target_archE1030ELNS1_3gpuE2ELNS1_3repE0EEENS1_30default_config_static_selectorELNS0_4arch9wavefront6targetE0EEEvT1_, .Lfunc_end920-_ZN7rocprim17ROCPRIM_400000_NS6detail17trampoline_kernelINS0_14default_configENS1_25transform_config_selectorIlLb0EEEZNS1_14transform_implILb0ES3_S5_NS0_18transform_iteratorINS0_17counting_iteratorImlEEZNS1_24adjacent_difference_implIS3_Lb1ELb0EPlSB_ZN2at6native12_GLOBAL__N_124unique_dim_cuda_templateIfEESt5tupleIJNSC_6TensorESH_SH_EERKSH_lbbbEUlllE1_EE10hipError_tPvRmT2_T3_mT4_P12ihipStream_tbEUlmE_lEESB_NS0_8identityIvEEEESM_SP_SQ_mSR_ST_bEUlT_E_NS1_11comp_targetILNS1_3genE8ELNS1_11target_archE1030ELNS1_3gpuE2ELNS1_3repE0EEENS1_30default_config_static_selectorELNS0_4arch9wavefront6targetE0EEEvT1_
                                        ; -- End function
	.section	.AMDGPU.csdata,"",@progbits
; Kernel info:
; codeLenInByte = 0
; NumSgprs: 0
; NumVgprs: 0
; ScratchSize: 0
; MemoryBound: 0
; FloatMode: 240
; IeeeMode: 1
; LDSByteSize: 0 bytes/workgroup (compile time only)
; SGPRBlocks: 0
; VGPRBlocks: 0
; NumSGPRsForWavesPerEU: 1
; NumVGPRsForWavesPerEU: 1
; Occupancy: 16
; WaveLimiterHint : 0
; COMPUTE_PGM_RSRC2:SCRATCH_EN: 0
; COMPUTE_PGM_RSRC2:USER_SGPR: 15
; COMPUTE_PGM_RSRC2:TRAP_HANDLER: 0
; COMPUTE_PGM_RSRC2:TGID_X_EN: 1
; COMPUTE_PGM_RSRC2:TGID_Y_EN: 0
; COMPUTE_PGM_RSRC2:TGID_Z_EN: 0
; COMPUTE_PGM_RSRC2:TIDIG_COMP_CNT: 0
	.section	.text._ZN7rocprim17ROCPRIM_400000_NS6detail17trampoline_kernelINS0_14default_configENS1_35adjacent_difference_config_selectorILb1ElEEZNS1_24adjacent_difference_implIS3_Lb1ELb0EPlS7_ZN2at6native12_GLOBAL__N_124unique_dim_cuda_templateIfEESt5tupleIJNS8_6TensorESD_SD_EERKSD_lbbbEUlllE1_EE10hipError_tPvRmT2_T3_mT4_P12ihipStream_tbEUlT_E_NS1_11comp_targetILNS1_3genE0ELNS1_11target_archE4294967295ELNS1_3gpuE0ELNS1_3repE0EEENS1_30default_config_static_selectorELNS0_4arch9wavefront6targetE0EEEvT1_,"axG",@progbits,_ZN7rocprim17ROCPRIM_400000_NS6detail17trampoline_kernelINS0_14default_configENS1_35adjacent_difference_config_selectorILb1ElEEZNS1_24adjacent_difference_implIS3_Lb1ELb0EPlS7_ZN2at6native12_GLOBAL__N_124unique_dim_cuda_templateIfEESt5tupleIJNS8_6TensorESD_SD_EERKSD_lbbbEUlllE1_EE10hipError_tPvRmT2_T3_mT4_P12ihipStream_tbEUlT_E_NS1_11comp_targetILNS1_3genE0ELNS1_11target_archE4294967295ELNS1_3gpuE0ELNS1_3repE0EEENS1_30default_config_static_selectorELNS0_4arch9wavefront6targetE0EEEvT1_,comdat
	.globl	_ZN7rocprim17ROCPRIM_400000_NS6detail17trampoline_kernelINS0_14default_configENS1_35adjacent_difference_config_selectorILb1ElEEZNS1_24adjacent_difference_implIS3_Lb1ELb0EPlS7_ZN2at6native12_GLOBAL__N_124unique_dim_cuda_templateIfEESt5tupleIJNS8_6TensorESD_SD_EERKSD_lbbbEUlllE1_EE10hipError_tPvRmT2_T3_mT4_P12ihipStream_tbEUlT_E_NS1_11comp_targetILNS1_3genE0ELNS1_11target_archE4294967295ELNS1_3gpuE0ELNS1_3repE0EEENS1_30default_config_static_selectorELNS0_4arch9wavefront6targetE0EEEvT1_ ; -- Begin function _ZN7rocprim17ROCPRIM_400000_NS6detail17trampoline_kernelINS0_14default_configENS1_35adjacent_difference_config_selectorILb1ElEEZNS1_24adjacent_difference_implIS3_Lb1ELb0EPlS7_ZN2at6native12_GLOBAL__N_124unique_dim_cuda_templateIfEESt5tupleIJNS8_6TensorESD_SD_EERKSD_lbbbEUlllE1_EE10hipError_tPvRmT2_T3_mT4_P12ihipStream_tbEUlT_E_NS1_11comp_targetILNS1_3genE0ELNS1_11target_archE4294967295ELNS1_3gpuE0ELNS1_3repE0EEENS1_30default_config_static_selectorELNS0_4arch9wavefront6targetE0EEEvT1_
	.p2align	8
	.type	_ZN7rocprim17ROCPRIM_400000_NS6detail17trampoline_kernelINS0_14default_configENS1_35adjacent_difference_config_selectorILb1ElEEZNS1_24adjacent_difference_implIS3_Lb1ELb0EPlS7_ZN2at6native12_GLOBAL__N_124unique_dim_cuda_templateIfEESt5tupleIJNS8_6TensorESD_SD_EERKSD_lbbbEUlllE1_EE10hipError_tPvRmT2_T3_mT4_P12ihipStream_tbEUlT_E_NS1_11comp_targetILNS1_3genE0ELNS1_11target_archE4294967295ELNS1_3gpuE0ELNS1_3repE0EEENS1_30default_config_static_selectorELNS0_4arch9wavefront6targetE0EEEvT1_,@function
_ZN7rocprim17ROCPRIM_400000_NS6detail17trampoline_kernelINS0_14default_configENS1_35adjacent_difference_config_selectorILb1ElEEZNS1_24adjacent_difference_implIS3_Lb1ELb0EPlS7_ZN2at6native12_GLOBAL__N_124unique_dim_cuda_templateIfEESt5tupleIJNS8_6TensorESD_SD_EERKSD_lbbbEUlllE1_EE10hipError_tPvRmT2_T3_mT4_P12ihipStream_tbEUlT_E_NS1_11comp_targetILNS1_3genE0ELNS1_11target_archE4294967295ELNS1_3gpuE0ELNS1_3repE0EEENS1_30default_config_static_selectorELNS0_4arch9wavefront6targetE0EEEvT1_: ; @_ZN7rocprim17ROCPRIM_400000_NS6detail17trampoline_kernelINS0_14default_configENS1_35adjacent_difference_config_selectorILb1ElEEZNS1_24adjacent_difference_implIS3_Lb1ELb0EPlS7_ZN2at6native12_GLOBAL__N_124unique_dim_cuda_templateIfEESt5tupleIJNS8_6TensorESD_SD_EERKSD_lbbbEUlllE1_EE10hipError_tPvRmT2_T3_mT4_P12ihipStream_tbEUlT_E_NS1_11comp_targetILNS1_3genE0ELNS1_11target_archE4294967295ELNS1_3gpuE0ELNS1_3repE0EEENS1_30default_config_static_selectorELNS0_4arch9wavefront6targetE0EEEvT1_
; %bb.0:
	.section	.rodata,"a",@progbits
	.p2align	6, 0x0
	.amdhsa_kernel _ZN7rocprim17ROCPRIM_400000_NS6detail17trampoline_kernelINS0_14default_configENS1_35adjacent_difference_config_selectorILb1ElEEZNS1_24adjacent_difference_implIS3_Lb1ELb0EPlS7_ZN2at6native12_GLOBAL__N_124unique_dim_cuda_templateIfEESt5tupleIJNS8_6TensorESD_SD_EERKSD_lbbbEUlllE1_EE10hipError_tPvRmT2_T3_mT4_P12ihipStream_tbEUlT_E_NS1_11comp_targetILNS1_3genE0ELNS1_11target_archE4294967295ELNS1_3gpuE0ELNS1_3repE0EEENS1_30default_config_static_selectorELNS0_4arch9wavefront6targetE0EEEvT1_
		.amdhsa_group_segment_fixed_size 0
		.amdhsa_private_segment_fixed_size 0
		.amdhsa_kernarg_size 64
		.amdhsa_user_sgpr_count 15
		.amdhsa_user_sgpr_dispatch_ptr 0
		.amdhsa_user_sgpr_queue_ptr 0
		.amdhsa_user_sgpr_kernarg_segment_ptr 1
		.amdhsa_user_sgpr_dispatch_id 0
		.amdhsa_user_sgpr_private_segment_size 0
		.amdhsa_wavefront_size32 1
		.amdhsa_uses_dynamic_stack 0
		.amdhsa_enable_private_segment 0
		.amdhsa_system_sgpr_workgroup_id_x 1
		.amdhsa_system_sgpr_workgroup_id_y 0
		.amdhsa_system_sgpr_workgroup_id_z 0
		.amdhsa_system_sgpr_workgroup_info 0
		.amdhsa_system_vgpr_workitem_id 0
		.amdhsa_next_free_vgpr 1
		.amdhsa_next_free_sgpr 1
		.amdhsa_reserve_vcc 0
		.amdhsa_float_round_mode_32 0
		.amdhsa_float_round_mode_16_64 0
		.amdhsa_float_denorm_mode_32 3
		.amdhsa_float_denorm_mode_16_64 3
		.amdhsa_dx10_clamp 1
		.amdhsa_ieee_mode 1
		.amdhsa_fp16_overflow 0
		.amdhsa_workgroup_processor_mode 1
		.amdhsa_memory_ordered 1
		.amdhsa_forward_progress 0
		.amdhsa_shared_vgpr_count 0
		.amdhsa_exception_fp_ieee_invalid_op 0
		.amdhsa_exception_fp_denorm_src 0
		.amdhsa_exception_fp_ieee_div_zero 0
		.amdhsa_exception_fp_ieee_overflow 0
		.amdhsa_exception_fp_ieee_underflow 0
		.amdhsa_exception_fp_ieee_inexact 0
		.amdhsa_exception_int_div_zero 0
	.end_amdhsa_kernel
	.section	.text._ZN7rocprim17ROCPRIM_400000_NS6detail17trampoline_kernelINS0_14default_configENS1_35adjacent_difference_config_selectorILb1ElEEZNS1_24adjacent_difference_implIS3_Lb1ELb0EPlS7_ZN2at6native12_GLOBAL__N_124unique_dim_cuda_templateIfEESt5tupleIJNS8_6TensorESD_SD_EERKSD_lbbbEUlllE1_EE10hipError_tPvRmT2_T3_mT4_P12ihipStream_tbEUlT_E_NS1_11comp_targetILNS1_3genE0ELNS1_11target_archE4294967295ELNS1_3gpuE0ELNS1_3repE0EEENS1_30default_config_static_selectorELNS0_4arch9wavefront6targetE0EEEvT1_,"axG",@progbits,_ZN7rocprim17ROCPRIM_400000_NS6detail17trampoline_kernelINS0_14default_configENS1_35adjacent_difference_config_selectorILb1ElEEZNS1_24adjacent_difference_implIS3_Lb1ELb0EPlS7_ZN2at6native12_GLOBAL__N_124unique_dim_cuda_templateIfEESt5tupleIJNS8_6TensorESD_SD_EERKSD_lbbbEUlllE1_EE10hipError_tPvRmT2_T3_mT4_P12ihipStream_tbEUlT_E_NS1_11comp_targetILNS1_3genE0ELNS1_11target_archE4294967295ELNS1_3gpuE0ELNS1_3repE0EEENS1_30default_config_static_selectorELNS0_4arch9wavefront6targetE0EEEvT1_,comdat
.Lfunc_end921:
	.size	_ZN7rocprim17ROCPRIM_400000_NS6detail17trampoline_kernelINS0_14default_configENS1_35adjacent_difference_config_selectorILb1ElEEZNS1_24adjacent_difference_implIS3_Lb1ELb0EPlS7_ZN2at6native12_GLOBAL__N_124unique_dim_cuda_templateIfEESt5tupleIJNS8_6TensorESD_SD_EERKSD_lbbbEUlllE1_EE10hipError_tPvRmT2_T3_mT4_P12ihipStream_tbEUlT_E_NS1_11comp_targetILNS1_3genE0ELNS1_11target_archE4294967295ELNS1_3gpuE0ELNS1_3repE0EEENS1_30default_config_static_selectorELNS0_4arch9wavefront6targetE0EEEvT1_, .Lfunc_end921-_ZN7rocprim17ROCPRIM_400000_NS6detail17trampoline_kernelINS0_14default_configENS1_35adjacent_difference_config_selectorILb1ElEEZNS1_24adjacent_difference_implIS3_Lb1ELb0EPlS7_ZN2at6native12_GLOBAL__N_124unique_dim_cuda_templateIfEESt5tupleIJNS8_6TensorESD_SD_EERKSD_lbbbEUlllE1_EE10hipError_tPvRmT2_T3_mT4_P12ihipStream_tbEUlT_E_NS1_11comp_targetILNS1_3genE0ELNS1_11target_archE4294967295ELNS1_3gpuE0ELNS1_3repE0EEENS1_30default_config_static_selectorELNS0_4arch9wavefront6targetE0EEEvT1_
                                        ; -- End function
	.section	.AMDGPU.csdata,"",@progbits
; Kernel info:
; codeLenInByte = 0
; NumSgprs: 0
; NumVgprs: 0
; ScratchSize: 0
; MemoryBound: 0
; FloatMode: 240
; IeeeMode: 1
; LDSByteSize: 0 bytes/workgroup (compile time only)
; SGPRBlocks: 0
; VGPRBlocks: 0
; NumSGPRsForWavesPerEU: 1
; NumVGPRsForWavesPerEU: 1
; Occupancy: 16
; WaveLimiterHint : 0
; COMPUTE_PGM_RSRC2:SCRATCH_EN: 0
; COMPUTE_PGM_RSRC2:USER_SGPR: 15
; COMPUTE_PGM_RSRC2:TRAP_HANDLER: 0
; COMPUTE_PGM_RSRC2:TGID_X_EN: 1
; COMPUTE_PGM_RSRC2:TGID_Y_EN: 0
; COMPUTE_PGM_RSRC2:TGID_Z_EN: 0
; COMPUTE_PGM_RSRC2:TIDIG_COMP_CNT: 0
	.section	.text._ZN7rocprim17ROCPRIM_400000_NS6detail17trampoline_kernelINS0_14default_configENS1_35adjacent_difference_config_selectorILb1ElEEZNS1_24adjacent_difference_implIS3_Lb1ELb0EPlS7_ZN2at6native12_GLOBAL__N_124unique_dim_cuda_templateIfEESt5tupleIJNS8_6TensorESD_SD_EERKSD_lbbbEUlllE1_EE10hipError_tPvRmT2_T3_mT4_P12ihipStream_tbEUlT_E_NS1_11comp_targetILNS1_3genE10ELNS1_11target_archE1201ELNS1_3gpuE5ELNS1_3repE0EEENS1_30default_config_static_selectorELNS0_4arch9wavefront6targetE0EEEvT1_,"axG",@progbits,_ZN7rocprim17ROCPRIM_400000_NS6detail17trampoline_kernelINS0_14default_configENS1_35adjacent_difference_config_selectorILb1ElEEZNS1_24adjacent_difference_implIS3_Lb1ELb0EPlS7_ZN2at6native12_GLOBAL__N_124unique_dim_cuda_templateIfEESt5tupleIJNS8_6TensorESD_SD_EERKSD_lbbbEUlllE1_EE10hipError_tPvRmT2_T3_mT4_P12ihipStream_tbEUlT_E_NS1_11comp_targetILNS1_3genE10ELNS1_11target_archE1201ELNS1_3gpuE5ELNS1_3repE0EEENS1_30default_config_static_selectorELNS0_4arch9wavefront6targetE0EEEvT1_,comdat
	.globl	_ZN7rocprim17ROCPRIM_400000_NS6detail17trampoline_kernelINS0_14default_configENS1_35adjacent_difference_config_selectorILb1ElEEZNS1_24adjacent_difference_implIS3_Lb1ELb0EPlS7_ZN2at6native12_GLOBAL__N_124unique_dim_cuda_templateIfEESt5tupleIJNS8_6TensorESD_SD_EERKSD_lbbbEUlllE1_EE10hipError_tPvRmT2_T3_mT4_P12ihipStream_tbEUlT_E_NS1_11comp_targetILNS1_3genE10ELNS1_11target_archE1201ELNS1_3gpuE5ELNS1_3repE0EEENS1_30default_config_static_selectorELNS0_4arch9wavefront6targetE0EEEvT1_ ; -- Begin function _ZN7rocprim17ROCPRIM_400000_NS6detail17trampoline_kernelINS0_14default_configENS1_35adjacent_difference_config_selectorILb1ElEEZNS1_24adjacent_difference_implIS3_Lb1ELb0EPlS7_ZN2at6native12_GLOBAL__N_124unique_dim_cuda_templateIfEESt5tupleIJNS8_6TensorESD_SD_EERKSD_lbbbEUlllE1_EE10hipError_tPvRmT2_T3_mT4_P12ihipStream_tbEUlT_E_NS1_11comp_targetILNS1_3genE10ELNS1_11target_archE1201ELNS1_3gpuE5ELNS1_3repE0EEENS1_30default_config_static_selectorELNS0_4arch9wavefront6targetE0EEEvT1_
	.p2align	8
	.type	_ZN7rocprim17ROCPRIM_400000_NS6detail17trampoline_kernelINS0_14default_configENS1_35adjacent_difference_config_selectorILb1ElEEZNS1_24adjacent_difference_implIS3_Lb1ELb0EPlS7_ZN2at6native12_GLOBAL__N_124unique_dim_cuda_templateIfEESt5tupleIJNS8_6TensorESD_SD_EERKSD_lbbbEUlllE1_EE10hipError_tPvRmT2_T3_mT4_P12ihipStream_tbEUlT_E_NS1_11comp_targetILNS1_3genE10ELNS1_11target_archE1201ELNS1_3gpuE5ELNS1_3repE0EEENS1_30default_config_static_selectorELNS0_4arch9wavefront6targetE0EEEvT1_,@function
_ZN7rocprim17ROCPRIM_400000_NS6detail17trampoline_kernelINS0_14default_configENS1_35adjacent_difference_config_selectorILb1ElEEZNS1_24adjacent_difference_implIS3_Lb1ELb0EPlS7_ZN2at6native12_GLOBAL__N_124unique_dim_cuda_templateIfEESt5tupleIJNS8_6TensorESD_SD_EERKSD_lbbbEUlllE1_EE10hipError_tPvRmT2_T3_mT4_P12ihipStream_tbEUlT_E_NS1_11comp_targetILNS1_3genE10ELNS1_11target_archE1201ELNS1_3gpuE5ELNS1_3repE0EEENS1_30default_config_static_selectorELNS0_4arch9wavefront6targetE0EEEvT1_: ; @_ZN7rocprim17ROCPRIM_400000_NS6detail17trampoline_kernelINS0_14default_configENS1_35adjacent_difference_config_selectorILb1ElEEZNS1_24adjacent_difference_implIS3_Lb1ELb0EPlS7_ZN2at6native12_GLOBAL__N_124unique_dim_cuda_templateIfEESt5tupleIJNS8_6TensorESD_SD_EERKSD_lbbbEUlllE1_EE10hipError_tPvRmT2_T3_mT4_P12ihipStream_tbEUlT_E_NS1_11comp_targetILNS1_3genE10ELNS1_11target_archE1201ELNS1_3gpuE5ELNS1_3repE0EEENS1_30default_config_static_selectorELNS0_4arch9wavefront6targetE0EEEvT1_
; %bb.0:
	.section	.rodata,"a",@progbits
	.p2align	6, 0x0
	.amdhsa_kernel _ZN7rocprim17ROCPRIM_400000_NS6detail17trampoline_kernelINS0_14default_configENS1_35adjacent_difference_config_selectorILb1ElEEZNS1_24adjacent_difference_implIS3_Lb1ELb0EPlS7_ZN2at6native12_GLOBAL__N_124unique_dim_cuda_templateIfEESt5tupleIJNS8_6TensorESD_SD_EERKSD_lbbbEUlllE1_EE10hipError_tPvRmT2_T3_mT4_P12ihipStream_tbEUlT_E_NS1_11comp_targetILNS1_3genE10ELNS1_11target_archE1201ELNS1_3gpuE5ELNS1_3repE0EEENS1_30default_config_static_selectorELNS0_4arch9wavefront6targetE0EEEvT1_
		.amdhsa_group_segment_fixed_size 0
		.amdhsa_private_segment_fixed_size 0
		.amdhsa_kernarg_size 64
		.amdhsa_user_sgpr_count 15
		.amdhsa_user_sgpr_dispatch_ptr 0
		.amdhsa_user_sgpr_queue_ptr 0
		.amdhsa_user_sgpr_kernarg_segment_ptr 1
		.amdhsa_user_sgpr_dispatch_id 0
		.amdhsa_user_sgpr_private_segment_size 0
		.amdhsa_wavefront_size32 1
		.amdhsa_uses_dynamic_stack 0
		.amdhsa_enable_private_segment 0
		.amdhsa_system_sgpr_workgroup_id_x 1
		.amdhsa_system_sgpr_workgroup_id_y 0
		.amdhsa_system_sgpr_workgroup_id_z 0
		.amdhsa_system_sgpr_workgroup_info 0
		.amdhsa_system_vgpr_workitem_id 0
		.amdhsa_next_free_vgpr 1
		.amdhsa_next_free_sgpr 1
		.amdhsa_reserve_vcc 0
		.amdhsa_float_round_mode_32 0
		.amdhsa_float_round_mode_16_64 0
		.amdhsa_float_denorm_mode_32 3
		.amdhsa_float_denorm_mode_16_64 3
		.amdhsa_dx10_clamp 1
		.amdhsa_ieee_mode 1
		.amdhsa_fp16_overflow 0
		.amdhsa_workgroup_processor_mode 1
		.amdhsa_memory_ordered 1
		.amdhsa_forward_progress 0
		.amdhsa_shared_vgpr_count 0
		.amdhsa_exception_fp_ieee_invalid_op 0
		.amdhsa_exception_fp_denorm_src 0
		.amdhsa_exception_fp_ieee_div_zero 0
		.amdhsa_exception_fp_ieee_overflow 0
		.amdhsa_exception_fp_ieee_underflow 0
		.amdhsa_exception_fp_ieee_inexact 0
		.amdhsa_exception_int_div_zero 0
	.end_amdhsa_kernel
	.section	.text._ZN7rocprim17ROCPRIM_400000_NS6detail17trampoline_kernelINS0_14default_configENS1_35adjacent_difference_config_selectorILb1ElEEZNS1_24adjacent_difference_implIS3_Lb1ELb0EPlS7_ZN2at6native12_GLOBAL__N_124unique_dim_cuda_templateIfEESt5tupleIJNS8_6TensorESD_SD_EERKSD_lbbbEUlllE1_EE10hipError_tPvRmT2_T3_mT4_P12ihipStream_tbEUlT_E_NS1_11comp_targetILNS1_3genE10ELNS1_11target_archE1201ELNS1_3gpuE5ELNS1_3repE0EEENS1_30default_config_static_selectorELNS0_4arch9wavefront6targetE0EEEvT1_,"axG",@progbits,_ZN7rocprim17ROCPRIM_400000_NS6detail17trampoline_kernelINS0_14default_configENS1_35adjacent_difference_config_selectorILb1ElEEZNS1_24adjacent_difference_implIS3_Lb1ELb0EPlS7_ZN2at6native12_GLOBAL__N_124unique_dim_cuda_templateIfEESt5tupleIJNS8_6TensorESD_SD_EERKSD_lbbbEUlllE1_EE10hipError_tPvRmT2_T3_mT4_P12ihipStream_tbEUlT_E_NS1_11comp_targetILNS1_3genE10ELNS1_11target_archE1201ELNS1_3gpuE5ELNS1_3repE0EEENS1_30default_config_static_selectorELNS0_4arch9wavefront6targetE0EEEvT1_,comdat
.Lfunc_end922:
	.size	_ZN7rocprim17ROCPRIM_400000_NS6detail17trampoline_kernelINS0_14default_configENS1_35adjacent_difference_config_selectorILb1ElEEZNS1_24adjacent_difference_implIS3_Lb1ELb0EPlS7_ZN2at6native12_GLOBAL__N_124unique_dim_cuda_templateIfEESt5tupleIJNS8_6TensorESD_SD_EERKSD_lbbbEUlllE1_EE10hipError_tPvRmT2_T3_mT4_P12ihipStream_tbEUlT_E_NS1_11comp_targetILNS1_3genE10ELNS1_11target_archE1201ELNS1_3gpuE5ELNS1_3repE0EEENS1_30default_config_static_selectorELNS0_4arch9wavefront6targetE0EEEvT1_, .Lfunc_end922-_ZN7rocprim17ROCPRIM_400000_NS6detail17trampoline_kernelINS0_14default_configENS1_35adjacent_difference_config_selectorILb1ElEEZNS1_24adjacent_difference_implIS3_Lb1ELb0EPlS7_ZN2at6native12_GLOBAL__N_124unique_dim_cuda_templateIfEESt5tupleIJNS8_6TensorESD_SD_EERKSD_lbbbEUlllE1_EE10hipError_tPvRmT2_T3_mT4_P12ihipStream_tbEUlT_E_NS1_11comp_targetILNS1_3genE10ELNS1_11target_archE1201ELNS1_3gpuE5ELNS1_3repE0EEENS1_30default_config_static_selectorELNS0_4arch9wavefront6targetE0EEEvT1_
                                        ; -- End function
	.section	.AMDGPU.csdata,"",@progbits
; Kernel info:
; codeLenInByte = 0
; NumSgprs: 0
; NumVgprs: 0
; ScratchSize: 0
; MemoryBound: 0
; FloatMode: 240
; IeeeMode: 1
; LDSByteSize: 0 bytes/workgroup (compile time only)
; SGPRBlocks: 0
; VGPRBlocks: 0
; NumSGPRsForWavesPerEU: 1
; NumVGPRsForWavesPerEU: 1
; Occupancy: 16
; WaveLimiterHint : 0
; COMPUTE_PGM_RSRC2:SCRATCH_EN: 0
; COMPUTE_PGM_RSRC2:USER_SGPR: 15
; COMPUTE_PGM_RSRC2:TRAP_HANDLER: 0
; COMPUTE_PGM_RSRC2:TGID_X_EN: 1
; COMPUTE_PGM_RSRC2:TGID_Y_EN: 0
; COMPUTE_PGM_RSRC2:TGID_Z_EN: 0
; COMPUTE_PGM_RSRC2:TIDIG_COMP_CNT: 0
	.section	.text._ZN7rocprim17ROCPRIM_400000_NS6detail17trampoline_kernelINS0_14default_configENS1_35adjacent_difference_config_selectorILb1ElEEZNS1_24adjacent_difference_implIS3_Lb1ELb0EPlS7_ZN2at6native12_GLOBAL__N_124unique_dim_cuda_templateIfEESt5tupleIJNS8_6TensorESD_SD_EERKSD_lbbbEUlllE1_EE10hipError_tPvRmT2_T3_mT4_P12ihipStream_tbEUlT_E_NS1_11comp_targetILNS1_3genE5ELNS1_11target_archE942ELNS1_3gpuE9ELNS1_3repE0EEENS1_30default_config_static_selectorELNS0_4arch9wavefront6targetE0EEEvT1_,"axG",@progbits,_ZN7rocprim17ROCPRIM_400000_NS6detail17trampoline_kernelINS0_14default_configENS1_35adjacent_difference_config_selectorILb1ElEEZNS1_24adjacent_difference_implIS3_Lb1ELb0EPlS7_ZN2at6native12_GLOBAL__N_124unique_dim_cuda_templateIfEESt5tupleIJNS8_6TensorESD_SD_EERKSD_lbbbEUlllE1_EE10hipError_tPvRmT2_T3_mT4_P12ihipStream_tbEUlT_E_NS1_11comp_targetILNS1_3genE5ELNS1_11target_archE942ELNS1_3gpuE9ELNS1_3repE0EEENS1_30default_config_static_selectorELNS0_4arch9wavefront6targetE0EEEvT1_,comdat
	.globl	_ZN7rocprim17ROCPRIM_400000_NS6detail17trampoline_kernelINS0_14default_configENS1_35adjacent_difference_config_selectorILb1ElEEZNS1_24adjacent_difference_implIS3_Lb1ELb0EPlS7_ZN2at6native12_GLOBAL__N_124unique_dim_cuda_templateIfEESt5tupleIJNS8_6TensorESD_SD_EERKSD_lbbbEUlllE1_EE10hipError_tPvRmT2_T3_mT4_P12ihipStream_tbEUlT_E_NS1_11comp_targetILNS1_3genE5ELNS1_11target_archE942ELNS1_3gpuE9ELNS1_3repE0EEENS1_30default_config_static_selectorELNS0_4arch9wavefront6targetE0EEEvT1_ ; -- Begin function _ZN7rocprim17ROCPRIM_400000_NS6detail17trampoline_kernelINS0_14default_configENS1_35adjacent_difference_config_selectorILb1ElEEZNS1_24adjacent_difference_implIS3_Lb1ELb0EPlS7_ZN2at6native12_GLOBAL__N_124unique_dim_cuda_templateIfEESt5tupleIJNS8_6TensorESD_SD_EERKSD_lbbbEUlllE1_EE10hipError_tPvRmT2_T3_mT4_P12ihipStream_tbEUlT_E_NS1_11comp_targetILNS1_3genE5ELNS1_11target_archE942ELNS1_3gpuE9ELNS1_3repE0EEENS1_30default_config_static_selectorELNS0_4arch9wavefront6targetE0EEEvT1_
	.p2align	8
	.type	_ZN7rocprim17ROCPRIM_400000_NS6detail17trampoline_kernelINS0_14default_configENS1_35adjacent_difference_config_selectorILb1ElEEZNS1_24adjacent_difference_implIS3_Lb1ELb0EPlS7_ZN2at6native12_GLOBAL__N_124unique_dim_cuda_templateIfEESt5tupleIJNS8_6TensorESD_SD_EERKSD_lbbbEUlllE1_EE10hipError_tPvRmT2_T3_mT4_P12ihipStream_tbEUlT_E_NS1_11comp_targetILNS1_3genE5ELNS1_11target_archE942ELNS1_3gpuE9ELNS1_3repE0EEENS1_30default_config_static_selectorELNS0_4arch9wavefront6targetE0EEEvT1_,@function
_ZN7rocprim17ROCPRIM_400000_NS6detail17trampoline_kernelINS0_14default_configENS1_35adjacent_difference_config_selectorILb1ElEEZNS1_24adjacent_difference_implIS3_Lb1ELb0EPlS7_ZN2at6native12_GLOBAL__N_124unique_dim_cuda_templateIfEESt5tupleIJNS8_6TensorESD_SD_EERKSD_lbbbEUlllE1_EE10hipError_tPvRmT2_T3_mT4_P12ihipStream_tbEUlT_E_NS1_11comp_targetILNS1_3genE5ELNS1_11target_archE942ELNS1_3gpuE9ELNS1_3repE0EEENS1_30default_config_static_selectorELNS0_4arch9wavefront6targetE0EEEvT1_: ; @_ZN7rocprim17ROCPRIM_400000_NS6detail17trampoline_kernelINS0_14default_configENS1_35adjacent_difference_config_selectorILb1ElEEZNS1_24adjacent_difference_implIS3_Lb1ELb0EPlS7_ZN2at6native12_GLOBAL__N_124unique_dim_cuda_templateIfEESt5tupleIJNS8_6TensorESD_SD_EERKSD_lbbbEUlllE1_EE10hipError_tPvRmT2_T3_mT4_P12ihipStream_tbEUlT_E_NS1_11comp_targetILNS1_3genE5ELNS1_11target_archE942ELNS1_3gpuE9ELNS1_3repE0EEENS1_30default_config_static_selectorELNS0_4arch9wavefront6targetE0EEEvT1_
; %bb.0:
	.section	.rodata,"a",@progbits
	.p2align	6, 0x0
	.amdhsa_kernel _ZN7rocprim17ROCPRIM_400000_NS6detail17trampoline_kernelINS0_14default_configENS1_35adjacent_difference_config_selectorILb1ElEEZNS1_24adjacent_difference_implIS3_Lb1ELb0EPlS7_ZN2at6native12_GLOBAL__N_124unique_dim_cuda_templateIfEESt5tupleIJNS8_6TensorESD_SD_EERKSD_lbbbEUlllE1_EE10hipError_tPvRmT2_T3_mT4_P12ihipStream_tbEUlT_E_NS1_11comp_targetILNS1_3genE5ELNS1_11target_archE942ELNS1_3gpuE9ELNS1_3repE0EEENS1_30default_config_static_selectorELNS0_4arch9wavefront6targetE0EEEvT1_
		.amdhsa_group_segment_fixed_size 0
		.amdhsa_private_segment_fixed_size 0
		.amdhsa_kernarg_size 64
		.amdhsa_user_sgpr_count 15
		.amdhsa_user_sgpr_dispatch_ptr 0
		.amdhsa_user_sgpr_queue_ptr 0
		.amdhsa_user_sgpr_kernarg_segment_ptr 1
		.amdhsa_user_sgpr_dispatch_id 0
		.amdhsa_user_sgpr_private_segment_size 0
		.amdhsa_wavefront_size32 1
		.amdhsa_uses_dynamic_stack 0
		.amdhsa_enable_private_segment 0
		.amdhsa_system_sgpr_workgroup_id_x 1
		.amdhsa_system_sgpr_workgroup_id_y 0
		.amdhsa_system_sgpr_workgroup_id_z 0
		.amdhsa_system_sgpr_workgroup_info 0
		.amdhsa_system_vgpr_workitem_id 0
		.amdhsa_next_free_vgpr 1
		.amdhsa_next_free_sgpr 1
		.amdhsa_reserve_vcc 0
		.amdhsa_float_round_mode_32 0
		.amdhsa_float_round_mode_16_64 0
		.amdhsa_float_denorm_mode_32 3
		.amdhsa_float_denorm_mode_16_64 3
		.amdhsa_dx10_clamp 1
		.amdhsa_ieee_mode 1
		.amdhsa_fp16_overflow 0
		.amdhsa_workgroup_processor_mode 1
		.amdhsa_memory_ordered 1
		.amdhsa_forward_progress 0
		.amdhsa_shared_vgpr_count 0
		.amdhsa_exception_fp_ieee_invalid_op 0
		.amdhsa_exception_fp_denorm_src 0
		.amdhsa_exception_fp_ieee_div_zero 0
		.amdhsa_exception_fp_ieee_overflow 0
		.amdhsa_exception_fp_ieee_underflow 0
		.amdhsa_exception_fp_ieee_inexact 0
		.amdhsa_exception_int_div_zero 0
	.end_amdhsa_kernel
	.section	.text._ZN7rocprim17ROCPRIM_400000_NS6detail17trampoline_kernelINS0_14default_configENS1_35adjacent_difference_config_selectorILb1ElEEZNS1_24adjacent_difference_implIS3_Lb1ELb0EPlS7_ZN2at6native12_GLOBAL__N_124unique_dim_cuda_templateIfEESt5tupleIJNS8_6TensorESD_SD_EERKSD_lbbbEUlllE1_EE10hipError_tPvRmT2_T3_mT4_P12ihipStream_tbEUlT_E_NS1_11comp_targetILNS1_3genE5ELNS1_11target_archE942ELNS1_3gpuE9ELNS1_3repE0EEENS1_30default_config_static_selectorELNS0_4arch9wavefront6targetE0EEEvT1_,"axG",@progbits,_ZN7rocprim17ROCPRIM_400000_NS6detail17trampoline_kernelINS0_14default_configENS1_35adjacent_difference_config_selectorILb1ElEEZNS1_24adjacent_difference_implIS3_Lb1ELb0EPlS7_ZN2at6native12_GLOBAL__N_124unique_dim_cuda_templateIfEESt5tupleIJNS8_6TensorESD_SD_EERKSD_lbbbEUlllE1_EE10hipError_tPvRmT2_T3_mT4_P12ihipStream_tbEUlT_E_NS1_11comp_targetILNS1_3genE5ELNS1_11target_archE942ELNS1_3gpuE9ELNS1_3repE0EEENS1_30default_config_static_selectorELNS0_4arch9wavefront6targetE0EEEvT1_,comdat
.Lfunc_end923:
	.size	_ZN7rocprim17ROCPRIM_400000_NS6detail17trampoline_kernelINS0_14default_configENS1_35adjacent_difference_config_selectorILb1ElEEZNS1_24adjacent_difference_implIS3_Lb1ELb0EPlS7_ZN2at6native12_GLOBAL__N_124unique_dim_cuda_templateIfEESt5tupleIJNS8_6TensorESD_SD_EERKSD_lbbbEUlllE1_EE10hipError_tPvRmT2_T3_mT4_P12ihipStream_tbEUlT_E_NS1_11comp_targetILNS1_3genE5ELNS1_11target_archE942ELNS1_3gpuE9ELNS1_3repE0EEENS1_30default_config_static_selectorELNS0_4arch9wavefront6targetE0EEEvT1_, .Lfunc_end923-_ZN7rocprim17ROCPRIM_400000_NS6detail17trampoline_kernelINS0_14default_configENS1_35adjacent_difference_config_selectorILb1ElEEZNS1_24adjacent_difference_implIS3_Lb1ELb0EPlS7_ZN2at6native12_GLOBAL__N_124unique_dim_cuda_templateIfEESt5tupleIJNS8_6TensorESD_SD_EERKSD_lbbbEUlllE1_EE10hipError_tPvRmT2_T3_mT4_P12ihipStream_tbEUlT_E_NS1_11comp_targetILNS1_3genE5ELNS1_11target_archE942ELNS1_3gpuE9ELNS1_3repE0EEENS1_30default_config_static_selectorELNS0_4arch9wavefront6targetE0EEEvT1_
                                        ; -- End function
	.section	.AMDGPU.csdata,"",@progbits
; Kernel info:
; codeLenInByte = 0
; NumSgprs: 0
; NumVgprs: 0
; ScratchSize: 0
; MemoryBound: 0
; FloatMode: 240
; IeeeMode: 1
; LDSByteSize: 0 bytes/workgroup (compile time only)
; SGPRBlocks: 0
; VGPRBlocks: 0
; NumSGPRsForWavesPerEU: 1
; NumVGPRsForWavesPerEU: 1
; Occupancy: 16
; WaveLimiterHint : 0
; COMPUTE_PGM_RSRC2:SCRATCH_EN: 0
; COMPUTE_PGM_RSRC2:USER_SGPR: 15
; COMPUTE_PGM_RSRC2:TRAP_HANDLER: 0
; COMPUTE_PGM_RSRC2:TGID_X_EN: 1
; COMPUTE_PGM_RSRC2:TGID_Y_EN: 0
; COMPUTE_PGM_RSRC2:TGID_Z_EN: 0
; COMPUTE_PGM_RSRC2:TIDIG_COMP_CNT: 0
	.section	.text._ZN7rocprim17ROCPRIM_400000_NS6detail17trampoline_kernelINS0_14default_configENS1_35adjacent_difference_config_selectorILb1ElEEZNS1_24adjacent_difference_implIS3_Lb1ELb0EPlS7_ZN2at6native12_GLOBAL__N_124unique_dim_cuda_templateIfEESt5tupleIJNS8_6TensorESD_SD_EERKSD_lbbbEUlllE1_EE10hipError_tPvRmT2_T3_mT4_P12ihipStream_tbEUlT_E_NS1_11comp_targetILNS1_3genE4ELNS1_11target_archE910ELNS1_3gpuE8ELNS1_3repE0EEENS1_30default_config_static_selectorELNS0_4arch9wavefront6targetE0EEEvT1_,"axG",@progbits,_ZN7rocprim17ROCPRIM_400000_NS6detail17trampoline_kernelINS0_14default_configENS1_35adjacent_difference_config_selectorILb1ElEEZNS1_24adjacent_difference_implIS3_Lb1ELb0EPlS7_ZN2at6native12_GLOBAL__N_124unique_dim_cuda_templateIfEESt5tupleIJNS8_6TensorESD_SD_EERKSD_lbbbEUlllE1_EE10hipError_tPvRmT2_T3_mT4_P12ihipStream_tbEUlT_E_NS1_11comp_targetILNS1_3genE4ELNS1_11target_archE910ELNS1_3gpuE8ELNS1_3repE0EEENS1_30default_config_static_selectorELNS0_4arch9wavefront6targetE0EEEvT1_,comdat
	.globl	_ZN7rocprim17ROCPRIM_400000_NS6detail17trampoline_kernelINS0_14default_configENS1_35adjacent_difference_config_selectorILb1ElEEZNS1_24adjacent_difference_implIS3_Lb1ELb0EPlS7_ZN2at6native12_GLOBAL__N_124unique_dim_cuda_templateIfEESt5tupleIJNS8_6TensorESD_SD_EERKSD_lbbbEUlllE1_EE10hipError_tPvRmT2_T3_mT4_P12ihipStream_tbEUlT_E_NS1_11comp_targetILNS1_3genE4ELNS1_11target_archE910ELNS1_3gpuE8ELNS1_3repE0EEENS1_30default_config_static_selectorELNS0_4arch9wavefront6targetE0EEEvT1_ ; -- Begin function _ZN7rocprim17ROCPRIM_400000_NS6detail17trampoline_kernelINS0_14default_configENS1_35adjacent_difference_config_selectorILb1ElEEZNS1_24adjacent_difference_implIS3_Lb1ELb0EPlS7_ZN2at6native12_GLOBAL__N_124unique_dim_cuda_templateIfEESt5tupleIJNS8_6TensorESD_SD_EERKSD_lbbbEUlllE1_EE10hipError_tPvRmT2_T3_mT4_P12ihipStream_tbEUlT_E_NS1_11comp_targetILNS1_3genE4ELNS1_11target_archE910ELNS1_3gpuE8ELNS1_3repE0EEENS1_30default_config_static_selectorELNS0_4arch9wavefront6targetE0EEEvT1_
	.p2align	8
	.type	_ZN7rocprim17ROCPRIM_400000_NS6detail17trampoline_kernelINS0_14default_configENS1_35adjacent_difference_config_selectorILb1ElEEZNS1_24adjacent_difference_implIS3_Lb1ELb0EPlS7_ZN2at6native12_GLOBAL__N_124unique_dim_cuda_templateIfEESt5tupleIJNS8_6TensorESD_SD_EERKSD_lbbbEUlllE1_EE10hipError_tPvRmT2_T3_mT4_P12ihipStream_tbEUlT_E_NS1_11comp_targetILNS1_3genE4ELNS1_11target_archE910ELNS1_3gpuE8ELNS1_3repE0EEENS1_30default_config_static_selectorELNS0_4arch9wavefront6targetE0EEEvT1_,@function
_ZN7rocprim17ROCPRIM_400000_NS6detail17trampoline_kernelINS0_14default_configENS1_35adjacent_difference_config_selectorILb1ElEEZNS1_24adjacent_difference_implIS3_Lb1ELb0EPlS7_ZN2at6native12_GLOBAL__N_124unique_dim_cuda_templateIfEESt5tupleIJNS8_6TensorESD_SD_EERKSD_lbbbEUlllE1_EE10hipError_tPvRmT2_T3_mT4_P12ihipStream_tbEUlT_E_NS1_11comp_targetILNS1_3genE4ELNS1_11target_archE910ELNS1_3gpuE8ELNS1_3repE0EEENS1_30default_config_static_selectorELNS0_4arch9wavefront6targetE0EEEvT1_: ; @_ZN7rocprim17ROCPRIM_400000_NS6detail17trampoline_kernelINS0_14default_configENS1_35adjacent_difference_config_selectorILb1ElEEZNS1_24adjacent_difference_implIS3_Lb1ELb0EPlS7_ZN2at6native12_GLOBAL__N_124unique_dim_cuda_templateIfEESt5tupleIJNS8_6TensorESD_SD_EERKSD_lbbbEUlllE1_EE10hipError_tPvRmT2_T3_mT4_P12ihipStream_tbEUlT_E_NS1_11comp_targetILNS1_3genE4ELNS1_11target_archE910ELNS1_3gpuE8ELNS1_3repE0EEENS1_30default_config_static_selectorELNS0_4arch9wavefront6targetE0EEEvT1_
; %bb.0:
	.section	.rodata,"a",@progbits
	.p2align	6, 0x0
	.amdhsa_kernel _ZN7rocprim17ROCPRIM_400000_NS6detail17trampoline_kernelINS0_14default_configENS1_35adjacent_difference_config_selectorILb1ElEEZNS1_24adjacent_difference_implIS3_Lb1ELb0EPlS7_ZN2at6native12_GLOBAL__N_124unique_dim_cuda_templateIfEESt5tupleIJNS8_6TensorESD_SD_EERKSD_lbbbEUlllE1_EE10hipError_tPvRmT2_T3_mT4_P12ihipStream_tbEUlT_E_NS1_11comp_targetILNS1_3genE4ELNS1_11target_archE910ELNS1_3gpuE8ELNS1_3repE0EEENS1_30default_config_static_selectorELNS0_4arch9wavefront6targetE0EEEvT1_
		.amdhsa_group_segment_fixed_size 0
		.amdhsa_private_segment_fixed_size 0
		.amdhsa_kernarg_size 64
		.amdhsa_user_sgpr_count 15
		.amdhsa_user_sgpr_dispatch_ptr 0
		.amdhsa_user_sgpr_queue_ptr 0
		.amdhsa_user_sgpr_kernarg_segment_ptr 1
		.amdhsa_user_sgpr_dispatch_id 0
		.amdhsa_user_sgpr_private_segment_size 0
		.amdhsa_wavefront_size32 1
		.amdhsa_uses_dynamic_stack 0
		.amdhsa_enable_private_segment 0
		.amdhsa_system_sgpr_workgroup_id_x 1
		.amdhsa_system_sgpr_workgroup_id_y 0
		.amdhsa_system_sgpr_workgroup_id_z 0
		.amdhsa_system_sgpr_workgroup_info 0
		.amdhsa_system_vgpr_workitem_id 0
		.amdhsa_next_free_vgpr 1
		.amdhsa_next_free_sgpr 1
		.amdhsa_reserve_vcc 0
		.amdhsa_float_round_mode_32 0
		.amdhsa_float_round_mode_16_64 0
		.amdhsa_float_denorm_mode_32 3
		.amdhsa_float_denorm_mode_16_64 3
		.amdhsa_dx10_clamp 1
		.amdhsa_ieee_mode 1
		.amdhsa_fp16_overflow 0
		.amdhsa_workgroup_processor_mode 1
		.amdhsa_memory_ordered 1
		.amdhsa_forward_progress 0
		.amdhsa_shared_vgpr_count 0
		.amdhsa_exception_fp_ieee_invalid_op 0
		.amdhsa_exception_fp_denorm_src 0
		.amdhsa_exception_fp_ieee_div_zero 0
		.amdhsa_exception_fp_ieee_overflow 0
		.amdhsa_exception_fp_ieee_underflow 0
		.amdhsa_exception_fp_ieee_inexact 0
		.amdhsa_exception_int_div_zero 0
	.end_amdhsa_kernel
	.section	.text._ZN7rocprim17ROCPRIM_400000_NS6detail17trampoline_kernelINS0_14default_configENS1_35adjacent_difference_config_selectorILb1ElEEZNS1_24adjacent_difference_implIS3_Lb1ELb0EPlS7_ZN2at6native12_GLOBAL__N_124unique_dim_cuda_templateIfEESt5tupleIJNS8_6TensorESD_SD_EERKSD_lbbbEUlllE1_EE10hipError_tPvRmT2_T3_mT4_P12ihipStream_tbEUlT_E_NS1_11comp_targetILNS1_3genE4ELNS1_11target_archE910ELNS1_3gpuE8ELNS1_3repE0EEENS1_30default_config_static_selectorELNS0_4arch9wavefront6targetE0EEEvT1_,"axG",@progbits,_ZN7rocprim17ROCPRIM_400000_NS6detail17trampoline_kernelINS0_14default_configENS1_35adjacent_difference_config_selectorILb1ElEEZNS1_24adjacent_difference_implIS3_Lb1ELb0EPlS7_ZN2at6native12_GLOBAL__N_124unique_dim_cuda_templateIfEESt5tupleIJNS8_6TensorESD_SD_EERKSD_lbbbEUlllE1_EE10hipError_tPvRmT2_T3_mT4_P12ihipStream_tbEUlT_E_NS1_11comp_targetILNS1_3genE4ELNS1_11target_archE910ELNS1_3gpuE8ELNS1_3repE0EEENS1_30default_config_static_selectorELNS0_4arch9wavefront6targetE0EEEvT1_,comdat
.Lfunc_end924:
	.size	_ZN7rocprim17ROCPRIM_400000_NS6detail17trampoline_kernelINS0_14default_configENS1_35adjacent_difference_config_selectorILb1ElEEZNS1_24adjacent_difference_implIS3_Lb1ELb0EPlS7_ZN2at6native12_GLOBAL__N_124unique_dim_cuda_templateIfEESt5tupleIJNS8_6TensorESD_SD_EERKSD_lbbbEUlllE1_EE10hipError_tPvRmT2_T3_mT4_P12ihipStream_tbEUlT_E_NS1_11comp_targetILNS1_3genE4ELNS1_11target_archE910ELNS1_3gpuE8ELNS1_3repE0EEENS1_30default_config_static_selectorELNS0_4arch9wavefront6targetE0EEEvT1_, .Lfunc_end924-_ZN7rocprim17ROCPRIM_400000_NS6detail17trampoline_kernelINS0_14default_configENS1_35adjacent_difference_config_selectorILb1ElEEZNS1_24adjacent_difference_implIS3_Lb1ELb0EPlS7_ZN2at6native12_GLOBAL__N_124unique_dim_cuda_templateIfEESt5tupleIJNS8_6TensorESD_SD_EERKSD_lbbbEUlllE1_EE10hipError_tPvRmT2_T3_mT4_P12ihipStream_tbEUlT_E_NS1_11comp_targetILNS1_3genE4ELNS1_11target_archE910ELNS1_3gpuE8ELNS1_3repE0EEENS1_30default_config_static_selectorELNS0_4arch9wavefront6targetE0EEEvT1_
                                        ; -- End function
	.section	.AMDGPU.csdata,"",@progbits
; Kernel info:
; codeLenInByte = 0
; NumSgprs: 0
; NumVgprs: 0
; ScratchSize: 0
; MemoryBound: 0
; FloatMode: 240
; IeeeMode: 1
; LDSByteSize: 0 bytes/workgroup (compile time only)
; SGPRBlocks: 0
; VGPRBlocks: 0
; NumSGPRsForWavesPerEU: 1
; NumVGPRsForWavesPerEU: 1
; Occupancy: 16
; WaveLimiterHint : 0
; COMPUTE_PGM_RSRC2:SCRATCH_EN: 0
; COMPUTE_PGM_RSRC2:USER_SGPR: 15
; COMPUTE_PGM_RSRC2:TRAP_HANDLER: 0
; COMPUTE_PGM_RSRC2:TGID_X_EN: 1
; COMPUTE_PGM_RSRC2:TGID_Y_EN: 0
; COMPUTE_PGM_RSRC2:TGID_Z_EN: 0
; COMPUTE_PGM_RSRC2:TIDIG_COMP_CNT: 0
	.section	.text._ZN7rocprim17ROCPRIM_400000_NS6detail17trampoline_kernelINS0_14default_configENS1_35adjacent_difference_config_selectorILb1ElEEZNS1_24adjacent_difference_implIS3_Lb1ELb0EPlS7_ZN2at6native12_GLOBAL__N_124unique_dim_cuda_templateIfEESt5tupleIJNS8_6TensorESD_SD_EERKSD_lbbbEUlllE1_EE10hipError_tPvRmT2_T3_mT4_P12ihipStream_tbEUlT_E_NS1_11comp_targetILNS1_3genE3ELNS1_11target_archE908ELNS1_3gpuE7ELNS1_3repE0EEENS1_30default_config_static_selectorELNS0_4arch9wavefront6targetE0EEEvT1_,"axG",@progbits,_ZN7rocprim17ROCPRIM_400000_NS6detail17trampoline_kernelINS0_14default_configENS1_35adjacent_difference_config_selectorILb1ElEEZNS1_24adjacent_difference_implIS3_Lb1ELb0EPlS7_ZN2at6native12_GLOBAL__N_124unique_dim_cuda_templateIfEESt5tupleIJNS8_6TensorESD_SD_EERKSD_lbbbEUlllE1_EE10hipError_tPvRmT2_T3_mT4_P12ihipStream_tbEUlT_E_NS1_11comp_targetILNS1_3genE3ELNS1_11target_archE908ELNS1_3gpuE7ELNS1_3repE0EEENS1_30default_config_static_selectorELNS0_4arch9wavefront6targetE0EEEvT1_,comdat
	.globl	_ZN7rocprim17ROCPRIM_400000_NS6detail17trampoline_kernelINS0_14default_configENS1_35adjacent_difference_config_selectorILb1ElEEZNS1_24adjacent_difference_implIS3_Lb1ELb0EPlS7_ZN2at6native12_GLOBAL__N_124unique_dim_cuda_templateIfEESt5tupleIJNS8_6TensorESD_SD_EERKSD_lbbbEUlllE1_EE10hipError_tPvRmT2_T3_mT4_P12ihipStream_tbEUlT_E_NS1_11comp_targetILNS1_3genE3ELNS1_11target_archE908ELNS1_3gpuE7ELNS1_3repE0EEENS1_30default_config_static_selectorELNS0_4arch9wavefront6targetE0EEEvT1_ ; -- Begin function _ZN7rocprim17ROCPRIM_400000_NS6detail17trampoline_kernelINS0_14default_configENS1_35adjacent_difference_config_selectorILb1ElEEZNS1_24adjacent_difference_implIS3_Lb1ELb0EPlS7_ZN2at6native12_GLOBAL__N_124unique_dim_cuda_templateIfEESt5tupleIJNS8_6TensorESD_SD_EERKSD_lbbbEUlllE1_EE10hipError_tPvRmT2_T3_mT4_P12ihipStream_tbEUlT_E_NS1_11comp_targetILNS1_3genE3ELNS1_11target_archE908ELNS1_3gpuE7ELNS1_3repE0EEENS1_30default_config_static_selectorELNS0_4arch9wavefront6targetE0EEEvT1_
	.p2align	8
	.type	_ZN7rocprim17ROCPRIM_400000_NS6detail17trampoline_kernelINS0_14default_configENS1_35adjacent_difference_config_selectorILb1ElEEZNS1_24adjacent_difference_implIS3_Lb1ELb0EPlS7_ZN2at6native12_GLOBAL__N_124unique_dim_cuda_templateIfEESt5tupleIJNS8_6TensorESD_SD_EERKSD_lbbbEUlllE1_EE10hipError_tPvRmT2_T3_mT4_P12ihipStream_tbEUlT_E_NS1_11comp_targetILNS1_3genE3ELNS1_11target_archE908ELNS1_3gpuE7ELNS1_3repE0EEENS1_30default_config_static_selectorELNS0_4arch9wavefront6targetE0EEEvT1_,@function
_ZN7rocprim17ROCPRIM_400000_NS6detail17trampoline_kernelINS0_14default_configENS1_35adjacent_difference_config_selectorILb1ElEEZNS1_24adjacent_difference_implIS3_Lb1ELb0EPlS7_ZN2at6native12_GLOBAL__N_124unique_dim_cuda_templateIfEESt5tupleIJNS8_6TensorESD_SD_EERKSD_lbbbEUlllE1_EE10hipError_tPvRmT2_T3_mT4_P12ihipStream_tbEUlT_E_NS1_11comp_targetILNS1_3genE3ELNS1_11target_archE908ELNS1_3gpuE7ELNS1_3repE0EEENS1_30default_config_static_selectorELNS0_4arch9wavefront6targetE0EEEvT1_: ; @_ZN7rocprim17ROCPRIM_400000_NS6detail17trampoline_kernelINS0_14default_configENS1_35adjacent_difference_config_selectorILb1ElEEZNS1_24adjacent_difference_implIS3_Lb1ELb0EPlS7_ZN2at6native12_GLOBAL__N_124unique_dim_cuda_templateIfEESt5tupleIJNS8_6TensorESD_SD_EERKSD_lbbbEUlllE1_EE10hipError_tPvRmT2_T3_mT4_P12ihipStream_tbEUlT_E_NS1_11comp_targetILNS1_3genE3ELNS1_11target_archE908ELNS1_3gpuE7ELNS1_3repE0EEENS1_30default_config_static_selectorELNS0_4arch9wavefront6targetE0EEEvT1_
; %bb.0:
	.section	.rodata,"a",@progbits
	.p2align	6, 0x0
	.amdhsa_kernel _ZN7rocprim17ROCPRIM_400000_NS6detail17trampoline_kernelINS0_14default_configENS1_35adjacent_difference_config_selectorILb1ElEEZNS1_24adjacent_difference_implIS3_Lb1ELb0EPlS7_ZN2at6native12_GLOBAL__N_124unique_dim_cuda_templateIfEESt5tupleIJNS8_6TensorESD_SD_EERKSD_lbbbEUlllE1_EE10hipError_tPvRmT2_T3_mT4_P12ihipStream_tbEUlT_E_NS1_11comp_targetILNS1_3genE3ELNS1_11target_archE908ELNS1_3gpuE7ELNS1_3repE0EEENS1_30default_config_static_selectorELNS0_4arch9wavefront6targetE0EEEvT1_
		.amdhsa_group_segment_fixed_size 0
		.amdhsa_private_segment_fixed_size 0
		.amdhsa_kernarg_size 64
		.amdhsa_user_sgpr_count 15
		.amdhsa_user_sgpr_dispatch_ptr 0
		.amdhsa_user_sgpr_queue_ptr 0
		.amdhsa_user_sgpr_kernarg_segment_ptr 1
		.amdhsa_user_sgpr_dispatch_id 0
		.amdhsa_user_sgpr_private_segment_size 0
		.amdhsa_wavefront_size32 1
		.amdhsa_uses_dynamic_stack 0
		.amdhsa_enable_private_segment 0
		.amdhsa_system_sgpr_workgroup_id_x 1
		.amdhsa_system_sgpr_workgroup_id_y 0
		.amdhsa_system_sgpr_workgroup_id_z 0
		.amdhsa_system_sgpr_workgroup_info 0
		.amdhsa_system_vgpr_workitem_id 0
		.amdhsa_next_free_vgpr 1
		.amdhsa_next_free_sgpr 1
		.amdhsa_reserve_vcc 0
		.amdhsa_float_round_mode_32 0
		.amdhsa_float_round_mode_16_64 0
		.amdhsa_float_denorm_mode_32 3
		.amdhsa_float_denorm_mode_16_64 3
		.amdhsa_dx10_clamp 1
		.amdhsa_ieee_mode 1
		.amdhsa_fp16_overflow 0
		.amdhsa_workgroup_processor_mode 1
		.amdhsa_memory_ordered 1
		.amdhsa_forward_progress 0
		.amdhsa_shared_vgpr_count 0
		.amdhsa_exception_fp_ieee_invalid_op 0
		.amdhsa_exception_fp_denorm_src 0
		.amdhsa_exception_fp_ieee_div_zero 0
		.amdhsa_exception_fp_ieee_overflow 0
		.amdhsa_exception_fp_ieee_underflow 0
		.amdhsa_exception_fp_ieee_inexact 0
		.amdhsa_exception_int_div_zero 0
	.end_amdhsa_kernel
	.section	.text._ZN7rocprim17ROCPRIM_400000_NS6detail17trampoline_kernelINS0_14default_configENS1_35adjacent_difference_config_selectorILb1ElEEZNS1_24adjacent_difference_implIS3_Lb1ELb0EPlS7_ZN2at6native12_GLOBAL__N_124unique_dim_cuda_templateIfEESt5tupleIJNS8_6TensorESD_SD_EERKSD_lbbbEUlllE1_EE10hipError_tPvRmT2_T3_mT4_P12ihipStream_tbEUlT_E_NS1_11comp_targetILNS1_3genE3ELNS1_11target_archE908ELNS1_3gpuE7ELNS1_3repE0EEENS1_30default_config_static_selectorELNS0_4arch9wavefront6targetE0EEEvT1_,"axG",@progbits,_ZN7rocprim17ROCPRIM_400000_NS6detail17trampoline_kernelINS0_14default_configENS1_35adjacent_difference_config_selectorILb1ElEEZNS1_24adjacent_difference_implIS3_Lb1ELb0EPlS7_ZN2at6native12_GLOBAL__N_124unique_dim_cuda_templateIfEESt5tupleIJNS8_6TensorESD_SD_EERKSD_lbbbEUlllE1_EE10hipError_tPvRmT2_T3_mT4_P12ihipStream_tbEUlT_E_NS1_11comp_targetILNS1_3genE3ELNS1_11target_archE908ELNS1_3gpuE7ELNS1_3repE0EEENS1_30default_config_static_selectorELNS0_4arch9wavefront6targetE0EEEvT1_,comdat
.Lfunc_end925:
	.size	_ZN7rocprim17ROCPRIM_400000_NS6detail17trampoline_kernelINS0_14default_configENS1_35adjacent_difference_config_selectorILb1ElEEZNS1_24adjacent_difference_implIS3_Lb1ELb0EPlS7_ZN2at6native12_GLOBAL__N_124unique_dim_cuda_templateIfEESt5tupleIJNS8_6TensorESD_SD_EERKSD_lbbbEUlllE1_EE10hipError_tPvRmT2_T3_mT4_P12ihipStream_tbEUlT_E_NS1_11comp_targetILNS1_3genE3ELNS1_11target_archE908ELNS1_3gpuE7ELNS1_3repE0EEENS1_30default_config_static_selectorELNS0_4arch9wavefront6targetE0EEEvT1_, .Lfunc_end925-_ZN7rocprim17ROCPRIM_400000_NS6detail17trampoline_kernelINS0_14default_configENS1_35adjacent_difference_config_selectorILb1ElEEZNS1_24adjacent_difference_implIS3_Lb1ELb0EPlS7_ZN2at6native12_GLOBAL__N_124unique_dim_cuda_templateIfEESt5tupleIJNS8_6TensorESD_SD_EERKSD_lbbbEUlllE1_EE10hipError_tPvRmT2_T3_mT4_P12ihipStream_tbEUlT_E_NS1_11comp_targetILNS1_3genE3ELNS1_11target_archE908ELNS1_3gpuE7ELNS1_3repE0EEENS1_30default_config_static_selectorELNS0_4arch9wavefront6targetE0EEEvT1_
                                        ; -- End function
	.section	.AMDGPU.csdata,"",@progbits
; Kernel info:
; codeLenInByte = 0
; NumSgprs: 0
; NumVgprs: 0
; ScratchSize: 0
; MemoryBound: 0
; FloatMode: 240
; IeeeMode: 1
; LDSByteSize: 0 bytes/workgroup (compile time only)
; SGPRBlocks: 0
; VGPRBlocks: 0
; NumSGPRsForWavesPerEU: 1
; NumVGPRsForWavesPerEU: 1
; Occupancy: 16
; WaveLimiterHint : 0
; COMPUTE_PGM_RSRC2:SCRATCH_EN: 0
; COMPUTE_PGM_RSRC2:USER_SGPR: 15
; COMPUTE_PGM_RSRC2:TRAP_HANDLER: 0
; COMPUTE_PGM_RSRC2:TGID_X_EN: 1
; COMPUTE_PGM_RSRC2:TGID_Y_EN: 0
; COMPUTE_PGM_RSRC2:TGID_Z_EN: 0
; COMPUTE_PGM_RSRC2:TIDIG_COMP_CNT: 0
	.section	.text._ZN7rocprim17ROCPRIM_400000_NS6detail17trampoline_kernelINS0_14default_configENS1_35adjacent_difference_config_selectorILb1ElEEZNS1_24adjacent_difference_implIS3_Lb1ELb0EPlS7_ZN2at6native12_GLOBAL__N_124unique_dim_cuda_templateIfEESt5tupleIJNS8_6TensorESD_SD_EERKSD_lbbbEUlllE1_EE10hipError_tPvRmT2_T3_mT4_P12ihipStream_tbEUlT_E_NS1_11comp_targetILNS1_3genE2ELNS1_11target_archE906ELNS1_3gpuE6ELNS1_3repE0EEENS1_30default_config_static_selectorELNS0_4arch9wavefront6targetE0EEEvT1_,"axG",@progbits,_ZN7rocprim17ROCPRIM_400000_NS6detail17trampoline_kernelINS0_14default_configENS1_35adjacent_difference_config_selectorILb1ElEEZNS1_24adjacent_difference_implIS3_Lb1ELb0EPlS7_ZN2at6native12_GLOBAL__N_124unique_dim_cuda_templateIfEESt5tupleIJNS8_6TensorESD_SD_EERKSD_lbbbEUlllE1_EE10hipError_tPvRmT2_T3_mT4_P12ihipStream_tbEUlT_E_NS1_11comp_targetILNS1_3genE2ELNS1_11target_archE906ELNS1_3gpuE6ELNS1_3repE0EEENS1_30default_config_static_selectorELNS0_4arch9wavefront6targetE0EEEvT1_,comdat
	.globl	_ZN7rocprim17ROCPRIM_400000_NS6detail17trampoline_kernelINS0_14default_configENS1_35adjacent_difference_config_selectorILb1ElEEZNS1_24adjacent_difference_implIS3_Lb1ELb0EPlS7_ZN2at6native12_GLOBAL__N_124unique_dim_cuda_templateIfEESt5tupleIJNS8_6TensorESD_SD_EERKSD_lbbbEUlllE1_EE10hipError_tPvRmT2_T3_mT4_P12ihipStream_tbEUlT_E_NS1_11comp_targetILNS1_3genE2ELNS1_11target_archE906ELNS1_3gpuE6ELNS1_3repE0EEENS1_30default_config_static_selectorELNS0_4arch9wavefront6targetE0EEEvT1_ ; -- Begin function _ZN7rocprim17ROCPRIM_400000_NS6detail17trampoline_kernelINS0_14default_configENS1_35adjacent_difference_config_selectorILb1ElEEZNS1_24adjacent_difference_implIS3_Lb1ELb0EPlS7_ZN2at6native12_GLOBAL__N_124unique_dim_cuda_templateIfEESt5tupleIJNS8_6TensorESD_SD_EERKSD_lbbbEUlllE1_EE10hipError_tPvRmT2_T3_mT4_P12ihipStream_tbEUlT_E_NS1_11comp_targetILNS1_3genE2ELNS1_11target_archE906ELNS1_3gpuE6ELNS1_3repE0EEENS1_30default_config_static_selectorELNS0_4arch9wavefront6targetE0EEEvT1_
	.p2align	8
	.type	_ZN7rocprim17ROCPRIM_400000_NS6detail17trampoline_kernelINS0_14default_configENS1_35adjacent_difference_config_selectorILb1ElEEZNS1_24adjacent_difference_implIS3_Lb1ELb0EPlS7_ZN2at6native12_GLOBAL__N_124unique_dim_cuda_templateIfEESt5tupleIJNS8_6TensorESD_SD_EERKSD_lbbbEUlllE1_EE10hipError_tPvRmT2_T3_mT4_P12ihipStream_tbEUlT_E_NS1_11comp_targetILNS1_3genE2ELNS1_11target_archE906ELNS1_3gpuE6ELNS1_3repE0EEENS1_30default_config_static_selectorELNS0_4arch9wavefront6targetE0EEEvT1_,@function
_ZN7rocprim17ROCPRIM_400000_NS6detail17trampoline_kernelINS0_14default_configENS1_35adjacent_difference_config_selectorILb1ElEEZNS1_24adjacent_difference_implIS3_Lb1ELb0EPlS7_ZN2at6native12_GLOBAL__N_124unique_dim_cuda_templateIfEESt5tupleIJNS8_6TensorESD_SD_EERKSD_lbbbEUlllE1_EE10hipError_tPvRmT2_T3_mT4_P12ihipStream_tbEUlT_E_NS1_11comp_targetILNS1_3genE2ELNS1_11target_archE906ELNS1_3gpuE6ELNS1_3repE0EEENS1_30default_config_static_selectorELNS0_4arch9wavefront6targetE0EEEvT1_: ; @_ZN7rocprim17ROCPRIM_400000_NS6detail17trampoline_kernelINS0_14default_configENS1_35adjacent_difference_config_selectorILb1ElEEZNS1_24adjacent_difference_implIS3_Lb1ELb0EPlS7_ZN2at6native12_GLOBAL__N_124unique_dim_cuda_templateIfEESt5tupleIJNS8_6TensorESD_SD_EERKSD_lbbbEUlllE1_EE10hipError_tPvRmT2_T3_mT4_P12ihipStream_tbEUlT_E_NS1_11comp_targetILNS1_3genE2ELNS1_11target_archE906ELNS1_3gpuE6ELNS1_3repE0EEENS1_30default_config_static_selectorELNS0_4arch9wavefront6targetE0EEEvT1_
; %bb.0:
	.section	.rodata,"a",@progbits
	.p2align	6, 0x0
	.amdhsa_kernel _ZN7rocprim17ROCPRIM_400000_NS6detail17trampoline_kernelINS0_14default_configENS1_35adjacent_difference_config_selectorILb1ElEEZNS1_24adjacent_difference_implIS3_Lb1ELb0EPlS7_ZN2at6native12_GLOBAL__N_124unique_dim_cuda_templateIfEESt5tupleIJNS8_6TensorESD_SD_EERKSD_lbbbEUlllE1_EE10hipError_tPvRmT2_T3_mT4_P12ihipStream_tbEUlT_E_NS1_11comp_targetILNS1_3genE2ELNS1_11target_archE906ELNS1_3gpuE6ELNS1_3repE0EEENS1_30default_config_static_selectorELNS0_4arch9wavefront6targetE0EEEvT1_
		.amdhsa_group_segment_fixed_size 0
		.amdhsa_private_segment_fixed_size 0
		.amdhsa_kernarg_size 64
		.amdhsa_user_sgpr_count 15
		.amdhsa_user_sgpr_dispatch_ptr 0
		.amdhsa_user_sgpr_queue_ptr 0
		.amdhsa_user_sgpr_kernarg_segment_ptr 1
		.amdhsa_user_sgpr_dispatch_id 0
		.amdhsa_user_sgpr_private_segment_size 0
		.amdhsa_wavefront_size32 1
		.amdhsa_uses_dynamic_stack 0
		.amdhsa_enable_private_segment 0
		.amdhsa_system_sgpr_workgroup_id_x 1
		.amdhsa_system_sgpr_workgroup_id_y 0
		.amdhsa_system_sgpr_workgroup_id_z 0
		.amdhsa_system_sgpr_workgroup_info 0
		.amdhsa_system_vgpr_workitem_id 0
		.amdhsa_next_free_vgpr 1
		.amdhsa_next_free_sgpr 1
		.amdhsa_reserve_vcc 0
		.amdhsa_float_round_mode_32 0
		.amdhsa_float_round_mode_16_64 0
		.amdhsa_float_denorm_mode_32 3
		.amdhsa_float_denorm_mode_16_64 3
		.amdhsa_dx10_clamp 1
		.amdhsa_ieee_mode 1
		.amdhsa_fp16_overflow 0
		.amdhsa_workgroup_processor_mode 1
		.amdhsa_memory_ordered 1
		.amdhsa_forward_progress 0
		.amdhsa_shared_vgpr_count 0
		.amdhsa_exception_fp_ieee_invalid_op 0
		.amdhsa_exception_fp_denorm_src 0
		.amdhsa_exception_fp_ieee_div_zero 0
		.amdhsa_exception_fp_ieee_overflow 0
		.amdhsa_exception_fp_ieee_underflow 0
		.amdhsa_exception_fp_ieee_inexact 0
		.amdhsa_exception_int_div_zero 0
	.end_amdhsa_kernel
	.section	.text._ZN7rocprim17ROCPRIM_400000_NS6detail17trampoline_kernelINS0_14default_configENS1_35adjacent_difference_config_selectorILb1ElEEZNS1_24adjacent_difference_implIS3_Lb1ELb0EPlS7_ZN2at6native12_GLOBAL__N_124unique_dim_cuda_templateIfEESt5tupleIJNS8_6TensorESD_SD_EERKSD_lbbbEUlllE1_EE10hipError_tPvRmT2_T3_mT4_P12ihipStream_tbEUlT_E_NS1_11comp_targetILNS1_3genE2ELNS1_11target_archE906ELNS1_3gpuE6ELNS1_3repE0EEENS1_30default_config_static_selectorELNS0_4arch9wavefront6targetE0EEEvT1_,"axG",@progbits,_ZN7rocprim17ROCPRIM_400000_NS6detail17trampoline_kernelINS0_14default_configENS1_35adjacent_difference_config_selectorILb1ElEEZNS1_24adjacent_difference_implIS3_Lb1ELb0EPlS7_ZN2at6native12_GLOBAL__N_124unique_dim_cuda_templateIfEESt5tupleIJNS8_6TensorESD_SD_EERKSD_lbbbEUlllE1_EE10hipError_tPvRmT2_T3_mT4_P12ihipStream_tbEUlT_E_NS1_11comp_targetILNS1_3genE2ELNS1_11target_archE906ELNS1_3gpuE6ELNS1_3repE0EEENS1_30default_config_static_selectorELNS0_4arch9wavefront6targetE0EEEvT1_,comdat
.Lfunc_end926:
	.size	_ZN7rocprim17ROCPRIM_400000_NS6detail17trampoline_kernelINS0_14default_configENS1_35adjacent_difference_config_selectorILb1ElEEZNS1_24adjacent_difference_implIS3_Lb1ELb0EPlS7_ZN2at6native12_GLOBAL__N_124unique_dim_cuda_templateIfEESt5tupleIJNS8_6TensorESD_SD_EERKSD_lbbbEUlllE1_EE10hipError_tPvRmT2_T3_mT4_P12ihipStream_tbEUlT_E_NS1_11comp_targetILNS1_3genE2ELNS1_11target_archE906ELNS1_3gpuE6ELNS1_3repE0EEENS1_30default_config_static_selectorELNS0_4arch9wavefront6targetE0EEEvT1_, .Lfunc_end926-_ZN7rocprim17ROCPRIM_400000_NS6detail17trampoline_kernelINS0_14default_configENS1_35adjacent_difference_config_selectorILb1ElEEZNS1_24adjacent_difference_implIS3_Lb1ELb0EPlS7_ZN2at6native12_GLOBAL__N_124unique_dim_cuda_templateIfEESt5tupleIJNS8_6TensorESD_SD_EERKSD_lbbbEUlllE1_EE10hipError_tPvRmT2_T3_mT4_P12ihipStream_tbEUlT_E_NS1_11comp_targetILNS1_3genE2ELNS1_11target_archE906ELNS1_3gpuE6ELNS1_3repE0EEENS1_30default_config_static_selectorELNS0_4arch9wavefront6targetE0EEEvT1_
                                        ; -- End function
	.section	.AMDGPU.csdata,"",@progbits
; Kernel info:
; codeLenInByte = 0
; NumSgprs: 0
; NumVgprs: 0
; ScratchSize: 0
; MemoryBound: 0
; FloatMode: 240
; IeeeMode: 1
; LDSByteSize: 0 bytes/workgroup (compile time only)
; SGPRBlocks: 0
; VGPRBlocks: 0
; NumSGPRsForWavesPerEU: 1
; NumVGPRsForWavesPerEU: 1
; Occupancy: 16
; WaveLimiterHint : 0
; COMPUTE_PGM_RSRC2:SCRATCH_EN: 0
; COMPUTE_PGM_RSRC2:USER_SGPR: 15
; COMPUTE_PGM_RSRC2:TRAP_HANDLER: 0
; COMPUTE_PGM_RSRC2:TGID_X_EN: 1
; COMPUTE_PGM_RSRC2:TGID_Y_EN: 0
; COMPUTE_PGM_RSRC2:TGID_Z_EN: 0
; COMPUTE_PGM_RSRC2:TIDIG_COMP_CNT: 0
	.section	.text._ZN7rocprim17ROCPRIM_400000_NS6detail17trampoline_kernelINS0_14default_configENS1_35adjacent_difference_config_selectorILb1ElEEZNS1_24adjacent_difference_implIS3_Lb1ELb0EPlS7_ZN2at6native12_GLOBAL__N_124unique_dim_cuda_templateIfEESt5tupleIJNS8_6TensorESD_SD_EERKSD_lbbbEUlllE1_EE10hipError_tPvRmT2_T3_mT4_P12ihipStream_tbEUlT_E_NS1_11comp_targetILNS1_3genE9ELNS1_11target_archE1100ELNS1_3gpuE3ELNS1_3repE0EEENS1_30default_config_static_selectorELNS0_4arch9wavefront6targetE0EEEvT1_,"axG",@progbits,_ZN7rocprim17ROCPRIM_400000_NS6detail17trampoline_kernelINS0_14default_configENS1_35adjacent_difference_config_selectorILb1ElEEZNS1_24adjacent_difference_implIS3_Lb1ELb0EPlS7_ZN2at6native12_GLOBAL__N_124unique_dim_cuda_templateIfEESt5tupleIJNS8_6TensorESD_SD_EERKSD_lbbbEUlllE1_EE10hipError_tPvRmT2_T3_mT4_P12ihipStream_tbEUlT_E_NS1_11comp_targetILNS1_3genE9ELNS1_11target_archE1100ELNS1_3gpuE3ELNS1_3repE0EEENS1_30default_config_static_selectorELNS0_4arch9wavefront6targetE0EEEvT1_,comdat
	.globl	_ZN7rocprim17ROCPRIM_400000_NS6detail17trampoline_kernelINS0_14default_configENS1_35adjacent_difference_config_selectorILb1ElEEZNS1_24adjacent_difference_implIS3_Lb1ELb0EPlS7_ZN2at6native12_GLOBAL__N_124unique_dim_cuda_templateIfEESt5tupleIJNS8_6TensorESD_SD_EERKSD_lbbbEUlllE1_EE10hipError_tPvRmT2_T3_mT4_P12ihipStream_tbEUlT_E_NS1_11comp_targetILNS1_3genE9ELNS1_11target_archE1100ELNS1_3gpuE3ELNS1_3repE0EEENS1_30default_config_static_selectorELNS0_4arch9wavefront6targetE0EEEvT1_ ; -- Begin function _ZN7rocprim17ROCPRIM_400000_NS6detail17trampoline_kernelINS0_14default_configENS1_35adjacent_difference_config_selectorILb1ElEEZNS1_24adjacent_difference_implIS3_Lb1ELb0EPlS7_ZN2at6native12_GLOBAL__N_124unique_dim_cuda_templateIfEESt5tupleIJNS8_6TensorESD_SD_EERKSD_lbbbEUlllE1_EE10hipError_tPvRmT2_T3_mT4_P12ihipStream_tbEUlT_E_NS1_11comp_targetILNS1_3genE9ELNS1_11target_archE1100ELNS1_3gpuE3ELNS1_3repE0EEENS1_30default_config_static_selectorELNS0_4arch9wavefront6targetE0EEEvT1_
	.p2align	8
	.type	_ZN7rocprim17ROCPRIM_400000_NS6detail17trampoline_kernelINS0_14default_configENS1_35adjacent_difference_config_selectorILb1ElEEZNS1_24adjacent_difference_implIS3_Lb1ELb0EPlS7_ZN2at6native12_GLOBAL__N_124unique_dim_cuda_templateIfEESt5tupleIJNS8_6TensorESD_SD_EERKSD_lbbbEUlllE1_EE10hipError_tPvRmT2_T3_mT4_P12ihipStream_tbEUlT_E_NS1_11comp_targetILNS1_3genE9ELNS1_11target_archE1100ELNS1_3gpuE3ELNS1_3repE0EEENS1_30default_config_static_selectorELNS0_4arch9wavefront6targetE0EEEvT1_,@function
_ZN7rocprim17ROCPRIM_400000_NS6detail17trampoline_kernelINS0_14default_configENS1_35adjacent_difference_config_selectorILb1ElEEZNS1_24adjacent_difference_implIS3_Lb1ELb0EPlS7_ZN2at6native12_GLOBAL__N_124unique_dim_cuda_templateIfEESt5tupleIJNS8_6TensorESD_SD_EERKSD_lbbbEUlllE1_EE10hipError_tPvRmT2_T3_mT4_P12ihipStream_tbEUlT_E_NS1_11comp_targetILNS1_3genE9ELNS1_11target_archE1100ELNS1_3gpuE3ELNS1_3repE0EEENS1_30default_config_static_selectorELNS0_4arch9wavefront6targetE0EEEvT1_: ; @_ZN7rocprim17ROCPRIM_400000_NS6detail17trampoline_kernelINS0_14default_configENS1_35adjacent_difference_config_selectorILb1ElEEZNS1_24adjacent_difference_implIS3_Lb1ELb0EPlS7_ZN2at6native12_GLOBAL__N_124unique_dim_cuda_templateIfEESt5tupleIJNS8_6TensorESD_SD_EERKSD_lbbbEUlllE1_EE10hipError_tPvRmT2_T3_mT4_P12ihipStream_tbEUlT_E_NS1_11comp_targetILNS1_3genE9ELNS1_11target_archE1100ELNS1_3gpuE3ELNS1_3repE0EEENS1_30default_config_static_selectorELNS0_4arch9wavefront6targetE0EEEvT1_
; %bb.0:
	s_mov_b32 s22, s15
	s_load_b512 s[0:15], s[0:1], 0x0
	s_waitcnt lgkmcnt(0)
	s_lshl_b64 s[16:17], s[2:3], 3
	s_mov_b32 s2, 0x411a7a30
	s_add_u32 s27, s0, s16
	s_addc_u32 s28, s1, s17
	s_add_u32 s0, 0x76, s2
	s_addc_u32 s1, 0, 0
	v_add_co_u32 v1, s0, 0x20000000, s0
	s_delay_alu instid0(VALU_DEP_1) | instskip(SKIP_1) | instid1(VALU_DEP_1)
	s_cmp_lg_u32 s0, 0
	s_addc_u32 s1, s1, 0x11a7b9
	v_readfirstlane_b32 s0, v1
	s_mul_i32 s2, s1, 0xfffff180
	s_delay_alu instid0(VALU_DEP_1)
	s_mul_hi_u32 s3, s0, 0xfffff180
	s_mul_i32 s18, s0, 0xfffff180
	s_sub_i32 s3, s3, s0
	s_mul_hi_u32 s19, s0, s18
	s_add_i32 s3, s3, s2
	s_mul_hi_u32 s20, s1, s18
	s_mul_i32 s2, s1, s18
	s_mul_hi_u32 s18, s0, s3
	s_mul_i32 s0, s0, s3
	s_mul_hi_u32 s21, s1, s3
	s_add_u32 s0, s19, s0
	s_addc_u32 s18, 0, s18
	s_add_u32 s0, s0, s2
	s_mul_i32 s3, s1, s3
	s_addc_u32 s0, s18, s20
	s_addc_u32 s2, s21, 0
	s_add_u32 s0, s0, s3
	s_addc_u32 s2, 0, s2
	v_add_co_u32 v1, s0, v1, s0
	s_delay_alu instid0(VALU_DEP_1) | instskip(SKIP_1) | instid1(VALU_DEP_1)
	s_cmp_lg_u32 s0, 0
	s_addc_u32 s0, s1, s2
	v_readfirstlane_b32 s1, v1
	s_mul_i32 s3, s6, s0
	s_mul_hi_u32 s2, s6, s0
	s_mul_hi_u32 s18, s7, s0
	s_mul_i32 s0, s7, s0
	s_mul_hi_u32 s19, s6, s1
	s_mul_hi_u32 s20, s7, s1
	s_mul_i32 s1, s7, s1
	s_add_u32 s3, s19, s3
	s_addc_u32 s2, 0, s2
	s_add_u32 s1, s3, s1
	s_addc_u32 s1, s2, s20
	s_addc_u32 s2, s18, 0
	s_add_u32 s0, s1, s0
	s_addc_u32 s1, 0, s2
	s_mul_i32 s3, s0, 0xe80
	s_add_u32 s2, s0, 1
	v_sub_co_u32 v1, s3, s6, s3
	s_mul_hi_u32 s18, s0, 0xe80
	s_addc_u32 s19, s1, 0
	s_mul_i32 s20, s1, 0xe80
	s_delay_alu instid0(VALU_DEP_1)
	v_subrev_co_u32 v2, s21, 0xe80, v1
	s_add_u32 s23, s0, 2
	s_addc_u32 s24, s1, 0
	s_add_i32 s18, s18, s20
	s_cmp_lg_u32 s3, 0
	v_readfirstlane_b32 s3, v2
	s_subb_u32 s18, s7, s18
	s_cmp_lg_u32 s21, 0
	s_subb_u32 s20, s18, 0
	s_delay_alu instid0(VALU_DEP_1) | instskip(SKIP_4) | instid1(SALU_CYCLE_1)
	s_cmpk_gt_u32 s3, 0xe7f
	s_cselect_b32 s3, -1, 0
	s_cmp_eq_u32 s20, 0
	v_readfirstlane_b32 s20, v1
	s_cselect_b32 s3, s3, -1
	s_cmp_lg_u32 s3, 0
	s_cselect_b32 s2, s23, s2
	s_cselect_b32 s3, s24, s19
	s_cmpk_gt_u32 s20, 0xe7f
	s_mov_b32 s23, 0
	s_cselect_b32 s19, -1, 0
	s_cmp_eq_u32 s18, 0
	s_cselect_b32 s18, s19, -1
	s_delay_alu instid0(SALU_CYCLE_1)
	s_cmp_lg_u32 s18, 0
	s_cselect_b32 s3, s3, s1
	s_cselect_b32 s2, s2, s0
	s_mul_i32 s0, s3, 0xe80
	s_mul_hi_u32 s1, s2, 0xe80
	s_mul_i32 s18, s2, 0xe80
	s_add_i32 s1, s1, s0
	s_sub_u32 s0, s6, s18
	s_subb_u32 s1, s7, s1
	s_delay_alu instid0(SALU_CYCLE_1) | instskip(SKIP_1) | instid1(SALU_CYCLE_1)
	s_cmp_lg_u64 s[0:1], 0
	s_cselect_b32 s0, -1, 0
	v_cndmask_b32_e64 v1, 0, 1, s0
	s_delay_alu instid0(VALU_DEP_1) | instskip(NEXT) | instid1(VALU_DEP_1)
	v_readfirstlane_b32 s0, v1
	s_add_u32 s18, s2, s0
	s_addc_u32 s19, s3, 0
	s_add_u32 s20, s14, s22
	s_addc_u32 s21, s15, 0
	s_add_u32 s0, s18, -1
	s_addc_u32 s1, s19, -1
	s_mul_i32 s2, s22, 0xe80
	v_cmp_ge_u64_e64 s26, s[20:21], s[0:1]
	s_mov_b32 s3, -1
	s_mul_i32 s7, s0, 0xfffff180
	s_delay_alu instid0(VALU_DEP_1)
	s_and_b32 vcc_lo, exec_lo, s26
	s_cbranch_vccz .LBB927_60
; %bb.1:
	s_mov_b32 s3, s23
	s_add_i32 s29, s7, s6
	s_lshl_b64 s[24:25], s[2:3], 3
	s_mov_b32 s3, exec_lo
	s_add_u32 s24, s27, s24
	s_addc_u32 s25, s28, s25
                                        ; implicit-def: $vgpr1_vgpr2
	v_cmpx_gt_u32_e64 s29, v0
	s_cbranch_execz .LBB927_3
; %bb.2:
	v_lshlrev_b32_e32 v1, 3, v0
	global_load_b64 v[1:2], v1, s[24:25]
.LBB927_3:
	s_or_b32 exec_lo, exec_lo, s3
	v_or_b32_e32 v3, 0x80, v0
	s_delay_alu instid0(VALU_DEP_1)
	v_cmp_gt_u32_e32 vcc_lo, s29, v3
                                        ; implicit-def: $vgpr3_vgpr4
	s_and_saveexec_b32 s3, vcc_lo
	s_cbranch_execz .LBB927_5
; %bb.4:
	v_lshlrev_b32_e32 v3, 3, v0
	global_load_b64 v[3:4], v3, s[24:25] offset:1024
.LBB927_5:
	s_or_b32 exec_lo, exec_lo, s3
	v_or_b32_e32 v5, 0x100, v0
	s_delay_alu instid0(VALU_DEP_1)
	v_cmp_gt_u32_e32 vcc_lo, s29, v5
                                        ; implicit-def: $vgpr5_vgpr6
	s_and_saveexec_b32 s3, vcc_lo
	s_cbranch_execz .LBB927_7
; %bb.6:
	v_lshlrev_b32_e32 v5, 3, v0
	global_load_b64 v[5:6], v5, s[24:25] offset:2048
.LBB927_7:
	s_or_b32 exec_lo, exec_lo, s3
	v_or_b32_e32 v7, 0x180, v0
	s_delay_alu instid0(VALU_DEP_1)
	v_cmp_gt_u32_e32 vcc_lo, s29, v7
                                        ; implicit-def: $vgpr7_vgpr8
	s_and_saveexec_b32 s3, vcc_lo
	s_cbranch_execz .LBB927_9
; %bb.8:
	v_lshlrev_b32_e32 v7, 3, v0
	global_load_b64 v[7:8], v7, s[24:25] offset:3072
.LBB927_9:
	s_or_b32 exec_lo, exec_lo, s3
	v_or_b32_e32 v11, 0x200, v0
	s_mov_b32 s3, exec_lo
                                        ; implicit-def: $vgpr9_vgpr10
	s_delay_alu instid0(VALU_DEP_1)
	v_cmpx_gt_u32_e64 s29, v11
	s_cbranch_execz .LBB927_11
; %bb.10:
	v_lshlrev_b32_e32 v9, 3, v11
	global_load_b64 v[9:10], v9, s[24:25]
.LBB927_11:
	s_or_b32 exec_lo, exec_lo, s3
	v_or_b32_e32 v13, 0x280, v0
	s_mov_b32 s3, exec_lo
                                        ; implicit-def: $vgpr11_vgpr12
	s_delay_alu instid0(VALU_DEP_1)
	v_cmpx_gt_u32_e64 s29, v13
	s_cbranch_execz .LBB927_13
; %bb.12:
	v_lshlrev_b32_e32 v11, 3, v13
	global_load_b64 v[11:12], v11, s[24:25]
.LBB927_13:
	s_or_b32 exec_lo, exec_lo, s3
	v_or_b32_e32 v15, 0x300, v0
	s_mov_b32 s3, exec_lo
                                        ; implicit-def: $vgpr13_vgpr14
	s_delay_alu instid0(VALU_DEP_1)
	v_cmpx_gt_u32_e64 s29, v15
	s_cbranch_execz .LBB927_15
; %bb.14:
	v_lshlrev_b32_e32 v13, 3, v15
	global_load_b64 v[13:14], v13, s[24:25]
.LBB927_15:
	s_or_b32 exec_lo, exec_lo, s3
	v_or_b32_e32 v17, 0x380, v0
	s_mov_b32 s3, exec_lo
                                        ; implicit-def: $vgpr15_vgpr16
	s_delay_alu instid0(VALU_DEP_1)
	v_cmpx_gt_u32_e64 s29, v17
	s_cbranch_execz .LBB927_17
; %bb.16:
	v_lshlrev_b32_e32 v15, 3, v17
	global_load_b64 v[15:16], v15, s[24:25]
.LBB927_17:
	s_or_b32 exec_lo, exec_lo, s3
	v_or_b32_e32 v19, 0x400, v0
	s_mov_b32 s3, exec_lo
                                        ; implicit-def: $vgpr17_vgpr18
	s_delay_alu instid0(VALU_DEP_1)
	v_cmpx_gt_u32_e64 s29, v19
	s_cbranch_execz .LBB927_19
; %bb.18:
	v_lshlrev_b32_e32 v17, 3, v19
	global_load_b64 v[17:18], v17, s[24:25]
.LBB927_19:
	s_or_b32 exec_lo, exec_lo, s3
	v_or_b32_e32 v21, 0x480, v0
	s_mov_b32 s3, exec_lo
                                        ; implicit-def: $vgpr19_vgpr20
	s_delay_alu instid0(VALU_DEP_1)
	v_cmpx_gt_u32_e64 s29, v21
	s_cbranch_execz .LBB927_21
; %bb.20:
	v_lshlrev_b32_e32 v19, 3, v21
	global_load_b64 v[19:20], v19, s[24:25]
.LBB927_21:
	s_or_b32 exec_lo, exec_lo, s3
	v_or_b32_e32 v23, 0x500, v0
	s_mov_b32 s3, exec_lo
                                        ; implicit-def: $vgpr21_vgpr22
	s_delay_alu instid0(VALU_DEP_1)
	v_cmpx_gt_u32_e64 s29, v23
	s_cbranch_execz .LBB927_23
; %bb.22:
	v_lshlrev_b32_e32 v21, 3, v23
	global_load_b64 v[21:22], v21, s[24:25]
.LBB927_23:
	s_or_b32 exec_lo, exec_lo, s3
	v_or_b32_e32 v25, 0x580, v0
	s_mov_b32 s3, exec_lo
                                        ; implicit-def: $vgpr23_vgpr24
	s_delay_alu instid0(VALU_DEP_1)
	v_cmpx_gt_u32_e64 s29, v25
	s_cbranch_execz .LBB927_25
; %bb.24:
	v_lshlrev_b32_e32 v23, 3, v25
	global_load_b64 v[23:24], v23, s[24:25]
.LBB927_25:
	s_or_b32 exec_lo, exec_lo, s3
	v_or_b32_e32 v27, 0x600, v0
	s_mov_b32 s3, exec_lo
                                        ; implicit-def: $vgpr25_vgpr26
	s_delay_alu instid0(VALU_DEP_1)
	v_cmpx_gt_u32_e64 s29, v27
	s_cbranch_execz .LBB927_27
; %bb.26:
	v_lshlrev_b32_e32 v25, 3, v27
	global_load_b64 v[25:26], v25, s[24:25]
.LBB927_27:
	s_or_b32 exec_lo, exec_lo, s3
	v_or_b32_e32 v29, 0x680, v0
	s_mov_b32 s3, exec_lo
                                        ; implicit-def: $vgpr27_vgpr28
	s_delay_alu instid0(VALU_DEP_1)
	v_cmpx_gt_u32_e64 s29, v29
	s_cbranch_execz .LBB927_29
; %bb.28:
	v_lshlrev_b32_e32 v27, 3, v29
	global_load_b64 v[27:28], v27, s[24:25]
.LBB927_29:
	s_or_b32 exec_lo, exec_lo, s3
	v_or_b32_e32 v31, 0x700, v0
	s_mov_b32 s3, exec_lo
                                        ; implicit-def: $vgpr29_vgpr30
	s_delay_alu instid0(VALU_DEP_1)
	v_cmpx_gt_u32_e64 s29, v31
	s_cbranch_execz .LBB927_31
; %bb.30:
	v_lshlrev_b32_e32 v29, 3, v31
	global_load_b64 v[29:30], v29, s[24:25]
.LBB927_31:
	s_or_b32 exec_lo, exec_lo, s3
	v_or_b32_e32 v33, 0x780, v0
	s_mov_b32 s3, exec_lo
                                        ; implicit-def: $vgpr31_vgpr32
	s_delay_alu instid0(VALU_DEP_1)
	v_cmpx_gt_u32_e64 s29, v33
	s_cbranch_execz .LBB927_33
; %bb.32:
	v_lshlrev_b32_e32 v31, 3, v33
	global_load_b64 v[31:32], v31, s[24:25]
.LBB927_33:
	s_or_b32 exec_lo, exec_lo, s3
	v_or_b32_e32 v35, 0x800, v0
	s_mov_b32 s3, exec_lo
                                        ; implicit-def: $vgpr33_vgpr34
	s_delay_alu instid0(VALU_DEP_1)
	v_cmpx_gt_u32_e64 s29, v35
	s_cbranch_execz .LBB927_35
; %bb.34:
	v_lshlrev_b32_e32 v33, 3, v35
	global_load_b64 v[33:34], v33, s[24:25]
.LBB927_35:
	s_or_b32 exec_lo, exec_lo, s3
	v_or_b32_e32 v37, 0x880, v0
	s_mov_b32 s3, exec_lo
                                        ; implicit-def: $vgpr35_vgpr36
	s_delay_alu instid0(VALU_DEP_1)
	v_cmpx_gt_u32_e64 s29, v37
	s_cbranch_execz .LBB927_37
; %bb.36:
	v_lshlrev_b32_e32 v35, 3, v37
	global_load_b64 v[35:36], v35, s[24:25]
.LBB927_37:
	s_or_b32 exec_lo, exec_lo, s3
	v_or_b32_e32 v39, 0x900, v0
	s_mov_b32 s3, exec_lo
                                        ; implicit-def: $vgpr37_vgpr38
	s_delay_alu instid0(VALU_DEP_1)
	v_cmpx_gt_u32_e64 s29, v39
	s_cbranch_execz .LBB927_39
; %bb.38:
	v_lshlrev_b32_e32 v37, 3, v39
	global_load_b64 v[37:38], v37, s[24:25]
.LBB927_39:
	s_or_b32 exec_lo, exec_lo, s3
	v_or_b32_e32 v41, 0x980, v0
	s_mov_b32 s3, exec_lo
                                        ; implicit-def: $vgpr39_vgpr40
	s_delay_alu instid0(VALU_DEP_1)
	v_cmpx_gt_u32_e64 s29, v41
	s_cbranch_execz .LBB927_41
; %bb.40:
	v_lshlrev_b32_e32 v39, 3, v41
	global_load_b64 v[39:40], v39, s[24:25]
.LBB927_41:
	s_or_b32 exec_lo, exec_lo, s3
	v_or_b32_e32 v43, 0xa00, v0
	s_mov_b32 s3, exec_lo
                                        ; implicit-def: $vgpr41_vgpr42
	s_delay_alu instid0(VALU_DEP_1)
	v_cmpx_gt_u32_e64 s29, v43
	s_cbranch_execz .LBB927_43
; %bb.42:
	v_lshlrev_b32_e32 v41, 3, v43
	global_load_b64 v[41:42], v41, s[24:25]
.LBB927_43:
	s_or_b32 exec_lo, exec_lo, s3
	v_or_b32_e32 v45, 0xa80, v0
	s_mov_b32 s3, exec_lo
                                        ; implicit-def: $vgpr43_vgpr44
	s_delay_alu instid0(VALU_DEP_1)
	v_cmpx_gt_u32_e64 s29, v45
	s_cbranch_execz .LBB927_45
; %bb.44:
	v_lshlrev_b32_e32 v43, 3, v45
	global_load_b64 v[43:44], v43, s[24:25]
.LBB927_45:
	s_or_b32 exec_lo, exec_lo, s3
	v_or_b32_e32 v47, 0xb00, v0
	s_mov_b32 s3, exec_lo
                                        ; implicit-def: $vgpr45_vgpr46
	s_delay_alu instid0(VALU_DEP_1)
	v_cmpx_gt_u32_e64 s29, v47
	s_cbranch_execz .LBB927_47
; %bb.46:
	v_lshlrev_b32_e32 v45, 3, v47
	global_load_b64 v[45:46], v45, s[24:25]
.LBB927_47:
	s_or_b32 exec_lo, exec_lo, s3
	v_or_b32_e32 v49, 0xb80, v0
	s_mov_b32 s3, exec_lo
                                        ; implicit-def: $vgpr47_vgpr48
	s_delay_alu instid0(VALU_DEP_1)
	v_cmpx_gt_u32_e64 s29, v49
	s_cbranch_execz .LBB927_49
; %bb.48:
	v_lshlrev_b32_e32 v47, 3, v49
	global_load_b64 v[47:48], v47, s[24:25]
.LBB927_49:
	s_or_b32 exec_lo, exec_lo, s3
	v_or_b32_e32 v51, 0xc00, v0
	s_mov_b32 s3, exec_lo
                                        ; implicit-def: $vgpr49_vgpr50
	s_delay_alu instid0(VALU_DEP_1)
	v_cmpx_gt_u32_e64 s29, v51
	s_cbranch_execz .LBB927_51
; %bb.50:
	v_lshlrev_b32_e32 v49, 3, v51
	global_load_b64 v[49:50], v49, s[24:25]
.LBB927_51:
	s_or_b32 exec_lo, exec_lo, s3
	v_or_b32_e32 v53, 0xc80, v0
	s_mov_b32 s3, exec_lo
                                        ; implicit-def: $vgpr51_vgpr52
	s_delay_alu instid0(VALU_DEP_1)
	v_cmpx_gt_u32_e64 s29, v53
	s_cbranch_execz .LBB927_53
; %bb.52:
	v_lshlrev_b32_e32 v51, 3, v53
	global_load_b64 v[51:52], v51, s[24:25]
.LBB927_53:
	s_or_b32 exec_lo, exec_lo, s3
	v_or_b32_e32 v55, 0xd00, v0
	s_mov_b32 s3, exec_lo
                                        ; implicit-def: $vgpr53_vgpr54
	s_delay_alu instid0(VALU_DEP_1)
	v_cmpx_gt_u32_e64 s29, v55
	s_cbranch_execz .LBB927_55
; %bb.54:
	v_lshlrev_b32_e32 v53, 3, v55
	global_load_b64 v[53:54], v53, s[24:25]
.LBB927_55:
	s_or_b32 exec_lo, exec_lo, s3
	v_or_b32_e32 v57, 0xd80, v0
	s_mov_b32 s3, exec_lo
                                        ; implicit-def: $vgpr55_vgpr56
	s_delay_alu instid0(VALU_DEP_1)
	v_cmpx_gt_u32_e64 s29, v57
	s_cbranch_execz .LBB927_57
; %bb.56:
	v_lshlrev_b32_e32 v55, 3, v57
	global_load_b64 v[55:56], v55, s[24:25]
.LBB927_57:
	s_or_b32 exec_lo, exec_lo, s3
	v_or_b32_e32 v59, 0xe00, v0
	s_mov_b32 s3, exec_lo
                                        ; implicit-def: $vgpr57_vgpr58
	s_delay_alu instid0(VALU_DEP_1)
	v_cmpx_gt_u32_e64 s29, v59
	s_cbranch_execz .LBB927_59
; %bb.58:
	v_lshlrev_b32_e32 v57, 3, v59
	global_load_b64 v[57:58], v57, s[24:25]
.LBB927_59:
	s_or_b32 exec_lo, exec_lo, s3
	v_lshlrev_b32_e32 v59, 3, v0
	s_mov_b32 s3, 0
	s_waitcnt vmcnt(0)
	ds_store_2addr_stride64_b64 v59, v[1:2], v[3:4] offset1:2
	ds_store_2addr_stride64_b64 v59, v[5:6], v[7:8] offset0:4 offset1:6
	ds_store_2addr_stride64_b64 v59, v[9:10], v[11:12] offset0:8 offset1:10
	;; [unrolled: 1-line block ×13, first 2 shown]
	ds_store_b64 v59, v[57:58] offset:28672
	s_waitcnt lgkmcnt(0)
	s_barrier
.LBB927_60:
	v_lshlrev_b32_e32 v195, 3, v0
	s_and_b32 vcc_lo, exec_lo, s3
	s_cbranch_vccz .LBB927_62
; %bb.61:
	s_mov_b32 s3, 0
	s_delay_alu instid0(SALU_CYCLE_1) | instskip(NEXT) | instid1(SALU_CYCLE_1)
	s_lshl_b64 s[24:25], s[2:3], 3
	s_add_u32 s24, s27, s24
	s_addc_u32 s25, s28, s25
	v_add_co_u32 v49, s3, s24, v195
	s_delay_alu instid0(VALU_DEP_1)
	v_add_co_ci_u32_e64 v50, null, s25, 0, s3
	s_clause 0x3
	global_load_b64 v[1:2], v195, s[24:25]
	global_load_b64 v[3:4], v195, s[24:25] offset:1024
	global_load_b64 v[5:6], v195, s[24:25] offset:2048
	;; [unrolled: 1-line block ×3, first 2 shown]
	v_add_co_u32 v9, vcc_lo, 0x1000, v49
	v_add_co_ci_u32_e32 v10, vcc_lo, 0, v50, vcc_lo
	v_add_co_u32 v11, vcc_lo, v49, 0x2000
	v_add_co_ci_u32_e32 v12, vcc_lo, 0, v50, vcc_lo
	;; [unrolled: 2-line block ×10, first 2 shown]
	s_clause 0x18
	global_load_b64 v[15:16], v[11:12], off offset:-4096
	global_load_b64 v[17:18], v[9:10], off offset:1024
	global_load_b64 v[19:20], v[9:10], off offset:2048
	;; [unrolled: 1-line block ×12, first 2 shown]
	global_load_b64 v[11:12], v[11:12], off
	global_load_b64 v[43:44], v[25:26], off offset:-4096
	global_load_b64 v[25:26], v[25:26], off
	global_load_b64 v[45:46], v[39:40], off offset:-4096
	global_load_b64 v[39:40], v[39:40], off
	global_load_b64 v[51:52], v[41:42], off offset:1024
	global_load_b64 v[53:54], v[41:42], off offset:2048
	;; [unrolled: 1-line block ×6, first 2 shown]
	global_load_b64 v[49:50], v[49:50], off
	s_waitcnt vmcnt(27)
	ds_store_2addr_stride64_b64 v195, v[1:2], v[3:4] offset1:2
	s_waitcnt vmcnt(25)
	ds_store_2addr_stride64_b64 v195, v[5:6], v[7:8] offset0:4 offset1:6
	s_waitcnt vmcnt(23)
	ds_store_2addr_stride64_b64 v195, v[15:16], v[17:18] offset0:8 offset1:10
	;; [unrolled: 2-line block ×4, first 2 shown]
	ds_store_2addr_stride64_b64 v195, v[29:30], v[13:14] offset0:20 offset1:22
	s_waitcnt vmcnt(10)
	ds_store_2addr_stride64_b64 v195, v[43:44], v[31:32] offset0:24 offset1:26
	ds_store_2addr_stride64_b64 v195, v[33:34], v[23:24] offset0:28 offset1:30
	s_waitcnt vmcnt(9)
	ds_store_2addr_stride64_b64 v195, v[25:26], v[35:36] offset0:32 offset1:34
	;; [unrolled: 3-line block ×3, first 2 shown]
	s_waitcnt vmcnt(4)
	ds_store_2addr_stride64_b64 v195, v[53:54], v[41:42] offset0:44 offset1:46
	s_waitcnt vmcnt(3)
	ds_store_2addr_stride64_b64 v195, v[39:40], v[55:56] offset0:48 offset1:50
	;; [unrolled: 2-line block ×3, first 2 shown]
	s_waitcnt vmcnt(0)
	ds_store_b64 v195, v[49:50] offset:28672
	s_waitcnt lgkmcnt(0)
	s_barrier
.LBB927_62:
	v_mul_u32_u24_e32 v1, 29, v0
	buffer_gl0_inv
	s_cmp_eq_u64 s[20:21], 0
	v_lshlrev_b32_e32 v53, 3, v1
	ds_load_b64 v[109:110], v53 offset:224
	ds_load_2addr_b64 v[5:8], v53 offset0:26 offset1:27
	ds_load_2addr_b64 v[9:12], v53 offset0:24 offset1:25
	ds_load_2addr_b64 v[1:4], v53 offset1:1
	ds_load_2addr_b64 v[13:16], v53 offset0:2 offset1:3
	ds_load_2addr_b64 v[17:20], v53 offset0:4 offset1:5
	;; [unrolled: 1-line block ×11, first 2 shown]
	s_waitcnt lgkmcnt(0)
	s_barrier
	buffer_gl0_inv
	s_cbranch_scc1 .LBB927_71
; %bb.63:
	s_lshl_b64 s[14:15], s[14:15], 3
	s_delay_alu instid0(SALU_CYCLE_1) | instskip(SKIP_2) | instid1(SALU_CYCLE_1)
	s_add_u32 s3, s12, s14
	s_addc_u32 s14, s13, s15
	s_lshl_b64 s[12:13], s[22:23], 3
	s_add_u32 s3, s3, s12
	s_addc_u32 s13, s14, s13
	s_add_u32 s12, s3, -8
	s_addc_u32 s13, s13, -1
	s_cmp_lg_u64 s[20:21], s[0:1]
	s_load_b64 s[12:13], s[12:13], 0x0
	s_cbranch_scc0 .LBB927_72
; %bb.64:
	v_mul_lo_u32 v59, v8, s8
	v_mul_lo_u32 v60, v7, s9
	v_mad_u64_u32 v[57:58], null, v7, s8, 0
	v_mov_b32_e32 v113, 0
	v_mov_b32_e32 v114, 0
	v_cmp_lt_i64_e64 s0, s[8:9], 1
	v_cmp_gt_i64_e64 s1, s[8:9], 0
	s_delay_alu instid0(VALU_DEP_4) | instskip(SKIP_4) | instid1(VALU_DEP_1)
	v_mov_b32_e32 v111, v113
	ds_store_b64 v195, v[109:110]
	v_mov_b32_e32 v112, v114
	v_add3_u32 v58, v58, v60, v59
	s_and_b32 vcc_lo, exec_lo, s0
	v_lshlrev_b64 v[57:58], 2, v[57:58]
	s_cbranch_vccnz .LBB927_76
; %bb.65:
	v_mul_lo_u32 v61, v110, s8
	v_mul_lo_u32 v62, v109, s9
	v_mad_u64_u32 v[59:60], null, v109, s8, 0
	v_mov_b32_e32 v111, 1
	v_mov_b32_e32 v112, 0
	s_mov_b32 s3, exec_lo
	s_delay_alu instid0(VALU_DEP_3) | instskip(NEXT) | instid1(VALU_DEP_1)
	v_add3_u32 v60, v60, v62, v61
	v_lshlrev_b64 v[59:60], 2, v[59:60]
	s_delay_alu instid0(VALU_DEP_1) | instskip(NEXT) | instid1(VALU_DEP_2)
	v_add_co_u32 v61, vcc_lo, s10, v59
	v_add_co_ci_u32_e32 v62, vcc_lo, s11, v60, vcc_lo
	v_add_co_u32 v59, vcc_lo, s10, v57
	v_add_co_ci_u32_e32 v60, vcc_lo, s11, v58, vcc_lo
	s_clause 0x1
	global_load_b32 v63, v[61:62], off
	global_load_b32 v64, v[59:60], off
	s_waitcnt vmcnt(0)
	v_cmpx_eq_f32_e32 v63, v64
	s_cbranch_execz .LBB927_75
; %bb.66:
	v_add_co_u32 v59, vcc_lo, v59, 4
	v_add_co_ci_u32_e32 v60, vcc_lo, 0, v60, vcc_lo
	v_add_co_u32 v61, vcc_lo, v61, 4
	v_add_co_ci_u32_e32 v62, vcc_lo, 0, v62, vcc_lo
	s_add_u32 s14, s8, -1
	s_addc_u32 s15, s9, -1
	s_mov_b64 s[22:23], 0
	s_mov_b32 s21, 0
                                        ; implicit-def: $sgpr24
	s_set_inst_prefetch_distance 0x1
	s_branch .LBB927_69
	.p2align	6
.LBB927_67:                             ;   in Loop: Header=BB927_69 Depth=1
	global_load_b32 v63, v[61:62], off
	global_load_b32 v64, v[59:60], off
	v_add_co_u32 v59, vcc_lo, v59, 4
	v_add_co_ci_u32_e32 v60, vcc_lo, 0, v60, vcc_lo
	v_add_co_u32 v61, s0, v61, 4
	s_delay_alu instid0(VALU_DEP_1)
	v_add_co_ci_u32_e64 v62, s0, 0, v62, s0
	s_add_u32 s22, s22, 1
	s_addc_u32 s23, s23, 0
	s_and_not1_b32 s0, s24, exec_lo
	s_waitcnt vmcnt(0)
	v_cmp_neq_f32_e32 vcc_lo, v63, v64
	s_and_b32 s24, vcc_lo, exec_lo
	s_delay_alu instid0(SALU_CYCLE_1)
	s_or_b32 s24, s0, s24
.LBB927_68:                             ;   in Loop: Header=BB927_69 Depth=1
	v_dual_mov_b32 v64, s23 :: v_dual_mov_b32 v63, s22
	s_and_b32 s0, exec_lo, s24
	s_delay_alu instid0(SALU_CYCLE_1) | instskip(NEXT) | instid1(SALU_CYCLE_1)
	s_or_b32 s21, s0, s21
	s_and_not1_b32 exec_lo, exec_lo, s21
	s_cbranch_execz .LBB927_74
.LBB927_69:                             ; =>This Inner Loop Header: Depth=1
	s_or_b32 s24, s24, exec_lo
	s_cmp_eq_u64 s[14:15], s[22:23]
	s_cbranch_scc0 .LBB927_67
; %bb.70:                               ;   in Loop: Header=BB927_69 Depth=1
	s_mov_b64 s[22:23], s[8:9]
                                        ; implicit-def: $vgpr59_vgpr60
                                        ; implicit-def: $vgpr61_vgpr62
	s_branch .LBB927_68
.LBB927_71:
	s_mov_b32 s1, 0
                                        ; implicit-def: $sgpr0
                                        ; implicit-def: $vgpr165_vgpr166
                                        ; implicit-def: $vgpr163_vgpr164
                                        ; implicit-def: $vgpr161_vgpr162
                                        ; implicit-def: $vgpr159_vgpr160
                                        ; implicit-def: $vgpr157_vgpr158
                                        ; implicit-def: $vgpr155_vgpr156
                                        ; implicit-def: $vgpr153_vgpr154
                                        ; implicit-def: $vgpr151_vgpr152
                                        ; implicit-def: $vgpr149_vgpr150
                                        ; implicit-def: $vgpr147_vgpr148
                                        ; implicit-def: $vgpr145_vgpr146
                                        ; implicit-def: $vgpr143_vgpr144
                                        ; implicit-def: $vgpr141_vgpr142
                                        ; implicit-def: $vgpr139_vgpr140
                                        ; implicit-def: $vgpr137_vgpr138
                                        ; implicit-def: $vgpr135_vgpr136
                                        ; implicit-def: $vgpr133_vgpr134
                                        ; implicit-def: $vgpr131_vgpr132
                                        ; implicit-def: $vgpr129_vgpr130
                                        ; implicit-def: $vgpr127_vgpr128
                                        ; implicit-def: $vgpr125_vgpr126
                                        ; implicit-def: $vgpr123_vgpr124
                                        ; implicit-def: $vgpr121_vgpr122
                                        ; implicit-def: $vgpr119_vgpr120
                                        ; implicit-def: $vgpr117_vgpr118
                                        ; implicit-def: $vgpr113_vgpr114
                                        ; implicit-def: $vgpr115_vgpr116
                                        ; implicit-def: $vgpr111_vgpr112
                                        ; implicit-def: $vgpr181_vgpr182
                                        ; implicit-def: $vgpr167_vgpr168
                                        ; implicit-def: $vgpr169_vgpr170
                                        ; implicit-def: $vgpr171_vgpr172
                                        ; implicit-def: $vgpr173_vgpr174
                                        ; implicit-def: $vgpr175_vgpr176
                                        ; implicit-def: $vgpr177_vgpr178
                                        ; implicit-def: $vgpr179_vgpr180
                                        ; implicit-def: $vgpr183_vgpr184
                                        ; implicit-def: $vgpr185_vgpr186
                                        ; implicit-def: $vgpr187_vgpr188
                                        ; implicit-def: $vgpr189_vgpr190
                                        ; implicit-def: $vgpr191_vgpr192
                                        ; implicit-def: $vgpr193_vgpr194
                                        ; implicit-def: $vgpr57_vgpr58_vgpr59_vgpr60
                                        ; implicit-def: $vgpr61_vgpr62_vgpr63_vgpr64
                                        ; implicit-def: $vgpr65_vgpr66_vgpr67_vgpr68
                                        ; implicit-def: $vgpr69_vgpr70_vgpr71_vgpr72
                                        ; implicit-def: $vgpr73_vgpr74_vgpr75_vgpr76
                                        ; implicit-def: $vgpr77_vgpr78_vgpr79_vgpr80
                                        ; implicit-def: $vgpr81_vgpr82_vgpr83_vgpr84
                                        ; implicit-def: $vgpr85_vgpr86_vgpr87_vgpr88
                                        ; implicit-def: $vgpr89_vgpr90_vgpr91_vgpr92
                                        ; implicit-def: $vgpr93_vgpr94_vgpr95_vgpr96
                                        ; implicit-def: $vgpr97_vgpr98_vgpr99_vgpr100
                                        ; implicit-def: $vgpr101_vgpr102_vgpr103_vgpr104
                                        ; implicit-def: $vgpr105_vgpr106_vgpr107_vgpr108
	s_cbranch_execnz .LBB927_655
	s_branch .LBB927_1243
.LBB927_72:
	s_mov_b32 s1, 0
                                        ; implicit-def: $sgpr0
                                        ; implicit-def: $vgpr165_vgpr166
                                        ; implicit-def: $vgpr163_vgpr164
                                        ; implicit-def: $vgpr161_vgpr162
                                        ; implicit-def: $vgpr159_vgpr160
                                        ; implicit-def: $vgpr157_vgpr158
                                        ; implicit-def: $vgpr155_vgpr156
                                        ; implicit-def: $vgpr153_vgpr154
                                        ; implicit-def: $vgpr151_vgpr152
                                        ; implicit-def: $vgpr149_vgpr150
                                        ; implicit-def: $vgpr147_vgpr148
                                        ; implicit-def: $vgpr145_vgpr146
                                        ; implicit-def: $vgpr143_vgpr144
                                        ; implicit-def: $vgpr141_vgpr142
                                        ; implicit-def: $vgpr139_vgpr140
                                        ; implicit-def: $vgpr137_vgpr138
                                        ; implicit-def: $vgpr135_vgpr136
                                        ; implicit-def: $vgpr133_vgpr134
                                        ; implicit-def: $vgpr131_vgpr132
                                        ; implicit-def: $vgpr129_vgpr130
                                        ; implicit-def: $vgpr127_vgpr128
                                        ; implicit-def: $vgpr125_vgpr126
                                        ; implicit-def: $vgpr123_vgpr124
                                        ; implicit-def: $vgpr121_vgpr122
                                        ; implicit-def: $vgpr119_vgpr120
                                        ; implicit-def: $vgpr117_vgpr118
                                        ; implicit-def: $vgpr113_vgpr114
                                        ; implicit-def: $vgpr115_vgpr116
                                        ; implicit-def: $vgpr111_vgpr112
	s_cbranch_execnz .LBB927_332
.LBB927_73:
                                        ; implicit-def: $vgpr181_vgpr182
                                        ; implicit-def: $vgpr167_vgpr168
                                        ; implicit-def: $vgpr169_vgpr170
                                        ; implicit-def: $vgpr171_vgpr172
                                        ; implicit-def: $vgpr173_vgpr174
                                        ; implicit-def: $vgpr175_vgpr176
                                        ; implicit-def: $vgpr177_vgpr178
                                        ; implicit-def: $vgpr179_vgpr180
                                        ; implicit-def: $vgpr183_vgpr184
                                        ; implicit-def: $vgpr185_vgpr186
                                        ; implicit-def: $vgpr187_vgpr188
                                        ; implicit-def: $vgpr189_vgpr190
                                        ; implicit-def: $vgpr191_vgpr192
                                        ; implicit-def: $vgpr193_vgpr194
                                        ; implicit-def: $vgpr57_vgpr58_vgpr59_vgpr60
                                        ; implicit-def: $vgpr61_vgpr62_vgpr63_vgpr64
                                        ; implicit-def: $vgpr65_vgpr66_vgpr67_vgpr68
                                        ; implicit-def: $vgpr69_vgpr70_vgpr71_vgpr72
                                        ; implicit-def: $vgpr73_vgpr74_vgpr75_vgpr76
                                        ; implicit-def: $vgpr77_vgpr78_vgpr79_vgpr80
                                        ; implicit-def: $vgpr81_vgpr82_vgpr83_vgpr84
                                        ; implicit-def: $vgpr85_vgpr86_vgpr87_vgpr88
                                        ; implicit-def: $vgpr89_vgpr90_vgpr91_vgpr92
                                        ; implicit-def: $vgpr93_vgpr94_vgpr95_vgpr96
                                        ; implicit-def: $vgpr97_vgpr98_vgpr99_vgpr100
                                        ; implicit-def: $vgpr101_vgpr102_vgpr103_vgpr104
                                        ; implicit-def: $vgpr105_vgpr106_vgpr107_vgpr108
	s_branch .LBB927_1243
.LBB927_74:
	s_set_inst_prefetch_distance 0x2
	s_or_b32 exec_lo, exec_lo, s21
	v_cmp_gt_i64_e32 vcc_lo, s[8:9], v[63:64]
	s_mov_b32 s0, 0
	s_delay_alu instid0(SALU_CYCLE_1)
	v_mov_b32_e32 v112, s0
	v_cndmask_b32_e64 v111, 0, 1, vcc_lo
.LBB927_75:
	s_or_b32 exec_lo, exec_lo, s3
.LBB927_76:
	v_mul_lo_u32 v61, v6, s8
	v_mul_lo_u32 v62, v5, s9
	v_mad_u64_u32 v[59:60], null, v5, s8, 0
	v_cndmask_b32_e64 v65, 0, 1, s1
	v_dual_mov_b32 v116, v114 :: v_dual_mov_b32 v115, v113
	s_and_not1_b32 vcc_lo, exec_lo, s1
	s_delay_alu instid0(VALU_DEP_3) | instskip(NEXT) | instid1(VALU_DEP_1)
	v_add3_u32 v60, v60, v62, v61
	v_lshlrev_b64 v[59:60], 2, v[59:60]
	s_cbranch_vccnz .LBB927_85
; %bb.77:
	v_add_co_u32 v61, vcc_lo, s10, v57
	v_add_co_ci_u32_e32 v62, vcc_lo, s11, v58, vcc_lo
	s_delay_alu instid0(VALU_DEP_3) | instskip(NEXT) | instid1(VALU_DEP_4)
	v_add_co_u32 v57, vcc_lo, s10, v59
	v_add_co_ci_u32_e32 v58, vcc_lo, s11, v60, vcc_lo
	v_mov_b32_e32 v115, 1
	s_clause 0x1
	global_load_b32 v63, v[61:62], off
	global_load_b32 v64, v[57:58], off
	v_mov_b32_e32 v116, 0
	s_mov_b32 s1, exec_lo
	s_waitcnt vmcnt(0)
	v_cmpx_eq_f32_e32 v63, v64
	s_cbranch_execz .LBB927_84
; %bb.78:
	v_add_co_u32 v57, vcc_lo, v57, 4
	v_add_co_ci_u32_e32 v58, vcc_lo, 0, v58, vcc_lo
	v_add_co_u32 v61, vcc_lo, v61, 4
	v_add_co_ci_u32_e32 v62, vcc_lo, 0, v62, vcc_lo
	s_add_u32 s14, s8, -1
	s_addc_u32 s15, s9, -1
	s_mov_b64 s[22:23], 0
	s_mov_b32 s3, 0
                                        ; implicit-def: $sgpr21
	s_set_inst_prefetch_distance 0x1
	s_branch .LBB927_81
	.p2align	6
.LBB927_79:                             ;   in Loop: Header=BB927_81 Depth=1
	global_load_b32 v63, v[61:62], off
	global_load_b32 v64, v[57:58], off
	v_add_co_u32 v57, vcc_lo, v57, 4
	v_add_co_ci_u32_e32 v58, vcc_lo, 0, v58, vcc_lo
	v_add_co_u32 v61, s0, v61, 4
	s_delay_alu instid0(VALU_DEP_1)
	v_add_co_ci_u32_e64 v62, s0, 0, v62, s0
	s_add_u32 s22, s22, 1
	s_addc_u32 s23, s23, 0
	s_and_not1_b32 s0, s21, exec_lo
	s_waitcnt vmcnt(0)
	v_cmp_neq_f32_e32 vcc_lo, v63, v64
	s_and_b32 s21, vcc_lo, exec_lo
	s_delay_alu instid0(SALU_CYCLE_1)
	s_or_b32 s21, s0, s21
.LBB927_80:                             ;   in Loop: Header=BB927_81 Depth=1
	v_dual_mov_b32 v64, s23 :: v_dual_mov_b32 v63, s22
	s_and_b32 s0, exec_lo, s21
	s_delay_alu instid0(SALU_CYCLE_1) | instskip(NEXT) | instid1(SALU_CYCLE_1)
	s_or_b32 s3, s0, s3
	s_and_not1_b32 exec_lo, exec_lo, s3
	s_cbranch_execz .LBB927_83
.LBB927_81:                             ; =>This Inner Loop Header: Depth=1
	s_or_b32 s21, s21, exec_lo
	s_cmp_eq_u64 s[14:15], s[22:23]
	s_cbranch_scc0 .LBB927_79
; %bb.82:                               ;   in Loop: Header=BB927_81 Depth=1
	s_mov_b64 s[22:23], s[8:9]
                                        ; implicit-def: $vgpr57_vgpr58
                                        ; implicit-def: $vgpr61_vgpr62
	s_branch .LBB927_80
.LBB927_83:
	s_set_inst_prefetch_distance 0x2
	s_or_b32 exec_lo, exec_lo, s3
	v_cmp_gt_i64_e32 vcc_lo, s[8:9], v[63:64]
	s_mov_b32 s0, 0
	s_delay_alu instid0(SALU_CYCLE_1)
	v_mov_b32_e32 v116, s0
	v_cndmask_b32_e64 v115, 0, 1, vcc_lo
.LBB927_84:
	s_or_b32 exec_lo, exec_lo, s1
.LBB927_85:
	v_mul_lo_u32 v61, v12, s8
	v_mul_lo_u32 v62, v11, s9
	v_mad_u64_u32 v[57:58], null, v11, s8, 0
	v_cmp_ne_u32_e32 vcc_lo, 1, v65
	s_delay_alu instid0(VALU_DEP_2) | instskip(NEXT) | instid1(VALU_DEP_1)
	v_add3_u32 v58, v58, v62, v61
	v_lshlrev_b64 v[57:58], 2, v[57:58]
	s_cbranch_vccnz .LBB927_94
; %bb.86:
	v_add_co_u32 v61, vcc_lo, s10, v59
	v_add_co_ci_u32_e32 v62, vcc_lo, s11, v60, vcc_lo
	s_delay_alu instid0(VALU_DEP_3) | instskip(NEXT) | instid1(VALU_DEP_4)
	v_add_co_u32 v59, vcc_lo, s10, v57
	v_add_co_ci_u32_e32 v60, vcc_lo, s11, v58, vcc_lo
	v_mov_b32_e32 v113, 1
	s_clause 0x1
	global_load_b32 v63, v[61:62], off
	global_load_b32 v64, v[59:60], off
	v_mov_b32_e32 v114, 0
	s_mov_b32 s1, exec_lo
	s_waitcnt vmcnt(0)
	v_cmpx_eq_f32_e32 v63, v64
	s_cbranch_execz .LBB927_93
; %bb.87:
	v_add_co_u32 v59, vcc_lo, v59, 4
	v_add_co_ci_u32_e32 v60, vcc_lo, 0, v60, vcc_lo
	v_add_co_u32 v61, vcc_lo, v61, 4
	v_add_co_ci_u32_e32 v62, vcc_lo, 0, v62, vcc_lo
	s_add_u32 s14, s8, -1
	s_addc_u32 s15, s9, -1
	s_mov_b64 s[22:23], 0
	s_mov_b32 s3, 0
                                        ; implicit-def: $sgpr21
	s_set_inst_prefetch_distance 0x1
	s_branch .LBB927_90
	.p2align	6
.LBB927_88:                             ;   in Loop: Header=BB927_90 Depth=1
	global_load_b32 v63, v[61:62], off
	global_load_b32 v64, v[59:60], off
	v_add_co_u32 v59, vcc_lo, v59, 4
	v_add_co_ci_u32_e32 v60, vcc_lo, 0, v60, vcc_lo
	v_add_co_u32 v61, s0, v61, 4
	s_delay_alu instid0(VALU_DEP_1)
	v_add_co_ci_u32_e64 v62, s0, 0, v62, s0
	s_add_u32 s22, s22, 1
	s_addc_u32 s23, s23, 0
	s_and_not1_b32 s0, s21, exec_lo
	s_waitcnt vmcnt(0)
	v_cmp_neq_f32_e32 vcc_lo, v63, v64
	s_and_b32 s21, vcc_lo, exec_lo
	s_delay_alu instid0(SALU_CYCLE_1)
	s_or_b32 s21, s0, s21
.LBB927_89:                             ;   in Loop: Header=BB927_90 Depth=1
	v_dual_mov_b32 v64, s23 :: v_dual_mov_b32 v63, s22
	s_and_b32 s0, exec_lo, s21
	s_delay_alu instid0(SALU_CYCLE_1) | instskip(NEXT) | instid1(SALU_CYCLE_1)
	s_or_b32 s3, s0, s3
	s_and_not1_b32 exec_lo, exec_lo, s3
	s_cbranch_execz .LBB927_92
.LBB927_90:                             ; =>This Inner Loop Header: Depth=1
	s_or_b32 s21, s21, exec_lo
	s_cmp_eq_u64 s[14:15], s[22:23]
	s_cbranch_scc0 .LBB927_88
; %bb.91:                               ;   in Loop: Header=BB927_90 Depth=1
	s_mov_b64 s[22:23], s[8:9]
                                        ; implicit-def: $vgpr59_vgpr60
                                        ; implicit-def: $vgpr61_vgpr62
	s_branch .LBB927_89
.LBB927_92:
	s_set_inst_prefetch_distance 0x2
	s_or_b32 exec_lo, exec_lo, s3
	v_cmp_gt_i64_e32 vcc_lo, s[8:9], v[63:64]
	s_mov_b32 s0, 0
	s_delay_alu instid0(SALU_CYCLE_1)
	v_mov_b32_e32 v114, s0
	v_cndmask_b32_e64 v113, 0, 1, vcc_lo
.LBB927_93:
	s_or_b32 exec_lo, exec_lo, s1
.LBB927_94:
	v_mul_lo_u32 v61, v10, s8
	v_mul_lo_u32 v62, v9, s9
	v_mad_u64_u32 v[59:60], null, v9, s8, 0
	v_mov_b32_e32 v119, 0
	v_mov_b32_e32 v120, 0
	v_cmp_ne_u32_e32 vcc_lo, 1, v65
	s_delay_alu instid0(VALU_DEP_2) | instskip(SKIP_1) | instid1(VALU_DEP_1)
	v_dual_mov_b32 v117, v119 :: v_dual_mov_b32 v118, v120
	v_add3_u32 v60, v60, v62, v61
	v_lshlrev_b64 v[59:60], 2, v[59:60]
	s_cbranch_vccnz .LBB927_103
; %bb.95:
	v_add_co_u32 v61, vcc_lo, s10, v57
	v_add_co_ci_u32_e32 v62, vcc_lo, s11, v58, vcc_lo
	s_delay_alu instid0(VALU_DEP_3) | instskip(NEXT) | instid1(VALU_DEP_4)
	v_add_co_u32 v57, vcc_lo, s10, v59
	v_add_co_ci_u32_e32 v58, vcc_lo, s11, v60, vcc_lo
	v_mov_b32_e32 v117, 1
	s_clause 0x1
	global_load_b32 v63, v[61:62], off
	global_load_b32 v64, v[57:58], off
	v_mov_b32_e32 v118, 0
	s_mov_b32 s1, exec_lo
	s_waitcnt vmcnt(0)
	v_cmpx_eq_f32_e32 v63, v64
	s_cbranch_execz .LBB927_102
; %bb.96:
	v_add_co_u32 v57, vcc_lo, v57, 4
	v_add_co_ci_u32_e32 v58, vcc_lo, 0, v58, vcc_lo
	v_add_co_u32 v61, vcc_lo, v61, 4
	v_add_co_ci_u32_e32 v62, vcc_lo, 0, v62, vcc_lo
	s_add_u32 s14, s8, -1
	s_addc_u32 s15, s9, -1
	s_mov_b64 s[22:23], 0
	s_mov_b32 s3, 0
                                        ; implicit-def: $sgpr21
	s_set_inst_prefetch_distance 0x1
	s_branch .LBB927_99
	.p2align	6
.LBB927_97:                             ;   in Loop: Header=BB927_99 Depth=1
	global_load_b32 v63, v[61:62], off
	global_load_b32 v64, v[57:58], off
	v_add_co_u32 v57, vcc_lo, v57, 4
	v_add_co_ci_u32_e32 v58, vcc_lo, 0, v58, vcc_lo
	v_add_co_u32 v61, s0, v61, 4
	s_delay_alu instid0(VALU_DEP_1)
	v_add_co_ci_u32_e64 v62, s0, 0, v62, s0
	s_add_u32 s22, s22, 1
	s_addc_u32 s23, s23, 0
	s_and_not1_b32 s0, s21, exec_lo
	s_waitcnt vmcnt(0)
	v_cmp_neq_f32_e32 vcc_lo, v63, v64
	s_and_b32 s21, vcc_lo, exec_lo
	s_delay_alu instid0(SALU_CYCLE_1)
	s_or_b32 s21, s0, s21
.LBB927_98:                             ;   in Loop: Header=BB927_99 Depth=1
	v_dual_mov_b32 v64, s23 :: v_dual_mov_b32 v63, s22
	s_and_b32 s0, exec_lo, s21
	s_delay_alu instid0(SALU_CYCLE_1) | instskip(NEXT) | instid1(SALU_CYCLE_1)
	s_or_b32 s3, s0, s3
	s_and_not1_b32 exec_lo, exec_lo, s3
	s_cbranch_execz .LBB927_101
.LBB927_99:                             ; =>This Inner Loop Header: Depth=1
	s_or_b32 s21, s21, exec_lo
	s_cmp_eq_u64 s[14:15], s[22:23]
	s_cbranch_scc0 .LBB927_97
; %bb.100:                              ;   in Loop: Header=BB927_99 Depth=1
	s_mov_b64 s[22:23], s[8:9]
                                        ; implicit-def: $vgpr57_vgpr58
                                        ; implicit-def: $vgpr61_vgpr62
	s_branch .LBB927_98
.LBB927_101:
	s_set_inst_prefetch_distance 0x2
	s_or_b32 exec_lo, exec_lo, s3
	v_cmp_gt_i64_e32 vcc_lo, s[8:9], v[63:64]
	s_mov_b32 s0, 0
	s_delay_alu instid0(SALU_CYCLE_1)
	v_mov_b32_e32 v118, s0
	v_cndmask_b32_e64 v117, 0, 1, vcc_lo
.LBB927_102:
	s_or_b32 exec_lo, exec_lo, s1
.LBB927_103:
	v_mul_lo_u32 v61, v56, s8
	v_mul_lo_u32 v62, v55, s9
	v_mad_u64_u32 v[57:58], null, v55, s8, 0
	v_cmp_ne_u32_e32 vcc_lo, 1, v65
	s_delay_alu instid0(VALU_DEP_2) | instskip(NEXT) | instid1(VALU_DEP_1)
	v_add3_u32 v58, v58, v62, v61
	v_lshlrev_b64 v[57:58], 2, v[57:58]
	s_cbranch_vccnz .LBB927_112
; %bb.104:
	v_add_co_u32 v61, vcc_lo, s10, v59
	v_add_co_ci_u32_e32 v62, vcc_lo, s11, v60, vcc_lo
	s_delay_alu instid0(VALU_DEP_3) | instskip(NEXT) | instid1(VALU_DEP_4)
	v_add_co_u32 v59, vcc_lo, s10, v57
	v_add_co_ci_u32_e32 v60, vcc_lo, s11, v58, vcc_lo
	v_mov_b32_e32 v119, 1
	s_clause 0x1
	global_load_b32 v63, v[61:62], off
	global_load_b32 v64, v[59:60], off
	v_mov_b32_e32 v120, 0
	s_mov_b32 s1, exec_lo
	s_waitcnt vmcnt(0)
	v_cmpx_eq_f32_e32 v63, v64
	s_cbranch_execz .LBB927_111
; %bb.105:
	v_add_co_u32 v59, vcc_lo, v59, 4
	v_add_co_ci_u32_e32 v60, vcc_lo, 0, v60, vcc_lo
	v_add_co_u32 v61, vcc_lo, v61, 4
	v_add_co_ci_u32_e32 v62, vcc_lo, 0, v62, vcc_lo
	s_add_u32 s14, s8, -1
	s_addc_u32 s15, s9, -1
	s_mov_b64 s[22:23], 0
	s_mov_b32 s3, 0
                                        ; implicit-def: $sgpr21
	s_set_inst_prefetch_distance 0x1
	s_branch .LBB927_108
	.p2align	6
.LBB927_106:                            ;   in Loop: Header=BB927_108 Depth=1
	global_load_b32 v63, v[61:62], off
	global_load_b32 v64, v[59:60], off
	v_add_co_u32 v59, vcc_lo, v59, 4
	v_add_co_ci_u32_e32 v60, vcc_lo, 0, v60, vcc_lo
	v_add_co_u32 v61, s0, v61, 4
	s_delay_alu instid0(VALU_DEP_1)
	v_add_co_ci_u32_e64 v62, s0, 0, v62, s0
	s_add_u32 s22, s22, 1
	s_addc_u32 s23, s23, 0
	s_and_not1_b32 s0, s21, exec_lo
	s_waitcnt vmcnt(0)
	v_cmp_neq_f32_e32 vcc_lo, v63, v64
	s_and_b32 s21, vcc_lo, exec_lo
	s_delay_alu instid0(SALU_CYCLE_1)
	s_or_b32 s21, s0, s21
.LBB927_107:                            ;   in Loop: Header=BB927_108 Depth=1
	v_dual_mov_b32 v64, s23 :: v_dual_mov_b32 v63, s22
	s_and_b32 s0, exec_lo, s21
	s_delay_alu instid0(SALU_CYCLE_1) | instskip(NEXT) | instid1(SALU_CYCLE_1)
	s_or_b32 s3, s0, s3
	s_and_not1_b32 exec_lo, exec_lo, s3
	s_cbranch_execz .LBB927_110
.LBB927_108:                            ; =>This Inner Loop Header: Depth=1
	s_or_b32 s21, s21, exec_lo
	s_cmp_eq_u64 s[14:15], s[22:23]
	s_cbranch_scc0 .LBB927_106
; %bb.109:                              ;   in Loop: Header=BB927_108 Depth=1
	s_mov_b64 s[22:23], s[8:9]
                                        ; implicit-def: $vgpr59_vgpr60
                                        ; implicit-def: $vgpr61_vgpr62
	s_branch .LBB927_107
.LBB927_110:
	s_set_inst_prefetch_distance 0x2
	s_or_b32 exec_lo, exec_lo, s3
	v_cmp_gt_i64_e32 vcc_lo, s[8:9], v[63:64]
	s_mov_b32 s0, 0
	s_delay_alu instid0(SALU_CYCLE_1)
	v_mov_b32_e32 v120, s0
	v_cndmask_b32_e64 v119, 0, 1, vcc_lo
.LBB927_111:
	s_or_b32 exec_lo, exec_lo, s1
.LBB927_112:
	v_mul_lo_u32 v61, v54, s8
	v_mul_lo_u32 v62, v53, s9
	v_mad_u64_u32 v[59:60], null, v53, s8, 0
	v_mov_b32_e32 v123, 0
	v_mov_b32_e32 v124, 0
	v_cmp_ne_u32_e32 vcc_lo, 1, v65
	s_delay_alu instid0(VALU_DEP_2) | instskip(SKIP_1) | instid1(VALU_DEP_1)
	v_dual_mov_b32 v121, v123 :: v_dual_mov_b32 v122, v124
	v_add3_u32 v60, v60, v62, v61
	v_lshlrev_b64 v[59:60], 2, v[59:60]
	s_cbranch_vccnz .LBB927_121
; %bb.113:
	v_add_co_u32 v61, vcc_lo, s10, v57
	v_add_co_ci_u32_e32 v62, vcc_lo, s11, v58, vcc_lo
	s_delay_alu instid0(VALU_DEP_3) | instskip(NEXT) | instid1(VALU_DEP_4)
	v_add_co_u32 v57, vcc_lo, s10, v59
	v_add_co_ci_u32_e32 v58, vcc_lo, s11, v60, vcc_lo
	v_mov_b32_e32 v121, 1
	s_clause 0x1
	global_load_b32 v63, v[61:62], off
	global_load_b32 v64, v[57:58], off
	v_mov_b32_e32 v122, 0
	s_mov_b32 s1, exec_lo
	s_waitcnt vmcnt(0)
	v_cmpx_eq_f32_e32 v63, v64
	s_cbranch_execz .LBB927_120
; %bb.114:
	v_add_co_u32 v57, vcc_lo, v57, 4
	v_add_co_ci_u32_e32 v58, vcc_lo, 0, v58, vcc_lo
	v_add_co_u32 v61, vcc_lo, v61, 4
	v_add_co_ci_u32_e32 v62, vcc_lo, 0, v62, vcc_lo
	s_add_u32 s14, s8, -1
	s_addc_u32 s15, s9, -1
	s_mov_b64 s[22:23], 0
	s_mov_b32 s3, 0
                                        ; implicit-def: $sgpr21
	s_set_inst_prefetch_distance 0x1
	s_branch .LBB927_117
	.p2align	6
.LBB927_115:                            ;   in Loop: Header=BB927_117 Depth=1
	global_load_b32 v63, v[61:62], off
	global_load_b32 v64, v[57:58], off
	v_add_co_u32 v57, vcc_lo, v57, 4
	v_add_co_ci_u32_e32 v58, vcc_lo, 0, v58, vcc_lo
	v_add_co_u32 v61, s0, v61, 4
	s_delay_alu instid0(VALU_DEP_1)
	v_add_co_ci_u32_e64 v62, s0, 0, v62, s0
	s_add_u32 s22, s22, 1
	s_addc_u32 s23, s23, 0
	s_and_not1_b32 s0, s21, exec_lo
	s_waitcnt vmcnt(0)
	v_cmp_neq_f32_e32 vcc_lo, v63, v64
	s_and_b32 s21, vcc_lo, exec_lo
	s_delay_alu instid0(SALU_CYCLE_1)
	s_or_b32 s21, s0, s21
.LBB927_116:                            ;   in Loop: Header=BB927_117 Depth=1
	v_dual_mov_b32 v64, s23 :: v_dual_mov_b32 v63, s22
	s_and_b32 s0, exec_lo, s21
	s_delay_alu instid0(SALU_CYCLE_1) | instskip(NEXT) | instid1(SALU_CYCLE_1)
	s_or_b32 s3, s0, s3
	s_and_not1_b32 exec_lo, exec_lo, s3
	s_cbranch_execz .LBB927_119
.LBB927_117:                            ; =>This Inner Loop Header: Depth=1
	s_or_b32 s21, s21, exec_lo
	s_cmp_eq_u64 s[14:15], s[22:23]
	s_cbranch_scc0 .LBB927_115
; %bb.118:                              ;   in Loop: Header=BB927_117 Depth=1
	s_mov_b64 s[22:23], s[8:9]
                                        ; implicit-def: $vgpr57_vgpr58
                                        ; implicit-def: $vgpr61_vgpr62
	s_branch .LBB927_116
.LBB927_119:
	s_set_inst_prefetch_distance 0x2
	s_or_b32 exec_lo, exec_lo, s3
	v_cmp_gt_i64_e32 vcc_lo, s[8:9], v[63:64]
	s_mov_b32 s0, 0
	s_delay_alu instid0(SALU_CYCLE_1)
	v_mov_b32_e32 v122, s0
	v_cndmask_b32_e64 v121, 0, 1, vcc_lo
.LBB927_120:
	s_or_b32 exec_lo, exec_lo, s1
.LBB927_121:
	v_mul_lo_u32 v61, v52, s8
	v_mul_lo_u32 v62, v51, s9
	v_mad_u64_u32 v[57:58], null, v51, s8, 0
	v_cmp_ne_u32_e32 vcc_lo, 1, v65
	s_delay_alu instid0(VALU_DEP_2) | instskip(NEXT) | instid1(VALU_DEP_1)
	v_add3_u32 v58, v58, v62, v61
	v_lshlrev_b64 v[57:58], 2, v[57:58]
	s_cbranch_vccnz .LBB927_130
; %bb.122:
	v_add_co_u32 v61, vcc_lo, s10, v59
	v_add_co_ci_u32_e32 v62, vcc_lo, s11, v60, vcc_lo
	s_delay_alu instid0(VALU_DEP_3) | instskip(NEXT) | instid1(VALU_DEP_4)
	v_add_co_u32 v59, vcc_lo, s10, v57
	v_add_co_ci_u32_e32 v60, vcc_lo, s11, v58, vcc_lo
	v_mov_b32_e32 v123, 1
	s_clause 0x1
	global_load_b32 v63, v[61:62], off
	global_load_b32 v64, v[59:60], off
	v_mov_b32_e32 v124, 0
	s_mov_b32 s1, exec_lo
	s_waitcnt vmcnt(0)
	v_cmpx_eq_f32_e32 v63, v64
	s_cbranch_execz .LBB927_129
; %bb.123:
	v_add_co_u32 v59, vcc_lo, v59, 4
	v_add_co_ci_u32_e32 v60, vcc_lo, 0, v60, vcc_lo
	v_add_co_u32 v61, vcc_lo, v61, 4
	v_add_co_ci_u32_e32 v62, vcc_lo, 0, v62, vcc_lo
	s_add_u32 s14, s8, -1
	s_addc_u32 s15, s9, -1
	s_mov_b64 s[22:23], 0
	s_mov_b32 s3, 0
                                        ; implicit-def: $sgpr21
	s_set_inst_prefetch_distance 0x1
	s_branch .LBB927_126
	.p2align	6
.LBB927_124:                            ;   in Loop: Header=BB927_126 Depth=1
	global_load_b32 v63, v[61:62], off
	global_load_b32 v64, v[59:60], off
	v_add_co_u32 v59, vcc_lo, v59, 4
	v_add_co_ci_u32_e32 v60, vcc_lo, 0, v60, vcc_lo
	v_add_co_u32 v61, s0, v61, 4
	s_delay_alu instid0(VALU_DEP_1)
	v_add_co_ci_u32_e64 v62, s0, 0, v62, s0
	s_add_u32 s22, s22, 1
	s_addc_u32 s23, s23, 0
	s_and_not1_b32 s0, s21, exec_lo
	s_waitcnt vmcnt(0)
	v_cmp_neq_f32_e32 vcc_lo, v63, v64
	s_and_b32 s21, vcc_lo, exec_lo
	s_delay_alu instid0(SALU_CYCLE_1)
	s_or_b32 s21, s0, s21
.LBB927_125:                            ;   in Loop: Header=BB927_126 Depth=1
	v_dual_mov_b32 v64, s23 :: v_dual_mov_b32 v63, s22
	s_and_b32 s0, exec_lo, s21
	s_delay_alu instid0(SALU_CYCLE_1) | instskip(NEXT) | instid1(SALU_CYCLE_1)
	s_or_b32 s3, s0, s3
	s_and_not1_b32 exec_lo, exec_lo, s3
	s_cbranch_execz .LBB927_128
.LBB927_126:                            ; =>This Inner Loop Header: Depth=1
	s_or_b32 s21, s21, exec_lo
	s_cmp_eq_u64 s[14:15], s[22:23]
	s_cbranch_scc0 .LBB927_124
; %bb.127:                              ;   in Loop: Header=BB927_126 Depth=1
	s_mov_b64 s[22:23], s[8:9]
                                        ; implicit-def: $vgpr59_vgpr60
                                        ; implicit-def: $vgpr61_vgpr62
	s_branch .LBB927_125
.LBB927_128:
	s_set_inst_prefetch_distance 0x2
	s_or_b32 exec_lo, exec_lo, s3
	v_cmp_gt_i64_e32 vcc_lo, s[8:9], v[63:64]
	s_mov_b32 s0, 0
	s_delay_alu instid0(SALU_CYCLE_1)
	v_mov_b32_e32 v124, s0
	v_cndmask_b32_e64 v123, 0, 1, vcc_lo
.LBB927_129:
	s_or_b32 exec_lo, exec_lo, s1
.LBB927_130:
	v_mul_lo_u32 v61, v50, s8
	v_mul_lo_u32 v62, v49, s9
	v_mad_u64_u32 v[59:60], null, v49, s8, 0
	v_mov_b32_e32 v127, 0
	v_mov_b32_e32 v128, 0
	v_cmp_ne_u32_e32 vcc_lo, 1, v65
	s_delay_alu instid0(VALU_DEP_2) | instskip(SKIP_1) | instid1(VALU_DEP_1)
	v_dual_mov_b32 v125, v127 :: v_dual_mov_b32 v126, v128
	v_add3_u32 v60, v60, v62, v61
	v_lshlrev_b64 v[59:60], 2, v[59:60]
	s_cbranch_vccnz .LBB927_139
; %bb.131:
	v_add_co_u32 v61, vcc_lo, s10, v57
	v_add_co_ci_u32_e32 v62, vcc_lo, s11, v58, vcc_lo
	s_delay_alu instid0(VALU_DEP_3) | instskip(NEXT) | instid1(VALU_DEP_4)
	v_add_co_u32 v57, vcc_lo, s10, v59
	v_add_co_ci_u32_e32 v58, vcc_lo, s11, v60, vcc_lo
	v_mov_b32_e32 v125, 1
	s_clause 0x1
	global_load_b32 v63, v[61:62], off
	global_load_b32 v64, v[57:58], off
	v_mov_b32_e32 v126, 0
	s_mov_b32 s1, exec_lo
	s_waitcnt vmcnt(0)
	v_cmpx_eq_f32_e32 v63, v64
	s_cbranch_execz .LBB927_138
; %bb.132:
	v_add_co_u32 v57, vcc_lo, v57, 4
	v_add_co_ci_u32_e32 v58, vcc_lo, 0, v58, vcc_lo
	v_add_co_u32 v61, vcc_lo, v61, 4
	v_add_co_ci_u32_e32 v62, vcc_lo, 0, v62, vcc_lo
	s_add_u32 s14, s8, -1
	s_addc_u32 s15, s9, -1
	s_mov_b64 s[22:23], 0
	s_mov_b32 s3, 0
                                        ; implicit-def: $sgpr21
	s_set_inst_prefetch_distance 0x1
	s_branch .LBB927_135
	.p2align	6
.LBB927_133:                            ;   in Loop: Header=BB927_135 Depth=1
	global_load_b32 v63, v[61:62], off
	global_load_b32 v64, v[57:58], off
	v_add_co_u32 v57, vcc_lo, v57, 4
	v_add_co_ci_u32_e32 v58, vcc_lo, 0, v58, vcc_lo
	v_add_co_u32 v61, s0, v61, 4
	s_delay_alu instid0(VALU_DEP_1)
	v_add_co_ci_u32_e64 v62, s0, 0, v62, s0
	s_add_u32 s22, s22, 1
	s_addc_u32 s23, s23, 0
	s_and_not1_b32 s0, s21, exec_lo
	s_waitcnt vmcnt(0)
	v_cmp_neq_f32_e32 vcc_lo, v63, v64
	s_and_b32 s21, vcc_lo, exec_lo
	s_delay_alu instid0(SALU_CYCLE_1)
	s_or_b32 s21, s0, s21
.LBB927_134:                            ;   in Loop: Header=BB927_135 Depth=1
	v_dual_mov_b32 v64, s23 :: v_dual_mov_b32 v63, s22
	s_and_b32 s0, exec_lo, s21
	s_delay_alu instid0(SALU_CYCLE_1) | instskip(NEXT) | instid1(SALU_CYCLE_1)
	s_or_b32 s3, s0, s3
	s_and_not1_b32 exec_lo, exec_lo, s3
	s_cbranch_execz .LBB927_137
.LBB927_135:                            ; =>This Inner Loop Header: Depth=1
	s_or_b32 s21, s21, exec_lo
	s_cmp_eq_u64 s[14:15], s[22:23]
	s_cbranch_scc0 .LBB927_133
; %bb.136:                              ;   in Loop: Header=BB927_135 Depth=1
	s_mov_b64 s[22:23], s[8:9]
                                        ; implicit-def: $vgpr57_vgpr58
                                        ; implicit-def: $vgpr61_vgpr62
	s_branch .LBB927_134
.LBB927_137:
	s_set_inst_prefetch_distance 0x2
	s_or_b32 exec_lo, exec_lo, s3
	v_cmp_gt_i64_e32 vcc_lo, s[8:9], v[63:64]
	s_mov_b32 s0, 0
	s_delay_alu instid0(SALU_CYCLE_1)
	v_mov_b32_e32 v126, s0
	v_cndmask_b32_e64 v125, 0, 1, vcc_lo
.LBB927_138:
	s_or_b32 exec_lo, exec_lo, s1
.LBB927_139:
	v_mul_lo_u32 v61, v48, s8
	v_mul_lo_u32 v62, v47, s9
	v_mad_u64_u32 v[57:58], null, v47, s8, 0
	v_cmp_ne_u32_e32 vcc_lo, 1, v65
	s_delay_alu instid0(VALU_DEP_2) | instskip(NEXT) | instid1(VALU_DEP_1)
	v_add3_u32 v58, v58, v62, v61
	v_lshlrev_b64 v[57:58], 2, v[57:58]
	s_cbranch_vccnz .LBB927_148
; %bb.140:
	v_add_co_u32 v61, vcc_lo, s10, v59
	v_add_co_ci_u32_e32 v62, vcc_lo, s11, v60, vcc_lo
	s_delay_alu instid0(VALU_DEP_3) | instskip(NEXT) | instid1(VALU_DEP_4)
	v_add_co_u32 v59, vcc_lo, s10, v57
	v_add_co_ci_u32_e32 v60, vcc_lo, s11, v58, vcc_lo
	v_mov_b32_e32 v127, 1
	s_clause 0x1
	global_load_b32 v63, v[61:62], off
	global_load_b32 v64, v[59:60], off
	v_mov_b32_e32 v128, 0
	s_mov_b32 s1, exec_lo
	s_waitcnt vmcnt(0)
	v_cmpx_eq_f32_e32 v63, v64
	s_cbranch_execz .LBB927_147
; %bb.141:
	v_add_co_u32 v59, vcc_lo, v59, 4
	v_add_co_ci_u32_e32 v60, vcc_lo, 0, v60, vcc_lo
	v_add_co_u32 v61, vcc_lo, v61, 4
	v_add_co_ci_u32_e32 v62, vcc_lo, 0, v62, vcc_lo
	s_add_u32 s14, s8, -1
	s_addc_u32 s15, s9, -1
	s_mov_b64 s[22:23], 0
	s_mov_b32 s3, 0
                                        ; implicit-def: $sgpr21
	s_set_inst_prefetch_distance 0x1
	s_branch .LBB927_144
	.p2align	6
.LBB927_142:                            ;   in Loop: Header=BB927_144 Depth=1
	global_load_b32 v63, v[61:62], off
	global_load_b32 v64, v[59:60], off
	v_add_co_u32 v59, vcc_lo, v59, 4
	v_add_co_ci_u32_e32 v60, vcc_lo, 0, v60, vcc_lo
	v_add_co_u32 v61, s0, v61, 4
	s_delay_alu instid0(VALU_DEP_1)
	v_add_co_ci_u32_e64 v62, s0, 0, v62, s0
	s_add_u32 s22, s22, 1
	s_addc_u32 s23, s23, 0
	s_and_not1_b32 s0, s21, exec_lo
	s_waitcnt vmcnt(0)
	v_cmp_neq_f32_e32 vcc_lo, v63, v64
	s_and_b32 s21, vcc_lo, exec_lo
	s_delay_alu instid0(SALU_CYCLE_1)
	s_or_b32 s21, s0, s21
.LBB927_143:                            ;   in Loop: Header=BB927_144 Depth=1
	v_dual_mov_b32 v64, s23 :: v_dual_mov_b32 v63, s22
	s_and_b32 s0, exec_lo, s21
	s_delay_alu instid0(SALU_CYCLE_1) | instskip(NEXT) | instid1(SALU_CYCLE_1)
	s_or_b32 s3, s0, s3
	s_and_not1_b32 exec_lo, exec_lo, s3
	s_cbranch_execz .LBB927_146
.LBB927_144:                            ; =>This Inner Loop Header: Depth=1
	s_or_b32 s21, s21, exec_lo
	s_cmp_eq_u64 s[14:15], s[22:23]
	s_cbranch_scc0 .LBB927_142
; %bb.145:                              ;   in Loop: Header=BB927_144 Depth=1
	s_mov_b64 s[22:23], s[8:9]
                                        ; implicit-def: $vgpr59_vgpr60
                                        ; implicit-def: $vgpr61_vgpr62
	s_branch .LBB927_143
.LBB927_146:
	s_set_inst_prefetch_distance 0x2
	s_or_b32 exec_lo, exec_lo, s3
	v_cmp_gt_i64_e32 vcc_lo, s[8:9], v[63:64]
	s_mov_b32 s0, 0
	s_delay_alu instid0(SALU_CYCLE_1)
	v_mov_b32_e32 v128, s0
	v_cndmask_b32_e64 v127, 0, 1, vcc_lo
.LBB927_147:
	s_or_b32 exec_lo, exec_lo, s1
.LBB927_148:
	v_mul_lo_u32 v61, v46, s8
	v_mul_lo_u32 v62, v45, s9
	v_mad_u64_u32 v[59:60], null, v45, s8, 0
	v_mov_b32_e32 v131, 0
	v_mov_b32_e32 v132, 0
	v_cmp_ne_u32_e32 vcc_lo, 1, v65
	s_delay_alu instid0(VALU_DEP_2) | instskip(SKIP_1) | instid1(VALU_DEP_1)
	v_dual_mov_b32 v129, v131 :: v_dual_mov_b32 v130, v132
	v_add3_u32 v60, v60, v62, v61
	v_lshlrev_b64 v[59:60], 2, v[59:60]
	s_cbranch_vccnz .LBB927_157
; %bb.149:
	v_add_co_u32 v61, vcc_lo, s10, v57
	v_add_co_ci_u32_e32 v62, vcc_lo, s11, v58, vcc_lo
	s_delay_alu instid0(VALU_DEP_3) | instskip(NEXT) | instid1(VALU_DEP_4)
	v_add_co_u32 v57, vcc_lo, s10, v59
	v_add_co_ci_u32_e32 v58, vcc_lo, s11, v60, vcc_lo
	v_mov_b32_e32 v129, 1
	s_clause 0x1
	global_load_b32 v63, v[61:62], off
	global_load_b32 v64, v[57:58], off
	v_mov_b32_e32 v130, 0
	s_mov_b32 s1, exec_lo
	s_waitcnt vmcnt(0)
	v_cmpx_eq_f32_e32 v63, v64
	s_cbranch_execz .LBB927_156
; %bb.150:
	v_add_co_u32 v57, vcc_lo, v57, 4
	v_add_co_ci_u32_e32 v58, vcc_lo, 0, v58, vcc_lo
	v_add_co_u32 v61, vcc_lo, v61, 4
	v_add_co_ci_u32_e32 v62, vcc_lo, 0, v62, vcc_lo
	s_add_u32 s14, s8, -1
	s_addc_u32 s15, s9, -1
	s_mov_b64 s[22:23], 0
	s_mov_b32 s3, 0
                                        ; implicit-def: $sgpr21
	s_set_inst_prefetch_distance 0x1
	s_branch .LBB927_153
	.p2align	6
.LBB927_151:                            ;   in Loop: Header=BB927_153 Depth=1
	global_load_b32 v63, v[61:62], off
	global_load_b32 v64, v[57:58], off
	v_add_co_u32 v57, vcc_lo, v57, 4
	v_add_co_ci_u32_e32 v58, vcc_lo, 0, v58, vcc_lo
	v_add_co_u32 v61, s0, v61, 4
	s_delay_alu instid0(VALU_DEP_1)
	v_add_co_ci_u32_e64 v62, s0, 0, v62, s0
	s_add_u32 s22, s22, 1
	s_addc_u32 s23, s23, 0
	s_and_not1_b32 s0, s21, exec_lo
	s_waitcnt vmcnt(0)
	v_cmp_neq_f32_e32 vcc_lo, v63, v64
	s_and_b32 s21, vcc_lo, exec_lo
	s_delay_alu instid0(SALU_CYCLE_1)
	s_or_b32 s21, s0, s21
.LBB927_152:                            ;   in Loop: Header=BB927_153 Depth=1
	v_dual_mov_b32 v64, s23 :: v_dual_mov_b32 v63, s22
	s_and_b32 s0, exec_lo, s21
	s_delay_alu instid0(SALU_CYCLE_1) | instskip(NEXT) | instid1(SALU_CYCLE_1)
	s_or_b32 s3, s0, s3
	s_and_not1_b32 exec_lo, exec_lo, s3
	s_cbranch_execz .LBB927_155
.LBB927_153:                            ; =>This Inner Loop Header: Depth=1
	s_or_b32 s21, s21, exec_lo
	s_cmp_eq_u64 s[14:15], s[22:23]
	s_cbranch_scc0 .LBB927_151
; %bb.154:                              ;   in Loop: Header=BB927_153 Depth=1
	s_mov_b64 s[22:23], s[8:9]
                                        ; implicit-def: $vgpr57_vgpr58
                                        ; implicit-def: $vgpr61_vgpr62
	s_branch .LBB927_152
.LBB927_155:
	s_set_inst_prefetch_distance 0x2
	s_or_b32 exec_lo, exec_lo, s3
	v_cmp_gt_i64_e32 vcc_lo, s[8:9], v[63:64]
	s_mov_b32 s0, 0
	s_delay_alu instid0(SALU_CYCLE_1)
	v_mov_b32_e32 v130, s0
	v_cndmask_b32_e64 v129, 0, 1, vcc_lo
.LBB927_156:
	s_or_b32 exec_lo, exec_lo, s1
.LBB927_157:
	v_mul_lo_u32 v61, v44, s8
	v_mul_lo_u32 v62, v43, s9
	v_mad_u64_u32 v[57:58], null, v43, s8, 0
	v_cmp_ne_u32_e32 vcc_lo, 1, v65
	s_delay_alu instid0(VALU_DEP_2) | instskip(NEXT) | instid1(VALU_DEP_1)
	v_add3_u32 v58, v58, v62, v61
	v_lshlrev_b64 v[57:58], 2, v[57:58]
	s_cbranch_vccnz .LBB927_166
; %bb.158:
	v_add_co_u32 v61, vcc_lo, s10, v59
	v_add_co_ci_u32_e32 v62, vcc_lo, s11, v60, vcc_lo
	s_delay_alu instid0(VALU_DEP_3) | instskip(NEXT) | instid1(VALU_DEP_4)
	v_add_co_u32 v59, vcc_lo, s10, v57
	v_add_co_ci_u32_e32 v60, vcc_lo, s11, v58, vcc_lo
	v_mov_b32_e32 v131, 1
	s_clause 0x1
	global_load_b32 v63, v[61:62], off
	global_load_b32 v64, v[59:60], off
	v_mov_b32_e32 v132, 0
	s_mov_b32 s1, exec_lo
	s_waitcnt vmcnt(0)
	v_cmpx_eq_f32_e32 v63, v64
	s_cbranch_execz .LBB927_165
; %bb.159:
	v_add_co_u32 v59, vcc_lo, v59, 4
	v_add_co_ci_u32_e32 v60, vcc_lo, 0, v60, vcc_lo
	v_add_co_u32 v61, vcc_lo, v61, 4
	v_add_co_ci_u32_e32 v62, vcc_lo, 0, v62, vcc_lo
	s_add_u32 s14, s8, -1
	s_addc_u32 s15, s9, -1
	s_mov_b64 s[22:23], 0
	s_mov_b32 s3, 0
                                        ; implicit-def: $sgpr21
	s_set_inst_prefetch_distance 0x1
	s_branch .LBB927_162
	.p2align	6
.LBB927_160:                            ;   in Loop: Header=BB927_162 Depth=1
	global_load_b32 v63, v[61:62], off
	global_load_b32 v64, v[59:60], off
	v_add_co_u32 v59, vcc_lo, v59, 4
	v_add_co_ci_u32_e32 v60, vcc_lo, 0, v60, vcc_lo
	v_add_co_u32 v61, s0, v61, 4
	s_delay_alu instid0(VALU_DEP_1)
	v_add_co_ci_u32_e64 v62, s0, 0, v62, s0
	s_add_u32 s22, s22, 1
	s_addc_u32 s23, s23, 0
	s_and_not1_b32 s0, s21, exec_lo
	s_waitcnt vmcnt(0)
	v_cmp_neq_f32_e32 vcc_lo, v63, v64
	s_and_b32 s21, vcc_lo, exec_lo
	s_delay_alu instid0(SALU_CYCLE_1)
	s_or_b32 s21, s0, s21
.LBB927_161:                            ;   in Loop: Header=BB927_162 Depth=1
	v_dual_mov_b32 v64, s23 :: v_dual_mov_b32 v63, s22
	s_and_b32 s0, exec_lo, s21
	s_delay_alu instid0(SALU_CYCLE_1) | instskip(NEXT) | instid1(SALU_CYCLE_1)
	s_or_b32 s3, s0, s3
	s_and_not1_b32 exec_lo, exec_lo, s3
	s_cbranch_execz .LBB927_164
.LBB927_162:                            ; =>This Inner Loop Header: Depth=1
	s_or_b32 s21, s21, exec_lo
	s_cmp_eq_u64 s[14:15], s[22:23]
	s_cbranch_scc0 .LBB927_160
; %bb.163:                              ;   in Loop: Header=BB927_162 Depth=1
	s_mov_b64 s[22:23], s[8:9]
                                        ; implicit-def: $vgpr59_vgpr60
                                        ; implicit-def: $vgpr61_vgpr62
	s_branch .LBB927_161
.LBB927_164:
	s_set_inst_prefetch_distance 0x2
	s_or_b32 exec_lo, exec_lo, s3
	v_cmp_gt_i64_e32 vcc_lo, s[8:9], v[63:64]
	s_mov_b32 s0, 0
	s_delay_alu instid0(SALU_CYCLE_1)
	v_mov_b32_e32 v132, s0
	v_cndmask_b32_e64 v131, 0, 1, vcc_lo
.LBB927_165:
	s_or_b32 exec_lo, exec_lo, s1
.LBB927_166:
	v_mul_lo_u32 v61, v42, s8
	v_mul_lo_u32 v62, v41, s9
	v_mad_u64_u32 v[59:60], null, v41, s8, 0
	v_mov_b32_e32 v135, 0
	v_mov_b32_e32 v136, 0
	v_cmp_ne_u32_e32 vcc_lo, 1, v65
	s_delay_alu instid0(VALU_DEP_2) | instskip(SKIP_1) | instid1(VALU_DEP_1)
	v_dual_mov_b32 v133, v135 :: v_dual_mov_b32 v134, v136
	v_add3_u32 v60, v60, v62, v61
	v_lshlrev_b64 v[59:60], 2, v[59:60]
	s_cbranch_vccnz .LBB927_175
; %bb.167:
	v_add_co_u32 v61, vcc_lo, s10, v57
	v_add_co_ci_u32_e32 v62, vcc_lo, s11, v58, vcc_lo
	s_delay_alu instid0(VALU_DEP_3) | instskip(NEXT) | instid1(VALU_DEP_4)
	v_add_co_u32 v57, vcc_lo, s10, v59
	v_add_co_ci_u32_e32 v58, vcc_lo, s11, v60, vcc_lo
	v_mov_b32_e32 v133, 1
	s_clause 0x1
	global_load_b32 v63, v[61:62], off
	global_load_b32 v64, v[57:58], off
	v_mov_b32_e32 v134, 0
	s_mov_b32 s1, exec_lo
	s_waitcnt vmcnt(0)
	v_cmpx_eq_f32_e32 v63, v64
	s_cbranch_execz .LBB927_174
; %bb.168:
	v_add_co_u32 v57, vcc_lo, v57, 4
	v_add_co_ci_u32_e32 v58, vcc_lo, 0, v58, vcc_lo
	v_add_co_u32 v61, vcc_lo, v61, 4
	v_add_co_ci_u32_e32 v62, vcc_lo, 0, v62, vcc_lo
	s_add_u32 s14, s8, -1
	s_addc_u32 s15, s9, -1
	s_mov_b64 s[22:23], 0
	s_mov_b32 s3, 0
                                        ; implicit-def: $sgpr21
	s_set_inst_prefetch_distance 0x1
	s_branch .LBB927_171
	.p2align	6
.LBB927_169:                            ;   in Loop: Header=BB927_171 Depth=1
	global_load_b32 v63, v[61:62], off
	global_load_b32 v64, v[57:58], off
	v_add_co_u32 v57, vcc_lo, v57, 4
	v_add_co_ci_u32_e32 v58, vcc_lo, 0, v58, vcc_lo
	v_add_co_u32 v61, s0, v61, 4
	s_delay_alu instid0(VALU_DEP_1)
	v_add_co_ci_u32_e64 v62, s0, 0, v62, s0
	s_add_u32 s22, s22, 1
	s_addc_u32 s23, s23, 0
	s_and_not1_b32 s0, s21, exec_lo
	s_waitcnt vmcnt(0)
	v_cmp_neq_f32_e32 vcc_lo, v63, v64
	s_and_b32 s21, vcc_lo, exec_lo
	s_delay_alu instid0(SALU_CYCLE_1)
	s_or_b32 s21, s0, s21
.LBB927_170:                            ;   in Loop: Header=BB927_171 Depth=1
	v_dual_mov_b32 v64, s23 :: v_dual_mov_b32 v63, s22
	s_and_b32 s0, exec_lo, s21
	s_delay_alu instid0(SALU_CYCLE_1) | instskip(NEXT) | instid1(SALU_CYCLE_1)
	s_or_b32 s3, s0, s3
	s_and_not1_b32 exec_lo, exec_lo, s3
	s_cbranch_execz .LBB927_173
.LBB927_171:                            ; =>This Inner Loop Header: Depth=1
	s_or_b32 s21, s21, exec_lo
	s_cmp_eq_u64 s[14:15], s[22:23]
	s_cbranch_scc0 .LBB927_169
; %bb.172:                              ;   in Loop: Header=BB927_171 Depth=1
	s_mov_b64 s[22:23], s[8:9]
                                        ; implicit-def: $vgpr57_vgpr58
                                        ; implicit-def: $vgpr61_vgpr62
	s_branch .LBB927_170
.LBB927_173:
	s_set_inst_prefetch_distance 0x2
	s_or_b32 exec_lo, exec_lo, s3
	v_cmp_gt_i64_e32 vcc_lo, s[8:9], v[63:64]
	s_mov_b32 s0, 0
	s_delay_alu instid0(SALU_CYCLE_1)
	v_mov_b32_e32 v134, s0
	v_cndmask_b32_e64 v133, 0, 1, vcc_lo
.LBB927_174:
	s_or_b32 exec_lo, exec_lo, s1
.LBB927_175:
	v_mul_lo_u32 v61, v40, s8
	v_mul_lo_u32 v62, v39, s9
	v_mad_u64_u32 v[57:58], null, v39, s8, 0
	v_cmp_ne_u32_e32 vcc_lo, 1, v65
	s_delay_alu instid0(VALU_DEP_2) | instskip(NEXT) | instid1(VALU_DEP_1)
	v_add3_u32 v58, v58, v62, v61
	v_lshlrev_b64 v[57:58], 2, v[57:58]
	s_cbranch_vccnz .LBB927_184
; %bb.176:
	v_add_co_u32 v61, vcc_lo, s10, v59
	v_add_co_ci_u32_e32 v62, vcc_lo, s11, v60, vcc_lo
	s_delay_alu instid0(VALU_DEP_3) | instskip(NEXT) | instid1(VALU_DEP_4)
	v_add_co_u32 v59, vcc_lo, s10, v57
	v_add_co_ci_u32_e32 v60, vcc_lo, s11, v58, vcc_lo
	v_mov_b32_e32 v135, 1
	s_clause 0x1
	global_load_b32 v63, v[61:62], off
	global_load_b32 v64, v[59:60], off
	v_mov_b32_e32 v136, 0
	s_mov_b32 s1, exec_lo
	s_waitcnt vmcnt(0)
	v_cmpx_eq_f32_e32 v63, v64
	s_cbranch_execz .LBB927_183
; %bb.177:
	v_add_co_u32 v59, vcc_lo, v59, 4
	v_add_co_ci_u32_e32 v60, vcc_lo, 0, v60, vcc_lo
	v_add_co_u32 v61, vcc_lo, v61, 4
	v_add_co_ci_u32_e32 v62, vcc_lo, 0, v62, vcc_lo
	s_add_u32 s14, s8, -1
	s_addc_u32 s15, s9, -1
	s_mov_b64 s[22:23], 0
	s_mov_b32 s3, 0
                                        ; implicit-def: $sgpr21
	s_set_inst_prefetch_distance 0x1
	s_branch .LBB927_180
	.p2align	6
.LBB927_178:                            ;   in Loop: Header=BB927_180 Depth=1
	global_load_b32 v63, v[61:62], off
	global_load_b32 v64, v[59:60], off
	v_add_co_u32 v59, vcc_lo, v59, 4
	v_add_co_ci_u32_e32 v60, vcc_lo, 0, v60, vcc_lo
	v_add_co_u32 v61, s0, v61, 4
	s_delay_alu instid0(VALU_DEP_1)
	v_add_co_ci_u32_e64 v62, s0, 0, v62, s0
	s_add_u32 s22, s22, 1
	s_addc_u32 s23, s23, 0
	s_and_not1_b32 s0, s21, exec_lo
	s_waitcnt vmcnt(0)
	v_cmp_neq_f32_e32 vcc_lo, v63, v64
	s_and_b32 s21, vcc_lo, exec_lo
	s_delay_alu instid0(SALU_CYCLE_1)
	s_or_b32 s21, s0, s21
.LBB927_179:                            ;   in Loop: Header=BB927_180 Depth=1
	v_dual_mov_b32 v64, s23 :: v_dual_mov_b32 v63, s22
	s_and_b32 s0, exec_lo, s21
	s_delay_alu instid0(SALU_CYCLE_1) | instskip(NEXT) | instid1(SALU_CYCLE_1)
	s_or_b32 s3, s0, s3
	s_and_not1_b32 exec_lo, exec_lo, s3
	s_cbranch_execz .LBB927_182
.LBB927_180:                            ; =>This Inner Loop Header: Depth=1
	s_or_b32 s21, s21, exec_lo
	s_cmp_eq_u64 s[14:15], s[22:23]
	s_cbranch_scc0 .LBB927_178
; %bb.181:                              ;   in Loop: Header=BB927_180 Depth=1
	s_mov_b64 s[22:23], s[8:9]
                                        ; implicit-def: $vgpr59_vgpr60
                                        ; implicit-def: $vgpr61_vgpr62
	s_branch .LBB927_179
.LBB927_182:
	s_set_inst_prefetch_distance 0x2
	s_or_b32 exec_lo, exec_lo, s3
	v_cmp_gt_i64_e32 vcc_lo, s[8:9], v[63:64]
	s_mov_b32 s0, 0
	s_delay_alu instid0(SALU_CYCLE_1)
	v_mov_b32_e32 v136, s0
	v_cndmask_b32_e64 v135, 0, 1, vcc_lo
.LBB927_183:
	s_or_b32 exec_lo, exec_lo, s1
.LBB927_184:
	v_mul_lo_u32 v61, v38, s8
	v_mul_lo_u32 v62, v37, s9
	v_mad_u64_u32 v[59:60], null, v37, s8, 0
	v_mov_b32_e32 v139, 0
	v_mov_b32_e32 v140, 0
	v_cmp_ne_u32_e32 vcc_lo, 1, v65
	s_delay_alu instid0(VALU_DEP_2) | instskip(SKIP_1) | instid1(VALU_DEP_1)
	v_dual_mov_b32 v137, v139 :: v_dual_mov_b32 v138, v140
	v_add3_u32 v60, v60, v62, v61
	v_lshlrev_b64 v[59:60], 2, v[59:60]
	s_cbranch_vccnz .LBB927_193
; %bb.185:
	v_add_co_u32 v61, vcc_lo, s10, v57
	v_add_co_ci_u32_e32 v62, vcc_lo, s11, v58, vcc_lo
	s_delay_alu instid0(VALU_DEP_3) | instskip(NEXT) | instid1(VALU_DEP_4)
	v_add_co_u32 v57, vcc_lo, s10, v59
	v_add_co_ci_u32_e32 v58, vcc_lo, s11, v60, vcc_lo
	v_mov_b32_e32 v137, 1
	s_clause 0x1
	global_load_b32 v63, v[61:62], off
	global_load_b32 v64, v[57:58], off
	v_mov_b32_e32 v138, 0
	s_mov_b32 s1, exec_lo
	s_waitcnt vmcnt(0)
	v_cmpx_eq_f32_e32 v63, v64
	s_cbranch_execz .LBB927_192
; %bb.186:
	v_add_co_u32 v57, vcc_lo, v57, 4
	v_add_co_ci_u32_e32 v58, vcc_lo, 0, v58, vcc_lo
	v_add_co_u32 v61, vcc_lo, v61, 4
	v_add_co_ci_u32_e32 v62, vcc_lo, 0, v62, vcc_lo
	s_add_u32 s14, s8, -1
	s_addc_u32 s15, s9, -1
	s_mov_b64 s[22:23], 0
	s_mov_b32 s3, 0
                                        ; implicit-def: $sgpr21
	s_set_inst_prefetch_distance 0x1
	s_branch .LBB927_189
	.p2align	6
.LBB927_187:                            ;   in Loop: Header=BB927_189 Depth=1
	global_load_b32 v63, v[61:62], off
	global_load_b32 v64, v[57:58], off
	v_add_co_u32 v57, vcc_lo, v57, 4
	v_add_co_ci_u32_e32 v58, vcc_lo, 0, v58, vcc_lo
	v_add_co_u32 v61, s0, v61, 4
	s_delay_alu instid0(VALU_DEP_1)
	v_add_co_ci_u32_e64 v62, s0, 0, v62, s0
	s_add_u32 s22, s22, 1
	s_addc_u32 s23, s23, 0
	s_and_not1_b32 s0, s21, exec_lo
	s_waitcnt vmcnt(0)
	v_cmp_neq_f32_e32 vcc_lo, v63, v64
	s_and_b32 s21, vcc_lo, exec_lo
	s_delay_alu instid0(SALU_CYCLE_1)
	s_or_b32 s21, s0, s21
.LBB927_188:                            ;   in Loop: Header=BB927_189 Depth=1
	v_dual_mov_b32 v64, s23 :: v_dual_mov_b32 v63, s22
	s_and_b32 s0, exec_lo, s21
	s_delay_alu instid0(SALU_CYCLE_1) | instskip(NEXT) | instid1(SALU_CYCLE_1)
	s_or_b32 s3, s0, s3
	s_and_not1_b32 exec_lo, exec_lo, s3
	s_cbranch_execz .LBB927_191
.LBB927_189:                            ; =>This Inner Loop Header: Depth=1
	s_or_b32 s21, s21, exec_lo
	s_cmp_eq_u64 s[14:15], s[22:23]
	s_cbranch_scc0 .LBB927_187
; %bb.190:                              ;   in Loop: Header=BB927_189 Depth=1
	s_mov_b64 s[22:23], s[8:9]
                                        ; implicit-def: $vgpr57_vgpr58
                                        ; implicit-def: $vgpr61_vgpr62
	s_branch .LBB927_188
.LBB927_191:
	s_set_inst_prefetch_distance 0x2
	s_or_b32 exec_lo, exec_lo, s3
	v_cmp_gt_i64_e32 vcc_lo, s[8:9], v[63:64]
	s_mov_b32 s0, 0
	s_delay_alu instid0(SALU_CYCLE_1)
	v_mov_b32_e32 v138, s0
	v_cndmask_b32_e64 v137, 0, 1, vcc_lo
.LBB927_192:
	s_or_b32 exec_lo, exec_lo, s1
.LBB927_193:
	v_mul_lo_u32 v61, v36, s8
	v_mul_lo_u32 v62, v35, s9
	v_mad_u64_u32 v[57:58], null, v35, s8, 0
	v_cmp_ne_u32_e32 vcc_lo, 1, v65
	s_delay_alu instid0(VALU_DEP_2) | instskip(NEXT) | instid1(VALU_DEP_1)
	v_add3_u32 v58, v58, v62, v61
	v_lshlrev_b64 v[57:58], 2, v[57:58]
	s_cbranch_vccnz .LBB927_202
; %bb.194:
	v_add_co_u32 v61, vcc_lo, s10, v59
	v_add_co_ci_u32_e32 v62, vcc_lo, s11, v60, vcc_lo
	s_delay_alu instid0(VALU_DEP_3) | instskip(NEXT) | instid1(VALU_DEP_4)
	v_add_co_u32 v59, vcc_lo, s10, v57
	v_add_co_ci_u32_e32 v60, vcc_lo, s11, v58, vcc_lo
	v_mov_b32_e32 v139, 1
	s_clause 0x1
	global_load_b32 v63, v[61:62], off
	global_load_b32 v64, v[59:60], off
	v_mov_b32_e32 v140, 0
	s_mov_b32 s1, exec_lo
	s_waitcnt vmcnt(0)
	v_cmpx_eq_f32_e32 v63, v64
	s_cbranch_execz .LBB927_201
; %bb.195:
	v_add_co_u32 v59, vcc_lo, v59, 4
	v_add_co_ci_u32_e32 v60, vcc_lo, 0, v60, vcc_lo
	v_add_co_u32 v61, vcc_lo, v61, 4
	v_add_co_ci_u32_e32 v62, vcc_lo, 0, v62, vcc_lo
	s_add_u32 s14, s8, -1
	s_addc_u32 s15, s9, -1
	s_mov_b64 s[22:23], 0
	s_mov_b32 s3, 0
                                        ; implicit-def: $sgpr21
	s_set_inst_prefetch_distance 0x1
	s_branch .LBB927_198
	.p2align	6
.LBB927_196:                            ;   in Loop: Header=BB927_198 Depth=1
	global_load_b32 v63, v[61:62], off
	global_load_b32 v64, v[59:60], off
	v_add_co_u32 v59, vcc_lo, v59, 4
	v_add_co_ci_u32_e32 v60, vcc_lo, 0, v60, vcc_lo
	v_add_co_u32 v61, s0, v61, 4
	s_delay_alu instid0(VALU_DEP_1)
	v_add_co_ci_u32_e64 v62, s0, 0, v62, s0
	s_add_u32 s22, s22, 1
	s_addc_u32 s23, s23, 0
	s_and_not1_b32 s0, s21, exec_lo
	s_waitcnt vmcnt(0)
	v_cmp_neq_f32_e32 vcc_lo, v63, v64
	s_and_b32 s21, vcc_lo, exec_lo
	s_delay_alu instid0(SALU_CYCLE_1)
	s_or_b32 s21, s0, s21
.LBB927_197:                            ;   in Loop: Header=BB927_198 Depth=1
	v_dual_mov_b32 v64, s23 :: v_dual_mov_b32 v63, s22
	s_and_b32 s0, exec_lo, s21
	s_delay_alu instid0(SALU_CYCLE_1) | instskip(NEXT) | instid1(SALU_CYCLE_1)
	s_or_b32 s3, s0, s3
	s_and_not1_b32 exec_lo, exec_lo, s3
	s_cbranch_execz .LBB927_200
.LBB927_198:                            ; =>This Inner Loop Header: Depth=1
	s_or_b32 s21, s21, exec_lo
	s_cmp_eq_u64 s[14:15], s[22:23]
	s_cbranch_scc0 .LBB927_196
; %bb.199:                              ;   in Loop: Header=BB927_198 Depth=1
	s_mov_b64 s[22:23], s[8:9]
                                        ; implicit-def: $vgpr59_vgpr60
                                        ; implicit-def: $vgpr61_vgpr62
	s_branch .LBB927_197
.LBB927_200:
	s_set_inst_prefetch_distance 0x2
	s_or_b32 exec_lo, exec_lo, s3
	v_cmp_gt_i64_e32 vcc_lo, s[8:9], v[63:64]
	s_mov_b32 s0, 0
	s_delay_alu instid0(SALU_CYCLE_1)
	v_mov_b32_e32 v140, s0
	v_cndmask_b32_e64 v139, 0, 1, vcc_lo
.LBB927_201:
	s_or_b32 exec_lo, exec_lo, s1
.LBB927_202:
	v_mul_lo_u32 v61, v34, s8
	v_mul_lo_u32 v62, v33, s9
	v_mad_u64_u32 v[59:60], null, v33, s8, 0
	v_mov_b32_e32 v143, 0
	v_mov_b32_e32 v144, 0
	v_cmp_ne_u32_e32 vcc_lo, 1, v65
	s_delay_alu instid0(VALU_DEP_2) | instskip(SKIP_1) | instid1(VALU_DEP_1)
	v_dual_mov_b32 v141, v143 :: v_dual_mov_b32 v142, v144
	v_add3_u32 v60, v60, v62, v61
	v_lshlrev_b64 v[59:60], 2, v[59:60]
	s_cbranch_vccnz .LBB927_211
; %bb.203:
	v_add_co_u32 v61, vcc_lo, s10, v57
	v_add_co_ci_u32_e32 v62, vcc_lo, s11, v58, vcc_lo
	s_delay_alu instid0(VALU_DEP_3) | instskip(NEXT) | instid1(VALU_DEP_4)
	v_add_co_u32 v57, vcc_lo, s10, v59
	v_add_co_ci_u32_e32 v58, vcc_lo, s11, v60, vcc_lo
	v_mov_b32_e32 v141, 1
	s_clause 0x1
	global_load_b32 v63, v[61:62], off
	global_load_b32 v64, v[57:58], off
	v_mov_b32_e32 v142, 0
	s_mov_b32 s1, exec_lo
	s_waitcnt vmcnt(0)
	v_cmpx_eq_f32_e32 v63, v64
	s_cbranch_execz .LBB927_210
; %bb.204:
	v_add_co_u32 v57, vcc_lo, v57, 4
	v_add_co_ci_u32_e32 v58, vcc_lo, 0, v58, vcc_lo
	v_add_co_u32 v61, vcc_lo, v61, 4
	v_add_co_ci_u32_e32 v62, vcc_lo, 0, v62, vcc_lo
	s_add_u32 s14, s8, -1
	s_addc_u32 s15, s9, -1
	s_mov_b64 s[22:23], 0
	s_mov_b32 s3, 0
                                        ; implicit-def: $sgpr21
	s_set_inst_prefetch_distance 0x1
	s_branch .LBB927_207
	.p2align	6
.LBB927_205:                            ;   in Loop: Header=BB927_207 Depth=1
	global_load_b32 v63, v[61:62], off
	global_load_b32 v64, v[57:58], off
	v_add_co_u32 v57, vcc_lo, v57, 4
	v_add_co_ci_u32_e32 v58, vcc_lo, 0, v58, vcc_lo
	v_add_co_u32 v61, s0, v61, 4
	s_delay_alu instid0(VALU_DEP_1)
	v_add_co_ci_u32_e64 v62, s0, 0, v62, s0
	s_add_u32 s22, s22, 1
	s_addc_u32 s23, s23, 0
	s_and_not1_b32 s0, s21, exec_lo
	s_waitcnt vmcnt(0)
	v_cmp_neq_f32_e32 vcc_lo, v63, v64
	s_and_b32 s21, vcc_lo, exec_lo
	s_delay_alu instid0(SALU_CYCLE_1)
	s_or_b32 s21, s0, s21
.LBB927_206:                            ;   in Loop: Header=BB927_207 Depth=1
	v_dual_mov_b32 v64, s23 :: v_dual_mov_b32 v63, s22
	s_and_b32 s0, exec_lo, s21
	s_delay_alu instid0(SALU_CYCLE_1) | instskip(NEXT) | instid1(SALU_CYCLE_1)
	s_or_b32 s3, s0, s3
	s_and_not1_b32 exec_lo, exec_lo, s3
	s_cbranch_execz .LBB927_209
.LBB927_207:                            ; =>This Inner Loop Header: Depth=1
	s_or_b32 s21, s21, exec_lo
	s_cmp_eq_u64 s[14:15], s[22:23]
	s_cbranch_scc0 .LBB927_205
; %bb.208:                              ;   in Loop: Header=BB927_207 Depth=1
	s_mov_b64 s[22:23], s[8:9]
                                        ; implicit-def: $vgpr57_vgpr58
                                        ; implicit-def: $vgpr61_vgpr62
	s_branch .LBB927_206
.LBB927_209:
	s_set_inst_prefetch_distance 0x2
	s_or_b32 exec_lo, exec_lo, s3
	v_cmp_gt_i64_e32 vcc_lo, s[8:9], v[63:64]
	s_mov_b32 s0, 0
	s_delay_alu instid0(SALU_CYCLE_1)
	v_mov_b32_e32 v142, s0
	v_cndmask_b32_e64 v141, 0, 1, vcc_lo
.LBB927_210:
	s_or_b32 exec_lo, exec_lo, s1
.LBB927_211:
	v_mul_lo_u32 v61, v32, s8
	v_mul_lo_u32 v62, v31, s9
	v_mad_u64_u32 v[57:58], null, v31, s8, 0
	v_cmp_ne_u32_e32 vcc_lo, 1, v65
	s_delay_alu instid0(VALU_DEP_2) | instskip(NEXT) | instid1(VALU_DEP_1)
	v_add3_u32 v58, v58, v62, v61
	v_lshlrev_b64 v[57:58], 2, v[57:58]
	s_cbranch_vccnz .LBB927_220
; %bb.212:
	v_add_co_u32 v61, vcc_lo, s10, v59
	v_add_co_ci_u32_e32 v62, vcc_lo, s11, v60, vcc_lo
	s_delay_alu instid0(VALU_DEP_3) | instskip(NEXT) | instid1(VALU_DEP_4)
	v_add_co_u32 v59, vcc_lo, s10, v57
	v_add_co_ci_u32_e32 v60, vcc_lo, s11, v58, vcc_lo
	v_mov_b32_e32 v143, 1
	s_clause 0x1
	global_load_b32 v63, v[61:62], off
	global_load_b32 v64, v[59:60], off
	v_mov_b32_e32 v144, 0
	s_mov_b32 s1, exec_lo
	s_waitcnt vmcnt(0)
	v_cmpx_eq_f32_e32 v63, v64
	s_cbranch_execz .LBB927_219
; %bb.213:
	v_add_co_u32 v59, vcc_lo, v59, 4
	v_add_co_ci_u32_e32 v60, vcc_lo, 0, v60, vcc_lo
	v_add_co_u32 v61, vcc_lo, v61, 4
	v_add_co_ci_u32_e32 v62, vcc_lo, 0, v62, vcc_lo
	s_add_u32 s14, s8, -1
	s_addc_u32 s15, s9, -1
	s_mov_b64 s[22:23], 0
	s_mov_b32 s3, 0
                                        ; implicit-def: $sgpr21
	s_set_inst_prefetch_distance 0x1
	s_branch .LBB927_216
	.p2align	6
.LBB927_214:                            ;   in Loop: Header=BB927_216 Depth=1
	global_load_b32 v63, v[61:62], off
	global_load_b32 v64, v[59:60], off
	v_add_co_u32 v59, vcc_lo, v59, 4
	v_add_co_ci_u32_e32 v60, vcc_lo, 0, v60, vcc_lo
	v_add_co_u32 v61, s0, v61, 4
	s_delay_alu instid0(VALU_DEP_1)
	v_add_co_ci_u32_e64 v62, s0, 0, v62, s0
	s_add_u32 s22, s22, 1
	s_addc_u32 s23, s23, 0
	s_and_not1_b32 s0, s21, exec_lo
	s_waitcnt vmcnt(0)
	v_cmp_neq_f32_e32 vcc_lo, v63, v64
	s_and_b32 s21, vcc_lo, exec_lo
	s_delay_alu instid0(SALU_CYCLE_1)
	s_or_b32 s21, s0, s21
.LBB927_215:                            ;   in Loop: Header=BB927_216 Depth=1
	v_dual_mov_b32 v64, s23 :: v_dual_mov_b32 v63, s22
	s_and_b32 s0, exec_lo, s21
	s_delay_alu instid0(SALU_CYCLE_1) | instskip(NEXT) | instid1(SALU_CYCLE_1)
	s_or_b32 s3, s0, s3
	s_and_not1_b32 exec_lo, exec_lo, s3
	s_cbranch_execz .LBB927_218
.LBB927_216:                            ; =>This Inner Loop Header: Depth=1
	s_or_b32 s21, s21, exec_lo
	s_cmp_eq_u64 s[14:15], s[22:23]
	s_cbranch_scc0 .LBB927_214
; %bb.217:                              ;   in Loop: Header=BB927_216 Depth=1
	s_mov_b64 s[22:23], s[8:9]
                                        ; implicit-def: $vgpr59_vgpr60
                                        ; implicit-def: $vgpr61_vgpr62
	s_branch .LBB927_215
.LBB927_218:
	s_set_inst_prefetch_distance 0x2
	s_or_b32 exec_lo, exec_lo, s3
	v_cmp_gt_i64_e32 vcc_lo, s[8:9], v[63:64]
	s_mov_b32 s0, 0
	s_delay_alu instid0(SALU_CYCLE_1)
	v_mov_b32_e32 v144, s0
	v_cndmask_b32_e64 v143, 0, 1, vcc_lo
.LBB927_219:
	s_or_b32 exec_lo, exec_lo, s1
.LBB927_220:
	v_mul_lo_u32 v61, v30, s8
	v_mul_lo_u32 v62, v29, s9
	v_mad_u64_u32 v[59:60], null, v29, s8, 0
	v_mov_b32_e32 v147, 0
	v_mov_b32_e32 v148, 0
	v_cmp_ne_u32_e32 vcc_lo, 1, v65
	s_delay_alu instid0(VALU_DEP_2) | instskip(SKIP_1) | instid1(VALU_DEP_1)
	v_dual_mov_b32 v145, v147 :: v_dual_mov_b32 v146, v148
	v_add3_u32 v60, v60, v62, v61
	v_lshlrev_b64 v[59:60], 2, v[59:60]
	s_cbranch_vccnz .LBB927_229
; %bb.221:
	v_add_co_u32 v61, vcc_lo, s10, v57
	v_add_co_ci_u32_e32 v62, vcc_lo, s11, v58, vcc_lo
	s_delay_alu instid0(VALU_DEP_3) | instskip(NEXT) | instid1(VALU_DEP_4)
	v_add_co_u32 v57, vcc_lo, s10, v59
	v_add_co_ci_u32_e32 v58, vcc_lo, s11, v60, vcc_lo
	v_mov_b32_e32 v145, 1
	s_clause 0x1
	global_load_b32 v63, v[61:62], off
	global_load_b32 v64, v[57:58], off
	v_mov_b32_e32 v146, 0
	s_mov_b32 s1, exec_lo
	s_waitcnt vmcnt(0)
	v_cmpx_eq_f32_e32 v63, v64
	s_cbranch_execz .LBB927_228
; %bb.222:
	v_add_co_u32 v57, vcc_lo, v57, 4
	v_add_co_ci_u32_e32 v58, vcc_lo, 0, v58, vcc_lo
	v_add_co_u32 v61, vcc_lo, v61, 4
	v_add_co_ci_u32_e32 v62, vcc_lo, 0, v62, vcc_lo
	s_add_u32 s14, s8, -1
	s_addc_u32 s15, s9, -1
	s_mov_b64 s[22:23], 0
	s_mov_b32 s3, 0
                                        ; implicit-def: $sgpr21
	s_set_inst_prefetch_distance 0x1
	s_branch .LBB927_225
	.p2align	6
.LBB927_223:                            ;   in Loop: Header=BB927_225 Depth=1
	global_load_b32 v63, v[61:62], off
	global_load_b32 v64, v[57:58], off
	v_add_co_u32 v57, vcc_lo, v57, 4
	v_add_co_ci_u32_e32 v58, vcc_lo, 0, v58, vcc_lo
	v_add_co_u32 v61, s0, v61, 4
	s_delay_alu instid0(VALU_DEP_1)
	v_add_co_ci_u32_e64 v62, s0, 0, v62, s0
	s_add_u32 s22, s22, 1
	s_addc_u32 s23, s23, 0
	s_and_not1_b32 s0, s21, exec_lo
	s_waitcnt vmcnt(0)
	v_cmp_neq_f32_e32 vcc_lo, v63, v64
	s_and_b32 s21, vcc_lo, exec_lo
	s_delay_alu instid0(SALU_CYCLE_1)
	s_or_b32 s21, s0, s21
.LBB927_224:                            ;   in Loop: Header=BB927_225 Depth=1
	v_dual_mov_b32 v64, s23 :: v_dual_mov_b32 v63, s22
	s_and_b32 s0, exec_lo, s21
	s_delay_alu instid0(SALU_CYCLE_1) | instskip(NEXT) | instid1(SALU_CYCLE_1)
	s_or_b32 s3, s0, s3
	s_and_not1_b32 exec_lo, exec_lo, s3
	s_cbranch_execz .LBB927_227
.LBB927_225:                            ; =>This Inner Loop Header: Depth=1
	s_or_b32 s21, s21, exec_lo
	s_cmp_eq_u64 s[14:15], s[22:23]
	s_cbranch_scc0 .LBB927_223
; %bb.226:                              ;   in Loop: Header=BB927_225 Depth=1
	s_mov_b64 s[22:23], s[8:9]
                                        ; implicit-def: $vgpr57_vgpr58
                                        ; implicit-def: $vgpr61_vgpr62
	s_branch .LBB927_224
.LBB927_227:
	s_set_inst_prefetch_distance 0x2
	s_or_b32 exec_lo, exec_lo, s3
	v_cmp_gt_i64_e32 vcc_lo, s[8:9], v[63:64]
	s_mov_b32 s0, 0
	s_delay_alu instid0(SALU_CYCLE_1)
	v_mov_b32_e32 v146, s0
	v_cndmask_b32_e64 v145, 0, 1, vcc_lo
.LBB927_228:
	s_or_b32 exec_lo, exec_lo, s1
.LBB927_229:
	v_mul_lo_u32 v61, v28, s8
	v_mul_lo_u32 v62, v27, s9
	v_mad_u64_u32 v[57:58], null, v27, s8, 0
	v_cmp_ne_u32_e32 vcc_lo, 1, v65
	s_delay_alu instid0(VALU_DEP_2) | instskip(NEXT) | instid1(VALU_DEP_1)
	v_add3_u32 v58, v58, v62, v61
	v_lshlrev_b64 v[57:58], 2, v[57:58]
	s_cbranch_vccnz .LBB927_238
; %bb.230:
	v_add_co_u32 v61, vcc_lo, s10, v59
	v_add_co_ci_u32_e32 v62, vcc_lo, s11, v60, vcc_lo
	s_delay_alu instid0(VALU_DEP_3) | instskip(NEXT) | instid1(VALU_DEP_4)
	v_add_co_u32 v59, vcc_lo, s10, v57
	v_add_co_ci_u32_e32 v60, vcc_lo, s11, v58, vcc_lo
	v_mov_b32_e32 v147, 1
	s_clause 0x1
	global_load_b32 v63, v[61:62], off
	global_load_b32 v64, v[59:60], off
	v_mov_b32_e32 v148, 0
	s_mov_b32 s1, exec_lo
	s_waitcnt vmcnt(0)
	v_cmpx_eq_f32_e32 v63, v64
	s_cbranch_execz .LBB927_237
; %bb.231:
	v_add_co_u32 v59, vcc_lo, v59, 4
	v_add_co_ci_u32_e32 v60, vcc_lo, 0, v60, vcc_lo
	v_add_co_u32 v61, vcc_lo, v61, 4
	v_add_co_ci_u32_e32 v62, vcc_lo, 0, v62, vcc_lo
	s_add_u32 s14, s8, -1
	s_addc_u32 s15, s9, -1
	s_mov_b64 s[22:23], 0
	s_mov_b32 s3, 0
                                        ; implicit-def: $sgpr21
	s_set_inst_prefetch_distance 0x1
	s_branch .LBB927_234
	.p2align	6
.LBB927_232:                            ;   in Loop: Header=BB927_234 Depth=1
	global_load_b32 v63, v[61:62], off
	global_load_b32 v64, v[59:60], off
	v_add_co_u32 v59, vcc_lo, v59, 4
	v_add_co_ci_u32_e32 v60, vcc_lo, 0, v60, vcc_lo
	v_add_co_u32 v61, s0, v61, 4
	s_delay_alu instid0(VALU_DEP_1)
	v_add_co_ci_u32_e64 v62, s0, 0, v62, s0
	s_add_u32 s22, s22, 1
	s_addc_u32 s23, s23, 0
	s_and_not1_b32 s0, s21, exec_lo
	s_waitcnt vmcnt(0)
	v_cmp_neq_f32_e32 vcc_lo, v63, v64
	s_and_b32 s21, vcc_lo, exec_lo
	s_delay_alu instid0(SALU_CYCLE_1)
	s_or_b32 s21, s0, s21
.LBB927_233:                            ;   in Loop: Header=BB927_234 Depth=1
	v_dual_mov_b32 v64, s23 :: v_dual_mov_b32 v63, s22
	s_and_b32 s0, exec_lo, s21
	s_delay_alu instid0(SALU_CYCLE_1) | instskip(NEXT) | instid1(SALU_CYCLE_1)
	s_or_b32 s3, s0, s3
	s_and_not1_b32 exec_lo, exec_lo, s3
	s_cbranch_execz .LBB927_236
.LBB927_234:                            ; =>This Inner Loop Header: Depth=1
	s_or_b32 s21, s21, exec_lo
	s_cmp_eq_u64 s[14:15], s[22:23]
	s_cbranch_scc0 .LBB927_232
; %bb.235:                              ;   in Loop: Header=BB927_234 Depth=1
	s_mov_b64 s[22:23], s[8:9]
                                        ; implicit-def: $vgpr59_vgpr60
                                        ; implicit-def: $vgpr61_vgpr62
	s_branch .LBB927_233
.LBB927_236:
	s_set_inst_prefetch_distance 0x2
	s_or_b32 exec_lo, exec_lo, s3
	v_cmp_gt_i64_e32 vcc_lo, s[8:9], v[63:64]
	s_mov_b32 s0, 0
	s_delay_alu instid0(SALU_CYCLE_1)
	v_mov_b32_e32 v148, s0
	v_cndmask_b32_e64 v147, 0, 1, vcc_lo
.LBB927_237:
	s_or_b32 exec_lo, exec_lo, s1
.LBB927_238:
	v_mul_lo_u32 v61, v26, s8
	v_mul_lo_u32 v62, v25, s9
	v_mad_u64_u32 v[59:60], null, v25, s8, 0
	v_mov_b32_e32 v151, 0
	v_mov_b32_e32 v152, 0
	v_cmp_ne_u32_e32 vcc_lo, 1, v65
	s_delay_alu instid0(VALU_DEP_2) | instskip(SKIP_1) | instid1(VALU_DEP_1)
	v_dual_mov_b32 v149, v151 :: v_dual_mov_b32 v150, v152
	v_add3_u32 v60, v60, v62, v61
	v_lshlrev_b64 v[59:60], 2, v[59:60]
	s_cbranch_vccnz .LBB927_247
; %bb.239:
	v_add_co_u32 v61, vcc_lo, s10, v57
	v_add_co_ci_u32_e32 v62, vcc_lo, s11, v58, vcc_lo
	s_delay_alu instid0(VALU_DEP_3) | instskip(NEXT) | instid1(VALU_DEP_4)
	v_add_co_u32 v57, vcc_lo, s10, v59
	v_add_co_ci_u32_e32 v58, vcc_lo, s11, v60, vcc_lo
	v_mov_b32_e32 v149, 1
	s_clause 0x1
	global_load_b32 v63, v[61:62], off
	global_load_b32 v64, v[57:58], off
	v_mov_b32_e32 v150, 0
	s_mov_b32 s1, exec_lo
	s_waitcnt vmcnt(0)
	v_cmpx_eq_f32_e32 v63, v64
	s_cbranch_execz .LBB927_246
; %bb.240:
	v_add_co_u32 v57, vcc_lo, v57, 4
	v_add_co_ci_u32_e32 v58, vcc_lo, 0, v58, vcc_lo
	v_add_co_u32 v61, vcc_lo, v61, 4
	v_add_co_ci_u32_e32 v62, vcc_lo, 0, v62, vcc_lo
	s_add_u32 s14, s8, -1
	s_addc_u32 s15, s9, -1
	s_mov_b64 s[22:23], 0
	s_mov_b32 s3, 0
                                        ; implicit-def: $sgpr21
	s_set_inst_prefetch_distance 0x1
	s_branch .LBB927_243
	.p2align	6
.LBB927_241:                            ;   in Loop: Header=BB927_243 Depth=1
	global_load_b32 v63, v[61:62], off
	global_load_b32 v64, v[57:58], off
	v_add_co_u32 v57, vcc_lo, v57, 4
	v_add_co_ci_u32_e32 v58, vcc_lo, 0, v58, vcc_lo
	v_add_co_u32 v61, s0, v61, 4
	s_delay_alu instid0(VALU_DEP_1)
	v_add_co_ci_u32_e64 v62, s0, 0, v62, s0
	s_add_u32 s22, s22, 1
	s_addc_u32 s23, s23, 0
	s_and_not1_b32 s0, s21, exec_lo
	s_waitcnt vmcnt(0)
	v_cmp_neq_f32_e32 vcc_lo, v63, v64
	s_and_b32 s21, vcc_lo, exec_lo
	s_delay_alu instid0(SALU_CYCLE_1)
	s_or_b32 s21, s0, s21
.LBB927_242:                            ;   in Loop: Header=BB927_243 Depth=1
	v_dual_mov_b32 v64, s23 :: v_dual_mov_b32 v63, s22
	s_and_b32 s0, exec_lo, s21
	s_delay_alu instid0(SALU_CYCLE_1) | instskip(NEXT) | instid1(SALU_CYCLE_1)
	s_or_b32 s3, s0, s3
	s_and_not1_b32 exec_lo, exec_lo, s3
	s_cbranch_execz .LBB927_245
.LBB927_243:                            ; =>This Inner Loop Header: Depth=1
	s_or_b32 s21, s21, exec_lo
	s_cmp_eq_u64 s[14:15], s[22:23]
	s_cbranch_scc0 .LBB927_241
; %bb.244:                              ;   in Loop: Header=BB927_243 Depth=1
	s_mov_b64 s[22:23], s[8:9]
                                        ; implicit-def: $vgpr57_vgpr58
                                        ; implicit-def: $vgpr61_vgpr62
	s_branch .LBB927_242
.LBB927_245:
	s_set_inst_prefetch_distance 0x2
	s_or_b32 exec_lo, exec_lo, s3
	v_cmp_gt_i64_e32 vcc_lo, s[8:9], v[63:64]
	s_mov_b32 s0, 0
	s_delay_alu instid0(SALU_CYCLE_1)
	v_mov_b32_e32 v150, s0
	v_cndmask_b32_e64 v149, 0, 1, vcc_lo
.LBB927_246:
	s_or_b32 exec_lo, exec_lo, s1
.LBB927_247:
	v_mul_lo_u32 v61, v24, s8
	v_mul_lo_u32 v62, v23, s9
	v_mad_u64_u32 v[57:58], null, v23, s8, 0
	v_cmp_ne_u32_e32 vcc_lo, 1, v65
	s_delay_alu instid0(VALU_DEP_2) | instskip(NEXT) | instid1(VALU_DEP_1)
	v_add3_u32 v58, v58, v62, v61
	v_lshlrev_b64 v[57:58], 2, v[57:58]
	s_cbranch_vccnz .LBB927_256
; %bb.248:
	v_add_co_u32 v61, vcc_lo, s10, v59
	v_add_co_ci_u32_e32 v62, vcc_lo, s11, v60, vcc_lo
	s_delay_alu instid0(VALU_DEP_3) | instskip(NEXT) | instid1(VALU_DEP_4)
	v_add_co_u32 v59, vcc_lo, s10, v57
	v_add_co_ci_u32_e32 v60, vcc_lo, s11, v58, vcc_lo
	v_mov_b32_e32 v151, 1
	s_clause 0x1
	global_load_b32 v63, v[61:62], off
	global_load_b32 v64, v[59:60], off
	v_mov_b32_e32 v152, 0
	s_mov_b32 s1, exec_lo
	s_waitcnt vmcnt(0)
	v_cmpx_eq_f32_e32 v63, v64
	s_cbranch_execz .LBB927_255
; %bb.249:
	v_add_co_u32 v59, vcc_lo, v59, 4
	v_add_co_ci_u32_e32 v60, vcc_lo, 0, v60, vcc_lo
	v_add_co_u32 v61, vcc_lo, v61, 4
	v_add_co_ci_u32_e32 v62, vcc_lo, 0, v62, vcc_lo
	s_add_u32 s14, s8, -1
	s_addc_u32 s15, s9, -1
	s_mov_b64 s[22:23], 0
	s_mov_b32 s3, 0
                                        ; implicit-def: $sgpr21
	s_set_inst_prefetch_distance 0x1
	s_branch .LBB927_252
	.p2align	6
.LBB927_250:                            ;   in Loop: Header=BB927_252 Depth=1
	global_load_b32 v63, v[61:62], off
	global_load_b32 v64, v[59:60], off
	v_add_co_u32 v59, vcc_lo, v59, 4
	v_add_co_ci_u32_e32 v60, vcc_lo, 0, v60, vcc_lo
	v_add_co_u32 v61, s0, v61, 4
	s_delay_alu instid0(VALU_DEP_1)
	v_add_co_ci_u32_e64 v62, s0, 0, v62, s0
	s_add_u32 s22, s22, 1
	s_addc_u32 s23, s23, 0
	s_and_not1_b32 s0, s21, exec_lo
	s_waitcnt vmcnt(0)
	v_cmp_neq_f32_e32 vcc_lo, v63, v64
	s_and_b32 s21, vcc_lo, exec_lo
	s_delay_alu instid0(SALU_CYCLE_1)
	s_or_b32 s21, s0, s21
.LBB927_251:                            ;   in Loop: Header=BB927_252 Depth=1
	v_dual_mov_b32 v64, s23 :: v_dual_mov_b32 v63, s22
	s_and_b32 s0, exec_lo, s21
	s_delay_alu instid0(SALU_CYCLE_1) | instskip(NEXT) | instid1(SALU_CYCLE_1)
	s_or_b32 s3, s0, s3
	s_and_not1_b32 exec_lo, exec_lo, s3
	s_cbranch_execz .LBB927_254
.LBB927_252:                            ; =>This Inner Loop Header: Depth=1
	s_or_b32 s21, s21, exec_lo
	s_cmp_eq_u64 s[14:15], s[22:23]
	s_cbranch_scc0 .LBB927_250
; %bb.253:                              ;   in Loop: Header=BB927_252 Depth=1
	s_mov_b64 s[22:23], s[8:9]
                                        ; implicit-def: $vgpr59_vgpr60
                                        ; implicit-def: $vgpr61_vgpr62
	s_branch .LBB927_251
.LBB927_254:
	s_set_inst_prefetch_distance 0x2
	s_or_b32 exec_lo, exec_lo, s3
	v_cmp_gt_i64_e32 vcc_lo, s[8:9], v[63:64]
	s_mov_b32 s0, 0
	s_delay_alu instid0(SALU_CYCLE_1)
	v_mov_b32_e32 v152, s0
	v_cndmask_b32_e64 v151, 0, 1, vcc_lo
.LBB927_255:
	s_or_b32 exec_lo, exec_lo, s1
.LBB927_256:
	v_mul_lo_u32 v61, v22, s8
	v_mul_lo_u32 v62, v21, s9
	v_mad_u64_u32 v[59:60], null, v21, s8, 0
	v_mov_b32_e32 v155, 0
	v_mov_b32_e32 v156, 0
	v_cmp_ne_u32_e32 vcc_lo, 1, v65
	s_delay_alu instid0(VALU_DEP_2) | instskip(SKIP_1) | instid1(VALU_DEP_1)
	v_dual_mov_b32 v153, v155 :: v_dual_mov_b32 v154, v156
	v_add3_u32 v60, v60, v62, v61
	v_lshlrev_b64 v[59:60], 2, v[59:60]
	s_cbranch_vccnz .LBB927_265
; %bb.257:
	v_add_co_u32 v61, vcc_lo, s10, v57
	v_add_co_ci_u32_e32 v62, vcc_lo, s11, v58, vcc_lo
	s_delay_alu instid0(VALU_DEP_3) | instskip(NEXT) | instid1(VALU_DEP_4)
	v_add_co_u32 v57, vcc_lo, s10, v59
	v_add_co_ci_u32_e32 v58, vcc_lo, s11, v60, vcc_lo
	v_mov_b32_e32 v153, 1
	s_clause 0x1
	global_load_b32 v63, v[61:62], off
	global_load_b32 v64, v[57:58], off
	v_mov_b32_e32 v154, 0
	s_mov_b32 s1, exec_lo
	s_waitcnt vmcnt(0)
	v_cmpx_eq_f32_e32 v63, v64
	s_cbranch_execz .LBB927_264
; %bb.258:
	v_add_co_u32 v57, vcc_lo, v57, 4
	v_add_co_ci_u32_e32 v58, vcc_lo, 0, v58, vcc_lo
	v_add_co_u32 v61, vcc_lo, v61, 4
	v_add_co_ci_u32_e32 v62, vcc_lo, 0, v62, vcc_lo
	s_add_u32 s14, s8, -1
	s_addc_u32 s15, s9, -1
	s_mov_b64 s[22:23], 0
	s_mov_b32 s3, 0
                                        ; implicit-def: $sgpr21
	s_set_inst_prefetch_distance 0x1
	s_branch .LBB927_261
	.p2align	6
.LBB927_259:                            ;   in Loop: Header=BB927_261 Depth=1
	global_load_b32 v63, v[61:62], off
	global_load_b32 v64, v[57:58], off
	v_add_co_u32 v57, vcc_lo, v57, 4
	v_add_co_ci_u32_e32 v58, vcc_lo, 0, v58, vcc_lo
	v_add_co_u32 v61, s0, v61, 4
	s_delay_alu instid0(VALU_DEP_1)
	v_add_co_ci_u32_e64 v62, s0, 0, v62, s0
	s_add_u32 s22, s22, 1
	s_addc_u32 s23, s23, 0
	s_and_not1_b32 s0, s21, exec_lo
	s_waitcnt vmcnt(0)
	v_cmp_neq_f32_e32 vcc_lo, v63, v64
	s_and_b32 s21, vcc_lo, exec_lo
	s_delay_alu instid0(SALU_CYCLE_1)
	s_or_b32 s21, s0, s21
.LBB927_260:                            ;   in Loop: Header=BB927_261 Depth=1
	v_dual_mov_b32 v64, s23 :: v_dual_mov_b32 v63, s22
	s_and_b32 s0, exec_lo, s21
	s_delay_alu instid0(SALU_CYCLE_1) | instskip(NEXT) | instid1(SALU_CYCLE_1)
	s_or_b32 s3, s0, s3
	s_and_not1_b32 exec_lo, exec_lo, s3
	s_cbranch_execz .LBB927_263
.LBB927_261:                            ; =>This Inner Loop Header: Depth=1
	s_or_b32 s21, s21, exec_lo
	s_cmp_eq_u64 s[14:15], s[22:23]
	s_cbranch_scc0 .LBB927_259
; %bb.262:                              ;   in Loop: Header=BB927_261 Depth=1
	s_mov_b64 s[22:23], s[8:9]
                                        ; implicit-def: $vgpr57_vgpr58
                                        ; implicit-def: $vgpr61_vgpr62
	s_branch .LBB927_260
.LBB927_263:
	s_set_inst_prefetch_distance 0x2
	s_or_b32 exec_lo, exec_lo, s3
	v_cmp_gt_i64_e32 vcc_lo, s[8:9], v[63:64]
	s_mov_b32 s0, 0
	s_delay_alu instid0(SALU_CYCLE_1)
	v_mov_b32_e32 v154, s0
	v_cndmask_b32_e64 v153, 0, 1, vcc_lo
.LBB927_264:
	s_or_b32 exec_lo, exec_lo, s1
.LBB927_265:
	v_mul_lo_u32 v61, v20, s8
	v_mul_lo_u32 v62, v19, s9
	v_mad_u64_u32 v[57:58], null, v19, s8, 0
	v_cmp_ne_u32_e32 vcc_lo, 1, v65
	s_delay_alu instid0(VALU_DEP_2) | instskip(NEXT) | instid1(VALU_DEP_1)
	v_add3_u32 v58, v58, v62, v61
	v_lshlrev_b64 v[57:58], 2, v[57:58]
	s_cbranch_vccnz .LBB927_274
; %bb.266:
	v_add_co_u32 v61, vcc_lo, s10, v59
	v_add_co_ci_u32_e32 v62, vcc_lo, s11, v60, vcc_lo
	s_delay_alu instid0(VALU_DEP_3) | instskip(NEXT) | instid1(VALU_DEP_4)
	v_add_co_u32 v59, vcc_lo, s10, v57
	v_add_co_ci_u32_e32 v60, vcc_lo, s11, v58, vcc_lo
	v_mov_b32_e32 v155, 1
	s_clause 0x1
	global_load_b32 v63, v[61:62], off
	global_load_b32 v64, v[59:60], off
	v_mov_b32_e32 v156, 0
	s_mov_b32 s1, exec_lo
	s_waitcnt vmcnt(0)
	v_cmpx_eq_f32_e32 v63, v64
	s_cbranch_execz .LBB927_273
; %bb.267:
	v_add_co_u32 v59, vcc_lo, v59, 4
	v_add_co_ci_u32_e32 v60, vcc_lo, 0, v60, vcc_lo
	v_add_co_u32 v61, vcc_lo, v61, 4
	v_add_co_ci_u32_e32 v62, vcc_lo, 0, v62, vcc_lo
	s_add_u32 s14, s8, -1
	s_addc_u32 s15, s9, -1
	s_mov_b64 s[22:23], 0
	s_mov_b32 s3, 0
                                        ; implicit-def: $sgpr21
	s_set_inst_prefetch_distance 0x1
	s_branch .LBB927_270
	.p2align	6
.LBB927_268:                            ;   in Loop: Header=BB927_270 Depth=1
	global_load_b32 v63, v[61:62], off
	global_load_b32 v64, v[59:60], off
	v_add_co_u32 v59, vcc_lo, v59, 4
	v_add_co_ci_u32_e32 v60, vcc_lo, 0, v60, vcc_lo
	v_add_co_u32 v61, s0, v61, 4
	s_delay_alu instid0(VALU_DEP_1)
	v_add_co_ci_u32_e64 v62, s0, 0, v62, s0
	s_add_u32 s22, s22, 1
	s_addc_u32 s23, s23, 0
	s_and_not1_b32 s0, s21, exec_lo
	s_waitcnt vmcnt(0)
	v_cmp_neq_f32_e32 vcc_lo, v63, v64
	s_and_b32 s21, vcc_lo, exec_lo
	s_delay_alu instid0(SALU_CYCLE_1)
	s_or_b32 s21, s0, s21
.LBB927_269:                            ;   in Loop: Header=BB927_270 Depth=1
	v_dual_mov_b32 v64, s23 :: v_dual_mov_b32 v63, s22
	s_and_b32 s0, exec_lo, s21
	s_delay_alu instid0(SALU_CYCLE_1) | instskip(NEXT) | instid1(SALU_CYCLE_1)
	s_or_b32 s3, s0, s3
	s_and_not1_b32 exec_lo, exec_lo, s3
	s_cbranch_execz .LBB927_272
.LBB927_270:                            ; =>This Inner Loop Header: Depth=1
	s_or_b32 s21, s21, exec_lo
	s_cmp_eq_u64 s[14:15], s[22:23]
	s_cbranch_scc0 .LBB927_268
; %bb.271:                              ;   in Loop: Header=BB927_270 Depth=1
	s_mov_b64 s[22:23], s[8:9]
                                        ; implicit-def: $vgpr59_vgpr60
                                        ; implicit-def: $vgpr61_vgpr62
	s_branch .LBB927_269
.LBB927_272:
	s_set_inst_prefetch_distance 0x2
	s_or_b32 exec_lo, exec_lo, s3
	v_cmp_gt_i64_e32 vcc_lo, s[8:9], v[63:64]
	s_mov_b32 s0, 0
	s_delay_alu instid0(SALU_CYCLE_1)
	v_mov_b32_e32 v156, s0
	v_cndmask_b32_e64 v155, 0, 1, vcc_lo
.LBB927_273:
	s_or_b32 exec_lo, exec_lo, s1
.LBB927_274:
	v_mul_lo_u32 v61, v18, s8
	v_mul_lo_u32 v62, v17, s9
	v_mad_u64_u32 v[59:60], null, v17, s8, 0
	v_mov_b32_e32 v159, 0
	v_mov_b32_e32 v160, 0
	v_cmp_ne_u32_e32 vcc_lo, 1, v65
	s_delay_alu instid0(VALU_DEP_2) | instskip(SKIP_1) | instid1(VALU_DEP_1)
	v_dual_mov_b32 v157, v159 :: v_dual_mov_b32 v158, v160
	v_add3_u32 v60, v60, v62, v61
	v_lshlrev_b64 v[59:60], 2, v[59:60]
	s_cbranch_vccnz .LBB927_283
; %bb.275:
	v_add_co_u32 v61, vcc_lo, s10, v57
	v_add_co_ci_u32_e32 v62, vcc_lo, s11, v58, vcc_lo
	s_delay_alu instid0(VALU_DEP_3) | instskip(NEXT) | instid1(VALU_DEP_4)
	v_add_co_u32 v57, vcc_lo, s10, v59
	v_add_co_ci_u32_e32 v58, vcc_lo, s11, v60, vcc_lo
	v_mov_b32_e32 v157, 1
	s_clause 0x1
	global_load_b32 v63, v[61:62], off
	global_load_b32 v64, v[57:58], off
	v_mov_b32_e32 v158, 0
	s_mov_b32 s1, exec_lo
	s_waitcnt vmcnt(0)
	v_cmpx_eq_f32_e32 v63, v64
	s_cbranch_execz .LBB927_282
; %bb.276:
	v_add_co_u32 v57, vcc_lo, v57, 4
	v_add_co_ci_u32_e32 v58, vcc_lo, 0, v58, vcc_lo
	v_add_co_u32 v61, vcc_lo, v61, 4
	v_add_co_ci_u32_e32 v62, vcc_lo, 0, v62, vcc_lo
	s_add_u32 s14, s8, -1
	s_addc_u32 s15, s9, -1
	s_mov_b64 s[22:23], 0
	s_mov_b32 s3, 0
                                        ; implicit-def: $sgpr21
	s_set_inst_prefetch_distance 0x1
	s_branch .LBB927_279
	.p2align	6
.LBB927_277:                            ;   in Loop: Header=BB927_279 Depth=1
	global_load_b32 v63, v[61:62], off
	global_load_b32 v64, v[57:58], off
	v_add_co_u32 v57, vcc_lo, v57, 4
	v_add_co_ci_u32_e32 v58, vcc_lo, 0, v58, vcc_lo
	v_add_co_u32 v61, s0, v61, 4
	s_delay_alu instid0(VALU_DEP_1)
	v_add_co_ci_u32_e64 v62, s0, 0, v62, s0
	s_add_u32 s22, s22, 1
	s_addc_u32 s23, s23, 0
	s_and_not1_b32 s0, s21, exec_lo
	s_waitcnt vmcnt(0)
	v_cmp_neq_f32_e32 vcc_lo, v63, v64
	s_and_b32 s21, vcc_lo, exec_lo
	s_delay_alu instid0(SALU_CYCLE_1)
	s_or_b32 s21, s0, s21
.LBB927_278:                            ;   in Loop: Header=BB927_279 Depth=1
	v_dual_mov_b32 v64, s23 :: v_dual_mov_b32 v63, s22
	s_and_b32 s0, exec_lo, s21
	s_delay_alu instid0(SALU_CYCLE_1) | instskip(NEXT) | instid1(SALU_CYCLE_1)
	s_or_b32 s3, s0, s3
	s_and_not1_b32 exec_lo, exec_lo, s3
	s_cbranch_execz .LBB927_281
.LBB927_279:                            ; =>This Inner Loop Header: Depth=1
	s_or_b32 s21, s21, exec_lo
	s_cmp_eq_u64 s[14:15], s[22:23]
	s_cbranch_scc0 .LBB927_277
; %bb.280:                              ;   in Loop: Header=BB927_279 Depth=1
	s_mov_b64 s[22:23], s[8:9]
                                        ; implicit-def: $vgpr57_vgpr58
                                        ; implicit-def: $vgpr61_vgpr62
	s_branch .LBB927_278
.LBB927_281:
	s_set_inst_prefetch_distance 0x2
	s_or_b32 exec_lo, exec_lo, s3
	v_cmp_gt_i64_e32 vcc_lo, s[8:9], v[63:64]
	s_mov_b32 s0, 0
	s_delay_alu instid0(SALU_CYCLE_1)
	v_mov_b32_e32 v158, s0
	v_cndmask_b32_e64 v157, 0, 1, vcc_lo
.LBB927_282:
	s_or_b32 exec_lo, exec_lo, s1
.LBB927_283:
	v_mul_lo_u32 v61, v16, s8
	v_mul_lo_u32 v62, v15, s9
	v_mad_u64_u32 v[57:58], null, v15, s8, 0
	v_cmp_ne_u32_e32 vcc_lo, 1, v65
	s_delay_alu instid0(VALU_DEP_2) | instskip(NEXT) | instid1(VALU_DEP_1)
	v_add3_u32 v58, v58, v62, v61
	v_lshlrev_b64 v[57:58], 2, v[57:58]
	s_cbranch_vccnz .LBB927_292
; %bb.284:
	v_add_co_u32 v61, vcc_lo, s10, v59
	v_add_co_ci_u32_e32 v62, vcc_lo, s11, v60, vcc_lo
	s_delay_alu instid0(VALU_DEP_3) | instskip(NEXT) | instid1(VALU_DEP_4)
	v_add_co_u32 v59, vcc_lo, s10, v57
	v_add_co_ci_u32_e32 v60, vcc_lo, s11, v58, vcc_lo
	v_mov_b32_e32 v159, 1
	s_clause 0x1
	global_load_b32 v63, v[61:62], off
	global_load_b32 v64, v[59:60], off
	v_mov_b32_e32 v160, 0
	s_mov_b32 s1, exec_lo
	s_waitcnt vmcnt(0)
	v_cmpx_eq_f32_e32 v63, v64
	s_cbranch_execz .LBB927_291
; %bb.285:
	v_add_co_u32 v59, vcc_lo, v59, 4
	v_add_co_ci_u32_e32 v60, vcc_lo, 0, v60, vcc_lo
	v_add_co_u32 v61, vcc_lo, v61, 4
	v_add_co_ci_u32_e32 v62, vcc_lo, 0, v62, vcc_lo
	s_add_u32 s14, s8, -1
	s_addc_u32 s15, s9, -1
	s_mov_b64 s[22:23], 0
	s_mov_b32 s3, 0
                                        ; implicit-def: $sgpr21
	s_set_inst_prefetch_distance 0x1
	s_branch .LBB927_288
	.p2align	6
.LBB927_286:                            ;   in Loop: Header=BB927_288 Depth=1
	global_load_b32 v63, v[61:62], off
	global_load_b32 v64, v[59:60], off
	v_add_co_u32 v59, vcc_lo, v59, 4
	v_add_co_ci_u32_e32 v60, vcc_lo, 0, v60, vcc_lo
	v_add_co_u32 v61, s0, v61, 4
	s_delay_alu instid0(VALU_DEP_1)
	v_add_co_ci_u32_e64 v62, s0, 0, v62, s0
	s_add_u32 s22, s22, 1
	s_addc_u32 s23, s23, 0
	s_and_not1_b32 s0, s21, exec_lo
	s_waitcnt vmcnt(0)
	v_cmp_neq_f32_e32 vcc_lo, v63, v64
	s_and_b32 s21, vcc_lo, exec_lo
	s_delay_alu instid0(SALU_CYCLE_1)
	s_or_b32 s21, s0, s21
.LBB927_287:                            ;   in Loop: Header=BB927_288 Depth=1
	v_dual_mov_b32 v64, s23 :: v_dual_mov_b32 v63, s22
	s_and_b32 s0, exec_lo, s21
	s_delay_alu instid0(SALU_CYCLE_1) | instskip(NEXT) | instid1(SALU_CYCLE_1)
	s_or_b32 s3, s0, s3
	s_and_not1_b32 exec_lo, exec_lo, s3
	s_cbranch_execz .LBB927_290
.LBB927_288:                            ; =>This Inner Loop Header: Depth=1
	s_or_b32 s21, s21, exec_lo
	s_cmp_eq_u64 s[14:15], s[22:23]
	s_cbranch_scc0 .LBB927_286
; %bb.289:                              ;   in Loop: Header=BB927_288 Depth=1
	s_mov_b64 s[22:23], s[8:9]
                                        ; implicit-def: $vgpr59_vgpr60
                                        ; implicit-def: $vgpr61_vgpr62
	s_branch .LBB927_287
.LBB927_290:
	s_set_inst_prefetch_distance 0x2
	s_or_b32 exec_lo, exec_lo, s3
	v_cmp_gt_i64_e32 vcc_lo, s[8:9], v[63:64]
	s_mov_b32 s0, 0
	s_delay_alu instid0(SALU_CYCLE_1)
	v_mov_b32_e32 v160, s0
	v_cndmask_b32_e64 v159, 0, 1, vcc_lo
.LBB927_291:
	s_or_b32 exec_lo, exec_lo, s1
.LBB927_292:
	v_mul_lo_u32 v61, v14, s8
	v_mul_lo_u32 v62, v13, s9
	v_mad_u64_u32 v[59:60], null, v13, s8, 0
	v_mov_b32_e32 v163, 0
	v_mov_b32_e32 v164, 0
	v_cmp_ne_u32_e32 vcc_lo, 1, v65
	s_delay_alu instid0(VALU_DEP_2) | instskip(SKIP_1) | instid1(VALU_DEP_1)
	v_dual_mov_b32 v161, v163 :: v_dual_mov_b32 v162, v164
	v_add3_u32 v60, v60, v62, v61
	v_lshlrev_b64 v[59:60], 2, v[59:60]
	s_cbranch_vccnz .LBB927_301
; %bb.293:
	v_add_co_u32 v61, vcc_lo, s10, v57
	v_add_co_ci_u32_e32 v62, vcc_lo, s11, v58, vcc_lo
	s_delay_alu instid0(VALU_DEP_3) | instskip(NEXT) | instid1(VALU_DEP_4)
	v_add_co_u32 v57, vcc_lo, s10, v59
	v_add_co_ci_u32_e32 v58, vcc_lo, s11, v60, vcc_lo
	v_mov_b32_e32 v161, 1
	s_clause 0x1
	global_load_b32 v63, v[61:62], off
	global_load_b32 v64, v[57:58], off
	v_mov_b32_e32 v162, 0
	s_mov_b32 s1, exec_lo
	s_waitcnt vmcnt(0)
	v_cmpx_eq_f32_e32 v63, v64
	s_cbranch_execz .LBB927_300
; %bb.294:
	v_add_co_u32 v57, vcc_lo, v57, 4
	v_add_co_ci_u32_e32 v58, vcc_lo, 0, v58, vcc_lo
	v_add_co_u32 v61, vcc_lo, v61, 4
	v_add_co_ci_u32_e32 v62, vcc_lo, 0, v62, vcc_lo
	s_add_u32 s14, s8, -1
	s_addc_u32 s15, s9, -1
	s_mov_b64 s[22:23], 0
	s_mov_b32 s3, 0
                                        ; implicit-def: $sgpr21
	s_set_inst_prefetch_distance 0x1
	s_branch .LBB927_297
	.p2align	6
.LBB927_295:                            ;   in Loop: Header=BB927_297 Depth=1
	global_load_b32 v63, v[61:62], off
	global_load_b32 v64, v[57:58], off
	v_add_co_u32 v57, vcc_lo, v57, 4
	v_add_co_ci_u32_e32 v58, vcc_lo, 0, v58, vcc_lo
	v_add_co_u32 v61, s0, v61, 4
	s_delay_alu instid0(VALU_DEP_1)
	v_add_co_ci_u32_e64 v62, s0, 0, v62, s0
	s_add_u32 s22, s22, 1
	s_addc_u32 s23, s23, 0
	s_and_not1_b32 s0, s21, exec_lo
	s_waitcnt vmcnt(0)
	v_cmp_neq_f32_e32 vcc_lo, v63, v64
	s_and_b32 s21, vcc_lo, exec_lo
	s_delay_alu instid0(SALU_CYCLE_1)
	s_or_b32 s21, s0, s21
.LBB927_296:                            ;   in Loop: Header=BB927_297 Depth=1
	v_dual_mov_b32 v64, s23 :: v_dual_mov_b32 v63, s22
	s_and_b32 s0, exec_lo, s21
	s_delay_alu instid0(SALU_CYCLE_1) | instskip(NEXT) | instid1(SALU_CYCLE_1)
	s_or_b32 s3, s0, s3
	s_and_not1_b32 exec_lo, exec_lo, s3
	s_cbranch_execz .LBB927_299
.LBB927_297:                            ; =>This Inner Loop Header: Depth=1
	s_or_b32 s21, s21, exec_lo
	s_cmp_eq_u64 s[14:15], s[22:23]
	s_cbranch_scc0 .LBB927_295
; %bb.298:                              ;   in Loop: Header=BB927_297 Depth=1
	s_mov_b64 s[22:23], s[8:9]
                                        ; implicit-def: $vgpr57_vgpr58
                                        ; implicit-def: $vgpr61_vgpr62
	s_branch .LBB927_296
.LBB927_299:
	s_set_inst_prefetch_distance 0x2
	s_or_b32 exec_lo, exec_lo, s3
	v_cmp_gt_i64_e32 vcc_lo, s[8:9], v[63:64]
	s_mov_b32 s0, 0
	s_delay_alu instid0(SALU_CYCLE_1)
	v_mov_b32_e32 v162, s0
	v_cndmask_b32_e64 v161, 0, 1, vcc_lo
.LBB927_300:
	s_or_b32 exec_lo, exec_lo, s1
.LBB927_301:
	v_mul_lo_u32 v61, v4, s8
	v_mul_lo_u32 v62, v3, s9
	v_mad_u64_u32 v[57:58], null, v3, s8, 0
	v_cmp_ne_u32_e32 vcc_lo, 1, v65
	s_delay_alu instid0(VALU_DEP_2) | instskip(NEXT) | instid1(VALU_DEP_1)
	v_add3_u32 v58, v58, v62, v61
	v_lshlrev_b64 v[57:58], 2, v[57:58]
	s_cbranch_vccnz .LBB927_310
; %bb.302:
	v_add_co_u32 v61, vcc_lo, s10, v59
	v_add_co_ci_u32_e32 v62, vcc_lo, s11, v60, vcc_lo
	s_delay_alu instid0(VALU_DEP_3) | instskip(NEXT) | instid1(VALU_DEP_4)
	v_add_co_u32 v59, vcc_lo, s10, v57
	v_add_co_ci_u32_e32 v60, vcc_lo, s11, v58, vcc_lo
	v_mov_b32_e32 v163, 1
	s_clause 0x1
	global_load_b32 v63, v[61:62], off
	global_load_b32 v64, v[59:60], off
	v_mov_b32_e32 v164, 0
	s_mov_b32 s1, exec_lo
	s_waitcnt vmcnt(0)
	v_cmpx_eq_f32_e32 v63, v64
	s_cbranch_execz .LBB927_309
; %bb.303:
	v_add_co_u32 v59, vcc_lo, v59, 4
	v_add_co_ci_u32_e32 v60, vcc_lo, 0, v60, vcc_lo
	v_add_co_u32 v61, vcc_lo, v61, 4
	v_add_co_ci_u32_e32 v62, vcc_lo, 0, v62, vcc_lo
	s_add_u32 s14, s8, -1
	s_addc_u32 s15, s9, -1
	s_mov_b64 s[22:23], 0
	s_mov_b32 s3, 0
                                        ; implicit-def: $sgpr21
	s_set_inst_prefetch_distance 0x1
	s_branch .LBB927_306
	.p2align	6
.LBB927_304:                            ;   in Loop: Header=BB927_306 Depth=1
	global_load_b32 v63, v[61:62], off
	global_load_b32 v64, v[59:60], off
	v_add_co_u32 v59, vcc_lo, v59, 4
	v_add_co_ci_u32_e32 v60, vcc_lo, 0, v60, vcc_lo
	v_add_co_u32 v61, s0, v61, 4
	s_delay_alu instid0(VALU_DEP_1)
	v_add_co_ci_u32_e64 v62, s0, 0, v62, s0
	s_add_u32 s22, s22, 1
	s_addc_u32 s23, s23, 0
	s_and_not1_b32 s0, s21, exec_lo
	s_waitcnt vmcnt(0)
	v_cmp_neq_f32_e32 vcc_lo, v63, v64
	s_and_b32 s21, vcc_lo, exec_lo
	s_delay_alu instid0(SALU_CYCLE_1)
	s_or_b32 s21, s0, s21
.LBB927_305:                            ;   in Loop: Header=BB927_306 Depth=1
	v_dual_mov_b32 v64, s23 :: v_dual_mov_b32 v63, s22
	s_and_b32 s0, exec_lo, s21
	s_delay_alu instid0(SALU_CYCLE_1) | instskip(NEXT) | instid1(SALU_CYCLE_1)
	s_or_b32 s3, s0, s3
	s_and_not1_b32 exec_lo, exec_lo, s3
	s_cbranch_execz .LBB927_308
.LBB927_306:                            ; =>This Inner Loop Header: Depth=1
	s_or_b32 s21, s21, exec_lo
	s_cmp_eq_u64 s[14:15], s[22:23]
	s_cbranch_scc0 .LBB927_304
; %bb.307:                              ;   in Loop: Header=BB927_306 Depth=1
	s_mov_b64 s[22:23], s[8:9]
                                        ; implicit-def: $vgpr59_vgpr60
                                        ; implicit-def: $vgpr61_vgpr62
	s_branch .LBB927_305
.LBB927_308:
	s_set_inst_prefetch_distance 0x2
	s_or_b32 exec_lo, exec_lo, s3
	v_cmp_gt_i64_e32 vcc_lo, s[8:9], v[63:64]
	s_mov_b32 s0, 0
	s_delay_alu instid0(SALU_CYCLE_1)
	v_mov_b32_e32 v164, s0
	v_cndmask_b32_e64 v163, 0, 1, vcc_lo
.LBB927_309:
	s_or_b32 exec_lo, exec_lo, s1
.LBB927_310:
	v_cmp_ne_u32_e32 vcc_lo, 1, v65
	s_cbranch_vccnz .LBB927_317
; %bb.311:
	v_mul_lo_u32 v61, v2, s8
	v_mul_lo_u32 v62, v1, s9
	v_mad_u64_u32 v[59:60], null, v1, s8, 0
	v_mov_b32_e32 v165, 1
	v_mov_b32_e32 v166, 0
	s_mov_b32 s1, exec_lo
	s_delay_alu instid0(VALU_DEP_3) | instskip(NEXT) | instid1(VALU_DEP_1)
	v_add3_u32 v60, v60, v62, v61
	v_lshlrev_b64 v[61:62], 2, v[59:60]
	v_add_co_u32 v59, vcc_lo, s10, v57
	v_add_co_ci_u32_e32 v60, vcc_lo, s11, v58, vcc_lo
	s_delay_alu instid0(VALU_DEP_3) | instskip(NEXT) | instid1(VALU_DEP_4)
	v_add_co_u32 v57, vcc_lo, s10, v61
	v_add_co_ci_u32_e32 v58, vcc_lo, s11, v62, vcc_lo
	s_clause 0x1
	global_load_b32 v61, v[59:60], off
	global_load_b32 v62, v[57:58], off
	s_waitcnt vmcnt(0)
	v_cmpx_eq_f32_e32 v61, v62
	s_cbranch_execz .LBB927_319
; %bb.312:
	v_add_co_u32 v57, vcc_lo, v57, 4
	v_add_co_ci_u32_e32 v58, vcc_lo, 0, v58, vcc_lo
	v_add_co_u32 v59, vcc_lo, v59, 4
	v_add_co_ci_u32_e32 v60, vcc_lo, 0, v60, vcc_lo
	s_add_u32 s14, s8, -1
	s_addc_u32 s15, s9, -1
	s_mov_b64 s[22:23], 0
	s_mov_b32 s3, 0
                                        ; implicit-def: $sgpr21
	s_set_inst_prefetch_distance 0x1
	s_branch .LBB927_315
	.p2align	6
.LBB927_313:                            ;   in Loop: Header=BB927_315 Depth=1
	global_load_b32 v61, v[59:60], off
	global_load_b32 v62, v[57:58], off
	v_add_co_u32 v57, vcc_lo, v57, 4
	v_add_co_ci_u32_e32 v58, vcc_lo, 0, v58, vcc_lo
	v_add_co_u32 v59, s0, v59, 4
	s_delay_alu instid0(VALU_DEP_1)
	v_add_co_ci_u32_e64 v60, s0, 0, v60, s0
	s_add_u32 s22, s22, 1
	s_addc_u32 s23, s23, 0
	s_and_not1_b32 s0, s21, exec_lo
	s_waitcnt vmcnt(0)
	v_cmp_neq_f32_e32 vcc_lo, v61, v62
	s_and_b32 s21, vcc_lo, exec_lo
	s_delay_alu instid0(SALU_CYCLE_1)
	s_or_b32 s21, s0, s21
.LBB927_314:                            ;   in Loop: Header=BB927_315 Depth=1
	v_dual_mov_b32 v62, s23 :: v_dual_mov_b32 v61, s22
	s_and_b32 s0, exec_lo, s21
	s_delay_alu instid0(SALU_CYCLE_1) | instskip(NEXT) | instid1(SALU_CYCLE_1)
	s_or_b32 s3, s0, s3
	s_and_not1_b32 exec_lo, exec_lo, s3
	s_cbranch_execz .LBB927_318
.LBB927_315:                            ; =>This Inner Loop Header: Depth=1
	s_or_b32 s21, s21, exec_lo
	s_cmp_eq_u64 s[14:15], s[22:23]
	s_cbranch_scc0 .LBB927_313
; %bb.316:                              ;   in Loop: Header=BB927_315 Depth=1
	s_mov_b64 s[22:23], s[8:9]
                                        ; implicit-def: $vgpr57_vgpr58
                                        ; implicit-def: $vgpr59_vgpr60
	s_branch .LBB927_314
.LBB927_317:
	v_mov_b32_e32 v165, 0
	v_mov_b32_e32 v166, 0
	s_branch .LBB927_320
.LBB927_318:
	s_set_inst_prefetch_distance 0x2
	s_or_b32 exec_lo, exec_lo, s3
	v_cmp_gt_i64_e32 vcc_lo, s[8:9], v[61:62]
	s_mov_b32 s0, 0
	s_delay_alu instid0(SALU_CYCLE_1)
	v_mov_b32_e32 v166, s0
	v_cndmask_b32_e64 v165, 0, 1, vcc_lo
.LBB927_319:
	s_or_b32 exec_lo, exec_lo, s1
.LBB927_320:
	s_waitcnt lgkmcnt(0)
	v_dual_mov_b32 v58, s13 :: v_dual_mov_b32 v57, s12
	s_mov_b32 s0, 0
	s_mov_b32 s1, exec_lo
	s_barrier
	buffer_gl0_inv
	v_cmpx_ne_u32_e32 0, v0
	s_cbranch_execz .LBB927_322
; %bb.321:
	v_add_nc_u32_e32 v57, -8, v195
	ds_load_b64 v[57:58], v57
.LBB927_322:
	s_or_b32 exec_lo, exec_lo, s1
	v_cmp_ne_u32_e32 vcc_lo, 1, v65
	s_cbranch_vccnz .LBB927_331
; %bb.323:
	v_mul_lo_u32 v63, v2, s8
	v_mul_lo_u32 v64, v1, s9
	v_mad_u64_u32 v[59:60], null, v1, s8, 0
	s_waitcnt lgkmcnt(0)
	v_mul_lo_u32 v58, v58, s8
	v_mul_lo_u32 v65, v57, s9
	v_mad_u64_u32 v[61:62], null, v57, s8, 0
	s_mov_b32 s0, -1
	s_mov_b32 s1, exec_lo
	s_delay_alu instid0(VALU_DEP_4) | instskip(NEXT) | instid1(VALU_DEP_2)
	v_add3_u32 v60, v60, v64, v63
	v_add3_u32 v62, v62, v65, v58
	s_delay_alu instid0(VALU_DEP_2) | instskip(NEXT) | instid1(VALU_DEP_2)
	v_lshlrev_b64 v[57:58], 2, v[59:60]
	v_lshlrev_b64 v[61:62], 2, v[61:62]
	s_delay_alu instid0(VALU_DEP_2) | instskip(NEXT) | instid1(VALU_DEP_3)
	v_add_co_u32 v59, vcc_lo, s10, v57
	v_add_co_ci_u32_e32 v60, vcc_lo, s11, v58, vcc_lo
	s_delay_alu instid0(VALU_DEP_3) | instskip(NEXT) | instid1(VALU_DEP_4)
	v_add_co_u32 v57, vcc_lo, s10, v61
	v_add_co_ci_u32_e32 v58, vcc_lo, s11, v62, vcc_lo
	s_clause 0x1
	global_load_b32 v61, v[59:60], off
	global_load_b32 v62, v[57:58], off
	s_waitcnt vmcnt(0)
	v_cmpx_eq_f32_e32 v61, v62
	s_cbranch_execz .LBB927_330
; %bb.324:
	v_add_co_u32 v57, vcc_lo, v57, 4
	v_add_co_ci_u32_e32 v58, vcc_lo, 0, v58, vcc_lo
	v_add_co_u32 v59, vcc_lo, v59, 4
	v_add_co_ci_u32_e32 v60, vcc_lo, 0, v60, vcc_lo
	s_add_u32 s14, s8, -1
	s_addc_u32 s15, s9, -1
	s_mov_b64 s[22:23], 0
	s_mov_b32 s3, 0
                                        ; implicit-def: $sgpr21
	s_set_inst_prefetch_distance 0x1
	s_branch .LBB927_327
	.p2align	6
.LBB927_325:                            ;   in Loop: Header=BB927_327 Depth=1
	global_load_b32 v61, v[59:60], off
	global_load_b32 v62, v[57:58], off
	v_add_co_u32 v57, vcc_lo, v57, 4
	v_add_co_ci_u32_e32 v58, vcc_lo, 0, v58, vcc_lo
	v_add_co_u32 v59, s0, v59, 4
	s_delay_alu instid0(VALU_DEP_1)
	v_add_co_ci_u32_e64 v60, s0, 0, v60, s0
	s_add_u32 s22, s22, 1
	s_addc_u32 s23, s23, 0
	s_and_not1_b32 s0, s21, exec_lo
	s_waitcnt vmcnt(0)
	v_cmp_neq_f32_e32 vcc_lo, v61, v62
	s_and_b32 s21, vcc_lo, exec_lo
	s_delay_alu instid0(SALU_CYCLE_1)
	s_or_b32 s21, s0, s21
.LBB927_326:                            ;   in Loop: Header=BB927_327 Depth=1
	v_dual_mov_b32 v62, s23 :: v_dual_mov_b32 v61, s22
	s_and_b32 s0, exec_lo, s21
	s_delay_alu instid0(SALU_CYCLE_1) | instskip(NEXT) | instid1(SALU_CYCLE_1)
	s_or_b32 s3, s0, s3
	s_and_not1_b32 exec_lo, exec_lo, s3
	s_cbranch_execz .LBB927_329
.LBB927_327:                            ; =>This Inner Loop Header: Depth=1
	s_or_b32 s21, s21, exec_lo
	s_cmp_eq_u64 s[14:15], s[22:23]
	s_cbranch_scc0 .LBB927_325
; %bb.328:                              ;   in Loop: Header=BB927_327 Depth=1
	s_mov_b64 s[22:23], s[8:9]
                                        ; implicit-def: $vgpr57_vgpr58
                                        ; implicit-def: $vgpr59_vgpr60
	s_branch .LBB927_326
.LBB927_329:
	s_set_inst_prefetch_distance 0x2
	s_or_b32 exec_lo, exec_lo, s3
	v_cmp_gt_i64_e32 vcc_lo, s[8:9], v[61:62]
	s_or_not1_b32 s0, vcc_lo, exec_lo
.LBB927_330:
	s_or_b32 exec_lo, exec_lo, s1
.LBB927_331:
	s_mov_b32 s1, -1
	s_branch .LBB927_73
.LBB927_332:
	v_cmp_gt_i64_e64 s0, s[8:9], 0
	s_waitcnt lgkmcnt(0)
	v_mad_u32_u24 v57, v0, 29, 28
	v_mul_u32_u24_e32 v64, 29, v0
	v_dual_mov_b32 v112, v110 :: v_dual_mov_b32 v111, v109
	s_mul_i32 s3, s20, 0xfffff180
	v_cndmask_b32_e64 v63, 0, 1, s0
	s_add_i32 s3, s3, s6
	s_mov_b32 s22, exec_lo
	ds_store_b64 v195, v[109:110]
	v_cmpx_gt_u32_e64 s3, v57
	s_cbranch_execz .LBB927_343
; %bb.333:
	s_and_not1_b32 vcc_lo, exec_lo, s0
	s_cbranch_vccnz .LBB927_340
; %bb.334:
	v_mul_lo_u32 v61, v110, s8
	v_mul_lo_u32 v62, v109, s9
	v_mad_u64_u32 v[57:58], null, v109, s8, 0
	v_mul_lo_u32 v65, v8, s8
	v_mul_lo_u32 v66, v7, s9
	v_mad_u64_u32 v[59:60], null, v7, s8, 0
	v_mov_b32_e32 v111, 1
	v_mov_b32_e32 v112, 0
	v_add3_u32 v58, v58, v62, v61
	s_mov_b32 s23, exec_lo
	s_delay_alu instid0(VALU_DEP_4) | instskip(NEXT) | instid1(VALU_DEP_2)
	v_add3_u32 v60, v60, v66, v65
	v_lshlrev_b64 v[57:58], 2, v[57:58]
	s_delay_alu instid0(VALU_DEP_2) | instskip(NEXT) | instid1(VALU_DEP_2)
	v_lshlrev_b64 v[61:62], 2, v[59:60]
	v_add_co_u32 v59, vcc_lo, s10, v57
	s_delay_alu instid0(VALU_DEP_3) | instskip(NEXT) | instid1(VALU_DEP_3)
	v_add_co_ci_u32_e32 v60, vcc_lo, s11, v58, vcc_lo
	v_add_co_u32 v57, vcc_lo, s10, v61
	s_delay_alu instid0(VALU_DEP_4)
	v_add_co_ci_u32_e32 v58, vcc_lo, s11, v62, vcc_lo
	s_clause 0x1
	global_load_b32 v61, v[59:60], off
	global_load_b32 v62, v[57:58], off
	s_waitcnt vmcnt(0)
	v_cmpx_eq_f32_e32 v61, v62
	s_cbranch_execz .LBB927_342
; %bb.335:
	v_add_co_u32 v57, vcc_lo, v57, 4
	v_add_co_ci_u32_e32 v58, vcc_lo, 0, v58, vcc_lo
	v_add_co_u32 v59, vcc_lo, v59, 4
	v_add_co_ci_u32_e32 v60, vcc_lo, 0, v60, vcc_lo
	s_add_u32 s14, s8, -1
	s_addc_u32 s15, s9, -1
	s_mov_b64 s[20:21], 0
	s_mov_b32 s24, 0
                                        ; implicit-def: $sgpr25
	s_set_inst_prefetch_distance 0x1
	s_branch .LBB927_338
	.p2align	6
.LBB927_336:                            ;   in Loop: Header=BB927_338 Depth=1
	global_load_b32 v61, v[59:60], off
	global_load_b32 v62, v[57:58], off
	v_add_co_u32 v57, vcc_lo, v57, 4
	v_add_co_ci_u32_e32 v58, vcc_lo, 0, v58, vcc_lo
	v_add_co_u32 v59, s0, v59, 4
	s_delay_alu instid0(VALU_DEP_1)
	v_add_co_ci_u32_e64 v60, s0, 0, v60, s0
	s_add_u32 s20, s20, 1
	s_addc_u32 s21, s21, 0
	s_and_not1_b32 s0, s25, exec_lo
	s_waitcnt vmcnt(0)
	v_cmp_neq_f32_e32 vcc_lo, v61, v62
	s_and_b32 s25, vcc_lo, exec_lo
	s_delay_alu instid0(SALU_CYCLE_1)
	s_or_b32 s25, s0, s25
.LBB927_337:                            ;   in Loop: Header=BB927_338 Depth=1
	v_dual_mov_b32 v62, s21 :: v_dual_mov_b32 v61, s20
	s_and_b32 s0, exec_lo, s25
	s_delay_alu instid0(SALU_CYCLE_1) | instskip(NEXT) | instid1(SALU_CYCLE_1)
	s_or_b32 s24, s0, s24
	s_and_not1_b32 exec_lo, exec_lo, s24
	s_cbranch_execz .LBB927_341
.LBB927_338:                            ; =>This Inner Loop Header: Depth=1
	s_or_b32 s25, s25, exec_lo
	s_cmp_eq_u64 s[14:15], s[20:21]
	s_cbranch_scc0 .LBB927_336
; %bb.339:                              ;   in Loop: Header=BB927_338 Depth=1
	s_mov_b64 s[20:21], s[8:9]
                                        ; implicit-def: $vgpr57_vgpr58
                                        ; implicit-def: $vgpr59_vgpr60
	s_branch .LBB927_337
.LBB927_340:
	v_mov_b32_e32 v111, 0
	v_mov_b32_e32 v112, 0
	s_branch .LBB927_343
.LBB927_341:
	s_set_inst_prefetch_distance 0x2
	s_or_b32 exec_lo, exec_lo, s24
	v_cmp_gt_i64_e32 vcc_lo, s[8:9], v[61:62]
	s_mov_b32 s0, 0
	s_delay_alu instid0(SALU_CYCLE_1)
	v_mov_b32_e32 v112, s0
	v_cndmask_b32_e64 v111, 0, 1, vcc_lo
.LBB927_342:
	s_or_b32 exec_lo, exec_lo, s23
.LBB927_343:
	s_delay_alu instid0(SALU_CYCLE_1) | instskip(SKIP_3) | instid1(VALU_DEP_2)
	s_or_b32 exec_lo, exec_lo, s22
	v_dual_mov_b32 v116, v8 :: v_dual_add_nc_u32 v57, 27, v64
	v_mov_b32_e32 v115, v7
	s_mov_b32 s22, exec_lo
	v_cmpx_gt_u32_e64 s3, v57
	s_cbranch_execz .LBB927_354
; %bb.344:
	v_cmp_ne_u32_e32 vcc_lo, 1, v63
	s_cbranch_vccnz .LBB927_351
; %bb.345:
	v_mul_lo_u32 v61, v8, s8
	v_mul_lo_u32 v62, v7, s9
	v_mad_u64_u32 v[57:58], null, v7, s8, 0
	v_mul_lo_u32 v65, v6, s8
	v_mul_lo_u32 v66, v5, s9
	v_mad_u64_u32 v[59:60], null, v5, s8, 0
	v_mov_b32_e32 v115, 1
	v_mov_b32_e32 v116, 0
	v_add3_u32 v58, v58, v62, v61
	s_mov_b32 s23, exec_lo
	s_delay_alu instid0(VALU_DEP_4) | instskip(NEXT) | instid1(VALU_DEP_2)
	v_add3_u32 v60, v60, v66, v65
	v_lshlrev_b64 v[57:58], 2, v[57:58]
	s_delay_alu instid0(VALU_DEP_2) | instskip(NEXT) | instid1(VALU_DEP_2)
	v_lshlrev_b64 v[61:62], 2, v[59:60]
	v_add_co_u32 v59, vcc_lo, s10, v57
	s_delay_alu instid0(VALU_DEP_3) | instskip(NEXT) | instid1(VALU_DEP_3)
	v_add_co_ci_u32_e32 v60, vcc_lo, s11, v58, vcc_lo
	v_add_co_u32 v57, vcc_lo, s10, v61
	s_delay_alu instid0(VALU_DEP_4)
	v_add_co_ci_u32_e32 v58, vcc_lo, s11, v62, vcc_lo
	s_clause 0x1
	global_load_b32 v61, v[59:60], off
	global_load_b32 v62, v[57:58], off
	s_waitcnt vmcnt(0)
	v_cmpx_eq_f32_e32 v61, v62
	s_cbranch_execz .LBB927_353
; %bb.346:
	v_add_co_u32 v57, vcc_lo, v57, 4
	v_add_co_ci_u32_e32 v58, vcc_lo, 0, v58, vcc_lo
	v_add_co_u32 v59, vcc_lo, v59, 4
	v_add_co_ci_u32_e32 v60, vcc_lo, 0, v60, vcc_lo
	s_add_u32 s14, s8, -1
	s_addc_u32 s15, s9, -1
	s_mov_b64 s[20:21], 0
	s_mov_b32 s24, 0
                                        ; implicit-def: $sgpr25
	s_set_inst_prefetch_distance 0x1
	s_branch .LBB927_349
	.p2align	6
.LBB927_347:                            ;   in Loop: Header=BB927_349 Depth=1
	global_load_b32 v61, v[59:60], off
	global_load_b32 v62, v[57:58], off
	v_add_co_u32 v57, vcc_lo, v57, 4
	v_add_co_ci_u32_e32 v58, vcc_lo, 0, v58, vcc_lo
	v_add_co_u32 v59, s0, v59, 4
	s_delay_alu instid0(VALU_DEP_1)
	v_add_co_ci_u32_e64 v60, s0, 0, v60, s0
	s_add_u32 s20, s20, 1
	s_addc_u32 s21, s21, 0
	s_and_not1_b32 s0, s25, exec_lo
	s_waitcnt vmcnt(0)
	v_cmp_neq_f32_e32 vcc_lo, v61, v62
	s_and_b32 s25, vcc_lo, exec_lo
	s_delay_alu instid0(SALU_CYCLE_1)
	s_or_b32 s25, s0, s25
.LBB927_348:                            ;   in Loop: Header=BB927_349 Depth=1
	v_dual_mov_b32 v62, s21 :: v_dual_mov_b32 v61, s20
	s_and_b32 s0, exec_lo, s25
	s_delay_alu instid0(SALU_CYCLE_1) | instskip(NEXT) | instid1(SALU_CYCLE_1)
	s_or_b32 s24, s0, s24
	s_and_not1_b32 exec_lo, exec_lo, s24
	s_cbranch_execz .LBB927_352
.LBB927_349:                            ; =>This Inner Loop Header: Depth=1
	s_or_b32 s25, s25, exec_lo
	s_cmp_eq_u64 s[14:15], s[20:21]
	s_cbranch_scc0 .LBB927_347
; %bb.350:                              ;   in Loop: Header=BB927_349 Depth=1
	s_mov_b64 s[20:21], s[8:9]
                                        ; implicit-def: $vgpr57_vgpr58
                                        ; implicit-def: $vgpr59_vgpr60
	s_branch .LBB927_348
.LBB927_351:
	v_mov_b32_e32 v115, 0
	v_mov_b32_e32 v116, 0
	s_branch .LBB927_354
.LBB927_352:
	s_set_inst_prefetch_distance 0x2
	s_or_b32 exec_lo, exec_lo, s24
	v_cmp_gt_i64_e32 vcc_lo, s[8:9], v[61:62]
	s_mov_b32 s0, 0
	s_delay_alu instid0(SALU_CYCLE_1)
	v_mov_b32_e32 v116, s0
	v_cndmask_b32_e64 v115, 0, 1, vcc_lo
.LBB927_353:
	s_or_b32 exec_lo, exec_lo, s23
.LBB927_354:
	s_delay_alu instid0(SALU_CYCLE_1) | instskip(SKIP_3) | instid1(VALU_DEP_2)
	s_or_b32 exec_lo, exec_lo, s22
	v_dual_mov_b32 v114, v6 :: v_dual_add_nc_u32 v57, 26, v64
	v_mov_b32_e32 v113, v5
	s_mov_b32 s22, exec_lo
	v_cmpx_gt_u32_e64 s3, v57
	s_cbranch_execz .LBB927_365
; %bb.355:
	v_cmp_ne_u32_e32 vcc_lo, 1, v63
	s_cbranch_vccnz .LBB927_362
; %bb.356:
	v_mul_lo_u32 v61, v6, s8
	v_mul_lo_u32 v62, v5, s9
	v_mad_u64_u32 v[57:58], null, v5, s8, 0
	v_mul_lo_u32 v65, v12, s8
	v_mul_lo_u32 v66, v11, s9
	v_mad_u64_u32 v[59:60], null, v11, s8, 0
	v_mov_b32_e32 v113, 1
	v_mov_b32_e32 v114, 0
	v_add3_u32 v58, v58, v62, v61
	s_mov_b32 s23, exec_lo
	s_delay_alu instid0(VALU_DEP_4) | instskip(NEXT) | instid1(VALU_DEP_2)
	v_add3_u32 v60, v60, v66, v65
	v_lshlrev_b64 v[57:58], 2, v[57:58]
	s_delay_alu instid0(VALU_DEP_2) | instskip(NEXT) | instid1(VALU_DEP_2)
	v_lshlrev_b64 v[61:62], 2, v[59:60]
	v_add_co_u32 v59, vcc_lo, s10, v57
	s_delay_alu instid0(VALU_DEP_3) | instskip(NEXT) | instid1(VALU_DEP_3)
	v_add_co_ci_u32_e32 v60, vcc_lo, s11, v58, vcc_lo
	v_add_co_u32 v57, vcc_lo, s10, v61
	s_delay_alu instid0(VALU_DEP_4)
	v_add_co_ci_u32_e32 v58, vcc_lo, s11, v62, vcc_lo
	s_clause 0x1
	global_load_b32 v61, v[59:60], off
	global_load_b32 v62, v[57:58], off
	s_waitcnt vmcnt(0)
	v_cmpx_eq_f32_e32 v61, v62
	s_cbranch_execz .LBB927_364
; %bb.357:
	v_add_co_u32 v57, vcc_lo, v57, 4
	v_add_co_ci_u32_e32 v58, vcc_lo, 0, v58, vcc_lo
	v_add_co_u32 v59, vcc_lo, v59, 4
	v_add_co_ci_u32_e32 v60, vcc_lo, 0, v60, vcc_lo
	s_add_u32 s14, s8, -1
	s_addc_u32 s15, s9, -1
	s_mov_b64 s[20:21], 0
	s_mov_b32 s24, 0
                                        ; implicit-def: $sgpr25
	s_set_inst_prefetch_distance 0x1
	s_branch .LBB927_360
	.p2align	6
.LBB927_358:                            ;   in Loop: Header=BB927_360 Depth=1
	global_load_b32 v61, v[59:60], off
	global_load_b32 v62, v[57:58], off
	v_add_co_u32 v57, vcc_lo, v57, 4
	v_add_co_ci_u32_e32 v58, vcc_lo, 0, v58, vcc_lo
	v_add_co_u32 v59, s0, v59, 4
	s_delay_alu instid0(VALU_DEP_1)
	v_add_co_ci_u32_e64 v60, s0, 0, v60, s0
	s_add_u32 s20, s20, 1
	s_addc_u32 s21, s21, 0
	s_and_not1_b32 s0, s25, exec_lo
	s_waitcnt vmcnt(0)
	v_cmp_neq_f32_e32 vcc_lo, v61, v62
	s_and_b32 s25, vcc_lo, exec_lo
	s_delay_alu instid0(SALU_CYCLE_1)
	s_or_b32 s25, s0, s25
.LBB927_359:                            ;   in Loop: Header=BB927_360 Depth=1
	v_dual_mov_b32 v62, s21 :: v_dual_mov_b32 v61, s20
	s_and_b32 s0, exec_lo, s25
	s_delay_alu instid0(SALU_CYCLE_1) | instskip(NEXT) | instid1(SALU_CYCLE_1)
	s_or_b32 s24, s0, s24
	s_and_not1_b32 exec_lo, exec_lo, s24
	s_cbranch_execz .LBB927_363
.LBB927_360:                            ; =>This Inner Loop Header: Depth=1
	s_or_b32 s25, s25, exec_lo
	s_cmp_eq_u64 s[14:15], s[20:21]
	s_cbranch_scc0 .LBB927_358
; %bb.361:                              ;   in Loop: Header=BB927_360 Depth=1
	s_mov_b64 s[20:21], s[8:9]
                                        ; implicit-def: $vgpr57_vgpr58
                                        ; implicit-def: $vgpr59_vgpr60
	s_branch .LBB927_359
.LBB927_362:
	v_mov_b32_e32 v113, 0
	v_mov_b32_e32 v114, 0
	s_branch .LBB927_365
.LBB927_363:
	s_set_inst_prefetch_distance 0x2
	s_or_b32 exec_lo, exec_lo, s24
	v_cmp_gt_i64_e32 vcc_lo, s[8:9], v[61:62]
	s_mov_b32 s0, 0
	s_delay_alu instid0(SALU_CYCLE_1)
	v_mov_b32_e32 v114, s0
	v_cndmask_b32_e64 v113, 0, 1, vcc_lo
.LBB927_364:
	s_or_b32 exec_lo, exec_lo, s23
.LBB927_365:
	s_delay_alu instid0(SALU_CYCLE_1) | instskip(SKIP_3) | instid1(VALU_DEP_2)
	s_or_b32 exec_lo, exec_lo, s22
	v_dual_mov_b32 v118, v12 :: v_dual_add_nc_u32 v57, 25, v64
	v_mov_b32_e32 v117, v11
	s_mov_b32 s22, exec_lo
	v_cmpx_gt_u32_e64 s3, v57
	s_cbranch_execz .LBB927_376
; %bb.366:
	v_cmp_ne_u32_e32 vcc_lo, 1, v63
	s_cbranch_vccnz .LBB927_373
; %bb.367:
	v_mul_lo_u32 v61, v12, s8
	v_mul_lo_u32 v62, v11, s9
	v_mad_u64_u32 v[57:58], null, v11, s8, 0
	v_mul_lo_u32 v65, v10, s8
	v_mul_lo_u32 v66, v9, s9
	v_mad_u64_u32 v[59:60], null, v9, s8, 0
	v_mov_b32_e32 v117, 1
	v_mov_b32_e32 v118, 0
	v_add3_u32 v58, v58, v62, v61
	s_mov_b32 s23, exec_lo
	s_delay_alu instid0(VALU_DEP_4) | instskip(NEXT) | instid1(VALU_DEP_2)
	v_add3_u32 v60, v60, v66, v65
	v_lshlrev_b64 v[57:58], 2, v[57:58]
	s_delay_alu instid0(VALU_DEP_2) | instskip(NEXT) | instid1(VALU_DEP_2)
	v_lshlrev_b64 v[61:62], 2, v[59:60]
	v_add_co_u32 v59, vcc_lo, s10, v57
	s_delay_alu instid0(VALU_DEP_3) | instskip(NEXT) | instid1(VALU_DEP_3)
	v_add_co_ci_u32_e32 v60, vcc_lo, s11, v58, vcc_lo
	v_add_co_u32 v57, vcc_lo, s10, v61
	s_delay_alu instid0(VALU_DEP_4)
	v_add_co_ci_u32_e32 v58, vcc_lo, s11, v62, vcc_lo
	s_clause 0x1
	global_load_b32 v61, v[59:60], off
	global_load_b32 v62, v[57:58], off
	s_waitcnt vmcnt(0)
	v_cmpx_eq_f32_e32 v61, v62
	s_cbranch_execz .LBB927_375
; %bb.368:
	v_add_co_u32 v57, vcc_lo, v57, 4
	v_add_co_ci_u32_e32 v58, vcc_lo, 0, v58, vcc_lo
	v_add_co_u32 v59, vcc_lo, v59, 4
	v_add_co_ci_u32_e32 v60, vcc_lo, 0, v60, vcc_lo
	s_add_u32 s14, s8, -1
	s_addc_u32 s15, s9, -1
	s_mov_b64 s[20:21], 0
	s_mov_b32 s24, 0
                                        ; implicit-def: $sgpr25
	s_set_inst_prefetch_distance 0x1
	s_branch .LBB927_371
	.p2align	6
.LBB927_369:                            ;   in Loop: Header=BB927_371 Depth=1
	global_load_b32 v61, v[59:60], off
	global_load_b32 v62, v[57:58], off
	v_add_co_u32 v57, vcc_lo, v57, 4
	v_add_co_ci_u32_e32 v58, vcc_lo, 0, v58, vcc_lo
	v_add_co_u32 v59, s0, v59, 4
	s_delay_alu instid0(VALU_DEP_1)
	v_add_co_ci_u32_e64 v60, s0, 0, v60, s0
	s_add_u32 s20, s20, 1
	s_addc_u32 s21, s21, 0
	s_and_not1_b32 s0, s25, exec_lo
	s_waitcnt vmcnt(0)
	v_cmp_neq_f32_e32 vcc_lo, v61, v62
	s_and_b32 s25, vcc_lo, exec_lo
	s_delay_alu instid0(SALU_CYCLE_1)
	s_or_b32 s25, s0, s25
.LBB927_370:                            ;   in Loop: Header=BB927_371 Depth=1
	v_dual_mov_b32 v62, s21 :: v_dual_mov_b32 v61, s20
	s_and_b32 s0, exec_lo, s25
	s_delay_alu instid0(SALU_CYCLE_1) | instskip(NEXT) | instid1(SALU_CYCLE_1)
	s_or_b32 s24, s0, s24
	s_and_not1_b32 exec_lo, exec_lo, s24
	s_cbranch_execz .LBB927_374
.LBB927_371:                            ; =>This Inner Loop Header: Depth=1
	s_or_b32 s25, s25, exec_lo
	s_cmp_eq_u64 s[14:15], s[20:21]
	s_cbranch_scc0 .LBB927_369
; %bb.372:                              ;   in Loop: Header=BB927_371 Depth=1
	s_mov_b64 s[20:21], s[8:9]
                                        ; implicit-def: $vgpr57_vgpr58
                                        ; implicit-def: $vgpr59_vgpr60
	s_branch .LBB927_370
.LBB927_373:
	v_mov_b32_e32 v117, 0
	v_mov_b32_e32 v118, 0
	s_branch .LBB927_376
.LBB927_374:
	s_set_inst_prefetch_distance 0x2
	s_or_b32 exec_lo, exec_lo, s24
	v_cmp_gt_i64_e32 vcc_lo, s[8:9], v[61:62]
	s_mov_b32 s0, 0
	s_delay_alu instid0(SALU_CYCLE_1)
	v_mov_b32_e32 v118, s0
	v_cndmask_b32_e64 v117, 0, 1, vcc_lo
.LBB927_375:
	s_or_b32 exec_lo, exec_lo, s23
.LBB927_376:
	s_delay_alu instid0(SALU_CYCLE_1) | instskip(SKIP_3) | instid1(VALU_DEP_2)
	s_or_b32 exec_lo, exec_lo, s22
	v_dual_mov_b32 v120, v10 :: v_dual_add_nc_u32 v57, 24, v64
	v_mov_b32_e32 v119, v9
	s_mov_b32 s22, exec_lo
	v_cmpx_gt_u32_e64 s3, v57
	s_cbranch_execz .LBB927_387
; %bb.377:
	v_cmp_ne_u32_e32 vcc_lo, 1, v63
	s_cbranch_vccnz .LBB927_384
; %bb.378:
	v_mul_lo_u32 v61, v10, s8
	v_mul_lo_u32 v62, v9, s9
	v_mad_u64_u32 v[57:58], null, v9, s8, 0
	v_mul_lo_u32 v65, v56, s8
	v_mul_lo_u32 v66, v55, s9
	v_mad_u64_u32 v[59:60], null, v55, s8, 0
	v_mov_b32_e32 v119, 1
	v_mov_b32_e32 v120, 0
	v_add3_u32 v58, v58, v62, v61
	s_mov_b32 s23, exec_lo
	s_delay_alu instid0(VALU_DEP_4) | instskip(NEXT) | instid1(VALU_DEP_2)
	v_add3_u32 v60, v60, v66, v65
	v_lshlrev_b64 v[57:58], 2, v[57:58]
	s_delay_alu instid0(VALU_DEP_2) | instskip(NEXT) | instid1(VALU_DEP_2)
	v_lshlrev_b64 v[61:62], 2, v[59:60]
	v_add_co_u32 v59, vcc_lo, s10, v57
	s_delay_alu instid0(VALU_DEP_3) | instskip(NEXT) | instid1(VALU_DEP_3)
	v_add_co_ci_u32_e32 v60, vcc_lo, s11, v58, vcc_lo
	v_add_co_u32 v57, vcc_lo, s10, v61
	s_delay_alu instid0(VALU_DEP_4)
	v_add_co_ci_u32_e32 v58, vcc_lo, s11, v62, vcc_lo
	s_clause 0x1
	global_load_b32 v61, v[59:60], off
	global_load_b32 v62, v[57:58], off
	s_waitcnt vmcnt(0)
	v_cmpx_eq_f32_e32 v61, v62
	s_cbranch_execz .LBB927_386
; %bb.379:
	v_add_co_u32 v57, vcc_lo, v57, 4
	v_add_co_ci_u32_e32 v58, vcc_lo, 0, v58, vcc_lo
	v_add_co_u32 v59, vcc_lo, v59, 4
	v_add_co_ci_u32_e32 v60, vcc_lo, 0, v60, vcc_lo
	s_add_u32 s14, s8, -1
	s_addc_u32 s15, s9, -1
	s_mov_b64 s[20:21], 0
	s_mov_b32 s24, 0
                                        ; implicit-def: $sgpr25
	s_set_inst_prefetch_distance 0x1
	s_branch .LBB927_382
	.p2align	6
.LBB927_380:                            ;   in Loop: Header=BB927_382 Depth=1
	global_load_b32 v61, v[59:60], off
	global_load_b32 v62, v[57:58], off
	v_add_co_u32 v57, vcc_lo, v57, 4
	v_add_co_ci_u32_e32 v58, vcc_lo, 0, v58, vcc_lo
	v_add_co_u32 v59, s0, v59, 4
	s_delay_alu instid0(VALU_DEP_1)
	v_add_co_ci_u32_e64 v60, s0, 0, v60, s0
	s_add_u32 s20, s20, 1
	s_addc_u32 s21, s21, 0
	s_and_not1_b32 s0, s25, exec_lo
	s_waitcnt vmcnt(0)
	v_cmp_neq_f32_e32 vcc_lo, v61, v62
	s_and_b32 s25, vcc_lo, exec_lo
	s_delay_alu instid0(SALU_CYCLE_1)
	s_or_b32 s25, s0, s25
.LBB927_381:                            ;   in Loop: Header=BB927_382 Depth=1
	v_dual_mov_b32 v62, s21 :: v_dual_mov_b32 v61, s20
	s_and_b32 s0, exec_lo, s25
	s_delay_alu instid0(SALU_CYCLE_1) | instskip(NEXT) | instid1(SALU_CYCLE_1)
	s_or_b32 s24, s0, s24
	s_and_not1_b32 exec_lo, exec_lo, s24
	s_cbranch_execz .LBB927_385
.LBB927_382:                            ; =>This Inner Loop Header: Depth=1
	s_or_b32 s25, s25, exec_lo
	s_cmp_eq_u64 s[14:15], s[20:21]
	s_cbranch_scc0 .LBB927_380
; %bb.383:                              ;   in Loop: Header=BB927_382 Depth=1
	s_mov_b64 s[20:21], s[8:9]
                                        ; implicit-def: $vgpr57_vgpr58
                                        ; implicit-def: $vgpr59_vgpr60
	s_branch .LBB927_381
.LBB927_384:
	v_mov_b32_e32 v119, 0
	v_mov_b32_e32 v120, 0
	s_branch .LBB927_387
.LBB927_385:
	s_set_inst_prefetch_distance 0x2
	s_or_b32 exec_lo, exec_lo, s24
	v_cmp_gt_i64_e32 vcc_lo, s[8:9], v[61:62]
	s_mov_b32 s0, 0
	s_delay_alu instid0(SALU_CYCLE_1)
	v_mov_b32_e32 v120, s0
	v_cndmask_b32_e64 v119, 0, 1, vcc_lo
.LBB927_386:
	s_or_b32 exec_lo, exec_lo, s23
.LBB927_387:
	s_delay_alu instid0(SALU_CYCLE_1) | instskip(SKIP_3) | instid1(VALU_DEP_2)
	s_or_b32 exec_lo, exec_lo, s22
	v_dual_mov_b32 v122, v56 :: v_dual_add_nc_u32 v57, 23, v64
	v_mov_b32_e32 v121, v55
	s_mov_b32 s22, exec_lo
	v_cmpx_gt_u32_e64 s3, v57
	s_cbranch_execz .LBB927_398
; %bb.388:
	v_cmp_ne_u32_e32 vcc_lo, 1, v63
	s_cbranch_vccnz .LBB927_395
; %bb.389:
	v_mul_lo_u32 v61, v56, s8
	v_mul_lo_u32 v62, v55, s9
	v_mad_u64_u32 v[57:58], null, v55, s8, 0
	v_mul_lo_u32 v65, v54, s8
	v_mul_lo_u32 v66, v53, s9
	v_mad_u64_u32 v[59:60], null, v53, s8, 0
	v_mov_b32_e32 v121, 1
	v_mov_b32_e32 v122, 0
	v_add3_u32 v58, v58, v62, v61
	s_mov_b32 s23, exec_lo
	s_delay_alu instid0(VALU_DEP_4) | instskip(NEXT) | instid1(VALU_DEP_2)
	v_add3_u32 v60, v60, v66, v65
	v_lshlrev_b64 v[57:58], 2, v[57:58]
	s_delay_alu instid0(VALU_DEP_2) | instskip(NEXT) | instid1(VALU_DEP_2)
	v_lshlrev_b64 v[61:62], 2, v[59:60]
	v_add_co_u32 v59, vcc_lo, s10, v57
	s_delay_alu instid0(VALU_DEP_3) | instskip(NEXT) | instid1(VALU_DEP_3)
	v_add_co_ci_u32_e32 v60, vcc_lo, s11, v58, vcc_lo
	v_add_co_u32 v57, vcc_lo, s10, v61
	s_delay_alu instid0(VALU_DEP_4)
	v_add_co_ci_u32_e32 v58, vcc_lo, s11, v62, vcc_lo
	s_clause 0x1
	global_load_b32 v61, v[59:60], off
	global_load_b32 v62, v[57:58], off
	s_waitcnt vmcnt(0)
	v_cmpx_eq_f32_e32 v61, v62
	s_cbranch_execz .LBB927_397
; %bb.390:
	v_add_co_u32 v57, vcc_lo, v57, 4
	v_add_co_ci_u32_e32 v58, vcc_lo, 0, v58, vcc_lo
	v_add_co_u32 v59, vcc_lo, v59, 4
	v_add_co_ci_u32_e32 v60, vcc_lo, 0, v60, vcc_lo
	s_add_u32 s14, s8, -1
	s_addc_u32 s15, s9, -1
	s_mov_b64 s[20:21], 0
	s_mov_b32 s24, 0
                                        ; implicit-def: $sgpr25
	s_set_inst_prefetch_distance 0x1
	s_branch .LBB927_393
	.p2align	6
.LBB927_391:                            ;   in Loop: Header=BB927_393 Depth=1
	global_load_b32 v61, v[59:60], off
	global_load_b32 v62, v[57:58], off
	v_add_co_u32 v57, vcc_lo, v57, 4
	v_add_co_ci_u32_e32 v58, vcc_lo, 0, v58, vcc_lo
	v_add_co_u32 v59, s0, v59, 4
	s_delay_alu instid0(VALU_DEP_1)
	v_add_co_ci_u32_e64 v60, s0, 0, v60, s0
	s_add_u32 s20, s20, 1
	s_addc_u32 s21, s21, 0
	s_and_not1_b32 s0, s25, exec_lo
	s_waitcnt vmcnt(0)
	v_cmp_neq_f32_e32 vcc_lo, v61, v62
	s_and_b32 s25, vcc_lo, exec_lo
	s_delay_alu instid0(SALU_CYCLE_1)
	s_or_b32 s25, s0, s25
.LBB927_392:                            ;   in Loop: Header=BB927_393 Depth=1
	v_dual_mov_b32 v62, s21 :: v_dual_mov_b32 v61, s20
	s_and_b32 s0, exec_lo, s25
	s_delay_alu instid0(SALU_CYCLE_1) | instskip(NEXT) | instid1(SALU_CYCLE_1)
	s_or_b32 s24, s0, s24
	s_and_not1_b32 exec_lo, exec_lo, s24
	s_cbranch_execz .LBB927_396
.LBB927_393:                            ; =>This Inner Loop Header: Depth=1
	s_or_b32 s25, s25, exec_lo
	s_cmp_eq_u64 s[14:15], s[20:21]
	s_cbranch_scc0 .LBB927_391
; %bb.394:                              ;   in Loop: Header=BB927_393 Depth=1
	s_mov_b64 s[20:21], s[8:9]
                                        ; implicit-def: $vgpr57_vgpr58
                                        ; implicit-def: $vgpr59_vgpr60
	s_branch .LBB927_392
.LBB927_395:
	v_mov_b32_e32 v121, 0
	v_mov_b32_e32 v122, 0
	s_branch .LBB927_398
.LBB927_396:
	s_set_inst_prefetch_distance 0x2
	s_or_b32 exec_lo, exec_lo, s24
	v_cmp_gt_i64_e32 vcc_lo, s[8:9], v[61:62]
	s_mov_b32 s0, 0
	s_delay_alu instid0(SALU_CYCLE_1)
	v_mov_b32_e32 v122, s0
	v_cndmask_b32_e64 v121, 0, 1, vcc_lo
.LBB927_397:
	s_or_b32 exec_lo, exec_lo, s23
.LBB927_398:
	s_delay_alu instid0(SALU_CYCLE_1) | instskip(SKIP_3) | instid1(VALU_DEP_2)
	s_or_b32 exec_lo, exec_lo, s22
	v_dual_mov_b32 v124, v54 :: v_dual_add_nc_u32 v57, 22, v64
	v_mov_b32_e32 v123, v53
	s_mov_b32 s22, exec_lo
	v_cmpx_gt_u32_e64 s3, v57
	s_cbranch_execz .LBB927_409
; %bb.399:
	v_cmp_ne_u32_e32 vcc_lo, 1, v63
	s_cbranch_vccnz .LBB927_406
; %bb.400:
	v_mul_lo_u32 v61, v54, s8
	v_mul_lo_u32 v62, v53, s9
	v_mad_u64_u32 v[57:58], null, v53, s8, 0
	v_mul_lo_u32 v65, v52, s8
	v_mul_lo_u32 v66, v51, s9
	v_mad_u64_u32 v[59:60], null, v51, s8, 0
	v_mov_b32_e32 v123, 1
	v_mov_b32_e32 v124, 0
	v_add3_u32 v58, v58, v62, v61
	s_mov_b32 s23, exec_lo
	s_delay_alu instid0(VALU_DEP_4) | instskip(NEXT) | instid1(VALU_DEP_2)
	v_add3_u32 v60, v60, v66, v65
	v_lshlrev_b64 v[57:58], 2, v[57:58]
	s_delay_alu instid0(VALU_DEP_2) | instskip(NEXT) | instid1(VALU_DEP_2)
	v_lshlrev_b64 v[61:62], 2, v[59:60]
	v_add_co_u32 v59, vcc_lo, s10, v57
	s_delay_alu instid0(VALU_DEP_3) | instskip(NEXT) | instid1(VALU_DEP_3)
	v_add_co_ci_u32_e32 v60, vcc_lo, s11, v58, vcc_lo
	v_add_co_u32 v57, vcc_lo, s10, v61
	s_delay_alu instid0(VALU_DEP_4)
	v_add_co_ci_u32_e32 v58, vcc_lo, s11, v62, vcc_lo
	s_clause 0x1
	global_load_b32 v61, v[59:60], off
	global_load_b32 v62, v[57:58], off
	s_waitcnt vmcnt(0)
	v_cmpx_eq_f32_e32 v61, v62
	s_cbranch_execz .LBB927_408
; %bb.401:
	v_add_co_u32 v57, vcc_lo, v57, 4
	v_add_co_ci_u32_e32 v58, vcc_lo, 0, v58, vcc_lo
	v_add_co_u32 v59, vcc_lo, v59, 4
	v_add_co_ci_u32_e32 v60, vcc_lo, 0, v60, vcc_lo
	s_add_u32 s14, s8, -1
	s_addc_u32 s15, s9, -1
	s_mov_b64 s[20:21], 0
	s_mov_b32 s24, 0
                                        ; implicit-def: $sgpr25
	s_set_inst_prefetch_distance 0x1
	s_branch .LBB927_404
	.p2align	6
.LBB927_402:                            ;   in Loop: Header=BB927_404 Depth=1
	global_load_b32 v61, v[59:60], off
	global_load_b32 v62, v[57:58], off
	v_add_co_u32 v57, vcc_lo, v57, 4
	v_add_co_ci_u32_e32 v58, vcc_lo, 0, v58, vcc_lo
	v_add_co_u32 v59, s0, v59, 4
	s_delay_alu instid0(VALU_DEP_1)
	v_add_co_ci_u32_e64 v60, s0, 0, v60, s0
	s_add_u32 s20, s20, 1
	s_addc_u32 s21, s21, 0
	s_and_not1_b32 s0, s25, exec_lo
	s_waitcnt vmcnt(0)
	v_cmp_neq_f32_e32 vcc_lo, v61, v62
	s_and_b32 s25, vcc_lo, exec_lo
	s_delay_alu instid0(SALU_CYCLE_1)
	s_or_b32 s25, s0, s25
.LBB927_403:                            ;   in Loop: Header=BB927_404 Depth=1
	v_dual_mov_b32 v62, s21 :: v_dual_mov_b32 v61, s20
	s_and_b32 s0, exec_lo, s25
	s_delay_alu instid0(SALU_CYCLE_1) | instskip(NEXT) | instid1(SALU_CYCLE_1)
	s_or_b32 s24, s0, s24
	s_and_not1_b32 exec_lo, exec_lo, s24
	s_cbranch_execz .LBB927_407
.LBB927_404:                            ; =>This Inner Loop Header: Depth=1
	s_or_b32 s25, s25, exec_lo
	s_cmp_eq_u64 s[14:15], s[20:21]
	s_cbranch_scc0 .LBB927_402
; %bb.405:                              ;   in Loop: Header=BB927_404 Depth=1
	s_mov_b64 s[20:21], s[8:9]
                                        ; implicit-def: $vgpr57_vgpr58
                                        ; implicit-def: $vgpr59_vgpr60
	s_branch .LBB927_403
.LBB927_406:
	v_mov_b32_e32 v123, 0
	v_mov_b32_e32 v124, 0
	s_branch .LBB927_409
.LBB927_407:
	s_set_inst_prefetch_distance 0x2
	s_or_b32 exec_lo, exec_lo, s24
	v_cmp_gt_i64_e32 vcc_lo, s[8:9], v[61:62]
	s_mov_b32 s0, 0
	s_delay_alu instid0(SALU_CYCLE_1)
	v_mov_b32_e32 v124, s0
	v_cndmask_b32_e64 v123, 0, 1, vcc_lo
.LBB927_408:
	s_or_b32 exec_lo, exec_lo, s23
.LBB927_409:
	s_delay_alu instid0(SALU_CYCLE_1) | instskip(SKIP_3) | instid1(VALU_DEP_2)
	s_or_b32 exec_lo, exec_lo, s22
	v_dual_mov_b32 v126, v52 :: v_dual_add_nc_u32 v57, 21, v64
	v_mov_b32_e32 v125, v51
	s_mov_b32 s22, exec_lo
	v_cmpx_gt_u32_e64 s3, v57
	s_cbranch_execz .LBB927_420
; %bb.410:
	v_cmp_ne_u32_e32 vcc_lo, 1, v63
	s_cbranch_vccnz .LBB927_417
; %bb.411:
	v_mul_lo_u32 v61, v52, s8
	v_mul_lo_u32 v62, v51, s9
	v_mad_u64_u32 v[57:58], null, v51, s8, 0
	v_mul_lo_u32 v65, v50, s8
	v_mul_lo_u32 v66, v49, s9
	v_mad_u64_u32 v[59:60], null, v49, s8, 0
	v_mov_b32_e32 v125, 1
	v_mov_b32_e32 v126, 0
	v_add3_u32 v58, v58, v62, v61
	s_mov_b32 s23, exec_lo
	s_delay_alu instid0(VALU_DEP_4) | instskip(NEXT) | instid1(VALU_DEP_2)
	v_add3_u32 v60, v60, v66, v65
	v_lshlrev_b64 v[57:58], 2, v[57:58]
	s_delay_alu instid0(VALU_DEP_2) | instskip(NEXT) | instid1(VALU_DEP_2)
	v_lshlrev_b64 v[61:62], 2, v[59:60]
	v_add_co_u32 v59, vcc_lo, s10, v57
	s_delay_alu instid0(VALU_DEP_3) | instskip(NEXT) | instid1(VALU_DEP_3)
	v_add_co_ci_u32_e32 v60, vcc_lo, s11, v58, vcc_lo
	v_add_co_u32 v57, vcc_lo, s10, v61
	s_delay_alu instid0(VALU_DEP_4)
	v_add_co_ci_u32_e32 v58, vcc_lo, s11, v62, vcc_lo
	s_clause 0x1
	global_load_b32 v61, v[59:60], off
	global_load_b32 v62, v[57:58], off
	s_waitcnt vmcnt(0)
	v_cmpx_eq_f32_e32 v61, v62
	s_cbranch_execz .LBB927_419
; %bb.412:
	v_add_co_u32 v57, vcc_lo, v57, 4
	v_add_co_ci_u32_e32 v58, vcc_lo, 0, v58, vcc_lo
	v_add_co_u32 v59, vcc_lo, v59, 4
	v_add_co_ci_u32_e32 v60, vcc_lo, 0, v60, vcc_lo
	s_add_u32 s14, s8, -1
	s_addc_u32 s15, s9, -1
	s_mov_b64 s[20:21], 0
	s_mov_b32 s24, 0
                                        ; implicit-def: $sgpr25
	s_set_inst_prefetch_distance 0x1
	s_branch .LBB927_415
	.p2align	6
.LBB927_413:                            ;   in Loop: Header=BB927_415 Depth=1
	global_load_b32 v61, v[59:60], off
	global_load_b32 v62, v[57:58], off
	v_add_co_u32 v57, vcc_lo, v57, 4
	v_add_co_ci_u32_e32 v58, vcc_lo, 0, v58, vcc_lo
	v_add_co_u32 v59, s0, v59, 4
	s_delay_alu instid0(VALU_DEP_1)
	v_add_co_ci_u32_e64 v60, s0, 0, v60, s0
	s_add_u32 s20, s20, 1
	s_addc_u32 s21, s21, 0
	s_and_not1_b32 s0, s25, exec_lo
	s_waitcnt vmcnt(0)
	v_cmp_neq_f32_e32 vcc_lo, v61, v62
	s_and_b32 s25, vcc_lo, exec_lo
	s_delay_alu instid0(SALU_CYCLE_1)
	s_or_b32 s25, s0, s25
.LBB927_414:                            ;   in Loop: Header=BB927_415 Depth=1
	v_dual_mov_b32 v62, s21 :: v_dual_mov_b32 v61, s20
	s_and_b32 s0, exec_lo, s25
	s_delay_alu instid0(SALU_CYCLE_1) | instskip(NEXT) | instid1(SALU_CYCLE_1)
	s_or_b32 s24, s0, s24
	s_and_not1_b32 exec_lo, exec_lo, s24
	s_cbranch_execz .LBB927_418
.LBB927_415:                            ; =>This Inner Loop Header: Depth=1
	s_or_b32 s25, s25, exec_lo
	s_cmp_eq_u64 s[14:15], s[20:21]
	s_cbranch_scc0 .LBB927_413
; %bb.416:                              ;   in Loop: Header=BB927_415 Depth=1
	s_mov_b64 s[20:21], s[8:9]
                                        ; implicit-def: $vgpr57_vgpr58
                                        ; implicit-def: $vgpr59_vgpr60
	s_branch .LBB927_414
.LBB927_417:
	v_mov_b32_e32 v125, 0
	v_mov_b32_e32 v126, 0
	s_branch .LBB927_420
.LBB927_418:
	s_set_inst_prefetch_distance 0x2
	s_or_b32 exec_lo, exec_lo, s24
	v_cmp_gt_i64_e32 vcc_lo, s[8:9], v[61:62]
	s_mov_b32 s0, 0
	s_delay_alu instid0(SALU_CYCLE_1)
	v_mov_b32_e32 v126, s0
	v_cndmask_b32_e64 v125, 0, 1, vcc_lo
.LBB927_419:
	s_or_b32 exec_lo, exec_lo, s23
.LBB927_420:
	s_delay_alu instid0(SALU_CYCLE_1) | instskip(SKIP_3) | instid1(VALU_DEP_2)
	s_or_b32 exec_lo, exec_lo, s22
	v_dual_mov_b32 v128, v50 :: v_dual_add_nc_u32 v57, 20, v64
	v_mov_b32_e32 v127, v49
	s_mov_b32 s22, exec_lo
	v_cmpx_gt_u32_e64 s3, v57
	s_cbranch_execz .LBB927_431
; %bb.421:
	v_cmp_ne_u32_e32 vcc_lo, 1, v63
	s_cbranch_vccnz .LBB927_428
; %bb.422:
	v_mul_lo_u32 v61, v50, s8
	v_mul_lo_u32 v62, v49, s9
	v_mad_u64_u32 v[57:58], null, v49, s8, 0
	v_mul_lo_u32 v65, v48, s8
	v_mul_lo_u32 v66, v47, s9
	v_mad_u64_u32 v[59:60], null, v47, s8, 0
	v_mov_b32_e32 v127, 1
	v_mov_b32_e32 v128, 0
	v_add3_u32 v58, v58, v62, v61
	s_mov_b32 s23, exec_lo
	s_delay_alu instid0(VALU_DEP_4) | instskip(NEXT) | instid1(VALU_DEP_2)
	v_add3_u32 v60, v60, v66, v65
	v_lshlrev_b64 v[57:58], 2, v[57:58]
	s_delay_alu instid0(VALU_DEP_2) | instskip(NEXT) | instid1(VALU_DEP_2)
	v_lshlrev_b64 v[61:62], 2, v[59:60]
	v_add_co_u32 v59, vcc_lo, s10, v57
	s_delay_alu instid0(VALU_DEP_3) | instskip(NEXT) | instid1(VALU_DEP_3)
	v_add_co_ci_u32_e32 v60, vcc_lo, s11, v58, vcc_lo
	v_add_co_u32 v57, vcc_lo, s10, v61
	s_delay_alu instid0(VALU_DEP_4)
	v_add_co_ci_u32_e32 v58, vcc_lo, s11, v62, vcc_lo
	s_clause 0x1
	global_load_b32 v61, v[59:60], off
	global_load_b32 v62, v[57:58], off
	s_waitcnt vmcnt(0)
	v_cmpx_eq_f32_e32 v61, v62
	s_cbranch_execz .LBB927_430
; %bb.423:
	v_add_co_u32 v57, vcc_lo, v57, 4
	v_add_co_ci_u32_e32 v58, vcc_lo, 0, v58, vcc_lo
	v_add_co_u32 v59, vcc_lo, v59, 4
	v_add_co_ci_u32_e32 v60, vcc_lo, 0, v60, vcc_lo
	s_add_u32 s14, s8, -1
	s_addc_u32 s15, s9, -1
	s_mov_b64 s[20:21], 0
	s_mov_b32 s24, 0
                                        ; implicit-def: $sgpr25
	s_set_inst_prefetch_distance 0x1
	s_branch .LBB927_426
	.p2align	6
.LBB927_424:                            ;   in Loop: Header=BB927_426 Depth=1
	global_load_b32 v61, v[59:60], off
	global_load_b32 v62, v[57:58], off
	v_add_co_u32 v57, vcc_lo, v57, 4
	v_add_co_ci_u32_e32 v58, vcc_lo, 0, v58, vcc_lo
	v_add_co_u32 v59, s0, v59, 4
	s_delay_alu instid0(VALU_DEP_1)
	v_add_co_ci_u32_e64 v60, s0, 0, v60, s0
	s_add_u32 s20, s20, 1
	s_addc_u32 s21, s21, 0
	s_and_not1_b32 s0, s25, exec_lo
	s_waitcnt vmcnt(0)
	v_cmp_neq_f32_e32 vcc_lo, v61, v62
	s_and_b32 s25, vcc_lo, exec_lo
	s_delay_alu instid0(SALU_CYCLE_1)
	s_or_b32 s25, s0, s25
.LBB927_425:                            ;   in Loop: Header=BB927_426 Depth=1
	v_dual_mov_b32 v62, s21 :: v_dual_mov_b32 v61, s20
	s_and_b32 s0, exec_lo, s25
	s_delay_alu instid0(SALU_CYCLE_1) | instskip(NEXT) | instid1(SALU_CYCLE_1)
	s_or_b32 s24, s0, s24
	s_and_not1_b32 exec_lo, exec_lo, s24
	s_cbranch_execz .LBB927_429
.LBB927_426:                            ; =>This Inner Loop Header: Depth=1
	s_or_b32 s25, s25, exec_lo
	s_cmp_eq_u64 s[14:15], s[20:21]
	s_cbranch_scc0 .LBB927_424
; %bb.427:                              ;   in Loop: Header=BB927_426 Depth=1
	s_mov_b64 s[20:21], s[8:9]
                                        ; implicit-def: $vgpr57_vgpr58
                                        ; implicit-def: $vgpr59_vgpr60
	s_branch .LBB927_425
.LBB927_428:
	v_mov_b32_e32 v127, 0
	v_mov_b32_e32 v128, 0
	s_branch .LBB927_431
.LBB927_429:
	s_set_inst_prefetch_distance 0x2
	s_or_b32 exec_lo, exec_lo, s24
	v_cmp_gt_i64_e32 vcc_lo, s[8:9], v[61:62]
	s_mov_b32 s0, 0
	s_delay_alu instid0(SALU_CYCLE_1)
	v_mov_b32_e32 v128, s0
	v_cndmask_b32_e64 v127, 0, 1, vcc_lo
.LBB927_430:
	s_or_b32 exec_lo, exec_lo, s23
.LBB927_431:
	s_delay_alu instid0(SALU_CYCLE_1) | instskip(SKIP_3) | instid1(VALU_DEP_2)
	s_or_b32 exec_lo, exec_lo, s22
	v_dual_mov_b32 v130, v48 :: v_dual_add_nc_u32 v57, 19, v64
	v_mov_b32_e32 v129, v47
	s_mov_b32 s22, exec_lo
	v_cmpx_gt_u32_e64 s3, v57
	s_cbranch_execz .LBB927_442
; %bb.432:
	v_cmp_ne_u32_e32 vcc_lo, 1, v63
	s_cbranch_vccnz .LBB927_439
; %bb.433:
	v_mul_lo_u32 v61, v48, s8
	v_mul_lo_u32 v62, v47, s9
	v_mad_u64_u32 v[57:58], null, v47, s8, 0
	v_mul_lo_u32 v65, v46, s8
	v_mul_lo_u32 v66, v45, s9
	v_mad_u64_u32 v[59:60], null, v45, s8, 0
	v_mov_b32_e32 v129, 1
	v_mov_b32_e32 v130, 0
	v_add3_u32 v58, v58, v62, v61
	s_mov_b32 s23, exec_lo
	s_delay_alu instid0(VALU_DEP_4) | instskip(NEXT) | instid1(VALU_DEP_2)
	v_add3_u32 v60, v60, v66, v65
	v_lshlrev_b64 v[57:58], 2, v[57:58]
	s_delay_alu instid0(VALU_DEP_2) | instskip(NEXT) | instid1(VALU_DEP_2)
	v_lshlrev_b64 v[61:62], 2, v[59:60]
	v_add_co_u32 v59, vcc_lo, s10, v57
	s_delay_alu instid0(VALU_DEP_3) | instskip(NEXT) | instid1(VALU_DEP_3)
	v_add_co_ci_u32_e32 v60, vcc_lo, s11, v58, vcc_lo
	v_add_co_u32 v57, vcc_lo, s10, v61
	s_delay_alu instid0(VALU_DEP_4)
	v_add_co_ci_u32_e32 v58, vcc_lo, s11, v62, vcc_lo
	s_clause 0x1
	global_load_b32 v61, v[59:60], off
	global_load_b32 v62, v[57:58], off
	s_waitcnt vmcnt(0)
	v_cmpx_eq_f32_e32 v61, v62
	s_cbranch_execz .LBB927_441
; %bb.434:
	v_add_co_u32 v57, vcc_lo, v57, 4
	v_add_co_ci_u32_e32 v58, vcc_lo, 0, v58, vcc_lo
	v_add_co_u32 v59, vcc_lo, v59, 4
	v_add_co_ci_u32_e32 v60, vcc_lo, 0, v60, vcc_lo
	s_add_u32 s14, s8, -1
	s_addc_u32 s15, s9, -1
	s_mov_b64 s[20:21], 0
	s_mov_b32 s24, 0
                                        ; implicit-def: $sgpr25
	s_set_inst_prefetch_distance 0x1
	s_branch .LBB927_437
	.p2align	6
.LBB927_435:                            ;   in Loop: Header=BB927_437 Depth=1
	global_load_b32 v61, v[59:60], off
	global_load_b32 v62, v[57:58], off
	v_add_co_u32 v57, vcc_lo, v57, 4
	v_add_co_ci_u32_e32 v58, vcc_lo, 0, v58, vcc_lo
	v_add_co_u32 v59, s0, v59, 4
	s_delay_alu instid0(VALU_DEP_1)
	v_add_co_ci_u32_e64 v60, s0, 0, v60, s0
	s_add_u32 s20, s20, 1
	s_addc_u32 s21, s21, 0
	s_and_not1_b32 s0, s25, exec_lo
	s_waitcnt vmcnt(0)
	v_cmp_neq_f32_e32 vcc_lo, v61, v62
	s_and_b32 s25, vcc_lo, exec_lo
	s_delay_alu instid0(SALU_CYCLE_1)
	s_or_b32 s25, s0, s25
.LBB927_436:                            ;   in Loop: Header=BB927_437 Depth=1
	v_dual_mov_b32 v62, s21 :: v_dual_mov_b32 v61, s20
	s_and_b32 s0, exec_lo, s25
	s_delay_alu instid0(SALU_CYCLE_1) | instskip(NEXT) | instid1(SALU_CYCLE_1)
	s_or_b32 s24, s0, s24
	s_and_not1_b32 exec_lo, exec_lo, s24
	s_cbranch_execz .LBB927_440
.LBB927_437:                            ; =>This Inner Loop Header: Depth=1
	s_or_b32 s25, s25, exec_lo
	s_cmp_eq_u64 s[14:15], s[20:21]
	s_cbranch_scc0 .LBB927_435
; %bb.438:                              ;   in Loop: Header=BB927_437 Depth=1
	s_mov_b64 s[20:21], s[8:9]
                                        ; implicit-def: $vgpr57_vgpr58
                                        ; implicit-def: $vgpr59_vgpr60
	s_branch .LBB927_436
.LBB927_439:
	v_mov_b32_e32 v129, 0
	v_mov_b32_e32 v130, 0
	s_branch .LBB927_442
.LBB927_440:
	s_set_inst_prefetch_distance 0x2
	s_or_b32 exec_lo, exec_lo, s24
	v_cmp_gt_i64_e32 vcc_lo, s[8:9], v[61:62]
	s_mov_b32 s0, 0
	s_delay_alu instid0(SALU_CYCLE_1)
	v_mov_b32_e32 v130, s0
	v_cndmask_b32_e64 v129, 0, 1, vcc_lo
.LBB927_441:
	s_or_b32 exec_lo, exec_lo, s23
.LBB927_442:
	s_delay_alu instid0(SALU_CYCLE_1) | instskip(SKIP_3) | instid1(VALU_DEP_2)
	s_or_b32 exec_lo, exec_lo, s22
	v_dual_mov_b32 v132, v46 :: v_dual_add_nc_u32 v57, 18, v64
	v_mov_b32_e32 v131, v45
	s_mov_b32 s22, exec_lo
	v_cmpx_gt_u32_e64 s3, v57
	s_cbranch_execz .LBB927_453
; %bb.443:
	v_cmp_ne_u32_e32 vcc_lo, 1, v63
	s_cbranch_vccnz .LBB927_450
; %bb.444:
	v_mul_lo_u32 v61, v46, s8
	v_mul_lo_u32 v62, v45, s9
	v_mad_u64_u32 v[57:58], null, v45, s8, 0
	v_mul_lo_u32 v65, v44, s8
	v_mul_lo_u32 v66, v43, s9
	v_mad_u64_u32 v[59:60], null, v43, s8, 0
	v_mov_b32_e32 v131, 1
	v_mov_b32_e32 v132, 0
	v_add3_u32 v58, v58, v62, v61
	s_mov_b32 s23, exec_lo
	s_delay_alu instid0(VALU_DEP_4) | instskip(NEXT) | instid1(VALU_DEP_2)
	v_add3_u32 v60, v60, v66, v65
	v_lshlrev_b64 v[57:58], 2, v[57:58]
	s_delay_alu instid0(VALU_DEP_2) | instskip(NEXT) | instid1(VALU_DEP_2)
	v_lshlrev_b64 v[61:62], 2, v[59:60]
	v_add_co_u32 v59, vcc_lo, s10, v57
	s_delay_alu instid0(VALU_DEP_3) | instskip(NEXT) | instid1(VALU_DEP_3)
	v_add_co_ci_u32_e32 v60, vcc_lo, s11, v58, vcc_lo
	v_add_co_u32 v57, vcc_lo, s10, v61
	s_delay_alu instid0(VALU_DEP_4)
	v_add_co_ci_u32_e32 v58, vcc_lo, s11, v62, vcc_lo
	s_clause 0x1
	global_load_b32 v61, v[59:60], off
	global_load_b32 v62, v[57:58], off
	s_waitcnt vmcnt(0)
	v_cmpx_eq_f32_e32 v61, v62
	s_cbranch_execz .LBB927_452
; %bb.445:
	v_add_co_u32 v57, vcc_lo, v57, 4
	v_add_co_ci_u32_e32 v58, vcc_lo, 0, v58, vcc_lo
	v_add_co_u32 v59, vcc_lo, v59, 4
	v_add_co_ci_u32_e32 v60, vcc_lo, 0, v60, vcc_lo
	s_add_u32 s14, s8, -1
	s_addc_u32 s15, s9, -1
	s_mov_b64 s[20:21], 0
	s_mov_b32 s24, 0
                                        ; implicit-def: $sgpr25
	s_set_inst_prefetch_distance 0x1
	s_branch .LBB927_448
	.p2align	6
.LBB927_446:                            ;   in Loop: Header=BB927_448 Depth=1
	global_load_b32 v61, v[59:60], off
	global_load_b32 v62, v[57:58], off
	v_add_co_u32 v57, vcc_lo, v57, 4
	v_add_co_ci_u32_e32 v58, vcc_lo, 0, v58, vcc_lo
	v_add_co_u32 v59, s0, v59, 4
	s_delay_alu instid0(VALU_DEP_1)
	v_add_co_ci_u32_e64 v60, s0, 0, v60, s0
	s_add_u32 s20, s20, 1
	s_addc_u32 s21, s21, 0
	s_and_not1_b32 s0, s25, exec_lo
	s_waitcnt vmcnt(0)
	v_cmp_neq_f32_e32 vcc_lo, v61, v62
	s_and_b32 s25, vcc_lo, exec_lo
	s_delay_alu instid0(SALU_CYCLE_1)
	s_or_b32 s25, s0, s25
.LBB927_447:                            ;   in Loop: Header=BB927_448 Depth=1
	v_dual_mov_b32 v62, s21 :: v_dual_mov_b32 v61, s20
	s_and_b32 s0, exec_lo, s25
	s_delay_alu instid0(SALU_CYCLE_1) | instskip(NEXT) | instid1(SALU_CYCLE_1)
	s_or_b32 s24, s0, s24
	s_and_not1_b32 exec_lo, exec_lo, s24
	s_cbranch_execz .LBB927_451
.LBB927_448:                            ; =>This Inner Loop Header: Depth=1
	s_or_b32 s25, s25, exec_lo
	s_cmp_eq_u64 s[14:15], s[20:21]
	s_cbranch_scc0 .LBB927_446
; %bb.449:                              ;   in Loop: Header=BB927_448 Depth=1
	s_mov_b64 s[20:21], s[8:9]
                                        ; implicit-def: $vgpr57_vgpr58
                                        ; implicit-def: $vgpr59_vgpr60
	s_branch .LBB927_447
.LBB927_450:
	v_mov_b32_e32 v131, 0
	v_mov_b32_e32 v132, 0
	s_branch .LBB927_453
.LBB927_451:
	s_set_inst_prefetch_distance 0x2
	s_or_b32 exec_lo, exec_lo, s24
	v_cmp_gt_i64_e32 vcc_lo, s[8:9], v[61:62]
	s_mov_b32 s0, 0
	s_delay_alu instid0(SALU_CYCLE_1)
	v_mov_b32_e32 v132, s0
	v_cndmask_b32_e64 v131, 0, 1, vcc_lo
.LBB927_452:
	s_or_b32 exec_lo, exec_lo, s23
.LBB927_453:
	s_delay_alu instid0(SALU_CYCLE_1) | instskip(SKIP_3) | instid1(VALU_DEP_2)
	s_or_b32 exec_lo, exec_lo, s22
	v_dual_mov_b32 v134, v44 :: v_dual_add_nc_u32 v57, 17, v64
	v_mov_b32_e32 v133, v43
	s_mov_b32 s22, exec_lo
	v_cmpx_gt_u32_e64 s3, v57
	s_cbranch_execz .LBB927_464
; %bb.454:
	v_cmp_ne_u32_e32 vcc_lo, 1, v63
	s_cbranch_vccnz .LBB927_461
; %bb.455:
	v_mul_lo_u32 v61, v44, s8
	v_mul_lo_u32 v62, v43, s9
	v_mad_u64_u32 v[57:58], null, v43, s8, 0
	v_mul_lo_u32 v65, v42, s8
	v_mul_lo_u32 v66, v41, s9
	v_mad_u64_u32 v[59:60], null, v41, s8, 0
	v_mov_b32_e32 v133, 1
	v_mov_b32_e32 v134, 0
	v_add3_u32 v58, v58, v62, v61
	s_mov_b32 s23, exec_lo
	s_delay_alu instid0(VALU_DEP_4) | instskip(NEXT) | instid1(VALU_DEP_2)
	v_add3_u32 v60, v60, v66, v65
	v_lshlrev_b64 v[57:58], 2, v[57:58]
	s_delay_alu instid0(VALU_DEP_2) | instskip(NEXT) | instid1(VALU_DEP_2)
	v_lshlrev_b64 v[61:62], 2, v[59:60]
	v_add_co_u32 v59, vcc_lo, s10, v57
	s_delay_alu instid0(VALU_DEP_3) | instskip(NEXT) | instid1(VALU_DEP_3)
	v_add_co_ci_u32_e32 v60, vcc_lo, s11, v58, vcc_lo
	v_add_co_u32 v57, vcc_lo, s10, v61
	s_delay_alu instid0(VALU_DEP_4)
	v_add_co_ci_u32_e32 v58, vcc_lo, s11, v62, vcc_lo
	s_clause 0x1
	global_load_b32 v61, v[59:60], off
	global_load_b32 v62, v[57:58], off
	s_waitcnt vmcnt(0)
	v_cmpx_eq_f32_e32 v61, v62
	s_cbranch_execz .LBB927_463
; %bb.456:
	v_add_co_u32 v57, vcc_lo, v57, 4
	v_add_co_ci_u32_e32 v58, vcc_lo, 0, v58, vcc_lo
	v_add_co_u32 v59, vcc_lo, v59, 4
	v_add_co_ci_u32_e32 v60, vcc_lo, 0, v60, vcc_lo
	s_add_u32 s14, s8, -1
	s_addc_u32 s15, s9, -1
	s_mov_b64 s[20:21], 0
	s_mov_b32 s24, 0
                                        ; implicit-def: $sgpr25
	s_set_inst_prefetch_distance 0x1
	s_branch .LBB927_459
	.p2align	6
.LBB927_457:                            ;   in Loop: Header=BB927_459 Depth=1
	global_load_b32 v61, v[59:60], off
	global_load_b32 v62, v[57:58], off
	v_add_co_u32 v57, vcc_lo, v57, 4
	v_add_co_ci_u32_e32 v58, vcc_lo, 0, v58, vcc_lo
	v_add_co_u32 v59, s0, v59, 4
	s_delay_alu instid0(VALU_DEP_1)
	v_add_co_ci_u32_e64 v60, s0, 0, v60, s0
	s_add_u32 s20, s20, 1
	s_addc_u32 s21, s21, 0
	s_and_not1_b32 s0, s25, exec_lo
	s_waitcnt vmcnt(0)
	v_cmp_neq_f32_e32 vcc_lo, v61, v62
	s_and_b32 s25, vcc_lo, exec_lo
	s_delay_alu instid0(SALU_CYCLE_1)
	s_or_b32 s25, s0, s25
.LBB927_458:                            ;   in Loop: Header=BB927_459 Depth=1
	v_dual_mov_b32 v62, s21 :: v_dual_mov_b32 v61, s20
	s_and_b32 s0, exec_lo, s25
	s_delay_alu instid0(SALU_CYCLE_1) | instskip(NEXT) | instid1(SALU_CYCLE_1)
	s_or_b32 s24, s0, s24
	s_and_not1_b32 exec_lo, exec_lo, s24
	s_cbranch_execz .LBB927_462
.LBB927_459:                            ; =>This Inner Loop Header: Depth=1
	s_or_b32 s25, s25, exec_lo
	s_cmp_eq_u64 s[14:15], s[20:21]
	s_cbranch_scc0 .LBB927_457
; %bb.460:                              ;   in Loop: Header=BB927_459 Depth=1
	s_mov_b64 s[20:21], s[8:9]
                                        ; implicit-def: $vgpr57_vgpr58
                                        ; implicit-def: $vgpr59_vgpr60
	s_branch .LBB927_458
.LBB927_461:
	v_mov_b32_e32 v133, 0
	v_mov_b32_e32 v134, 0
	s_branch .LBB927_464
.LBB927_462:
	s_set_inst_prefetch_distance 0x2
	s_or_b32 exec_lo, exec_lo, s24
	v_cmp_gt_i64_e32 vcc_lo, s[8:9], v[61:62]
	s_mov_b32 s0, 0
	s_delay_alu instid0(SALU_CYCLE_1)
	v_mov_b32_e32 v134, s0
	v_cndmask_b32_e64 v133, 0, 1, vcc_lo
.LBB927_463:
	s_or_b32 exec_lo, exec_lo, s23
.LBB927_464:
	s_delay_alu instid0(SALU_CYCLE_1) | instskip(SKIP_3) | instid1(VALU_DEP_2)
	s_or_b32 exec_lo, exec_lo, s22
	v_dual_mov_b32 v136, v42 :: v_dual_add_nc_u32 v57, 16, v64
	v_mov_b32_e32 v135, v41
	s_mov_b32 s22, exec_lo
	v_cmpx_gt_u32_e64 s3, v57
	s_cbranch_execz .LBB927_475
; %bb.465:
	v_cmp_ne_u32_e32 vcc_lo, 1, v63
	s_cbranch_vccnz .LBB927_472
; %bb.466:
	v_mul_lo_u32 v61, v42, s8
	v_mul_lo_u32 v62, v41, s9
	v_mad_u64_u32 v[57:58], null, v41, s8, 0
	v_mul_lo_u32 v65, v40, s8
	v_mul_lo_u32 v66, v39, s9
	v_mad_u64_u32 v[59:60], null, v39, s8, 0
	v_mov_b32_e32 v135, 1
	v_mov_b32_e32 v136, 0
	v_add3_u32 v58, v58, v62, v61
	s_mov_b32 s23, exec_lo
	s_delay_alu instid0(VALU_DEP_4) | instskip(NEXT) | instid1(VALU_DEP_2)
	v_add3_u32 v60, v60, v66, v65
	v_lshlrev_b64 v[57:58], 2, v[57:58]
	s_delay_alu instid0(VALU_DEP_2) | instskip(NEXT) | instid1(VALU_DEP_2)
	v_lshlrev_b64 v[61:62], 2, v[59:60]
	v_add_co_u32 v59, vcc_lo, s10, v57
	s_delay_alu instid0(VALU_DEP_3) | instskip(NEXT) | instid1(VALU_DEP_3)
	v_add_co_ci_u32_e32 v60, vcc_lo, s11, v58, vcc_lo
	v_add_co_u32 v57, vcc_lo, s10, v61
	s_delay_alu instid0(VALU_DEP_4)
	v_add_co_ci_u32_e32 v58, vcc_lo, s11, v62, vcc_lo
	s_clause 0x1
	global_load_b32 v61, v[59:60], off
	global_load_b32 v62, v[57:58], off
	s_waitcnt vmcnt(0)
	v_cmpx_eq_f32_e32 v61, v62
	s_cbranch_execz .LBB927_474
; %bb.467:
	v_add_co_u32 v57, vcc_lo, v57, 4
	v_add_co_ci_u32_e32 v58, vcc_lo, 0, v58, vcc_lo
	v_add_co_u32 v59, vcc_lo, v59, 4
	v_add_co_ci_u32_e32 v60, vcc_lo, 0, v60, vcc_lo
	s_add_u32 s14, s8, -1
	s_addc_u32 s15, s9, -1
	s_mov_b64 s[20:21], 0
	s_mov_b32 s24, 0
                                        ; implicit-def: $sgpr25
	s_set_inst_prefetch_distance 0x1
	s_branch .LBB927_470
	.p2align	6
.LBB927_468:                            ;   in Loop: Header=BB927_470 Depth=1
	global_load_b32 v61, v[59:60], off
	global_load_b32 v62, v[57:58], off
	v_add_co_u32 v57, vcc_lo, v57, 4
	v_add_co_ci_u32_e32 v58, vcc_lo, 0, v58, vcc_lo
	v_add_co_u32 v59, s0, v59, 4
	s_delay_alu instid0(VALU_DEP_1)
	v_add_co_ci_u32_e64 v60, s0, 0, v60, s0
	s_add_u32 s20, s20, 1
	s_addc_u32 s21, s21, 0
	s_and_not1_b32 s0, s25, exec_lo
	s_waitcnt vmcnt(0)
	v_cmp_neq_f32_e32 vcc_lo, v61, v62
	s_and_b32 s25, vcc_lo, exec_lo
	s_delay_alu instid0(SALU_CYCLE_1)
	s_or_b32 s25, s0, s25
.LBB927_469:                            ;   in Loop: Header=BB927_470 Depth=1
	v_dual_mov_b32 v62, s21 :: v_dual_mov_b32 v61, s20
	s_and_b32 s0, exec_lo, s25
	s_delay_alu instid0(SALU_CYCLE_1) | instskip(NEXT) | instid1(SALU_CYCLE_1)
	s_or_b32 s24, s0, s24
	s_and_not1_b32 exec_lo, exec_lo, s24
	s_cbranch_execz .LBB927_473
.LBB927_470:                            ; =>This Inner Loop Header: Depth=1
	s_or_b32 s25, s25, exec_lo
	s_cmp_eq_u64 s[14:15], s[20:21]
	s_cbranch_scc0 .LBB927_468
; %bb.471:                              ;   in Loop: Header=BB927_470 Depth=1
	s_mov_b64 s[20:21], s[8:9]
                                        ; implicit-def: $vgpr57_vgpr58
                                        ; implicit-def: $vgpr59_vgpr60
	s_branch .LBB927_469
.LBB927_472:
	v_mov_b32_e32 v135, 0
	v_mov_b32_e32 v136, 0
	s_branch .LBB927_475
.LBB927_473:
	s_set_inst_prefetch_distance 0x2
	s_or_b32 exec_lo, exec_lo, s24
	v_cmp_gt_i64_e32 vcc_lo, s[8:9], v[61:62]
	s_mov_b32 s0, 0
	s_delay_alu instid0(SALU_CYCLE_1)
	v_mov_b32_e32 v136, s0
	v_cndmask_b32_e64 v135, 0, 1, vcc_lo
.LBB927_474:
	s_or_b32 exec_lo, exec_lo, s23
.LBB927_475:
	s_delay_alu instid0(SALU_CYCLE_1) | instskip(SKIP_3) | instid1(VALU_DEP_2)
	s_or_b32 exec_lo, exec_lo, s22
	v_dual_mov_b32 v138, v40 :: v_dual_add_nc_u32 v57, 15, v64
	v_mov_b32_e32 v137, v39
	s_mov_b32 s22, exec_lo
	v_cmpx_gt_u32_e64 s3, v57
	s_cbranch_execz .LBB927_486
; %bb.476:
	v_cmp_ne_u32_e32 vcc_lo, 1, v63
	s_cbranch_vccnz .LBB927_483
; %bb.477:
	v_mul_lo_u32 v61, v40, s8
	v_mul_lo_u32 v62, v39, s9
	v_mad_u64_u32 v[57:58], null, v39, s8, 0
	v_mul_lo_u32 v65, v38, s8
	v_mul_lo_u32 v66, v37, s9
	v_mad_u64_u32 v[59:60], null, v37, s8, 0
	v_mov_b32_e32 v137, 1
	v_mov_b32_e32 v138, 0
	v_add3_u32 v58, v58, v62, v61
	s_mov_b32 s23, exec_lo
	s_delay_alu instid0(VALU_DEP_4) | instskip(NEXT) | instid1(VALU_DEP_2)
	v_add3_u32 v60, v60, v66, v65
	v_lshlrev_b64 v[57:58], 2, v[57:58]
	s_delay_alu instid0(VALU_DEP_2) | instskip(NEXT) | instid1(VALU_DEP_2)
	v_lshlrev_b64 v[61:62], 2, v[59:60]
	v_add_co_u32 v59, vcc_lo, s10, v57
	s_delay_alu instid0(VALU_DEP_3) | instskip(NEXT) | instid1(VALU_DEP_3)
	v_add_co_ci_u32_e32 v60, vcc_lo, s11, v58, vcc_lo
	v_add_co_u32 v57, vcc_lo, s10, v61
	s_delay_alu instid0(VALU_DEP_4)
	v_add_co_ci_u32_e32 v58, vcc_lo, s11, v62, vcc_lo
	s_clause 0x1
	global_load_b32 v61, v[59:60], off
	global_load_b32 v62, v[57:58], off
	s_waitcnt vmcnt(0)
	v_cmpx_eq_f32_e32 v61, v62
	s_cbranch_execz .LBB927_485
; %bb.478:
	v_add_co_u32 v57, vcc_lo, v57, 4
	v_add_co_ci_u32_e32 v58, vcc_lo, 0, v58, vcc_lo
	v_add_co_u32 v59, vcc_lo, v59, 4
	v_add_co_ci_u32_e32 v60, vcc_lo, 0, v60, vcc_lo
	s_add_u32 s14, s8, -1
	s_addc_u32 s15, s9, -1
	s_mov_b64 s[20:21], 0
	s_mov_b32 s24, 0
                                        ; implicit-def: $sgpr25
	s_set_inst_prefetch_distance 0x1
	s_branch .LBB927_481
	.p2align	6
.LBB927_479:                            ;   in Loop: Header=BB927_481 Depth=1
	global_load_b32 v61, v[59:60], off
	global_load_b32 v62, v[57:58], off
	v_add_co_u32 v57, vcc_lo, v57, 4
	v_add_co_ci_u32_e32 v58, vcc_lo, 0, v58, vcc_lo
	v_add_co_u32 v59, s0, v59, 4
	s_delay_alu instid0(VALU_DEP_1)
	v_add_co_ci_u32_e64 v60, s0, 0, v60, s0
	s_add_u32 s20, s20, 1
	s_addc_u32 s21, s21, 0
	s_and_not1_b32 s0, s25, exec_lo
	s_waitcnt vmcnt(0)
	v_cmp_neq_f32_e32 vcc_lo, v61, v62
	s_and_b32 s25, vcc_lo, exec_lo
	s_delay_alu instid0(SALU_CYCLE_1)
	s_or_b32 s25, s0, s25
.LBB927_480:                            ;   in Loop: Header=BB927_481 Depth=1
	v_dual_mov_b32 v62, s21 :: v_dual_mov_b32 v61, s20
	s_and_b32 s0, exec_lo, s25
	s_delay_alu instid0(SALU_CYCLE_1) | instskip(NEXT) | instid1(SALU_CYCLE_1)
	s_or_b32 s24, s0, s24
	s_and_not1_b32 exec_lo, exec_lo, s24
	s_cbranch_execz .LBB927_484
.LBB927_481:                            ; =>This Inner Loop Header: Depth=1
	s_or_b32 s25, s25, exec_lo
	s_cmp_eq_u64 s[14:15], s[20:21]
	s_cbranch_scc0 .LBB927_479
; %bb.482:                              ;   in Loop: Header=BB927_481 Depth=1
	s_mov_b64 s[20:21], s[8:9]
                                        ; implicit-def: $vgpr57_vgpr58
                                        ; implicit-def: $vgpr59_vgpr60
	s_branch .LBB927_480
.LBB927_483:
	v_mov_b32_e32 v137, 0
	v_mov_b32_e32 v138, 0
	s_branch .LBB927_486
.LBB927_484:
	s_set_inst_prefetch_distance 0x2
	s_or_b32 exec_lo, exec_lo, s24
	v_cmp_gt_i64_e32 vcc_lo, s[8:9], v[61:62]
	s_mov_b32 s0, 0
	s_delay_alu instid0(SALU_CYCLE_1)
	v_mov_b32_e32 v138, s0
	v_cndmask_b32_e64 v137, 0, 1, vcc_lo
.LBB927_485:
	s_or_b32 exec_lo, exec_lo, s23
.LBB927_486:
	s_delay_alu instid0(SALU_CYCLE_1) | instskip(SKIP_3) | instid1(VALU_DEP_2)
	s_or_b32 exec_lo, exec_lo, s22
	v_dual_mov_b32 v140, v38 :: v_dual_add_nc_u32 v57, 14, v64
	v_mov_b32_e32 v139, v37
	s_mov_b32 s22, exec_lo
	v_cmpx_gt_u32_e64 s3, v57
	s_cbranch_execz .LBB927_497
; %bb.487:
	v_cmp_ne_u32_e32 vcc_lo, 1, v63
	s_cbranch_vccnz .LBB927_494
; %bb.488:
	v_mul_lo_u32 v61, v38, s8
	v_mul_lo_u32 v62, v37, s9
	v_mad_u64_u32 v[57:58], null, v37, s8, 0
	v_mul_lo_u32 v65, v36, s8
	v_mul_lo_u32 v66, v35, s9
	v_mad_u64_u32 v[59:60], null, v35, s8, 0
	v_mov_b32_e32 v139, 1
	v_mov_b32_e32 v140, 0
	v_add3_u32 v58, v58, v62, v61
	s_mov_b32 s23, exec_lo
	s_delay_alu instid0(VALU_DEP_4) | instskip(NEXT) | instid1(VALU_DEP_2)
	v_add3_u32 v60, v60, v66, v65
	v_lshlrev_b64 v[57:58], 2, v[57:58]
	s_delay_alu instid0(VALU_DEP_2) | instskip(NEXT) | instid1(VALU_DEP_2)
	v_lshlrev_b64 v[61:62], 2, v[59:60]
	v_add_co_u32 v59, vcc_lo, s10, v57
	s_delay_alu instid0(VALU_DEP_3) | instskip(NEXT) | instid1(VALU_DEP_3)
	v_add_co_ci_u32_e32 v60, vcc_lo, s11, v58, vcc_lo
	v_add_co_u32 v57, vcc_lo, s10, v61
	s_delay_alu instid0(VALU_DEP_4)
	v_add_co_ci_u32_e32 v58, vcc_lo, s11, v62, vcc_lo
	s_clause 0x1
	global_load_b32 v61, v[59:60], off
	global_load_b32 v62, v[57:58], off
	s_waitcnt vmcnt(0)
	v_cmpx_eq_f32_e32 v61, v62
	s_cbranch_execz .LBB927_496
; %bb.489:
	v_add_co_u32 v57, vcc_lo, v57, 4
	v_add_co_ci_u32_e32 v58, vcc_lo, 0, v58, vcc_lo
	v_add_co_u32 v59, vcc_lo, v59, 4
	v_add_co_ci_u32_e32 v60, vcc_lo, 0, v60, vcc_lo
	s_add_u32 s14, s8, -1
	s_addc_u32 s15, s9, -1
	s_mov_b64 s[20:21], 0
	s_mov_b32 s24, 0
                                        ; implicit-def: $sgpr25
	s_set_inst_prefetch_distance 0x1
	s_branch .LBB927_492
	.p2align	6
.LBB927_490:                            ;   in Loop: Header=BB927_492 Depth=1
	global_load_b32 v61, v[59:60], off
	global_load_b32 v62, v[57:58], off
	v_add_co_u32 v57, vcc_lo, v57, 4
	v_add_co_ci_u32_e32 v58, vcc_lo, 0, v58, vcc_lo
	v_add_co_u32 v59, s0, v59, 4
	s_delay_alu instid0(VALU_DEP_1)
	v_add_co_ci_u32_e64 v60, s0, 0, v60, s0
	s_add_u32 s20, s20, 1
	s_addc_u32 s21, s21, 0
	s_and_not1_b32 s0, s25, exec_lo
	s_waitcnt vmcnt(0)
	v_cmp_neq_f32_e32 vcc_lo, v61, v62
	s_and_b32 s25, vcc_lo, exec_lo
	s_delay_alu instid0(SALU_CYCLE_1)
	s_or_b32 s25, s0, s25
.LBB927_491:                            ;   in Loop: Header=BB927_492 Depth=1
	v_dual_mov_b32 v62, s21 :: v_dual_mov_b32 v61, s20
	s_and_b32 s0, exec_lo, s25
	s_delay_alu instid0(SALU_CYCLE_1) | instskip(NEXT) | instid1(SALU_CYCLE_1)
	s_or_b32 s24, s0, s24
	s_and_not1_b32 exec_lo, exec_lo, s24
	s_cbranch_execz .LBB927_495
.LBB927_492:                            ; =>This Inner Loop Header: Depth=1
	s_or_b32 s25, s25, exec_lo
	s_cmp_eq_u64 s[14:15], s[20:21]
	s_cbranch_scc0 .LBB927_490
; %bb.493:                              ;   in Loop: Header=BB927_492 Depth=1
	s_mov_b64 s[20:21], s[8:9]
                                        ; implicit-def: $vgpr57_vgpr58
                                        ; implicit-def: $vgpr59_vgpr60
	s_branch .LBB927_491
.LBB927_494:
	v_mov_b32_e32 v139, 0
	v_mov_b32_e32 v140, 0
	s_branch .LBB927_497
.LBB927_495:
	s_set_inst_prefetch_distance 0x2
	s_or_b32 exec_lo, exec_lo, s24
	v_cmp_gt_i64_e32 vcc_lo, s[8:9], v[61:62]
	s_mov_b32 s0, 0
	s_delay_alu instid0(SALU_CYCLE_1)
	v_mov_b32_e32 v140, s0
	v_cndmask_b32_e64 v139, 0, 1, vcc_lo
.LBB927_496:
	s_or_b32 exec_lo, exec_lo, s23
.LBB927_497:
	s_delay_alu instid0(SALU_CYCLE_1) | instskip(SKIP_3) | instid1(VALU_DEP_2)
	s_or_b32 exec_lo, exec_lo, s22
	v_dual_mov_b32 v142, v36 :: v_dual_add_nc_u32 v57, 13, v64
	v_mov_b32_e32 v141, v35
	s_mov_b32 s22, exec_lo
	v_cmpx_gt_u32_e64 s3, v57
	s_cbranch_execz .LBB927_508
; %bb.498:
	v_cmp_ne_u32_e32 vcc_lo, 1, v63
	s_cbranch_vccnz .LBB927_505
; %bb.499:
	v_mul_lo_u32 v61, v36, s8
	v_mul_lo_u32 v62, v35, s9
	v_mad_u64_u32 v[57:58], null, v35, s8, 0
	v_mul_lo_u32 v65, v34, s8
	v_mul_lo_u32 v66, v33, s9
	v_mad_u64_u32 v[59:60], null, v33, s8, 0
	v_mov_b32_e32 v141, 1
	v_mov_b32_e32 v142, 0
	v_add3_u32 v58, v58, v62, v61
	s_mov_b32 s23, exec_lo
	s_delay_alu instid0(VALU_DEP_4) | instskip(NEXT) | instid1(VALU_DEP_2)
	v_add3_u32 v60, v60, v66, v65
	v_lshlrev_b64 v[57:58], 2, v[57:58]
	s_delay_alu instid0(VALU_DEP_2) | instskip(NEXT) | instid1(VALU_DEP_2)
	v_lshlrev_b64 v[61:62], 2, v[59:60]
	v_add_co_u32 v59, vcc_lo, s10, v57
	s_delay_alu instid0(VALU_DEP_3) | instskip(NEXT) | instid1(VALU_DEP_3)
	v_add_co_ci_u32_e32 v60, vcc_lo, s11, v58, vcc_lo
	v_add_co_u32 v57, vcc_lo, s10, v61
	s_delay_alu instid0(VALU_DEP_4)
	v_add_co_ci_u32_e32 v58, vcc_lo, s11, v62, vcc_lo
	s_clause 0x1
	global_load_b32 v61, v[59:60], off
	global_load_b32 v62, v[57:58], off
	s_waitcnt vmcnt(0)
	v_cmpx_eq_f32_e32 v61, v62
	s_cbranch_execz .LBB927_507
; %bb.500:
	v_add_co_u32 v57, vcc_lo, v57, 4
	v_add_co_ci_u32_e32 v58, vcc_lo, 0, v58, vcc_lo
	v_add_co_u32 v59, vcc_lo, v59, 4
	v_add_co_ci_u32_e32 v60, vcc_lo, 0, v60, vcc_lo
	s_add_u32 s14, s8, -1
	s_addc_u32 s15, s9, -1
	s_mov_b64 s[20:21], 0
	s_mov_b32 s24, 0
                                        ; implicit-def: $sgpr25
	s_set_inst_prefetch_distance 0x1
	s_branch .LBB927_503
	.p2align	6
.LBB927_501:                            ;   in Loop: Header=BB927_503 Depth=1
	global_load_b32 v61, v[59:60], off
	global_load_b32 v62, v[57:58], off
	v_add_co_u32 v57, vcc_lo, v57, 4
	v_add_co_ci_u32_e32 v58, vcc_lo, 0, v58, vcc_lo
	v_add_co_u32 v59, s0, v59, 4
	s_delay_alu instid0(VALU_DEP_1)
	v_add_co_ci_u32_e64 v60, s0, 0, v60, s0
	s_add_u32 s20, s20, 1
	s_addc_u32 s21, s21, 0
	s_and_not1_b32 s0, s25, exec_lo
	s_waitcnt vmcnt(0)
	v_cmp_neq_f32_e32 vcc_lo, v61, v62
	s_and_b32 s25, vcc_lo, exec_lo
	s_delay_alu instid0(SALU_CYCLE_1)
	s_or_b32 s25, s0, s25
.LBB927_502:                            ;   in Loop: Header=BB927_503 Depth=1
	v_dual_mov_b32 v62, s21 :: v_dual_mov_b32 v61, s20
	s_and_b32 s0, exec_lo, s25
	s_delay_alu instid0(SALU_CYCLE_1) | instskip(NEXT) | instid1(SALU_CYCLE_1)
	s_or_b32 s24, s0, s24
	s_and_not1_b32 exec_lo, exec_lo, s24
	s_cbranch_execz .LBB927_506
.LBB927_503:                            ; =>This Inner Loop Header: Depth=1
	s_or_b32 s25, s25, exec_lo
	s_cmp_eq_u64 s[14:15], s[20:21]
	s_cbranch_scc0 .LBB927_501
; %bb.504:                              ;   in Loop: Header=BB927_503 Depth=1
	s_mov_b64 s[20:21], s[8:9]
                                        ; implicit-def: $vgpr57_vgpr58
                                        ; implicit-def: $vgpr59_vgpr60
	s_branch .LBB927_502
.LBB927_505:
	v_mov_b32_e32 v141, 0
	v_mov_b32_e32 v142, 0
	s_branch .LBB927_508
.LBB927_506:
	s_set_inst_prefetch_distance 0x2
	s_or_b32 exec_lo, exec_lo, s24
	v_cmp_gt_i64_e32 vcc_lo, s[8:9], v[61:62]
	s_mov_b32 s0, 0
	s_delay_alu instid0(SALU_CYCLE_1)
	v_mov_b32_e32 v142, s0
	v_cndmask_b32_e64 v141, 0, 1, vcc_lo
.LBB927_507:
	s_or_b32 exec_lo, exec_lo, s23
.LBB927_508:
	s_delay_alu instid0(SALU_CYCLE_1) | instskip(SKIP_3) | instid1(VALU_DEP_2)
	s_or_b32 exec_lo, exec_lo, s22
	v_dual_mov_b32 v144, v34 :: v_dual_add_nc_u32 v57, 12, v64
	v_mov_b32_e32 v143, v33
	s_mov_b32 s22, exec_lo
	v_cmpx_gt_u32_e64 s3, v57
	s_cbranch_execz .LBB927_519
; %bb.509:
	v_cmp_ne_u32_e32 vcc_lo, 1, v63
	s_cbranch_vccnz .LBB927_516
; %bb.510:
	v_mul_lo_u32 v61, v34, s8
	v_mul_lo_u32 v62, v33, s9
	v_mad_u64_u32 v[57:58], null, v33, s8, 0
	v_mul_lo_u32 v65, v32, s8
	v_mul_lo_u32 v66, v31, s9
	v_mad_u64_u32 v[59:60], null, v31, s8, 0
	v_mov_b32_e32 v143, 1
	v_mov_b32_e32 v144, 0
	v_add3_u32 v58, v58, v62, v61
	s_mov_b32 s23, exec_lo
	s_delay_alu instid0(VALU_DEP_4) | instskip(NEXT) | instid1(VALU_DEP_2)
	v_add3_u32 v60, v60, v66, v65
	v_lshlrev_b64 v[57:58], 2, v[57:58]
	s_delay_alu instid0(VALU_DEP_2) | instskip(NEXT) | instid1(VALU_DEP_2)
	v_lshlrev_b64 v[61:62], 2, v[59:60]
	v_add_co_u32 v59, vcc_lo, s10, v57
	s_delay_alu instid0(VALU_DEP_3) | instskip(NEXT) | instid1(VALU_DEP_3)
	v_add_co_ci_u32_e32 v60, vcc_lo, s11, v58, vcc_lo
	v_add_co_u32 v57, vcc_lo, s10, v61
	s_delay_alu instid0(VALU_DEP_4)
	v_add_co_ci_u32_e32 v58, vcc_lo, s11, v62, vcc_lo
	s_clause 0x1
	global_load_b32 v61, v[59:60], off
	global_load_b32 v62, v[57:58], off
	s_waitcnt vmcnt(0)
	v_cmpx_eq_f32_e32 v61, v62
	s_cbranch_execz .LBB927_518
; %bb.511:
	v_add_co_u32 v57, vcc_lo, v57, 4
	v_add_co_ci_u32_e32 v58, vcc_lo, 0, v58, vcc_lo
	v_add_co_u32 v59, vcc_lo, v59, 4
	v_add_co_ci_u32_e32 v60, vcc_lo, 0, v60, vcc_lo
	s_add_u32 s14, s8, -1
	s_addc_u32 s15, s9, -1
	s_mov_b64 s[20:21], 0
	s_mov_b32 s24, 0
                                        ; implicit-def: $sgpr25
	s_set_inst_prefetch_distance 0x1
	s_branch .LBB927_514
	.p2align	6
.LBB927_512:                            ;   in Loop: Header=BB927_514 Depth=1
	global_load_b32 v61, v[59:60], off
	global_load_b32 v62, v[57:58], off
	v_add_co_u32 v57, vcc_lo, v57, 4
	v_add_co_ci_u32_e32 v58, vcc_lo, 0, v58, vcc_lo
	v_add_co_u32 v59, s0, v59, 4
	s_delay_alu instid0(VALU_DEP_1)
	v_add_co_ci_u32_e64 v60, s0, 0, v60, s0
	s_add_u32 s20, s20, 1
	s_addc_u32 s21, s21, 0
	s_and_not1_b32 s0, s25, exec_lo
	s_waitcnt vmcnt(0)
	v_cmp_neq_f32_e32 vcc_lo, v61, v62
	s_and_b32 s25, vcc_lo, exec_lo
	s_delay_alu instid0(SALU_CYCLE_1)
	s_or_b32 s25, s0, s25
.LBB927_513:                            ;   in Loop: Header=BB927_514 Depth=1
	v_dual_mov_b32 v62, s21 :: v_dual_mov_b32 v61, s20
	s_and_b32 s0, exec_lo, s25
	s_delay_alu instid0(SALU_CYCLE_1) | instskip(NEXT) | instid1(SALU_CYCLE_1)
	s_or_b32 s24, s0, s24
	s_and_not1_b32 exec_lo, exec_lo, s24
	s_cbranch_execz .LBB927_517
.LBB927_514:                            ; =>This Inner Loop Header: Depth=1
	s_or_b32 s25, s25, exec_lo
	s_cmp_eq_u64 s[14:15], s[20:21]
	s_cbranch_scc0 .LBB927_512
; %bb.515:                              ;   in Loop: Header=BB927_514 Depth=1
	s_mov_b64 s[20:21], s[8:9]
                                        ; implicit-def: $vgpr57_vgpr58
                                        ; implicit-def: $vgpr59_vgpr60
	s_branch .LBB927_513
.LBB927_516:
	v_mov_b32_e32 v143, 0
	v_mov_b32_e32 v144, 0
	s_branch .LBB927_519
.LBB927_517:
	s_set_inst_prefetch_distance 0x2
	s_or_b32 exec_lo, exec_lo, s24
	v_cmp_gt_i64_e32 vcc_lo, s[8:9], v[61:62]
	s_mov_b32 s0, 0
	s_delay_alu instid0(SALU_CYCLE_1)
	v_mov_b32_e32 v144, s0
	v_cndmask_b32_e64 v143, 0, 1, vcc_lo
.LBB927_518:
	s_or_b32 exec_lo, exec_lo, s23
.LBB927_519:
	s_delay_alu instid0(SALU_CYCLE_1) | instskip(SKIP_3) | instid1(VALU_DEP_2)
	s_or_b32 exec_lo, exec_lo, s22
	v_dual_mov_b32 v146, v32 :: v_dual_add_nc_u32 v57, 11, v64
	v_mov_b32_e32 v145, v31
	s_mov_b32 s22, exec_lo
	v_cmpx_gt_u32_e64 s3, v57
	s_cbranch_execz .LBB927_530
; %bb.520:
	v_cmp_ne_u32_e32 vcc_lo, 1, v63
	s_cbranch_vccnz .LBB927_527
; %bb.521:
	v_mul_lo_u32 v61, v32, s8
	v_mul_lo_u32 v62, v31, s9
	v_mad_u64_u32 v[57:58], null, v31, s8, 0
	v_mul_lo_u32 v65, v30, s8
	v_mul_lo_u32 v66, v29, s9
	v_mad_u64_u32 v[59:60], null, v29, s8, 0
	v_mov_b32_e32 v145, 1
	v_mov_b32_e32 v146, 0
	v_add3_u32 v58, v58, v62, v61
	s_mov_b32 s23, exec_lo
	s_delay_alu instid0(VALU_DEP_4) | instskip(NEXT) | instid1(VALU_DEP_2)
	v_add3_u32 v60, v60, v66, v65
	v_lshlrev_b64 v[57:58], 2, v[57:58]
	s_delay_alu instid0(VALU_DEP_2) | instskip(NEXT) | instid1(VALU_DEP_2)
	v_lshlrev_b64 v[61:62], 2, v[59:60]
	v_add_co_u32 v59, vcc_lo, s10, v57
	s_delay_alu instid0(VALU_DEP_3) | instskip(NEXT) | instid1(VALU_DEP_3)
	v_add_co_ci_u32_e32 v60, vcc_lo, s11, v58, vcc_lo
	v_add_co_u32 v57, vcc_lo, s10, v61
	s_delay_alu instid0(VALU_DEP_4)
	v_add_co_ci_u32_e32 v58, vcc_lo, s11, v62, vcc_lo
	s_clause 0x1
	global_load_b32 v61, v[59:60], off
	global_load_b32 v62, v[57:58], off
	s_waitcnt vmcnt(0)
	v_cmpx_eq_f32_e32 v61, v62
	s_cbranch_execz .LBB927_529
; %bb.522:
	v_add_co_u32 v57, vcc_lo, v57, 4
	v_add_co_ci_u32_e32 v58, vcc_lo, 0, v58, vcc_lo
	v_add_co_u32 v59, vcc_lo, v59, 4
	v_add_co_ci_u32_e32 v60, vcc_lo, 0, v60, vcc_lo
	s_add_u32 s14, s8, -1
	s_addc_u32 s15, s9, -1
	s_mov_b64 s[20:21], 0
	s_mov_b32 s24, 0
                                        ; implicit-def: $sgpr25
	s_set_inst_prefetch_distance 0x1
	s_branch .LBB927_525
	.p2align	6
.LBB927_523:                            ;   in Loop: Header=BB927_525 Depth=1
	global_load_b32 v61, v[59:60], off
	global_load_b32 v62, v[57:58], off
	v_add_co_u32 v57, vcc_lo, v57, 4
	v_add_co_ci_u32_e32 v58, vcc_lo, 0, v58, vcc_lo
	v_add_co_u32 v59, s0, v59, 4
	s_delay_alu instid0(VALU_DEP_1)
	v_add_co_ci_u32_e64 v60, s0, 0, v60, s0
	s_add_u32 s20, s20, 1
	s_addc_u32 s21, s21, 0
	s_and_not1_b32 s0, s25, exec_lo
	s_waitcnt vmcnt(0)
	v_cmp_neq_f32_e32 vcc_lo, v61, v62
	s_and_b32 s25, vcc_lo, exec_lo
	s_delay_alu instid0(SALU_CYCLE_1)
	s_or_b32 s25, s0, s25
.LBB927_524:                            ;   in Loop: Header=BB927_525 Depth=1
	v_dual_mov_b32 v62, s21 :: v_dual_mov_b32 v61, s20
	s_and_b32 s0, exec_lo, s25
	s_delay_alu instid0(SALU_CYCLE_1) | instskip(NEXT) | instid1(SALU_CYCLE_1)
	s_or_b32 s24, s0, s24
	s_and_not1_b32 exec_lo, exec_lo, s24
	s_cbranch_execz .LBB927_528
.LBB927_525:                            ; =>This Inner Loop Header: Depth=1
	s_or_b32 s25, s25, exec_lo
	s_cmp_eq_u64 s[14:15], s[20:21]
	s_cbranch_scc0 .LBB927_523
; %bb.526:                              ;   in Loop: Header=BB927_525 Depth=1
	s_mov_b64 s[20:21], s[8:9]
                                        ; implicit-def: $vgpr57_vgpr58
                                        ; implicit-def: $vgpr59_vgpr60
	s_branch .LBB927_524
.LBB927_527:
	v_mov_b32_e32 v145, 0
	v_mov_b32_e32 v146, 0
	s_branch .LBB927_530
.LBB927_528:
	s_set_inst_prefetch_distance 0x2
	s_or_b32 exec_lo, exec_lo, s24
	v_cmp_gt_i64_e32 vcc_lo, s[8:9], v[61:62]
	s_mov_b32 s0, 0
	s_delay_alu instid0(SALU_CYCLE_1)
	v_mov_b32_e32 v146, s0
	v_cndmask_b32_e64 v145, 0, 1, vcc_lo
.LBB927_529:
	s_or_b32 exec_lo, exec_lo, s23
.LBB927_530:
	s_delay_alu instid0(SALU_CYCLE_1) | instskip(SKIP_3) | instid1(VALU_DEP_2)
	s_or_b32 exec_lo, exec_lo, s22
	v_dual_mov_b32 v148, v30 :: v_dual_add_nc_u32 v57, 10, v64
	v_mov_b32_e32 v147, v29
	s_mov_b32 s22, exec_lo
	v_cmpx_gt_u32_e64 s3, v57
	s_cbranch_execz .LBB927_541
; %bb.531:
	v_cmp_ne_u32_e32 vcc_lo, 1, v63
	s_cbranch_vccnz .LBB927_538
; %bb.532:
	v_mul_lo_u32 v61, v30, s8
	v_mul_lo_u32 v62, v29, s9
	v_mad_u64_u32 v[57:58], null, v29, s8, 0
	v_mul_lo_u32 v65, v28, s8
	v_mul_lo_u32 v66, v27, s9
	v_mad_u64_u32 v[59:60], null, v27, s8, 0
	v_mov_b32_e32 v147, 1
	v_mov_b32_e32 v148, 0
	v_add3_u32 v58, v58, v62, v61
	s_mov_b32 s23, exec_lo
	s_delay_alu instid0(VALU_DEP_4) | instskip(NEXT) | instid1(VALU_DEP_2)
	v_add3_u32 v60, v60, v66, v65
	v_lshlrev_b64 v[57:58], 2, v[57:58]
	s_delay_alu instid0(VALU_DEP_2) | instskip(NEXT) | instid1(VALU_DEP_2)
	v_lshlrev_b64 v[61:62], 2, v[59:60]
	v_add_co_u32 v59, vcc_lo, s10, v57
	s_delay_alu instid0(VALU_DEP_3) | instskip(NEXT) | instid1(VALU_DEP_3)
	v_add_co_ci_u32_e32 v60, vcc_lo, s11, v58, vcc_lo
	v_add_co_u32 v57, vcc_lo, s10, v61
	s_delay_alu instid0(VALU_DEP_4)
	v_add_co_ci_u32_e32 v58, vcc_lo, s11, v62, vcc_lo
	s_clause 0x1
	global_load_b32 v61, v[59:60], off
	global_load_b32 v62, v[57:58], off
	s_waitcnt vmcnt(0)
	v_cmpx_eq_f32_e32 v61, v62
	s_cbranch_execz .LBB927_540
; %bb.533:
	v_add_co_u32 v57, vcc_lo, v57, 4
	v_add_co_ci_u32_e32 v58, vcc_lo, 0, v58, vcc_lo
	v_add_co_u32 v59, vcc_lo, v59, 4
	v_add_co_ci_u32_e32 v60, vcc_lo, 0, v60, vcc_lo
	s_add_u32 s14, s8, -1
	s_addc_u32 s15, s9, -1
	s_mov_b64 s[20:21], 0
	s_mov_b32 s24, 0
                                        ; implicit-def: $sgpr25
	s_set_inst_prefetch_distance 0x1
	s_branch .LBB927_536
	.p2align	6
.LBB927_534:                            ;   in Loop: Header=BB927_536 Depth=1
	global_load_b32 v61, v[59:60], off
	global_load_b32 v62, v[57:58], off
	v_add_co_u32 v57, vcc_lo, v57, 4
	v_add_co_ci_u32_e32 v58, vcc_lo, 0, v58, vcc_lo
	v_add_co_u32 v59, s0, v59, 4
	s_delay_alu instid0(VALU_DEP_1)
	v_add_co_ci_u32_e64 v60, s0, 0, v60, s0
	s_add_u32 s20, s20, 1
	s_addc_u32 s21, s21, 0
	s_and_not1_b32 s0, s25, exec_lo
	s_waitcnt vmcnt(0)
	v_cmp_neq_f32_e32 vcc_lo, v61, v62
	s_and_b32 s25, vcc_lo, exec_lo
	s_delay_alu instid0(SALU_CYCLE_1)
	s_or_b32 s25, s0, s25
.LBB927_535:                            ;   in Loop: Header=BB927_536 Depth=1
	v_dual_mov_b32 v62, s21 :: v_dual_mov_b32 v61, s20
	s_and_b32 s0, exec_lo, s25
	s_delay_alu instid0(SALU_CYCLE_1) | instskip(NEXT) | instid1(SALU_CYCLE_1)
	s_or_b32 s24, s0, s24
	s_and_not1_b32 exec_lo, exec_lo, s24
	s_cbranch_execz .LBB927_539
.LBB927_536:                            ; =>This Inner Loop Header: Depth=1
	s_or_b32 s25, s25, exec_lo
	s_cmp_eq_u64 s[14:15], s[20:21]
	s_cbranch_scc0 .LBB927_534
; %bb.537:                              ;   in Loop: Header=BB927_536 Depth=1
	s_mov_b64 s[20:21], s[8:9]
                                        ; implicit-def: $vgpr57_vgpr58
                                        ; implicit-def: $vgpr59_vgpr60
	s_branch .LBB927_535
.LBB927_538:
	v_mov_b32_e32 v147, 0
	v_mov_b32_e32 v148, 0
	s_branch .LBB927_541
.LBB927_539:
	s_set_inst_prefetch_distance 0x2
	s_or_b32 exec_lo, exec_lo, s24
	v_cmp_gt_i64_e32 vcc_lo, s[8:9], v[61:62]
	s_mov_b32 s0, 0
	s_delay_alu instid0(SALU_CYCLE_1)
	v_mov_b32_e32 v148, s0
	v_cndmask_b32_e64 v147, 0, 1, vcc_lo
.LBB927_540:
	s_or_b32 exec_lo, exec_lo, s23
.LBB927_541:
	s_delay_alu instid0(SALU_CYCLE_1) | instskip(SKIP_3) | instid1(VALU_DEP_2)
	s_or_b32 exec_lo, exec_lo, s22
	v_dual_mov_b32 v150, v28 :: v_dual_add_nc_u32 v57, 9, v64
	v_mov_b32_e32 v149, v27
	s_mov_b32 s22, exec_lo
	v_cmpx_gt_u32_e64 s3, v57
	s_cbranch_execz .LBB927_552
; %bb.542:
	v_cmp_ne_u32_e32 vcc_lo, 1, v63
	s_cbranch_vccnz .LBB927_549
; %bb.543:
	v_mul_lo_u32 v61, v28, s8
	v_mul_lo_u32 v62, v27, s9
	v_mad_u64_u32 v[57:58], null, v27, s8, 0
	v_mul_lo_u32 v65, v26, s8
	v_mul_lo_u32 v66, v25, s9
	v_mad_u64_u32 v[59:60], null, v25, s8, 0
	v_mov_b32_e32 v149, 1
	v_mov_b32_e32 v150, 0
	v_add3_u32 v58, v58, v62, v61
	s_mov_b32 s23, exec_lo
	s_delay_alu instid0(VALU_DEP_4) | instskip(NEXT) | instid1(VALU_DEP_2)
	v_add3_u32 v60, v60, v66, v65
	v_lshlrev_b64 v[57:58], 2, v[57:58]
	s_delay_alu instid0(VALU_DEP_2) | instskip(NEXT) | instid1(VALU_DEP_2)
	v_lshlrev_b64 v[61:62], 2, v[59:60]
	v_add_co_u32 v59, vcc_lo, s10, v57
	s_delay_alu instid0(VALU_DEP_3) | instskip(NEXT) | instid1(VALU_DEP_3)
	v_add_co_ci_u32_e32 v60, vcc_lo, s11, v58, vcc_lo
	v_add_co_u32 v57, vcc_lo, s10, v61
	s_delay_alu instid0(VALU_DEP_4)
	v_add_co_ci_u32_e32 v58, vcc_lo, s11, v62, vcc_lo
	s_clause 0x1
	global_load_b32 v61, v[59:60], off
	global_load_b32 v62, v[57:58], off
	s_waitcnt vmcnt(0)
	v_cmpx_eq_f32_e32 v61, v62
	s_cbranch_execz .LBB927_551
; %bb.544:
	v_add_co_u32 v57, vcc_lo, v57, 4
	v_add_co_ci_u32_e32 v58, vcc_lo, 0, v58, vcc_lo
	v_add_co_u32 v59, vcc_lo, v59, 4
	v_add_co_ci_u32_e32 v60, vcc_lo, 0, v60, vcc_lo
	s_add_u32 s14, s8, -1
	s_addc_u32 s15, s9, -1
	s_mov_b64 s[20:21], 0
	s_mov_b32 s24, 0
                                        ; implicit-def: $sgpr25
	s_set_inst_prefetch_distance 0x1
	s_branch .LBB927_547
	.p2align	6
.LBB927_545:                            ;   in Loop: Header=BB927_547 Depth=1
	global_load_b32 v61, v[59:60], off
	global_load_b32 v62, v[57:58], off
	v_add_co_u32 v57, vcc_lo, v57, 4
	v_add_co_ci_u32_e32 v58, vcc_lo, 0, v58, vcc_lo
	v_add_co_u32 v59, s0, v59, 4
	s_delay_alu instid0(VALU_DEP_1)
	v_add_co_ci_u32_e64 v60, s0, 0, v60, s0
	s_add_u32 s20, s20, 1
	s_addc_u32 s21, s21, 0
	s_and_not1_b32 s0, s25, exec_lo
	s_waitcnt vmcnt(0)
	v_cmp_neq_f32_e32 vcc_lo, v61, v62
	s_and_b32 s25, vcc_lo, exec_lo
	s_delay_alu instid0(SALU_CYCLE_1)
	s_or_b32 s25, s0, s25
.LBB927_546:                            ;   in Loop: Header=BB927_547 Depth=1
	v_dual_mov_b32 v62, s21 :: v_dual_mov_b32 v61, s20
	s_and_b32 s0, exec_lo, s25
	s_delay_alu instid0(SALU_CYCLE_1) | instskip(NEXT) | instid1(SALU_CYCLE_1)
	s_or_b32 s24, s0, s24
	s_and_not1_b32 exec_lo, exec_lo, s24
	s_cbranch_execz .LBB927_550
.LBB927_547:                            ; =>This Inner Loop Header: Depth=1
	s_or_b32 s25, s25, exec_lo
	s_cmp_eq_u64 s[14:15], s[20:21]
	s_cbranch_scc0 .LBB927_545
; %bb.548:                              ;   in Loop: Header=BB927_547 Depth=1
	s_mov_b64 s[20:21], s[8:9]
                                        ; implicit-def: $vgpr57_vgpr58
                                        ; implicit-def: $vgpr59_vgpr60
	s_branch .LBB927_546
.LBB927_549:
	v_mov_b32_e32 v149, 0
	v_mov_b32_e32 v150, 0
	s_branch .LBB927_552
.LBB927_550:
	s_set_inst_prefetch_distance 0x2
	s_or_b32 exec_lo, exec_lo, s24
	v_cmp_gt_i64_e32 vcc_lo, s[8:9], v[61:62]
	s_mov_b32 s0, 0
	s_delay_alu instid0(SALU_CYCLE_1)
	v_mov_b32_e32 v150, s0
	v_cndmask_b32_e64 v149, 0, 1, vcc_lo
.LBB927_551:
	s_or_b32 exec_lo, exec_lo, s23
.LBB927_552:
	s_delay_alu instid0(SALU_CYCLE_1) | instskip(SKIP_3) | instid1(VALU_DEP_2)
	s_or_b32 exec_lo, exec_lo, s22
	v_dual_mov_b32 v152, v26 :: v_dual_add_nc_u32 v57, 8, v64
	v_mov_b32_e32 v151, v25
	s_mov_b32 s22, exec_lo
	v_cmpx_gt_u32_e64 s3, v57
	s_cbranch_execz .LBB927_563
; %bb.553:
	v_cmp_ne_u32_e32 vcc_lo, 1, v63
	s_cbranch_vccnz .LBB927_560
; %bb.554:
	v_mul_lo_u32 v61, v26, s8
	v_mul_lo_u32 v62, v25, s9
	v_mad_u64_u32 v[57:58], null, v25, s8, 0
	v_mul_lo_u32 v65, v24, s8
	v_mul_lo_u32 v66, v23, s9
	v_mad_u64_u32 v[59:60], null, v23, s8, 0
	v_mov_b32_e32 v151, 1
	v_mov_b32_e32 v152, 0
	v_add3_u32 v58, v58, v62, v61
	s_mov_b32 s23, exec_lo
	s_delay_alu instid0(VALU_DEP_4) | instskip(NEXT) | instid1(VALU_DEP_2)
	v_add3_u32 v60, v60, v66, v65
	v_lshlrev_b64 v[57:58], 2, v[57:58]
	s_delay_alu instid0(VALU_DEP_2) | instskip(NEXT) | instid1(VALU_DEP_2)
	v_lshlrev_b64 v[61:62], 2, v[59:60]
	v_add_co_u32 v59, vcc_lo, s10, v57
	s_delay_alu instid0(VALU_DEP_3) | instskip(NEXT) | instid1(VALU_DEP_3)
	v_add_co_ci_u32_e32 v60, vcc_lo, s11, v58, vcc_lo
	v_add_co_u32 v57, vcc_lo, s10, v61
	s_delay_alu instid0(VALU_DEP_4)
	v_add_co_ci_u32_e32 v58, vcc_lo, s11, v62, vcc_lo
	s_clause 0x1
	global_load_b32 v61, v[59:60], off
	global_load_b32 v62, v[57:58], off
	s_waitcnt vmcnt(0)
	v_cmpx_eq_f32_e32 v61, v62
	s_cbranch_execz .LBB927_562
; %bb.555:
	v_add_co_u32 v57, vcc_lo, v57, 4
	v_add_co_ci_u32_e32 v58, vcc_lo, 0, v58, vcc_lo
	v_add_co_u32 v59, vcc_lo, v59, 4
	v_add_co_ci_u32_e32 v60, vcc_lo, 0, v60, vcc_lo
	s_add_u32 s14, s8, -1
	s_addc_u32 s15, s9, -1
	s_mov_b64 s[20:21], 0
	s_mov_b32 s24, 0
                                        ; implicit-def: $sgpr25
	s_set_inst_prefetch_distance 0x1
	s_branch .LBB927_558
	.p2align	6
.LBB927_556:                            ;   in Loop: Header=BB927_558 Depth=1
	global_load_b32 v61, v[59:60], off
	global_load_b32 v62, v[57:58], off
	v_add_co_u32 v57, vcc_lo, v57, 4
	v_add_co_ci_u32_e32 v58, vcc_lo, 0, v58, vcc_lo
	v_add_co_u32 v59, s0, v59, 4
	s_delay_alu instid0(VALU_DEP_1)
	v_add_co_ci_u32_e64 v60, s0, 0, v60, s0
	s_add_u32 s20, s20, 1
	s_addc_u32 s21, s21, 0
	s_and_not1_b32 s0, s25, exec_lo
	s_waitcnt vmcnt(0)
	v_cmp_neq_f32_e32 vcc_lo, v61, v62
	s_and_b32 s25, vcc_lo, exec_lo
	s_delay_alu instid0(SALU_CYCLE_1)
	s_or_b32 s25, s0, s25
.LBB927_557:                            ;   in Loop: Header=BB927_558 Depth=1
	v_dual_mov_b32 v62, s21 :: v_dual_mov_b32 v61, s20
	s_and_b32 s0, exec_lo, s25
	s_delay_alu instid0(SALU_CYCLE_1) | instskip(NEXT) | instid1(SALU_CYCLE_1)
	s_or_b32 s24, s0, s24
	s_and_not1_b32 exec_lo, exec_lo, s24
	s_cbranch_execz .LBB927_561
.LBB927_558:                            ; =>This Inner Loop Header: Depth=1
	s_or_b32 s25, s25, exec_lo
	s_cmp_eq_u64 s[14:15], s[20:21]
	s_cbranch_scc0 .LBB927_556
; %bb.559:                              ;   in Loop: Header=BB927_558 Depth=1
	s_mov_b64 s[20:21], s[8:9]
                                        ; implicit-def: $vgpr57_vgpr58
                                        ; implicit-def: $vgpr59_vgpr60
	s_branch .LBB927_557
.LBB927_560:
	v_mov_b32_e32 v151, 0
	v_mov_b32_e32 v152, 0
	s_branch .LBB927_563
.LBB927_561:
	s_set_inst_prefetch_distance 0x2
	s_or_b32 exec_lo, exec_lo, s24
	v_cmp_gt_i64_e32 vcc_lo, s[8:9], v[61:62]
	s_mov_b32 s0, 0
	s_delay_alu instid0(SALU_CYCLE_1)
	v_mov_b32_e32 v152, s0
	v_cndmask_b32_e64 v151, 0, 1, vcc_lo
.LBB927_562:
	s_or_b32 exec_lo, exec_lo, s23
.LBB927_563:
	s_delay_alu instid0(SALU_CYCLE_1) | instskip(SKIP_3) | instid1(VALU_DEP_2)
	s_or_b32 exec_lo, exec_lo, s22
	v_dual_mov_b32 v154, v24 :: v_dual_add_nc_u32 v57, 7, v64
	v_mov_b32_e32 v153, v23
	s_mov_b32 s22, exec_lo
	v_cmpx_gt_u32_e64 s3, v57
	s_cbranch_execz .LBB927_574
; %bb.564:
	v_cmp_ne_u32_e32 vcc_lo, 1, v63
	s_cbranch_vccnz .LBB927_571
; %bb.565:
	v_mul_lo_u32 v61, v24, s8
	v_mul_lo_u32 v62, v23, s9
	v_mad_u64_u32 v[57:58], null, v23, s8, 0
	v_mul_lo_u32 v65, v22, s8
	v_mul_lo_u32 v66, v21, s9
	v_mad_u64_u32 v[59:60], null, v21, s8, 0
	v_mov_b32_e32 v153, 1
	v_mov_b32_e32 v154, 0
	v_add3_u32 v58, v58, v62, v61
	s_mov_b32 s23, exec_lo
	s_delay_alu instid0(VALU_DEP_4) | instskip(NEXT) | instid1(VALU_DEP_2)
	v_add3_u32 v60, v60, v66, v65
	v_lshlrev_b64 v[57:58], 2, v[57:58]
	s_delay_alu instid0(VALU_DEP_2) | instskip(NEXT) | instid1(VALU_DEP_2)
	v_lshlrev_b64 v[61:62], 2, v[59:60]
	v_add_co_u32 v59, vcc_lo, s10, v57
	s_delay_alu instid0(VALU_DEP_3) | instskip(NEXT) | instid1(VALU_DEP_3)
	v_add_co_ci_u32_e32 v60, vcc_lo, s11, v58, vcc_lo
	v_add_co_u32 v57, vcc_lo, s10, v61
	s_delay_alu instid0(VALU_DEP_4)
	v_add_co_ci_u32_e32 v58, vcc_lo, s11, v62, vcc_lo
	s_clause 0x1
	global_load_b32 v61, v[59:60], off
	global_load_b32 v62, v[57:58], off
	s_waitcnt vmcnt(0)
	v_cmpx_eq_f32_e32 v61, v62
	s_cbranch_execz .LBB927_573
; %bb.566:
	v_add_co_u32 v57, vcc_lo, v57, 4
	v_add_co_ci_u32_e32 v58, vcc_lo, 0, v58, vcc_lo
	v_add_co_u32 v59, vcc_lo, v59, 4
	v_add_co_ci_u32_e32 v60, vcc_lo, 0, v60, vcc_lo
	s_add_u32 s14, s8, -1
	s_addc_u32 s15, s9, -1
	s_mov_b64 s[20:21], 0
	s_mov_b32 s24, 0
                                        ; implicit-def: $sgpr25
	s_set_inst_prefetch_distance 0x1
	s_branch .LBB927_569
	.p2align	6
.LBB927_567:                            ;   in Loop: Header=BB927_569 Depth=1
	global_load_b32 v61, v[59:60], off
	global_load_b32 v62, v[57:58], off
	v_add_co_u32 v57, vcc_lo, v57, 4
	v_add_co_ci_u32_e32 v58, vcc_lo, 0, v58, vcc_lo
	v_add_co_u32 v59, s0, v59, 4
	s_delay_alu instid0(VALU_DEP_1)
	v_add_co_ci_u32_e64 v60, s0, 0, v60, s0
	s_add_u32 s20, s20, 1
	s_addc_u32 s21, s21, 0
	s_and_not1_b32 s0, s25, exec_lo
	s_waitcnt vmcnt(0)
	v_cmp_neq_f32_e32 vcc_lo, v61, v62
	s_and_b32 s25, vcc_lo, exec_lo
	s_delay_alu instid0(SALU_CYCLE_1)
	s_or_b32 s25, s0, s25
.LBB927_568:                            ;   in Loop: Header=BB927_569 Depth=1
	v_dual_mov_b32 v62, s21 :: v_dual_mov_b32 v61, s20
	s_and_b32 s0, exec_lo, s25
	s_delay_alu instid0(SALU_CYCLE_1) | instskip(NEXT) | instid1(SALU_CYCLE_1)
	s_or_b32 s24, s0, s24
	s_and_not1_b32 exec_lo, exec_lo, s24
	s_cbranch_execz .LBB927_572
.LBB927_569:                            ; =>This Inner Loop Header: Depth=1
	s_or_b32 s25, s25, exec_lo
	s_cmp_eq_u64 s[14:15], s[20:21]
	s_cbranch_scc0 .LBB927_567
; %bb.570:                              ;   in Loop: Header=BB927_569 Depth=1
	s_mov_b64 s[20:21], s[8:9]
                                        ; implicit-def: $vgpr57_vgpr58
                                        ; implicit-def: $vgpr59_vgpr60
	s_branch .LBB927_568
.LBB927_571:
	v_mov_b32_e32 v153, 0
	v_mov_b32_e32 v154, 0
	s_branch .LBB927_574
.LBB927_572:
	s_set_inst_prefetch_distance 0x2
	s_or_b32 exec_lo, exec_lo, s24
	v_cmp_gt_i64_e32 vcc_lo, s[8:9], v[61:62]
	s_mov_b32 s0, 0
	s_delay_alu instid0(SALU_CYCLE_1)
	v_mov_b32_e32 v154, s0
	v_cndmask_b32_e64 v153, 0, 1, vcc_lo
.LBB927_573:
	s_or_b32 exec_lo, exec_lo, s23
.LBB927_574:
	s_delay_alu instid0(SALU_CYCLE_1) | instskip(SKIP_3) | instid1(VALU_DEP_2)
	s_or_b32 exec_lo, exec_lo, s22
	v_dual_mov_b32 v156, v22 :: v_dual_add_nc_u32 v57, 6, v64
	v_mov_b32_e32 v155, v21
	s_mov_b32 s22, exec_lo
	v_cmpx_gt_u32_e64 s3, v57
	s_cbranch_execz .LBB927_585
; %bb.575:
	v_cmp_ne_u32_e32 vcc_lo, 1, v63
	s_cbranch_vccnz .LBB927_582
; %bb.576:
	v_mul_lo_u32 v61, v22, s8
	v_mul_lo_u32 v62, v21, s9
	v_mad_u64_u32 v[57:58], null, v21, s8, 0
	v_mul_lo_u32 v65, v20, s8
	v_mul_lo_u32 v66, v19, s9
	v_mad_u64_u32 v[59:60], null, v19, s8, 0
	v_mov_b32_e32 v155, 1
	v_mov_b32_e32 v156, 0
	v_add3_u32 v58, v58, v62, v61
	s_mov_b32 s23, exec_lo
	s_delay_alu instid0(VALU_DEP_4) | instskip(NEXT) | instid1(VALU_DEP_2)
	v_add3_u32 v60, v60, v66, v65
	v_lshlrev_b64 v[57:58], 2, v[57:58]
	s_delay_alu instid0(VALU_DEP_2) | instskip(NEXT) | instid1(VALU_DEP_2)
	v_lshlrev_b64 v[61:62], 2, v[59:60]
	v_add_co_u32 v59, vcc_lo, s10, v57
	s_delay_alu instid0(VALU_DEP_3) | instskip(NEXT) | instid1(VALU_DEP_3)
	v_add_co_ci_u32_e32 v60, vcc_lo, s11, v58, vcc_lo
	v_add_co_u32 v57, vcc_lo, s10, v61
	s_delay_alu instid0(VALU_DEP_4)
	v_add_co_ci_u32_e32 v58, vcc_lo, s11, v62, vcc_lo
	s_clause 0x1
	global_load_b32 v61, v[59:60], off
	global_load_b32 v62, v[57:58], off
	s_waitcnt vmcnt(0)
	v_cmpx_eq_f32_e32 v61, v62
	s_cbranch_execz .LBB927_584
; %bb.577:
	v_add_co_u32 v57, vcc_lo, v57, 4
	v_add_co_ci_u32_e32 v58, vcc_lo, 0, v58, vcc_lo
	v_add_co_u32 v59, vcc_lo, v59, 4
	v_add_co_ci_u32_e32 v60, vcc_lo, 0, v60, vcc_lo
	s_add_u32 s14, s8, -1
	s_addc_u32 s15, s9, -1
	s_mov_b64 s[20:21], 0
	s_mov_b32 s24, 0
                                        ; implicit-def: $sgpr25
	s_set_inst_prefetch_distance 0x1
	s_branch .LBB927_580
	.p2align	6
.LBB927_578:                            ;   in Loop: Header=BB927_580 Depth=1
	global_load_b32 v61, v[59:60], off
	global_load_b32 v62, v[57:58], off
	v_add_co_u32 v57, vcc_lo, v57, 4
	v_add_co_ci_u32_e32 v58, vcc_lo, 0, v58, vcc_lo
	v_add_co_u32 v59, s0, v59, 4
	s_delay_alu instid0(VALU_DEP_1)
	v_add_co_ci_u32_e64 v60, s0, 0, v60, s0
	s_add_u32 s20, s20, 1
	s_addc_u32 s21, s21, 0
	s_and_not1_b32 s0, s25, exec_lo
	s_waitcnt vmcnt(0)
	v_cmp_neq_f32_e32 vcc_lo, v61, v62
	s_and_b32 s25, vcc_lo, exec_lo
	s_delay_alu instid0(SALU_CYCLE_1)
	s_or_b32 s25, s0, s25
.LBB927_579:                            ;   in Loop: Header=BB927_580 Depth=1
	v_dual_mov_b32 v62, s21 :: v_dual_mov_b32 v61, s20
	s_and_b32 s0, exec_lo, s25
	s_delay_alu instid0(SALU_CYCLE_1) | instskip(NEXT) | instid1(SALU_CYCLE_1)
	s_or_b32 s24, s0, s24
	s_and_not1_b32 exec_lo, exec_lo, s24
	s_cbranch_execz .LBB927_583
.LBB927_580:                            ; =>This Inner Loop Header: Depth=1
	s_or_b32 s25, s25, exec_lo
	s_cmp_eq_u64 s[14:15], s[20:21]
	s_cbranch_scc0 .LBB927_578
; %bb.581:                              ;   in Loop: Header=BB927_580 Depth=1
	s_mov_b64 s[20:21], s[8:9]
                                        ; implicit-def: $vgpr57_vgpr58
                                        ; implicit-def: $vgpr59_vgpr60
	s_branch .LBB927_579
.LBB927_582:
	v_mov_b32_e32 v155, 0
	v_mov_b32_e32 v156, 0
	s_branch .LBB927_585
.LBB927_583:
	s_set_inst_prefetch_distance 0x2
	s_or_b32 exec_lo, exec_lo, s24
	v_cmp_gt_i64_e32 vcc_lo, s[8:9], v[61:62]
	s_mov_b32 s0, 0
	s_delay_alu instid0(SALU_CYCLE_1)
	v_mov_b32_e32 v156, s0
	v_cndmask_b32_e64 v155, 0, 1, vcc_lo
.LBB927_584:
	s_or_b32 exec_lo, exec_lo, s23
.LBB927_585:
	s_delay_alu instid0(SALU_CYCLE_1) | instskip(SKIP_3) | instid1(VALU_DEP_2)
	s_or_b32 exec_lo, exec_lo, s22
	v_dual_mov_b32 v158, v20 :: v_dual_add_nc_u32 v57, 5, v64
	v_mov_b32_e32 v157, v19
	s_mov_b32 s22, exec_lo
	v_cmpx_gt_u32_e64 s3, v57
	s_cbranch_execz .LBB927_596
; %bb.586:
	v_cmp_ne_u32_e32 vcc_lo, 1, v63
	s_cbranch_vccnz .LBB927_593
; %bb.587:
	v_mul_lo_u32 v61, v20, s8
	v_mul_lo_u32 v62, v19, s9
	v_mad_u64_u32 v[57:58], null, v19, s8, 0
	v_mul_lo_u32 v65, v18, s8
	v_mul_lo_u32 v66, v17, s9
	v_mad_u64_u32 v[59:60], null, v17, s8, 0
	v_mov_b32_e32 v157, 1
	v_mov_b32_e32 v158, 0
	v_add3_u32 v58, v58, v62, v61
	s_mov_b32 s23, exec_lo
	s_delay_alu instid0(VALU_DEP_4) | instskip(NEXT) | instid1(VALU_DEP_2)
	v_add3_u32 v60, v60, v66, v65
	v_lshlrev_b64 v[57:58], 2, v[57:58]
	s_delay_alu instid0(VALU_DEP_2) | instskip(NEXT) | instid1(VALU_DEP_2)
	v_lshlrev_b64 v[61:62], 2, v[59:60]
	v_add_co_u32 v59, vcc_lo, s10, v57
	s_delay_alu instid0(VALU_DEP_3) | instskip(NEXT) | instid1(VALU_DEP_3)
	v_add_co_ci_u32_e32 v60, vcc_lo, s11, v58, vcc_lo
	v_add_co_u32 v57, vcc_lo, s10, v61
	s_delay_alu instid0(VALU_DEP_4)
	v_add_co_ci_u32_e32 v58, vcc_lo, s11, v62, vcc_lo
	s_clause 0x1
	global_load_b32 v61, v[59:60], off
	global_load_b32 v62, v[57:58], off
	s_waitcnt vmcnt(0)
	v_cmpx_eq_f32_e32 v61, v62
	s_cbranch_execz .LBB927_595
; %bb.588:
	v_add_co_u32 v57, vcc_lo, v57, 4
	v_add_co_ci_u32_e32 v58, vcc_lo, 0, v58, vcc_lo
	v_add_co_u32 v59, vcc_lo, v59, 4
	v_add_co_ci_u32_e32 v60, vcc_lo, 0, v60, vcc_lo
	s_add_u32 s14, s8, -1
	s_addc_u32 s15, s9, -1
	s_mov_b64 s[20:21], 0
	s_mov_b32 s24, 0
                                        ; implicit-def: $sgpr25
	s_set_inst_prefetch_distance 0x1
	s_branch .LBB927_591
	.p2align	6
.LBB927_589:                            ;   in Loop: Header=BB927_591 Depth=1
	global_load_b32 v61, v[59:60], off
	global_load_b32 v62, v[57:58], off
	v_add_co_u32 v57, vcc_lo, v57, 4
	v_add_co_ci_u32_e32 v58, vcc_lo, 0, v58, vcc_lo
	v_add_co_u32 v59, s0, v59, 4
	s_delay_alu instid0(VALU_DEP_1)
	v_add_co_ci_u32_e64 v60, s0, 0, v60, s0
	s_add_u32 s20, s20, 1
	s_addc_u32 s21, s21, 0
	s_and_not1_b32 s0, s25, exec_lo
	s_waitcnt vmcnt(0)
	v_cmp_neq_f32_e32 vcc_lo, v61, v62
	s_and_b32 s25, vcc_lo, exec_lo
	s_delay_alu instid0(SALU_CYCLE_1)
	s_or_b32 s25, s0, s25
.LBB927_590:                            ;   in Loop: Header=BB927_591 Depth=1
	v_dual_mov_b32 v62, s21 :: v_dual_mov_b32 v61, s20
	s_and_b32 s0, exec_lo, s25
	s_delay_alu instid0(SALU_CYCLE_1) | instskip(NEXT) | instid1(SALU_CYCLE_1)
	s_or_b32 s24, s0, s24
	s_and_not1_b32 exec_lo, exec_lo, s24
	s_cbranch_execz .LBB927_594
.LBB927_591:                            ; =>This Inner Loop Header: Depth=1
	s_or_b32 s25, s25, exec_lo
	s_cmp_eq_u64 s[14:15], s[20:21]
	s_cbranch_scc0 .LBB927_589
; %bb.592:                              ;   in Loop: Header=BB927_591 Depth=1
	s_mov_b64 s[20:21], s[8:9]
                                        ; implicit-def: $vgpr57_vgpr58
                                        ; implicit-def: $vgpr59_vgpr60
	s_branch .LBB927_590
.LBB927_593:
	v_mov_b32_e32 v157, 0
	v_mov_b32_e32 v158, 0
	s_branch .LBB927_596
.LBB927_594:
	s_set_inst_prefetch_distance 0x2
	s_or_b32 exec_lo, exec_lo, s24
	v_cmp_gt_i64_e32 vcc_lo, s[8:9], v[61:62]
	s_mov_b32 s0, 0
	s_delay_alu instid0(SALU_CYCLE_1)
	v_mov_b32_e32 v158, s0
	v_cndmask_b32_e64 v157, 0, 1, vcc_lo
.LBB927_595:
	s_or_b32 exec_lo, exec_lo, s23
.LBB927_596:
	s_delay_alu instid0(SALU_CYCLE_1) | instskip(SKIP_3) | instid1(VALU_DEP_2)
	s_or_b32 exec_lo, exec_lo, s22
	v_dual_mov_b32 v160, v18 :: v_dual_add_nc_u32 v57, 4, v64
	v_mov_b32_e32 v159, v17
	s_mov_b32 s22, exec_lo
	v_cmpx_gt_u32_e64 s3, v57
	s_cbranch_execz .LBB927_607
; %bb.597:
	v_cmp_ne_u32_e32 vcc_lo, 1, v63
	s_cbranch_vccnz .LBB927_604
; %bb.598:
	v_mul_lo_u32 v61, v18, s8
	v_mul_lo_u32 v62, v17, s9
	v_mad_u64_u32 v[57:58], null, v17, s8, 0
	v_mul_lo_u32 v65, v16, s8
	v_mul_lo_u32 v66, v15, s9
	v_mad_u64_u32 v[59:60], null, v15, s8, 0
	v_mov_b32_e32 v159, 1
	v_mov_b32_e32 v160, 0
	v_add3_u32 v58, v58, v62, v61
	s_mov_b32 s23, exec_lo
	s_delay_alu instid0(VALU_DEP_4) | instskip(NEXT) | instid1(VALU_DEP_2)
	v_add3_u32 v60, v60, v66, v65
	v_lshlrev_b64 v[57:58], 2, v[57:58]
	s_delay_alu instid0(VALU_DEP_2) | instskip(NEXT) | instid1(VALU_DEP_2)
	v_lshlrev_b64 v[61:62], 2, v[59:60]
	v_add_co_u32 v59, vcc_lo, s10, v57
	s_delay_alu instid0(VALU_DEP_3) | instskip(NEXT) | instid1(VALU_DEP_3)
	v_add_co_ci_u32_e32 v60, vcc_lo, s11, v58, vcc_lo
	v_add_co_u32 v57, vcc_lo, s10, v61
	s_delay_alu instid0(VALU_DEP_4)
	v_add_co_ci_u32_e32 v58, vcc_lo, s11, v62, vcc_lo
	s_clause 0x1
	global_load_b32 v61, v[59:60], off
	global_load_b32 v62, v[57:58], off
	s_waitcnt vmcnt(0)
	v_cmpx_eq_f32_e32 v61, v62
	s_cbranch_execz .LBB927_606
; %bb.599:
	v_add_co_u32 v57, vcc_lo, v57, 4
	v_add_co_ci_u32_e32 v58, vcc_lo, 0, v58, vcc_lo
	v_add_co_u32 v59, vcc_lo, v59, 4
	v_add_co_ci_u32_e32 v60, vcc_lo, 0, v60, vcc_lo
	s_add_u32 s14, s8, -1
	s_addc_u32 s15, s9, -1
	s_mov_b64 s[20:21], 0
	s_mov_b32 s24, 0
                                        ; implicit-def: $sgpr25
	s_set_inst_prefetch_distance 0x1
	s_branch .LBB927_602
	.p2align	6
.LBB927_600:                            ;   in Loop: Header=BB927_602 Depth=1
	global_load_b32 v61, v[59:60], off
	global_load_b32 v62, v[57:58], off
	v_add_co_u32 v57, vcc_lo, v57, 4
	v_add_co_ci_u32_e32 v58, vcc_lo, 0, v58, vcc_lo
	v_add_co_u32 v59, s0, v59, 4
	s_delay_alu instid0(VALU_DEP_1)
	v_add_co_ci_u32_e64 v60, s0, 0, v60, s0
	s_add_u32 s20, s20, 1
	s_addc_u32 s21, s21, 0
	s_and_not1_b32 s0, s25, exec_lo
	s_waitcnt vmcnt(0)
	v_cmp_neq_f32_e32 vcc_lo, v61, v62
	s_and_b32 s25, vcc_lo, exec_lo
	s_delay_alu instid0(SALU_CYCLE_1)
	s_or_b32 s25, s0, s25
.LBB927_601:                            ;   in Loop: Header=BB927_602 Depth=1
	v_dual_mov_b32 v62, s21 :: v_dual_mov_b32 v61, s20
	s_and_b32 s0, exec_lo, s25
	s_delay_alu instid0(SALU_CYCLE_1) | instskip(NEXT) | instid1(SALU_CYCLE_1)
	s_or_b32 s24, s0, s24
	s_and_not1_b32 exec_lo, exec_lo, s24
	s_cbranch_execz .LBB927_605
.LBB927_602:                            ; =>This Inner Loop Header: Depth=1
	s_or_b32 s25, s25, exec_lo
	s_cmp_eq_u64 s[14:15], s[20:21]
	s_cbranch_scc0 .LBB927_600
; %bb.603:                              ;   in Loop: Header=BB927_602 Depth=1
	s_mov_b64 s[20:21], s[8:9]
                                        ; implicit-def: $vgpr57_vgpr58
                                        ; implicit-def: $vgpr59_vgpr60
	s_branch .LBB927_601
.LBB927_604:
	v_mov_b32_e32 v159, 0
	v_mov_b32_e32 v160, 0
	s_branch .LBB927_607
.LBB927_605:
	s_set_inst_prefetch_distance 0x2
	s_or_b32 exec_lo, exec_lo, s24
	v_cmp_gt_i64_e32 vcc_lo, s[8:9], v[61:62]
	s_mov_b32 s0, 0
	s_delay_alu instid0(SALU_CYCLE_1)
	v_mov_b32_e32 v160, s0
	v_cndmask_b32_e64 v159, 0, 1, vcc_lo
.LBB927_606:
	s_or_b32 exec_lo, exec_lo, s23
.LBB927_607:
	s_delay_alu instid0(SALU_CYCLE_1) | instskip(SKIP_3) | instid1(VALU_DEP_2)
	s_or_b32 exec_lo, exec_lo, s22
	v_dual_mov_b32 v162, v16 :: v_dual_add_nc_u32 v57, 3, v64
	v_mov_b32_e32 v161, v15
	s_mov_b32 s22, exec_lo
	v_cmpx_gt_u32_e64 s3, v57
	s_cbranch_execz .LBB927_618
; %bb.608:
	v_cmp_ne_u32_e32 vcc_lo, 1, v63
	s_cbranch_vccnz .LBB927_615
; %bb.609:
	v_mul_lo_u32 v61, v16, s8
	v_mul_lo_u32 v62, v15, s9
	v_mad_u64_u32 v[57:58], null, v15, s8, 0
	v_mul_lo_u32 v65, v14, s8
	v_mul_lo_u32 v66, v13, s9
	v_mad_u64_u32 v[59:60], null, v13, s8, 0
	v_mov_b32_e32 v161, 1
	v_mov_b32_e32 v162, 0
	v_add3_u32 v58, v58, v62, v61
	s_mov_b32 s23, exec_lo
	s_delay_alu instid0(VALU_DEP_4) | instskip(NEXT) | instid1(VALU_DEP_2)
	v_add3_u32 v60, v60, v66, v65
	v_lshlrev_b64 v[57:58], 2, v[57:58]
	s_delay_alu instid0(VALU_DEP_2) | instskip(NEXT) | instid1(VALU_DEP_2)
	v_lshlrev_b64 v[61:62], 2, v[59:60]
	v_add_co_u32 v59, vcc_lo, s10, v57
	s_delay_alu instid0(VALU_DEP_3) | instskip(NEXT) | instid1(VALU_DEP_3)
	v_add_co_ci_u32_e32 v60, vcc_lo, s11, v58, vcc_lo
	v_add_co_u32 v57, vcc_lo, s10, v61
	s_delay_alu instid0(VALU_DEP_4)
	v_add_co_ci_u32_e32 v58, vcc_lo, s11, v62, vcc_lo
	s_clause 0x1
	global_load_b32 v61, v[59:60], off
	global_load_b32 v62, v[57:58], off
	s_waitcnt vmcnt(0)
	v_cmpx_eq_f32_e32 v61, v62
	s_cbranch_execz .LBB927_617
; %bb.610:
	v_add_co_u32 v57, vcc_lo, v57, 4
	v_add_co_ci_u32_e32 v58, vcc_lo, 0, v58, vcc_lo
	v_add_co_u32 v59, vcc_lo, v59, 4
	v_add_co_ci_u32_e32 v60, vcc_lo, 0, v60, vcc_lo
	s_add_u32 s14, s8, -1
	s_addc_u32 s15, s9, -1
	s_mov_b64 s[20:21], 0
	s_mov_b32 s24, 0
                                        ; implicit-def: $sgpr25
	s_set_inst_prefetch_distance 0x1
	s_branch .LBB927_613
	.p2align	6
.LBB927_611:                            ;   in Loop: Header=BB927_613 Depth=1
	global_load_b32 v61, v[59:60], off
	global_load_b32 v62, v[57:58], off
	v_add_co_u32 v57, vcc_lo, v57, 4
	v_add_co_ci_u32_e32 v58, vcc_lo, 0, v58, vcc_lo
	v_add_co_u32 v59, s0, v59, 4
	s_delay_alu instid0(VALU_DEP_1)
	v_add_co_ci_u32_e64 v60, s0, 0, v60, s0
	s_add_u32 s20, s20, 1
	s_addc_u32 s21, s21, 0
	s_and_not1_b32 s0, s25, exec_lo
	s_waitcnt vmcnt(0)
	v_cmp_neq_f32_e32 vcc_lo, v61, v62
	s_and_b32 s25, vcc_lo, exec_lo
	s_delay_alu instid0(SALU_CYCLE_1)
	s_or_b32 s25, s0, s25
.LBB927_612:                            ;   in Loop: Header=BB927_613 Depth=1
	v_dual_mov_b32 v62, s21 :: v_dual_mov_b32 v61, s20
	s_and_b32 s0, exec_lo, s25
	s_delay_alu instid0(SALU_CYCLE_1) | instskip(NEXT) | instid1(SALU_CYCLE_1)
	s_or_b32 s24, s0, s24
	s_and_not1_b32 exec_lo, exec_lo, s24
	s_cbranch_execz .LBB927_616
.LBB927_613:                            ; =>This Inner Loop Header: Depth=1
	s_or_b32 s25, s25, exec_lo
	s_cmp_eq_u64 s[14:15], s[20:21]
	s_cbranch_scc0 .LBB927_611
; %bb.614:                              ;   in Loop: Header=BB927_613 Depth=1
	s_mov_b64 s[20:21], s[8:9]
                                        ; implicit-def: $vgpr57_vgpr58
                                        ; implicit-def: $vgpr59_vgpr60
	s_branch .LBB927_612
.LBB927_615:
	v_mov_b32_e32 v161, 0
	v_mov_b32_e32 v162, 0
	s_branch .LBB927_618
.LBB927_616:
	s_set_inst_prefetch_distance 0x2
	s_or_b32 exec_lo, exec_lo, s24
	v_cmp_gt_i64_e32 vcc_lo, s[8:9], v[61:62]
	s_mov_b32 s0, 0
	s_delay_alu instid0(SALU_CYCLE_1)
	v_mov_b32_e32 v162, s0
	v_cndmask_b32_e64 v161, 0, 1, vcc_lo
.LBB927_617:
	s_or_b32 exec_lo, exec_lo, s23
.LBB927_618:
	s_delay_alu instid0(SALU_CYCLE_1) | instskip(SKIP_3) | instid1(VALU_DEP_2)
	s_or_b32 exec_lo, exec_lo, s22
	v_dual_mov_b32 v164, v14 :: v_dual_add_nc_u32 v57, 2, v64
	v_mov_b32_e32 v163, v13
	s_mov_b32 s22, exec_lo
	v_cmpx_gt_u32_e64 s3, v57
	s_cbranch_execz .LBB927_629
; %bb.619:
	v_cmp_ne_u32_e32 vcc_lo, 1, v63
	s_cbranch_vccnz .LBB927_626
; %bb.620:
	v_mul_lo_u32 v61, v14, s8
	v_mul_lo_u32 v62, v13, s9
	v_mad_u64_u32 v[57:58], null, v13, s8, 0
	v_mul_lo_u32 v65, v4, s8
	v_mul_lo_u32 v66, v3, s9
	v_mad_u64_u32 v[59:60], null, v3, s8, 0
	v_mov_b32_e32 v163, 1
	v_mov_b32_e32 v164, 0
	v_add3_u32 v58, v58, v62, v61
	s_mov_b32 s23, exec_lo
	s_delay_alu instid0(VALU_DEP_4) | instskip(NEXT) | instid1(VALU_DEP_2)
	v_add3_u32 v60, v60, v66, v65
	v_lshlrev_b64 v[57:58], 2, v[57:58]
	s_delay_alu instid0(VALU_DEP_2) | instskip(NEXT) | instid1(VALU_DEP_2)
	v_lshlrev_b64 v[61:62], 2, v[59:60]
	v_add_co_u32 v59, vcc_lo, s10, v57
	s_delay_alu instid0(VALU_DEP_3) | instskip(NEXT) | instid1(VALU_DEP_3)
	v_add_co_ci_u32_e32 v60, vcc_lo, s11, v58, vcc_lo
	v_add_co_u32 v57, vcc_lo, s10, v61
	s_delay_alu instid0(VALU_DEP_4)
	v_add_co_ci_u32_e32 v58, vcc_lo, s11, v62, vcc_lo
	s_clause 0x1
	global_load_b32 v61, v[59:60], off
	global_load_b32 v62, v[57:58], off
	s_waitcnt vmcnt(0)
	v_cmpx_eq_f32_e32 v61, v62
	s_cbranch_execz .LBB927_628
; %bb.621:
	v_add_co_u32 v57, vcc_lo, v57, 4
	v_add_co_ci_u32_e32 v58, vcc_lo, 0, v58, vcc_lo
	v_add_co_u32 v59, vcc_lo, v59, 4
	v_add_co_ci_u32_e32 v60, vcc_lo, 0, v60, vcc_lo
	s_add_u32 s14, s8, -1
	s_addc_u32 s15, s9, -1
	s_mov_b64 s[20:21], 0
	s_mov_b32 s24, 0
                                        ; implicit-def: $sgpr25
	s_set_inst_prefetch_distance 0x1
	s_branch .LBB927_624
	.p2align	6
.LBB927_622:                            ;   in Loop: Header=BB927_624 Depth=1
	global_load_b32 v61, v[59:60], off
	global_load_b32 v62, v[57:58], off
	v_add_co_u32 v57, vcc_lo, v57, 4
	v_add_co_ci_u32_e32 v58, vcc_lo, 0, v58, vcc_lo
	v_add_co_u32 v59, s0, v59, 4
	s_delay_alu instid0(VALU_DEP_1)
	v_add_co_ci_u32_e64 v60, s0, 0, v60, s0
	s_add_u32 s20, s20, 1
	s_addc_u32 s21, s21, 0
	s_and_not1_b32 s0, s25, exec_lo
	s_waitcnt vmcnt(0)
	v_cmp_neq_f32_e32 vcc_lo, v61, v62
	s_and_b32 s25, vcc_lo, exec_lo
	s_delay_alu instid0(SALU_CYCLE_1)
	s_or_b32 s25, s0, s25
.LBB927_623:                            ;   in Loop: Header=BB927_624 Depth=1
	v_dual_mov_b32 v62, s21 :: v_dual_mov_b32 v61, s20
	s_and_b32 s0, exec_lo, s25
	s_delay_alu instid0(SALU_CYCLE_1) | instskip(NEXT) | instid1(SALU_CYCLE_1)
	s_or_b32 s24, s0, s24
	s_and_not1_b32 exec_lo, exec_lo, s24
	s_cbranch_execz .LBB927_627
.LBB927_624:                            ; =>This Inner Loop Header: Depth=1
	s_or_b32 s25, s25, exec_lo
	s_cmp_eq_u64 s[14:15], s[20:21]
	s_cbranch_scc0 .LBB927_622
; %bb.625:                              ;   in Loop: Header=BB927_624 Depth=1
	s_mov_b64 s[20:21], s[8:9]
                                        ; implicit-def: $vgpr57_vgpr58
                                        ; implicit-def: $vgpr59_vgpr60
	s_branch .LBB927_623
.LBB927_626:
	v_mov_b32_e32 v163, 0
	v_mov_b32_e32 v164, 0
	s_branch .LBB927_629
.LBB927_627:
	s_set_inst_prefetch_distance 0x2
	s_or_b32 exec_lo, exec_lo, s24
	v_cmp_gt_i64_e32 vcc_lo, s[8:9], v[61:62]
	s_mov_b32 s0, 0
	s_delay_alu instid0(SALU_CYCLE_1)
	v_mov_b32_e32 v164, s0
	v_cndmask_b32_e64 v163, 0, 1, vcc_lo
.LBB927_628:
	s_or_b32 exec_lo, exec_lo, s23
.LBB927_629:
	s_delay_alu instid0(SALU_CYCLE_1) | instskip(SKIP_3) | instid1(VALU_DEP_2)
	s_or_b32 exec_lo, exec_lo, s22
	v_dual_mov_b32 v166, v4 :: v_dual_add_nc_u32 v57, 1, v64
	v_mov_b32_e32 v165, v3
	s_mov_b32 s22, exec_lo
	v_cmpx_gt_u32_e64 s3, v57
	s_cbranch_execz .LBB927_640
; %bb.630:
	v_cmp_ne_u32_e32 vcc_lo, 1, v63
	s_cbranch_vccnz .LBB927_637
; %bb.631:
	v_mul_lo_u32 v61, v4, s8
	v_mul_lo_u32 v62, v3, s9
	v_mad_u64_u32 v[57:58], null, v3, s8, 0
	v_mul_lo_u32 v65, v2, s8
	v_mul_lo_u32 v66, v1, s9
	v_mad_u64_u32 v[59:60], null, v1, s8, 0
	v_mov_b32_e32 v165, 1
	v_mov_b32_e32 v166, 0
	v_add3_u32 v58, v58, v62, v61
	s_mov_b32 s23, exec_lo
	s_delay_alu instid0(VALU_DEP_4) | instskip(NEXT) | instid1(VALU_DEP_2)
	v_add3_u32 v60, v60, v66, v65
	v_lshlrev_b64 v[57:58], 2, v[57:58]
	s_delay_alu instid0(VALU_DEP_2) | instskip(NEXT) | instid1(VALU_DEP_2)
	v_lshlrev_b64 v[61:62], 2, v[59:60]
	v_add_co_u32 v59, vcc_lo, s10, v57
	s_delay_alu instid0(VALU_DEP_3) | instskip(NEXT) | instid1(VALU_DEP_3)
	v_add_co_ci_u32_e32 v60, vcc_lo, s11, v58, vcc_lo
	v_add_co_u32 v57, vcc_lo, s10, v61
	s_delay_alu instid0(VALU_DEP_4)
	v_add_co_ci_u32_e32 v58, vcc_lo, s11, v62, vcc_lo
	s_clause 0x1
	global_load_b32 v61, v[59:60], off
	global_load_b32 v62, v[57:58], off
	s_waitcnt vmcnt(0)
	v_cmpx_eq_f32_e32 v61, v62
	s_cbranch_execz .LBB927_639
; %bb.632:
	v_add_co_u32 v57, vcc_lo, v57, 4
	v_add_co_ci_u32_e32 v58, vcc_lo, 0, v58, vcc_lo
	v_add_co_u32 v59, vcc_lo, v59, 4
	v_add_co_ci_u32_e32 v60, vcc_lo, 0, v60, vcc_lo
	s_add_u32 s14, s8, -1
	s_addc_u32 s15, s9, -1
	s_mov_b64 s[20:21], 0
	s_mov_b32 s24, 0
                                        ; implicit-def: $sgpr25
	s_set_inst_prefetch_distance 0x1
	s_branch .LBB927_635
	.p2align	6
.LBB927_633:                            ;   in Loop: Header=BB927_635 Depth=1
	global_load_b32 v61, v[59:60], off
	global_load_b32 v62, v[57:58], off
	v_add_co_u32 v57, vcc_lo, v57, 4
	v_add_co_ci_u32_e32 v58, vcc_lo, 0, v58, vcc_lo
	v_add_co_u32 v59, s0, v59, 4
	s_delay_alu instid0(VALU_DEP_1)
	v_add_co_ci_u32_e64 v60, s0, 0, v60, s0
	s_add_u32 s20, s20, 1
	s_addc_u32 s21, s21, 0
	s_and_not1_b32 s0, s25, exec_lo
	s_waitcnt vmcnt(0)
	v_cmp_neq_f32_e32 vcc_lo, v61, v62
	s_and_b32 s25, vcc_lo, exec_lo
	s_delay_alu instid0(SALU_CYCLE_1)
	s_or_b32 s25, s0, s25
.LBB927_634:                            ;   in Loop: Header=BB927_635 Depth=1
	v_dual_mov_b32 v62, s21 :: v_dual_mov_b32 v61, s20
	s_and_b32 s0, exec_lo, s25
	s_delay_alu instid0(SALU_CYCLE_1) | instskip(NEXT) | instid1(SALU_CYCLE_1)
	s_or_b32 s24, s0, s24
	s_and_not1_b32 exec_lo, exec_lo, s24
	s_cbranch_execz .LBB927_638
.LBB927_635:                            ; =>This Inner Loop Header: Depth=1
	s_or_b32 s25, s25, exec_lo
	s_cmp_eq_u64 s[14:15], s[20:21]
	s_cbranch_scc0 .LBB927_633
; %bb.636:                              ;   in Loop: Header=BB927_635 Depth=1
	s_mov_b64 s[20:21], s[8:9]
                                        ; implicit-def: $vgpr57_vgpr58
                                        ; implicit-def: $vgpr59_vgpr60
	s_branch .LBB927_634
.LBB927_637:
	v_mov_b32_e32 v165, 0
	v_mov_b32_e32 v166, 0
	s_branch .LBB927_640
.LBB927_638:
	s_set_inst_prefetch_distance 0x2
	s_or_b32 exec_lo, exec_lo, s24
	v_cmp_gt_i64_e32 vcc_lo, s[8:9], v[61:62]
	s_mov_b32 s0, 0
	s_delay_alu instid0(SALU_CYCLE_1)
	v_mov_b32_e32 v166, s0
	v_cndmask_b32_e64 v165, 0, 1, vcc_lo
.LBB927_639:
	s_or_b32 exec_lo, exec_lo, s23
.LBB927_640:
	s_delay_alu instid0(SALU_CYCLE_1)
	s_or_b32 exec_lo, exec_lo, s22
	v_dual_mov_b32 v58, s13 :: v_dual_mov_b32 v57, s12
	s_mov_b32 s0, exec_lo
	s_waitcnt lgkmcnt(0)
	s_barrier
	buffer_gl0_inv
	v_cmpx_ne_u32_e32 0, v0
	s_cbranch_execz .LBB927_642
; %bb.641:
	v_add_nc_u32_e32 v57, -8, v195
	ds_load_b64 v[57:58], v57
.LBB927_642:
	s_or_b32 exec_lo, exec_lo, s0
	v_cmp_gt_u32_e32 vcc_lo, s3, v64
                                        ; implicit-def: $sgpr0
	s_and_saveexec_b32 s3, vcc_lo
	s_cbranch_execz .LBB927_654
; %bb.643:
	v_cmp_ne_u32_e32 vcc_lo, 1, v63
	s_cbranch_vccnz .LBB927_650
; %bb.644:
	v_mul_lo_u32 v63, v2, s8
	v_mul_lo_u32 v64, v1, s9
	v_mad_u64_u32 v[59:60], null, v1, s8, 0
	s_waitcnt lgkmcnt(0)
	v_mul_lo_u32 v58, v58, s8
	v_mul_lo_u32 v65, v57, s9
	v_mad_u64_u32 v[61:62], null, v57, s8, 0
	s_mov_b32 s0, -1
	s_mov_b32 s20, exec_lo
	s_delay_alu instid0(VALU_DEP_4) | instskip(NEXT) | instid1(VALU_DEP_2)
	v_add3_u32 v60, v60, v64, v63
	v_add3_u32 v62, v62, v65, v58
	s_delay_alu instid0(VALU_DEP_2) | instskip(NEXT) | instid1(VALU_DEP_2)
	v_lshlrev_b64 v[57:58], 2, v[59:60]
	v_lshlrev_b64 v[61:62], 2, v[61:62]
	s_delay_alu instid0(VALU_DEP_2) | instskip(NEXT) | instid1(VALU_DEP_3)
	v_add_co_u32 v59, vcc_lo, s10, v57
	v_add_co_ci_u32_e32 v60, vcc_lo, s11, v58, vcc_lo
	s_delay_alu instid0(VALU_DEP_3) | instskip(NEXT) | instid1(VALU_DEP_4)
	v_add_co_u32 v57, vcc_lo, s10, v61
	v_add_co_ci_u32_e32 v58, vcc_lo, s11, v62, vcc_lo
	s_clause 0x1
	global_load_b32 v61, v[59:60], off
	global_load_b32 v62, v[57:58], off
	s_waitcnt vmcnt(0)
	v_cmpx_eq_f32_e32 v61, v62
	s_cbranch_execz .LBB927_652
; %bb.645:
	v_add_co_u32 v57, vcc_lo, v57, 4
	v_add_co_ci_u32_e32 v58, vcc_lo, 0, v58, vcc_lo
	v_add_co_u32 v59, vcc_lo, v59, 4
	v_add_co_ci_u32_e32 v60, vcc_lo, 0, v60, vcc_lo
	s_add_u32 s12, s8, -1
	s_addc_u32 s13, s9, -1
	s_mov_b64 s[14:15], 0
	s_mov_b32 s21, 0
                                        ; implicit-def: $sgpr22
	s_set_inst_prefetch_distance 0x1
	s_branch .LBB927_648
	.p2align	6
.LBB927_646:                            ;   in Loop: Header=BB927_648 Depth=1
	global_load_b32 v61, v[59:60], off
	global_load_b32 v62, v[57:58], off
	v_add_co_u32 v57, vcc_lo, v57, 4
	v_add_co_ci_u32_e32 v58, vcc_lo, 0, v58, vcc_lo
	v_add_co_u32 v59, s0, v59, 4
	s_delay_alu instid0(VALU_DEP_1)
	v_add_co_ci_u32_e64 v60, s0, 0, v60, s0
	s_add_u32 s14, s14, 1
	s_addc_u32 s15, s15, 0
	s_and_not1_b32 s0, s22, exec_lo
	s_waitcnt vmcnt(0)
	v_cmp_neq_f32_e32 vcc_lo, v61, v62
	s_and_b32 s22, vcc_lo, exec_lo
	s_delay_alu instid0(SALU_CYCLE_1)
	s_or_b32 s22, s0, s22
.LBB927_647:                            ;   in Loop: Header=BB927_648 Depth=1
	v_dual_mov_b32 v62, s15 :: v_dual_mov_b32 v61, s14
	s_and_b32 s0, exec_lo, s22
	s_delay_alu instid0(SALU_CYCLE_1) | instskip(NEXT) | instid1(SALU_CYCLE_1)
	s_or_b32 s21, s0, s21
	s_and_not1_b32 exec_lo, exec_lo, s21
	s_cbranch_execz .LBB927_651
.LBB927_648:                            ; =>This Inner Loop Header: Depth=1
	s_or_b32 s22, s22, exec_lo
	s_cmp_eq_u64 s[12:13], s[14:15]
	s_cbranch_scc0 .LBB927_646
; %bb.649:                              ;   in Loop: Header=BB927_648 Depth=1
	s_mov_b64 s[14:15], s[8:9]
                                        ; implicit-def: $vgpr57_vgpr58
                                        ; implicit-def: $vgpr59_vgpr60
	s_branch .LBB927_647
.LBB927_650:
	s_mov_b32 s0, 0
	s_branch .LBB927_653
.LBB927_651:
	s_set_inst_prefetch_distance 0x2
	s_or_b32 exec_lo, exec_lo, s21
	v_cmp_gt_i64_e32 vcc_lo, s[8:9], v[61:62]
	s_or_not1_b32 s0, vcc_lo, exec_lo
.LBB927_652:
	s_or_b32 exec_lo, exec_lo, s20
.LBB927_653:
	s_delay_alu instid0(SALU_CYCLE_1)
	s_and_b32 s0, s0, exec_lo
	s_or_b32 s1, s1, exec_lo
.LBB927_654:
	s_or_b32 exec_lo, exec_lo, s3
	v_dual_mov_b32 v182, v166 :: v_dual_mov_b32 v181, v165
	v_dual_mov_b32 v168, v164 :: v_dual_mov_b32 v167, v163
	;; [unrolled: 1-line block ×27, first 2 shown]
	s_branch .LBB927_1243
.LBB927_655:
	s_cmp_lg_u64 s[18:19], 1
	s_cbranch_scc0 .LBB927_663
; %bb.656:
	v_mul_lo_u32 v59, v8, s8
	v_mul_lo_u32 v60, v7, s9
	s_waitcnt lgkmcnt(0)
	v_mad_u64_u32 v[57:58], null, v7, s8, 0
	v_mov_b32_e32 v113, 0
	v_mov_b32_e32 v114, 0
	v_cmp_lt_i64_e64 s0, s[8:9], 1
	v_cmp_gt_i64_e64 s3, s[8:9], 0
	s_delay_alu instid0(VALU_DEP_4) | instskip(SKIP_4) | instid1(VALU_DEP_1)
	v_mov_b32_e32 v111, v113
	ds_store_b64 v195, v[109:110]
	v_mov_b32_e32 v112, v114
	v_add3_u32 v58, v58, v60, v59
	s_and_b32 vcc_lo, exec_lo, s0
	v_lshlrev_b64 v[57:58], 2, v[57:58]
	s_cbranch_vccnz .LBB927_666
; %bb.657:
	v_mul_lo_u32 v61, v110, s8
	v_mul_lo_u32 v62, v109, s9
	v_mad_u64_u32 v[59:60], null, v109, s8, 0
	v_mov_b32_e32 v111, 1
	v_mov_b32_e32 v112, 0
	s_mov_b32 s18, exec_lo
	s_delay_alu instid0(VALU_DEP_3) | instskip(NEXT) | instid1(VALU_DEP_1)
	v_add3_u32 v60, v60, v62, v61
	v_lshlrev_b64 v[59:60], 2, v[59:60]
	s_delay_alu instid0(VALU_DEP_1) | instskip(NEXT) | instid1(VALU_DEP_2)
	v_add_co_u32 v61, vcc_lo, s10, v59
	v_add_co_ci_u32_e32 v62, vcc_lo, s11, v60, vcc_lo
	v_add_co_u32 v59, vcc_lo, s10, v57
	v_add_co_ci_u32_e32 v60, vcc_lo, s11, v58, vcc_lo
	s_clause 0x1
	global_load_b32 v63, v[61:62], off
	global_load_b32 v64, v[59:60], off
	s_waitcnt vmcnt(0)
	v_cmpx_eq_f32_e32 v63, v64
	s_cbranch_execz .LBB927_665
; %bb.658:
	v_add_co_u32 v59, vcc_lo, v59, 4
	v_add_co_ci_u32_e32 v60, vcc_lo, 0, v60, vcc_lo
	v_add_co_u32 v61, vcc_lo, v61, 4
	v_add_co_ci_u32_e32 v62, vcc_lo, 0, v62, vcc_lo
	s_add_u32 s12, s8, -1
	s_addc_u32 s13, s9, -1
	s_mov_b64 s[14:15], 0
	s_mov_b32 s19, 0
                                        ; implicit-def: $sgpr20
	s_set_inst_prefetch_distance 0x1
	s_branch .LBB927_661
	.p2align	6
.LBB927_659:                            ;   in Loop: Header=BB927_661 Depth=1
	global_load_b32 v63, v[61:62], off
	global_load_b32 v64, v[59:60], off
	v_add_co_u32 v59, vcc_lo, v59, 4
	v_add_co_ci_u32_e32 v60, vcc_lo, 0, v60, vcc_lo
	v_add_co_u32 v61, s0, v61, 4
	s_delay_alu instid0(VALU_DEP_1)
	v_add_co_ci_u32_e64 v62, s0, 0, v62, s0
	s_add_u32 s14, s14, 1
	s_addc_u32 s15, s15, 0
	s_and_not1_b32 s0, s20, exec_lo
	s_waitcnt vmcnt(0)
	v_cmp_neq_f32_e32 vcc_lo, v63, v64
	s_and_b32 s20, vcc_lo, exec_lo
	s_delay_alu instid0(SALU_CYCLE_1)
	s_or_b32 s20, s0, s20
.LBB927_660:                            ;   in Loop: Header=BB927_661 Depth=1
	v_dual_mov_b32 v64, s15 :: v_dual_mov_b32 v63, s14
	s_and_b32 s0, exec_lo, s20
	s_delay_alu instid0(SALU_CYCLE_1) | instskip(NEXT) | instid1(SALU_CYCLE_1)
	s_or_b32 s19, s0, s19
	s_and_not1_b32 exec_lo, exec_lo, s19
	s_cbranch_execz .LBB927_664
.LBB927_661:                            ; =>This Inner Loop Header: Depth=1
	s_or_b32 s20, s20, exec_lo
	s_cmp_eq_u64 s[12:13], s[14:15]
	s_cbranch_scc0 .LBB927_659
; %bb.662:                              ;   in Loop: Header=BB927_661 Depth=1
	s_mov_b64 s[14:15], s[8:9]
                                        ; implicit-def: $vgpr59_vgpr60
                                        ; implicit-def: $vgpr61_vgpr62
	s_branch .LBB927_660
.LBB927_663:
                                        ; implicit-def: $sgpr0
                                        ; implicit-def: $vgpr165_vgpr166
                                        ; implicit-def: $vgpr163_vgpr164
                                        ; implicit-def: $vgpr161_vgpr162
                                        ; implicit-def: $vgpr159_vgpr160
                                        ; implicit-def: $vgpr157_vgpr158
                                        ; implicit-def: $vgpr155_vgpr156
                                        ; implicit-def: $vgpr153_vgpr154
                                        ; implicit-def: $vgpr151_vgpr152
                                        ; implicit-def: $vgpr149_vgpr150
                                        ; implicit-def: $vgpr147_vgpr148
                                        ; implicit-def: $vgpr145_vgpr146
                                        ; implicit-def: $vgpr143_vgpr144
                                        ; implicit-def: $vgpr141_vgpr142
                                        ; implicit-def: $vgpr139_vgpr140
                                        ; implicit-def: $vgpr137_vgpr138
                                        ; implicit-def: $vgpr135_vgpr136
                                        ; implicit-def: $vgpr133_vgpr134
                                        ; implicit-def: $vgpr131_vgpr132
                                        ; implicit-def: $vgpr129_vgpr130
                                        ; implicit-def: $vgpr127_vgpr128
                                        ; implicit-def: $vgpr125_vgpr126
                                        ; implicit-def: $vgpr123_vgpr124
                                        ; implicit-def: $vgpr121_vgpr122
                                        ; implicit-def: $vgpr119_vgpr120
                                        ; implicit-def: $vgpr117_vgpr118
                                        ; implicit-def: $vgpr113_vgpr114
                                        ; implicit-def: $vgpr115_vgpr116
                                        ; implicit-def: $vgpr111_vgpr112
                                        ; implicit-def: $vgpr181_vgpr182
                                        ; implicit-def: $vgpr167_vgpr168
                                        ; implicit-def: $vgpr169_vgpr170
                                        ; implicit-def: $vgpr171_vgpr172
                                        ; implicit-def: $vgpr173_vgpr174
                                        ; implicit-def: $vgpr175_vgpr176
                                        ; implicit-def: $vgpr177_vgpr178
                                        ; implicit-def: $vgpr179_vgpr180
                                        ; implicit-def: $vgpr183_vgpr184
                                        ; implicit-def: $vgpr185_vgpr186
                                        ; implicit-def: $vgpr187_vgpr188
                                        ; implicit-def: $vgpr189_vgpr190
                                        ; implicit-def: $vgpr191_vgpr192
                                        ; implicit-def: $vgpr193_vgpr194
                                        ; implicit-def: $vgpr57_vgpr58_vgpr59_vgpr60
                                        ; implicit-def: $vgpr61_vgpr62_vgpr63_vgpr64
                                        ; implicit-def: $vgpr65_vgpr66_vgpr67_vgpr68
                                        ; implicit-def: $vgpr69_vgpr70_vgpr71_vgpr72
                                        ; implicit-def: $vgpr73_vgpr74_vgpr75_vgpr76
                                        ; implicit-def: $vgpr77_vgpr78_vgpr79_vgpr80
                                        ; implicit-def: $vgpr81_vgpr82_vgpr83_vgpr84
                                        ; implicit-def: $vgpr85_vgpr86_vgpr87_vgpr88
                                        ; implicit-def: $vgpr89_vgpr90_vgpr91_vgpr92
                                        ; implicit-def: $vgpr93_vgpr94_vgpr95_vgpr96
                                        ; implicit-def: $vgpr97_vgpr98_vgpr99_vgpr100
                                        ; implicit-def: $vgpr101_vgpr102_vgpr103_vgpr104
                                        ; implicit-def: $vgpr105_vgpr106_vgpr107_vgpr108
	s_cbranch_execnz .LBB927_923
	s_branch .LBB927_1243
.LBB927_664:
	s_set_inst_prefetch_distance 0x2
	s_or_b32 exec_lo, exec_lo, s19
	v_cmp_gt_i64_e32 vcc_lo, s[8:9], v[63:64]
	s_mov_b32 s0, 0
	s_delay_alu instid0(SALU_CYCLE_1)
	v_mov_b32_e32 v112, s0
	v_cndmask_b32_e64 v111, 0, 1, vcc_lo
.LBB927_665:
	s_or_b32 exec_lo, exec_lo, s18
.LBB927_666:
	v_mul_lo_u32 v61, v6, s8
	v_mul_lo_u32 v62, v5, s9
	v_mad_u64_u32 v[59:60], null, v5, s8, 0
	v_cndmask_b32_e64 v65, 0, 1, s3
	v_dual_mov_b32 v116, v114 :: v_dual_mov_b32 v115, v113
	s_and_not1_b32 vcc_lo, exec_lo, s3
	s_delay_alu instid0(VALU_DEP_3) | instskip(NEXT) | instid1(VALU_DEP_1)
	v_add3_u32 v60, v60, v62, v61
	v_lshlrev_b64 v[59:60], 2, v[59:60]
	s_cbranch_vccnz .LBB927_675
; %bb.667:
	v_add_co_u32 v61, vcc_lo, s10, v57
	v_add_co_ci_u32_e32 v62, vcc_lo, s11, v58, vcc_lo
	s_delay_alu instid0(VALU_DEP_3) | instskip(NEXT) | instid1(VALU_DEP_4)
	v_add_co_u32 v57, vcc_lo, s10, v59
	v_add_co_ci_u32_e32 v58, vcc_lo, s11, v60, vcc_lo
	v_mov_b32_e32 v115, 1
	s_clause 0x1
	global_load_b32 v63, v[61:62], off
	global_load_b32 v64, v[57:58], off
	v_mov_b32_e32 v116, 0
	s_mov_b32 s3, exec_lo
	s_waitcnt vmcnt(0)
	v_cmpx_eq_f32_e32 v63, v64
	s_cbranch_execz .LBB927_674
; %bb.668:
	v_add_co_u32 v57, vcc_lo, v57, 4
	v_add_co_ci_u32_e32 v58, vcc_lo, 0, v58, vcc_lo
	v_add_co_u32 v61, vcc_lo, v61, 4
	v_add_co_ci_u32_e32 v62, vcc_lo, 0, v62, vcc_lo
	s_add_u32 s12, s8, -1
	s_addc_u32 s13, s9, -1
	s_mov_b64 s[14:15], 0
	s_mov_b32 s18, 0
                                        ; implicit-def: $sgpr19
	s_set_inst_prefetch_distance 0x1
	s_branch .LBB927_671
	.p2align	6
.LBB927_669:                            ;   in Loop: Header=BB927_671 Depth=1
	global_load_b32 v63, v[61:62], off
	global_load_b32 v64, v[57:58], off
	v_add_co_u32 v57, vcc_lo, v57, 4
	v_add_co_ci_u32_e32 v58, vcc_lo, 0, v58, vcc_lo
	v_add_co_u32 v61, s0, v61, 4
	s_delay_alu instid0(VALU_DEP_1)
	v_add_co_ci_u32_e64 v62, s0, 0, v62, s0
	s_add_u32 s14, s14, 1
	s_addc_u32 s15, s15, 0
	s_and_not1_b32 s0, s19, exec_lo
	s_waitcnt vmcnt(0)
	v_cmp_neq_f32_e32 vcc_lo, v63, v64
	s_and_b32 s19, vcc_lo, exec_lo
	s_delay_alu instid0(SALU_CYCLE_1)
	s_or_b32 s19, s0, s19
.LBB927_670:                            ;   in Loop: Header=BB927_671 Depth=1
	v_dual_mov_b32 v64, s15 :: v_dual_mov_b32 v63, s14
	s_and_b32 s0, exec_lo, s19
	s_delay_alu instid0(SALU_CYCLE_1) | instskip(NEXT) | instid1(SALU_CYCLE_1)
	s_or_b32 s18, s0, s18
	s_and_not1_b32 exec_lo, exec_lo, s18
	s_cbranch_execz .LBB927_673
.LBB927_671:                            ; =>This Inner Loop Header: Depth=1
	s_or_b32 s19, s19, exec_lo
	s_cmp_eq_u64 s[12:13], s[14:15]
	s_cbranch_scc0 .LBB927_669
; %bb.672:                              ;   in Loop: Header=BB927_671 Depth=1
	s_mov_b64 s[14:15], s[8:9]
                                        ; implicit-def: $vgpr57_vgpr58
                                        ; implicit-def: $vgpr61_vgpr62
	s_branch .LBB927_670
.LBB927_673:
	s_set_inst_prefetch_distance 0x2
	s_or_b32 exec_lo, exec_lo, s18
	v_cmp_gt_i64_e32 vcc_lo, s[8:9], v[63:64]
	s_mov_b32 s0, 0
	s_delay_alu instid0(SALU_CYCLE_1)
	v_mov_b32_e32 v116, s0
	v_cndmask_b32_e64 v115, 0, 1, vcc_lo
.LBB927_674:
	s_or_b32 exec_lo, exec_lo, s3
.LBB927_675:
	v_mul_lo_u32 v61, v12, s8
	v_mul_lo_u32 v62, v11, s9
	v_mad_u64_u32 v[57:58], null, v11, s8, 0
	v_cmp_ne_u32_e32 vcc_lo, 1, v65
	s_delay_alu instid0(VALU_DEP_2) | instskip(NEXT) | instid1(VALU_DEP_1)
	v_add3_u32 v58, v58, v62, v61
	v_lshlrev_b64 v[57:58], 2, v[57:58]
	s_cbranch_vccnz .LBB927_684
; %bb.676:
	v_add_co_u32 v61, vcc_lo, s10, v59
	v_add_co_ci_u32_e32 v62, vcc_lo, s11, v60, vcc_lo
	s_delay_alu instid0(VALU_DEP_3) | instskip(NEXT) | instid1(VALU_DEP_4)
	v_add_co_u32 v59, vcc_lo, s10, v57
	v_add_co_ci_u32_e32 v60, vcc_lo, s11, v58, vcc_lo
	v_mov_b32_e32 v113, 1
	s_clause 0x1
	global_load_b32 v63, v[61:62], off
	global_load_b32 v64, v[59:60], off
	v_mov_b32_e32 v114, 0
	s_mov_b32 s3, exec_lo
	s_waitcnt vmcnt(0)
	v_cmpx_eq_f32_e32 v63, v64
	s_cbranch_execz .LBB927_683
; %bb.677:
	v_add_co_u32 v59, vcc_lo, v59, 4
	v_add_co_ci_u32_e32 v60, vcc_lo, 0, v60, vcc_lo
	v_add_co_u32 v61, vcc_lo, v61, 4
	v_add_co_ci_u32_e32 v62, vcc_lo, 0, v62, vcc_lo
	s_add_u32 s12, s8, -1
	s_addc_u32 s13, s9, -1
	s_mov_b64 s[14:15], 0
	s_mov_b32 s18, 0
                                        ; implicit-def: $sgpr19
	s_set_inst_prefetch_distance 0x1
	s_branch .LBB927_680
	.p2align	6
.LBB927_678:                            ;   in Loop: Header=BB927_680 Depth=1
	global_load_b32 v63, v[61:62], off
	global_load_b32 v64, v[59:60], off
	v_add_co_u32 v59, vcc_lo, v59, 4
	v_add_co_ci_u32_e32 v60, vcc_lo, 0, v60, vcc_lo
	v_add_co_u32 v61, s0, v61, 4
	s_delay_alu instid0(VALU_DEP_1)
	v_add_co_ci_u32_e64 v62, s0, 0, v62, s0
	s_add_u32 s14, s14, 1
	s_addc_u32 s15, s15, 0
	s_and_not1_b32 s0, s19, exec_lo
	s_waitcnt vmcnt(0)
	v_cmp_neq_f32_e32 vcc_lo, v63, v64
	s_and_b32 s19, vcc_lo, exec_lo
	s_delay_alu instid0(SALU_CYCLE_1)
	s_or_b32 s19, s0, s19
.LBB927_679:                            ;   in Loop: Header=BB927_680 Depth=1
	v_dual_mov_b32 v64, s15 :: v_dual_mov_b32 v63, s14
	s_and_b32 s0, exec_lo, s19
	s_delay_alu instid0(SALU_CYCLE_1) | instskip(NEXT) | instid1(SALU_CYCLE_1)
	s_or_b32 s18, s0, s18
	s_and_not1_b32 exec_lo, exec_lo, s18
	s_cbranch_execz .LBB927_682
.LBB927_680:                            ; =>This Inner Loop Header: Depth=1
	s_or_b32 s19, s19, exec_lo
	s_cmp_eq_u64 s[12:13], s[14:15]
	s_cbranch_scc0 .LBB927_678
; %bb.681:                              ;   in Loop: Header=BB927_680 Depth=1
	s_mov_b64 s[14:15], s[8:9]
                                        ; implicit-def: $vgpr59_vgpr60
                                        ; implicit-def: $vgpr61_vgpr62
	s_branch .LBB927_679
.LBB927_682:
	s_set_inst_prefetch_distance 0x2
	s_or_b32 exec_lo, exec_lo, s18
	v_cmp_gt_i64_e32 vcc_lo, s[8:9], v[63:64]
	s_mov_b32 s0, 0
	s_delay_alu instid0(SALU_CYCLE_1)
	v_mov_b32_e32 v114, s0
	v_cndmask_b32_e64 v113, 0, 1, vcc_lo
.LBB927_683:
	s_or_b32 exec_lo, exec_lo, s3
.LBB927_684:
	v_mul_lo_u32 v61, v10, s8
	v_mul_lo_u32 v62, v9, s9
	v_mad_u64_u32 v[59:60], null, v9, s8, 0
	v_mov_b32_e32 v119, 0
	v_mov_b32_e32 v120, 0
	v_cmp_ne_u32_e32 vcc_lo, 1, v65
	s_delay_alu instid0(VALU_DEP_2) | instskip(SKIP_1) | instid1(VALU_DEP_1)
	v_dual_mov_b32 v117, v119 :: v_dual_mov_b32 v118, v120
	v_add3_u32 v60, v60, v62, v61
	v_lshlrev_b64 v[59:60], 2, v[59:60]
	s_cbranch_vccnz .LBB927_693
; %bb.685:
	v_add_co_u32 v61, vcc_lo, s10, v57
	v_add_co_ci_u32_e32 v62, vcc_lo, s11, v58, vcc_lo
	s_delay_alu instid0(VALU_DEP_3) | instskip(NEXT) | instid1(VALU_DEP_4)
	v_add_co_u32 v57, vcc_lo, s10, v59
	v_add_co_ci_u32_e32 v58, vcc_lo, s11, v60, vcc_lo
	v_mov_b32_e32 v117, 1
	s_clause 0x1
	global_load_b32 v63, v[61:62], off
	global_load_b32 v64, v[57:58], off
	v_mov_b32_e32 v118, 0
	s_mov_b32 s3, exec_lo
	s_waitcnt vmcnt(0)
	v_cmpx_eq_f32_e32 v63, v64
	s_cbranch_execz .LBB927_692
; %bb.686:
	v_add_co_u32 v57, vcc_lo, v57, 4
	v_add_co_ci_u32_e32 v58, vcc_lo, 0, v58, vcc_lo
	v_add_co_u32 v61, vcc_lo, v61, 4
	v_add_co_ci_u32_e32 v62, vcc_lo, 0, v62, vcc_lo
	s_add_u32 s12, s8, -1
	s_addc_u32 s13, s9, -1
	s_mov_b64 s[14:15], 0
	s_mov_b32 s18, 0
                                        ; implicit-def: $sgpr19
	s_set_inst_prefetch_distance 0x1
	s_branch .LBB927_689
	.p2align	6
.LBB927_687:                            ;   in Loop: Header=BB927_689 Depth=1
	global_load_b32 v63, v[61:62], off
	global_load_b32 v64, v[57:58], off
	v_add_co_u32 v57, vcc_lo, v57, 4
	v_add_co_ci_u32_e32 v58, vcc_lo, 0, v58, vcc_lo
	v_add_co_u32 v61, s0, v61, 4
	s_delay_alu instid0(VALU_DEP_1)
	v_add_co_ci_u32_e64 v62, s0, 0, v62, s0
	s_add_u32 s14, s14, 1
	s_addc_u32 s15, s15, 0
	s_and_not1_b32 s0, s19, exec_lo
	s_waitcnt vmcnt(0)
	v_cmp_neq_f32_e32 vcc_lo, v63, v64
	s_and_b32 s19, vcc_lo, exec_lo
	s_delay_alu instid0(SALU_CYCLE_1)
	s_or_b32 s19, s0, s19
.LBB927_688:                            ;   in Loop: Header=BB927_689 Depth=1
	v_dual_mov_b32 v64, s15 :: v_dual_mov_b32 v63, s14
	s_and_b32 s0, exec_lo, s19
	s_delay_alu instid0(SALU_CYCLE_1) | instskip(NEXT) | instid1(SALU_CYCLE_1)
	s_or_b32 s18, s0, s18
	s_and_not1_b32 exec_lo, exec_lo, s18
	s_cbranch_execz .LBB927_691
.LBB927_689:                            ; =>This Inner Loop Header: Depth=1
	s_or_b32 s19, s19, exec_lo
	s_cmp_eq_u64 s[12:13], s[14:15]
	s_cbranch_scc0 .LBB927_687
; %bb.690:                              ;   in Loop: Header=BB927_689 Depth=1
	s_mov_b64 s[14:15], s[8:9]
                                        ; implicit-def: $vgpr57_vgpr58
                                        ; implicit-def: $vgpr61_vgpr62
	s_branch .LBB927_688
.LBB927_691:
	s_set_inst_prefetch_distance 0x2
	s_or_b32 exec_lo, exec_lo, s18
	v_cmp_gt_i64_e32 vcc_lo, s[8:9], v[63:64]
	s_mov_b32 s0, 0
	s_delay_alu instid0(SALU_CYCLE_1)
	v_mov_b32_e32 v118, s0
	v_cndmask_b32_e64 v117, 0, 1, vcc_lo
.LBB927_692:
	s_or_b32 exec_lo, exec_lo, s3
.LBB927_693:
	v_mul_lo_u32 v61, v56, s8
	v_mul_lo_u32 v62, v55, s9
	v_mad_u64_u32 v[57:58], null, v55, s8, 0
	v_cmp_ne_u32_e32 vcc_lo, 1, v65
	s_delay_alu instid0(VALU_DEP_2) | instskip(NEXT) | instid1(VALU_DEP_1)
	v_add3_u32 v58, v58, v62, v61
	v_lshlrev_b64 v[57:58], 2, v[57:58]
	s_cbranch_vccnz .LBB927_702
; %bb.694:
	v_add_co_u32 v61, vcc_lo, s10, v59
	v_add_co_ci_u32_e32 v62, vcc_lo, s11, v60, vcc_lo
	s_delay_alu instid0(VALU_DEP_3) | instskip(NEXT) | instid1(VALU_DEP_4)
	v_add_co_u32 v59, vcc_lo, s10, v57
	v_add_co_ci_u32_e32 v60, vcc_lo, s11, v58, vcc_lo
	v_mov_b32_e32 v119, 1
	s_clause 0x1
	global_load_b32 v63, v[61:62], off
	global_load_b32 v64, v[59:60], off
	v_mov_b32_e32 v120, 0
	s_mov_b32 s3, exec_lo
	s_waitcnt vmcnt(0)
	v_cmpx_eq_f32_e32 v63, v64
	s_cbranch_execz .LBB927_701
; %bb.695:
	v_add_co_u32 v59, vcc_lo, v59, 4
	v_add_co_ci_u32_e32 v60, vcc_lo, 0, v60, vcc_lo
	v_add_co_u32 v61, vcc_lo, v61, 4
	v_add_co_ci_u32_e32 v62, vcc_lo, 0, v62, vcc_lo
	s_add_u32 s12, s8, -1
	s_addc_u32 s13, s9, -1
	s_mov_b64 s[14:15], 0
	s_mov_b32 s18, 0
                                        ; implicit-def: $sgpr19
	s_set_inst_prefetch_distance 0x1
	s_branch .LBB927_698
	.p2align	6
.LBB927_696:                            ;   in Loop: Header=BB927_698 Depth=1
	global_load_b32 v63, v[61:62], off
	global_load_b32 v64, v[59:60], off
	v_add_co_u32 v59, vcc_lo, v59, 4
	v_add_co_ci_u32_e32 v60, vcc_lo, 0, v60, vcc_lo
	v_add_co_u32 v61, s0, v61, 4
	s_delay_alu instid0(VALU_DEP_1)
	v_add_co_ci_u32_e64 v62, s0, 0, v62, s0
	s_add_u32 s14, s14, 1
	s_addc_u32 s15, s15, 0
	s_and_not1_b32 s0, s19, exec_lo
	s_waitcnt vmcnt(0)
	v_cmp_neq_f32_e32 vcc_lo, v63, v64
	s_and_b32 s19, vcc_lo, exec_lo
	s_delay_alu instid0(SALU_CYCLE_1)
	s_or_b32 s19, s0, s19
.LBB927_697:                            ;   in Loop: Header=BB927_698 Depth=1
	v_dual_mov_b32 v64, s15 :: v_dual_mov_b32 v63, s14
	s_and_b32 s0, exec_lo, s19
	s_delay_alu instid0(SALU_CYCLE_1) | instskip(NEXT) | instid1(SALU_CYCLE_1)
	s_or_b32 s18, s0, s18
	s_and_not1_b32 exec_lo, exec_lo, s18
	s_cbranch_execz .LBB927_700
.LBB927_698:                            ; =>This Inner Loop Header: Depth=1
	s_or_b32 s19, s19, exec_lo
	s_cmp_eq_u64 s[12:13], s[14:15]
	s_cbranch_scc0 .LBB927_696
; %bb.699:                              ;   in Loop: Header=BB927_698 Depth=1
	s_mov_b64 s[14:15], s[8:9]
                                        ; implicit-def: $vgpr59_vgpr60
                                        ; implicit-def: $vgpr61_vgpr62
	s_branch .LBB927_697
.LBB927_700:
	s_set_inst_prefetch_distance 0x2
	s_or_b32 exec_lo, exec_lo, s18
	v_cmp_gt_i64_e32 vcc_lo, s[8:9], v[63:64]
	s_mov_b32 s0, 0
	s_delay_alu instid0(SALU_CYCLE_1)
	v_mov_b32_e32 v120, s0
	v_cndmask_b32_e64 v119, 0, 1, vcc_lo
.LBB927_701:
	s_or_b32 exec_lo, exec_lo, s3
.LBB927_702:
	v_mul_lo_u32 v61, v54, s8
	v_mul_lo_u32 v62, v53, s9
	v_mad_u64_u32 v[59:60], null, v53, s8, 0
	v_mov_b32_e32 v123, 0
	v_mov_b32_e32 v124, 0
	v_cmp_ne_u32_e32 vcc_lo, 1, v65
	s_delay_alu instid0(VALU_DEP_2) | instskip(SKIP_1) | instid1(VALU_DEP_1)
	v_dual_mov_b32 v121, v123 :: v_dual_mov_b32 v122, v124
	v_add3_u32 v60, v60, v62, v61
	v_lshlrev_b64 v[59:60], 2, v[59:60]
	s_cbranch_vccnz .LBB927_711
; %bb.703:
	v_add_co_u32 v61, vcc_lo, s10, v57
	v_add_co_ci_u32_e32 v62, vcc_lo, s11, v58, vcc_lo
	s_delay_alu instid0(VALU_DEP_3) | instskip(NEXT) | instid1(VALU_DEP_4)
	v_add_co_u32 v57, vcc_lo, s10, v59
	v_add_co_ci_u32_e32 v58, vcc_lo, s11, v60, vcc_lo
	v_mov_b32_e32 v121, 1
	s_clause 0x1
	global_load_b32 v63, v[61:62], off
	global_load_b32 v64, v[57:58], off
	v_mov_b32_e32 v122, 0
	s_mov_b32 s3, exec_lo
	s_waitcnt vmcnt(0)
	v_cmpx_eq_f32_e32 v63, v64
	s_cbranch_execz .LBB927_710
; %bb.704:
	v_add_co_u32 v57, vcc_lo, v57, 4
	v_add_co_ci_u32_e32 v58, vcc_lo, 0, v58, vcc_lo
	v_add_co_u32 v61, vcc_lo, v61, 4
	v_add_co_ci_u32_e32 v62, vcc_lo, 0, v62, vcc_lo
	s_add_u32 s12, s8, -1
	s_addc_u32 s13, s9, -1
	s_mov_b64 s[14:15], 0
	s_mov_b32 s18, 0
                                        ; implicit-def: $sgpr19
	s_set_inst_prefetch_distance 0x1
	s_branch .LBB927_707
	.p2align	6
.LBB927_705:                            ;   in Loop: Header=BB927_707 Depth=1
	global_load_b32 v63, v[61:62], off
	global_load_b32 v64, v[57:58], off
	v_add_co_u32 v57, vcc_lo, v57, 4
	v_add_co_ci_u32_e32 v58, vcc_lo, 0, v58, vcc_lo
	v_add_co_u32 v61, s0, v61, 4
	s_delay_alu instid0(VALU_DEP_1)
	v_add_co_ci_u32_e64 v62, s0, 0, v62, s0
	s_add_u32 s14, s14, 1
	s_addc_u32 s15, s15, 0
	s_and_not1_b32 s0, s19, exec_lo
	s_waitcnt vmcnt(0)
	v_cmp_neq_f32_e32 vcc_lo, v63, v64
	s_and_b32 s19, vcc_lo, exec_lo
	s_delay_alu instid0(SALU_CYCLE_1)
	s_or_b32 s19, s0, s19
.LBB927_706:                            ;   in Loop: Header=BB927_707 Depth=1
	v_dual_mov_b32 v64, s15 :: v_dual_mov_b32 v63, s14
	s_and_b32 s0, exec_lo, s19
	s_delay_alu instid0(SALU_CYCLE_1) | instskip(NEXT) | instid1(SALU_CYCLE_1)
	s_or_b32 s18, s0, s18
	s_and_not1_b32 exec_lo, exec_lo, s18
	s_cbranch_execz .LBB927_709
.LBB927_707:                            ; =>This Inner Loop Header: Depth=1
	s_or_b32 s19, s19, exec_lo
	s_cmp_eq_u64 s[12:13], s[14:15]
	s_cbranch_scc0 .LBB927_705
; %bb.708:                              ;   in Loop: Header=BB927_707 Depth=1
	s_mov_b64 s[14:15], s[8:9]
                                        ; implicit-def: $vgpr57_vgpr58
                                        ; implicit-def: $vgpr61_vgpr62
	s_branch .LBB927_706
.LBB927_709:
	s_set_inst_prefetch_distance 0x2
	s_or_b32 exec_lo, exec_lo, s18
	v_cmp_gt_i64_e32 vcc_lo, s[8:9], v[63:64]
	s_mov_b32 s0, 0
	s_delay_alu instid0(SALU_CYCLE_1)
	v_mov_b32_e32 v122, s0
	v_cndmask_b32_e64 v121, 0, 1, vcc_lo
.LBB927_710:
	s_or_b32 exec_lo, exec_lo, s3
.LBB927_711:
	v_mul_lo_u32 v61, v52, s8
	v_mul_lo_u32 v62, v51, s9
	v_mad_u64_u32 v[57:58], null, v51, s8, 0
	v_cmp_ne_u32_e32 vcc_lo, 1, v65
	s_delay_alu instid0(VALU_DEP_2) | instskip(NEXT) | instid1(VALU_DEP_1)
	v_add3_u32 v58, v58, v62, v61
	v_lshlrev_b64 v[57:58], 2, v[57:58]
	s_cbranch_vccnz .LBB927_720
; %bb.712:
	v_add_co_u32 v61, vcc_lo, s10, v59
	v_add_co_ci_u32_e32 v62, vcc_lo, s11, v60, vcc_lo
	s_delay_alu instid0(VALU_DEP_3) | instskip(NEXT) | instid1(VALU_DEP_4)
	v_add_co_u32 v59, vcc_lo, s10, v57
	v_add_co_ci_u32_e32 v60, vcc_lo, s11, v58, vcc_lo
	v_mov_b32_e32 v123, 1
	s_clause 0x1
	global_load_b32 v63, v[61:62], off
	global_load_b32 v64, v[59:60], off
	v_mov_b32_e32 v124, 0
	s_mov_b32 s3, exec_lo
	s_waitcnt vmcnt(0)
	v_cmpx_eq_f32_e32 v63, v64
	s_cbranch_execz .LBB927_719
; %bb.713:
	v_add_co_u32 v59, vcc_lo, v59, 4
	v_add_co_ci_u32_e32 v60, vcc_lo, 0, v60, vcc_lo
	v_add_co_u32 v61, vcc_lo, v61, 4
	v_add_co_ci_u32_e32 v62, vcc_lo, 0, v62, vcc_lo
	s_add_u32 s12, s8, -1
	s_addc_u32 s13, s9, -1
	s_mov_b64 s[14:15], 0
	s_mov_b32 s18, 0
                                        ; implicit-def: $sgpr19
	s_set_inst_prefetch_distance 0x1
	s_branch .LBB927_716
	.p2align	6
.LBB927_714:                            ;   in Loop: Header=BB927_716 Depth=1
	global_load_b32 v63, v[61:62], off
	global_load_b32 v64, v[59:60], off
	v_add_co_u32 v59, vcc_lo, v59, 4
	v_add_co_ci_u32_e32 v60, vcc_lo, 0, v60, vcc_lo
	v_add_co_u32 v61, s0, v61, 4
	s_delay_alu instid0(VALU_DEP_1)
	v_add_co_ci_u32_e64 v62, s0, 0, v62, s0
	s_add_u32 s14, s14, 1
	s_addc_u32 s15, s15, 0
	s_and_not1_b32 s0, s19, exec_lo
	s_waitcnt vmcnt(0)
	v_cmp_neq_f32_e32 vcc_lo, v63, v64
	s_and_b32 s19, vcc_lo, exec_lo
	s_delay_alu instid0(SALU_CYCLE_1)
	s_or_b32 s19, s0, s19
.LBB927_715:                            ;   in Loop: Header=BB927_716 Depth=1
	v_dual_mov_b32 v64, s15 :: v_dual_mov_b32 v63, s14
	s_and_b32 s0, exec_lo, s19
	s_delay_alu instid0(SALU_CYCLE_1) | instskip(NEXT) | instid1(SALU_CYCLE_1)
	s_or_b32 s18, s0, s18
	s_and_not1_b32 exec_lo, exec_lo, s18
	s_cbranch_execz .LBB927_718
.LBB927_716:                            ; =>This Inner Loop Header: Depth=1
	s_or_b32 s19, s19, exec_lo
	s_cmp_eq_u64 s[12:13], s[14:15]
	s_cbranch_scc0 .LBB927_714
; %bb.717:                              ;   in Loop: Header=BB927_716 Depth=1
	s_mov_b64 s[14:15], s[8:9]
                                        ; implicit-def: $vgpr59_vgpr60
                                        ; implicit-def: $vgpr61_vgpr62
	s_branch .LBB927_715
.LBB927_718:
	s_set_inst_prefetch_distance 0x2
	s_or_b32 exec_lo, exec_lo, s18
	v_cmp_gt_i64_e32 vcc_lo, s[8:9], v[63:64]
	s_mov_b32 s0, 0
	s_delay_alu instid0(SALU_CYCLE_1)
	v_mov_b32_e32 v124, s0
	v_cndmask_b32_e64 v123, 0, 1, vcc_lo
.LBB927_719:
	s_or_b32 exec_lo, exec_lo, s3
.LBB927_720:
	v_mul_lo_u32 v61, v50, s8
	v_mul_lo_u32 v62, v49, s9
	v_mad_u64_u32 v[59:60], null, v49, s8, 0
	v_mov_b32_e32 v127, 0
	v_mov_b32_e32 v128, 0
	v_cmp_ne_u32_e32 vcc_lo, 1, v65
	s_delay_alu instid0(VALU_DEP_2) | instskip(SKIP_1) | instid1(VALU_DEP_1)
	v_dual_mov_b32 v125, v127 :: v_dual_mov_b32 v126, v128
	v_add3_u32 v60, v60, v62, v61
	v_lshlrev_b64 v[59:60], 2, v[59:60]
	s_cbranch_vccnz .LBB927_729
; %bb.721:
	v_add_co_u32 v61, vcc_lo, s10, v57
	v_add_co_ci_u32_e32 v62, vcc_lo, s11, v58, vcc_lo
	s_delay_alu instid0(VALU_DEP_3) | instskip(NEXT) | instid1(VALU_DEP_4)
	v_add_co_u32 v57, vcc_lo, s10, v59
	v_add_co_ci_u32_e32 v58, vcc_lo, s11, v60, vcc_lo
	v_mov_b32_e32 v125, 1
	s_clause 0x1
	global_load_b32 v63, v[61:62], off
	global_load_b32 v64, v[57:58], off
	v_mov_b32_e32 v126, 0
	s_mov_b32 s3, exec_lo
	s_waitcnt vmcnt(0)
	v_cmpx_eq_f32_e32 v63, v64
	s_cbranch_execz .LBB927_728
; %bb.722:
	v_add_co_u32 v57, vcc_lo, v57, 4
	v_add_co_ci_u32_e32 v58, vcc_lo, 0, v58, vcc_lo
	v_add_co_u32 v61, vcc_lo, v61, 4
	v_add_co_ci_u32_e32 v62, vcc_lo, 0, v62, vcc_lo
	s_add_u32 s12, s8, -1
	s_addc_u32 s13, s9, -1
	s_mov_b64 s[14:15], 0
	s_mov_b32 s18, 0
                                        ; implicit-def: $sgpr19
	s_set_inst_prefetch_distance 0x1
	s_branch .LBB927_725
	.p2align	6
.LBB927_723:                            ;   in Loop: Header=BB927_725 Depth=1
	global_load_b32 v63, v[61:62], off
	global_load_b32 v64, v[57:58], off
	v_add_co_u32 v57, vcc_lo, v57, 4
	v_add_co_ci_u32_e32 v58, vcc_lo, 0, v58, vcc_lo
	v_add_co_u32 v61, s0, v61, 4
	s_delay_alu instid0(VALU_DEP_1)
	v_add_co_ci_u32_e64 v62, s0, 0, v62, s0
	s_add_u32 s14, s14, 1
	s_addc_u32 s15, s15, 0
	s_and_not1_b32 s0, s19, exec_lo
	s_waitcnt vmcnt(0)
	v_cmp_neq_f32_e32 vcc_lo, v63, v64
	s_and_b32 s19, vcc_lo, exec_lo
	s_delay_alu instid0(SALU_CYCLE_1)
	s_or_b32 s19, s0, s19
.LBB927_724:                            ;   in Loop: Header=BB927_725 Depth=1
	v_dual_mov_b32 v64, s15 :: v_dual_mov_b32 v63, s14
	s_and_b32 s0, exec_lo, s19
	s_delay_alu instid0(SALU_CYCLE_1) | instskip(NEXT) | instid1(SALU_CYCLE_1)
	s_or_b32 s18, s0, s18
	s_and_not1_b32 exec_lo, exec_lo, s18
	s_cbranch_execz .LBB927_727
.LBB927_725:                            ; =>This Inner Loop Header: Depth=1
	s_or_b32 s19, s19, exec_lo
	s_cmp_eq_u64 s[12:13], s[14:15]
	s_cbranch_scc0 .LBB927_723
; %bb.726:                              ;   in Loop: Header=BB927_725 Depth=1
	s_mov_b64 s[14:15], s[8:9]
                                        ; implicit-def: $vgpr57_vgpr58
                                        ; implicit-def: $vgpr61_vgpr62
	s_branch .LBB927_724
.LBB927_727:
	s_set_inst_prefetch_distance 0x2
	s_or_b32 exec_lo, exec_lo, s18
	v_cmp_gt_i64_e32 vcc_lo, s[8:9], v[63:64]
	s_mov_b32 s0, 0
	s_delay_alu instid0(SALU_CYCLE_1)
	v_mov_b32_e32 v126, s0
	v_cndmask_b32_e64 v125, 0, 1, vcc_lo
.LBB927_728:
	s_or_b32 exec_lo, exec_lo, s3
.LBB927_729:
	v_mul_lo_u32 v61, v48, s8
	v_mul_lo_u32 v62, v47, s9
	v_mad_u64_u32 v[57:58], null, v47, s8, 0
	v_cmp_ne_u32_e32 vcc_lo, 1, v65
	s_delay_alu instid0(VALU_DEP_2) | instskip(NEXT) | instid1(VALU_DEP_1)
	v_add3_u32 v58, v58, v62, v61
	v_lshlrev_b64 v[57:58], 2, v[57:58]
	s_cbranch_vccnz .LBB927_738
; %bb.730:
	v_add_co_u32 v61, vcc_lo, s10, v59
	v_add_co_ci_u32_e32 v62, vcc_lo, s11, v60, vcc_lo
	s_delay_alu instid0(VALU_DEP_3) | instskip(NEXT) | instid1(VALU_DEP_4)
	v_add_co_u32 v59, vcc_lo, s10, v57
	v_add_co_ci_u32_e32 v60, vcc_lo, s11, v58, vcc_lo
	v_mov_b32_e32 v127, 1
	s_clause 0x1
	global_load_b32 v63, v[61:62], off
	global_load_b32 v64, v[59:60], off
	v_mov_b32_e32 v128, 0
	s_mov_b32 s3, exec_lo
	s_waitcnt vmcnt(0)
	v_cmpx_eq_f32_e32 v63, v64
	s_cbranch_execz .LBB927_737
; %bb.731:
	v_add_co_u32 v59, vcc_lo, v59, 4
	v_add_co_ci_u32_e32 v60, vcc_lo, 0, v60, vcc_lo
	v_add_co_u32 v61, vcc_lo, v61, 4
	v_add_co_ci_u32_e32 v62, vcc_lo, 0, v62, vcc_lo
	s_add_u32 s12, s8, -1
	s_addc_u32 s13, s9, -1
	s_mov_b64 s[14:15], 0
	s_mov_b32 s18, 0
                                        ; implicit-def: $sgpr19
	s_set_inst_prefetch_distance 0x1
	s_branch .LBB927_734
	.p2align	6
.LBB927_732:                            ;   in Loop: Header=BB927_734 Depth=1
	global_load_b32 v63, v[61:62], off
	global_load_b32 v64, v[59:60], off
	v_add_co_u32 v59, vcc_lo, v59, 4
	v_add_co_ci_u32_e32 v60, vcc_lo, 0, v60, vcc_lo
	v_add_co_u32 v61, s0, v61, 4
	s_delay_alu instid0(VALU_DEP_1)
	v_add_co_ci_u32_e64 v62, s0, 0, v62, s0
	s_add_u32 s14, s14, 1
	s_addc_u32 s15, s15, 0
	s_and_not1_b32 s0, s19, exec_lo
	s_waitcnt vmcnt(0)
	v_cmp_neq_f32_e32 vcc_lo, v63, v64
	s_and_b32 s19, vcc_lo, exec_lo
	s_delay_alu instid0(SALU_CYCLE_1)
	s_or_b32 s19, s0, s19
.LBB927_733:                            ;   in Loop: Header=BB927_734 Depth=1
	v_dual_mov_b32 v64, s15 :: v_dual_mov_b32 v63, s14
	s_and_b32 s0, exec_lo, s19
	s_delay_alu instid0(SALU_CYCLE_1) | instskip(NEXT) | instid1(SALU_CYCLE_1)
	s_or_b32 s18, s0, s18
	s_and_not1_b32 exec_lo, exec_lo, s18
	s_cbranch_execz .LBB927_736
.LBB927_734:                            ; =>This Inner Loop Header: Depth=1
	s_or_b32 s19, s19, exec_lo
	s_cmp_eq_u64 s[12:13], s[14:15]
	s_cbranch_scc0 .LBB927_732
; %bb.735:                              ;   in Loop: Header=BB927_734 Depth=1
	s_mov_b64 s[14:15], s[8:9]
                                        ; implicit-def: $vgpr59_vgpr60
                                        ; implicit-def: $vgpr61_vgpr62
	s_branch .LBB927_733
.LBB927_736:
	s_set_inst_prefetch_distance 0x2
	s_or_b32 exec_lo, exec_lo, s18
	v_cmp_gt_i64_e32 vcc_lo, s[8:9], v[63:64]
	s_mov_b32 s0, 0
	s_delay_alu instid0(SALU_CYCLE_1)
	v_mov_b32_e32 v128, s0
	v_cndmask_b32_e64 v127, 0, 1, vcc_lo
.LBB927_737:
	s_or_b32 exec_lo, exec_lo, s3
.LBB927_738:
	v_mul_lo_u32 v61, v46, s8
	v_mul_lo_u32 v62, v45, s9
	v_mad_u64_u32 v[59:60], null, v45, s8, 0
	v_mov_b32_e32 v131, 0
	v_mov_b32_e32 v132, 0
	v_cmp_ne_u32_e32 vcc_lo, 1, v65
	s_delay_alu instid0(VALU_DEP_2) | instskip(SKIP_1) | instid1(VALU_DEP_1)
	v_dual_mov_b32 v129, v131 :: v_dual_mov_b32 v130, v132
	v_add3_u32 v60, v60, v62, v61
	v_lshlrev_b64 v[59:60], 2, v[59:60]
	s_cbranch_vccnz .LBB927_747
; %bb.739:
	v_add_co_u32 v61, vcc_lo, s10, v57
	v_add_co_ci_u32_e32 v62, vcc_lo, s11, v58, vcc_lo
	s_delay_alu instid0(VALU_DEP_3) | instskip(NEXT) | instid1(VALU_DEP_4)
	v_add_co_u32 v57, vcc_lo, s10, v59
	v_add_co_ci_u32_e32 v58, vcc_lo, s11, v60, vcc_lo
	v_mov_b32_e32 v129, 1
	s_clause 0x1
	global_load_b32 v63, v[61:62], off
	global_load_b32 v64, v[57:58], off
	v_mov_b32_e32 v130, 0
	s_mov_b32 s3, exec_lo
	s_waitcnt vmcnt(0)
	v_cmpx_eq_f32_e32 v63, v64
	s_cbranch_execz .LBB927_746
; %bb.740:
	v_add_co_u32 v57, vcc_lo, v57, 4
	v_add_co_ci_u32_e32 v58, vcc_lo, 0, v58, vcc_lo
	v_add_co_u32 v61, vcc_lo, v61, 4
	v_add_co_ci_u32_e32 v62, vcc_lo, 0, v62, vcc_lo
	s_add_u32 s12, s8, -1
	s_addc_u32 s13, s9, -1
	s_mov_b64 s[14:15], 0
	s_mov_b32 s18, 0
                                        ; implicit-def: $sgpr19
	s_set_inst_prefetch_distance 0x1
	s_branch .LBB927_743
	.p2align	6
.LBB927_741:                            ;   in Loop: Header=BB927_743 Depth=1
	global_load_b32 v63, v[61:62], off
	global_load_b32 v64, v[57:58], off
	v_add_co_u32 v57, vcc_lo, v57, 4
	v_add_co_ci_u32_e32 v58, vcc_lo, 0, v58, vcc_lo
	v_add_co_u32 v61, s0, v61, 4
	s_delay_alu instid0(VALU_DEP_1)
	v_add_co_ci_u32_e64 v62, s0, 0, v62, s0
	s_add_u32 s14, s14, 1
	s_addc_u32 s15, s15, 0
	s_and_not1_b32 s0, s19, exec_lo
	s_waitcnt vmcnt(0)
	v_cmp_neq_f32_e32 vcc_lo, v63, v64
	s_and_b32 s19, vcc_lo, exec_lo
	s_delay_alu instid0(SALU_CYCLE_1)
	s_or_b32 s19, s0, s19
.LBB927_742:                            ;   in Loop: Header=BB927_743 Depth=1
	v_dual_mov_b32 v64, s15 :: v_dual_mov_b32 v63, s14
	s_and_b32 s0, exec_lo, s19
	s_delay_alu instid0(SALU_CYCLE_1) | instskip(NEXT) | instid1(SALU_CYCLE_1)
	s_or_b32 s18, s0, s18
	s_and_not1_b32 exec_lo, exec_lo, s18
	s_cbranch_execz .LBB927_745
.LBB927_743:                            ; =>This Inner Loop Header: Depth=1
	s_or_b32 s19, s19, exec_lo
	s_cmp_eq_u64 s[12:13], s[14:15]
	s_cbranch_scc0 .LBB927_741
; %bb.744:                              ;   in Loop: Header=BB927_743 Depth=1
	s_mov_b64 s[14:15], s[8:9]
                                        ; implicit-def: $vgpr57_vgpr58
                                        ; implicit-def: $vgpr61_vgpr62
	s_branch .LBB927_742
.LBB927_745:
	s_set_inst_prefetch_distance 0x2
	s_or_b32 exec_lo, exec_lo, s18
	v_cmp_gt_i64_e32 vcc_lo, s[8:9], v[63:64]
	s_mov_b32 s0, 0
	s_delay_alu instid0(SALU_CYCLE_1)
	v_mov_b32_e32 v130, s0
	v_cndmask_b32_e64 v129, 0, 1, vcc_lo
.LBB927_746:
	s_or_b32 exec_lo, exec_lo, s3
.LBB927_747:
	v_mul_lo_u32 v61, v44, s8
	v_mul_lo_u32 v62, v43, s9
	v_mad_u64_u32 v[57:58], null, v43, s8, 0
	v_cmp_ne_u32_e32 vcc_lo, 1, v65
	s_delay_alu instid0(VALU_DEP_2) | instskip(NEXT) | instid1(VALU_DEP_1)
	v_add3_u32 v58, v58, v62, v61
	v_lshlrev_b64 v[57:58], 2, v[57:58]
	s_cbranch_vccnz .LBB927_756
; %bb.748:
	v_add_co_u32 v61, vcc_lo, s10, v59
	v_add_co_ci_u32_e32 v62, vcc_lo, s11, v60, vcc_lo
	s_delay_alu instid0(VALU_DEP_3) | instskip(NEXT) | instid1(VALU_DEP_4)
	v_add_co_u32 v59, vcc_lo, s10, v57
	v_add_co_ci_u32_e32 v60, vcc_lo, s11, v58, vcc_lo
	v_mov_b32_e32 v131, 1
	s_clause 0x1
	global_load_b32 v63, v[61:62], off
	global_load_b32 v64, v[59:60], off
	v_mov_b32_e32 v132, 0
	s_mov_b32 s3, exec_lo
	s_waitcnt vmcnt(0)
	v_cmpx_eq_f32_e32 v63, v64
	s_cbranch_execz .LBB927_755
; %bb.749:
	v_add_co_u32 v59, vcc_lo, v59, 4
	v_add_co_ci_u32_e32 v60, vcc_lo, 0, v60, vcc_lo
	v_add_co_u32 v61, vcc_lo, v61, 4
	v_add_co_ci_u32_e32 v62, vcc_lo, 0, v62, vcc_lo
	s_add_u32 s12, s8, -1
	s_addc_u32 s13, s9, -1
	s_mov_b64 s[14:15], 0
	s_mov_b32 s18, 0
                                        ; implicit-def: $sgpr19
	s_set_inst_prefetch_distance 0x1
	s_branch .LBB927_752
	.p2align	6
.LBB927_750:                            ;   in Loop: Header=BB927_752 Depth=1
	global_load_b32 v63, v[61:62], off
	global_load_b32 v64, v[59:60], off
	v_add_co_u32 v59, vcc_lo, v59, 4
	v_add_co_ci_u32_e32 v60, vcc_lo, 0, v60, vcc_lo
	v_add_co_u32 v61, s0, v61, 4
	s_delay_alu instid0(VALU_DEP_1)
	v_add_co_ci_u32_e64 v62, s0, 0, v62, s0
	s_add_u32 s14, s14, 1
	s_addc_u32 s15, s15, 0
	s_and_not1_b32 s0, s19, exec_lo
	s_waitcnt vmcnt(0)
	v_cmp_neq_f32_e32 vcc_lo, v63, v64
	s_and_b32 s19, vcc_lo, exec_lo
	s_delay_alu instid0(SALU_CYCLE_1)
	s_or_b32 s19, s0, s19
.LBB927_751:                            ;   in Loop: Header=BB927_752 Depth=1
	v_dual_mov_b32 v64, s15 :: v_dual_mov_b32 v63, s14
	s_and_b32 s0, exec_lo, s19
	s_delay_alu instid0(SALU_CYCLE_1) | instskip(NEXT) | instid1(SALU_CYCLE_1)
	s_or_b32 s18, s0, s18
	s_and_not1_b32 exec_lo, exec_lo, s18
	s_cbranch_execz .LBB927_754
.LBB927_752:                            ; =>This Inner Loop Header: Depth=1
	s_or_b32 s19, s19, exec_lo
	s_cmp_eq_u64 s[12:13], s[14:15]
	s_cbranch_scc0 .LBB927_750
; %bb.753:                              ;   in Loop: Header=BB927_752 Depth=1
	s_mov_b64 s[14:15], s[8:9]
                                        ; implicit-def: $vgpr59_vgpr60
                                        ; implicit-def: $vgpr61_vgpr62
	s_branch .LBB927_751
.LBB927_754:
	s_set_inst_prefetch_distance 0x2
	s_or_b32 exec_lo, exec_lo, s18
	v_cmp_gt_i64_e32 vcc_lo, s[8:9], v[63:64]
	s_mov_b32 s0, 0
	s_delay_alu instid0(SALU_CYCLE_1)
	v_mov_b32_e32 v132, s0
	v_cndmask_b32_e64 v131, 0, 1, vcc_lo
.LBB927_755:
	s_or_b32 exec_lo, exec_lo, s3
.LBB927_756:
	v_mul_lo_u32 v61, v42, s8
	v_mul_lo_u32 v62, v41, s9
	v_mad_u64_u32 v[59:60], null, v41, s8, 0
	v_mov_b32_e32 v135, 0
	v_mov_b32_e32 v136, 0
	v_cmp_ne_u32_e32 vcc_lo, 1, v65
	s_delay_alu instid0(VALU_DEP_2) | instskip(SKIP_1) | instid1(VALU_DEP_1)
	v_dual_mov_b32 v133, v135 :: v_dual_mov_b32 v134, v136
	v_add3_u32 v60, v60, v62, v61
	v_lshlrev_b64 v[59:60], 2, v[59:60]
	s_cbranch_vccnz .LBB927_765
; %bb.757:
	v_add_co_u32 v61, vcc_lo, s10, v57
	v_add_co_ci_u32_e32 v62, vcc_lo, s11, v58, vcc_lo
	s_delay_alu instid0(VALU_DEP_3) | instskip(NEXT) | instid1(VALU_DEP_4)
	v_add_co_u32 v57, vcc_lo, s10, v59
	v_add_co_ci_u32_e32 v58, vcc_lo, s11, v60, vcc_lo
	v_mov_b32_e32 v133, 1
	s_clause 0x1
	global_load_b32 v63, v[61:62], off
	global_load_b32 v64, v[57:58], off
	v_mov_b32_e32 v134, 0
	s_mov_b32 s3, exec_lo
	s_waitcnt vmcnt(0)
	v_cmpx_eq_f32_e32 v63, v64
	s_cbranch_execz .LBB927_764
; %bb.758:
	v_add_co_u32 v57, vcc_lo, v57, 4
	v_add_co_ci_u32_e32 v58, vcc_lo, 0, v58, vcc_lo
	v_add_co_u32 v61, vcc_lo, v61, 4
	v_add_co_ci_u32_e32 v62, vcc_lo, 0, v62, vcc_lo
	s_add_u32 s12, s8, -1
	s_addc_u32 s13, s9, -1
	s_mov_b64 s[14:15], 0
	s_mov_b32 s18, 0
                                        ; implicit-def: $sgpr19
	s_set_inst_prefetch_distance 0x1
	s_branch .LBB927_761
	.p2align	6
.LBB927_759:                            ;   in Loop: Header=BB927_761 Depth=1
	global_load_b32 v63, v[61:62], off
	global_load_b32 v64, v[57:58], off
	v_add_co_u32 v57, vcc_lo, v57, 4
	v_add_co_ci_u32_e32 v58, vcc_lo, 0, v58, vcc_lo
	v_add_co_u32 v61, s0, v61, 4
	s_delay_alu instid0(VALU_DEP_1)
	v_add_co_ci_u32_e64 v62, s0, 0, v62, s0
	s_add_u32 s14, s14, 1
	s_addc_u32 s15, s15, 0
	s_and_not1_b32 s0, s19, exec_lo
	s_waitcnt vmcnt(0)
	v_cmp_neq_f32_e32 vcc_lo, v63, v64
	s_and_b32 s19, vcc_lo, exec_lo
	s_delay_alu instid0(SALU_CYCLE_1)
	s_or_b32 s19, s0, s19
.LBB927_760:                            ;   in Loop: Header=BB927_761 Depth=1
	v_dual_mov_b32 v64, s15 :: v_dual_mov_b32 v63, s14
	s_and_b32 s0, exec_lo, s19
	s_delay_alu instid0(SALU_CYCLE_1) | instskip(NEXT) | instid1(SALU_CYCLE_1)
	s_or_b32 s18, s0, s18
	s_and_not1_b32 exec_lo, exec_lo, s18
	s_cbranch_execz .LBB927_763
.LBB927_761:                            ; =>This Inner Loop Header: Depth=1
	s_or_b32 s19, s19, exec_lo
	s_cmp_eq_u64 s[12:13], s[14:15]
	s_cbranch_scc0 .LBB927_759
; %bb.762:                              ;   in Loop: Header=BB927_761 Depth=1
	s_mov_b64 s[14:15], s[8:9]
                                        ; implicit-def: $vgpr57_vgpr58
                                        ; implicit-def: $vgpr61_vgpr62
	s_branch .LBB927_760
.LBB927_763:
	s_set_inst_prefetch_distance 0x2
	s_or_b32 exec_lo, exec_lo, s18
	v_cmp_gt_i64_e32 vcc_lo, s[8:9], v[63:64]
	s_mov_b32 s0, 0
	s_delay_alu instid0(SALU_CYCLE_1)
	v_mov_b32_e32 v134, s0
	v_cndmask_b32_e64 v133, 0, 1, vcc_lo
.LBB927_764:
	s_or_b32 exec_lo, exec_lo, s3
.LBB927_765:
	v_mul_lo_u32 v61, v40, s8
	v_mul_lo_u32 v62, v39, s9
	v_mad_u64_u32 v[57:58], null, v39, s8, 0
	v_cmp_ne_u32_e32 vcc_lo, 1, v65
	s_delay_alu instid0(VALU_DEP_2) | instskip(NEXT) | instid1(VALU_DEP_1)
	v_add3_u32 v58, v58, v62, v61
	v_lshlrev_b64 v[57:58], 2, v[57:58]
	s_cbranch_vccnz .LBB927_774
; %bb.766:
	v_add_co_u32 v61, vcc_lo, s10, v59
	v_add_co_ci_u32_e32 v62, vcc_lo, s11, v60, vcc_lo
	s_delay_alu instid0(VALU_DEP_3) | instskip(NEXT) | instid1(VALU_DEP_4)
	v_add_co_u32 v59, vcc_lo, s10, v57
	v_add_co_ci_u32_e32 v60, vcc_lo, s11, v58, vcc_lo
	v_mov_b32_e32 v135, 1
	s_clause 0x1
	global_load_b32 v63, v[61:62], off
	global_load_b32 v64, v[59:60], off
	v_mov_b32_e32 v136, 0
	s_mov_b32 s3, exec_lo
	s_waitcnt vmcnt(0)
	v_cmpx_eq_f32_e32 v63, v64
	s_cbranch_execz .LBB927_773
; %bb.767:
	v_add_co_u32 v59, vcc_lo, v59, 4
	v_add_co_ci_u32_e32 v60, vcc_lo, 0, v60, vcc_lo
	v_add_co_u32 v61, vcc_lo, v61, 4
	v_add_co_ci_u32_e32 v62, vcc_lo, 0, v62, vcc_lo
	s_add_u32 s12, s8, -1
	s_addc_u32 s13, s9, -1
	s_mov_b64 s[14:15], 0
	s_mov_b32 s18, 0
                                        ; implicit-def: $sgpr19
	s_set_inst_prefetch_distance 0x1
	s_branch .LBB927_770
	.p2align	6
.LBB927_768:                            ;   in Loop: Header=BB927_770 Depth=1
	global_load_b32 v63, v[61:62], off
	global_load_b32 v64, v[59:60], off
	v_add_co_u32 v59, vcc_lo, v59, 4
	v_add_co_ci_u32_e32 v60, vcc_lo, 0, v60, vcc_lo
	v_add_co_u32 v61, s0, v61, 4
	s_delay_alu instid0(VALU_DEP_1)
	v_add_co_ci_u32_e64 v62, s0, 0, v62, s0
	s_add_u32 s14, s14, 1
	s_addc_u32 s15, s15, 0
	s_and_not1_b32 s0, s19, exec_lo
	s_waitcnt vmcnt(0)
	v_cmp_neq_f32_e32 vcc_lo, v63, v64
	s_and_b32 s19, vcc_lo, exec_lo
	s_delay_alu instid0(SALU_CYCLE_1)
	s_or_b32 s19, s0, s19
.LBB927_769:                            ;   in Loop: Header=BB927_770 Depth=1
	v_dual_mov_b32 v64, s15 :: v_dual_mov_b32 v63, s14
	s_and_b32 s0, exec_lo, s19
	s_delay_alu instid0(SALU_CYCLE_1) | instskip(NEXT) | instid1(SALU_CYCLE_1)
	s_or_b32 s18, s0, s18
	s_and_not1_b32 exec_lo, exec_lo, s18
	s_cbranch_execz .LBB927_772
.LBB927_770:                            ; =>This Inner Loop Header: Depth=1
	s_or_b32 s19, s19, exec_lo
	s_cmp_eq_u64 s[12:13], s[14:15]
	s_cbranch_scc0 .LBB927_768
; %bb.771:                              ;   in Loop: Header=BB927_770 Depth=1
	s_mov_b64 s[14:15], s[8:9]
                                        ; implicit-def: $vgpr59_vgpr60
                                        ; implicit-def: $vgpr61_vgpr62
	s_branch .LBB927_769
.LBB927_772:
	s_set_inst_prefetch_distance 0x2
	s_or_b32 exec_lo, exec_lo, s18
	v_cmp_gt_i64_e32 vcc_lo, s[8:9], v[63:64]
	s_mov_b32 s0, 0
	s_delay_alu instid0(SALU_CYCLE_1)
	v_mov_b32_e32 v136, s0
	v_cndmask_b32_e64 v135, 0, 1, vcc_lo
.LBB927_773:
	s_or_b32 exec_lo, exec_lo, s3
.LBB927_774:
	v_mul_lo_u32 v61, v38, s8
	v_mul_lo_u32 v62, v37, s9
	v_mad_u64_u32 v[59:60], null, v37, s8, 0
	v_mov_b32_e32 v139, 0
	v_mov_b32_e32 v140, 0
	v_cmp_ne_u32_e32 vcc_lo, 1, v65
	s_delay_alu instid0(VALU_DEP_2) | instskip(SKIP_1) | instid1(VALU_DEP_1)
	v_dual_mov_b32 v137, v139 :: v_dual_mov_b32 v138, v140
	v_add3_u32 v60, v60, v62, v61
	v_lshlrev_b64 v[59:60], 2, v[59:60]
	s_cbranch_vccnz .LBB927_783
; %bb.775:
	v_add_co_u32 v61, vcc_lo, s10, v57
	v_add_co_ci_u32_e32 v62, vcc_lo, s11, v58, vcc_lo
	s_delay_alu instid0(VALU_DEP_3) | instskip(NEXT) | instid1(VALU_DEP_4)
	v_add_co_u32 v57, vcc_lo, s10, v59
	v_add_co_ci_u32_e32 v58, vcc_lo, s11, v60, vcc_lo
	v_mov_b32_e32 v137, 1
	s_clause 0x1
	global_load_b32 v63, v[61:62], off
	global_load_b32 v64, v[57:58], off
	v_mov_b32_e32 v138, 0
	s_mov_b32 s3, exec_lo
	s_waitcnt vmcnt(0)
	v_cmpx_eq_f32_e32 v63, v64
	s_cbranch_execz .LBB927_782
; %bb.776:
	v_add_co_u32 v57, vcc_lo, v57, 4
	v_add_co_ci_u32_e32 v58, vcc_lo, 0, v58, vcc_lo
	v_add_co_u32 v61, vcc_lo, v61, 4
	v_add_co_ci_u32_e32 v62, vcc_lo, 0, v62, vcc_lo
	s_add_u32 s12, s8, -1
	s_addc_u32 s13, s9, -1
	s_mov_b64 s[14:15], 0
	s_mov_b32 s18, 0
                                        ; implicit-def: $sgpr19
	s_set_inst_prefetch_distance 0x1
	s_branch .LBB927_779
	.p2align	6
.LBB927_777:                            ;   in Loop: Header=BB927_779 Depth=1
	global_load_b32 v63, v[61:62], off
	global_load_b32 v64, v[57:58], off
	v_add_co_u32 v57, vcc_lo, v57, 4
	v_add_co_ci_u32_e32 v58, vcc_lo, 0, v58, vcc_lo
	v_add_co_u32 v61, s0, v61, 4
	s_delay_alu instid0(VALU_DEP_1)
	v_add_co_ci_u32_e64 v62, s0, 0, v62, s0
	s_add_u32 s14, s14, 1
	s_addc_u32 s15, s15, 0
	s_and_not1_b32 s0, s19, exec_lo
	s_waitcnt vmcnt(0)
	v_cmp_neq_f32_e32 vcc_lo, v63, v64
	s_and_b32 s19, vcc_lo, exec_lo
	s_delay_alu instid0(SALU_CYCLE_1)
	s_or_b32 s19, s0, s19
.LBB927_778:                            ;   in Loop: Header=BB927_779 Depth=1
	v_dual_mov_b32 v64, s15 :: v_dual_mov_b32 v63, s14
	s_and_b32 s0, exec_lo, s19
	s_delay_alu instid0(SALU_CYCLE_1) | instskip(NEXT) | instid1(SALU_CYCLE_1)
	s_or_b32 s18, s0, s18
	s_and_not1_b32 exec_lo, exec_lo, s18
	s_cbranch_execz .LBB927_781
.LBB927_779:                            ; =>This Inner Loop Header: Depth=1
	s_or_b32 s19, s19, exec_lo
	s_cmp_eq_u64 s[12:13], s[14:15]
	s_cbranch_scc0 .LBB927_777
; %bb.780:                              ;   in Loop: Header=BB927_779 Depth=1
	s_mov_b64 s[14:15], s[8:9]
                                        ; implicit-def: $vgpr57_vgpr58
                                        ; implicit-def: $vgpr61_vgpr62
	s_branch .LBB927_778
.LBB927_781:
	s_set_inst_prefetch_distance 0x2
	s_or_b32 exec_lo, exec_lo, s18
	v_cmp_gt_i64_e32 vcc_lo, s[8:9], v[63:64]
	s_mov_b32 s0, 0
	s_delay_alu instid0(SALU_CYCLE_1)
	v_mov_b32_e32 v138, s0
	v_cndmask_b32_e64 v137, 0, 1, vcc_lo
.LBB927_782:
	s_or_b32 exec_lo, exec_lo, s3
.LBB927_783:
	v_mul_lo_u32 v61, v36, s8
	v_mul_lo_u32 v62, v35, s9
	v_mad_u64_u32 v[57:58], null, v35, s8, 0
	v_cmp_ne_u32_e32 vcc_lo, 1, v65
	s_delay_alu instid0(VALU_DEP_2) | instskip(NEXT) | instid1(VALU_DEP_1)
	v_add3_u32 v58, v58, v62, v61
	v_lshlrev_b64 v[57:58], 2, v[57:58]
	s_cbranch_vccnz .LBB927_792
; %bb.784:
	v_add_co_u32 v61, vcc_lo, s10, v59
	v_add_co_ci_u32_e32 v62, vcc_lo, s11, v60, vcc_lo
	s_delay_alu instid0(VALU_DEP_3) | instskip(NEXT) | instid1(VALU_DEP_4)
	v_add_co_u32 v59, vcc_lo, s10, v57
	v_add_co_ci_u32_e32 v60, vcc_lo, s11, v58, vcc_lo
	v_mov_b32_e32 v139, 1
	s_clause 0x1
	global_load_b32 v63, v[61:62], off
	global_load_b32 v64, v[59:60], off
	v_mov_b32_e32 v140, 0
	s_mov_b32 s3, exec_lo
	s_waitcnt vmcnt(0)
	v_cmpx_eq_f32_e32 v63, v64
	s_cbranch_execz .LBB927_791
; %bb.785:
	v_add_co_u32 v59, vcc_lo, v59, 4
	v_add_co_ci_u32_e32 v60, vcc_lo, 0, v60, vcc_lo
	v_add_co_u32 v61, vcc_lo, v61, 4
	v_add_co_ci_u32_e32 v62, vcc_lo, 0, v62, vcc_lo
	s_add_u32 s12, s8, -1
	s_addc_u32 s13, s9, -1
	s_mov_b64 s[14:15], 0
	s_mov_b32 s18, 0
                                        ; implicit-def: $sgpr19
	s_set_inst_prefetch_distance 0x1
	s_branch .LBB927_788
	.p2align	6
.LBB927_786:                            ;   in Loop: Header=BB927_788 Depth=1
	global_load_b32 v63, v[61:62], off
	global_load_b32 v64, v[59:60], off
	v_add_co_u32 v59, vcc_lo, v59, 4
	v_add_co_ci_u32_e32 v60, vcc_lo, 0, v60, vcc_lo
	v_add_co_u32 v61, s0, v61, 4
	s_delay_alu instid0(VALU_DEP_1)
	v_add_co_ci_u32_e64 v62, s0, 0, v62, s0
	s_add_u32 s14, s14, 1
	s_addc_u32 s15, s15, 0
	s_and_not1_b32 s0, s19, exec_lo
	s_waitcnt vmcnt(0)
	v_cmp_neq_f32_e32 vcc_lo, v63, v64
	s_and_b32 s19, vcc_lo, exec_lo
	s_delay_alu instid0(SALU_CYCLE_1)
	s_or_b32 s19, s0, s19
.LBB927_787:                            ;   in Loop: Header=BB927_788 Depth=1
	v_dual_mov_b32 v64, s15 :: v_dual_mov_b32 v63, s14
	s_and_b32 s0, exec_lo, s19
	s_delay_alu instid0(SALU_CYCLE_1) | instskip(NEXT) | instid1(SALU_CYCLE_1)
	s_or_b32 s18, s0, s18
	s_and_not1_b32 exec_lo, exec_lo, s18
	s_cbranch_execz .LBB927_790
.LBB927_788:                            ; =>This Inner Loop Header: Depth=1
	s_or_b32 s19, s19, exec_lo
	s_cmp_eq_u64 s[12:13], s[14:15]
	s_cbranch_scc0 .LBB927_786
; %bb.789:                              ;   in Loop: Header=BB927_788 Depth=1
	s_mov_b64 s[14:15], s[8:9]
                                        ; implicit-def: $vgpr59_vgpr60
                                        ; implicit-def: $vgpr61_vgpr62
	s_branch .LBB927_787
.LBB927_790:
	s_set_inst_prefetch_distance 0x2
	s_or_b32 exec_lo, exec_lo, s18
	v_cmp_gt_i64_e32 vcc_lo, s[8:9], v[63:64]
	s_mov_b32 s0, 0
	s_delay_alu instid0(SALU_CYCLE_1)
	v_mov_b32_e32 v140, s0
	v_cndmask_b32_e64 v139, 0, 1, vcc_lo
.LBB927_791:
	s_or_b32 exec_lo, exec_lo, s3
.LBB927_792:
	v_mul_lo_u32 v61, v34, s8
	v_mul_lo_u32 v62, v33, s9
	v_mad_u64_u32 v[59:60], null, v33, s8, 0
	v_mov_b32_e32 v143, 0
	v_mov_b32_e32 v144, 0
	v_cmp_ne_u32_e32 vcc_lo, 1, v65
	s_delay_alu instid0(VALU_DEP_2) | instskip(SKIP_1) | instid1(VALU_DEP_1)
	v_dual_mov_b32 v141, v143 :: v_dual_mov_b32 v142, v144
	v_add3_u32 v60, v60, v62, v61
	v_lshlrev_b64 v[59:60], 2, v[59:60]
	s_cbranch_vccnz .LBB927_801
; %bb.793:
	v_add_co_u32 v61, vcc_lo, s10, v57
	v_add_co_ci_u32_e32 v62, vcc_lo, s11, v58, vcc_lo
	s_delay_alu instid0(VALU_DEP_3) | instskip(NEXT) | instid1(VALU_DEP_4)
	v_add_co_u32 v57, vcc_lo, s10, v59
	v_add_co_ci_u32_e32 v58, vcc_lo, s11, v60, vcc_lo
	v_mov_b32_e32 v141, 1
	s_clause 0x1
	global_load_b32 v63, v[61:62], off
	global_load_b32 v64, v[57:58], off
	v_mov_b32_e32 v142, 0
	s_mov_b32 s3, exec_lo
	s_waitcnt vmcnt(0)
	v_cmpx_eq_f32_e32 v63, v64
	s_cbranch_execz .LBB927_800
; %bb.794:
	v_add_co_u32 v57, vcc_lo, v57, 4
	v_add_co_ci_u32_e32 v58, vcc_lo, 0, v58, vcc_lo
	v_add_co_u32 v61, vcc_lo, v61, 4
	v_add_co_ci_u32_e32 v62, vcc_lo, 0, v62, vcc_lo
	s_add_u32 s12, s8, -1
	s_addc_u32 s13, s9, -1
	s_mov_b64 s[14:15], 0
	s_mov_b32 s18, 0
                                        ; implicit-def: $sgpr19
	s_set_inst_prefetch_distance 0x1
	s_branch .LBB927_797
	.p2align	6
.LBB927_795:                            ;   in Loop: Header=BB927_797 Depth=1
	global_load_b32 v63, v[61:62], off
	global_load_b32 v64, v[57:58], off
	v_add_co_u32 v57, vcc_lo, v57, 4
	v_add_co_ci_u32_e32 v58, vcc_lo, 0, v58, vcc_lo
	v_add_co_u32 v61, s0, v61, 4
	s_delay_alu instid0(VALU_DEP_1)
	v_add_co_ci_u32_e64 v62, s0, 0, v62, s0
	s_add_u32 s14, s14, 1
	s_addc_u32 s15, s15, 0
	s_and_not1_b32 s0, s19, exec_lo
	s_waitcnt vmcnt(0)
	v_cmp_neq_f32_e32 vcc_lo, v63, v64
	s_and_b32 s19, vcc_lo, exec_lo
	s_delay_alu instid0(SALU_CYCLE_1)
	s_or_b32 s19, s0, s19
.LBB927_796:                            ;   in Loop: Header=BB927_797 Depth=1
	v_dual_mov_b32 v64, s15 :: v_dual_mov_b32 v63, s14
	s_and_b32 s0, exec_lo, s19
	s_delay_alu instid0(SALU_CYCLE_1) | instskip(NEXT) | instid1(SALU_CYCLE_1)
	s_or_b32 s18, s0, s18
	s_and_not1_b32 exec_lo, exec_lo, s18
	s_cbranch_execz .LBB927_799
.LBB927_797:                            ; =>This Inner Loop Header: Depth=1
	s_or_b32 s19, s19, exec_lo
	s_cmp_eq_u64 s[12:13], s[14:15]
	s_cbranch_scc0 .LBB927_795
; %bb.798:                              ;   in Loop: Header=BB927_797 Depth=1
	s_mov_b64 s[14:15], s[8:9]
                                        ; implicit-def: $vgpr57_vgpr58
                                        ; implicit-def: $vgpr61_vgpr62
	s_branch .LBB927_796
.LBB927_799:
	s_set_inst_prefetch_distance 0x2
	s_or_b32 exec_lo, exec_lo, s18
	v_cmp_gt_i64_e32 vcc_lo, s[8:9], v[63:64]
	s_mov_b32 s0, 0
	s_delay_alu instid0(SALU_CYCLE_1)
	v_mov_b32_e32 v142, s0
	v_cndmask_b32_e64 v141, 0, 1, vcc_lo
.LBB927_800:
	s_or_b32 exec_lo, exec_lo, s3
.LBB927_801:
	v_mul_lo_u32 v61, v32, s8
	v_mul_lo_u32 v62, v31, s9
	v_mad_u64_u32 v[57:58], null, v31, s8, 0
	v_cmp_ne_u32_e32 vcc_lo, 1, v65
	s_delay_alu instid0(VALU_DEP_2) | instskip(NEXT) | instid1(VALU_DEP_1)
	v_add3_u32 v58, v58, v62, v61
	v_lshlrev_b64 v[57:58], 2, v[57:58]
	s_cbranch_vccnz .LBB927_810
; %bb.802:
	v_add_co_u32 v61, vcc_lo, s10, v59
	v_add_co_ci_u32_e32 v62, vcc_lo, s11, v60, vcc_lo
	s_delay_alu instid0(VALU_DEP_3) | instskip(NEXT) | instid1(VALU_DEP_4)
	v_add_co_u32 v59, vcc_lo, s10, v57
	v_add_co_ci_u32_e32 v60, vcc_lo, s11, v58, vcc_lo
	v_mov_b32_e32 v143, 1
	s_clause 0x1
	global_load_b32 v63, v[61:62], off
	global_load_b32 v64, v[59:60], off
	v_mov_b32_e32 v144, 0
	s_mov_b32 s3, exec_lo
	s_waitcnt vmcnt(0)
	v_cmpx_eq_f32_e32 v63, v64
	s_cbranch_execz .LBB927_809
; %bb.803:
	v_add_co_u32 v59, vcc_lo, v59, 4
	v_add_co_ci_u32_e32 v60, vcc_lo, 0, v60, vcc_lo
	v_add_co_u32 v61, vcc_lo, v61, 4
	v_add_co_ci_u32_e32 v62, vcc_lo, 0, v62, vcc_lo
	s_add_u32 s12, s8, -1
	s_addc_u32 s13, s9, -1
	s_mov_b64 s[14:15], 0
	s_mov_b32 s18, 0
                                        ; implicit-def: $sgpr19
	s_set_inst_prefetch_distance 0x1
	s_branch .LBB927_806
	.p2align	6
.LBB927_804:                            ;   in Loop: Header=BB927_806 Depth=1
	global_load_b32 v63, v[61:62], off
	global_load_b32 v64, v[59:60], off
	v_add_co_u32 v59, vcc_lo, v59, 4
	v_add_co_ci_u32_e32 v60, vcc_lo, 0, v60, vcc_lo
	v_add_co_u32 v61, s0, v61, 4
	s_delay_alu instid0(VALU_DEP_1)
	v_add_co_ci_u32_e64 v62, s0, 0, v62, s0
	s_add_u32 s14, s14, 1
	s_addc_u32 s15, s15, 0
	s_and_not1_b32 s0, s19, exec_lo
	s_waitcnt vmcnt(0)
	v_cmp_neq_f32_e32 vcc_lo, v63, v64
	s_and_b32 s19, vcc_lo, exec_lo
	s_delay_alu instid0(SALU_CYCLE_1)
	s_or_b32 s19, s0, s19
.LBB927_805:                            ;   in Loop: Header=BB927_806 Depth=1
	v_dual_mov_b32 v64, s15 :: v_dual_mov_b32 v63, s14
	s_and_b32 s0, exec_lo, s19
	s_delay_alu instid0(SALU_CYCLE_1) | instskip(NEXT) | instid1(SALU_CYCLE_1)
	s_or_b32 s18, s0, s18
	s_and_not1_b32 exec_lo, exec_lo, s18
	s_cbranch_execz .LBB927_808
.LBB927_806:                            ; =>This Inner Loop Header: Depth=1
	s_or_b32 s19, s19, exec_lo
	s_cmp_eq_u64 s[12:13], s[14:15]
	s_cbranch_scc0 .LBB927_804
; %bb.807:                              ;   in Loop: Header=BB927_806 Depth=1
	s_mov_b64 s[14:15], s[8:9]
                                        ; implicit-def: $vgpr59_vgpr60
                                        ; implicit-def: $vgpr61_vgpr62
	s_branch .LBB927_805
.LBB927_808:
	s_set_inst_prefetch_distance 0x2
	s_or_b32 exec_lo, exec_lo, s18
	v_cmp_gt_i64_e32 vcc_lo, s[8:9], v[63:64]
	s_mov_b32 s0, 0
	s_delay_alu instid0(SALU_CYCLE_1)
	v_mov_b32_e32 v144, s0
	v_cndmask_b32_e64 v143, 0, 1, vcc_lo
.LBB927_809:
	s_or_b32 exec_lo, exec_lo, s3
.LBB927_810:
	v_mul_lo_u32 v61, v30, s8
	v_mul_lo_u32 v62, v29, s9
	v_mad_u64_u32 v[59:60], null, v29, s8, 0
	v_mov_b32_e32 v147, 0
	v_mov_b32_e32 v148, 0
	v_cmp_ne_u32_e32 vcc_lo, 1, v65
	s_delay_alu instid0(VALU_DEP_2) | instskip(SKIP_1) | instid1(VALU_DEP_1)
	v_dual_mov_b32 v145, v147 :: v_dual_mov_b32 v146, v148
	v_add3_u32 v60, v60, v62, v61
	v_lshlrev_b64 v[59:60], 2, v[59:60]
	s_cbranch_vccnz .LBB927_819
; %bb.811:
	v_add_co_u32 v61, vcc_lo, s10, v57
	v_add_co_ci_u32_e32 v62, vcc_lo, s11, v58, vcc_lo
	s_delay_alu instid0(VALU_DEP_3) | instskip(NEXT) | instid1(VALU_DEP_4)
	v_add_co_u32 v57, vcc_lo, s10, v59
	v_add_co_ci_u32_e32 v58, vcc_lo, s11, v60, vcc_lo
	v_mov_b32_e32 v145, 1
	s_clause 0x1
	global_load_b32 v63, v[61:62], off
	global_load_b32 v64, v[57:58], off
	v_mov_b32_e32 v146, 0
	s_mov_b32 s3, exec_lo
	s_waitcnt vmcnt(0)
	v_cmpx_eq_f32_e32 v63, v64
	s_cbranch_execz .LBB927_818
; %bb.812:
	v_add_co_u32 v57, vcc_lo, v57, 4
	v_add_co_ci_u32_e32 v58, vcc_lo, 0, v58, vcc_lo
	v_add_co_u32 v61, vcc_lo, v61, 4
	v_add_co_ci_u32_e32 v62, vcc_lo, 0, v62, vcc_lo
	s_add_u32 s12, s8, -1
	s_addc_u32 s13, s9, -1
	s_mov_b64 s[14:15], 0
	s_mov_b32 s18, 0
                                        ; implicit-def: $sgpr19
	s_set_inst_prefetch_distance 0x1
	s_branch .LBB927_815
	.p2align	6
.LBB927_813:                            ;   in Loop: Header=BB927_815 Depth=1
	global_load_b32 v63, v[61:62], off
	global_load_b32 v64, v[57:58], off
	v_add_co_u32 v57, vcc_lo, v57, 4
	v_add_co_ci_u32_e32 v58, vcc_lo, 0, v58, vcc_lo
	v_add_co_u32 v61, s0, v61, 4
	s_delay_alu instid0(VALU_DEP_1)
	v_add_co_ci_u32_e64 v62, s0, 0, v62, s0
	s_add_u32 s14, s14, 1
	s_addc_u32 s15, s15, 0
	s_and_not1_b32 s0, s19, exec_lo
	s_waitcnt vmcnt(0)
	v_cmp_neq_f32_e32 vcc_lo, v63, v64
	s_and_b32 s19, vcc_lo, exec_lo
	s_delay_alu instid0(SALU_CYCLE_1)
	s_or_b32 s19, s0, s19
.LBB927_814:                            ;   in Loop: Header=BB927_815 Depth=1
	v_dual_mov_b32 v64, s15 :: v_dual_mov_b32 v63, s14
	s_and_b32 s0, exec_lo, s19
	s_delay_alu instid0(SALU_CYCLE_1) | instskip(NEXT) | instid1(SALU_CYCLE_1)
	s_or_b32 s18, s0, s18
	s_and_not1_b32 exec_lo, exec_lo, s18
	s_cbranch_execz .LBB927_817
.LBB927_815:                            ; =>This Inner Loop Header: Depth=1
	s_or_b32 s19, s19, exec_lo
	s_cmp_eq_u64 s[12:13], s[14:15]
	s_cbranch_scc0 .LBB927_813
; %bb.816:                              ;   in Loop: Header=BB927_815 Depth=1
	s_mov_b64 s[14:15], s[8:9]
                                        ; implicit-def: $vgpr57_vgpr58
                                        ; implicit-def: $vgpr61_vgpr62
	s_branch .LBB927_814
.LBB927_817:
	s_set_inst_prefetch_distance 0x2
	s_or_b32 exec_lo, exec_lo, s18
	v_cmp_gt_i64_e32 vcc_lo, s[8:9], v[63:64]
	s_mov_b32 s0, 0
	s_delay_alu instid0(SALU_CYCLE_1)
	v_mov_b32_e32 v146, s0
	v_cndmask_b32_e64 v145, 0, 1, vcc_lo
.LBB927_818:
	s_or_b32 exec_lo, exec_lo, s3
.LBB927_819:
	v_mul_lo_u32 v61, v28, s8
	v_mul_lo_u32 v62, v27, s9
	v_mad_u64_u32 v[57:58], null, v27, s8, 0
	v_cmp_ne_u32_e32 vcc_lo, 1, v65
	s_delay_alu instid0(VALU_DEP_2) | instskip(NEXT) | instid1(VALU_DEP_1)
	v_add3_u32 v58, v58, v62, v61
	v_lshlrev_b64 v[57:58], 2, v[57:58]
	s_cbranch_vccnz .LBB927_828
; %bb.820:
	v_add_co_u32 v61, vcc_lo, s10, v59
	v_add_co_ci_u32_e32 v62, vcc_lo, s11, v60, vcc_lo
	s_delay_alu instid0(VALU_DEP_3) | instskip(NEXT) | instid1(VALU_DEP_4)
	v_add_co_u32 v59, vcc_lo, s10, v57
	v_add_co_ci_u32_e32 v60, vcc_lo, s11, v58, vcc_lo
	v_mov_b32_e32 v147, 1
	s_clause 0x1
	global_load_b32 v63, v[61:62], off
	global_load_b32 v64, v[59:60], off
	v_mov_b32_e32 v148, 0
	s_mov_b32 s3, exec_lo
	s_waitcnt vmcnt(0)
	v_cmpx_eq_f32_e32 v63, v64
	s_cbranch_execz .LBB927_827
; %bb.821:
	v_add_co_u32 v59, vcc_lo, v59, 4
	v_add_co_ci_u32_e32 v60, vcc_lo, 0, v60, vcc_lo
	v_add_co_u32 v61, vcc_lo, v61, 4
	v_add_co_ci_u32_e32 v62, vcc_lo, 0, v62, vcc_lo
	s_add_u32 s12, s8, -1
	s_addc_u32 s13, s9, -1
	s_mov_b64 s[14:15], 0
	s_mov_b32 s18, 0
                                        ; implicit-def: $sgpr19
	s_set_inst_prefetch_distance 0x1
	s_branch .LBB927_824
	.p2align	6
.LBB927_822:                            ;   in Loop: Header=BB927_824 Depth=1
	global_load_b32 v63, v[61:62], off
	global_load_b32 v64, v[59:60], off
	v_add_co_u32 v59, vcc_lo, v59, 4
	v_add_co_ci_u32_e32 v60, vcc_lo, 0, v60, vcc_lo
	v_add_co_u32 v61, s0, v61, 4
	s_delay_alu instid0(VALU_DEP_1)
	v_add_co_ci_u32_e64 v62, s0, 0, v62, s0
	s_add_u32 s14, s14, 1
	s_addc_u32 s15, s15, 0
	s_and_not1_b32 s0, s19, exec_lo
	s_waitcnt vmcnt(0)
	v_cmp_neq_f32_e32 vcc_lo, v63, v64
	s_and_b32 s19, vcc_lo, exec_lo
	s_delay_alu instid0(SALU_CYCLE_1)
	s_or_b32 s19, s0, s19
.LBB927_823:                            ;   in Loop: Header=BB927_824 Depth=1
	v_dual_mov_b32 v64, s15 :: v_dual_mov_b32 v63, s14
	s_and_b32 s0, exec_lo, s19
	s_delay_alu instid0(SALU_CYCLE_1) | instskip(NEXT) | instid1(SALU_CYCLE_1)
	s_or_b32 s18, s0, s18
	s_and_not1_b32 exec_lo, exec_lo, s18
	s_cbranch_execz .LBB927_826
.LBB927_824:                            ; =>This Inner Loop Header: Depth=1
	s_or_b32 s19, s19, exec_lo
	s_cmp_eq_u64 s[12:13], s[14:15]
	s_cbranch_scc0 .LBB927_822
; %bb.825:                              ;   in Loop: Header=BB927_824 Depth=1
	s_mov_b64 s[14:15], s[8:9]
                                        ; implicit-def: $vgpr59_vgpr60
                                        ; implicit-def: $vgpr61_vgpr62
	s_branch .LBB927_823
.LBB927_826:
	s_set_inst_prefetch_distance 0x2
	s_or_b32 exec_lo, exec_lo, s18
	v_cmp_gt_i64_e32 vcc_lo, s[8:9], v[63:64]
	s_mov_b32 s0, 0
	s_delay_alu instid0(SALU_CYCLE_1)
	v_mov_b32_e32 v148, s0
	v_cndmask_b32_e64 v147, 0, 1, vcc_lo
.LBB927_827:
	s_or_b32 exec_lo, exec_lo, s3
.LBB927_828:
	v_mul_lo_u32 v61, v26, s8
	v_mul_lo_u32 v62, v25, s9
	v_mad_u64_u32 v[59:60], null, v25, s8, 0
	v_mov_b32_e32 v151, 0
	v_mov_b32_e32 v152, 0
	v_cmp_ne_u32_e32 vcc_lo, 1, v65
	s_delay_alu instid0(VALU_DEP_2) | instskip(SKIP_1) | instid1(VALU_DEP_1)
	v_dual_mov_b32 v149, v151 :: v_dual_mov_b32 v150, v152
	v_add3_u32 v60, v60, v62, v61
	v_lshlrev_b64 v[59:60], 2, v[59:60]
	s_cbranch_vccnz .LBB927_837
; %bb.829:
	v_add_co_u32 v61, vcc_lo, s10, v57
	v_add_co_ci_u32_e32 v62, vcc_lo, s11, v58, vcc_lo
	s_delay_alu instid0(VALU_DEP_3) | instskip(NEXT) | instid1(VALU_DEP_4)
	v_add_co_u32 v57, vcc_lo, s10, v59
	v_add_co_ci_u32_e32 v58, vcc_lo, s11, v60, vcc_lo
	v_mov_b32_e32 v149, 1
	s_clause 0x1
	global_load_b32 v63, v[61:62], off
	global_load_b32 v64, v[57:58], off
	v_mov_b32_e32 v150, 0
	s_mov_b32 s3, exec_lo
	s_waitcnt vmcnt(0)
	v_cmpx_eq_f32_e32 v63, v64
	s_cbranch_execz .LBB927_836
; %bb.830:
	v_add_co_u32 v57, vcc_lo, v57, 4
	v_add_co_ci_u32_e32 v58, vcc_lo, 0, v58, vcc_lo
	v_add_co_u32 v61, vcc_lo, v61, 4
	v_add_co_ci_u32_e32 v62, vcc_lo, 0, v62, vcc_lo
	s_add_u32 s12, s8, -1
	s_addc_u32 s13, s9, -1
	s_mov_b64 s[14:15], 0
	s_mov_b32 s18, 0
                                        ; implicit-def: $sgpr19
	s_set_inst_prefetch_distance 0x1
	s_branch .LBB927_833
	.p2align	6
.LBB927_831:                            ;   in Loop: Header=BB927_833 Depth=1
	global_load_b32 v63, v[61:62], off
	global_load_b32 v64, v[57:58], off
	v_add_co_u32 v57, vcc_lo, v57, 4
	v_add_co_ci_u32_e32 v58, vcc_lo, 0, v58, vcc_lo
	v_add_co_u32 v61, s0, v61, 4
	s_delay_alu instid0(VALU_DEP_1)
	v_add_co_ci_u32_e64 v62, s0, 0, v62, s0
	s_add_u32 s14, s14, 1
	s_addc_u32 s15, s15, 0
	s_and_not1_b32 s0, s19, exec_lo
	s_waitcnt vmcnt(0)
	v_cmp_neq_f32_e32 vcc_lo, v63, v64
	s_and_b32 s19, vcc_lo, exec_lo
	s_delay_alu instid0(SALU_CYCLE_1)
	s_or_b32 s19, s0, s19
.LBB927_832:                            ;   in Loop: Header=BB927_833 Depth=1
	v_dual_mov_b32 v64, s15 :: v_dual_mov_b32 v63, s14
	s_and_b32 s0, exec_lo, s19
	s_delay_alu instid0(SALU_CYCLE_1) | instskip(NEXT) | instid1(SALU_CYCLE_1)
	s_or_b32 s18, s0, s18
	s_and_not1_b32 exec_lo, exec_lo, s18
	s_cbranch_execz .LBB927_835
.LBB927_833:                            ; =>This Inner Loop Header: Depth=1
	s_or_b32 s19, s19, exec_lo
	s_cmp_eq_u64 s[12:13], s[14:15]
	s_cbranch_scc0 .LBB927_831
; %bb.834:                              ;   in Loop: Header=BB927_833 Depth=1
	s_mov_b64 s[14:15], s[8:9]
                                        ; implicit-def: $vgpr57_vgpr58
                                        ; implicit-def: $vgpr61_vgpr62
	s_branch .LBB927_832
.LBB927_835:
	s_set_inst_prefetch_distance 0x2
	s_or_b32 exec_lo, exec_lo, s18
	v_cmp_gt_i64_e32 vcc_lo, s[8:9], v[63:64]
	s_mov_b32 s0, 0
	s_delay_alu instid0(SALU_CYCLE_1)
	v_mov_b32_e32 v150, s0
	v_cndmask_b32_e64 v149, 0, 1, vcc_lo
.LBB927_836:
	s_or_b32 exec_lo, exec_lo, s3
.LBB927_837:
	v_mul_lo_u32 v61, v24, s8
	v_mul_lo_u32 v62, v23, s9
	v_mad_u64_u32 v[57:58], null, v23, s8, 0
	v_cmp_ne_u32_e32 vcc_lo, 1, v65
	s_delay_alu instid0(VALU_DEP_2) | instskip(NEXT) | instid1(VALU_DEP_1)
	v_add3_u32 v58, v58, v62, v61
	v_lshlrev_b64 v[57:58], 2, v[57:58]
	s_cbranch_vccnz .LBB927_846
; %bb.838:
	v_add_co_u32 v61, vcc_lo, s10, v59
	v_add_co_ci_u32_e32 v62, vcc_lo, s11, v60, vcc_lo
	s_delay_alu instid0(VALU_DEP_3) | instskip(NEXT) | instid1(VALU_DEP_4)
	v_add_co_u32 v59, vcc_lo, s10, v57
	v_add_co_ci_u32_e32 v60, vcc_lo, s11, v58, vcc_lo
	v_mov_b32_e32 v151, 1
	s_clause 0x1
	global_load_b32 v63, v[61:62], off
	global_load_b32 v64, v[59:60], off
	v_mov_b32_e32 v152, 0
	s_mov_b32 s3, exec_lo
	s_waitcnt vmcnt(0)
	v_cmpx_eq_f32_e32 v63, v64
	s_cbranch_execz .LBB927_845
; %bb.839:
	v_add_co_u32 v59, vcc_lo, v59, 4
	v_add_co_ci_u32_e32 v60, vcc_lo, 0, v60, vcc_lo
	v_add_co_u32 v61, vcc_lo, v61, 4
	v_add_co_ci_u32_e32 v62, vcc_lo, 0, v62, vcc_lo
	s_add_u32 s12, s8, -1
	s_addc_u32 s13, s9, -1
	s_mov_b64 s[14:15], 0
	s_mov_b32 s18, 0
                                        ; implicit-def: $sgpr19
	s_set_inst_prefetch_distance 0x1
	s_branch .LBB927_842
	.p2align	6
.LBB927_840:                            ;   in Loop: Header=BB927_842 Depth=1
	global_load_b32 v63, v[61:62], off
	global_load_b32 v64, v[59:60], off
	v_add_co_u32 v59, vcc_lo, v59, 4
	v_add_co_ci_u32_e32 v60, vcc_lo, 0, v60, vcc_lo
	v_add_co_u32 v61, s0, v61, 4
	s_delay_alu instid0(VALU_DEP_1)
	v_add_co_ci_u32_e64 v62, s0, 0, v62, s0
	s_add_u32 s14, s14, 1
	s_addc_u32 s15, s15, 0
	s_and_not1_b32 s0, s19, exec_lo
	s_waitcnt vmcnt(0)
	v_cmp_neq_f32_e32 vcc_lo, v63, v64
	s_and_b32 s19, vcc_lo, exec_lo
	s_delay_alu instid0(SALU_CYCLE_1)
	s_or_b32 s19, s0, s19
.LBB927_841:                            ;   in Loop: Header=BB927_842 Depth=1
	v_dual_mov_b32 v64, s15 :: v_dual_mov_b32 v63, s14
	s_and_b32 s0, exec_lo, s19
	s_delay_alu instid0(SALU_CYCLE_1) | instskip(NEXT) | instid1(SALU_CYCLE_1)
	s_or_b32 s18, s0, s18
	s_and_not1_b32 exec_lo, exec_lo, s18
	s_cbranch_execz .LBB927_844
.LBB927_842:                            ; =>This Inner Loop Header: Depth=1
	s_or_b32 s19, s19, exec_lo
	s_cmp_eq_u64 s[12:13], s[14:15]
	s_cbranch_scc0 .LBB927_840
; %bb.843:                              ;   in Loop: Header=BB927_842 Depth=1
	s_mov_b64 s[14:15], s[8:9]
                                        ; implicit-def: $vgpr59_vgpr60
                                        ; implicit-def: $vgpr61_vgpr62
	s_branch .LBB927_841
.LBB927_844:
	s_set_inst_prefetch_distance 0x2
	s_or_b32 exec_lo, exec_lo, s18
	v_cmp_gt_i64_e32 vcc_lo, s[8:9], v[63:64]
	s_mov_b32 s0, 0
	s_delay_alu instid0(SALU_CYCLE_1)
	v_mov_b32_e32 v152, s0
	v_cndmask_b32_e64 v151, 0, 1, vcc_lo
.LBB927_845:
	s_or_b32 exec_lo, exec_lo, s3
.LBB927_846:
	v_mul_lo_u32 v61, v22, s8
	v_mul_lo_u32 v62, v21, s9
	v_mad_u64_u32 v[59:60], null, v21, s8, 0
	v_mov_b32_e32 v155, 0
	v_mov_b32_e32 v156, 0
	v_cmp_ne_u32_e32 vcc_lo, 1, v65
	s_delay_alu instid0(VALU_DEP_2) | instskip(SKIP_1) | instid1(VALU_DEP_1)
	v_dual_mov_b32 v153, v155 :: v_dual_mov_b32 v154, v156
	v_add3_u32 v60, v60, v62, v61
	v_lshlrev_b64 v[59:60], 2, v[59:60]
	s_cbranch_vccnz .LBB927_855
; %bb.847:
	v_add_co_u32 v61, vcc_lo, s10, v57
	v_add_co_ci_u32_e32 v62, vcc_lo, s11, v58, vcc_lo
	s_delay_alu instid0(VALU_DEP_3) | instskip(NEXT) | instid1(VALU_DEP_4)
	v_add_co_u32 v57, vcc_lo, s10, v59
	v_add_co_ci_u32_e32 v58, vcc_lo, s11, v60, vcc_lo
	v_mov_b32_e32 v153, 1
	s_clause 0x1
	global_load_b32 v63, v[61:62], off
	global_load_b32 v64, v[57:58], off
	v_mov_b32_e32 v154, 0
	s_mov_b32 s3, exec_lo
	s_waitcnt vmcnt(0)
	v_cmpx_eq_f32_e32 v63, v64
	s_cbranch_execz .LBB927_854
; %bb.848:
	v_add_co_u32 v57, vcc_lo, v57, 4
	v_add_co_ci_u32_e32 v58, vcc_lo, 0, v58, vcc_lo
	v_add_co_u32 v61, vcc_lo, v61, 4
	v_add_co_ci_u32_e32 v62, vcc_lo, 0, v62, vcc_lo
	s_add_u32 s12, s8, -1
	s_addc_u32 s13, s9, -1
	s_mov_b64 s[14:15], 0
	s_mov_b32 s18, 0
                                        ; implicit-def: $sgpr19
	s_set_inst_prefetch_distance 0x1
	s_branch .LBB927_851
	.p2align	6
.LBB927_849:                            ;   in Loop: Header=BB927_851 Depth=1
	global_load_b32 v63, v[61:62], off
	global_load_b32 v64, v[57:58], off
	v_add_co_u32 v57, vcc_lo, v57, 4
	v_add_co_ci_u32_e32 v58, vcc_lo, 0, v58, vcc_lo
	v_add_co_u32 v61, s0, v61, 4
	s_delay_alu instid0(VALU_DEP_1)
	v_add_co_ci_u32_e64 v62, s0, 0, v62, s0
	s_add_u32 s14, s14, 1
	s_addc_u32 s15, s15, 0
	s_and_not1_b32 s0, s19, exec_lo
	s_waitcnt vmcnt(0)
	v_cmp_neq_f32_e32 vcc_lo, v63, v64
	s_and_b32 s19, vcc_lo, exec_lo
	s_delay_alu instid0(SALU_CYCLE_1)
	s_or_b32 s19, s0, s19
.LBB927_850:                            ;   in Loop: Header=BB927_851 Depth=1
	v_dual_mov_b32 v64, s15 :: v_dual_mov_b32 v63, s14
	s_and_b32 s0, exec_lo, s19
	s_delay_alu instid0(SALU_CYCLE_1) | instskip(NEXT) | instid1(SALU_CYCLE_1)
	s_or_b32 s18, s0, s18
	s_and_not1_b32 exec_lo, exec_lo, s18
	s_cbranch_execz .LBB927_853
.LBB927_851:                            ; =>This Inner Loop Header: Depth=1
	s_or_b32 s19, s19, exec_lo
	s_cmp_eq_u64 s[12:13], s[14:15]
	s_cbranch_scc0 .LBB927_849
; %bb.852:                              ;   in Loop: Header=BB927_851 Depth=1
	s_mov_b64 s[14:15], s[8:9]
                                        ; implicit-def: $vgpr57_vgpr58
                                        ; implicit-def: $vgpr61_vgpr62
	s_branch .LBB927_850
.LBB927_853:
	s_set_inst_prefetch_distance 0x2
	s_or_b32 exec_lo, exec_lo, s18
	v_cmp_gt_i64_e32 vcc_lo, s[8:9], v[63:64]
	s_mov_b32 s0, 0
	s_delay_alu instid0(SALU_CYCLE_1)
	v_mov_b32_e32 v154, s0
	v_cndmask_b32_e64 v153, 0, 1, vcc_lo
.LBB927_854:
	s_or_b32 exec_lo, exec_lo, s3
.LBB927_855:
	v_mul_lo_u32 v61, v20, s8
	v_mul_lo_u32 v62, v19, s9
	v_mad_u64_u32 v[57:58], null, v19, s8, 0
	v_cmp_ne_u32_e32 vcc_lo, 1, v65
	s_delay_alu instid0(VALU_DEP_2) | instskip(NEXT) | instid1(VALU_DEP_1)
	v_add3_u32 v58, v58, v62, v61
	v_lshlrev_b64 v[57:58], 2, v[57:58]
	s_cbranch_vccnz .LBB927_864
; %bb.856:
	v_add_co_u32 v61, vcc_lo, s10, v59
	v_add_co_ci_u32_e32 v62, vcc_lo, s11, v60, vcc_lo
	s_delay_alu instid0(VALU_DEP_3) | instskip(NEXT) | instid1(VALU_DEP_4)
	v_add_co_u32 v59, vcc_lo, s10, v57
	v_add_co_ci_u32_e32 v60, vcc_lo, s11, v58, vcc_lo
	v_mov_b32_e32 v155, 1
	s_clause 0x1
	global_load_b32 v63, v[61:62], off
	global_load_b32 v64, v[59:60], off
	v_mov_b32_e32 v156, 0
	s_mov_b32 s3, exec_lo
	s_waitcnt vmcnt(0)
	v_cmpx_eq_f32_e32 v63, v64
	s_cbranch_execz .LBB927_863
; %bb.857:
	v_add_co_u32 v59, vcc_lo, v59, 4
	v_add_co_ci_u32_e32 v60, vcc_lo, 0, v60, vcc_lo
	v_add_co_u32 v61, vcc_lo, v61, 4
	v_add_co_ci_u32_e32 v62, vcc_lo, 0, v62, vcc_lo
	s_add_u32 s12, s8, -1
	s_addc_u32 s13, s9, -1
	s_mov_b64 s[14:15], 0
	s_mov_b32 s18, 0
                                        ; implicit-def: $sgpr19
	s_set_inst_prefetch_distance 0x1
	s_branch .LBB927_860
	.p2align	6
.LBB927_858:                            ;   in Loop: Header=BB927_860 Depth=1
	global_load_b32 v63, v[61:62], off
	global_load_b32 v64, v[59:60], off
	v_add_co_u32 v59, vcc_lo, v59, 4
	v_add_co_ci_u32_e32 v60, vcc_lo, 0, v60, vcc_lo
	v_add_co_u32 v61, s0, v61, 4
	s_delay_alu instid0(VALU_DEP_1)
	v_add_co_ci_u32_e64 v62, s0, 0, v62, s0
	s_add_u32 s14, s14, 1
	s_addc_u32 s15, s15, 0
	s_and_not1_b32 s0, s19, exec_lo
	s_waitcnt vmcnt(0)
	v_cmp_neq_f32_e32 vcc_lo, v63, v64
	s_and_b32 s19, vcc_lo, exec_lo
	s_delay_alu instid0(SALU_CYCLE_1)
	s_or_b32 s19, s0, s19
.LBB927_859:                            ;   in Loop: Header=BB927_860 Depth=1
	v_dual_mov_b32 v64, s15 :: v_dual_mov_b32 v63, s14
	s_and_b32 s0, exec_lo, s19
	s_delay_alu instid0(SALU_CYCLE_1) | instskip(NEXT) | instid1(SALU_CYCLE_1)
	s_or_b32 s18, s0, s18
	s_and_not1_b32 exec_lo, exec_lo, s18
	s_cbranch_execz .LBB927_862
.LBB927_860:                            ; =>This Inner Loop Header: Depth=1
	s_or_b32 s19, s19, exec_lo
	s_cmp_eq_u64 s[12:13], s[14:15]
	s_cbranch_scc0 .LBB927_858
; %bb.861:                              ;   in Loop: Header=BB927_860 Depth=1
	s_mov_b64 s[14:15], s[8:9]
                                        ; implicit-def: $vgpr59_vgpr60
                                        ; implicit-def: $vgpr61_vgpr62
	s_branch .LBB927_859
.LBB927_862:
	s_set_inst_prefetch_distance 0x2
	s_or_b32 exec_lo, exec_lo, s18
	v_cmp_gt_i64_e32 vcc_lo, s[8:9], v[63:64]
	s_mov_b32 s0, 0
	s_delay_alu instid0(SALU_CYCLE_1)
	v_mov_b32_e32 v156, s0
	v_cndmask_b32_e64 v155, 0, 1, vcc_lo
.LBB927_863:
	s_or_b32 exec_lo, exec_lo, s3
.LBB927_864:
	v_mul_lo_u32 v61, v18, s8
	v_mul_lo_u32 v62, v17, s9
	v_mad_u64_u32 v[59:60], null, v17, s8, 0
	v_mov_b32_e32 v159, 0
	v_mov_b32_e32 v160, 0
	v_cmp_ne_u32_e32 vcc_lo, 1, v65
	s_delay_alu instid0(VALU_DEP_2) | instskip(SKIP_1) | instid1(VALU_DEP_1)
	v_dual_mov_b32 v157, v159 :: v_dual_mov_b32 v158, v160
	v_add3_u32 v60, v60, v62, v61
	v_lshlrev_b64 v[59:60], 2, v[59:60]
	s_cbranch_vccnz .LBB927_873
; %bb.865:
	v_add_co_u32 v61, vcc_lo, s10, v57
	v_add_co_ci_u32_e32 v62, vcc_lo, s11, v58, vcc_lo
	s_delay_alu instid0(VALU_DEP_3) | instskip(NEXT) | instid1(VALU_DEP_4)
	v_add_co_u32 v57, vcc_lo, s10, v59
	v_add_co_ci_u32_e32 v58, vcc_lo, s11, v60, vcc_lo
	v_mov_b32_e32 v157, 1
	s_clause 0x1
	global_load_b32 v63, v[61:62], off
	global_load_b32 v64, v[57:58], off
	v_mov_b32_e32 v158, 0
	s_mov_b32 s3, exec_lo
	s_waitcnt vmcnt(0)
	v_cmpx_eq_f32_e32 v63, v64
	s_cbranch_execz .LBB927_872
; %bb.866:
	v_add_co_u32 v57, vcc_lo, v57, 4
	v_add_co_ci_u32_e32 v58, vcc_lo, 0, v58, vcc_lo
	v_add_co_u32 v61, vcc_lo, v61, 4
	v_add_co_ci_u32_e32 v62, vcc_lo, 0, v62, vcc_lo
	s_add_u32 s12, s8, -1
	s_addc_u32 s13, s9, -1
	s_mov_b64 s[14:15], 0
	s_mov_b32 s18, 0
                                        ; implicit-def: $sgpr19
	s_set_inst_prefetch_distance 0x1
	s_branch .LBB927_869
	.p2align	6
.LBB927_867:                            ;   in Loop: Header=BB927_869 Depth=1
	global_load_b32 v63, v[61:62], off
	global_load_b32 v64, v[57:58], off
	v_add_co_u32 v57, vcc_lo, v57, 4
	v_add_co_ci_u32_e32 v58, vcc_lo, 0, v58, vcc_lo
	v_add_co_u32 v61, s0, v61, 4
	s_delay_alu instid0(VALU_DEP_1)
	v_add_co_ci_u32_e64 v62, s0, 0, v62, s0
	s_add_u32 s14, s14, 1
	s_addc_u32 s15, s15, 0
	s_and_not1_b32 s0, s19, exec_lo
	s_waitcnt vmcnt(0)
	v_cmp_neq_f32_e32 vcc_lo, v63, v64
	s_and_b32 s19, vcc_lo, exec_lo
	s_delay_alu instid0(SALU_CYCLE_1)
	s_or_b32 s19, s0, s19
.LBB927_868:                            ;   in Loop: Header=BB927_869 Depth=1
	v_dual_mov_b32 v64, s15 :: v_dual_mov_b32 v63, s14
	s_and_b32 s0, exec_lo, s19
	s_delay_alu instid0(SALU_CYCLE_1) | instskip(NEXT) | instid1(SALU_CYCLE_1)
	s_or_b32 s18, s0, s18
	s_and_not1_b32 exec_lo, exec_lo, s18
	s_cbranch_execz .LBB927_871
.LBB927_869:                            ; =>This Inner Loop Header: Depth=1
	s_or_b32 s19, s19, exec_lo
	s_cmp_eq_u64 s[12:13], s[14:15]
	s_cbranch_scc0 .LBB927_867
; %bb.870:                              ;   in Loop: Header=BB927_869 Depth=1
	s_mov_b64 s[14:15], s[8:9]
                                        ; implicit-def: $vgpr57_vgpr58
                                        ; implicit-def: $vgpr61_vgpr62
	s_branch .LBB927_868
.LBB927_871:
	s_set_inst_prefetch_distance 0x2
	s_or_b32 exec_lo, exec_lo, s18
	v_cmp_gt_i64_e32 vcc_lo, s[8:9], v[63:64]
	s_mov_b32 s0, 0
	s_delay_alu instid0(SALU_CYCLE_1)
	v_mov_b32_e32 v158, s0
	v_cndmask_b32_e64 v157, 0, 1, vcc_lo
.LBB927_872:
	s_or_b32 exec_lo, exec_lo, s3
.LBB927_873:
	v_mul_lo_u32 v61, v16, s8
	v_mul_lo_u32 v62, v15, s9
	v_mad_u64_u32 v[57:58], null, v15, s8, 0
	v_cmp_ne_u32_e32 vcc_lo, 1, v65
	s_delay_alu instid0(VALU_DEP_2) | instskip(NEXT) | instid1(VALU_DEP_1)
	v_add3_u32 v58, v58, v62, v61
	v_lshlrev_b64 v[57:58], 2, v[57:58]
	s_cbranch_vccnz .LBB927_882
; %bb.874:
	v_add_co_u32 v61, vcc_lo, s10, v59
	v_add_co_ci_u32_e32 v62, vcc_lo, s11, v60, vcc_lo
	s_delay_alu instid0(VALU_DEP_3) | instskip(NEXT) | instid1(VALU_DEP_4)
	v_add_co_u32 v59, vcc_lo, s10, v57
	v_add_co_ci_u32_e32 v60, vcc_lo, s11, v58, vcc_lo
	v_mov_b32_e32 v159, 1
	s_clause 0x1
	global_load_b32 v63, v[61:62], off
	global_load_b32 v64, v[59:60], off
	v_mov_b32_e32 v160, 0
	s_mov_b32 s3, exec_lo
	s_waitcnt vmcnt(0)
	v_cmpx_eq_f32_e32 v63, v64
	s_cbranch_execz .LBB927_881
; %bb.875:
	v_add_co_u32 v59, vcc_lo, v59, 4
	v_add_co_ci_u32_e32 v60, vcc_lo, 0, v60, vcc_lo
	v_add_co_u32 v61, vcc_lo, v61, 4
	v_add_co_ci_u32_e32 v62, vcc_lo, 0, v62, vcc_lo
	s_add_u32 s12, s8, -1
	s_addc_u32 s13, s9, -1
	s_mov_b64 s[14:15], 0
	s_mov_b32 s18, 0
                                        ; implicit-def: $sgpr19
	s_set_inst_prefetch_distance 0x1
	s_branch .LBB927_878
	.p2align	6
.LBB927_876:                            ;   in Loop: Header=BB927_878 Depth=1
	global_load_b32 v63, v[61:62], off
	global_load_b32 v64, v[59:60], off
	v_add_co_u32 v59, vcc_lo, v59, 4
	v_add_co_ci_u32_e32 v60, vcc_lo, 0, v60, vcc_lo
	v_add_co_u32 v61, s0, v61, 4
	s_delay_alu instid0(VALU_DEP_1)
	v_add_co_ci_u32_e64 v62, s0, 0, v62, s0
	s_add_u32 s14, s14, 1
	s_addc_u32 s15, s15, 0
	s_and_not1_b32 s0, s19, exec_lo
	s_waitcnt vmcnt(0)
	v_cmp_neq_f32_e32 vcc_lo, v63, v64
	s_and_b32 s19, vcc_lo, exec_lo
	s_delay_alu instid0(SALU_CYCLE_1)
	s_or_b32 s19, s0, s19
.LBB927_877:                            ;   in Loop: Header=BB927_878 Depth=1
	v_dual_mov_b32 v64, s15 :: v_dual_mov_b32 v63, s14
	s_and_b32 s0, exec_lo, s19
	s_delay_alu instid0(SALU_CYCLE_1) | instskip(NEXT) | instid1(SALU_CYCLE_1)
	s_or_b32 s18, s0, s18
	s_and_not1_b32 exec_lo, exec_lo, s18
	s_cbranch_execz .LBB927_880
.LBB927_878:                            ; =>This Inner Loop Header: Depth=1
	s_or_b32 s19, s19, exec_lo
	s_cmp_eq_u64 s[12:13], s[14:15]
	s_cbranch_scc0 .LBB927_876
; %bb.879:                              ;   in Loop: Header=BB927_878 Depth=1
	s_mov_b64 s[14:15], s[8:9]
                                        ; implicit-def: $vgpr59_vgpr60
                                        ; implicit-def: $vgpr61_vgpr62
	s_branch .LBB927_877
.LBB927_880:
	s_set_inst_prefetch_distance 0x2
	s_or_b32 exec_lo, exec_lo, s18
	v_cmp_gt_i64_e32 vcc_lo, s[8:9], v[63:64]
	s_mov_b32 s0, 0
	s_delay_alu instid0(SALU_CYCLE_1)
	v_mov_b32_e32 v160, s0
	v_cndmask_b32_e64 v159, 0, 1, vcc_lo
.LBB927_881:
	s_or_b32 exec_lo, exec_lo, s3
.LBB927_882:
	v_mul_lo_u32 v61, v14, s8
	v_mul_lo_u32 v62, v13, s9
	v_mad_u64_u32 v[59:60], null, v13, s8, 0
	v_mov_b32_e32 v163, 0
	v_mov_b32_e32 v164, 0
	v_cmp_ne_u32_e32 vcc_lo, 1, v65
	s_delay_alu instid0(VALU_DEP_2) | instskip(SKIP_1) | instid1(VALU_DEP_1)
	v_dual_mov_b32 v161, v163 :: v_dual_mov_b32 v162, v164
	v_add3_u32 v60, v60, v62, v61
	v_lshlrev_b64 v[59:60], 2, v[59:60]
	s_cbranch_vccnz .LBB927_891
; %bb.883:
	v_add_co_u32 v61, vcc_lo, s10, v57
	v_add_co_ci_u32_e32 v62, vcc_lo, s11, v58, vcc_lo
	s_delay_alu instid0(VALU_DEP_3) | instskip(NEXT) | instid1(VALU_DEP_4)
	v_add_co_u32 v57, vcc_lo, s10, v59
	v_add_co_ci_u32_e32 v58, vcc_lo, s11, v60, vcc_lo
	v_mov_b32_e32 v161, 1
	s_clause 0x1
	global_load_b32 v63, v[61:62], off
	global_load_b32 v64, v[57:58], off
	v_mov_b32_e32 v162, 0
	s_mov_b32 s3, exec_lo
	s_waitcnt vmcnt(0)
	v_cmpx_eq_f32_e32 v63, v64
	s_cbranch_execz .LBB927_890
; %bb.884:
	v_add_co_u32 v57, vcc_lo, v57, 4
	v_add_co_ci_u32_e32 v58, vcc_lo, 0, v58, vcc_lo
	v_add_co_u32 v61, vcc_lo, v61, 4
	v_add_co_ci_u32_e32 v62, vcc_lo, 0, v62, vcc_lo
	s_add_u32 s12, s8, -1
	s_addc_u32 s13, s9, -1
	s_mov_b64 s[14:15], 0
	s_mov_b32 s18, 0
                                        ; implicit-def: $sgpr19
	s_set_inst_prefetch_distance 0x1
	s_branch .LBB927_887
	.p2align	6
.LBB927_885:                            ;   in Loop: Header=BB927_887 Depth=1
	global_load_b32 v63, v[61:62], off
	global_load_b32 v64, v[57:58], off
	v_add_co_u32 v57, vcc_lo, v57, 4
	v_add_co_ci_u32_e32 v58, vcc_lo, 0, v58, vcc_lo
	v_add_co_u32 v61, s0, v61, 4
	s_delay_alu instid0(VALU_DEP_1)
	v_add_co_ci_u32_e64 v62, s0, 0, v62, s0
	s_add_u32 s14, s14, 1
	s_addc_u32 s15, s15, 0
	s_and_not1_b32 s0, s19, exec_lo
	s_waitcnt vmcnt(0)
	v_cmp_neq_f32_e32 vcc_lo, v63, v64
	s_and_b32 s19, vcc_lo, exec_lo
	s_delay_alu instid0(SALU_CYCLE_1)
	s_or_b32 s19, s0, s19
.LBB927_886:                            ;   in Loop: Header=BB927_887 Depth=1
	v_dual_mov_b32 v64, s15 :: v_dual_mov_b32 v63, s14
	s_and_b32 s0, exec_lo, s19
	s_delay_alu instid0(SALU_CYCLE_1) | instskip(NEXT) | instid1(SALU_CYCLE_1)
	s_or_b32 s18, s0, s18
	s_and_not1_b32 exec_lo, exec_lo, s18
	s_cbranch_execz .LBB927_889
.LBB927_887:                            ; =>This Inner Loop Header: Depth=1
	s_or_b32 s19, s19, exec_lo
	s_cmp_eq_u64 s[12:13], s[14:15]
	s_cbranch_scc0 .LBB927_885
; %bb.888:                              ;   in Loop: Header=BB927_887 Depth=1
	s_mov_b64 s[14:15], s[8:9]
                                        ; implicit-def: $vgpr57_vgpr58
                                        ; implicit-def: $vgpr61_vgpr62
	s_branch .LBB927_886
.LBB927_889:
	s_set_inst_prefetch_distance 0x2
	s_or_b32 exec_lo, exec_lo, s18
	v_cmp_gt_i64_e32 vcc_lo, s[8:9], v[63:64]
	s_mov_b32 s0, 0
	s_delay_alu instid0(SALU_CYCLE_1)
	v_mov_b32_e32 v162, s0
	v_cndmask_b32_e64 v161, 0, 1, vcc_lo
.LBB927_890:
	s_or_b32 exec_lo, exec_lo, s3
.LBB927_891:
	v_mul_lo_u32 v61, v4, s8
	v_mul_lo_u32 v62, v3, s9
	v_mad_u64_u32 v[57:58], null, v3, s8, 0
	v_cmp_ne_u32_e32 vcc_lo, 1, v65
	s_delay_alu instid0(VALU_DEP_2) | instskip(NEXT) | instid1(VALU_DEP_1)
	v_add3_u32 v58, v58, v62, v61
	v_lshlrev_b64 v[57:58], 2, v[57:58]
	s_cbranch_vccnz .LBB927_900
; %bb.892:
	v_add_co_u32 v61, vcc_lo, s10, v59
	v_add_co_ci_u32_e32 v62, vcc_lo, s11, v60, vcc_lo
	s_delay_alu instid0(VALU_DEP_3) | instskip(NEXT) | instid1(VALU_DEP_4)
	v_add_co_u32 v59, vcc_lo, s10, v57
	v_add_co_ci_u32_e32 v60, vcc_lo, s11, v58, vcc_lo
	v_mov_b32_e32 v163, 1
	s_clause 0x1
	global_load_b32 v63, v[61:62], off
	global_load_b32 v64, v[59:60], off
	v_mov_b32_e32 v164, 0
	s_mov_b32 s3, exec_lo
	s_waitcnt vmcnt(0)
	v_cmpx_eq_f32_e32 v63, v64
	s_cbranch_execz .LBB927_899
; %bb.893:
	v_add_co_u32 v59, vcc_lo, v59, 4
	v_add_co_ci_u32_e32 v60, vcc_lo, 0, v60, vcc_lo
	v_add_co_u32 v61, vcc_lo, v61, 4
	v_add_co_ci_u32_e32 v62, vcc_lo, 0, v62, vcc_lo
	s_add_u32 s12, s8, -1
	s_addc_u32 s13, s9, -1
	s_mov_b64 s[14:15], 0
	s_mov_b32 s18, 0
                                        ; implicit-def: $sgpr19
	s_set_inst_prefetch_distance 0x1
	s_branch .LBB927_896
	.p2align	6
.LBB927_894:                            ;   in Loop: Header=BB927_896 Depth=1
	global_load_b32 v63, v[61:62], off
	global_load_b32 v64, v[59:60], off
	v_add_co_u32 v59, vcc_lo, v59, 4
	v_add_co_ci_u32_e32 v60, vcc_lo, 0, v60, vcc_lo
	v_add_co_u32 v61, s0, v61, 4
	s_delay_alu instid0(VALU_DEP_1)
	v_add_co_ci_u32_e64 v62, s0, 0, v62, s0
	s_add_u32 s14, s14, 1
	s_addc_u32 s15, s15, 0
	s_and_not1_b32 s0, s19, exec_lo
	s_waitcnt vmcnt(0)
	v_cmp_neq_f32_e32 vcc_lo, v63, v64
	s_and_b32 s19, vcc_lo, exec_lo
	s_delay_alu instid0(SALU_CYCLE_1)
	s_or_b32 s19, s0, s19
.LBB927_895:                            ;   in Loop: Header=BB927_896 Depth=1
	v_dual_mov_b32 v64, s15 :: v_dual_mov_b32 v63, s14
	s_and_b32 s0, exec_lo, s19
	s_delay_alu instid0(SALU_CYCLE_1) | instskip(NEXT) | instid1(SALU_CYCLE_1)
	s_or_b32 s18, s0, s18
	s_and_not1_b32 exec_lo, exec_lo, s18
	s_cbranch_execz .LBB927_898
.LBB927_896:                            ; =>This Inner Loop Header: Depth=1
	s_or_b32 s19, s19, exec_lo
	s_cmp_eq_u64 s[12:13], s[14:15]
	s_cbranch_scc0 .LBB927_894
; %bb.897:                              ;   in Loop: Header=BB927_896 Depth=1
	s_mov_b64 s[14:15], s[8:9]
                                        ; implicit-def: $vgpr59_vgpr60
                                        ; implicit-def: $vgpr61_vgpr62
	s_branch .LBB927_895
.LBB927_898:
	s_set_inst_prefetch_distance 0x2
	s_or_b32 exec_lo, exec_lo, s18
	v_cmp_gt_i64_e32 vcc_lo, s[8:9], v[63:64]
	s_mov_b32 s0, 0
	s_delay_alu instid0(SALU_CYCLE_1)
	v_mov_b32_e32 v164, s0
	v_cndmask_b32_e64 v163, 0, 1, vcc_lo
.LBB927_899:
	s_or_b32 exec_lo, exec_lo, s3
.LBB927_900:
	v_cmp_ne_u32_e32 vcc_lo, 1, v65
	s_cbranch_vccnz .LBB927_907
; %bb.901:
	v_mul_lo_u32 v61, v2, s8
	v_mul_lo_u32 v62, v1, s9
	v_mad_u64_u32 v[59:60], null, v1, s8, 0
	v_mov_b32_e32 v165, 1
	v_mov_b32_e32 v166, 0
	s_mov_b32 s3, exec_lo
	s_delay_alu instid0(VALU_DEP_3) | instskip(NEXT) | instid1(VALU_DEP_1)
	v_add3_u32 v60, v60, v62, v61
	v_lshlrev_b64 v[61:62], 2, v[59:60]
	v_add_co_u32 v59, vcc_lo, s10, v57
	v_add_co_ci_u32_e32 v60, vcc_lo, s11, v58, vcc_lo
	s_delay_alu instid0(VALU_DEP_3) | instskip(NEXT) | instid1(VALU_DEP_4)
	v_add_co_u32 v57, vcc_lo, s10, v61
	v_add_co_ci_u32_e32 v58, vcc_lo, s11, v62, vcc_lo
	s_clause 0x1
	global_load_b32 v61, v[59:60], off
	global_load_b32 v62, v[57:58], off
	s_waitcnt vmcnt(0)
	v_cmpx_eq_f32_e32 v61, v62
	s_cbranch_execz .LBB927_909
; %bb.902:
	v_add_co_u32 v57, vcc_lo, v57, 4
	v_add_co_ci_u32_e32 v58, vcc_lo, 0, v58, vcc_lo
	v_add_co_u32 v59, vcc_lo, v59, 4
	v_add_co_ci_u32_e32 v60, vcc_lo, 0, v60, vcc_lo
	s_add_u32 s12, s8, -1
	s_addc_u32 s13, s9, -1
	s_mov_b64 s[14:15], 0
	s_mov_b32 s18, 0
                                        ; implicit-def: $sgpr19
	s_set_inst_prefetch_distance 0x1
	s_branch .LBB927_905
	.p2align	6
.LBB927_903:                            ;   in Loop: Header=BB927_905 Depth=1
	global_load_b32 v61, v[59:60], off
	global_load_b32 v62, v[57:58], off
	v_add_co_u32 v57, vcc_lo, v57, 4
	v_add_co_ci_u32_e32 v58, vcc_lo, 0, v58, vcc_lo
	v_add_co_u32 v59, s0, v59, 4
	s_delay_alu instid0(VALU_DEP_1)
	v_add_co_ci_u32_e64 v60, s0, 0, v60, s0
	s_add_u32 s14, s14, 1
	s_addc_u32 s15, s15, 0
	s_and_not1_b32 s0, s19, exec_lo
	s_waitcnt vmcnt(0)
	v_cmp_neq_f32_e32 vcc_lo, v61, v62
	s_and_b32 s19, vcc_lo, exec_lo
	s_delay_alu instid0(SALU_CYCLE_1)
	s_or_b32 s19, s0, s19
.LBB927_904:                            ;   in Loop: Header=BB927_905 Depth=1
	v_dual_mov_b32 v62, s15 :: v_dual_mov_b32 v61, s14
	s_and_b32 s0, exec_lo, s19
	s_delay_alu instid0(SALU_CYCLE_1) | instskip(NEXT) | instid1(SALU_CYCLE_1)
	s_or_b32 s18, s0, s18
	s_and_not1_b32 exec_lo, exec_lo, s18
	s_cbranch_execz .LBB927_908
.LBB927_905:                            ; =>This Inner Loop Header: Depth=1
	s_or_b32 s19, s19, exec_lo
	s_cmp_eq_u64 s[12:13], s[14:15]
	s_cbranch_scc0 .LBB927_903
; %bb.906:                              ;   in Loop: Header=BB927_905 Depth=1
	s_mov_b64 s[14:15], s[8:9]
                                        ; implicit-def: $vgpr57_vgpr58
                                        ; implicit-def: $vgpr59_vgpr60
	s_branch .LBB927_904
.LBB927_907:
	v_mov_b32_e32 v165, 0
	v_mov_b32_e32 v166, 0
	s_branch .LBB927_910
.LBB927_908:
	s_set_inst_prefetch_distance 0x2
	s_or_b32 exec_lo, exec_lo, s18
	v_cmp_gt_i64_e32 vcc_lo, s[8:9], v[61:62]
	s_mov_b32 s0, 0
	s_delay_alu instid0(SALU_CYCLE_1)
	v_mov_b32_e32 v166, s0
	v_cndmask_b32_e64 v165, 0, 1, vcc_lo
.LBB927_909:
	s_or_b32 exec_lo, exec_lo, s3
.LBB927_910:
	s_mov_b32 s3, 0
	s_mov_b32 s18, exec_lo
	s_waitcnt lgkmcnt(0)
	s_barrier
	buffer_gl0_inv
                                        ; implicit-def: $sgpr0
	v_cmpx_ne_u32_e32 0, v0
	s_cbranch_execz .LBB927_922
; %bb.911:
	v_cmp_ne_u32_e32 vcc_lo, 1, v65
	s_cbranch_vccnz .LBB927_918
; %bb.912:
	v_add_nc_u32_e32 v57, -8, v195
	v_mul_lo_u32 v63, v2, s8
	v_mul_lo_u32 v64, v1, s9
	v_mad_u64_u32 v[59:60], null, v1, s8, 0
	ds_load_b64 v[57:58], v57
	s_mov_b32 s0, -1
	s_mov_b32 s19, exec_lo
	v_add3_u32 v60, v60, v64, v63
	s_waitcnt lgkmcnt(0)
	v_mul_lo_u32 v58, v58, s8
	v_mul_lo_u32 v65, v57, s9
	v_mad_u64_u32 v[61:62], null, v57, s8, 0
	s_delay_alu instid0(VALU_DEP_1) | instskip(SKIP_1) | instid1(VALU_DEP_2)
	v_add3_u32 v62, v62, v65, v58
	v_lshlrev_b64 v[57:58], 2, v[59:60]
	v_lshlrev_b64 v[61:62], 2, v[61:62]
	s_delay_alu instid0(VALU_DEP_2) | instskip(NEXT) | instid1(VALU_DEP_3)
	v_add_co_u32 v59, vcc_lo, s10, v57
	v_add_co_ci_u32_e32 v60, vcc_lo, s11, v58, vcc_lo
	s_delay_alu instid0(VALU_DEP_3) | instskip(NEXT) | instid1(VALU_DEP_4)
	v_add_co_u32 v57, vcc_lo, s10, v61
	v_add_co_ci_u32_e32 v58, vcc_lo, s11, v62, vcc_lo
	s_clause 0x1
	global_load_b32 v61, v[59:60], off
	global_load_b32 v62, v[57:58], off
	s_waitcnt vmcnt(0)
	v_cmpx_eq_f32_e32 v61, v62
	s_cbranch_execz .LBB927_920
; %bb.913:
	v_add_co_u32 v57, vcc_lo, v57, 4
	v_add_co_ci_u32_e32 v58, vcc_lo, 0, v58, vcc_lo
	v_add_co_u32 v59, vcc_lo, v59, 4
	v_add_co_ci_u32_e32 v60, vcc_lo, 0, v60, vcc_lo
	s_add_u32 s12, s8, -1
	s_addc_u32 s13, s9, -1
	s_mov_b64 s[14:15], 0
	s_mov_b32 s20, 0
                                        ; implicit-def: $sgpr21
	s_set_inst_prefetch_distance 0x1
	s_branch .LBB927_916
	.p2align	6
.LBB927_914:                            ;   in Loop: Header=BB927_916 Depth=1
	global_load_b32 v61, v[59:60], off
	global_load_b32 v62, v[57:58], off
	v_add_co_u32 v57, vcc_lo, v57, 4
	v_add_co_ci_u32_e32 v58, vcc_lo, 0, v58, vcc_lo
	v_add_co_u32 v59, s0, v59, 4
	s_delay_alu instid0(VALU_DEP_1)
	v_add_co_ci_u32_e64 v60, s0, 0, v60, s0
	s_add_u32 s14, s14, 1
	s_addc_u32 s15, s15, 0
	s_and_not1_b32 s0, s21, exec_lo
	s_waitcnt vmcnt(0)
	v_cmp_neq_f32_e32 vcc_lo, v61, v62
	s_and_b32 s21, vcc_lo, exec_lo
	s_delay_alu instid0(SALU_CYCLE_1)
	s_or_b32 s21, s0, s21
.LBB927_915:                            ;   in Loop: Header=BB927_916 Depth=1
	v_dual_mov_b32 v62, s15 :: v_dual_mov_b32 v61, s14
	s_and_b32 s0, exec_lo, s21
	s_delay_alu instid0(SALU_CYCLE_1) | instskip(NEXT) | instid1(SALU_CYCLE_1)
	s_or_b32 s20, s0, s20
	s_and_not1_b32 exec_lo, exec_lo, s20
	s_cbranch_execz .LBB927_919
.LBB927_916:                            ; =>This Inner Loop Header: Depth=1
	s_or_b32 s21, s21, exec_lo
	s_cmp_eq_u64 s[12:13], s[14:15]
	s_cbranch_scc0 .LBB927_914
; %bb.917:                              ;   in Loop: Header=BB927_916 Depth=1
	s_mov_b64 s[14:15], s[8:9]
                                        ; implicit-def: $vgpr57_vgpr58
                                        ; implicit-def: $vgpr59_vgpr60
	s_branch .LBB927_915
.LBB927_918:
	s_mov_b32 s0, 0
	s_branch .LBB927_921
.LBB927_919:
	s_set_inst_prefetch_distance 0x2
	s_or_b32 exec_lo, exec_lo, s20
	v_cmp_gt_i64_e32 vcc_lo, s[8:9], v[61:62]
	s_or_not1_b32 s0, vcc_lo, exec_lo
.LBB927_920:
	s_or_b32 exec_lo, exec_lo, s19
.LBB927_921:
	s_delay_alu instid0(SALU_CYCLE_1)
	s_and_b32 s0, s0, exec_lo
	s_or_b32 s1, s1, exec_lo
.LBB927_922:
	s_or_b32 exec_lo, exec_lo, s18
	v_dual_mov_b32 v182, v166 :: v_dual_mov_b32 v181, v165
	v_dual_mov_b32 v168, v164 :: v_dual_mov_b32 v167, v163
	;; [unrolled: 1-line block ×27, first 2 shown]
	s_and_b32 vcc_lo, exec_lo, s3
	s_cbranch_vccz .LBB927_1243
.LBB927_923:
	v_cmp_gt_i64_e64 s0, s[8:9], 0
	s_waitcnt lgkmcnt(0)
	v_mad_u32_u24 v57, v0, 29, 28
	v_mul_u32_u24_e32 v64, 29, v0
	s_mov_b32 s3, exec_lo
	ds_store_b64 v195, v[109:110]
	v_cndmask_b32_e64 v63, 0, 1, s0
	v_cmpx_gt_u32_e64 s6, v57
	s_cbranch_execz .LBB927_934
; %bb.924:
	s_and_not1_b32 vcc_lo, exec_lo, s0
	s_cbranch_vccnz .LBB927_931
; %bb.925:
	v_mul_lo_u32 v61, v110, s8
	v_mul_lo_u32 v62, v109, s9
	v_mad_u64_u32 v[57:58], null, v109, s8, 0
	v_mul_lo_u32 v65, v8, s8
	v_mul_lo_u32 v66, v7, s9
	v_mad_u64_u32 v[59:60], null, v7, s8, 0
	v_mov_b32_e32 v109, 1
	v_mov_b32_e32 v110, 0
	v_add3_u32 v58, v58, v62, v61
	s_mov_b32 s18, exec_lo
	s_delay_alu instid0(VALU_DEP_4) | instskip(NEXT) | instid1(VALU_DEP_2)
	v_add3_u32 v60, v60, v66, v65
	v_lshlrev_b64 v[57:58], 2, v[57:58]
	s_delay_alu instid0(VALU_DEP_2) | instskip(NEXT) | instid1(VALU_DEP_2)
	v_lshlrev_b64 v[61:62], 2, v[59:60]
	v_add_co_u32 v59, vcc_lo, s10, v57
	s_delay_alu instid0(VALU_DEP_3) | instskip(NEXT) | instid1(VALU_DEP_3)
	v_add_co_ci_u32_e32 v60, vcc_lo, s11, v58, vcc_lo
	v_add_co_u32 v57, vcc_lo, s10, v61
	s_delay_alu instid0(VALU_DEP_4)
	v_add_co_ci_u32_e32 v58, vcc_lo, s11, v62, vcc_lo
	s_clause 0x1
	global_load_b32 v61, v[59:60], off
	global_load_b32 v62, v[57:58], off
	s_waitcnt vmcnt(0)
	v_cmpx_eq_f32_e32 v61, v62
	s_cbranch_execz .LBB927_933
; %bb.926:
	v_add_co_u32 v57, vcc_lo, v57, 4
	v_add_co_ci_u32_e32 v58, vcc_lo, 0, v58, vcc_lo
	v_add_co_u32 v59, vcc_lo, v59, 4
	v_add_co_ci_u32_e32 v60, vcc_lo, 0, v60, vcc_lo
	s_add_u32 s12, s8, -1
	s_addc_u32 s13, s9, -1
	s_mov_b64 s[14:15], 0
	s_mov_b32 s19, 0
                                        ; implicit-def: $sgpr20
	s_set_inst_prefetch_distance 0x1
	s_branch .LBB927_929
	.p2align	6
.LBB927_927:                            ;   in Loop: Header=BB927_929 Depth=1
	global_load_b32 v61, v[59:60], off
	global_load_b32 v62, v[57:58], off
	v_add_co_u32 v57, vcc_lo, v57, 4
	v_add_co_ci_u32_e32 v58, vcc_lo, 0, v58, vcc_lo
	v_add_co_u32 v59, s0, v59, 4
	s_delay_alu instid0(VALU_DEP_1)
	v_add_co_ci_u32_e64 v60, s0, 0, v60, s0
	s_add_u32 s14, s14, 1
	s_addc_u32 s15, s15, 0
	s_and_not1_b32 s0, s20, exec_lo
	s_waitcnt vmcnt(0)
	v_cmp_neq_f32_e32 vcc_lo, v61, v62
	s_and_b32 s20, vcc_lo, exec_lo
	s_delay_alu instid0(SALU_CYCLE_1)
	s_or_b32 s20, s0, s20
.LBB927_928:                            ;   in Loop: Header=BB927_929 Depth=1
	v_dual_mov_b32 v62, s15 :: v_dual_mov_b32 v61, s14
	s_and_b32 s0, exec_lo, s20
	s_delay_alu instid0(SALU_CYCLE_1) | instskip(NEXT) | instid1(SALU_CYCLE_1)
	s_or_b32 s19, s0, s19
	s_and_not1_b32 exec_lo, exec_lo, s19
	s_cbranch_execz .LBB927_932
.LBB927_929:                            ; =>This Inner Loop Header: Depth=1
	s_or_b32 s20, s20, exec_lo
	s_cmp_eq_u64 s[12:13], s[14:15]
	s_cbranch_scc0 .LBB927_927
; %bb.930:                              ;   in Loop: Header=BB927_929 Depth=1
	s_mov_b64 s[14:15], s[8:9]
                                        ; implicit-def: $vgpr57_vgpr58
                                        ; implicit-def: $vgpr59_vgpr60
	s_branch .LBB927_928
.LBB927_931:
	v_mov_b32_e32 v109, 0
	v_mov_b32_e32 v110, 0
	s_branch .LBB927_934
.LBB927_932:
	s_set_inst_prefetch_distance 0x2
	s_or_b32 exec_lo, exec_lo, s19
	v_cmp_gt_i64_e32 vcc_lo, s[8:9], v[61:62]
	s_mov_b32 s0, 0
	s_delay_alu instid0(SALU_CYCLE_1)
	v_mov_b32_e32 v110, s0
	v_cndmask_b32_e64 v109, 0, 1, vcc_lo
.LBB927_933:
	s_or_b32 exec_lo, exec_lo, s18
.LBB927_934:
	s_delay_alu instid0(SALU_CYCLE_1) | instskip(SKIP_2) | instid1(VALU_DEP_1)
	s_or_b32 exec_lo, exec_lo, s3
	v_add_nc_u32_e32 v57, 27, v64
	s_mov_b32 s3, exec_lo
	v_cmpx_gt_u32_e64 s6, v57
	s_cbranch_execz .LBB927_945
; %bb.935:
	v_cmp_ne_u32_e32 vcc_lo, 1, v63
	s_cbranch_vccnz .LBB927_942
; %bb.936:
	v_mul_lo_u32 v59, v8, s8
	v_mul_lo_u32 v60, v7, s9
	v_mad_u64_u32 v[57:58], null, v7, s8, 0
	v_mul_lo_u32 v61, v6, s8
	v_mul_lo_u32 v62, v5, s9
	v_mad_u64_u32 v[7:8], null, v5, s8, 0
	s_mov_b32 s18, exec_lo
	s_delay_alu instid0(VALU_DEP_4) | instskip(NEXT) | instid1(VALU_DEP_2)
	v_add3_u32 v58, v58, v60, v59
	v_add3_u32 v8, v8, v62, v61
	s_delay_alu instid0(VALU_DEP_2) | instskip(NEXT) | instid1(VALU_DEP_2)
	v_lshlrev_b64 v[57:58], 2, v[57:58]
	v_lshlrev_b64 v[7:8], 2, v[7:8]
	s_delay_alu instid0(VALU_DEP_2) | instskip(NEXT) | instid1(VALU_DEP_3)
	v_add_co_u32 v57, vcc_lo, s10, v57
	v_add_co_ci_u32_e32 v58, vcc_lo, s11, v58, vcc_lo
	s_delay_alu instid0(VALU_DEP_3) | instskip(NEXT) | instid1(VALU_DEP_4)
	v_add_co_u32 v59, vcc_lo, s10, v7
	v_add_co_ci_u32_e32 v60, vcc_lo, s11, v8, vcc_lo
	s_clause 0x1
	global_load_b32 v61, v[57:58], off
	global_load_b32 v62, v[59:60], off
	v_mov_b32_e32 v7, 1
	v_mov_b32_e32 v8, 0
	s_waitcnt vmcnt(0)
	v_cmpx_eq_f32_e32 v61, v62
	s_cbranch_execz .LBB927_944
; %bb.937:
	v_add_co_u32 v7, vcc_lo, v59, 4
	v_add_co_ci_u32_e32 v8, vcc_lo, 0, v60, vcc_lo
	v_add_co_u32 v57, vcc_lo, v57, 4
	v_add_co_ci_u32_e32 v58, vcc_lo, 0, v58, vcc_lo
	s_add_u32 s12, s8, -1
	s_addc_u32 s13, s9, -1
	s_mov_b64 s[14:15], 0
	s_mov_b32 s19, 0
                                        ; implicit-def: $sgpr20
	s_set_inst_prefetch_distance 0x1
	s_branch .LBB927_940
	.p2align	6
.LBB927_938:                            ;   in Loop: Header=BB927_940 Depth=1
	global_load_b32 v59, v[57:58], off
	global_load_b32 v60, v[7:8], off
	v_add_co_u32 v7, vcc_lo, v7, 4
	v_add_co_ci_u32_e32 v8, vcc_lo, 0, v8, vcc_lo
	v_add_co_u32 v57, s0, v57, 4
	s_delay_alu instid0(VALU_DEP_1)
	v_add_co_ci_u32_e64 v58, s0, 0, v58, s0
	s_add_u32 s14, s14, 1
	s_addc_u32 s15, s15, 0
	s_and_not1_b32 s0, s20, exec_lo
	s_waitcnt vmcnt(0)
	v_cmp_neq_f32_e32 vcc_lo, v59, v60
	s_and_b32 s20, vcc_lo, exec_lo
	s_delay_alu instid0(SALU_CYCLE_1)
	s_or_b32 s20, s0, s20
.LBB927_939:                            ;   in Loop: Header=BB927_940 Depth=1
	v_dual_mov_b32 v60, s15 :: v_dual_mov_b32 v59, s14
	s_and_b32 s0, exec_lo, s20
	s_delay_alu instid0(SALU_CYCLE_1) | instskip(NEXT) | instid1(SALU_CYCLE_1)
	s_or_b32 s19, s0, s19
	s_and_not1_b32 exec_lo, exec_lo, s19
	s_cbranch_execz .LBB927_943
.LBB927_940:                            ; =>This Inner Loop Header: Depth=1
	s_or_b32 s20, s20, exec_lo
	s_cmp_eq_u64 s[12:13], s[14:15]
	s_cbranch_scc0 .LBB927_938
; %bb.941:                              ;   in Loop: Header=BB927_940 Depth=1
	s_mov_b64 s[14:15], s[8:9]
                                        ; implicit-def: $vgpr7_vgpr8
                                        ; implicit-def: $vgpr57_vgpr58
	s_branch .LBB927_939
.LBB927_942:
	v_mov_b32_e32 v7, 0
	v_mov_b32_e32 v8, 0
	s_branch .LBB927_945
.LBB927_943:
	s_set_inst_prefetch_distance 0x2
	s_or_b32 exec_lo, exec_lo, s19
	v_cmp_gt_i64_e32 vcc_lo, s[8:9], v[59:60]
	s_mov_b32 s0, 0
	s_delay_alu instid0(SALU_CYCLE_1)
	v_mov_b32_e32 v8, s0
	v_cndmask_b32_e64 v7, 0, 1, vcc_lo
.LBB927_944:
	s_or_b32 exec_lo, exec_lo, s18
.LBB927_945:
	s_delay_alu instid0(SALU_CYCLE_1) | instskip(SKIP_2) | instid1(VALU_DEP_1)
	s_or_b32 exec_lo, exec_lo, s3
	v_add_nc_u32_e32 v57, 26, v64
	s_mov_b32 s3, exec_lo
	v_cmpx_gt_u32_e64 s6, v57
	s_cbranch_execz .LBB927_956
; %bb.946:
	v_cmp_ne_u32_e32 vcc_lo, 1, v63
	s_cbranch_vccnz .LBB927_953
; %bb.947:
	v_mul_lo_u32 v59, v6, s8
	v_mul_lo_u32 v60, v5, s9
	v_mad_u64_u32 v[57:58], null, v5, s8, 0
	v_mul_lo_u32 v61, v12, s8
	v_mul_lo_u32 v62, v11, s9
	v_mad_u64_u32 v[5:6], null, v11, s8, 0
	s_mov_b32 s18, exec_lo
	s_delay_alu instid0(VALU_DEP_4) | instskip(NEXT) | instid1(VALU_DEP_2)
	v_add3_u32 v58, v58, v60, v59
	v_add3_u32 v6, v6, v62, v61
	s_delay_alu instid0(VALU_DEP_2) | instskip(NEXT) | instid1(VALU_DEP_2)
	v_lshlrev_b64 v[57:58], 2, v[57:58]
	v_lshlrev_b64 v[5:6], 2, v[5:6]
	s_delay_alu instid0(VALU_DEP_2) | instskip(NEXT) | instid1(VALU_DEP_3)
	v_add_co_u32 v57, vcc_lo, s10, v57
	v_add_co_ci_u32_e32 v58, vcc_lo, s11, v58, vcc_lo
	s_delay_alu instid0(VALU_DEP_3) | instskip(NEXT) | instid1(VALU_DEP_4)
	v_add_co_u32 v59, vcc_lo, s10, v5
	v_add_co_ci_u32_e32 v60, vcc_lo, s11, v6, vcc_lo
	s_clause 0x1
	global_load_b32 v61, v[57:58], off
	global_load_b32 v62, v[59:60], off
	v_mov_b32_e32 v5, 1
	v_mov_b32_e32 v6, 0
	s_waitcnt vmcnt(0)
	v_cmpx_eq_f32_e32 v61, v62
	s_cbranch_execz .LBB927_955
; %bb.948:
	v_add_co_u32 v5, vcc_lo, v59, 4
	v_add_co_ci_u32_e32 v6, vcc_lo, 0, v60, vcc_lo
	v_add_co_u32 v57, vcc_lo, v57, 4
	v_add_co_ci_u32_e32 v58, vcc_lo, 0, v58, vcc_lo
	s_add_u32 s12, s8, -1
	s_addc_u32 s13, s9, -1
	s_mov_b64 s[14:15], 0
	s_mov_b32 s19, 0
                                        ; implicit-def: $sgpr20
	s_set_inst_prefetch_distance 0x1
	s_branch .LBB927_951
	.p2align	6
.LBB927_949:                            ;   in Loop: Header=BB927_951 Depth=1
	global_load_b32 v59, v[57:58], off
	global_load_b32 v60, v[5:6], off
	v_add_co_u32 v5, vcc_lo, v5, 4
	v_add_co_ci_u32_e32 v6, vcc_lo, 0, v6, vcc_lo
	v_add_co_u32 v57, s0, v57, 4
	s_delay_alu instid0(VALU_DEP_1)
	v_add_co_ci_u32_e64 v58, s0, 0, v58, s0
	s_add_u32 s14, s14, 1
	s_addc_u32 s15, s15, 0
	s_and_not1_b32 s0, s20, exec_lo
	s_waitcnt vmcnt(0)
	v_cmp_neq_f32_e32 vcc_lo, v59, v60
	s_and_b32 s20, vcc_lo, exec_lo
	s_delay_alu instid0(SALU_CYCLE_1)
	s_or_b32 s20, s0, s20
.LBB927_950:                            ;   in Loop: Header=BB927_951 Depth=1
	v_dual_mov_b32 v60, s15 :: v_dual_mov_b32 v59, s14
	s_and_b32 s0, exec_lo, s20
	s_delay_alu instid0(SALU_CYCLE_1) | instskip(NEXT) | instid1(SALU_CYCLE_1)
	s_or_b32 s19, s0, s19
	s_and_not1_b32 exec_lo, exec_lo, s19
	s_cbranch_execz .LBB927_954
.LBB927_951:                            ; =>This Inner Loop Header: Depth=1
	s_or_b32 s20, s20, exec_lo
	s_cmp_eq_u64 s[12:13], s[14:15]
	s_cbranch_scc0 .LBB927_949
; %bb.952:                              ;   in Loop: Header=BB927_951 Depth=1
	s_mov_b64 s[14:15], s[8:9]
                                        ; implicit-def: $vgpr5_vgpr6
                                        ; implicit-def: $vgpr57_vgpr58
	s_branch .LBB927_950
.LBB927_953:
	v_mov_b32_e32 v5, 0
	v_mov_b32_e32 v6, 0
	s_branch .LBB927_956
.LBB927_954:
	s_set_inst_prefetch_distance 0x2
	s_or_b32 exec_lo, exec_lo, s19
	v_cmp_gt_i64_e32 vcc_lo, s[8:9], v[59:60]
	s_mov_b32 s0, 0
	s_delay_alu instid0(SALU_CYCLE_1)
	v_mov_b32_e32 v6, s0
	v_cndmask_b32_e64 v5, 0, 1, vcc_lo
.LBB927_955:
	s_or_b32 exec_lo, exec_lo, s18
.LBB927_956:
	s_delay_alu instid0(SALU_CYCLE_1) | instskip(SKIP_2) | instid1(VALU_DEP_1)
	s_or_b32 exec_lo, exec_lo, s3
	v_add_nc_u32_e32 v57, 25, v64
	s_mov_b32 s3, exec_lo
	v_cmpx_gt_u32_e64 s6, v57
	s_cbranch_execz .LBB927_967
; %bb.957:
	v_cmp_ne_u32_e32 vcc_lo, 1, v63
	s_cbranch_vccnz .LBB927_964
; %bb.958:
	v_mul_lo_u32 v59, v12, s8
	v_mul_lo_u32 v60, v11, s9
	v_mad_u64_u32 v[57:58], null, v11, s8, 0
	v_mul_lo_u32 v61, v10, s8
	v_mul_lo_u32 v62, v9, s9
	v_mad_u64_u32 v[11:12], null, v9, s8, 0
	s_mov_b32 s18, exec_lo
	s_delay_alu instid0(VALU_DEP_4) | instskip(NEXT) | instid1(VALU_DEP_2)
	v_add3_u32 v58, v58, v60, v59
	v_add3_u32 v12, v12, v62, v61
	s_delay_alu instid0(VALU_DEP_2) | instskip(NEXT) | instid1(VALU_DEP_2)
	v_lshlrev_b64 v[57:58], 2, v[57:58]
	v_lshlrev_b64 v[11:12], 2, v[11:12]
	s_delay_alu instid0(VALU_DEP_2) | instskip(NEXT) | instid1(VALU_DEP_3)
	v_add_co_u32 v57, vcc_lo, s10, v57
	v_add_co_ci_u32_e32 v58, vcc_lo, s11, v58, vcc_lo
	s_delay_alu instid0(VALU_DEP_3) | instskip(NEXT) | instid1(VALU_DEP_4)
	v_add_co_u32 v59, vcc_lo, s10, v11
	v_add_co_ci_u32_e32 v60, vcc_lo, s11, v12, vcc_lo
	s_clause 0x1
	global_load_b32 v61, v[57:58], off
	global_load_b32 v62, v[59:60], off
	v_mov_b32_e32 v11, 1
	v_mov_b32_e32 v12, 0
	s_waitcnt vmcnt(0)
	v_cmpx_eq_f32_e32 v61, v62
	s_cbranch_execz .LBB927_966
; %bb.959:
	v_add_co_u32 v11, vcc_lo, v59, 4
	v_add_co_ci_u32_e32 v12, vcc_lo, 0, v60, vcc_lo
	v_add_co_u32 v57, vcc_lo, v57, 4
	v_add_co_ci_u32_e32 v58, vcc_lo, 0, v58, vcc_lo
	s_add_u32 s12, s8, -1
	s_addc_u32 s13, s9, -1
	s_mov_b64 s[14:15], 0
	s_mov_b32 s19, 0
                                        ; implicit-def: $sgpr20
	s_set_inst_prefetch_distance 0x1
	s_branch .LBB927_962
	.p2align	6
.LBB927_960:                            ;   in Loop: Header=BB927_962 Depth=1
	global_load_b32 v59, v[57:58], off
	global_load_b32 v60, v[11:12], off
	v_add_co_u32 v11, vcc_lo, v11, 4
	v_add_co_ci_u32_e32 v12, vcc_lo, 0, v12, vcc_lo
	v_add_co_u32 v57, s0, v57, 4
	s_delay_alu instid0(VALU_DEP_1)
	v_add_co_ci_u32_e64 v58, s0, 0, v58, s0
	s_add_u32 s14, s14, 1
	s_addc_u32 s15, s15, 0
	s_and_not1_b32 s0, s20, exec_lo
	s_waitcnt vmcnt(0)
	v_cmp_neq_f32_e32 vcc_lo, v59, v60
	s_and_b32 s20, vcc_lo, exec_lo
	s_delay_alu instid0(SALU_CYCLE_1)
	s_or_b32 s20, s0, s20
.LBB927_961:                            ;   in Loop: Header=BB927_962 Depth=1
	v_dual_mov_b32 v60, s15 :: v_dual_mov_b32 v59, s14
	s_and_b32 s0, exec_lo, s20
	s_delay_alu instid0(SALU_CYCLE_1) | instskip(NEXT) | instid1(SALU_CYCLE_1)
	s_or_b32 s19, s0, s19
	s_and_not1_b32 exec_lo, exec_lo, s19
	s_cbranch_execz .LBB927_965
.LBB927_962:                            ; =>This Inner Loop Header: Depth=1
	s_or_b32 s20, s20, exec_lo
	s_cmp_eq_u64 s[12:13], s[14:15]
	s_cbranch_scc0 .LBB927_960
; %bb.963:                              ;   in Loop: Header=BB927_962 Depth=1
	s_mov_b64 s[14:15], s[8:9]
                                        ; implicit-def: $vgpr11_vgpr12
                                        ; implicit-def: $vgpr57_vgpr58
	s_branch .LBB927_961
.LBB927_964:
	v_mov_b32_e32 v11, 0
	v_mov_b32_e32 v12, 0
	s_branch .LBB927_967
.LBB927_965:
	s_set_inst_prefetch_distance 0x2
	s_or_b32 exec_lo, exec_lo, s19
	v_cmp_gt_i64_e32 vcc_lo, s[8:9], v[59:60]
	s_mov_b32 s0, 0
	s_delay_alu instid0(SALU_CYCLE_1)
	v_mov_b32_e32 v12, s0
	v_cndmask_b32_e64 v11, 0, 1, vcc_lo
.LBB927_966:
	s_or_b32 exec_lo, exec_lo, s18
.LBB927_967:
	s_delay_alu instid0(SALU_CYCLE_1) | instskip(SKIP_2) | instid1(VALU_DEP_1)
	s_or_b32 exec_lo, exec_lo, s3
	v_add_nc_u32_e32 v57, 24, v64
	s_mov_b32 s3, exec_lo
	v_cmpx_gt_u32_e64 s6, v57
	s_cbranch_execz .LBB927_978
; %bb.968:
	v_cmp_ne_u32_e32 vcc_lo, 1, v63
	s_cbranch_vccnz .LBB927_975
; %bb.969:
	v_mul_lo_u32 v59, v10, s8
	v_mul_lo_u32 v60, v9, s9
	v_mad_u64_u32 v[57:58], null, v9, s8, 0
	v_mul_lo_u32 v61, v56, s8
	v_mul_lo_u32 v62, v55, s9
	v_mad_u64_u32 v[9:10], null, v55, s8, 0
	s_mov_b32 s18, exec_lo
	s_delay_alu instid0(VALU_DEP_4) | instskip(NEXT) | instid1(VALU_DEP_2)
	v_add3_u32 v58, v58, v60, v59
	v_add3_u32 v10, v10, v62, v61
	s_delay_alu instid0(VALU_DEP_2) | instskip(NEXT) | instid1(VALU_DEP_2)
	v_lshlrev_b64 v[57:58], 2, v[57:58]
	v_lshlrev_b64 v[9:10], 2, v[9:10]
	s_delay_alu instid0(VALU_DEP_2) | instskip(NEXT) | instid1(VALU_DEP_3)
	v_add_co_u32 v57, vcc_lo, s10, v57
	v_add_co_ci_u32_e32 v58, vcc_lo, s11, v58, vcc_lo
	s_delay_alu instid0(VALU_DEP_3) | instskip(NEXT) | instid1(VALU_DEP_4)
	v_add_co_u32 v59, vcc_lo, s10, v9
	v_add_co_ci_u32_e32 v60, vcc_lo, s11, v10, vcc_lo
	s_clause 0x1
	global_load_b32 v61, v[57:58], off
	global_load_b32 v62, v[59:60], off
	v_mov_b32_e32 v9, 1
	v_mov_b32_e32 v10, 0
	s_waitcnt vmcnt(0)
	v_cmpx_eq_f32_e32 v61, v62
	s_cbranch_execz .LBB927_977
; %bb.970:
	v_add_co_u32 v9, vcc_lo, v59, 4
	v_add_co_ci_u32_e32 v10, vcc_lo, 0, v60, vcc_lo
	v_add_co_u32 v57, vcc_lo, v57, 4
	v_add_co_ci_u32_e32 v58, vcc_lo, 0, v58, vcc_lo
	s_add_u32 s12, s8, -1
	s_addc_u32 s13, s9, -1
	s_mov_b64 s[14:15], 0
	s_mov_b32 s19, 0
                                        ; implicit-def: $sgpr20
	s_set_inst_prefetch_distance 0x1
	s_branch .LBB927_973
	.p2align	6
.LBB927_971:                            ;   in Loop: Header=BB927_973 Depth=1
	global_load_b32 v59, v[57:58], off
	global_load_b32 v60, v[9:10], off
	v_add_co_u32 v9, vcc_lo, v9, 4
	v_add_co_ci_u32_e32 v10, vcc_lo, 0, v10, vcc_lo
	v_add_co_u32 v57, s0, v57, 4
	s_delay_alu instid0(VALU_DEP_1)
	v_add_co_ci_u32_e64 v58, s0, 0, v58, s0
	s_add_u32 s14, s14, 1
	s_addc_u32 s15, s15, 0
	s_and_not1_b32 s0, s20, exec_lo
	s_waitcnt vmcnt(0)
	v_cmp_neq_f32_e32 vcc_lo, v59, v60
	s_and_b32 s20, vcc_lo, exec_lo
	s_delay_alu instid0(SALU_CYCLE_1)
	s_or_b32 s20, s0, s20
.LBB927_972:                            ;   in Loop: Header=BB927_973 Depth=1
	v_dual_mov_b32 v60, s15 :: v_dual_mov_b32 v59, s14
	s_and_b32 s0, exec_lo, s20
	s_delay_alu instid0(SALU_CYCLE_1) | instskip(NEXT) | instid1(SALU_CYCLE_1)
	s_or_b32 s19, s0, s19
	s_and_not1_b32 exec_lo, exec_lo, s19
	s_cbranch_execz .LBB927_976
.LBB927_973:                            ; =>This Inner Loop Header: Depth=1
	s_or_b32 s20, s20, exec_lo
	s_cmp_eq_u64 s[12:13], s[14:15]
	s_cbranch_scc0 .LBB927_971
; %bb.974:                              ;   in Loop: Header=BB927_973 Depth=1
	s_mov_b64 s[14:15], s[8:9]
                                        ; implicit-def: $vgpr9_vgpr10
                                        ; implicit-def: $vgpr57_vgpr58
	s_branch .LBB927_972
.LBB927_975:
	v_mov_b32_e32 v9, 0
	v_mov_b32_e32 v10, 0
	s_branch .LBB927_978
.LBB927_976:
	s_set_inst_prefetch_distance 0x2
	s_or_b32 exec_lo, exec_lo, s19
	v_cmp_gt_i64_e32 vcc_lo, s[8:9], v[59:60]
	s_mov_b32 s0, 0
	s_delay_alu instid0(SALU_CYCLE_1)
	v_mov_b32_e32 v10, s0
	v_cndmask_b32_e64 v9, 0, 1, vcc_lo
.LBB927_977:
	s_or_b32 exec_lo, exec_lo, s18
.LBB927_978:
	s_delay_alu instid0(SALU_CYCLE_1) | instskip(SKIP_2) | instid1(VALU_DEP_1)
	s_or_b32 exec_lo, exec_lo, s3
	v_add_nc_u32_e32 v57, 23, v64
	s_mov_b32 s3, exec_lo
	v_cmpx_gt_u32_e64 s6, v57
	s_cbranch_execz .LBB927_989
; %bb.979:
	v_cmp_ne_u32_e32 vcc_lo, 1, v63
	s_cbranch_vccnz .LBB927_986
; %bb.980:
	v_mul_lo_u32 v60, v56, s8
	v_mul_lo_u32 v61, v55, s9
	v_mad_u64_u32 v[56:57], null, v55, s8, 0
	v_mul_lo_u32 v55, v54, s8
	v_mul_lo_u32 v62, v53, s9
	v_mad_u64_u32 v[58:59], null, v53, s8, 0
	s_mov_b32 s18, exec_lo
	s_delay_alu instid0(VALU_DEP_4) | instskip(NEXT) | instid1(VALU_DEP_2)
	v_add3_u32 v57, v57, v61, v60
	v_add3_u32 v59, v59, v62, v55
	s_delay_alu instid0(VALU_DEP_2) | instskip(NEXT) | instid1(VALU_DEP_2)
	v_lshlrev_b64 v[55:56], 2, v[56:57]
	v_lshlrev_b64 v[59:60], 2, v[58:59]
	s_delay_alu instid0(VALU_DEP_2) | instskip(NEXT) | instid1(VALU_DEP_3)
	v_add_co_u32 v57, vcc_lo, s10, v55
	v_add_co_ci_u32_e32 v58, vcc_lo, s11, v56, vcc_lo
	s_delay_alu instid0(VALU_DEP_3) | instskip(NEXT) | instid1(VALU_DEP_4)
	v_add_co_u32 v59, vcc_lo, s10, v59
	v_add_co_ci_u32_e32 v60, vcc_lo, s11, v60, vcc_lo
	s_clause 0x1
	global_load_b32 v61, v[57:58], off
	global_load_b32 v62, v[59:60], off
	v_mov_b32_e32 v55, 1
	v_mov_b32_e32 v56, 0
	s_waitcnt vmcnt(0)
	v_cmpx_eq_f32_e32 v61, v62
	s_cbranch_execz .LBB927_988
; %bb.981:
	v_add_co_u32 v55, vcc_lo, v59, 4
	v_add_co_ci_u32_e32 v56, vcc_lo, 0, v60, vcc_lo
	v_add_co_u32 v57, vcc_lo, v57, 4
	v_add_co_ci_u32_e32 v58, vcc_lo, 0, v58, vcc_lo
	s_add_u32 s12, s8, -1
	s_addc_u32 s13, s9, -1
	s_mov_b64 s[14:15], 0
	s_mov_b32 s19, 0
                                        ; implicit-def: $sgpr20
	s_set_inst_prefetch_distance 0x1
	s_branch .LBB927_984
	.p2align	6
.LBB927_982:                            ;   in Loop: Header=BB927_984 Depth=1
	global_load_b32 v59, v[57:58], off
	global_load_b32 v60, v[55:56], off
	v_add_co_u32 v55, vcc_lo, v55, 4
	v_add_co_ci_u32_e32 v56, vcc_lo, 0, v56, vcc_lo
	v_add_co_u32 v57, s0, v57, 4
	s_delay_alu instid0(VALU_DEP_1)
	v_add_co_ci_u32_e64 v58, s0, 0, v58, s0
	s_add_u32 s14, s14, 1
	s_addc_u32 s15, s15, 0
	s_and_not1_b32 s0, s20, exec_lo
	s_waitcnt vmcnt(0)
	v_cmp_neq_f32_e32 vcc_lo, v59, v60
	s_and_b32 s20, vcc_lo, exec_lo
	s_delay_alu instid0(SALU_CYCLE_1)
	s_or_b32 s20, s0, s20
.LBB927_983:                            ;   in Loop: Header=BB927_984 Depth=1
	v_dual_mov_b32 v60, s15 :: v_dual_mov_b32 v59, s14
	s_and_b32 s0, exec_lo, s20
	s_delay_alu instid0(SALU_CYCLE_1) | instskip(NEXT) | instid1(SALU_CYCLE_1)
	s_or_b32 s19, s0, s19
	s_and_not1_b32 exec_lo, exec_lo, s19
	s_cbranch_execz .LBB927_987
.LBB927_984:                            ; =>This Inner Loop Header: Depth=1
	s_or_b32 s20, s20, exec_lo
	s_cmp_eq_u64 s[12:13], s[14:15]
	s_cbranch_scc0 .LBB927_982
; %bb.985:                              ;   in Loop: Header=BB927_984 Depth=1
	s_mov_b64 s[14:15], s[8:9]
                                        ; implicit-def: $vgpr55_vgpr56
                                        ; implicit-def: $vgpr57_vgpr58
	s_branch .LBB927_983
.LBB927_986:
	v_mov_b32_e32 v55, 0
	v_mov_b32_e32 v56, 0
	s_branch .LBB927_989
.LBB927_987:
	s_set_inst_prefetch_distance 0x2
	s_or_b32 exec_lo, exec_lo, s19
	v_cmp_gt_i64_e32 vcc_lo, s[8:9], v[59:60]
	s_mov_b32 s0, 0
	s_delay_alu instid0(SALU_CYCLE_1)
	v_mov_b32_e32 v56, s0
	v_cndmask_b32_e64 v55, 0, 1, vcc_lo
.LBB927_988:
	s_or_b32 exec_lo, exec_lo, s18
.LBB927_989:
	s_delay_alu instid0(SALU_CYCLE_1) | instskip(SKIP_2) | instid1(VALU_DEP_1)
	s_or_b32 exec_lo, exec_lo, s3
	v_add_nc_u32_e32 v57, 22, v64
	s_mov_b32 s3, exec_lo
	v_cmpx_gt_u32_e64 s6, v57
	s_cbranch_execz .LBB927_1000
; %bb.990:
	v_cmp_ne_u32_e32 vcc_lo, 1, v63
	s_cbranch_vccnz .LBB927_997
; %bb.991:
	v_mul_lo_u32 v59, v54, s8
	v_mul_lo_u32 v60, v53, s9
	v_mad_u64_u32 v[57:58], null, v53, s8, 0
	v_mul_lo_u32 v61, v52, s8
	v_mul_lo_u32 v62, v51, s9
	v_mad_u64_u32 v[53:54], null, v51, s8, 0
	s_mov_b32 s18, exec_lo
	s_delay_alu instid0(VALU_DEP_4) | instskip(NEXT) | instid1(VALU_DEP_2)
	v_add3_u32 v58, v58, v60, v59
	v_add3_u32 v54, v54, v62, v61
	s_delay_alu instid0(VALU_DEP_2) | instskip(NEXT) | instid1(VALU_DEP_2)
	v_lshlrev_b64 v[57:58], 2, v[57:58]
	v_lshlrev_b64 v[53:54], 2, v[53:54]
	s_delay_alu instid0(VALU_DEP_2) | instskip(NEXT) | instid1(VALU_DEP_3)
	v_add_co_u32 v57, vcc_lo, s10, v57
	v_add_co_ci_u32_e32 v58, vcc_lo, s11, v58, vcc_lo
	s_delay_alu instid0(VALU_DEP_3) | instskip(NEXT) | instid1(VALU_DEP_4)
	v_add_co_u32 v59, vcc_lo, s10, v53
	v_add_co_ci_u32_e32 v60, vcc_lo, s11, v54, vcc_lo
	s_clause 0x1
	global_load_b32 v61, v[57:58], off
	global_load_b32 v62, v[59:60], off
	v_mov_b32_e32 v53, 1
	v_mov_b32_e32 v54, 0
	s_waitcnt vmcnt(0)
	v_cmpx_eq_f32_e32 v61, v62
	s_cbranch_execz .LBB927_999
; %bb.992:
	v_add_co_u32 v53, vcc_lo, v59, 4
	v_add_co_ci_u32_e32 v54, vcc_lo, 0, v60, vcc_lo
	v_add_co_u32 v57, vcc_lo, v57, 4
	v_add_co_ci_u32_e32 v58, vcc_lo, 0, v58, vcc_lo
	s_add_u32 s12, s8, -1
	s_addc_u32 s13, s9, -1
	s_mov_b64 s[14:15], 0
	s_mov_b32 s19, 0
                                        ; implicit-def: $sgpr20
	s_set_inst_prefetch_distance 0x1
	s_branch .LBB927_995
	.p2align	6
.LBB927_993:                            ;   in Loop: Header=BB927_995 Depth=1
	global_load_b32 v59, v[57:58], off
	global_load_b32 v60, v[53:54], off
	v_add_co_u32 v53, vcc_lo, v53, 4
	v_add_co_ci_u32_e32 v54, vcc_lo, 0, v54, vcc_lo
	v_add_co_u32 v57, s0, v57, 4
	s_delay_alu instid0(VALU_DEP_1)
	v_add_co_ci_u32_e64 v58, s0, 0, v58, s0
	s_add_u32 s14, s14, 1
	s_addc_u32 s15, s15, 0
	s_and_not1_b32 s0, s20, exec_lo
	s_waitcnt vmcnt(0)
	v_cmp_neq_f32_e32 vcc_lo, v59, v60
	s_and_b32 s20, vcc_lo, exec_lo
	s_delay_alu instid0(SALU_CYCLE_1)
	s_or_b32 s20, s0, s20
.LBB927_994:                            ;   in Loop: Header=BB927_995 Depth=1
	v_dual_mov_b32 v60, s15 :: v_dual_mov_b32 v59, s14
	s_and_b32 s0, exec_lo, s20
	s_delay_alu instid0(SALU_CYCLE_1) | instskip(NEXT) | instid1(SALU_CYCLE_1)
	s_or_b32 s19, s0, s19
	s_and_not1_b32 exec_lo, exec_lo, s19
	s_cbranch_execz .LBB927_998
.LBB927_995:                            ; =>This Inner Loop Header: Depth=1
	s_or_b32 s20, s20, exec_lo
	s_cmp_eq_u64 s[12:13], s[14:15]
	s_cbranch_scc0 .LBB927_993
; %bb.996:                              ;   in Loop: Header=BB927_995 Depth=1
	s_mov_b64 s[14:15], s[8:9]
                                        ; implicit-def: $vgpr53_vgpr54
                                        ; implicit-def: $vgpr57_vgpr58
	s_branch .LBB927_994
.LBB927_997:
	v_mov_b32_e32 v53, 0
	v_mov_b32_e32 v54, 0
	s_branch .LBB927_1000
.LBB927_998:
	s_set_inst_prefetch_distance 0x2
	s_or_b32 exec_lo, exec_lo, s19
	v_cmp_gt_i64_e32 vcc_lo, s[8:9], v[59:60]
	s_mov_b32 s0, 0
	s_delay_alu instid0(SALU_CYCLE_1)
	v_mov_b32_e32 v54, s0
	v_cndmask_b32_e64 v53, 0, 1, vcc_lo
.LBB927_999:
	s_or_b32 exec_lo, exec_lo, s18
.LBB927_1000:
	s_delay_alu instid0(SALU_CYCLE_1) | instskip(SKIP_2) | instid1(VALU_DEP_1)
	s_or_b32 exec_lo, exec_lo, s3
	v_add_nc_u32_e32 v57, 21, v64
	s_mov_b32 s3, exec_lo
	v_cmpx_gt_u32_e64 s6, v57
	s_cbranch_execz .LBB927_1011
; %bb.1001:
	v_cmp_ne_u32_e32 vcc_lo, 1, v63
	s_cbranch_vccnz .LBB927_1008
; %bb.1002:
	v_mul_lo_u32 v59, v52, s8
	v_mul_lo_u32 v60, v51, s9
	v_mad_u64_u32 v[57:58], null, v51, s8, 0
	v_mul_lo_u32 v61, v50, s8
	v_mul_lo_u32 v62, v49, s9
	v_mad_u64_u32 v[51:52], null, v49, s8, 0
	s_mov_b32 s18, exec_lo
	s_delay_alu instid0(VALU_DEP_4) | instskip(NEXT) | instid1(VALU_DEP_2)
	v_add3_u32 v58, v58, v60, v59
	v_add3_u32 v52, v52, v62, v61
	s_delay_alu instid0(VALU_DEP_2) | instskip(NEXT) | instid1(VALU_DEP_2)
	v_lshlrev_b64 v[57:58], 2, v[57:58]
	v_lshlrev_b64 v[51:52], 2, v[51:52]
	s_delay_alu instid0(VALU_DEP_2) | instskip(NEXT) | instid1(VALU_DEP_3)
	v_add_co_u32 v57, vcc_lo, s10, v57
	v_add_co_ci_u32_e32 v58, vcc_lo, s11, v58, vcc_lo
	s_delay_alu instid0(VALU_DEP_3) | instskip(NEXT) | instid1(VALU_DEP_4)
	v_add_co_u32 v59, vcc_lo, s10, v51
	v_add_co_ci_u32_e32 v60, vcc_lo, s11, v52, vcc_lo
	s_clause 0x1
	global_load_b32 v61, v[57:58], off
	global_load_b32 v62, v[59:60], off
	v_mov_b32_e32 v51, 1
	v_mov_b32_e32 v52, 0
	s_waitcnt vmcnt(0)
	v_cmpx_eq_f32_e32 v61, v62
	s_cbranch_execz .LBB927_1010
; %bb.1003:
	v_add_co_u32 v51, vcc_lo, v59, 4
	v_add_co_ci_u32_e32 v52, vcc_lo, 0, v60, vcc_lo
	v_add_co_u32 v57, vcc_lo, v57, 4
	v_add_co_ci_u32_e32 v58, vcc_lo, 0, v58, vcc_lo
	s_add_u32 s12, s8, -1
	s_addc_u32 s13, s9, -1
	s_mov_b64 s[14:15], 0
	s_mov_b32 s19, 0
                                        ; implicit-def: $sgpr20
	s_set_inst_prefetch_distance 0x1
	s_branch .LBB927_1006
	.p2align	6
.LBB927_1004:                           ;   in Loop: Header=BB927_1006 Depth=1
	global_load_b32 v59, v[57:58], off
	global_load_b32 v60, v[51:52], off
	v_add_co_u32 v51, vcc_lo, v51, 4
	v_add_co_ci_u32_e32 v52, vcc_lo, 0, v52, vcc_lo
	v_add_co_u32 v57, s0, v57, 4
	s_delay_alu instid0(VALU_DEP_1)
	v_add_co_ci_u32_e64 v58, s0, 0, v58, s0
	s_add_u32 s14, s14, 1
	s_addc_u32 s15, s15, 0
	s_and_not1_b32 s0, s20, exec_lo
	s_waitcnt vmcnt(0)
	v_cmp_neq_f32_e32 vcc_lo, v59, v60
	s_and_b32 s20, vcc_lo, exec_lo
	s_delay_alu instid0(SALU_CYCLE_1)
	s_or_b32 s20, s0, s20
.LBB927_1005:                           ;   in Loop: Header=BB927_1006 Depth=1
	v_dual_mov_b32 v60, s15 :: v_dual_mov_b32 v59, s14
	s_and_b32 s0, exec_lo, s20
	s_delay_alu instid0(SALU_CYCLE_1) | instskip(NEXT) | instid1(SALU_CYCLE_1)
	s_or_b32 s19, s0, s19
	s_and_not1_b32 exec_lo, exec_lo, s19
	s_cbranch_execz .LBB927_1009
.LBB927_1006:                           ; =>This Inner Loop Header: Depth=1
	s_or_b32 s20, s20, exec_lo
	s_cmp_eq_u64 s[12:13], s[14:15]
	s_cbranch_scc0 .LBB927_1004
; %bb.1007:                             ;   in Loop: Header=BB927_1006 Depth=1
	s_mov_b64 s[14:15], s[8:9]
                                        ; implicit-def: $vgpr51_vgpr52
                                        ; implicit-def: $vgpr57_vgpr58
	s_branch .LBB927_1005
.LBB927_1008:
	v_mov_b32_e32 v51, 0
	v_mov_b32_e32 v52, 0
	s_branch .LBB927_1011
.LBB927_1009:
	s_set_inst_prefetch_distance 0x2
	s_or_b32 exec_lo, exec_lo, s19
	v_cmp_gt_i64_e32 vcc_lo, s[8:9], v[59:60]
	s_mov_b32 s0, 0
	s_delay_alu instid0(SALU_CYCLE_1)
	v_mov_b32_e32 v52, s0
	v_cndmask_b32_e64 v51, 0, 1, vcc_lo
.LBB927_1010:
	s_or_b32 exec_lo, exec_lo, s18
.LBB927_1011:
	s_delay_alu instid0(SALU_CYCLE_1) | instskip(SKIP_2) | instid1(VALU_DEP_1)
	s_or_b32 exec_lo, exec_lo, s3
	v_add_nc_u32_e32 v57, 20, v64
	s_mov_b32 s3, exec_lo
	v_cmpx_gt_u32_e64 s6, v57
	s_cbranch_execz .LBB927_1022
; %bb.1012:
	v_cmp_ne_u32_e32 vcc_lo, 1, v63
	s_cbranch_vccnz .LBB927_1019
; %bb.1013:
	v_mul_lo_u32 v59, v50, s8
	v_mul_lo_u32 v60, v49, s9
	v_mad_u64_u32 v[57:58], null, v49, s8, 0
	v_mul_lo_u32 v61, v48, s8
	v_mul_lo_u32 v62, v47, s9
	v_mad_u64_u32 v[49:50], null, v47, s8, 0
	s_mov_b32 s18, exec_lo
	s_delay_alu instid0(VALU_DEP_4) | instskip(NEXT) | instid1(VALU_DEP_2)
	v_add3_u32 v58, v58, v60, v59
	v_add3_u32 v50, v50, v62, v61
	s_delay_alu instid0(VALU_DEP_2) | instskip(NEXT) | instid1(VALU_DEP_2)
	v_lshlrev_b64 v[57:58], 2, v[57:58]
	v_lshlrev_b64 v[49:50], 2, v[49:50]
	s_delay_alu instid0(VALU_DEP_2) | instskip(NEXT) | instid1(VALU_DEP_3)
	v_add_co_u32 v57, vcc_lo, s10, v57
	v_add_co_ci_u32_e32 v58, vcc_lo, s11, v58, vcc_lo
	s_delay_alu instid0(VALU_DEP_3) | instskip(NEXT) | instid1(VALU_DEP_4)
	v_add_co_u32 v59, vcc_lo, s10, v49
	v_add_co_ci_u32_e32 v60, vcc_lo, s11, v50, vcc_lo
	s_clause 0x1
	global_load_b32 v61, v[57:58], off
	global_load_b32 v62, v[59:60], off
	v_mov_b32_e32 v49, 1
	v_mov_b32_e32 v50, 0
	s_waitcnt vmcnt(0)
	v_cmpx_eq_f32_e32 v61, v62
	s_cbranch_execz .LBB927_1021
; %bb.1014:
	v_add_co_u32 v49, vcc_lo, v59, 4
	v_add_co_ci_u32_e32 v50, vcc_lo, 0, v60, vcc_lo
	v_add_co_u32 v57, vcc_lo, v57, 4
	v_add_co_ci_u32_e32 v58, vcc_lo, 0, v58, vcc_lo
	s_add_u32 s12, s8, -1
	s_addc_u32 s13, s9, -1
	s_mov_b64 s[14:15], 0
	s_mov_b32 s19, 0
                                        ; implicit-def: $sgpr20
	s_set_inst_prefetch_distance 0x1
	s_branch .LBB927_1017
	.p2align	6
.LBB927_1015:                           ;   in Loop: Header=BB927_1017 Depth=1
	global_load_b32 v59, v[57:58], off
	global_load_b32 v60, v[49:50], off
	v_add_co_u32 v49, vcc_lo, v49, 4
	v_add_co_ci_u32_e32 v50, vcc_lo, 0, v50, vcc_lo
	v_add_co_u32 v57, s0, v57, 4
	s_delay_alu instid0(VALU_DEP_1)
	v_add_co_ci_u32_e64 v58, s0, 0, v58, s0
	s_add_u32 s14, s14, 1
	s_addc_u32 s15, s15, 0
	s_and_not1_b32 s0, s20, exec_lo
	s_waitcnt vmcnt(0)
	v_cmp_neq_f32_e32 vcc_lo, v59, v60
	s_and_b32 s20, vcc_lo, exec_lo
	s_delay_alu instid0(SALU_CYCLE_1)
	s_or_b32 s20, s0, s20
.LBB927_1016:                           ;   in Loop: Header=BB927_1017 Depth=1
	v_dual_mov_b32 v60, s15 :: v_dual_mov_b32 v59, s14
	s_and_b32 s0, exec_lo, s20
	s_delay_alu instid0(SALU_CYCLE_1) | instskip(NEXT) | instid1(SALU_CYCLE_1)
	s_or_b32 s19, s0, s19
	s_and_not1_b32 exec_lo, exec_lo, s19
	s_cbranch_execz .LBB927_1020
.LBB927_1017:                           ; =>This Inner Loop Header: Depth=1
	s_or_b32 s20, s20, exec_lo
	s_cmp_eq_u64 s[12:13], s[14:15]
	s_cbranch_scc0 .LBB927_1015
; %bb.1018:                             ;   in Loop: Header=BB927_1017 Depth=1
	s_mov_b64 s[14:15], s[8:9]
                                        ; implicit-def: $vgpr49_vgpr50
                                        ; implicit-def: $vgpr57_vgpr58
	s_branch .LBB927_1016
.LBB927_1019:
	v_mov_b32_e32 v49, 0
	v_mov_b32_e32 v50, 0
	s_branch .LBB927_1022
.LBB927_1020:
	s_set_inst_prefetch_distance 0x2
	s_or_b32 exec_lo, exec_lo, s19
	v_cmp_gt_i64_e32 vcc_lo, s[8:9], v[59:60]
	s_mov_b32 s0, 0
	s_delay_alu instid0(SALU_CYCLE_1)
	v_mov_b32_e32 v50, s0
	v_cndmask_b32_e64 v49, 0, 1, vcc_lo
.LBB927_1021:
	s_or_b32 exec_lo, exec_lo, s18
.LBB927_1022:
	s_delay_alu instid0(SALU_CYCLE_1) | instskip(SKIP_2) | instid1(VALU_DEP_1)
	s_or_b32 exec_lo, exec_lo, s3
	v_add_nc_u32_e32 v57, 19, v64
	s_mov_b32 s3, exec_lo
	v_cmpx_gt_u32_e64 s6, v57
	s_cbranch_execz .LBB927_1033
; %bb.1023:
	v_cmp_ne_u32_e32 vcc_lo, 1, v63
	s_cbranch_vccnz .LBB927_1030
; %bb.1024:
	v_mul_lo_u32 v59, v48, s8
	v_mul_lo_u32 v60, v47, s9
	v_mad_u64_u32 v[57:58], null, v47, s8, 0
	v_mul_lo_u32 v61, v46, s8
	v_mul_lo_u32 v62, v45, s9
	v_mad_u64_u32 v[47:48], null, v45, s8, 0
	s_mov_b32 s18, exec_lo
	s_delay_alu instid0(VALU_DEP_4) | instskip(NEXT) | instid1(VALU_DEP_2)
	v_add3_u32 v58, v58, v60, v59
	v_add3_u32 v48, v48, v62, v61
	s_delay_alu instid0(VALU_DEP_2) | instskip(NEXT) | instid1(VALU_DEP_2)
	v_lshlrev_b64 v[57:58], 2, v[57:58]
	v_lshlrev_b64 v[47:48], 2, v[47:48]
	s_delay_alu instid0(VALU_DEP_2) | instskip(NEXT) | instid1(VALU_DEP_3)
	v_add_co_u32 v57, vcc_lo, s10, v57
	v_add_co_ci_u32_e32 v58, vcc_lo, s11, v58, vcc_lo
	s_delay_alu instid0(VALU_DEP_3) | instskip(NEXT) | instid1(VALU_DEP_4)
	v_add_co_u32 v59, vcc_lo, s10, v47
	v_add_co_ci_u32_e32 v60, vcc_lo, s11, v48, vcc_lo
	s_clause 0x1
	global_load_b32 v61, v[57:58], off
	global_load_b32 v62, v[59:60], off
	v_mov_b32_e32 v47, 1
	v_mov_b32_e32 v48, 0
	s_waitcnt vmcnt(0)
	v_cmpx_eq_f32_e32 v61, v62
	s_cbranch_execz .LBB927_1032
; %bb.1025:
	v_add_co_u32 v47, vcc_lo, v59, 4
	v_add_co_ci_u32_e32 v48, vcc_lo, 0, v60, vcc_lo
	v_add_co_u32 v57, vcc_lo, v57, 4
	v_add_co_ci_u32_e32 v58, vcc_lo, 0, v58, vcc_lo
	s_add_u32 s12, s8, -1
	s_addc_u32 s13, s9, -1
	s_mov_b64 s[14:15], 0
	s_mov_b32 s19, 0
                                        ; implicit-def: $sgpr20
	s_set_inst_prefetch_distance 0x1
	s_branch .LBB927_1028
	.p2align	6
.LBB927_1026:                           ;   in Loop: Header=BB927_1028 Depth=1
	global_load_b32 v59, v[57:58], off
	global_load_b32 v60, v[47:48], off
	v_add_co_u32 v47, vcc_lo, v47, 4
	v_add_co_ci_u32_e32 v48, vcc_lo, 0, v48, vcc_lo
	v_add_co_u32 v57, s0, v57, 4
	s_delay_alu instid0(VALU_DEP_1)
	v_add_co_ci_u32_e64 v58, s0, 0, v58, s0
	s_add_u32 s14, s14, 1
	s_addc_u32 s15, s15, 0
	s_and_not1_b32 s0, s20, exec_lo
	s_waitcnt vmcnt(0)
	v_cmp_neq_f32_e32 vcc_lo, v59, v60
	s_and_b32 s20, vcc_lo, exec_lo
	s_delay_alu instid0(SALU_CYCLE_1)
	s_or_b32 s20, s0, s20
.LBB927_1027:                           ;   in Loop: Header=BB927_1028 Depth=1
	v_dual_mov_b32 v60, s15 :: v_dual_mov_b32 v59, s14
	s_and_b32 s0, exec_lo, s20
	s_delay_alu instid0(SALU_CYCLE_1) | instskip(NEXT) | instid1(SALU_CYCLE_1)
	s_or_b32 s19, s0, s19
	s_and_not1_b32 exec_lo, exec_lo, s19
	s_cbranch_execz .LBB927_1031
.LBB927_1028:                           ; =>This Inner Loop Header: Depth=1
	s_or_b32 s20, s20, exec_lo
	s_cmp_eq_u64 s[12:13], s[14:15]
	s_cbranch_scc0 .LBB927_1026
; %bb.1029:                             ;   in Loop: Header=BB927_1028 Depth=1
	s_mov_b64 s[14:15], s[8:9]
                                        ; implicit-def: $vgpr47_vgpr48
                                        ; implicit-def: $vgpr57_vgpr58
	s_branch .LBB927_1027
.LBB927_1030:
	v_mov_b32_e32 v47, 0
	v_mov_b32_e32 v48, 0
	s_branch .LBB927_1033
.LBB927_1031:
	s_set_inst_prefetch_distance 0x2
	s_or_b32 exec_lo, exec_lo, s19
	v_cmp_gt_i64_e32 vcc_lo, s[8:9], v[59:60]
	s_mov_b32 s0, 0
	s_delay_alu instid0(SALU_CYCLE_1)
	v_mov_b32_e32 v48, s0
	v_cndmask_b32_e64 v47, 0, 1, vcc_lo
.LBB927_1032:
	s_or_b32 exec_lo, exec_lo, s18
.LBB927_1033:
	s_delay_alu instid0(SALU_CYCLE_1) | instskip(SKIP_2) | instid1(VALU_DEP_1)
	s_or_b32 exec_lo, exec_lo, s3
	v_add_nc_u32_e32 v57, 18, v64
	s_mov_b32 s3, exec_lo
	v_cmpx_gt_u32_e64 s6, v57
	s_cbranch_execz .LBB927_1044
; %bb.1034:
	v_cmp_ne_u32_e32 vcc_lo, 1, v63
	s_cbranch_vccnz .LBB927_1041
; %bb.1035:
	v_mul_lo_u32 v59, v46, s8
	v_mul_lo_u32 v60, v45, s9
	v_mad_u64_u32 v[57:58], null, v45, s8, 0
	v_mul_lo_u32 v61, v44, s8
	v_mul_lo_u32 v62, v43, s9
	v_mad_u64_u32 v[45:46], null, v43, s8, 0
	s_mov_b32 s18, exec_lo
	s_delay_alu instid0(VALU_DEP_4) | instskip(NEXT) | instid1(VALU_DEP_2)
	v_add3_u32 v58, v58, v60, v59
	v_add3_u32 v46, v46, v62, v61
	s_delay_alu instid0(VALU_DEP_2) | instskip(NEXT) | instid1(VALU_DEP_2)
	v_lshlrev_b64 v[57:58], 2, v[57:58]
	v_lshlrev_b64 v[45:46], 2, v[45:46]
	s_delay_alu instid0(VALU_DEP_2) | instskip(NEXT) | instid1(VALU_DEP_3)
	v_add_co_u32 v57, vcc_lo, s10, v57
	v_add_co_ci_u32_e32 v58, vcc_lo, s11, v58, vcc_lo
	s_delay_alu instid0(VALU_DEP_3) | instskip(NEXT) | instid1(VALU_DEP_4)
	v_add_co_u32 v59, vcc_lo, s10, v45
	v_add_co_ci_u32_e32 v60, vcc_lo, s11, v46, vcc_lo
	s_clause 0x1
	global_load_b32 v61, v[57:58], off
	global_load_b32 v62, v[59:60], off
	v_mov_b32_e32 v45, 1
	v_mov_b32_e32 v46, 0
	s_waitcnt vmcnt(0)
	v_cmpx_eq_f32_e32 v61, v62
	s_cbranch_execz .LBB927_1043
; %bb.1036:
	v_add_co_u32 v45, vcc_lo, v59, 4
	v_add_co_ci_u32_e32 v46, vcc_lo, 0, v60, vcc_lo
	v_add_co_u32 v57, vcc_lo, v57, 4
	v_add_co_ci_u32_e32 v58, vcc_lo, 0, v58, vcc_lo
	s_add_u32 s12, s8, -1
	s_addc_u32 s13, s9, -1
	s_mov_b64 s[14:15], 0
	s_mov_b32 s19, 0
                                        ; implicit-def: $sgpr20
	s_set_inst_prefetch_distance 0x1
	s_branch .LBB927_1039
	.p2align	6
.LBB927_1037:                           ;   in Loop: Header=BB927_1039 Depth=1
	global_load_b32 v59, v[57:58], off
	global_load_b32 v60, v[45:46], off
	v_add_co_u32 v45, vcc_lo, v45, 4
	v_add_co_ci_u32_e32 v46, vcc_lo, 0, v46, vcc_lo
	v_add_co_u32 v57, s0, v57, 4
	s_delay_alu instid0(VALU_DEP_1)
	v_add_co_ci_u32_e64 v58, s0, 0, v58, s0
	s_add_u32 s14, s14, 1
	s_addc_u32 s15, s15, 0
	s_and_not1_b32 s0, s20, exec_lo
	s_waitcnt vmcnt(0)
	v_cmp_neq_f32_e32 vcc_lo, v59, v60
	s_and_b32 s20, vcc_lo, exec_lo
	s_delay_alu instid0(SALU_CYCLE_1)
	s_or_b32 s20, s0, s20
.LBB927_1038:                           ;   in Loop: Header=BB927_1039 Depth=1
	v_dual_mov_b32 v60, s15 :: v_dual_mov_b32 v59, s14
	s_and_b32 s0, exec_lo, s20
	s_delay_alu instid0(SALU_CYCLE_1) | instskip(NEXT) | instid1(SALU_CYCLE_1)
	s_or_b32 s19, s0, s19
	s_and_not1_b32 exec_lo, exec_lo, s19
	s_cbranch_execz .LBB927_1042
.LBB927_1039:                           ; =>This Inner Loop Header: Depth=1
	s_or_b32 s20, s20, exec_lo
	s_cmp_eq_u64 s[12:13], s[14:15]
	s_cbranch_scc0 .LBB927_1037
; %bb.1040:                             ;   in Loop: Header=BB927_1039 Depth=1
	s_mov_b64 s[14:15], s[8:9]
                                        ; implicit-def: $vgpr45_vgpr46
                                        ; implicit-def: $vgpr57_vgpr58
	s_branch .LBB927_1038
.LBB927_1041:
	v_mov_b32_e32 v45, 0
	v_mov_b32_e32 v46, 0
	s_branch .LBB927_1044
.LBB927_1042:
	s_set_inst_prefetch_distance 0x2
	s_or_b32 exec_lo, exec_lo, s19
	v_cmp_gt_i64_e32 vcc_lo, s[8:9], v[59:60]
	s_mov_b32 s0, 0
	s_delay_alu instid0(SALU_CYCLE_1)
	v_mov_b32_e32 v46, s0
	v_cndmask_b32_e64 v45, 0, 1, vcc_lo
.LBB927_1043:
	s_or_b32 exec_lo, exec_lo, s18
.LBB927_1044:
	s_delay_alu instid0(SALU_CYCLE_1) | instskip(SKIP_2) | instid1(VALU_DEP_1)
	s_or_b32 exec_lo, exec_lo, s3
	v_add_nc_u32_e32 v57, 17, v64
	s_mov_b32 s3, exec_lo
	v_cmpx_gt_u32_e64 s6, v57
	s_cbranch_execz .LBB927_1055
; %bb.1045:
	v_cmp_ne_u32_e32 vcc_lo, 1, v63
	s_cbranch_vccnz .LBB927_1052
; %bb.1046:
	v_mul_lo_u32 v59, v44, s8
	v_mul_lo_u32 v60, v43, s9
	v_mad_u64_u32 v[57:58], null, v43, s8, 0
	v_mul_lo_u32 v61, v42, s8
	v_mul_lo_u32 v62, v41, s9
	v_mad_u64_u32 v[43:44], null, v41, s8, 0
	s_mov_b32 s18, exec_lo
	s_delay_alu instid0(VALU_DEP_4) | instskip(NEXT) | instid1(VALU_DEP_2)
	v_add3_u32 v58, v58, v60, v59
	v_add3_u32 v44, v44, v62, v61
	s_delay_alu instid0(VALU_DEP_2) | instskip(NEXT) | instid1(VALU_DEP_2)
	v_lshlrev_b64 v[57:58], 2, v[57:58]
	v_lshlrev_b64 v[43:44], 2, v[43:44]
	s_delay_alu instid0(VALU_DEP_2) | instskip(NEXT) | instid1(VALU_DEP_3)
	v_add_co_u32 v57, vcc_lo, s10, v57
	v_add_co_ci_u32_e32 v58, vcc_lo, s11, v58, vcc_lo
	s_delay_alu instid0(VALU_DEP_3) | instskip(NEXT) | instid1(VALU_DEP_4)
	v_add_co_u32 v59, vcc_lo, s10, v43
	v_add_co_ci_u32_e32 v60, vcc_lo, s11, v44, vcc_lo
	s_clause 0x1
	global_load_b32 v61, v[57:58], off
	global_load_b32 v62, v[59:60], off
	v_mov_b32_e32 v43, 1
	v_mov_b32_e32 v44, 0
	s_waitcnt vmcnt(0)
	v_cmpx_eq_f32_e32 v61, v62
	s_cbranch_execz .LBB927_1054
; %bb.1047:
	v_add_co_u32 v43, vcc_lo, v59, 4
	v_add_co_ci_u32_e32 v44, vcc_lo, 0, v60, vcc_lo
	v_add_co_u32 v57, vcc_lo, v57, 4
	v_add_co_ci_u32_e32 v58, vcc_lo, 0, v58, vcc_lo
	s_add_u32 s12, s8, -1
	s_addc_u32 s13, s9, -1
	s_mov_b64 s[14:15], 0
	s_mov_b32 s19, 0
                                        ; implicit-def: $sgpr20
	s_set_inst_prefetch_distance 0x1
	s_branch .LBB927_1050
	.p2align	6
.LBB927_1048:                           ;   in Loop: Header=BB927_1050 Depth=1
	global_load_b32 v59, v[57:58], off
	global_load_b32 v60, v[43:44], off
	v_add_co_u32 v43, vcc_lo, v43, 4
	v_add_co_ci_u32_e32 v44, vcc_lo, 0, v44, vcc_lo
	v_add_co_u32 v57, s0, v57, 4
	s_delay_alu instid0(VALU_DEP_1)
	v_add_co_ci_u32_e64 v58, s0, 0, v58, s0
	s_add_u32 s14, s14, 1
	s_addc_u32 s15, s15, 0
	s_and_not1_b32 s0, s20, exec_lo
	s_waitcnt vmcnt(0)
	v_cmp_neq_f32_e32 vcc_lo, v59, v60
	s_and_b32 s20, vcc_lo, exec_lo
	s_delay_alu instid0(SALU_CYCLE_1)
	s_or_b32 s20, s0, s20
.LBB927_1049:                           ;   in Loop: Header=BB927_1050 Depth=1
	v_dual_mov_b32 v60, s15 :: v_dual_mov_b32 v59, s14
	s_and_b32 s0, exec_lo, s20
	s_delay_alu instid0(SALU_CYCLE_1) | instskip(NEXT) | instid1(SALU_CYCLE_1)
	s_or_b32 s19, s0, s19
	s_and_not1_b32 exec_lo, exec_lo, s19
	s_cbranch_execz .LBB927_1053
.LBB927_1050:                           ; =>This Inner Loop Header: Depth=1
	s_or_b32 s20, s20, exec_lo
	s_cmp_eq_u64 s[12:13], s[14:15]
	s_cbranch_scc0 .LBB927_1048
; %bb.1051:                             ;   in Loop: Header=BB927_1050 Depth=1
	s_mov_b64 s[14:15], s[8:9]
                                        ; implicit-def: $vgpr43_vgpr44
                                        ; implicit-def: $vgpr57_vgpr58
	s_branch .LBB927_1049
.LBB927_1052:
	v_mov_b32_e32 v43, 0
	v_mov_b32_e32 v44, 0
	s_branch .LBB927_1055
.LBB927_1053:
	s_set_inst_prefetch_distance 0x2
	s_or_b32 exec_lo, exec_lo, s19
	v_cmp_gt_i64_e32 vcc_lo, s[8:9], v[59:60]
	s_mov_b32 s0, 0
	s_delay_alu instid0(SALU_CYCLE_1)
	v_mov_b32_e32 v44, s0
	v_cndmask_b32_e64 v43, 0, 1, vcc_lo
.LBB927_1054:
	s_or_b32 exec_lo, exec_lo, s18
.LBB927_1055:
	s_delay_alu instid0(SALU_CYCLE_1) | instskip(SKIP_2) | instid1(VALU_DEP_1)
	s_or_b32 exec_lo, exec_lo, s3
	v_add_nc_u32_e32 v57, 16, v64
	s_mov_b32 s3, exec_lo
	v_cmpx_gt_u32_e64 s6, v57
	s_cbranch_execz .LBB927_1066
; %bb.1056:
	v_cmp_ne_u32_e32 vcc_lo, 1, v63
	s_cbranch_vccnz .LBB927_1063
; %bb.1057:
	v_mul_lo_u32 v59, v42, s8
	v_mul_lo_u32 v60, v41, s9
	v_mad_u64_u32 v[57:58], null, v41, s8, 0
	v_mul_lo_u32 v61, v40, s8
	v_mul_lo_u32 v62, v39, s9
	v_mad_u64_u32 v[41:42], null, v39, s8, 0
	s_mov_b32 s18, exec_lo
	s_delay_alu instid0(VALU_DEP_4) | instskip(NEXT) | instid1(VALU_DEP_2)
	v_add3_u32 v58, v58, v60, v59
	v_add3_u32 v42, v42, v62, v61
	s_delay_alu instid0(VALU_DEP_2) | instskip(NEXT) | instid1(VALU_DEP_2)
	v_lshlrev_b64 v[57:58], 2, v[57:58]
	v_lshlrev_b64 v[41:42], 2, v[41:42]
	s_delay_alu instid0(VALU_DEP_2) | instskip(NEXT) | instid1(VALU_DEP_3)
	v_add_co_u32 v57, vcc_lo, s10, v57
	v_add_co_ci_u32_e32 v58, vcc_lo, s11, v58, vcc_lo
	s_delay_alu instid0(VALU_DEP_3) | instskip(NEXT) | instid1(VALU_DEP_4)
	v_add_co_u32 v59, vcc_lo, s10, v41
	v_add_co_ci_u32_e32 v60, vcc_lo, s11, v42, vcc_lo
	s_clause 0x1
	global_load_b32 v61, v[57:58], off
	global_load_b32 v62, v[59:60], off
	v_mov_b32_e32 v41, 1
	v_mov_b32_e32 v42, 0
	s_waitcnt vmcnt(0)
	v_cmpx_eq_f32_e32 v61, v62
	s_cbranch_execz .LBB927_1065
; %bb.1058:
	v_add_co_u32 v41, vcc_lo, v59, 4
	v_add_co_ci_u32_e32 v42, vcc_lo, 0, v60, vcc_lo
	v_add_co_u32 v57, vcc_lo, v57, 4
	v_add_co_ci_u32_e32 v58, vcc_lo, 0, v58, vcc_lo
	s_add_u32 s12, s8, -1
	s_addc_u32 s13, s9, -1
	s_mov_b64 s[14:15], 0
	s_mov_b32 s19, 0
                                        ; implicit-def: $sgpr20
	s_set_inst_prefetch_distance 0x1
	s_branch .LBB927_1061
	.p2align	6
.LBB927_1059:                           ;   in Loop: Header=BB927_1061 Depth=1
	global_load_b32 v59, v[57:58], off
	global_load_b32 v60, v[41:42], off
	v_add_co_u32 v41, vcc_lo, v41, 4
	v_add_co_ci_u32_e32 v42, vcc_lo, 0, v42, vcc_lo
	v_add_co_u32 v57, s0, v57, 4
	s_delay_alu instid0(VALU_DEP_1)
	v_add_co_ci_u32_e64 v58, s0, 0, v58, s0
	s_add_u32 s14, s14, 1
	s_addc_u32 s15, s15, 0
	s_and_not1_b32 s0, s20, exec_lo
	s_waitcnt vmcnt(0)
	v_cmp_neq_f32_e32 vcc_lo, v59, v60
	s_and_b32 s20, vcc_lo, exec_lo
	s_delay_alu instid0(SALU_CYCLE_1)
	s_or_b32 s20, s0, s20
.LBB927_1060:                           ;   in Loop: Header=BB927_1061 Depth=1
	v_dual_mov_b32 v60, s15 :: v_dual_mov_b32 v59, s14
	s_and_b32 s0, exec_lo, s20
	s_delay_alu instid0(SALU_CYCLE_1) | instskip(NEXT) | instid1(SALU_CYCLE_1)
	s_or_b32 s19, s0, s19
	s_and_not1_b32 exec_lo, exec_lo, s19
	s_cbranch_execz .LBB927_1064
.LBB927_1061:                           ; =>This Inner Loop Header: Depth=1
	s_or_b32 s20, s20, exec_lo
	s_cmp_eq_u64 s[12:13], s[14:15]
	s_cbranch_scc0 .LBB927_1059
; %bb.1062:                             ;   in Loop: Header=BB927_1061 Depth=1
	s_mov_b64 s[14:15], s[8:9]
                                        ; implicit-def: $vgpr41_vgpr42
                                        ; implicit-def: $vgpr57_vgpr58
	s_branch .LBB927_1060
.LBB927_1063:
	v_mov_b32_e32 v41, 0
	v_mov_b32_e32 v42, 0
	s_branch .LBB927_1066
.LBB927_1064:
	s_set_inst_prefetch_distance 0x2
	s_or_b32 exec_lo, exec_lo, s19
	v_cmp_gt_i64_e32 vcc_lo, s[8:9], v[59:60]
	s_mov_b32 s0, 0
	s_delay_alu instid0(SALU_CYCLE_1)
	v_mov_b32_e32 v42, s0
	v_cndmask_b32_e64 v41, 0, 1, vcc_lo
.LBB927_1065:
	s_or_b32 exec_lo, exec_lo, s18
.LBB927_1066:
	s_delay_alu instid0(SALU_CYCLE_1) | instskip(SKIP_2) | instid1(VALU_DEP_1)
	s_or_b32 exec_lo, exec_lo, s3
	v_add_nc_u32_e32 v57, 15, v64
	s_mov_b32 s3, exec_lo
	v_cmpx_gt_u32_e64 s6, v57
	s_cbranch_execz .LBB927_1077
; %bb.1067:
	v_cmp_ne_u32_e32 vcc_lo, 1, v63
	s_cbranch_vccnz .LBB927_1074
; %bb.1068:
	v_mul_lo_u32 v59, v40, s8
	v_mul_lo_u32 v60, v39, s9
	v_mad_u64_u32 v[57:58], null, v39, s8, 0
	v_mul_lo_u32 v61, v38, s8
	v_mul_lo_u32 v62, v37, s9
	v_mad_u64_u32 v[39:40], null, v37, s8, 0
	s_mov_b32 s18, exec_lo
	s_delay_alu instid0(VALU_DEP_4) | instskip(NEXT) | instid1(VALU_DEP_2)
	v_add3_u32 v58, v58, v60, v59
	v_add3_u32 v40, v40, v62, v61
	s_delay_alu instid0(VALU_DEP_2) | instskip(NEXT) | instid1(VALU_DEP_2)
	v_lshlrev_b64 v[57:58], 2, v[57:58]
	v_lshlrev_b64 v[39:40], 2, v[39:40]
	s_delay_alu instid0(VALU_DEP_2) | instskip(NEXT) | instid1(VALU_DEP_3)
	v_add_co_u32 v57, vcc_lo, s10, v57
	v_add_co_ci_u32_e32 v58, vcc_lo, s11, v58, vcc_lo
	s_delay_alu instid0(VALU_DEP_3) | instskip(NEXT) | instid1(VALU_DEP_4)
	v_add_co_u32 v59, vcc_lo, s10, v39
	v_add_co_ci_u32_e32 v60, vcc_lo, s11, v40, vcc_lo
	s_clause 0x1
	global_load_b32 v61, v[57:58], off
	global_load_b32 v62, v[59:60], off
	v_mov_b32_e32 v39, 1
	v_mov_b32_e32 v40, 0
	s_waitcnt vmcnt(0)
	v_cmpx_eq_f32_e32 v61, v62
	s_cbranch_execz .LBB927_1076
; %bb.1069:
	v_add_co_u32 v39, vcc_lo, v59, 4
	v_add_co_ci_u32_e32 v40, vcc_lo, 0, v60, vcc_lo
	v_add_co_u32 v57, vcc_lo, v57, 4
	v_add_co_ci_u32_e32 v58, vcc_lo, 0, v58, vcc_lo
	s_add_u32 s12, s8, -1
	s_addc_u32 s13, s9, -1
	s_mov_b64 s[14:15], 0
	s_mov_b32 s19, 0
                                        ; implicit-def: $sgpr20
	s_set_inst_prefetch_distance 0x1
	s_branch .LBB927_1072
	.p2align	6
.LBB927_1070:                           ;   in Loop: Header=BB927_1072 Depth=1
	global_load_b32 v59, v[57:58], off
	global_load_b32 v60, v[39:40], off
	v_add_co_u32 v39, vcc_lo, v39, 4
	v_add_co_ci_u32_e32 v40, vcc_lo, 0, v40, vcc_lo
	v_add_co_u32 v57, s0, v57, 4
	s_delay_alu instid0(VALU_DEP_1)
	v_add_co_ci_u32_e64 v58, s0, 0, v58, s0
	s_add_u32 s14, s14, 1
	s_addc_u32 s15, s15, 0
	s_and_not1_b32 s0, s20, exec_lo
	s_waitcnt vmcnt(0)
	v_cmp_neq_f32_e32 vcc_lo, v59, v60
	s_and_b32 s20, vcc_lo, exec_lo
	s_delay_alu instid0(SALU_CYCLE_1)
	s_or_b32 s20, s0, s20
.LBB927_1071:                           ;   in Loop: Header=BB927_1072 Depth=1
	v_dual_mov_b32 v60, s15 :: v_dual_mov_b32 v59, s14
	s_and_b32 s0, exec_lo, s20
	s_delay_alu instid0(SALU_CYCLE_1) | instskip(NEXT) | instid1(SALU_CYCLE_1)
	s_or_b32 s19, s0, s19
	s_and_not1_b32 exec_lo, exec_lo, s19
	s_cbranch_execz .LBB927_1075
.LBB927_1072:                           ; =>This Inner Loop Header: Depth=1
	s_or_b32 s20, s20, exec_lo
	s_cmp_eq_u64 s[12:13], s[14:15]
	s_cbranch_scc0 .LBB927_1070
; %bb.1073:                             ;   in Loop: Header=BB927_1072 Depth=1
	s_mov_b64 s[14:15], s[8:9]
                                        ; implicit-def: $vgpr39_vgpr40
                                        ; implicit-def: $vgpr57_vgpr58
	s_branch .LBB927_1071
.LBB927_1074:
	v_mov_b32_e32 v39, 0
	v_mov_b32_e32 v40, 0
	s_branch .LBB927_1077
.LBB927_1075:
	s_set_inst_prefetch_distance 0x2
	s_or_b32 exec_lo, exec_lo, s19
	v_cmp_gt_i64_e32 vcc_lo, s[8:9], v[59:60]
	s_mov_b32 s0, 0
	s_delay_alu instid0(SALU_CYCLE_1)
	v_mov_b32_e32 v40, s0
	v_cndmask_b32_e64 v39, 0, 1, vcc_lo
.LBB927_1076:
	s_or_b32 exec_lo, exec_lo, s18
.LBB927_1077:
	s_delay_alu instid0(SALU_CYCLE_1) | instskip(SKIP_2) | instid1(VALU_DEP_1)
	s_or_b32 exec_lo, exec_lo, s3
	v_add_nc_u32_e32 v57, 14, v64
	s_mov_b32 s3, exec_lo
	v_cmpx_gt_u32_e64 s6, v57
	s_cbranch_execz .LBB927_1088
; %bb.1078:
	v_cmp_ne_u32_e32 vcc_lo, 1, v63
	s_cbranch_vccnz .LBB927_1085
; %bb.1079:
	v_mul_lo_u32 v59, v38, s8
	v_mul_lo_u32 v60, v37, s9
	v_mad_u64_u32 v[57:58], null, v37, s8, 0
	v_mul_lo_u32 v61, v36, s8
	v_mul_lo_u32 v62, v35, s9
	v_mad_u64_u32 v[37:38], null, v35, s8, 0
	s_mov_b32 s18, exec_lo
	s_delay_alu instid0(VALU_DEP_4) | instskip(NEXT) | instid1(VALU_DEP_2)
	v_add3_u32 v58, v58, v60, v59
	v_add3_u32 v38, v38, v62, v61
	s_delay_alu instid0(VALU_DEP_2) | instskip(NEXT) | instid1(VALU_DEP_2)
	v_lshlrev_b64 v[57:58], 2, v[57:58]
	v_lshlrev_b64 v[37:38], 2, v[37:38]
	s_delay_alu instid0(VALU_DEP_2) | instskip(NEXT) | instid1(VALU_DEP_3)
	v_add_co_u32 v57, vcc_lo, s10, v57
	v_add_co_ci_u32_e32 v58, vcc_lo, s11, v58, vcc_lo
	s_delay_alu instid0(VALU_DEP_3) | instskip(NEXT) | instid1(VALU_DEP_4)
	v_add_co_u32 v59, vcc_lo, s10, v37
	v_add_co_ci_u32_e32 v60, vcc_lo, s11, v38, vcc_lo
	s_clause 0x1
	global_load_b32 v61, v[57:58], off
	global_load_b32 v62, v[59:60], off
	v_mov_b32_e32 v37, 1
	v_mov_b32_e32 v38, 0
	s_waitcnt vmcnt(0)
	v_cmpx_eq_f32_e32 v61, v62
	s_cbranch_execz .LBB927_1087
; %bb.1080:
	v_add_co_u32 v37, vcc_lo, v59, 4
	v_add_co_ci_u32_e32 v38, vcc_lo, 0, v60, vcc_lo
	v_add_co_u32 v57, vcc_lo, v57, 4
	v_add_co_ci_u32_e32 v58, vcc_lo, 0, v58, vcc_lo
	s_add_u32 s12, s8, -1
	s_addc_u32 s13, s9, -1
	s_mov_b64 s[14:15], 0
	s_mov_b32 s19, 0
                                        ; implicit-def: $sgpr20
	s_set_inst_prefetch_distance 0x1
	s_branch .LBB927_1083
	.p2align	6
.LBB927_1081:                           ;   in Loop: Header=BB927_1083 Depth=1
	global_load_b32 v59, v[57:58], off
	global_load_b32 v60, v[37:38], off
	v_add_co_u32 v37, vcc_lo, v37, 4
	v_add_co_ci_u32_e32 v38, vcc_lo, 0, v38, vcc_lo
	v_add_co_u32 v57, s0, v57, 4
	s_delay_alu instid0(VALU_DEP_1)
	v_add_co_ci_u32_e64 v58, s0, 0, v58, s0
	s_add_u32 s14, s14, 1
	s_addc_u32 s15, s15, 0
	s_and_not1_b32 s0, s20, exec_lo
	s_waitcnt vmcnt(0)
	v_cmp_neq_f32_e32 vcc_lo, v59, v60
	s_and_b32 s20, vcc_lo, exec_lo
	s_delay_alu instid0(SALU_CYCLE_1)
	s_or_b32 s20, s0, s20
.LBB927_1082:                           ;   in Loop: Header=BB927_1083 Depth=1
	v_dual_mov_b32 v60, s15 :: v_dual_mov_b32 v59, s14
	s_and_b32 s0, exec_lo, s20
	s_delay_alu instid0(SALU_CYCLE_1) | instskip(NEXT) | instid1(SALU_CYCLE_1)
	s_or_b32 s19, s0, s19
	s_and_not1_b32 exec_lo, exec_lo, s19
	s_cbranch_execz .LBB927_1086
.LBB927_1083:                           ; =>This Inner Loop Header: Depth=1
	s_or_b32 s20, s20, exec_lo
	s_cmp_eq_u64 s[12:13], s[14:15]
	s_cbranch_scc0 .LBB927_1081
; %bb.1084:                             ;   in Loop: Header=BB927_1083 Depth=1
	s_mov_b64 s[14:15], s[8:9]
                                        ; implicit-def: $vgpr37_vgpr38
                                        ; implicit-def: $vgpr57_vgpr58
	s_branch .LBB927_1082
.LBB927_1085:
	v_mov_b32_e32 v37, 0
	v_mov_b32_e32 v38, 0
	s_branch .LBB927_1088
.LBB927_1086:
	s_set_inst_prefetch_distance 0x2
	s_or_b32 exec_lo, exec_lo, s19
	v_cmp_gt_i64_e32 vcc_lo, s[8:9], v[59:60]
	s_mov_b32 s0, 0
	s_delay_alu instid0(SALU_CYCLE_1)
	v_mov_b32_e32 v38, s0
	v_cndmask_b32_e64 v37, 0, 1, vcc_lo
.LBB927_1087:
	s_or_b32 exec_lo, exec_lo, s18
.LBB927_1088:
	s_delay_alu instid0(SALU_CYCLE_1) | instskip(SKIP_2) | instid1(VALU_DEP_1)
	s_or_b32 exec_lo, exec_lo, s3
	v_add_nc_u32_e32 v57, 13, v64
	s_mov_b32 s3, exec_lo
	v_cmpx_gt_u32_e64 s6, v57
	s_cbranch_execz .LBB927_1099
; %bb.1089:
	v_cmp_ne_u32_e32 vcc_lo, 1, v63
	s_cbranch_vccnz .LBB927_1096
; %bb.1090:
	v_mul_lo_u32 v59, v36, s8
	v_mul_lo_u32 v60, v35, s9
	v_mad_u64_u32 v[57:58], null, v35, s8, 0
	v_mul_lo_u32 v61, v34, s8
	v_mul_lo_u32 v62, v33, s9
	v_mad_u64_u32 v[35:36], null, v33, s8, 0
	s_mov_b32 s18, exec_lo
	s_delay_alu instid0(VALU_DEP_4) | instskip(NEXT) | instid1(VALU_DEP_2)
	v_add3_u32 v58, v58, v60, v59
	v_add3_u32 v36, v36, v62, v61
	s_delay_alu instid0(VALU_DEP_2) | instskip(NEXT) | instid1(VALU_DEP_2)
	v_lshlrev_b64 v[57:58], 2, v[57:58]
	v_lshlrev_b64 v[35:36], 2, v[35:36]
	s_delay_alu instid0(VALU_DEP_2) | instskip(NEXT) | instid1(VALU_DEP_3)
	v_add_co_u32 v57, vcc_lo, s10, v57
	v_add_co_ci_u32_e32 v58, vcc_lo, s11, v58, vcc_lo
	s_delay_alu instid0(VALU_DEP_3) | instskip(NEXT) | instid1(VALU_DEP_4)
	v_add_co_u32 v59, vcc_lo, s10, v35
	v_add_co_ci_u32_e32 v60, vcc_lo, s11, v36, vcc_lo
	s_clause 0x1
	global_load_b32 v61, v[57:58], off
	global_load_b32 v62, v[59:60], off
	v_mov_b32_e32 v35, 1
	v_mov_b32_e32 v36, 0
	s_waitcnt vmcnt(0)
	v_cmpx_eq_f32_e32 v61, v62
	s_cbranch_execz .LBB927_1098
; %bb.1091:
	v_add_co_u32 v35, vcc_lo, v59, 4
	v_add_co_ci_u32_e32 v36, vcc_lo, 0, v60, vcc_lo
	v_add_co_u32 v57, vcc_lo, v57, 4
	v_add_co_ci_u32_e32 v58, vcc_lo, 0, v58, vcc_lo
	s_add_u32 s12, s8, -1
	s_addc_u32 s13, s9, -1
	s_mov_b64 s[14:15], 0
	s_mov_b32 s19, 0
                                        ; implicit-def: $sgpr20
	s_set_inst_prefetch_distance 0x1
	s_branch .LBB927_1094
	.p2align	6
.LBB927_1092:                           ;   in Loop: Header=BB927_1094 Depth=1
	global_load_b32 v59, v[57:58], off
	global_load_b32 v60, v[35:36], off
	v_add_co_u32 v35, vcc_lo, v35, 4
	v_add_co_ci_u32_e32 v36, vcc_lo, 0, v36, vcc_lo
	v_add_co_u32 v57, s0, v57, 4
	s_delay_alu instid0(VALU_DEP_1)
	v_add_co_ci_u32_e64 v58, s0, 0, v58, s0
	s_add_u32 s14, s14, 1
	s_addc_u32 s15, s15, 0
	s_and_not1_b32 s0, s20, exec_lo
	s_waitcnt vmcnt(0)
	v_cmp_neq_f32_e32 vcc_lo, v59, v60
	s_and_b32 s20, vcc_lo, exec_lo
	s_delay_alu instid0(SALU_CYCLE_1)
	s_or_b32 s20, s0, s20
.LBB927_1093:                           ;   in Loop: Header=BB927_1094 Depth=1
	v_dual_mov_b32 v60, s15 :: v_dual_mov_b32 v59, s14
	s_and_b32 s0, exec_lo, s20
	s_delay_alu instid0(SALU_CYCLE_1) | instskip(NEXT) | instid1(SALU_CYCLE_1)
	s_or_b32 s19, s0, s19
	s_and_not1_b32 exec_lo, exec_lo, s19
	s_cbranch_execz .LBB927_1097
.LBB927_1094:                           ; =>This Inner Loop Header: Depth=1
	s_or_b32 s20, s20, exec_lo
	s_cmp_eq_u64 s[12:13], s[14:15]
	s_cbranch_scc0 .LBB927_1092
; %bb.1095:                             ;   in Loop: Header=BB927_1094 Depth=1
	s_mov_b64 s[14:15], s[8:9]
                                        ; implicit-def: $vgpr35_vgpr36
                                        ; implicit-def: $vgpr57_vgpr58
	s_branch .LBB927_1093
.LBB927_1096:
	v_mov_b32_e32 v35, 0
	v_mov_b32_e32 v36, 0
	s_branch .LBB927_1099
.LBB927_1097:
	s_set_inst_prefetch_distance 0x2
	s_or_b32 exec_lo, exec_lo, s19
	v_cmp_gt_i64_e32 vcc_lo, s[8:9], v[59:60]
	s_mov_b32 s0, 0
	s_delay_alu instid0(SALU_CYCLE_1)
	v_mov_b32_e32 v36, s0
	v_cndmask_b32_e64 v35, 0, 1, vcc_lo
.LBB927_1098:
	s_or_b32 exec_lo, exec_lo, s18
.LBB927_1099:
	s_delay_alu instid0(SALU_CYCLE_1) | instskip(SKIP_2) | instid1(VALU_DEP_1)
	s_or_b32 exec_lo, exec_lo, s3
	v_add_nc_u32_e32 v57, 12, v64
	s_mov_b32 s3, exec_lo
	v_cmpx_gt_u32_e64 s6, v57
	s_cbranch_execz .LBB927_1110
; %bb.1100:
	v_cmp_ne_u32_e32 vcc_lo, 1, v63
	s_cbranch_vccnz .LBB927_1107
; %bb.1101:
	v_mul_lo_u32 v59, v34, s8
	v_mul_lo_u32 v60, v33, s9
	v_mad_u64_u32 v[57:58], null, v33, s8, 0
	v_mul_lo_u32 v61, v32, s8
	v_mul_lo_u32 v62, v31, s9
	v_mad_u64_u32 v[33:34], null, v31, s8, 0
	s_mov_b32 s18, exec_lo
	s_delay_alu instid0(VALU_DEP_4) | instskip(NEXT) | instid1(VALU_DEP_2)
	v_add3_u32 v58, v58, v60, v59
	v_add3_u32 v34, v34, v62, v61
	s_delay_alu instid0(VALU_DEP_2) | instskip(NEXT) | instid1(VALU_DEP_2)
	v_lshlrev_b64 v[57:58], 2, v[57:58]
	v_lshlrev_b64 v[33:34], 2, v[33:34]
	s_delay_alu instid0(VALU_DEP_2) | instskip(NEXT) | instid1(VALU_DEP_3)
	v_add_co_u32 v57, vcc_lo, s10, v57
	v_add_co_ci_u32_e32 v58, vcc_lo, s11, v58, vcc_lo
	s_delay_alu instid0(VALU_DEP_3) | instskip(NEXT) | instid1(VALU_DEP_4)
	v_add_co_u32 v59, vcc_lo, s10, v33
	v_add_co_ci_u32_e32 v60, vcc_lo, s11, v34, vcc_lo
	s_clause 0x1
	global_load_b32 v61, v[57:58], off
	global_load_b32 v62, v[59:60], off
	v_mov_b32_e32 v33, 1
	v_mov_b32_e32 v34, 0
	s_waitcnt vmcnt(0)
	v_cmpx_eq_f32_e32 v61, v62
	s_cbranch_execz .LBB927_1109
; %bb.1102:
	v_add_co_u32 v33, vcc_lo, v59, 4
	v_add_co_ci_u32_e32 v34, vcc_lo, 0, v60, vcc_lo
	v_add_co_u32 v57, vcc_lo, v57, 4
	v_add_co_ci_u32_e32 v58, vcc_lo, 0, v58, vcc_lo
	s_add_u32 s12, s8, -1
	s_addc_u32 s13, s9, -1
	s_mov_b64 s[14:15], 0
	s_mov_b32 s19, 0
                                        ; implicit-def: $sgpr20
	s_set_inst_prefetch_distance 0x1
	s_branch .LBB927_1105
	.p2align	6
.LBB927_1103:                           ;   in Loop: Header=BB927_1105 Depth=1
	global_load_b32 v59, v[57:58], off
	global_load_b32 v60, v[33:34], off
	v_add_co_u32 v33, vcc_lo, v33, 4
	v_add_co_ci_u32_e32 v34, vcc_lo, 0, v34, vcc_lo
	v_add_co_u32 v57, s0, v57, 4
	s_delay_alu instid0(VALU_DEP_1)
	v_add_co_ci_u32_e64 v58, s0, 0, v58, s0
	s_add_u32 s14, s14, 1
	s_addc_u32 s15, s15, 0
	s_and_not1_b32 s0, s20, exec_lo
	s_waitcnt vmcnt(0)
	v_cmp_neq_f32_e32 vcc_lo, v59, v60
	s_and_b32 s20, vcc_lo, exec_lo
	s_delay_alu instid0(SALU_CYCLE_1)
	s_or_b32 s20, s0, s20
.LBB927_1104:                           ;   in Loop: Header=BB927_1105 Depth=1
	v_dual_mov_b32 v60, s15 :: v_dual_mov_b32 v59, s14
	s_and_b32 s0, exec_lo, s20
	s_delay_alu instid0(SALU_CYCLE_1) | instskip(NEXT) | instid1(SALU_CYCLE_1)
	s_or_b32 s19, s0, s19
	s_and_not1_b32 exec_lo, exec_lo, s19
	s_cbranch_execz .LBB927_1108
.LBB927_1105:                           ; =>This Inner Loop Header: Depth=1
	s_or_b32 s20, s20, exec_lo
	s_cmp_eq_u64 s[12:13], s[14:15]
	s_cbranch_scc0 .LBB927_1103
; %bb.1106:                             ;   in Loop: Header=BB927_1105 Depth=1
	s_mov_b64 s[14:15], s[8:9]
                                        ; implicit-def: $vgpr33_vgpr34
                                        ; implicit-def: $vgpr57_vgpr58
	s_branch .LBB927_1104
.LBB927_1107:
	v_mov_b32_e32 v33, 0
	v_mov_b32_e32 v34, 0
	s_branch .LBB927_1110
.LBB927_1108:
	s_set_inst_prefetch_distance 0x2
	s_or_b32 exec_lo, exec_lo, s19
	v_cmp_gt_i64_e32 vcc_lo, s[8:9], v[59:60]
	s_mov_b32 s0, 0
	s_delay_alu instid0(SALU_CYCLE_1)
	v_mov_b32_e32 v34, s0
	v_cndmask_b32_e64 v33, 0, 1, vcc_lo
.LBB927_1109:
	s_or_b32 exec_lo, exec_lo, s18
.LBB927_1110:
	s_delay_alu instid0(SALU_CYCLE_1) | instskip(SKIP_2) | instid1(VALU_DEP_1)
	s_or_b32 exec_lo, exec_lo, s3
	v_add_nc_u32_e32 v57, 11, v64
	s_mov_b32 s3, exec_lo
	v_cmpx_gt_u32_e64 s6, v57
	s_cbranch_execz .LBB927_1121
; %bb.1111:
	v_cmp_ne_u32_e32 vcc_lo, 1, v63
	s_cbranch_vccnz .LBB927_1118
; %bb.1112:
	v_mul_lo_u32 v59, v32, s8
	v_mul_lo_u32 v60, v31, s9
	v_mad_u64_u32 v[57:58], null, v31, s8, 0
	v_mul_lo_u32 v61, v30, s8
	v_mul_lo_u32 v62, v29, s9
	v_mad_u64_u32 v[31:32], null, v29, s8, 0
	s_mov_b32 s18, exec_lo
	s_delay_alu instid0(VALU_DEP_4) | instskip(NEXT) | instid1(VALU_DEP_2)
	v_add3_u32 v58, v58, v60, v59
	v_add3_u32 v32, v32, v62, v61
	s_delay_alu instid0(VALU_DEP_2) | instskip(NEXT) | instid1(VALU_DEP_2)
	v_lshlrev_b64 v[57:58], 2, v[57:58]
	v_lshlrev_b64 v[31:32], 2, v[31:32]
	s_delay_alu instid0(VALU_DEP_2) | instskip(NEXT) | instid1(VALU_DEP_3)
	v_add_co_u32 v57, vcc_lo, s10, v57
	v_add_co_ci_u32_e32 v58, vcc_lo, s11, v58, vcc_lo
	s_delay_alu instid0(VALU_DEP_3) | instskip(NEXT) | instid1(VALU_DEP_4)
	v_add_co_u32 v59, vcc_lo, s10, v31
	v_add_co_ci_u32_e32 v60, vcc_lo, s11, v32, vcc_lo
	s_clause 0x1
	global_load_b32 v61, v[57:58], off
	global_load_b32 v62, v[59:60], off
	v_mov_b32_e32 v31, 1
	v_mov_b32_e32 v32, 0
	s_waitcnt vmcnt(0)
	v_cmpx_eq_f32_e32 v61, v62
	s_cbranch_execz .LBB927_1120
; %bb.1113:
	v_add_co_u32 v31, vcc_lo, v59, 4
	v_add_co_ci_u32_e32 v32, vcc_lo, 0, v60, vcc_lo
	v_add_co_u32 v57, vcc_lo, v57, 4
	v_add_co_ci_u32_e32 v58, vcc_lo, 0, v58, vcc_lo
	s_add_u32 s12, s8, -1
	s_addc_u32 s13, s9, -1
	s_mov_b64 s[14:15], 0
	s_mov_b32 s19, 0
                                        ; implicit-def: $sgpr20
	s_set_inst_prefetch_distance 0x1
	s_branch .LBB927_1116
	.p2align	6
.LBB927_1114:                           ;   in Loop: Header=BB927_1116 Depth=1
	global_load_b32 v59, v[57:58], off
	global_load_b32 v60, v[31:32], off
	v_add_co_u32 v31, vcc_lo, v31, 4
	v_add_co_ci_u32_e32 v32, vcc_lo, 0, v32, vcc_lo
	v_add_co_u32 v57, s0, v57, 4
	s_delay_alu instid0(VALU_DEP_1)
	v_add_co_ci_u32_e64 v58, s0, 0, v58, s0
	s_add_u32 s14, s14, 1
	s_addc_u32 s15, s15, 0
	s_and_not1_b32 s0, s20, exec_lo
	s_waitcnt vmcnt(0)
	v_cmp_neq_f32_e32 vcc_lo, v59, v60
	s_and_b32 s20, vcc_lo, exec_lo
	s_delay_alu instid0(SALU_CYCLE_1)
	s_or_b32 s20, s0, s20
.LBB927_1115:                           ;   in Loop: Header=BB927_1116 Depth=1
	v_dual_mov_b32 v60, s15 :: v_dual_mov_b32 v59, s14
	s_and_b32 s0, exec_lo, s20
	s_delay_alu instid0(SALU_CYCLE_1) | instskip(NEXT) | instid1(SALU_CYCLE_1)
	s_or_b32 s19, s0, s19
	s_and_not1_b32 exec_lo, exec_lo, s19
	s_cbranch_execz .LBB927_1119
.LBB927_1116:                           ; =>This Inner Loop Header: Depth=1
	s_or_b32 s20, s20, exec_lo
	s_cmp_eq_u64 s[12:13], s[14:15]
	s_cbranch_scc0 .LBB927_1114
; %bb.1117:                             ;   in Loop: Header=BB927_1116 Depth=1
	s_mov_b64 s[14:15], s[8:9]
                                        ; implicit-def: $vgpr31_vgpr32
                                        ; implicit-def: $vgpr57_vgpr58
	s_branch .LBB927_1115
.LBB927_1118:
	v_mov_b32_e32 v31, 0
	v_mov_b32_e32 v32, 0
	s_branch .LBB927_1121
.LBB927_1119:
	s_set_inst_prefetch_distance 0x2
	s_or_b32 exec_lo, exec_lo, s19
	v_cmp_gt_i64_e32 vcc_lo, s[8:9], v[59:60]
	s_mov_b32 s0, 0
	s_delay_alu instid0(SALU_CYCLE_1)
	v_mov_b32_e32 v32, s0
	v_cndmask_b32_e64 v31, 0, 1, vcc_lo
.LBB927_1120:
	s_or_b32 exec_lo, exec_lo, s18
.LBB927_1121:
	s_delay_alu instid0(SALU_CYCLE_1) | instskip(SKIP_2) | instid1(VALU_DEP_1)
	s_or_b32 exec_lo, exec_lo, s3
	v_add_nc_u32_e32 v57, 10, v64
	s_mov_b32 s3, exec_lo
	v_cmpx_gt_u32_e64 s6, v57
	s_cbranch_execz .LBB927_1132
; %bb.1122:
	v_cmp_ne_u32_e32 vcc_lo, 1, v63
	s_cbranch_vccnz .LBB927_1129
; %bb.1123:
	v_mul_lo_u32 v59, v30, s8
	v_mul_lo_u32 v60, v29, s9
	v_mad_u64_u32 v[57:58], null, v29, s8, 0
	v_mul_lo_u32 v61, v28, s8
	v_mul_lo_u32 v62, v27, s9
	v_mad_u64_u32 v[29:30], null, v27, s8, 0
	s_mov_b32 s18, exec_lo
	s_delay_alu instid0(VALU_DEP_4) | instskip(NEXT) | instid1(VALU_DEP_2)
	v_add3_u32 v58, v58, v60, v59
	v_add3_u32 v30, v30, v62, v61
	s_delay_alu instid0(VALU_DEP_2) | instskip(NEXT) | instid1(VALU_DEP_2)
	v_lshlrev_b64 v[57:58], 2, v[57:58]
	v_lshlrev_b64 v[29:30], 2, v[29:30]
	s_delay_alu instid0(VALU_DEP_2) | instskip(NEXT) | instid1(VALU_DEP_3)
	v_add_co_u32 v57, vcc_lo, s10, v57
	v_add_co_ci_u32_e32 v58, vcc_lo, s11, v58, vcc_lo
	s_delay_alu instid0(VALU_DEP_3) | instskip(NEXT) | instid1(VALU_DEP_4)
	v_add_co_u32 v59, vcc_lo, s10, v29
	v_add_co_ci_u32_e32 v60, vcc_lo, s11, v30, vcc_lo
	s_clause 0x1
	global_load_b32 v61, v[57:58], off
	global_load_b32 v62, v[59:60], off
	v_mov_b32_e32 v29, 1
	v_mov_b32_e32 v30, 0
	s_waitcnt vmcnt(0)
	v_cmpx_eq_f32_e32 v61, v62
	s_cbranch_execz .LBB927_1131
; %bb.1124:
	v_add_co_u32 v29, vcc_lo, v59, 4
	v_add_co_ci_u32_e32 v30, vcc_lo, 0, v60, vcc_lo
	v_add_co_u32 v57, vcc_lo, v57, 4
	v_add_co_ci_u32_e32 v58, vcc_lo, 0, v58, vcc_lo
	s_add_u32 s12, s8, -1
	s_addc_u32 s13, s9, -1
	s_mov_b64 s[14:15], 0
	s_mov_b32 s19, 0
                                        ; implicit-def: $sgpr20
	s_set_inst_prefetch_distance 0x1
	s_branch .LBB927_1127
	.p2align	6
.LBB927_1125:                           ;   in Loop: Header=BB927_1127 Depth=1
	global_load_b32 v59, v[57:58], off
	global_load_b32 v60, v[29:30], off
	v_add_co_u32 v29, vcc_lo, v29, 4
	v_add_co_ci_u32_e32 v30, vcc_lo, 0, v30, vcc_lo
	v_add_co_u32 v57, s0, v57, 4
	s_delay_alu instid0(VALU_DEP_1)
	v_add_co_ci_u32_e64 v58, s0, 0, v58, s0
	s_add_u32 s14, s14, 1
	s_addc_u32 s15, s15, 0
	s_and_not1_b32 s0, s20, exec_lo
	s_waitcnt vmcnt(0)
	v_cmp_neq_f32_e32 vcc_lo, v59, v60
	s_and_b32 s20, vcc_lo, exec_lo
	s_delay_alu instid0(SALU_CYCLE_1)
	s_or_b32 s20, s0, s20
.LBB927_1126:                           ;   in Loop: Header=BB927_1127 Depth=1
	v_dual_mov_b32 v60, s15 :: v_dual_mov_b32 v59, s14
	s_and_b32 s0, exec_lo, s20
	s_delay_alu instid0(SALU_CYCLE_1) | instskip(NEXT) | instid1(SALU_CYCLE_1)
	s_or_b32 s19, s0, s19
	s_and_not1_b32 exec_lo, exec_lo, s19
	s_cbranch_execz .LBB927_1130
.LBB927_1127:                           ; =>This Inner Loop Header: Depth=1
	s_or_b32 s20, s20, exec_lo
	s_cmp_eq_u64 s[12:13], s[14:15]
	s_cbranch_scc0 .LBB927_1125
; %bb.1128:                             ;   in Loop: Header=BB927_1127 Depth=1
	s_mov_b64 s[14:15], s[8:9]
                                        ; implicit-def: $vgpr29_vgpr30
                                        ; implicit-def: $vgpr57_vgpr58
	s_branch .LBB927_1126
.LBB927_1129:
	v_mov_b32_e32 v29, 0
	v_mov_b32_e32 v30, 0
	s_branch .LBB927_1132
.LBB927_1130:
	s_set_inst_prefetch_distance 0x2
	s_or_b32 exec_lo, exec_lo, s19
	v_cmp_gt_i64_e32 vcc_lo, s[8:9], v[59:60]
	s_mov_b32 s0, 0
	s_delay_alu instid0(SALU_CYCLE_1)
	v_mov_b32_e32 v30, s0
	v_cndmask_b32_e64 v29, 0, 1, vcc_lo
.LBB927_1131:
	s_or_b32 exec_lo, exec_lo, s18
.LBB927_1132:
	s_delay_alu instid0(SALU_CYCLE_1) | instskip(SKIP_2) | instid1(VALU_DEP_1)
	s_or_b32 exec_lo, exec_lo, s3
	v_add_nc_u32_e32 v57, 9, v64
	s_mov_b32 s3, exec_lo
	v_cmpx_gt_u32_e64 s6, v57
	s_cbranch_execz .LBB927_1143
; %bb.1133:
	v_cmp_ne_u32_e32 vcc_lo, 1, v63
	s_cbranch_vccnz .LBB927_1140
; %bb.1134:
	v_mul_lo_u32 v59, v28, s8
	v_mul_lo_u32 v60, v27, s9
	v_mad_u64_u32 v[57:58], null, v27, s8, 0
	v_mul_lo_u32 v61, v26, s8
	v_mul_lo_u32 v62, v25, s9
	v_mad_u64_u32 v[27:28], null, v25, s8, 0
	s_mov_b32 s18, exec_lo
	s_delay_alu instid0(VALU_DEP_4) | instskip(NEXT) | instid1(VALU_DEP_2)
	v_add3_u32 v58, v58, v60, v59
	v_add3_u32 v28, v28, v62, v61
	s_delay_alu instid0(VALU_DEP_2) | instskip(NEXT) | instid1(VALU_DEP_2)
	v_lshlrev_b64 v[57:58], 2, v[57:58]
	v_lshlrev_b64 v[27:28], 2, v[27:28]
	s_delay_alu instid0(VALU_DEP_2) | instskip(NEXT) | instid1(VALU_DEP_3)
	v_add_co_u32 v57, vcc_lo, s10, v57
	v_add_co_ci_u32_e32 v58, vcc_lo, s11, v58, vcc_lo
	s_delay_alu instid0(VALU_DEP_3) | instskip(NEXT) | instid1(VALU_DEP_4)
	v_add_co_u32 v59, vcc_lo, s10, v27
	v_add_co_ci_u32_e32 v60, vcc_lo, s11, v28, vcc_lo
	s_clause 0x1
	global_load_b32 v61, v[57:58], off
	global_load_b32 v62, v[59:60], off
	v_mov_b32_e32 v27, 1
	v_mov_b32_e32 v28, 0
	s_waitcnt vmcnt(0)
	v_cmpx_eq_f32_e32 v61, v62
	s_cbranch_execz .LBB927_1142
; %bb.1135:
	v_add_co_u32 v27, vcc_lo, v59, 4
	v_add_co_ci_u32_e32 v28, vcc_lo, 0, v60, vcc_lo
	v_add_co_u32 v57, vcc_lo, v57, 4
	v_add_co_ci_u32_e32 v58, vcc_lo, 0, v58, vcc_lo
	s_add_u32 s12, s8, -1
	s_addc_u32 s13, s9, -1
	s_mov_b64 s[14:15], 0
	s_mov_b32 s19, 0
                                        ; implicit-def: $sgpr20
	s_set_inst_prefetch_distance 0x1
	s_branch .LBB927_1138
	.p2align	6
.LBB927_1136:                           ;   in Loop: Header=BB927_1138 Depth=1
	global_load_b32 v59, v[57:58], off
	global_load_b32 v60, v[27:28], off
	v_add_co_u32 v27, vcc_lo, v27, 4
	v_add_co_ci_u32_e32 v28, vcc_lo, 0, v28, vcc_lo
	v_add_co_u32 v57, s0, v57, 4
	s_delay_alu instid0(VALU_DEP_1)
	v_add_co_ci_u32_e64 v58, s0, 0, v58, s0
	s_add_u32 s14, s14, 1
	s_addc_u32 s15, s15, 0
	s_and_not1_b32 s0, s20, exec_lo
	s_waitcnt vmcnt(0)
	v_cmp_neq_f32_e32 vcc_lo, v59, v60
	s_and_b32 s20, vcc_lo, exec_lo
	s_delay_alu instid0(SALU_CYCLE_1)
	s_or_b32 s20, s0, s20
.LBB927_1137:                           ;   in Loop: Header=BB927_1138 Depth=1
	v_dual_mov_b32 v60, s15 :: v_dual_mov_b32 v59, s14
	s_and_b32 s0, exec_lo, s20
	s_delay_alu instid0(SALU_CYCLE_1) | instskip(NEXT) | instid1(SALU_CYCLE_1)
	s_or_b32 s19, s0, s19
	s_and_not1_b32 exec_lo, exec_lo, s19
	s_cbranch_execz .LBB927_1141
.LBB927_1138:                           ; =>This Inner Loop Header: Depth=1
	s_or_b32 s20, s20, exec_lo
	s_cmp_eq_u64 s[12:13], s[14:15]
	s_cbranch_scc0 .LBB927_1136
; %bb.1139:                             ;   in Loop: Header=BB927_1138 Depth=1
	s_mov_b64 s[14:15], s[8:9]
                                        ; implicit-def: $vgpr27_vgpr28
                                        ; implicit-def: $vgpr57_vgpr58
	s_branch .LBB927_1137
.LBB927_1140:
	v_mov_b32_e32 v27, 0
	v_mov_b32_e32 v28, 0
	s_branch .LBB927_1143
.LBB927_1141:
	s_set_inst_prefetch_distance 0x2
	s_or_b32 exec_lo, exec_lo, s19
	v_cmp_gt_i64_e32 vcc_lo, s[8:9], v[59:60]
	s_mov_b32 s0, 0
	s_delay_alu instid0(SALU_CYCLE_1)
	v_mov_b32_e32 v28, s0
	v_cndmask_b32_e64 v27, 0, 1, vcc_lo
.LBB927_1142:
	s_or_b32 exec_lo, exec_lo, s18
.LBB927_1143:
	s_delay_alu instid0(SALU_CYCLE_1) | instskip(SKIP_2) | instid1(VALU_DEP_1)
	s_or_b32 exec_lo, exec_lo, s3
	v_add_nc_u32_e32 v57, 8, v64
	s_mov_b32 s3, exec_lo
	v_cmpx_gt_u32_e64 s6, v57
	s_cbranch_execz .LBB927_1154
; %bb.1144:
	v_cmp_ne_u32_e32 vcc_lo, 1, v63
	s_cbranch_vccnz .LBB927_1151
; %bb.1145:
	v_mul_lo_u32 v59, v26, s8
	v_mul_lo_u32 v60, v25, s9
	v_mad_u64_u32 v[57:58], null, v25, s8, 0
	v_mul_lo_u32 v61, v24, s8
	v_mul_lo_u32 v62, v23, s9
	v_mad_u64_u32 v[25:26], null, v23, s8, 0
	s_mov_b32 s18, exec_lo
	s_delay_alu instid0(VALU_DEP_4) | instskip(NEXT) | instid1(VALU_DEP_2)
	v_add3_u32 v58, v58, v60, v59
	v_add3_u32 v26, v26, v62, v61
	s_delay_alu instid0(VALU_DEP_2) | instskip(NEXT) | instid1(VALU_DEP_2)
	v_lshlrev_b64 v[57:58], 2, v[57:58]
	v_lshlrev_b64 v[25:26], 2, v[25:26]
	s_delay_alu instid0(VALU_DEP_2) | instskip(NEXT) | instid1(VALU_DEP_3)
	v_add_co_u32 v57, vcc_lo, s10, v57
	v_add_co_ci_u32_e32 v58, vcc_lo, s11, v58, vcc_lo
	s_delay_alu instid0(VALU_DEP_3) | instskip(NEXT) | instid1(VALU_DEP_4)
	v_add_co_u32 v59, vcc_lo, s10, v25
	v_add_co_ci_u32_e32 v60, vcc_lo, s11, v26, vcc_lo
	s_clause 0x1
	global_load_b32 v61, v[57:58], off
	global_load_b32 v62, v[59:60], off
	v_mov_b32_e32 v25, 1
	v_mov_b32_e32 v26, 0
	s_waitcnt vmcnt(0)
	v_cmpx_eq_f32_e32 v61, v62
	s_cbranch_execz .LBB927_1153
; %bb.1146:
	v_add_co_u32 v25, vcc_lo, v59, 4
	v_add_co_ci_u32_e32 v26, vcc_lo, 0, v60, vcc_lo
	v_add_co_u32 v57, vcc_lo, v57, 4
	v_add_co_ci_u32_e32 v58, vcc_lo, 0, v58, vcc_lo
	s_add_u32 s12, s8, -1
	s_addc_u32 s13, s9, -1
	s_mov_b64 s[14:15], 0
	s_mov_b32 s19, 0
                                        ; implicit-def: $sgpr20
	s_set_inst_prefetch_distance 0x1
	s_branch .LBB927_1149
	.p2align	6
.LBB927_1147:                           ;   in Loop: Header=BB927_1149 Depth=1
	global_load_b32 v59, v[57:58], off
	global_load_b32 v60, v[25:26], off
	v_add_co_u32 v25, vcc_lo, v25, 4
	v_add_co_ci_u32_e32 v26, vcc_lo, 0, v26, vcc_lo
	v_add_co_u32 v57, s0, v57, 4
	s_delay_alu instid0(VALU_DEP_1)
	v_add_co_ci_u32_e64 v58, s0, 0, v58, s0
	s_add_u32 s14, s14, 1
	s_addc_u32 s15, s15, 0
	s_and_not1_b32 s0, s20, exec_lo
	s_waitcnt vmcnt(0)
	v_cmp_neq_f32_e32 vcc_lo, v59, v60
	s_and_b32 s20, vcc_lo, exec_lo
	s_delay_alu instid0(SALU_CYCLE_1)
	s_or_b32 s20, s0, s20
.LBB927_1148:                           ;   in Loop: Header=BB927_1149 Depth=1
	v_dual_mov_b32 v60, s15 :: v_dual_mov_b32 v59, s14
	s_and_b32 s0, exec_lo, s20
	s_delay_alu instid0(SALU_CYCLE_1) | instskip(NEXT) | instid1(SALU_CYCLE_1)
	s_or_b32 s19, s0, s19
	s_and_not1_b32 exec_lo, exec_lo, s19
	s_cbranch_execz .LBB927_1152
.LBB927_1149:                           ; =>This Inner Loop Header: Depth=1
	s_or_b32 s20, s20, exec_lo
	s_cmp_eq_u64 s[12:13], s[14:15]
	s_cbranch_scc0 .LBB927_1147
; %bb.1150:                             ;   in Loop: Header=BB927_1149 Depth=1
	s_mov_b64 s[14:15], s[8:9]
                                        ; implicit-def: $vgpr25_vgpr26
                                        ; implicit-def: $vgpr57_vgpr58
	s_branch .LBB927_1148
.LBB927_1151:
	v_mov_b32_e32 v25, 0
	v_mov_b32_e32 v26, 0
	s_branch .LBB927_1154
.LBB927_1152:
	s_set_inst_prefetch_distance 0x2
	s_or_b32 exec_lo, exec_lo, s19
	v_cmp_gt_i64_e32 vcc_lo, s[8:9], v[59:60]
	s_mov_b32 s0, 0
	s_delay_alu instid0(SALU_CYCLE_1)
	v_mov_b32_e32 v26, s0
	v_cndmask_b32_e64 v25, 0, 1, vcc_lo
.LBB927_1153:
	s_or_b32 exec_lo, exec_lo, s18
.LBB927_1154:
	s_delay_alu instid0(SALU_CYCLE_1) | instskip(SKIP_2) | instid1(VALU_DEP_1)
	s_or_b32 exec_lo, exec_lo, s3
	v_add_nc_u32_e32 v57, 7, v64
	s_mov_b32 s3, exec_lo
	v_cmpx_gt_u32_e64 s6, v57
	s_cbranch_execz .LBB927_1165
; %bb.1155:
	v_cmp_ne_u32_e32 vcc_lo, 1, v63
	s_cbranch_vccnz .LBB927_1162
; %bb.1156:
	v_mul_lo_u32 v59, v24, s8
	v_mul_lo_u32 v60, v23, s9
	v_mad_u64_u32 v[57:58], null, v23, s8, 0
	v_mul_lo_u32 v61, v22, s8
	v_mul_lo_u32 v62, v21, s9
	v_mad_u64_u32 v[23:24], null, v21, s8, 0
	s_mov_b32 s18, exec_lo
	s_delay_alu instid0(VALU_DEP_4) | instskip(NEXT) | instid1(VALU_DEP_2)
	v_add3_u32 v58, v58, v60, v59
	v_add3_u32 v24, v24, v62, v61
	s_delay_alu instid0(VALU_DEP_2) | instskip(NEXT) | instid1(VALU_DEP_2)
	v_lshlrev_b64 v[57:58], 2, v[57:58]
	v_lshlrev_b64 v[23:24], 2, v[23:24]
	s_delay_alu instid0(VALU_DEP_2) | instskip(NEXT) | instid1(VALU_DEP_3)
	v_add_co_u32 v57, vcc_lo, s10, v57
	v_add_co_ci_u32_e32 v58, vcc_lo, s11, v58, vcc_lo
	s_delay_alu instid0(VALU_DEP_3) | instskip(NEXT) | instid1(VALU_DEP_4)
	v_add_co_u32 v59, vcc_lo, s10, v23
	v_add_co_ci_u32_e32 v60, vcc_lo, s11, v24, vcc_lo
	s_clause 0x1
	global_load_b32 v61, v[57:58], off
	global_load_b32 v62, v[59:60], off
	v_mov_b32_e32 v23, 1
	v_mov_b32_e32 v24, 0
	s_waitcnt vmcnt(0)
	v_cmpx_eq_f32_e32 v61, v62
	s_cbranch_execz .LBB927_1164
; %bb.1157:
	v_add_co_u32 v23, vcc_lo, v59, 4
	v_add_co_ci_u32_e32 v24, vcc_lo, 0, v60, vcc_lo
	v_add_co_u32 v57, vcc_lo, v57, 4
	v_add_co_ci_u32_e32 v58, vcc_lo, 0, v58, vcc_lo
	s_add_u32 s12, s8, -1
	s_addc_u32 s13, s9, -1
	s_mov_b64 s[14:15], 0
	s_mov_b32 s19, 0
                                        ; implicit-def: $sgpr20
	s_set_inst_prefetch_distance 0x1
	s_branch .LBB927_1160
	.p2align	6
.LBB927_1158:                           ;   in Loop: Header=BB927_1160 Depth=1
	global_load_b32 v59, v[57:58], off
	global_load_b32 v60, v[23:24], off
	v_add_co_u32 v23, vcc_lo, v23, 4
	v_add_co_ci_u32_e32 v24, vcc_lo, 0, v24, vcc_lo
	v_add_co_u32 v57, s0, v57, 4
	s_delay_alu instid0(VALU_DEP_1)
	v_add_co_ci_u32_e64 v58, s0, 0, v58, s0
	s_add_u32 s14, s14, 1
	s_addc_u32 s15, s15, 0
	s_and_not1_b32 s0, s20, exec_lo
	s_waitcnt vmcnt(0)
	v_cmp_neq_f32_e32 vcc_lo, v59, v60
	s_and_b32 s20, vcc_lo, exec_lo
	s_delay_alu instid0(SALU_CYCLE_1)
	s_or_b32 s20, s0, s20
.LBB927_1159:                           ;   in Loop: Header=BB927_1160 Depth=1
	v_dual_mov_b32 v60, s15 :: v_dual_mov_b32 v59, s14
	s_and_b32 s0, exec_lo, s20
	s_delay_alu instid0(SALU_CYCLE_1) | instskip(NEXT) | instid1(SALU_CYCLE_1)
	s_or_b32 s19, s0, s19
	s_and_not1_b32 exec_lo, exec_lo, s19
	s_cbranch_execz .LBB927_1163
.LBB927_1160:                           ; =>This Inner Loop Header: Depth=1
	s_or_b32 s20, s20, exec_lo
	s_cmp_eq_u64 s[12:13], s[14:15]
	s_cbranch_scc0 .LBB927_1158
; %bb.1161:                             ;   in Loop: Header=BB927_1160 Depth=1
	s_mov_b64 s[14:15], s[8:9]
                                        ; implicit-def: $vgpr23_vgpr24
                                        ; implicit-def: $vgpr57_vgpr58
	s_branch .LBB927_1159
.LBB927_1162:
	v_mov_b32_e32 v23, 0
	v_mov_b32_e32 v24, 0
	s_branch .LBB927_1165
.LBB927_1163:
	s_set_inst_prefetch_distance 0x2
	s_or_b32 exec_lo, exec_lo, s19
	v_cmp_gt_i64_e32 vcc_lo, s[8:9], v[59:60]
	s_mov_b32 s0, 0
	s_delay_alu instid0(SALU_CYCLE_1)
	v_mov_b32_e32 v24, s0
	v_cndmask_b32_e64 v23, 0, 1, vcc_lo
.LBB927_1164:
	s_or_b32 exec_lo, exec_lo, s18
.LBB927_1165:
	s_delay_alu instid0(SALU_CYCLE_1) | instskip(SKIP_2) | instid1(VALU_DEP_1)
	s_or_b32 exec_lo, exec_lo, s3
	v_add_nc_u32_e32 v57, 6, v64
	s_mov_b32 s3, exec_lo
	v_cmpx_gt_u32_e64 s6, v57
	s_cbranch_execz .LBB927_1176
; %bb.1166:
	v_cmp_ne_u32_e32 vcc_lo, 1, v63
	s_cbranch_vccnz .LBB927_1173
; %bb.1167:
	v_mul_lo_u32 v59, v22, s8
	v_mul_lo_u32 v60, v21, s9
	v_mad_u64_u32 v[57:58], null, v21, s8, 0
	v_mul_lo_u32 v61, v20, s8
	v_mul_lo_u32 v62, v19, s9
	v_mad_u64_u32 v[21:22], null, v19, s8, 0
	s_mov_b32 s18, exec_lo
	s_delay_alu instid0(VALU_DEP_4) | instskip(NEXT) | instid1(VALU_DEP_2)
	v_add3_u32 v58, v58, v60, v59
	v_add3_u32 v22, v22, v62, v61
	s_delay_alu instid0(VALU_DEP_2) | instskip(NEXT) | instid1(VALU_DEP_2)
	v_lshlrev_b64 v[57:58], 2, v[57:58]
	v_lshlrev_b64 v[21:22], 2, v[21:22]
	s_delay_alu instid0(VALU_DEP_2) | instskip(NEXT) | instid1(VALU_DEP_3)
	v_add_co_u32 v57, vcc_lo, s10, v57
	v_add_co_ci_u32_e32 v58, vcc_lo, s11, v58, vcc_lo
	s_delay_alu instid0(VALU_DEP_3) | instskip(NEXT) | instid1(VALU_DEP_4)
	v_add_co_u32 v59, vcc_lo, s10, v21
	v_add_co_ci_u32_e32 v60, vcc_lo, s11, v22, vcc_lo
	s_clause 0x1
	global_load_b32 v61, v[57:58], off
	global_load_b32 v62, v[59:60], off
	v_mov_b32_e32 v21, 1
	v_mov_b32_e32 v22, 0
	s_waitcnt vmcnt(0)
	v_cmpx_eq_f32_e32 v61, v62
	s_cbranch_execz .LBB927_1175
; %bb.1168:
	v_add_co_u32 v21, vcc_lo, v59, 4
	v_add_co_ci_u32_e32 v22, vcc_lo, 0, v60, vcc_lo
	v_add_co_u32 v57, vcc_lo, v57, 4
	v_add_co_ci_u32_e32 v58, vcc_lo, 0, v58, vcc_lo
	s_add_u32 s12, s8, -1
	s_addc_u32 s13, s9, -1
	s_mov_b64 s[14:15], 0
	s_mov_b32 s19, 0
                                        ; implicit-def: $sgpr20
	s_set_inst_prefetch_distance 0x1
	s_branch .LBB927_1171
	.p2align	6
.LBB927_1169:                           ;   in Loop: Header=BB927_1171 Depth=1
	global_load_b32 v59, v[57:58], off
	global_load_b32 v60, v[21:22], off
	v_add_co_u32 v21, vcc_lo, v21, 4
	v_add_co_ci_u32_e32 v22, vcc_lo, 0, v22, vcc_lo
	v_add_co_u32 v57, s0, v57, 4
	s_delay_alu instid0(VALU_DEP_1)
	v_add_co_ci_u32_e64 v58, s0, 0, v58, s0
	s_add_u32 s14, s14, 1
	s_addc_u32 s15, s15, 0
	s_and_not1_b32 s0, s20, exec_lo
	s_waitcnt vmcnt(0)
	v_cmp_neq_f32_e32 vcc_lo, v59, v60
	s_and_b32 s20, vcc_lo, exec_lo
	s_delay_alu instid0(SALU_CYCLE_1)
	s_or_b32 s20, s0, s20
.LBB927_1170:                           ;   in Loop: Header=BB927_1171 Depth=1
	v_dual_mov_b32 v60, s15 :: v_dual_mov_b32 v59, s14
	s_and_b32 s0, exec_lo, s20
	s_delay_alu instid0(SALU_CYCLE_1) | instskip(NEXT) | instid1(SALU_CYCLE_1)
	s_or_b32 s19, s0, s19
	s_and_not1_b32 exec_lo, exec_lo, s19
	s_cbranch_execz .LBB927_1174
.LBB927_1171:                           ; =>This Inner Loop Header: Depth=1
	s_or_b32 s20, s20, exec_lo
	s_cmp_eq_u64 s[12:13], s[14:15]
	s_cbranch_scc0 .LBB927_1169
; %bb.1172:                             ;   in Loop: Header=BB927_1171 Depth=1
	s_mov_b64 s[14:15], s[8:9]
                                        ; implicit-def: $vgpr21_vgpr22
                                        ; implicit-def: $vgpr57_vgpr58
	s_branch .LBB927_1170
.LBB927_1173:
	v_mov_b32_e32 v21, 0
	v_mov_b32_e32 v22, 0
	s_branch .LBB927_1176
.LBB927_1174:
	s_set_inst_prefetch_distance 0x2
	s_or_b32 exec_lo, exec_lo, s19
	v_cmp_gt_i64_e32 vcc_lo, s[8:9], v[59:60]
	s_mov_b32 s0, 0
	s_delay_alu instid0(SALU_CYCLE_1)
	v_mov_b32_e32 v22, s0
	v_cndmask_b32_e64 v21, 0, 1, vcc_lo
.LBB927_1175:
	s_or_b32 exec_lo, exec_lo, s18
.LBB927_1176:
	s_delay_alu instid0(SALU_CYCLE_1) | instskip(SKIP_2) | instid1(VALU_DEP_1)
	s_or_b32 exec_lo, exec_lo, s3
	v_add_nc_u32_e32 v57, 5, v64
	s_mov_b32 s3, exec_lo
	v_cmpx_gt_u32_e64 s6, v57
	s_cbranch_execz .LBB927_1187
; %bb.1177:
	v_cmp_ne_u32_e32 vcc_lo, 1, v63
	s_cbranch_vccnz .LBB927_1184
; %bb.1178:
	v_mul_lo_u32 v59, v20, s8
	v_mul_lo_u32 v60, v19, s9
	v_mad_u64_u32 v[57:58], null, v19, s8, 0
	v_mul_lo_u32 v61, v18, s8
	v_mul_lo_u32 v62, v17, s9
	v_mad_u64_u32 v[19:20], null, v17, s8, 0
	s_mov_b32 s18, exec_lo
	s_delay_alu instid0(VALU_DEP_4) | instskip(NEXT) | instid1(VALU_DEP_2)
	v_add3_u32 v58, v58, v60, v59
	v_add3_u32 v20, v20, v62, v61
	s_delay_alu instid0(VALU_DEP_2) | instskip(NEXT) | instid1(VALU_DEP_2)
	v_lshlrev_b64 v[57:58], 2, v[57:58]
	v_lshlrev_b64 v[19:20], 2, v[19:20]
	s_delay_alu instid0(VALU_DEP_2) | instskip(NEXT) | instid1(VALU_DEP_3)
	v_add_co_u32 v57, vcc_lo, s10, v57
	v_add_co_ci_u32_e32 v58, vcc_lo, s11, v58, vcc_lo
	s_delay_alu instid0(VALU_DEP_3) | instskip(NEXT) | instid1(VALU_DEP_4)
	v_add_co_u32 v59, vcc_lo, s10, v19
	v_add_co_ci_u32_e32 v60, vcc_lo, s11, v20, vcc_lo
	s_clause 0x1
	global_load_b32 v61, v[57:58], off
	global_load_b32 v62, v[59:60], off
	v_mov_b32_e32 v19, 1
	v_mov_b32_e32 v20, 0
	s_waitcnt vmcnt(0)
	v_cmpx_eq_f32_e32 v61, v62
	s_cbranch_execz .LBB927_1186
; %bb.1179:
	v_add_co_u32 v19, vcc_lo, v59, 4
	v_add_co_ci_u32_e32 v20, vcc_lo, 0, v60, vcc_lo
	v_add_co_u32 v57, vcc_lo, v57, 4
	v_add_co_ci_u32_e32 v58, vcc_lo, 0, v58, vcc_lo
	s_add_u32 s12, s8, -1
	s_addc_u32 s13, s9, -1
	s_mov_b64 s[14:15], 0
	s_mov_b32 s19, 0
                                        ; implicit-def: $sgpr20
	s_set_inst_prefetch_distance 0x1
	s_branch .LBB927_1182
	.p2align	6
.LBB927_1180:                           ;   in Loop: Header=BB927_1182 Depth=1
	global_load_b32 v59, v[57:58], off
	global_load_b32 v60, v[19:20], off
	v_add_co_u32 v19, vcc_lo, v19, 4
	v_add_co_ci_u32_e32 v20, vcc_lo, 0, v20, vcc_lo
	v_add_co_u32 v57, s0, v57, 4
	s_delay_alu instid0(VALU_DEP_1)
	v_add_co_ci_u32_e64 v58, s0, 0, v58, s0
	s_add_u32 s14, s14, 1
	s_addc_u32 s15, s15, 0
	s_and_not1_b32 s0, s20, exec_lo
	s_waitcnt vmcnt(0)
	v_cmp_neq_f32_e32 vcc_lo, v59, v60
	s_and_b32 s20, vcc_lo, exec_lo
	s_delay_alu instid0(SALU_CYCLE_1)
	s_or_b32 s20, s0, s20
.LBB927_1181:                           ;   in Loop: Header=BB927_1182 Depth=1
	v_dual_mov_b32 v60, s15 :: v_dual_mov_b32 v59, s14
	s_and_b32 s0, exec_lo, s20
	s_delay_alu instid0(SALU_CYCLE_1) | instskip(NEXT) | instid1(SALU_CYCLE_1)
	s_or_b32 s19, s0, s19
	s_and_not1_b32 exec_lo, exec_lo, s19
	s_cbranch_execz .LBB927_1185
.LBB927_1182:                           ; =>This Inner Loop Header: Depth=1
	s_or_b32 s20, s20, exec_lo
	s_cmp_eq_u64 s[12:13], s[14:15]
	s_cbranch_scc0 .LBB927_1180
; %bb.1183:                             ;   in Loop: Header=BB927_1182 Depth=1
	s_mov_b64 s[14:15], s[8:9]
                                        ; implicit-def: $vgpr19_vgpr20
                                        ; implicit-def: $vgpr57_vgpr58
	s_branch .LBB927_1181
.LBB927_1184:
	v_mov_b32_e32 v19, 0
	v_mov_b32_e32 v20, 0
	s_branch .LBB927_1187
.LBB927_1185:
	s_set_inst_prefetch_distance 0x2
	s_or_b32 exec_lo, exec_lo, s19
	v_cmp_gt_i64_e32 vcc_lo, s[8:9], v[59:60]
	s_mov_b32 s0, 0
	s_delay_alu instid0(SALU_CYCLE_1)
	v_mov_b32_e32 v20, s0
	v_cndmask_b32_e64 v19, 0, 1, vcc_lo
.LBB927_1186:
	s_or_b32 exec_lo, exec_lo, s18
.LBB927_1187:
	s_delay_alu instid0(SALU_CYCLE_1) | instskip(SKIP_2) | instid1(VALU_DEP_1)
	s_or_b32 exec_lo, exec_lo, s3
	v_add_nc_u32_e32 v57, 4, v64
	s_mov_b32 s3, exec_lo
	v_cmpx_gt_u32_e64 s6, v57
	s_cbranch_execz .LBB927_1198
; %bb.1188:
	v_cmp_ne_u32_e32 vcc_lo, 1, v63
	s_cbranch_vccnz .LBB927_1195
; %bb.1189:
	v_mul_lo_u32 v59, v18, s8
	v_mul_lo_u32 v60, v17, s9
	v_mad_u64_u32 v[57:58], null, v17, s8, 0
	v_mul_lo_u32 v61, v16, s8
	v_mul_lo_u32 v62, v15, s9
	v_mad_u64_u32 v[17:18], null, v15, s8, 0
	s_mov_b32 s18, exec_lo
	s_delay_alu instid0(VALU_DEP_4) | instskip(NEXT) | instid1(VALU_DEP_2)
	v_add3_u32 v58, v58, v60, v59
	v_add3_u32 v18, v18, v62, v61
	s_delay_alu instid0(VALU_DEP_2) | instskip(NEXT) | instid1(VALU_DEP_2)
	v_lshlrev_b64 v[57:58], 2, v[57:58]
	v_lshlrev_b64 v[17:18], 2, v[17:18]
	s_delay_alu instid0(VALU_DEP_2) | instskip(NEXT) | instid1(VALU_DEP_3)
	v_add_co_u32 v57, vcc_lo, s10, v57
	v_add_co_ci_u32_e32 v58, vcc_lo, s11, v58, vcc_lo
	s_delay_alu instid0(VALU_DEP_3) | instskip(NEXT) | instid1(VALU_DEP_4)
	v_add_co_u32 v59, vcc_lo, s10, v17
	v_add_co_ci_u32_e32 v60, vcc_lo, s11, v18, vcc_lo
	s_clause 0x1
	global_load_b32 v61, v[57:58], off
	global_load_b32 v62, v[59:60], off
	v_mov_b32_e32 v17, 1
	v_mov_b32_e32 v18, 0
	s_waitcnt vmcnt(0)
	v_cmpx_eq_f32_e32 v61, v62
	s_cbranch_execz .LBB927_1197
; %bb.1190:
	v_add_co_u32 v17, vcc_lo, v59, 4
	v_add_co_ci_u32_e32 v18, vcc_lo, 0, v60, vcc_lo
	v_add_co_u32 v57, vcc_lo, v57, 4
	v_add_co_ci_u32_e32 v58, vcc_lo, 0, v58, vcc_lo
	s_add_u32 s12, s8, -1
	s_addc_u32 s13, s9, -1
	s_mov_b64 s[14:15], 0
	s_mov_b32 s19, 0
                                        ; implicit-def: $sgpr20
	s_set_inst_prefetch_distance 0x1
	s_branch .LBB927_1193
	.p2align	6
.LBB927_1191:                           ;   in Loop: Header=BB927_1193 Depth=1
	global_load_b32 v59, v[57:58], off
	global_load_b32 v60, v[17:18], off
	v_add_co_u32 v17, vcc_lo, v17, 4
	v_add_co_ci_u32_e32 v18, vcc_lo, 0, v18, vcc_lo
	v_add_co_u32 v57, s0, v57, 4
	s_delay_alu instid0(VALU_DEP_1)
	v_add_co_ci_u32_e64 v58, s0, 0, v58, s0
	s_add_u32 s14, s14, 1
	s_addc_u32 s15, s15, 0
	s_and_not1_b32 s0, s20, exec_lo
	s_waitcnt vmcnt(0)
	v_cmp_neq_f32_e32 vcc_lo, v59, v60
	s_and_b32 s20, vcc_lo, exec_lo
	s_delay_alu instid0(SALU_CYCLE_1)
	s_or_b32 s20, s0, s20
.LBB927_1192:                           ;   in Loop: Header=BB927_1193 Depth=1
	v_dual_mov_b32 v60, s15 :: v_dual_mov_b32 v59, s14
	s_and_b32 s0, exec_lo, s20
	s_delay_alu instid0(SALU_CYCLE_1) | instskip(NEXT) | instid1(SALU_CYCLE_1)
	s_or_b32 s19, s0, s19
	s_and_not1_b32 exec_lo, exec_lo, s19
	s_cbranch_execz .LBB927_1196
.LBB927_1193:                           ; =>This Inner Loop Header: Depth=1
	s_or_b32 s20, s20, exec_lo
	s_cmp_eq_u64 s[12:13], s[14:15]
	s_cbranch_scc0 .LBB927_1191
; %bb.1194:                             ;   in Loop: Header=BB927_1193 Depth=1
	s_mov_b64 s[14:15], s[8:9]
                                        ; implicit-def: $vgpr17_vgpr18
                                        ; implicit-def: $vgpr57_vgpr58
	s_branch .LBB927_1192
.LBB927_1195:
	v_mov_b32_e32 v17, 0
	v_mov_b32_e32 v18, 0
	s_branch .LBB927_1198
.LBB927_1196:
	s_set_inst_prefetch_distance 0x2
	s_or_b32 exec_lo, exec_lo, s19
	v_cmp_gt_i64_e32 vcc_lo, s[8:9], v[59:60]
	s_mov_b32 s0, 0
	s_delay_alu instid0(SALU_CYCLE_1)
	v_mov_b32_e32 v18, s0
	v_cndmask_b32_e64 v17, 0, 1, vcc_lo
.LBB927_1197:
	s_or_b32 exec_lo, exec_lo, s18
.LBB927_1198:
	s_delay_alu instid0(SALU_CYCLE_1) | instskip(SKIP_2) | instid1(VALU_DEP_1)
	s_or_b32 exec_lo, exec_lo, s3
	v_add_nc_u32_e32 v57, 3, v64
	s_mov_b32 s3, exec_lo
	v_cmpx_gt_u32_e64 s6, v57
	s_cbranch_execz .LBB927_1209
; %bb.1199:
	v_cmp_ne_u32_e32 vcc_lo, 1, v63
	s_cbranch_vccnz .LBB927_1206
; %bb.1200:
	v_mul_lo_u32 v59, v16, s8
	v_mul_lo_u32 v60, v15, s9
	v_mad_u64_u32 v[57:58], null, v15, s8, 0
	v_mul_lo_u32 v61, v14, s8
	v_mul_lo_u32 v62, v13, s9
	v_mad_u64_u32 v[15:16], null, v13, s8, 0
	s_mov_b32 s18, exec_lo
	s_delay_alu instid0(VALU_DEP_4) | instskip(NEXT) | instid1(VALU_DEP_2)
	v_add3_u32 v58, v58, v60, v59
	v_add3_u32 v16, v16, v62, v61
	s_delay_alu instid0(VALU_DEP_2) | instskip(NEXT) | instid1(VALU_DEP_2)
	v_lshlrev_b64 v[57:58], 2, v[57:58]
	v_lshlrev_b64 v[15:16], 2, v[15:16]
	s_delay_alu instid0(VALU_DEP_2) | instskip(NEXT) | instid1(VALU_DEP_3)
	v_add_co_u32 v57, vcc_lo, s10, v57
	v_add_co_ci_u32_e32 v58, vcc_lo, s11, v58, vcc_lo
	s_delay_alu instid0(VALU_DEP_3) | instskip(NEXT) | instid1(VALU_DEP_4)
	v_add_co_u32 v59, vcc_lo, s10, v15
	v_add_co_ci_u32_e32 v60, vcc_lo, s11, v16, vcc_lo
	s_clause 0x1
	global_load_b32 v61, v[57:58], off
	global_load_b32 v62, v[59:60], off
	v_mov_b32_e32 v15, 1
	v_mov_b32_e32 v16, 0
	s_waitcnt vmcnt(0)
	v_cmpx_eq_f32_e32 v61, v62
	s_cbranch_execz .LBB927_1208
; %bb.1201:
	v_add_co_u32 v15, vcc_lo, v59, 4
	v_add_co_ci_u32_e32 v16, vcc_lo, 0, v60, vcc_lo
	v_add_co_u32 v57, vcc_lo, v57, 4
	v_add_co_ci_u32_e32 v58, vcc_lo, 0, v58, vcc_lo
	s_add_u32 s12, s8, -1
	s_addc_u32 s13, s9, -1
	s_mov_b64 s[14:15], 0
	s_mov_b32 s19, 0
                                        ; implicit-def: $sgpr20
	s_set_inst_prefetch_distance 0x1
	s_branch .LBB927_1204
	.p2align	6
.LBB927_1202:                           ;   in Loop: Header=BB927_1204 Depth=1
	global_load_b32 v59, v[57:58], off
	global_load_b32 v60, v[15:16], off
	v_add_co_u32 v15, vcc_lo, v15, 4
	v_add_co_ci_u32_e32 v16, vcc_lo, 0, v16, vcc_lo
	v_add_co_u32 v57, s0, v57, 4
	s_delay_alu instid0(VALU_DEP_1)
	v_add_co_ci_u32_e64 v58, s0, 0, v58, s0
	s_add_u32 s14, s14, 1
	s_addc_u32 s15, s15, 0
	s_and_not1_b32 s0, s20, exec_lo
	s_waitcnt vmcnt(0)
	v_cmp_neq_f32_e32 vcc_lo, v59, v60
	s_and_b32 s20, vcc_lo, exec_lo
	s_delay_alu instid0(SALU_CYCLE_1)
	s_or_b32 s20, s0, s20
.LBB927_1203:                           ;   in Loop: Header=BB927_1204 Depth=1
	v_dual_mov_b32 v60, s15 :: v_dual_mov_b32 v59, s14
	s_and_b32 s0, exec_lo, s20
	s_delay_alu instid0(SALU_CYCLE_1) | instskip(NEXT) | instid1(SALU_CYCLE_1)
	s_or_b32 s19, s0, s19
	s_and_not1_b32 exec_lo, exec_lo, s19
	s_cbranch_execz .LBB927_1207
.LBB927_1204:                           ; =>This Inner Loop Header: Depth=1
	s_or_b32 s20, s20, exec_lo
	s_cmp_eq_u64 s[12:13], s[14:15]
	s_cbranch_scc0 .LBB927_1202
; %bb.1205:                             ;   in Loop: Header=BB927_1204 Depth=1
	s_mov_b64 s[14:15], s[8:9]
                                        ; implicit-def: $vgpr15_vgpr16
                                        ; implicit-def: $vgpr57_vgpr58
	s_branch .LBB927_1203
.LBB927_1206:
	v_mov_b32_e32 v15, 0
	v_mov_b32_e32 v16, 0
	s_branch .LBB927_1209
.LBB927_1207:
	s_set_inst_prefetch_distance 0x2
	s_or_b32 exec_lo, exec_lo, s19
	v_cmp_gt_i64_e32 vcc_lo, s[8:9], v[59:60]
	s_mov_b32 s0, 0
	s_delay_alu instid0(SALU_CYCLE_1)
	v_mov_b32_e32 v16, s0
	v_cndmask_b32_e64 v15, 0, 1, vcc_lo
.LBB927_1208:
	s_or_b32 exec_lo, exec_lo, s18
.LBB927_1209:
	s_delay_alu instid0(SALU_CYCLE_1) | instskip(SKIP_2) | instid1(VALU_DEP_1)
	s_or_b32 exec_lo, exec_lo, s3
	v_add_nc_u32_e32 v57, 2, v64
	s_mov_b32 s3, exec_lo
	v_cmpx_gt_u32_e64 s6, v57
	s_cbranch_execz .LBB927_1220
; %bb.1210:
	v_cmp_ne_u32_e32 vcc_lo, 1, v63
	s_cbranch_vccnz .LBB927_1217
; %bb.1211:
	v_mul_lo_u32 v59, v14, s8
	v_mul_lo_u32 v60, v13, s9
	v_mad_u64_u32 v[57:58], null, v13, s8, 0
	v_mul_lo_u32 v61, v4, s8
	v_mul_lo_u32 v62, v3, s9
	v_mad_u64_u32 v[13:14], null, v3, s8, 0
	s_mov_b32 s18, exec_lo
	s_delay_alu instid0(VALU_DEP_4) | instskip(NEXT) | instid1(VALU_DEP_2)
	v_add3_u32 v58, v58, v60, v59
	v_add3_u32 v14, v14, v62, v61
	s_delay_alu instid0(VALU_DEP_2) | instskip(NEXT) | instid1(VALU_DEP_2)
	v_lshlrev_b64 v[57:58], 2, v[57:58]
	v_lshlrev_b64 v[13:14], 2, v[13:14]
	s_delay_alu instid0(VALU_DEP_2) | instskip(NEXT) | instid1(VALU_DEP_3)
	v_add_co_u32 v57, vcc_lo, s10, v57
	v_add_co_ci_u32_e32 v58, vcc_lo, s11, v58, vcc_lo
	s_delay_alu instid0(VALU_DEP_3) | instskip(NEXT) | instid1(VALU_DEP_4)
	v_add_co_u32 v59, vcc_lo, s10, v13
	v_add_co_ci_u32_e32 v60, vcc_lo, s11, v14, vcc_lo
	s_clause 0x1
	global_load_b32 v61, v[57:58], off
	global_load_b32 v62, v[59:60], off
	v_mov_b32_e32 v13, 1
	v_mov_b32_e32 v14, 0
	s_waitcnt vmcnt(0)
	v_cmpx_eq_f32_e32 v61, v62
	s_cbranch_execz .LBB927_1219
; %bb.1212:
	v_add_co_u32 v13, vcc_lo, v59, 4
	v_add_co_ci_u32_e32 v14, vcc_lo, 0, v60, vcc_lo
	v_add_co_u32 v57, vcc_lo, v57, 4
	v_add_co_ci_u32_e32 v58, vcc_lo, 0, v58, vcc_lo
	s_add_u32 s12, s8, -1
	s_addc_u32 s13, s9, -1
	s_mov_b64 s[14:15], 0
	s_mov_b32 s19, 0
                                        ; implicit-def: $sgpr20
	s_set_inst_prefetch_distance 0x1
	s_branch .LBB927_1215
	.p2align	6
.LBB927_1213:                           ;   in Loop: Header=BB927_1215 Depth=1
	global_load_b32 v59, v[57:58], off
	global_load_b32 v60, v[13:14], off
	v_add_co_u32 v13, vcc_lo, v13, 4
	v_add_co_ci_u32_e32 v14, vcc_lo, 0, v14, vcc_lo
	v_add_co_u32 v57, s0, v57, 4
	s_delay_alu instid0(VALU_DEP_1)
	v_add_co_ci_u32_e64 v58, s0, 0, v58, s0
	s_add_u32 s14, s14, 1
	s_addc_u32 s15, s15, 0
	s_and_not1_b32 s0, s20, exec_lo
	s_waitcnt vmcnt(0)
	v_cmp_neq_f32_e32 vcc_lo, v59, v60
	s_and_b32 s20, vcc_lo, exec_lo
	s_delay_alu instid0(SALU_CYCLE_1)
	s_or_b32 s20, s0, s20
.LBB927_1214:                           ;   in Loop: Header=BB927_1215 Depth=1
	v_dual_mov_b32 v60, s15 :: v_dual_mov_b32 v59, s14
	s_and_b32 s0, exec_lo, s20
	s_delay_alu instid0(SALU_CYCLE_1) | instskip(NEXT) | instid1(SALU_CYCLE_1)
	s_or_b32 s19, s0, s19
	s_and_not1_b32 exec_lo, exec_lo, s19
	s_cbranch_execz .LBB927_1218
.LBB927_1215:                           ; =>This Inner Loop Header: Depth=1
	s_or_b32 s20, s20, exec_lo
	s_cmp_eq_u64 s[12:13], s[14:15]
	s_cbranch_scc0 .LBB927_1213
; %bb.1216:                             ;   in Loop: Header=BB927_1215 Depth=1
	s_mov_b64 s[14:15], s[8:9]
                                        ; implicit-def: $vgpr13_vgpr14
                                        ; implicit-def: $vgpr57_vgpr58
	s_branch .LBB927_1214
.LBB927_1217:
	v_mov_b32_e32 v13, 0
	v_mov_b32_e32 v14, 0
	s_branch .LBB927_1220
.LBB927_1218:
	s_set_inst_prefetch_distance 0x2
	s_or_b32 exec_lo, exec_lo, s19
	v_cmp_gt_i64_e32 vcc_lo, s[8:9], v[59:60]
	s_mov_b32 s0, 0
	s_delay_alu instid0(SALU_CYCLE_1)
	v_mov_b32_e32 v14, s0
	v_cndmask_b32_e64 v13, 0, 1, vcc_lo
.LBB927_1219:
	s_or_b32 exec_lo, exec_lo, s18
.LBB927_1220:
	s_delay_alu instid0(SALU_CYCLE_1) | instskip(SKIP_2) | instid1(VALU_DEP_1)
	s_or_b32 exec_lo, exec_lo, s3
	v_add_nc_u32_e32 v57, 1, v64
	s_mov_b32 s3, exec_lo
	v_cmpx_gt_u32_e64 s6, v57
	s_cbranch_execz .LBB927_1231
; %bb.1221:
	v_cmp_ne_u32_e32 vcc_lo, 1, v63
	s_cbranch_vccnz .LBB927_1228
; %bb.1222:
	v_mul_lo_u32 v59, v4, s8
	v_mul_lo_u32 v60, v3, s9
	v_mad_u64_u32 v[57:58], null, v3, s8, 0
	v_mul_lo_u32 v61, v2, s8
	v_mul_lo_u32 v62, v1, s9
	v_mad_u64_u32 v[3:4], null, v1, s8, 0
	s_mov_b32 s18, exec_lo
	s_delay_alu instid0(VALU_DEP_4) | instskip(NEXT) | instid1(VALU_DEP_2)
	v_add3_u32 v58, v58, v60, v59
	v_add3_u32 v4, v4, v62, v61
	s_delay_alu instid0(VALU_DEP_2) | instskip(NEXT) | instid1(VALU_DEP_2)
	v_lshlrev_b64 v[57:58], 2, v[57:58]
	v_lshlrev_b64 v[3:4], 2, v[3:4]
	s_delay_alu instid0(VALU_DEP_2) | instskip(NEXT) | instid1(VALU_DEP_3)
	v_add_co_u32 v57, vcc_lo, s10, v57
	v_add_co_ci_u32_e32 v58, vcc_lo, s11, v58, vcc_lo
	s_delay_alu instid0(VALU_DEP_3) | instskip(NEXT) | instid1(VALU_DEP_4)
	v_add_co_u32 v59, vcc_lo, s10, v3
	v_add_co_ci_u32_e32 v60, vcc_lo, s11, v4, vcc_lo
	s_clause 0x1
	global_load_b32 v61, v[57:58], off
	global_load_b32 v62, v[59:60], off
	v_mov_b32_e32 v3, 1
	v_mov_b32_e32 v4, 0
	s_waitcnt vmcnt(0)
	v_cmpx_eq_f32_e32 v61, v62
	s_cbranch_execz .LBB927_1230
; %bb.1223:
	v_add_co_u32 v3, vcc_lo, v59, 4
	v_add_co_ci_u32_e32 v4, vcc_lo, 0, v60, vcc_lo
	v_add_co_u32 v57, vcc_lo, v57, 4
	v_add_co_ci_u32_e32 v58, vcc_lo, 0, v58, vcc_lo
	s_add_u32 s12, s8, -1
	s_addc_u32 s13, s9, -1
	s_mov_b64 s[14:15], 0
	s_mov_b32 s19, 0
                                        ; implicit-def: $sgpr20
	s_set_inst_prefetch_distance 0x1
	s_branch .LBB927_1226
	.p2align	6
.LBB927_1224:                           ;   in Loop: Header=BB927_1226 Depth=1
	global_load_b32 v59, v[57:58], off
	global_load_b32 v60, v[3:4], off
	v_add_co_u32 v3, vcc_lo, v3, 4
	v_add_co_ci_u32_e32 v4, vcc_lo, 0, v4, vcc_lo
	v_add_co_u32 v57, s0, v57, 4
	s_delay_alu instid0(VALU_DEP_1)
	v_add_co_ci_u32_e64 v58, s0, 0, v58, s0
	s_add_u32 s14, s14, 1
	s_addc_u32 s15, s15, 0
	s_and_not1_b32 s0, s20, exec_lo
	s_waitcnt vmcnt(0)
	v_cmp_neq_f32_e32 vcc_lo, v59, v60
	s_and_b32 s20, vcc_lo, exec_lo
	s_delay_alu instid0(SALU_CYCLE_1)
	s_or_b32 s20, s0, s20
.LBB927_1225:                           ;   in Loop: Header=BB927_1226 Depth=1
	v_dual_mov_b32 v60, s15 :: v_dual_mov_b32 v59, s14
	s_and_b32 s0, exec_lo, s20
	s_delay_alu instid0(SALU_CYCLE_1) | instskip(NEXT) | instid1(SALU_CYCLE_1)
	s_or_b32 s19, s0, s19
	s_and_not1_b32 exec_lo, exec_lo, s19
	s_cbranch_execz .LBB927_1229
.LBB927_1226:                           ; =>This Inner Loop Header: Depth=1
	s_or_b32 s20, s20, exec_lo
	s_cmp_eq_u64 s[12:13], s[14:15]
	s_cbranch_scc0 .LBB927_1224
; %bb.1227:                             ;   in Loop: Header=BB927_1226 Depth=1
	s_mov_b64 s[14:15], s[8:9]
                                        ; implicit-def: $vgpr3_vgpr4
                                        ; implicit-def: $vgpr57_vgpr58
	s_branch .LBB927_1225
.LBB927_1228:
	v_mov_b32_e32 v3, 0
	v_mov_b32_e32 v4, 0
	s_branch .LBB927_1231
.LBB927_1229:
	s_set_inst_prefetch_distance 0x2
	s_or_b32 exec_lo, exec_lo, s19
	v_cmp_gt_i64_e32 vcc_lo, s[8:9], v[59:60]
	s_mov_b32 s0, 0
	s_delay_alu instid0(SALU_CYCLE_1)
	v_mov_b32_e32 v4, s0
	v_cndmask_b32_e64 v3, 0, 1, vcc_lo
.LBB927_1230:
	s_or_b32 exec_lo, exec_lo, s18
.LBB927_1231:
	s_delay_alu instid0(SALU_CYCLE_1)
	s_or_b32 exec_lo, exec_lo, s3
	v_cmp_ne_u32_e32 vcc_lo, 0, v0
	v_cmp_gt_u32_e64 s0, s6, v64
	s_mov_b32 s12, 0
	s_waitcnt lgkmcnt(0)
	s_barrier
	buffer_gl0_inv
	s_and_b32 s13, vcc_lo, s0
                                        ; implicit-def: $sgpr0
	s_delay_alu instid0(SALU_CYCLE_1)
	s_and_saveexec_b32 s3, s13
	s_cbranch_execz .LBB927_1242
; %bb.1232:
	v_cmp_ne_u32_e32 vcc_lo, 1, v63
	s_cbranch_vccnz .LBB927_1241
; %bb.1233:
	v_add_nc_u32_e32 v57, -8, v195
	v_mul_lo_u32 v61, v2, s8
	v_mul_lo_u32 v62, v1, s9
	v_mad_u64_u32 v[59:60], null, v1, s8, 0
	ds_load_b64 v[57:58], v57
	s_mov_b32 s12, -1
	s_mov_b32 s14, exec_lo
	v_add3_u32 v60, v60, v62, v61
	s_waitcnt lgkmcnt(0)
	v_mul_lo_u32 v58, v58, s8
	v_mul_lo_u32 v63, v57, s9
	v_mad_u64_u32 v[1:2], null, v57, s8, 0
	s_delay_alu instid0(VALU_DEP_1) | instskip(SKIP_1) | instid1(VALU_DEP_2)
	v_add3_u32 v2, v2, v63, v58
	v_lshlrev_b64 v[57:58], 2, v[59:60]
	v_lshlrev_b64 v[1:2], 2, v[1:2]
	s_delay_alu instid0(VALU_DEP_2) | instskip(NEXT) | instid1(VALU_DEP_3)
	v_add_co_u32 v57, vcc_lo, s10, v57
	v_add_co_ci_u32_e32 v58, vcc_lo, s11, v58, vcc_lo
	s_delay_alu instid0(VALU_DEP_3) | instskip(NEXT) | instid1(VALU_DEP_4)
	v_add_co_u32 v1, vcc_lo, s10, v1
	v_add_co_ci_u32_e32 v2, vcc_lo, s11, v2, vcc_lo
	s_clause 0x1
	global_load_b32 v59, v[57:58], off
	global_load_b32 v60, v[1:2], off
	s_waitcnt vmcnt(0)
	v_cmpx_eq_f32_e32 v59, v60
	s_cbranch_execz .LBB927_1240
; %bb.1234:
	v_add_co_u32 v1, vcc_lo, v1, 4
	v_add_co_ci_u32_e32 v2, vcc_lo, 0, v2, vcc_lo
	v_add_co_u32 v57, vcc_lo, v57, 4
	v_add_co_ci_u32_e32 v58, vcc_lo, 0, v58, vcc_lo
	s_add_u32 s10, s8, -1
	s_addc_u32 s11, s9, -1
	s_mov_b64 s[12:13], 0
	s_mov_b32 s15, 0
                                        ; implicit-def: $sgpr18
	s_set_inst_prefetch_distance 0x1
	s_branch .LBB927_1237
	.p2align	6
.LBB927_1235:                           ;   in Loop: Header=BB927_1237 Depth=1
	global_load_b32 v59, v[57:58], off
	global_load_b32 v60, v[1:2], off
	v_add_co_u32 v1, vcc_lo, v1, 4
	v_add_co_ci_u32_e32 v2, vcc_lo, 0, v2, vcc_lo
	v_add_co_u32 v57, s0, v57, 4
	s_delay_alu instid0(VALU_DEP_1)
	v_add_co_ci_u32_e64 v58, s0, 0, v58, s0
	s_add_u32 s12, s12, 1
	s_addc_u32 s13, s13, 0
	s_and_not1_b32 s0, s18, exec_lo
	s_waitcnt vmcnt(0)
	v_cmp_neq_f32_e32 vcc_lo, v59, v60
	s_and_b32 s18, vcc_lo, exec_lo
	s_delay_alu instid0(SALU_CYCLE_1)
	s_or_b32 s18, s0, s18
.LBB927_1236:                           ;   in Loop: Header=BB927_1237 Depth=1
	v_dual_mov_b32 v60, s13 :: v_dual_mov_b32 v59, s12
	s_and_b32 s0, exec_lo, s18
	s_delay_alu instid0(SALU_CYCLE_1) | instskip(NEXT) | instid1(SALU_CYCLE_1)
	s_or_b32 s15, s0, s15
	s_and_not1_b32 exec_lo, exec_lo, s15
	s_cbranch_execz .LBB927_1239
.LBB927_1237:                           ; =>This Inner Loop Header: Depth=1
	s_or_b32 s18, s18, exec_lo
	s_cmp_eq_u64 s[10:11], s[12:13]
	s_cbranch_scc0 .LBB927_1235
; %bb.1238:                             ;   in Loop: Header=BB927_1237 Depth=1
	s_mov_b64 s[12:13], s[8:9]
                                        ; implicit-def: $vgpr1_vgpr2
                                        ; implicit-def: $vgpr57_vgpr58
	s_branch .LBB927_1236
.LBB927_1239:
	s_set_inst_prefetch_distance 0x2
	s_or_b32 exec_lo, exec_lo, s15
	v_cmp_gt_i64_e32 vcc_lo, s[8:9], v[59:60]
	s_or_not1_b32 s12, vcc_lo, exec_lo
.LBB927_1240:
	s_or_b32 exec_lo, exec_lo, s14
.LBB927_1241:
	s_delay_alu instid0(SALU_CYCLE_1)
	s_and_b32 s0, s12, exec_lo
	s_or_b32 s1, s1, exec_lo
.LBB927_1242:
	s_or_b32 exec_lo, exec_lo, s3
	v_dual_mov_b32 v166, v4 :: v_dual_mov_b32 v165, v3
	v_dual_mov_b32 v164, v14 :: v_dual_mov_b32 v163, v13
	;; [unrolled: 1-line block ×55, first 2 shown]
.LBB927_1243:
	s_and_saveexec_b32 s3, s1
	s_cbranch_execz .LBB927_1245
; %bb.1244:
	s_mov_b32 s1, 0
	v_dual_mov_b32 v194, v114 :: v_dual_mov_b32 v63, v117
	v_dual_mov_b32 v2, s1 :: v_dual_mov_b32 v59, v115
	v_dual_mov_b32 v192, v120 :: v_dual_mov_b32 v67, v121
	v_dual_mov_b32 v190, v124 :: v_dual_mov_b32 v71, v125
	v_dual_mov_b32 v188, v128 :: v_dual_mov_b32 v75, v129
	v_dual_mov_b32 v186, v132 :: v_dual_mov_b32 v79, v133
	v_dual_mov_b32 v184, v136 :: v_dual_mov_b32 v83, v137
	v_dual_mov_b32 v180, v140 :: v_dual_mov_b32 v87, v141
	v_dual_mov_b32 v178, v144 :: v_dual_mov_b32 v91, v145
	v_dual_mov_b32 v176, v148 :: v_dual_mov_b32 v95, v149
	v_dual_mov_b32 v174, v152 :: v_dual_mov_b32 v99, v153
	v_dual_mov_b32 v172, v156 :: v_dual_mov_b32 v103, v157
	v_dual_mov_b32 v170, v160 :: v_dual_mov_b32 v107, v161
	v_mov_b32_e32 v168, v164
	v_dual_mov_b32 v182, v166 :: v_dual_mov_b32 v181, v165
	v_cndmask_b32_e64 v1, 0, 1, s0
	v_dual_mov_b32 v60, v116 :: v_dual_mov_b32 v193, v113
	v_dual_mov_b32 v64, v118 :: v_dual_mov_b32 v191, v119
	;; [unrolled: 1-line block ×13, first 2 shown]
.LBB927_1245:
	s_or_b32 exec_lo, exec_lo, s3
	v_mul_u32_u24_e32 v65, 0xe8, v0
	v_mul_i32_i24_e32 v66, 0xffffff20, v0
	s_add_u32 s8, s4, s16
	s_addc_u32 s4, s5, s17
	s_and_b32 vcc_lo, exec_lo, s26
	s_waitcnt lgkmcnt(0)
	s_barrier
	buffer_gl0_inv
	s_cbranch_vccz .LBB927_1303
; %bb.1246:
	v_dual_mov_b32 v3, v181 :: v_dual_mov_b32 v4, v182
	s_mov_b32 s3, 0
	ds_store_2addr_b64 v65, v[169:170], v[103:104] offset0:4 offset1:5
	ds_store_2addr_b64 v65, v[171:172], v[99:100] offset0:6 offset1:7
	ds_store_2addr_b64 v65, v[1:2], v[3:4] offset1:1
	ds_store_2addr_b64 v65, v[167:168], v[107:108] offset0:2 offset1:3
	ds_store_2addr_b64 v65, v[173:174], v[95:96] offset0:8 offset1:9
	ds_store_2addr_b64 v65, v[175:176], v[91:92] offset0:10 offset1:11
	ds_store_2addr_b64 v65, v[177:178], v[87:88] offset0:12 offset1:13
	ds_store_2addr_b64 v65, v[179:180], v[83:84] offset0:14 offset1:15
	ds_store_2addr_b64 v65, v[183:184], v[79:80] offset0:16 offset1:17
	ds_store_2addr_b64 v65, v[185:186], v[75:76] offset0:18 offset1:19
	ds_store_2addr_b64 v65, v[187:188], v[71:72] offset0:20 offset1:21
	ds_store_2addr_b64 v65, v[189:190], v[67:68] offset0:22 offset1:23
	ds_store_2addr_b64 v65, v[191:192], v[63:64] offset0:24 offset1:25
	ds_store_2addr_b64 v65, v[193:194], v[59:60] offset0:26 offset1:27
	v_mad_u32_u24 v3, 0xe8, v0, v66
	ds_store_b64 v65, v[111:112] offset:224
	s_waitcnt lgkmcnt(0)
	s_barrier
	buffer_gl0_inv
	ds_load_2addr_stride64_b64 v[55:58], v3 offset0:2 offset1:4
	ds_load_2addr_stride64_b64 v[51:54], v3 offset0:6 offset1:8
	;; [unrolled: 1-line block ×14, first 2 shown]
	s_lshl_b64 s[0:1], s[2:3], 3
	s_add_i32 s7, s7, s6
	s_add_u32 s0, s8, s0
	s_addc_u32 s1, s4, s1
	v_add_co_u32 v61, s0, s0, v195
	s_delay_alu instid0(VALU_DEP_1)
	v_add_co_ci_u32_e64 v62, null, s1, 0, s0
	s_mov_b32 s0, exec_lo
	v_cmpx_gt_u32_e64 s7, v0
	s_cbranch_execz .LBB927_1248
; %bb.1247:
	v_add_nc_u32_e32 v69, v65, v66
	ds_load_b64 v[69:70], v69
	s_waitcnt lgkmcnt(0)
	global_store_b64 v[61:62], v[69:70], off
.LBB927_1248:
	s_or_b32 exec_lo, exec_lo, s0
	v_or_b32_e32 v69, 0x80, v0
	s_mov_b32 s0, exec_lo
	s_delay_alu instid0(VALU_DEP_1)
	v_cmpx_gt_u32_e64 s7, v69
	s_cbranch_execz .LBB927_1250
; %bb.1249:
	s_waitcnt lgkmcnt(13)
	global_store_b64 v[61:62], v[55:56], off offset:1024
.LBB927_1250:
	s_or_b32 exec_lo, exec_lo, s0
	s_waitcnt lgkmcnt(13)
	v_or_b32_e32 v55, 0x100, v0
	s_mov_b32 s0, exec_lo
	s_delay_alu instid0(VALU_DEP_1)
	v_cmpx_gt_u32_e64 s7, v55
	s_cbranch_execz .LBB927_1252
; %bb.1251:
	global_store_b64 v[61:62], v[57:58], off offset:2048
.LBB927_1252:
	s_or_b32 exec_lo, exec_lo, s0
	v_or_b32_e32 v55, 0x180, v0
	s_mov_b32 s0, exec_lo
	s_delay_alu instid0(VALU_DEP_1)
	v_cmpx_gt_u32_e64 s7, v55
	s_cbranch_execz .LBB927_1254
; %bb.1253:
	s_waitcnt lgkmcnt(12)
	global_store_b64 v[61:62], v[51:52], off offset:3072
.LBB927_1254:
	s_or_b32 exec_lo, exec_lo, s0
	s_waitcnt lgkmcnt(12)
	v_or_b32_e32 v51, 0x200, v0
	s_mov_b32 s0, exec_lo
	s_delay_alu instid0(VALU_DEP_1)
	v_cmpx_gt_u32_e64 s7, v51
	s_cbranch_execz .LBB927_1256
; %bb.1255:
	v_add_co_u32 v51, vcc_lo, 0x1000, v61
	v_add_co_ci_u32_e32 v52, vcc_lo, 0, v62, vcc_lo
	global_store_b64 v[51:52], v[53:54], off
.LBB927_1256:
	s_or_b32 exec_lo, exec_lo, s0
	v_or_b32_e32 v51, 0x280, v0
	s_mov_b32 s0, exec_lo
	s_delay_alu instid0(VALU_DEP_1)
	v_cmpx_gt_u32_e64 s7, v51
	s_cbranch_execz .LBB927_1258
; %bb.1257:
	v_add_co_u32 v51, vcc_lo, 0x1000, v61
	v_add_co_ci_u32_e32 v52, vcc_lo, 0, v62, vcc_lo
	s_waitcnt lgkmcnt(11)
	global_store_b64 v[51:52], v[47:48], off offset:1024
.LBB927_1258:
	s_or_b32 exec_lo, exec_lo, s0
	s_waitcnt lgkmcnt(11)
	v_or_b32_e32 v47, 0x300, v0
	s_mov_b32 s0, exec_lo
	s_delay_alu instid0(VALU_DEP_1)
	v_cmpx_gt_u32_e64 s7, v47
	s_cbranch_execz .LBB927_1260
; %bb.1259:
	v_add_co_u32 v47, vcc_lo, 0x1000, v61
	v_add_co_ci_u32_e32 v48, vcc_lo, 0, v62, vcc_lo
	global_store_b64 v[47:48], v[49:50], off offset:2048
.LBB927_1260:
	s_or_b32 exec_lo, exec_lo, s0
	v_or_b32_e32 v47, 0x380, v0
	s_mov_b32 s0, exec_lo
	s_delay_alu instid0(VALU_DEP_1)
	v_cmpx_gt_u32_e64 s7, v47
	s_cbranch_execz .LBB927_1262
; %bb.1261:
	v_add_co_u32 v47, vcc_lo, 0x1000, v61
	v_add_co_ci_u32_e32 v48, vcc_lo, 0, v62, vcc_lo
	s_waitcnt lgkmcnt(10)
	global_store_b64 v[47:48], v[43:44], off offset:3072
.LBB927_1262:
	s_or_b32 exec_lo, exec_lo, s0
	s_waitcnt lgkmcnt(10)
	v_or_b32_e32 v43, 0x400, v0
	s_mov_b32 s0, exec_lo
	s_delay_alu instid0(VALU_DEP_1)
	v_cmpx_gt_u32_e64 s7, v43
	s_cbranch_execz .LBB927_1264
; %bb.1263:
	v_add_co_u32 v43, vcc_lo, 0x2000, v61
	v_add_co_ci_u32_e32 v44, vcc_lo, 0, v62, vcc_lo
	global_store_b64 v[43:44], v[45:46], off
.LBB927_1264:
	s_or_b32 exec_lo, exec_lo, s0
	v_or_b32_e32 v43, 0x480, v0
	s_mov_b32 s0, exec_lo
	s_delay_alu instid0(VALU_DEP_1)
	v_cmpx_gt_u32_e64 s7, v43
	s_cbranch_execz .LBB927_1266
; %bb.1265:
	v_add_co_u32 v43, vcc_lo, 0x2000, v61
	v_add_co_ci_u32_e32 v44, vcc_lo, 0, v62, vcc_lo
	s_waitcnt lgkmcnt(9)
	global_store_b64 v[43:44], v[39:40], off offset:1024
.LBB927_1266:
	s_or_b32 exec_lo, exec_lo, s0
	s_waitcnt lgkmcnt(9)
	v_or_b32_e32 v39, 0x500, v0
	s_mov_b32 s0, exec_lo
	s_delay_alu instid0(VALU_DEP_1)
	v_cmpx_gt_u32_e64 s7, v39
	s_cbranch_execz .LBB927_1268
; %bb.1267:
	v_add_co_u32 v39, vcc_lo, 0x2000, v61
	v_add_co_ci_u32_e32 v40, vcc_lo, 0, v62, vcc_lo
	global_store_b64 v[39:40], v[41:42], off offset:2048
.LBB927_1268:
	s_or_b32 exec_lo, exec_lo, s0
	v_or_b32_e32 v39, 0x580, v0
	s_mov_b32 s0, exec_lo
	s_delay_alu instid0(VALU_DEP_1)
	v_cmpx_gt_u32_e64 s7, v39
	s_cbranch_execz .LBB927_1270
; %bb.1269:
	v_add_co_u32 v39, vcc_lo, 0x2000, v61
	v_add_co_ci_u32_e32 v40, vcc_lo, 0, v62, vcc_lo
	s_waitcnt lgkmcnt(8)
	global_store_b64 v[39:40], v[35:36], off offset:3072
.LBB927_1270:
	;; [unrolled: 48-line block ×6, first 2 shown]
	s_or_b32 exec_lo, exec_lo, s0
	s_waitcnt lgkmcnt(0)
	v_or_b32_e32 v3, 0xe00, v0
	s_delay_alu instid0(VALU_DEP_1)
	v_cmp_gt_u32_e64 s5, s7, v3
	s_branch .LBB927_1305
.LBB927_1303:
	s_mov_b32 s5, 0
                                        ; implicit-def: $vgpr5_vgpr6
                                        ; implicit-def: $vgpr61_vgpr62
	s_cbranch_execz .LBB927_1305
; %bb.1304:
	v_mad_u32_u24 v4, 0xe8, v0, v66
	ds_store_2addr_b64 v65, v[1:2], v[181:182] offset1:1
	ds_store_2addr_b64 v65, v[167:168], v[107:108] offset0:2 offset1:3
	ds_store_2addr_b64 v65, v[169:170], v[103:104] offset0:4 offset1:5
	;; [unrolled: 1-line block ×13, first 2 shown]
	ds_store_b64 v65, v[111:112] offset:224
	s_waitcnt lgkmcnt(0)
	s_waitcnt_vscnt null, 0x0
	s_barrier
	buffer_gl0_inv
	ds_load_2addr_stride64_b64 v[0:3], v4 offset1:2
	s_mov_b32 s3, 0
	ds_load_2addr_stride64_b64 v[7:10], v4 offset0:4 offset1:6
	ds_load_2addr_stride64_b64 v[11:14], v4 offset0:8 offset1:10
	;; [unrolled: 1-line block ×13, first 2 shown]
	ds_load_b64 v[5:6], v4 offset:28672
	s_lshl_b64 s[0:1], s[2:3], 3
	s_delay_alu instid0(SALU_CYCLE_1) | instskip(SKIP_2) | instid1(VALU_DEP_1)
	s_add_u32 s0, s8, s0
	s_addc_u32 s1, s4, s1
	v_add_co_u32 v61, s2, s0, v195
	v_add_co_ci_u32_e64 v62, null, s1, 0, s2
	s_or_b32 s5, s5, exec_lo
	s_waitcnt lgkmcnt(14)
	s_clause 0x1
	global_store_b64 v195, v[0:1], s[0:1]
	global_store_b64 v195, v[2:3], s[0:1] offset:1024
	s_waitcnt lgkmcnt(13)
	s_clause 0x1
	global_store_b64 v195, v[7:8], s[0:1] offset:2048
	global_store_b64 v195, v[9:10], s[0:1] offset:3072
	v_add_co_u32 v0, vcc_lo, 0x1000, v61
	v_add_co_ci_u32_e32 v1, vcc_lo, 0, v62, vcc_lo
	v_add_co_u32 v2, vcc_lo, v61, 0x2000
	v_add_co_ci_u32_e32 v3, vcc_lo, 0, v62, vcc_lo
	;; [unrolled: 2-line block ×3, first 2 shown]
	s_waitcnt lgkmcnt(10)
	s_clause 0x4
	global_store_b64 v[2:3], v[19:20], off
	global_store_b64 v[0:1], v[13:14], off offset:1024
	global_store_b64 v[0:1], v[15:16], off offset:2048
	;; [unrolled: 1-line block ×4, first 2 shown]
	v_add_co_u32 v0, vcc_lo, 0x3000, v61
	v_add_co_ci_u32_e32 v1, vcc_lo, 0, v62, vcc_lo
	v_add_co_u32 v9, vcc_lo, v61, 0x4000
	v_add_co_ci_u32_e32 v10, vcc_lo, 0, v62, vcc_lo
	;; [unrolled: 2-line block ×3, first 2 shown]
	s_waitcnt lgkmcnt(9)
	s_clause 0x1
	global_store_b64 v[7:8], v[23:24], off offset:2048
	global_store_b64 v[7:8], v[25:26], off offset:3072
	s_waitcnt lgkmcnt(8)
	global_store_b64 v[0:1], v[29:30], off offset:1024
	s_waitcnt lgkmcnt(7)
	s_clause 0x1
	global_store_b64 v[0:1], v[31:32], off offset:2048
	global_store_b64 v[0:1], v[33:34], off offset:3072
	s_waitcnt lgkmcnt(6)
	global_store_b64 v[13:14], v[37:38], off offset:1024
	s_waitcnt lgkmcnt(5)
	s_clause 0x1
	global_store_b64 v[13:14], v[39:40], off offset:2048
	global_store_b64 v[13:14], v[41:42], off offset:3072
	v_add_co_u32 v0, vcc_lo, 0x5000, v61
	v_add_co_ci_u32_e32 v1, vcc_lo, 0, v62, vcc_lo
	v_add_co_u32 v7, vcc_lo, v61, 0x6000
	v_add_co_ci_u32_e32 v8, vcc_lo, 0, v62, vcc_lo
	;; [unrolled: 2-line block ×3, first 2 shown]
	s_clause 0x1
	global_store_b64 v[9:10], v[27:28], off offset:-4096
	global_store_b64 v[9:10], v[35:36], off
	s_waitcnt lgkmcnt(4)
	global_store_b64 v[7:8], v[43:44], off offset:-4096
	s_waitcnt lgkmcnt(2)
	s_clause 0x4
	global_store_b64 v[7:8], v[51:52], off
	global_store_b64 v[0:1], v[45:46], off offset:1024
	global_store_b64 v[0:1], v[47:48], off offset:2048
	;; [unrolled: 1-line block ×4, first 2 shown]
	s_waitcnt lgkmcnt(1)
	s_clause 0x2
	global_store_b64 v[13:14], v[55:56], off offset:2048
	global_store_b64 v[2:3], v[11:12], off offset:-4096
	global_store_b64 v[13:14], v[57:58], off offset:3072
.LBB927_1305:
	s_delay_alu instid0(VALU_DEP_1)
	s_and_saveexec_b32 s0, s5
	s_cbranch_execnz .LBB927_1307
; %bb.1306:
	s_nop 0
	s_sendmsg sendmsg(MSG_DEALLOC_VGPRS)
	s_endpgm
.LBB927_1307:
	v_add_co_u32 v0, vcc_lo, 0x7000, v61
	v_add_co_ci_u32_e32 v1, vcc_lo, 0, v62, vcc_lo
	s_waitcnt lgkmcnt(0)
	global_store_b64 v[0:1], v[5:6], off
	s_nop 0
	s_sendmsg sendmsg(MSG_DEALLOC_VGPRS)
	s_endpgm
	.section	.rodata,"a",@progbits
	.p2align	6, 0x0
	.amdhsa_kernel _ZN7rocprim17ROCPRIM_400000_NS6detail17trampoline_kernelINS0_14default_configENS1_35adjacent_difference_config_selectorILb1ElEEZNS1_24adjacent_difference_implIS3_Lb1ELb0EPlS7_ZN2at6native12_GLOBAL__N_124unique_dim_cuda_templateIfEESt5tupleIJNS8_6TensorESD_SD_EERKSD_lbbbEUlllE1_EE10hipError_tPvRmT2_T3_mT4_P12ihipStream_tbEUlT_E_NS1_11comp_targetILNS1_3genE9ELNS1_11target_archE1100ELNS1_3gpuE3ELNS1_3repE0EEENS1_30default_config_static_selectorELNS0_4arch9wavefront6targetE0EEEvT1_
		.amdhsa_group_segment_fixed_size 29696
		.amdhsa_private_segment_fixed_size 0
		.amdhsa_kernarg_size 64
		.amdhsa_user_sgpr_count 15
		.amdhsa_user_sgpr_dispatch_ptr 0
		.amdhsa_user_sgpr_queue_ptr 0
		.amdhsa_user_sgpr_kernarg_segment_ptr 1
		.amdhsa_user_sgpr_dispatch_id 0
		.amdhsa_user_sgpr_private_segment_size 0
		.amdhsa_wavefront_size32 1
		.amdhsa_uses_dynamic_stack 0
		.amdhsa_enable_private_segment 0
		.amdhsa_system_sgpr_workgroup_id_x 1
		.amdhsa_system_sgpr_workgroup_id_y 0
		.amdhsa_system_sgpr_workgroup_id_z 0
		.amdhsa_system_sgpr_workgroup_info 0
		.amdhsa_system_vgpr_workitem_id 0
		.amdhsa_next_free_vgpr 196
		.amdhsa_next_free_sgpr 30
		.amdhsa_reserve_vcc 1
		.amdhsa_float_round_mode_32 0
		.amdhsa_float_round_mode_16_64 0
		.amdhsa_float_denorm_mode_32 3
		.amdhsa_float_denorm_mode_16_64 3
		.amdhsa_dx10_clamp 1
		.amdhsa_ieee_mode 1
		.amdhsa_fp16_overflow 0
		.amdhsa_workgroup_processor_mode 1
		.amdhsa_memory_ordered 1
		.amdhsa_forward_progress 0
		.amdhsa_shared_vgpr_count 0
		.amdhsa_exception_fp_ieee_invalid_op 0
		.amdhsa_exception_fp_denorm_src 0
		.amdhsa_exception_fp_ieee_div_zero 0
		.amdhsa_exception_fp_ieee_overflow 0
		.amdhsa_exception_fp_ieee_underflow 0
		.amdhsa_exception_fp_ieee_inexact 0
		.amdhsa_exception_int_div_zero 0
	.end_amdhsa_kernel
	.section	.text._ZN7rocprim17ROCPRIM_400000_NS6detail17trampoline_kernelINS0_14default_configENS1_35adjacent_difference_config_selectorILb1ElEEZNS1_24adjacent_difference_implIS3_Lb1ELb0EPlS7_ZN2at6native12_GLOBAL__N_124unique_dim_cuda_templateIfEESt5tupleIJNS8_6TensorESD_SD_EERKSD_lbbbEUlllE1_EE10hipError_tPvRmT2_T3_mT4_P12ihipStream_tbEUlT_E_NS1_11comp_targetILNS1_3genE9ELNS1_11target_archE1100ELNS1_3gpuE3ELNS1_3repE0EEENS1_30default_config_static_selectorELNS0_4arch9wavefront6targetE0EEEvT1_,"axG",@progbits,_ZN7rocprim17ROCPRIM_400000_NS6detail17trampoline_kernelINS0_14default_configENS1_35adjacent_difference_config_selectorILb1ElEEZNS1_24adjacent_difference_implIS3_Lb1ELb0EPlS7_ZN2at6native12_GLOBAL__N_124unique_dim_cuda_templateIfEESt5tupleIJNS8_6TensorESD_SD_EERKSD_lbbbEUlllE1_EE10hipError_tPvRmT2_T3_mT4_P12ihipStream_tbEUlT_E_NS1_11comp_targetILNS1_3genE9ELNS1_11target_archE1100ELNS1_3gpuE3ELNS1_3repE0EEENS1_30default_config_static_selectorELNS0_4arch9wavefront6targetE0EEEvT1_,comdat
.Lfunc_end927:
	.size	_ZN7rocprim17ROCPRIM_400000_NS6detail17trampoline_kernelINS0_14default_configENS1_35adjacent_difference_config_selectorILb1ElEEZNS1_24adjacent_difference_implIS3_Lb1ELb0EPlS7_ZN2at6native12_GLOBAL__N_124unique_dim_cuda_templateIfEESt5tupleIJNS8_6TensorESD_SD_EERKSD_lbbbEUlllE1_EE10hipError_tPvRmT2_T3_mT4_P12ihipStream_tbEUlT_E_NS1_11comp_targetILNS1_3genE9ELNS1_11target_archE1100ELNS1_3gpuE3ELNS1_3repE0EEENS1_30default_config_static_selectorELNS0_4arch9wavefront6targetE0EEEvT1_, .Lfunc_end927-_ZN7rocprim17ROCPRIM_400000_NS6detail17trampoline_kernelINS0_14default_configENS1_35adjacent_difference_config_selectorILb1ElEEZNS1_24adjacent_difference_implIS3_Lb1ELb0EPlS7_ZN2at6native12_GLOBAL__N_124unique_dim_cuda_templateIfEESt5tupleIJNS8_6TensorESD_SD_EERKSD_lbbbEUlllE1_EE10hipError_tPvRmT2_T3_mT4_P12ihipStream_tbEUlT_E_NS1_11comp_targetILNS1_3genE9ELNS1_11target_archE1100ELNS1_3gpuE3ELNS1_3repE0EEENS1_30default_config_static_selectorELNS0_4arch9wavefront6targetE0EEEvT1_
                                        ; -- End function
	.section	.AMDGPU.csdata,"",@progbits
; Kernel info:
; codeLenInByte = 52032
; NumSgprs: 32
; NumVgprs: 196
; ScratchSize: 0
; MemoryBound: 0
; FloatMode: 240
; IeeeMode: 1
; LDSByteSize: 29696 bytes/workgroup (compile time only)
; SGPRBlocks: 3
; VGPRBlocks: 24
; NumSGPRsForWavesPerEU: 32
; NumVGPRsForWavesPerEU: 196
; Occupancy: 4
; WaveLimiterHint : 1
; COMPUTE_PGM_RSRC2:SCRATCH_EN: 0
; COMPUTE_PGM_RSRC2:USER_SGPR: 15
; COMPUTE_PGM_RSRC2:TRAP_HANDLER: 0
; COMPUTE_PGM_RSRC2:TGID_X_EN: 1
; COMPUTE_PGM_RSRC2:TGID_Y_EN: 0
; COMPUTE_PGM_RSRC2:TGID_Z_EN: 0
; COMPUTE_PGM_RSRC2:TIDIG_COMP_CNT: 0
	.section	.text._ZN7rocprim17ROCPRIM_400000_NS6detail17trampoline_kernelINS0_14default_configENS1_35adjacent_difference_config_selectorILb1ElEEZNS1_24adjacent_difference_implIS3_Lb1ELb0EPlS7_ZN2at6native12_GLOBAL__N_124unique_dim_cuda_templateIfEESt5tupleIJNS8_6TensorESD_SD_EERKSD_lbbbEUlllE1_EE10hipError_tPvRmT2_T3_mT4_P12ihipStream_tbEUlT_E_NS1_11comp_targetILNS1_3genE8ELNS1_11target_archE1030ELNS1_3gpuE2ELNS1_3repE0EEENS1_30default_config_static_selectorELNS0_4arch9wavefront6targetE0EEEvT1_,"axG",@progbits,_ZN7rocprim17ROCPRIM_400000_NS6detail17trampoline_kernelINS0_14default_configENS1_35adjacent_difference_config_selectorILb1ElEEZNS1_24adjacent_difference_implIS3_Lb1ELb0EPlS7_ZN2at6native12_GLOBAL__N_124unique_dim_cuda_templateIfEESt5tupleIJNS8_6TensorESD_SD_EERKSD_lbbbEUlllE1_EE10hipError_tPvRmT2_T3_mT4_P12ihipStream_tbEUlT_E_NS1_11comp_targetILNS1_3genE8ELNS1_11target_archE1030ELNS1_3gpuE2ELNS1_3repE0EEENS1_30default_config_static_selectorELNS0_4arch9wavefront6targetE0EEEvT1_,comdat
	.globl	_ZN7rocprim17ROCPRIM_400000_NS6detail17trampoline_kernelINS0_14default_configENS1_35adjacent_difference_config_selectorILb1ElEEZNS1_24adjacent_difference_implIS3_Lb1ELb0EPlS7_ZN2at6native12_GLOBAL__N_124unique_dim_cuda_templateIfEESt5tupleIJNS8_6TensorESD_SD_EERKSD_lbbbEUlllE1_EE10hipError_tPvRmT2_T3_mT4_P12ihipStream_tbEUlT_E_NS1_11comp_targetILNS1_3genE8ELNS1_11target_archE1030ELNS1_3gpuE2ELNS1_3repE0EEENS1_30default_config_static_selectorELNS0_4arch9wavefront6targetE0EEEvT1_ ; -- Begin function _ZN7rocprim17ROCPRIM_400000_NS6detail17trampoline_kernelINS0_14default_configENS1_35adjacent_difference_config_selectorILb1ElEEZNS1_24adjacent_difference_implIS3_Lb1ELb0EPlS7_ZN2at6native12_GLOBAL__N_124unique_dim_cuda_templateIfEESt5tupleIJNS8_6TensorESD_SD_EERKSD_lbbbEUlllE1_EE10hipError_tPvRmT2_T3_mT4_P12ihipStream_tbEUlT_E_NS1_11comp_targetILNS1_3genE8ELNS1_11target_archE1030ELNS1_3gpuE2ELNS1_3repE0EEENS1_30default_config_static_selectorELNS0_4arch9wavefront6targetE0EEEvT1_
	.p2align	8
	.type	_ZN7rocprim17ROCPRIM_400000_NS6detail17trampoline_kernelINS0_14default_configENS1_35adjacent_difference_config_selectorILb1ElEEZNS1_24adjacent_difference_implIS3_Lb1ELb0EPlS7_ZN2at6native12_GLOBAL__N_124unique_dim_cuda_templateIfEESt5tupleIJNS8_6TensorESD_SD_EERKSD_lbbbEUlllE1_EE10hipError_tPvRmT2_T3_mT4_P12ihipStream_tbEUlT_E_NS1_11comp_targetILNS1_3genE8ELNS1_11target_archE1030ELNS1_3gpuE2ELNS1_3repE0EEENS1_30default_config_static_selectorELNS0_4arch9wavefront6targetE0EEEvT1_,@function
_ZN7rocprim17ROCPRIM_400000_NS6detail17trampoline_kernelINS0_14default_configENS1_35adjacent_difference_config_selectorILb1ElEEZNS1_24adjacent_difference_implIS3_Lb1ELb0EPlS7_ZN2at6native12_GLOBAL__N_124unique_dim_cuda_templateIfEESt5tupleIJNS8_6TensorESD_SD_EERKSD_lbbbEUlllE1_EE10hipError_tPvRmT2_T3_mT4_P12ihipStream_tbEUlT_E_NS1_11comp_targetILNS1_3genE8ELNS1_11target_archE1030ELNS1_3gpuE2ELNS1_3repE0EEENS1_30default_config_static_selectorELNS0_4arch9wavefront6targetE0EEEvT1_: ; @_ZN7rocprim17ROCPRIM_400000_NS6detail17trampoline_kernelINS0_14default_configENS1_35adjacent_difference_config_selectorILb1ElEEZNS1_24adjacent_difference_implIS3_Lb1ELb0EPlS7_ZN2at6native12_GLOBAL__N_124unique_dim_cuda_templateIfEESt5tupleIJNS8_6TensorESD_SD_EERKSD_lbbbEUlllE1_EE10hipError_tPvRmT2_T3_mT4_P12ihipStream_tbEUlT_E_NS1_11comp_targetILNS1_3genE8ELNS1_11target_archE1030ELNS1_3gpuE2ELNS1_3repE0EEENS1_30default_config_static_selectorELNS0_4arch9wavefront6targetE0EEEvT1_
; %bb.0:
	.section	.rodata,"a",@progbits
	.p2align	6, 0x0
	.amdhsa_kernel _ZN7rocprim17ROCPRIM_400000_NS6detail17trampoline_kernelINS0_14default_configENS1_35adjacent_difference_config_selectorILb1ElEEZNS1_24adjacent_difference_implIS3_Lb1ELb0EPlS7_ZN2at6native12_GLOBAL__N_124unique_dim_cuda_templateIfEESt5tupleIJNS8_6TensorESD_SD_EERKSD_lbbbEUlllE1_EE10hipError_tPvRmT2_T3_mT4_P12ihipStream_tbEUlT_E_NS1_11comp_targetILNS1_3genE8ELNS1_11target_archE1030ELNS1_3gpuE2ELNS1_3repE0EEENS1_30default_config_static_selectorELNS0_4arch9wavefront6targetE0EEEvT1_
		.amdhsa_group_segment_fixed_size 0
		.amdhsa_private_segment_fixed_size 0
		.amdhsa_kernarg_size 64
		.amdhsa_user_sgpr_count 15
		.amdhsa_user_sgpr_dispatch_ptr 0
		.amdhsa_user_sgpr_queue_ptr 0
		.amdhsa_user_sgpr_kernarg_segment_ptr 1
		.amdhsa_user_sgpr_dispatch_id 0
		.amdhsa_user_sgpr_private_segment_size 0
		.amdhsa_wavefront_size32 1
		.amdhsa_uses_dynamic_stack 0
		.amdhsa_enable_private_segment 0
		.amdhsa_system_sgpr_workgroup_id_x 1
		.amdhsa_system_sgpr_workgroup_id_y 0
		.amdhsa_system_sgpr_workgroup_id_z 0
		.amdhsa_system_sgpr_workgroup_info 0
		.amdhsa_system_vgpr_workitem_id 0
		.amdhsa_next_free_vgpr 1
		.amdhsa_next_free_sgpr 1
		.amdhsa_reserve_vcc 0
		.amdhsa_float_round_mode_32 0
		.amdhsa_float_round_mode_16_64 0
		.amdhsa_float_denorm_mode_32 3
		.amdhsa_float_denorm_mode_16_64 3
		.amdhsa_dx10_clamp 1
		.amdhsa_ieee_mode 1
		.amdhsa_fp16_overflow 0
		.amdhsa_workgroup_processor_mode 1
		.amdhsa_memory_ordered 1
		.amdhsa_forward_progress 0
		.amdhsa_shared_vgpr_count 0
		.amdhsa_exception_fp_ieee_invalid_op 0
		.amdhsa_exception_fp_denorm_src 0
		.amdhsa_exception_fp_ieee_div_zero 0
		.amdhsa_exception_fp_ieee_overflow 0
		.amdhsa_exception_fp_ieee_underflow 0
		.amdhsa_exception_fp_ieee_inexact 0
		.amdhsa_exception_int_div_zero 0
	.end_amdhsa_kernel
	.section	.text._ZN7rocprim17ROCPRIM_400000_NS6detail17trampoline_kernelINS0_14default_configENS1_35adjacent_difference_config_selectorILb1ElEEZNS1_24adjacent_difference_implIS3_Lb1ELb0EPlS7_ZN2at6native12_GLOBAL__N_124unique_dim_cuda_templateIfEESt5tupleIJNS8_6TensorESD_SD_EERKSD_lbbbEUlllE1_EE10hipError_tPvRmT2_T3_mT4_P12ihipStream_tbEUlT_E_NS1_11comp_targetILNS1_3genE8ELNS1_11target_archE1030ELNS1_3gpuE2ELNS1_3repE0EEENS1_30default_config_static_selectorELNS0_4arch9wavefront6targetE0EEEvT1_,"axG",@progbits,_ZN7rocprim17ROCPRIM_400000_NS6detail17trampoline_kernelINS0_14default_configENS1_35adjacent_difference_config_selectorILb1ElEEZNS1_24adjacent_difference_implIS3_Lb1ELb0EPlS7_ZN2at6native12_GLOBAL__N_124unique_dim_cuda_templateIfEESt5tupleIJNS8_6TensorESD_SD_EERKSD_lbbbEUlllE1_EE10hipError_tPvRmT2_T3_mT4_P12ihipStream_tbEUlT_E_NS1_11comp_targetILNS1_3genE8ELNS1_11target_archE1030ELNS1_3gpuE2ELNS1_3repE0EEENS1_30default_config_static_selectorELNS0_4arch9wavefront6targetE0EEEvT1_,comdat
.Lfunc_end928:
	.size	_ZN7rocprim17ROCPRIM_400000_NS6detail17trampoline_kernelINS0_14default_configENS1_35adjacent_difference_config_selectorILb1ElEEZNS1_24adjacent_difference_implIS3_Lb1ELb0EPlS7_ZN2at6native12_GLOBAL__N_124unique_dim_cuda_templateIfEESt5tupleIJNS8_6TensorESD_SD_EERKSD_lbbbEUlllE1_EE10hipError_tPvRmT2_T3_mT4_P12ihipStream_tbEUlT_E_NS1_11comp_targetILNS1_3genE8ELNS1_11target_archE1030ELNS1_3gpuE2ELNS1_3repE0EEENS1_30default_config_static_selectorELNS0_4arch9wavefront6targetE0EEEvT1_, .Lfunc_end928-_ZN7rocprim17ROCPRIM_400000_NS6detail17trampoline_kernelINS0_14default_configENS1_35adjacent_difference_config_selectorILb1ElEEZNS1_24adjacent_difference_implIS3_Lb1ELb0EPlS7_ZN2at6native12_GLOBAL__N_124unique_dim_cuda_templateIfEESt5tupleIJNS8_6TensorESD_SD_EERKSD_lbbbEUlllE1_EE10hipError_tPvRmT2_T3_mT4_P12ihipStream_tbEUlT_E_NS1_11comp_targetILNS1_3genE8ELNS1_11target_archE1030ELNS1_3gpuE2ELNS1_3repE0EEENS1_30default_config_static_selectorELNS0_4arch9wavefront6targetE0EEEvT1_
                                        ; -- End function
	.section	.AMDGPU.csdata,"",@progbits
; Kernel info:
; codeLenInByte = 0
; NumSgprs: 0
; NumVgprs: 0
; ScratchSize: 0
; MemoryBound: 0
; FloatMode: 240
; IeeeMode: 1
; LDSByteSize: 0 bytes/workgroup (compile time only)
; SGPRBlocks: 0
; VGPRBlocks: 0
; NumSGPRsForWavesPerEU: 1
; NumVGPRsForWavesPerEU: 1
; Occupancy: 16
; WaveLimiterHint : 0
; COMPUTE_PGM_RSRC2:SCRATCH_EN: 0
; COMPUTE_PGM_RSRC2:USER_SGPR: 15
; COMPUTE_PGM_RSRC2:TRAP_HANDLER: 0
; COMPUTE_PGM_RSRC2:TGID_X_EN: 1
; COMPUTE_PGM_RSRC2:TGID_Y_EN: 0
; COMPUTE_PGM_RSRC2:TGID_Z_EN: 0
; COMPUTE_PGM_RSRC2:TIDIG_COMP_CNT: 0
	.section	.text._ZN7rocprim17ROCPRIM_400000_NS6detail17trampoline_kernelINS0_14default_configENS1_25partition_config_selectorILNS1_17partition_subalgoE8ElNS0_10empty_typeEbEEZZNS1_14partition_implILS5_8ELb0ES3_jPlPS6_PKS6_NS0_5tupleIJS9_S6_EEENSD_IJSA_SA_EEENS0_18inequality_wrapperIZN2at6native12_GLOBAL__N_124unique_dim_cuda_templateIfEESt5tupleIJNSH_6TensorESM_SM_EERKSM_lbbbEUlllE0_EEPmJS6_EEE10hipError_tPvRmT3_T4_T5_T6_T7_T9_mT8_P12ihipStream_tbDpT10_ENKUlT_T0_E_clISt17integral_constantIbLb0EES1C_EEDaS17_S18_EUlS17_E_NS1_11comp_targetILNS1_3genE0ELNS1_11target_archE4294967295ELNS1_3gpuE0ELNS1_3repE0EEENS1_30default_config_static_selectorELNS0_4arch9wavefront6targetE0EEEvT1_,"axG",@progbits,_ZN7rocprim17ROCPRIM_400000_NS6detail17trampoline_kernelINS0_14default_configENS1_25partition_config_selectorILNS1_17partition_subalgoE8ElNS0_10empty_typeEbEEZZNS1_14partition_implILS5_8ELb0ES3_jPlPS6_PKS6_NS0_5tupleIJS9_S6_EEENSD_IJSA_SA_EEENS0_18inequality_wrapperIZN2at6native12_GLOBAL__N_124unique_dim_cuda_templateIfEESt5tupleIJNSH_6TensorESM_SM_EERKSM_lbbbEUlllE0_EEPmJS6_EEE10hipError_tPvRmT3_T4_T5_T6_T7_T9_mT8_P12ihipStream_tbDpT10_ENKUlT_T0_E_clISt17integral_constantIbLb0EES1C_EEDaS17_S18_EUlS17_E_NS1_11comp_targetILNS1_3genE0ELNS1_11target_archE4294967295ELNS1_3gpuE0ELNS1_3repE0EEENS1_30default_config_static_selectorELNS0_4arch9wavefront6targetE0EEEvT1_,comdat
	.globl	_ZN7rocprim17ROCPRIM_400000_NS6detail17trampoline_kernelINS0_14default_configENS1_25partition_config_selectorILNS1_17partition_subalgoE8ElNS0_10empty_typeEbEEZZNS1_14partition_implILS5_8ELb0ES3_jPlPS6_PKS6_NS0_5tupleIJS9_S6_EEENSD_IJSA_SA_EEENS0_18inequality_wrapperIZN2at6native12_GLOBAL__N_124unique_dim_cuda_templateIfEESt5tupleIJNSH_6TensorESM_SM_EERKSM_lbbbEUlllE0_EEPmJS6_EEE10hipError_tPvRmT3_T4_T5_T6_T7_T9_mT8_P12ihipStream_tbDpT10_ENKUlT_T0_E_clISt17integral_constantIbLb0EES1C_EEDaS17_S18_EUlS17_E_NS1_11comp_targetILNS1_3genE0ELNS1_11target_archE4294967295ELNS1_3gpuE0ELNS1_3repE0EEENS1_30default_config_static_selectorELNS0_4arch9wavefront6targetE0EEEvT1_ ; -- Begin function _ZN7rocprim17ROCPRIM_400000_NS6detail17trampoline_kernelINS0_14default_configENS1_25partition_config_selectorILNS1_17partition_subalgoE8ElNS0_10empty_typeEbEEZZNS1_14partition_implILS5_8ELb0ES3_jPlPS6_PKS6_NS0_5tupleIJS9_S6_EEENSD_IJSA_SA_EEENS0_18inequality_wrapperIZN2at6native12_GLOBAL__N_124unique_dim_cuda_templateIfEESt5tupleIJNSH_6TensorESM_SM_EERKSM_lbbbEUlllE0_EEPmJS6_EEE10hipError_tPvRmT3_T4_T5_T6_T7_T9_mT8_P12ihipStream_tbDpT10_ENKUlT_T0_E_clISt17integral_constantIbLb0EES1C_EEDaS17_S18_EUlS17_E_NS1_11comp_targetILNS1_3genE0ELNS1_11target_archE4294967295ELNS1_3gpuE0ELNS1_3repE0EEENS1_30default_config_static_selectorELNS0_4arch9wavefront6targetE0EEEvT1_
	.p2align	8
	.type	_ZN7rocprim17ROCPRIM_400000_NS6detail17trampoline_kernelINS0_14default_configENS1_25partition_config_selectorILNS1_17partition_subalgoE8ElNS0_10empty_typeEbEEZZNS1_14partition_implILS5_8ELb0ES3_jPlPS6_PKS6_NS0_5tupleIJS9_S6_EEENSD_IJSA_SA_EEENS0_18inequality_wrapperIZN2at6native12_GLOBAL__N_124unique_dim_cuda_templateIfEESt5tupleIJNSH_6TensorESM_SM_EERKSM_lbbbEUlllE0_EEPmJS6_EEE10hipError_tPvRmT3_T4_T5_T6_T7_T9_mT8_P12ihipStream_tbDpT10_ENKUlT_T0_E_clISt17integral_constantIbLb0EES1C_EEDaS17_S18_EUlS17_E_NS1_11comp_targetILNS1_3genE0ELNS1_11target_archE4294967295ELNS1_3gpuE0ELNS1_3repE0EEENS1_30default_config_static_selectorELNS0_4arch9wavefront6targetE0EEEvT1_,@function
_ZN7rocprim17ROCPRIM_400000_NS6detail17trampoline_kernelINS0_14default_configENS1_25partition_config_selectorILNS1_17partition_subalgoE8ElNS0_10empty_typeEbEEZZNS1_14partition_implILS5_8ELb0ES3_jPlPS6_PKS6_NS0_5tupleIJS9_S6_EEENSD_IJSA_SA_EEENS0_18inequality_wrapperIZN2at6native12_GLOBAL__N_124unique_dim_cuda_templateIfEESt5tupleIJNSH_6TensorESM_SM_EERKSM_lbbbEUlllE0_EEPmJS6_EEE10hipError_tPvRmT3_T4_T5_T6_T7_T9_mT8_P12ihipStream_tbDpT10_ENKUlT_T0_E_clISt17integral_constantIbLb0EES1C_EEDaS17_S18_EUlS17_E_NS1_11comp_targetILNS1_3genE0ELNS1_11target_archE4294967295ELNS1_3gpuE0ELNS1_3repE0EEENS1_30default_config_static_selectorELNS0_4arch9wavefront6targetE0EEEvT1_: ; @_ZN7rocprim17ROCPRIM_400000_NS6detail17trampoline_kernelINS0_14default_configENS1_25partition_config_selectorILNS1_17partition_subalgoE8ElNS0_10empty_typeEbEEZZNS1_14partition_implILS5_8ELb0ES3_jPlPS6_PKS6_NS0_5tupleIJS9_S6_EEENSD_IJSA_SA_EEENS0_18inequality_wrapperIZN2at6native12_GLOBAL__N_124unique_dim_cuda_templateIfEESt5tupleIJNSH_6TensorESM_SM_EERKSM_lbbbEUlllE0_EEPmJS6_EEE10hipError_tPvRmT3_T4_T5_T6_T7_T9_mT8_P12ihipStream_tbDpT10_ENKUlT_T0_E_clISt17integral_constantIbLb0EES1C_EEDaS17_S18_EUlS17_E_NS1_11comp_targetILNS1_3genE0ELNS1_11target_archE4294967295ELNS1_3gpuE0ELNS1_3repE0EEENS1_30default_config_static_selectorELNS0_4arch9wavefront6targetE0EEEvT1_
; %bb.0:
	.section	.rodata,"a",@progbits
	.p2align	6, 0x0
	.amdhsa_kernel _ZN7rocprim17ROCPRIM_400000_NS6detail17trampoline_kernelINS0_14default_configENS1_25partition_config_selectorILNS1_17partition_subalgoE8ElNS0_10empty_typeEbEEZZNS1_14partition_implILS5_8ELb0ES3_jPlPS6_PKS6_NS0_5tupleIJS9_S6_EEENSD_IJSA_SA_EEENS0_18inequality_wrapperIZN2at6native12_GLOBAL__N_124unique_dim_cuda_templateIfEESt5tupleIJNSH_6TensorESM_SM_EERKSM_lbbbEUlllE0_EEPmJS6_EEE10hipError_tPvRmT3_T4_T5_T6_T7_T9_mT8_P12ihipStream_tbDpT10_ENKUlT_T0_E_clISt17integral_constantIbLb0EES1C_EEDaS17_S18_EUlS17_E_NS1_11comp_targetILNS1_3genE0ELNS1_11target_archE4294967295ELNS1_3gpuE0ELNS1_3repE0EEENS1_30default_config_static_selectorELNS0_4arch9wavefront6targetE0EEEvT1_
		.amdhsa_group_segment_fixed_size 0
		.amdhsa_private_segment_fixed_size 0
		.amdhsa_kernarg_size 120
		.amdhsa_user_sgpr_count 15
		.amdhsa_user_sgpr_dispatch_ptr 0
		.amdhsa_user_sgpr_queue_ptr 0
		.amdhsa_user_sgpr_kernarg_segment_ptr 1
		.amdhsa_user_sgpr_dispatch_id 0
		.amdhsa_user_sgpr_private_segment_size 0
		.amdhsa_wavefront_size32 1
		.amdhsa_uses_dynamic_stack 0
		.amdhsa_enable_private_segment 0
		.amdhsa_system_sgpr_workgroup_id_x 1
		.amdhsa_system_sgpr_workgroup_id_y 0
		.amdhsa_system_sgpr_workgroup_id_z 0
		.amdhsa_system_sgpr_workgroup_info 0
		.amdhsa_system_vgpr_workitem_id 0
		.amdhsa_next_free_vgpr 1
		.amdhsa_next_free_sgpr 1
		.amdhsa_reserve_vcc 0
		.amdhsa_float_round_mode_32 0
		.amdhsa_float_round_mode_16_64 0
		.amdhsa_float_denorm_mode_32 3
		.amdhsa_float_denorm_mode_16_64 3
		.amdhsa_dx10_clamp 1
		.amdhsa_ieee_mode 1
		.amdhsa_fp16_overflow 0
		.amdhsa_workgroup_processor_mode 1
		.amdhsa_memory_ordered 1
		.amdhsa_forward_progress 0
		.amdhsa_shared_vgpr_count 0
		.amdhsa_exception_fp_ieee_invalid_op 0
		.amdhsa_exception_fp_denorm_src 0
		.amdhsa_exception_fp_ieee_div_zero 0
		.amdhsa_exception_fp_ieee_overflow 0
		.amdhsa_exception_fp_ieee_underflow 0
		.amdhsa_exception_fp_ieee_inexact 0
		.amdhsa_exception_int_div_zero 0
	.end_amdhsa_kernel
	.section	.text._ZN7rocprim17ROCPRIM_400000_NS6detail17trampoline_kernelINS0_14default_configENS1_25partition_config_selectorILNS1_17partition_subalgoE8ElNS0_10empty_typeEbEEZZNS1_14partition_implILS5_8ELb0ES3_jPlPS6_PKS6_NS0_5tupleIJS9_S6_EEENSD_IJSA_SA_EEENS0_18inequality_wrapperIZN2at6native12_GLOBAL__N_124unique_dim_cuda_templateIfEESt5tupleIJNSH_6TensorESM_SM_EERKSM_lbbbEUlllE0_EEPmJS6_EEE10hipError_tPvRmT3_T4_T5_T6_T7_T9_mT8_P12ihipStream_tbDpT10_ENKUlT_T0_E_clISt17integral_constantIbLb0EES1C_EEDaS17_S18_EUlS17_E_NS1_11comp_targetILNS1_3genE0ELNS1_11target_archE4294967295ELNS1_3gpuE0ELNS1_3repE0EEENS1_30default_config_static_selectorELNS0_4arch9wavefront6targetE0EEEvT1_,"axG",@progbits,_ZN7rocprim17ROCPRIM_400000_NS6detail17trampoline_kernelINS0_14default_configENS1_25partition_config_selectorILNS1_17partition_subalgoE8ElNS0_10empty_typeEbEEZZNS1_14partition_implILS5_8ELb0ES3_jPlPS6_PKS6_NS0_5tupleIJS9_S6_EEENSD_IJSA_SA_EEENS0_18inequality_wrapperIZN2at6native12_GLOBAL__N_124unique_dim_cuda_templateIfEESt5tupleIJNSH_6TensorESM_SM_EERKSM_lbbbEUlllE0_EEPmJS6_EEE10hipError_tPvRmT3_T4_T5_T6_T7_T9_mT8_P12ihipStream_tbDpT10_ENKUlT_T0_E_clISt17integral_constantIbLb0EES1C_EEDaS17_S18_EUlS17_E_NS1_11comp_targetILNS1_3genE0ELNS1_11target_archE4294967295ELNS1_3gpuE0ELNS1_3repE0EEENS1_30default_config_static_selectorELNS0_4arch9wavefront6targetE0EEEvT1_,comdat
.Lfunc_end929:
	.size	_ZN7rocprim17ROCPRIM_400000_NS6detail17trampoline_kernelINS0_14default_configENS1_25partition_config_selectorILNS1_17partition_subalgoE8ElNS0_10empty_typeEbEEZZNS1_14partition_implILS5_8ELb0ES3_jPlPS6_PKS6_NS0_5tupleIJS9_S6_EEENSD_IJSA_SA_EEENS0_18inequality_wrapperIZN2at6native12_GLOBAL__N_124unique_dim_cuda_templateIfEESt5tupleIJNSH_6TensorESM_SM_EERKSM_lbbbEUlllE0_EEPmJS6_EEE10hipError_tPvRmT3_T4_T5_T6_T7_T9_mT8_P12ihipStream_tbDpT10_ENKUlT_T0_E_clISt17integral_constantIbLb0EES1C_EEDaS17_S18_EUlS17_E_NS1_11comp_targetILNS1_3genE0ELNS1_11target_archE4294967295ELNS1_3gpuE0ELNS1_3repE0EEENS1_30default_config_static_selectorELNS0_4arch9wavefront6targetE0EEEvT1_, .Lfunc_end929-_ZN7rocprim17ROCPRIM_400000_NS6detail17trampoline_kernelINS0_14default_configENS1_25partition_config_selectorILNS1_17partition_subalgoE8ElNS0_10empty_typeEbEEZZNS1_14partition_implILS5_8ELb0ES3_jPlPS6_PKS6_NS0_5tupleIJS9_S6_EEENSD_IJSA_SA_EEENS0_18inequality_wrapperIZN2at6native12_GLOBAL__N_124unique_dim_cuda_templateIfEESt5tupleIJNSH_6TensorESM_SM_EERKSM_lbbbEUlllE0_EEPmJS6_EEE10hipError_tPvRmT3_T4_T5_T6_T7_T9_mT8_P12ihipStream_tbDpT10_ENKUlT_T0_E_clISt17integral_constantIbLb0EES1C_EEDaS17_S18_EUlS17_E_NS1_11comp_targetILNS1_3genE0ELNS1_11target_archE4294967295ELNS1_3gpuE0ELNS1_3repE0EEENS1_30default_config_static_selectorELNS0_4arch9wavefront6targetE0EEEvT1_
                                        ; -- End function
	.section	.AMDGPU.csdata,"",@progbits
; Kernel info:
; codeLenInByte = 0
; NumSgprs: 0
; NumVgprs: 0
; ScratchSize: 0
; MemoryBound: 0
; FloatMode: 240
; IeeeMode: 1
; LDSByteSize: 0 bytes/workgroup (compile time only)
; SGPRBlocks: 0
; VGPRBlocks: 0
; NumSGPRsForWavesPerEU: 1
; NumVGPRsForWavesPerEU: 1
; Occupancy: 16
; WaveLimiterHint : 0
; COMPUTE_PGM_RSRC2:SCRATCH_EN: 0
; COMPUTE_PGM_RSRC2:USER_SGPR: 15
; COMPUTE_PGM_RSRC2:TRAP_HANDLER: 0
; COMPUTE_PGM_RSRC2:TGID_X_EN: 1
; COMPUTE_PGM_RSRC2:TGID_Y_EN: 0
; COMPUTE_PGM_RSRC2:TGID_Z_EN: 0
; COMPUTE_PGM_RSRC2:TIDIG_COMP_CNT: 0
	.section	.text._ZN7rocprim17ROCPRIM_400000_NS6detail17trampoline_kernelINS0_14default_configENS1_25partition_config_selectorILNS1_17partition_subalgoE8ElNS0_10empty_typeEbEEZZNS1_14partition_implILS5_8ELb0ES3_jPlPS6_PKS6_NS0_5tupleIJS9_S6_EEENSD_IJSA_SA_EEENS0_18inequality_wrapperIZN2at6native12_GLOBAL__N_124unique_dim_cuda_templateIfEESt5tupleIJNSH_6TensorESM_SM_EERKSM_lbbbEUlllE0_EEPmJS6_EEE10hipError_tPvRmT3_T4_T5_T6_T7_T9_mT8_P12ihipStream_tbDpT10_ENKUlT_T0_E_clISt17integral_constantIbLb0EES1C_EEDaS17_S18_EUlS17_E_NS1_11comp_targetILNS1_3genE5ELNS1_11target_archE942ELNS1_3gpuE9ELNS1_3repE0EEENS1_30default_config_static_selectorELNS0_4arch9wavefront6targetE0EEEvT1_,"axG",@progbits,_ZN7rocprim17ROCPRIM_400000_NS6detail17trampoline_kernelINS0_14default_configENS1_25partition_config_selectorILNS1_17partition_subalgoE8ElNS0_10empty_typeEbEEZZNS1_14partition_implILS5_8ELb0ES3_jPlPS6_PKS6_NS0_5tupleIJS9_S6_EEENSD_IJSA_SA_EEENS0_18inequality_wrapperIZN2at6native12_GLOBAL__N_124unique_dim_cuda_templateIfEESt5tupleIJNSH_6TensorESM_SM_EERKSM_lbbbEUlllE0_EEPmJS6_EEE10hipError_tPvRmT3_T4_T5_T6_T7_T9_mT8_P12ihipStream_tbDpT10_ENKUlT_T0_E_clISt17integral_constantIbLb0EES1C_EEDaS17_S18_EUlS17_E_NS1_11comp_targetILNS1_3genE5ELNS1_11target_archE942ELNS1_3gpuE9ELNS1_3repE0EEENS1_30default_config_static_selectorELNS0_4arch9wavefront6targetE0EEEvT1_,comdat
	.globl	_ZN7rocprim17ROCPRIM_400000_NS6detail17trampoline_kernelINS0_14default_configENS1_25partition_config_selectorILNS1_17partition_subalgoE8ElNS0_10empty_typeEbEEZZNS1_14partition_implILS5_8ELb0ES3_jPlPS6_PKS6_NS0_5tupleIJS9_S6_EEENSD_IJSA_SA_EEENS0_18inequality_wrapperIZN2at6native12_GLOBAL__N_124unique_dim_cuda_templateIfEESt5tupleIJNSH_6TensorESM_SM_EERKSM_lbbbEUlllE0_EEPmJS6_EEE10hipError_tPvRmT3_T4_T5_T6_T7_T9_mT8_P12ihipStream_tbDpT10_ENKUlT_T0_E_clISt17integral_constantIbLb0EES1C_EEDaS17_S18_EUlS17_E_NS1_11comp_targetILNS1_3genE5ELNS1_11target_archE942ELNS1_3gpuE9ELNS1_3repE0EEENS1_30default_config_static_selectorELNS0_4arch9wavefront6targetE0EEEvT1_ ; -- Begin function _ZN7rocprim17ROCPRIM_400000_NS6detail17trampoline_kernelINS0_14default_configENS1_25partition_config_selectorILNS1_17partition_subalgoE8ElNS0_10empty_typeEbEEZZNS1_14partition_implILS5_8ELb0ES3_jPlPS6_PKS6_NS0_5tupleIJS9_S6_EEENSD_IJSA_SA_EEENS0_18inequality_wrapperIZN2at6native12_GLOBAL__N_124unique_dim_cuda_templateIfEESt5tupleIJNSH_6TensorESM_SM_EERKSM_lbbbEUlllE0_EEPmJS6_EEE10hipError_tPvRmT3_T4_T5_T6_T7_T9_mT8_P12ihipStream_tbDpT10_ENKUlT_T0_E_clISt17integral_constantIbLb0EES1C_EEDaS17_S18_EUlS17_E_NS1_11comp_targetILNS1_3genE5ELNS1_11target_archE942ELNS1_3gpuE9ELNS1_3repE0EEENS1_30default_config_static_selectorELNS0_4arch9wavefront6targetE0EEEvT1_
	.p2align	8
	.type	_ZN7rocprim17ROCPRIM_400000_NS6detail17trampoline_kernelINS0_14default_configENS1_25partition_config_selectorILNS1_17partition_subalgoE8ElNS0_10empty_typeEbEEZZNS1_14partition_implILS5_8ELb0ES3_jPlPS6_PKS6_NS0_5tupleIJS9_S6_EEENSD_IJSA_SA_EEENS0_18inequality_wrapperIZN2at6native12_GLOBAL__N_124unique_dim_cuda_templateIfEESt5tupleIJNSH_6TensorESM_SM_EERKSM_lbbbEUlllE0_EEPmJS6_EEE10hipError_tPvRmT3_T4_T5_T6_T7_T9_mT8_P12ihipStream_tbDpT10_ENKUlT_T0_E_clISt17integral_constantIbLb0EES1C_EEDaS17_S18_EUlS17_E_NS1_11comp_targetILNS1_3genE5ELNS1_11target_archE942ELNS1_3gpuE9ELNS1_3repE0EEENS1_30default_config_static_selectorELNS0_4arch9wavefront6targetE0EEEvT1_,@function
_ZN7rocprim17ROCPRIM_400000_NS6detail17trampoline_kernelINS0_14default_configENS1_25partition_config_selectorILNS1_17partition_subalgoE8ElNS0_10empty_typeEbEEZZNS1_14partition_implILS5_8ELb0ES3_jPlPS6_PKS6_NS0_5tupleIJS9_S6_EEENSD_IJSA_SA_EEENS0_18inequality_wrapperIZN2at6native12_GLOBAL__N_124unique_dim_cuda_templateIfEESt5tupleIJNSH_6TensorESM_SM_EERKSM_lbbbEUlllE0_EEPmJS6_EEE10hipError_tPvRmT3_T4_T5_T6_T7_T9_mT8_P12ihipStream_tbDpT10_ENKUlT_T0_E_clISt17integral_constantIbLb0EES1C_EEDaS17_S18_EUlS17_E_NS1_11comp_targetILNS1_3genE5ELNS1_11target_archE942ELNS1_3gpuE9ELNS1_3repE0EEENS1_30default_config_static_selectorELNS0_4arch9wavefront6targetE0EEEvT1_: ; @_ZN7rocprim17ROCPRIM_400000_NS6detail17trampoline_kernelINS0_14default_configENS1_25partition_config_selectorILNS1_17partition_subalgoE8ElNS0_10empty_typeEbEEZZNS1_14partition_implILS5_8ELb0ES3_jPlPS6_PKS6_NS0_5tupleIJS9_S6_EEENSD_IJSA_SA_EEENS0_18inequality_wrapperIZN2at6native12_GLOBAL__N_124unique_dim_cuda_templateIfEESt5tupleIJNSH_6TensorESM_SM_EERKSM_lbbbEUlllE0_EEPmJS6_EEE10hipError_tPvRmT3_T4_T5_T6_T7_T9_mT8_P12ihipStream_tbDpT10_ENKUlT_T0_E_clISt17integral_constantIbLb0EES1C_EEDaS17_S18_EUlS17_E_NS1_11comp_targetILNS1_3genE5ELNS1_11target_archE942ELNS1_3gpuE9ELNS1_3repE0EEENS1_30default_config_static_selectorELNS0_4arch9wavefront6targetE0EEEvT1_
; %bb.0:
	.section	.rodata,"a",@progbits
	.p2align	6, 0x0
	.amdhsa_kernel _ZN7rocprim17ROCPRIM_400000_NS6detail17trampoline_kernelINS0_14default_configENS1_25partition_config_selectorILNS1_17partition_subalgoE8ElNS0_10empty_typeEbEEZZNS1_14partition_implILS5_8ELb0ES3_jPlPS6_PKS6_NS0_5tupleIJS9_S6_EEENSD_IJSA_SA_EEENS0_18inequality_wrapperIZN2at6native12_GLOBAL__N_124unique_dim_cuda_templateIfEESt5tupleIJNSH_6TensorESM_SM_EERKSM_lbbbEUlllE0_EEPmJS6_EEE10hipError_tPvRmT3_T4_T5_T6_T7_T9_mT8_P12ihipStream_tbDpT10_ENKUlT_T0_E_clISt17integral_constantIbLb0EES1C_EEDaS17_S18_EUlS17_E_NS1_11comp_targetILNS1_3genE5ELNS1_11target_archE942ELNS1_3gpuE9ELNS1_3repE0EEENS1_30default_config_static_selectorELNS0_4arch9wavefront6targetE0EEEvT1_
		.amdhsa_group_segment_fixed_size 0
		.amdhsa_private_segment_fixed_size 0
		.amdhsa_kernarg_size 120
		.amdhsa_user_sgpr_count 15
		.amdhsa_user_sgpr_dispatch_ptr 0
		.amdhsa_user_sgpr_queue_ptr 0
		.amdhsa_user_sgpr_kernarg_segment_ptr 1
		.amdhsa_user_sgpr_dispatch_id 0
		.amdhsa_user_sgpr_private_segment_size 0
		.amdhsa_wavefront_size32 1
		.amdhsa_uses_dynamic_stack 0
		.amdhsa_enable_private_segment 0
		.amdhsa_system_sgpr_workgroup_id_x 1
		.amdhsa_system_sgpr_workgroup_id_y 0
		.amdhsa_system_sgpr_workgroup_id_z 0
		.amdhsa_system_sgpr_workgroup_info 0
		.amdhsa_system_vgpr_workitem_id 0
		.amdhsa_next_free_vgpr 1
		.amdhsa_next_free_sgpr 1
		.amdhsa_reserve_vcc 0
		.amdhsa_float_round_mode_32 0
		.amdhsa_float_round_mode_16_64 0
		.amdhsa_float_denorm_mode_32 3
		.amdhsa_float_denorm_mode_16_64 3
		.amdhsa_dx10_clamp 1
		.amdhsa_ieee_mode 1
		.amdhsa_fp16_overflow 0
		.amdhsa_workgroup_processor_mode 1
		.amdhsa_memory_ordered 1
		.amdhsa_forward_progress 0
		.amdhsa_shared_vgpr_count 0
		.amdhsa_exception_fp_ieee_invalid_op 0
		.amdhsa_exception_fp_denorm_src 0
		.amdhsa_exception_fp_ieee_div_zero 0
		.amdhsa_exception_fp_ieee_overflow 0
		.amdhsa_exception_fp_ieee_underflow 0
		.amdhsa_exception_fp_ieee_inexact 0
		.amdhsa_exception_int_div_zero 0
	.end_amdhsa_kernel
	.section	.text._ZN7rocprim17ROCPRIM_400000_NS6detail17trampoline_kernelINS0_14default_configENS1_25partition_config_selectorILNS1_17partition_subalgoE8ElNS0_10empty_typeEbEEZZNS1_14partition_implILS5_8ELb0ES3_jPlPS6_PKS6_NS0_5tupleIJS9_S6_EEENSD_IJSA_SA_EEENS0_18inequality_wrapperIZN2at6native12_GLOBAL__N_124unique_dim_cuda_templateIfEESt5tupleIJNSH_6TensorESM_SM_EERKSM_lbbbEUlllE0_EEPmJS6_EEE10hipError_tPvRmT3_T4_T5_T6_T7_T9_mT8_P12ihipStream_tbDpT10_ENKUlT_T0_E_clISt17integral_constantIbLb0EES1C_EEDaS17_S18_EUlS17_E_NS1_11comp_targetILNS1_3genE5ELNS1_11target_archE942ELNS1_3gpuE9ELNS1_3repE0EEENS1_30default_config_static_selectorELNS0_4arch9wavefront6targetE0EEEvT1_,"axG",@progbits,_ZN7rocprim17ROCPRIM_400000_NS6detail17trampoline_kernelINS0_14default_configENS1_25partition_config_selectorILNS1_17partition_subalgoE8ElNS0_10empty_typeEbEEZZNS1_14partition_implILS5_8ELb0ES3_jPlPS6_PKS6_NS0_5tupleIJS9_S6_EEENSD_IJSA_SA_EEENS0_18inequality_wrapperIZN2at6native12_GLOBAL__N_124unique_dim_cuda_templateIfEESt5tupleIJNSH_6TensorESM_SM_EERKSM_lbbbEUlllE0_EEPmJS6_EEE10hipError_tPvRmT3_T4_T5_T6_T7_T9_mT8_P12ihipStream_tbDpT10_ENKUlT_T0_E_clISt17integral_constantIbLb0EES1C_EEDaS17_S18_EUlS17_E_NS1_11comp_targetILNS1_3genE5ELNS1_11target_archE942ELNS1_3gpuE9ELNS1_3repE0EEENS1_30default_config_static_selectorELNS0_4arch9wavefront6targetE0EEEvT1_,comdat
.Lfunc_end930:
	.size	_ZN7rocprim17ROCPRIM_400000_NS6detail17trampoline_kernelINS0_14default_configENS1_25partition_config_selectorILNS1_17partition_subalgoE8ElNS0_10empty_typeEbEEZZNS1_14partition_implILS5_8ELb0ES3_jPlPS6_PKS6_NS0_5tupleIJS9_S6_EEENSD_IJSA_SA_EEENS0_18inequality_wrapperIZN2at6native12_GLOBAL__N_124unique_dim_cuda_templateIfEESt5tupleIJNSH_6TensorESM_SM_EERKSM_lbbbEUlllE0_EEPmJS6_EEE10hipError_tPvRmT3_T4_T5_T6_T7_T9_mT8_P12ihipStream_tbDpT10_ENKUlT_T0_E_clISt17integral_constantIbLb0EES1C_EEDaS17_S18_EUlS17_E_NS1_11comp_targetILNS1_3genE5ELNS1_11target_archE942ELNS1_3gpuE9ELNS1_3repE0EEENS1_30default_config_static_selectorELNS0_4arch9wavefront6targetE0EEEvT1_, .Lfunc_end930-_ZN7rocprim17ROCPRIM_400000_NS6detail17trampoline_kernelINS0_14default_configENS1_25partition_config_selectorILNS1_17partition_subalgoE8ElNS0_10empty_typeEbEEZZNS1_14partition_implILS5_8ELb0ES3_jPlPS6_PKS6_NS0_5tupleIJS9_S6_EEENSD_IJSA_SA_EEENS0_18inequality_wrapperIZN2at6native12_GLOBAL__N_124unique_dim_cuda_templateIfEESt5tupleIJNSH_6TensorESM_SM_EERKSM_lbbbEUlllE0_EEPmJS6_EEE10hipError_tPvRmT3_T4_T5_T6_T7_T9_mT8_P12ihipStream_tbDpT10_ENKUlT_T0_E_clISt17integral_constantIbLb0EES1C_EEDaS17_S18_EUlS17_E_NS1_11comp_targetILNS1_3genE5ELNS1_11target_archE942ELNS1_3gpuE9ELNS1_3repE0EEENS1_30default_config_static_selectorELNS0_4arch9wavefront6targetE0EEEvT1_
                                        ; -- End function
	.section	.AMDGPU.csdata,"",@progbits
; Kernel info:
; codeLenInByte = 0
; NumSgprs: 0
; NumVgprs: 0
; ScratchSize: 0
; MemoryBound: 0
; FloatMode: 240
; IeeeMode: 1
; LDSByteSize: 0 bytes/workgroup (compile time only)
; SGPRBlocks: 0
; VGPRBlocks: 0
; NumSGPRsForWavesPerEU: 1
; NumVGPRsForWavesPerEU: 1
; Occupancy: 16
; WaveLimiterHint : 0
; COMPUTE_PGM_RSRC2:SCRATCH_EN: 0
; COMPUTE_PGM_RSRC2:USER_SGPR: 15
; COMPUTE_PGM_RSRC2:TRAP_HANDLER: 0
; COMPUTE_PGM_RSRC2:TGID_X_EN: 1
; COMPUTE_PGM_RSRC2:TGID_Y_EN: 0
; COMPUTE_PGM_RSRC2:TGID_Z_EN: 0
; COMPUTE_PGM_RSRC2:TIDIG_COMP_CNT: 0
	.section	.text._ZN7rocprim17ROCPRIM_400000_NS6detail17trampoline_kernelINS0_14default_configENS1_25partition_config_selectorILNS1_17partition_subalgoE8ElNS0_10empty_typeEbEEZZNS1_14partition_implILS5_8ELb0ES3_jPlPS6_PKS6_NS0_5tupleIJS9_S6_EEENSD_IJSA_SA_EEENS0_18inequality_wrapperIZN2at6native12_GLOBAL__N_124unique_dim_cuda_templateIfEESt5tupleIJNSH_6TensorESM_SM_EERKSM_lbbbEUlllE0_EEPmJS6_EEE10hipError_tPvRmT3_T4_T5_T6_T7_T9_mT8_P12ihipStream_tbDpT10_ENKUlT_T0_E_clISt17integral_constantIbLb0EES1C_EEDaS17_S18_EUlS17_E_NS1_11comp_targetILNS1_3genE4ELNS1_11target_archE910ELNS1_3gpuE8ELNS1_3repE0EEENS1_30default_config_static_selectorELNS0_4arch9wavefront6targetE0EEEvT1_,"axG",@progbits,_ZN7rocprim17ROCPRIM_400000_NS6detail17trampoline_kernelINS0_14default_configENS1_25partition_config_selectorILNS1_17partition_subalgoE8ElNS0_10empty_typeEbEEZZNS1_14partition_implILS5_8ELb0ES3_jPlPS6_PKS6_NS0_5tupleIJS9_S6_EEENSD_IJSA_SA_EEENS0_18inequality_wrapperIZN2at6native12_GLOBAL__N_124unique_dim_cuda_templateIfEESt5tupleIJNSH_6TensorESM_SM_EERKSM_lbbbEUlllE0_EEPmJS6_EEE10hipError_tPvRmT3_T4_T5_T6_T7_T9_mT8_P12ihipStream_tbDpT10_ENKUlT_T0_E_clISt17integral_constantIbLb0EES1C_EEDaS17_S18_EUlS17_E_NS1_11comp_targetILNS1_3genE4ELNS1_11target_archE910ELNS1_3gpuE8ELNS1_3repE0EEENS1_30default_config_static_selectorELNS0_4arch9wavefront6targetE0EEEvT1_,comdat
	.globl	_ZN7rocprim17ROCPRIM_400000_NS6detail17trampoline_kernelINS0_14default_configENS1_25partition_config_selectorILNS1_17partition_subalgoE8ElNS0_10empty_typeEbEEZZNS1_14partition_implILS5_8ELb0ES3_jPlPS6_PKS6_NS0_5tupleIJS9_S6_EEENSD_IJSA_SA_EEENS0_18inequality_wrapperIZN2at6native12_GLOBAL__N_124unique_dim_cuda_templateIfEESt5tupleIJNSH_6TensorESM_SM_EERKSM_lbbbEUlllE0_EEPmJS6_EEE10hipError_tPvRmT3_T4_T5_T6_T7_T9_mT8_P12ihipStream_tbDpT10_ENKUlT_T0_E_clISt17integral_constantIbLb0EES1C_EEDaS17_S18_EUlS17_E_NS1_11comp_targetILNS1_3genE4ELNS1_11target_archE910ELNS1_3gpuE8ELNS1_3repE0EEENS1_30default_config_static_selectorELNS0_4arch9wavefront6targetE0EEEvT1_ ; -- Begin function _ZN7rocprim17ROCPRIM_400000_NS6detail17trampoline_kernelINS0_14default_configENS1_25partition_config_selectorILNS1_17partition_subalgoE8ElNS0_10empty_typeEbEEZZNS1_14partition_implILS5_8ELb0ES3_jPlPS6_PKS6_NS0_5tupleIJS9_S6_EEENSD_IJSA_SA_EEENS0_18inequality_wrapperIZN2at6native12_GLOBAL__N_124unique_dim_cuda_templateIfEESt5tupleIJNSH_6TensorESM_SM_EERKSM_lbbbEUlllE0_EEPmJS6_EEE10hipError_tPvRmT3_T4_T5_T6_T7_T9_mT8_P12ihipStream_tbDpT10_ENKUlT_T0_E_clISt17integral_constantIbLb0EES1C_EEDaS17_S18_EUlS17_E_NS1_11comp_targetILNS1_3genE4ELNS1_11target_archE910ELNS1_3gpuE8ELNS1_3repE0EEENS1_30default_config_static_selectorELNS0_4arch9wavefront6targetE0EEEvT1_
	.p2align	8
	.type	_ZN7rocprim17ROCPRIM_400000_NS6detail17trampoline_kernelINS0_14default_configENS1_25partition_config_selectorILNS1_17partition_subalgoE8ElNS0_10empty_typeEbEEZZNS1_14partition_implILS5_8ELb0ES3_jPlPS6_PKS6_NS0_5tupleIJS9_S6_EEENSD_IJSA_SA_EEENS0_18inequality_wrapperIZN2at6native12_GLOBAL__N_124unique_dim_cuda_templateIfEESt5tupleIJNSH_6TensorESM_SM_EERKSM_lbbbEUlllE0_EEPmJS6_EEE10hipError_tPvRmT3_T4_T5_T6_T7_T9_mT8_P12ihipStream_tbDpT10_ENKUlT_T0_E_clISt17integral_constantIbLb0EES1C_EEDaS17_S18_EUlS17_E_NS1_11comp_targetILNS1_3genE4ELNS1_11target_archE910ELNS1_3gpuE8ELNS1_3repE0EEENS1_30default_config_static_selectorELNS0_4arch9wavefront6targetE0EEEvT1_,@function
_ZN7rocprim17ROCPRIM_400000_NS6detail17trampoline_kernelINS0_14default_configENS1_25partition_config_selectorILNS1_17partition_subalgoE8ElNS0_10empty_typeEbEEZZNS1_14partition_implILS5_8ELb0ES3_jPlPS6_PKS6_NS0_5tupleIJS9_S6_EEENSD_IJSA_SA_EEENS0_18inequality_wrapperIZN2at6native12_GLOBAL__N_124unique_dim_cuda_templateIfEESt5tupleIJNSH_6TensorESM_SM_EERKSM_lbbbEUlllE0_EEPmJS6_EEE10hipError_tPvRmT3_T4_T5_T6_T7_T9_mT8_P12ihipStream_tbDpT10_ENKUlT_T0_E_clISt17integral_constantIbLb0EES1C_EEDaS17_S18_EUlS17_E_NS1_11comp_targetILNS1_3genE4ELNS1_11target_archE910ELNS1_3gpuE8ELNS1_3repE0EEENS1_30default_config_static_selectorELNS0_4arch9wavefront6targetE0EEEvT1_: ; @_ZN7rocprim17ROCPRIM_400000_NS6detail17trampoline_kernelINS0_14default_configENS1_25partition_config_selectorILNS1_17partition_subalgoE8ElNS0_10empty_typeEbEEZZNS1_14partition_implILS5_8ELb0ES3_jPlPS6_PKS6_NS0_5tupleIJS9_S6_EEENSD_IJSA_SA_EEENS0_18inequality_wrapperIZN2at6native12_GLOBAL__N_124unique_dim_cuda_templateIfEESt5tupleIJNSH_6TensorESM_SM_EERKSM_lbbbEUlllE0_EEPmJS6_EEE10hipError_tPvRmT3_T4_T5_T6_T7_T9_mT8_P12ihipStream_tbDpT10_ENKUlT_T0_E_clISt17integral_constantIbLb0EES1C_EEDaS17_S18_EUlS17_E_NS1_11comp_targetILNS1_3genE4ELNS1_11target_archE910ELNS1_3gpuE8ELNS1_3repE0EEENS1_30default_config_static_selectorELNS0_4arch9wavefront6targetE0EEEvT1_
; %bb.0:
	.section	.rodata,"a",@progbits
	.p2align	6, 0x0
	.amdhsa_kernel _ZN7rocprim17ROCPRIM_400000_NS6detail17trampoline_kernelINS0_14default_configENS1_25partition_config_selectorILNS1_17partition_subalgoE8ElNS0_10empty_typeEbEEZZNS1_14partition_implILS5_8ELb0ES3_jPlPS6_PKS6_NS0_5tupleIJS9_S6_EEENSD_IJSA_SA_EEENS0_18inequality_wrapperIZN2at6native12_GLOBAL__N_124unique_dim_cuda_templateIfEESt5tupleIJNSH_6TensorESM_SM_EERKSM_lbbbEUlllE0_EEPmJS6_EEE10hipError_tPvRmT3_T4_T5_T6_T7_T9_mT8_P12ihipStream_tbDpT10_ENKUlT_T0_E_clISt17integral_constantIbLb0EES1C_EEDaS17_S18_EUlS17_E_NS1_11comp_targetILNS1_3genE4ELNS1_11target_archE910ELNS1_3gpuE8ELNS1_3repE0EEENS1_30default_config_static_selectorELNS0_4arch9wavefront6targetE0EEEvT1_
		.amdhsa_group_segment_fixed_size 0
		.amdhsa_private_segment_fixed_size 0
		.amdhsa_kernarg_size 120
		.amdhsa_user_sgpr_count 15
		.amdhsa_user_sgpr_dispatch_ptr 0
		.amdhsa_user_sgpr_queue_ptr 0
		.amdhsa_user_sgpr_kernarg_segment_ptr 1
		.amdhsa_user_sgpr_dispatch_id 0
		.amdhsa_user_sgpr_private_segment_size 0
		.amdhsa_wavefront_size32 1
		.amdhsa_uses_dynamic_stack 0
		.amdhsa_enable_private_segment 0
		.amdhsa_system_sgpr_workgroup_id_x 1
		.amdhsa_system_sgpr_workgroup_id_y 0
		.amdhsa_system_sgpr_workgroup_id_z 0
		.amdhsa_system_sgpr_workgroup_info 0
		.amdhsa_system_vgpr_workitem_id 0
		.amdhsa_next_free_vgpr 1
		.amdhsa_next_free_sgpr 1
		.amdhsa_reserve_vcc 0
		.amdhsa_float_round_mode_32 0
		.amdhsa_float_round_mode_16_64 0
		.amdhsa_float_denorm_mode_32 3
		.amdhsa_float_denorm_mode_16_64 3
		.amdhsa_dx10_clamp 1
		.amdhsa_ieee_mode 1
		.amdhsa_fp16_overflow 0
		.amdhsa_workgroup_processor_mode 1
		.amdhsa_memory_ordered 1
		.amdhsa_forward_progress 0
		.amdhsa_shared_vgpr_count 0
		.amdhsa_exception_fp_ieee_invalid_op 0
		.amdhsa_exception_fp_denorm_src 0
		.amdhsa_exception_fp_ieee_div_zero 0
		.amdhsa_exception_fp_ieee_overflow 0
		.amdhsa_exception_fp_ieee_underflow 0
		.amdhsa_exception_fp_ieee_inexact 0
		.amdhsa_exception_int_div_zero 0
	.end_amdhsa_kernel
	.section	.text._ZN7rocprim17ROCPRIM_400000_NS6detail17trampoline_kernelINS0_14default_configENS1_25partition_config_selectorILNS1_17partition_subalgoE8ElNS0_10empty_typeEbEEZZNS1_14partition_implILS5_8ELb0ES3_jPlPS6_PKS6_NS0_5tupleIJS9_S6_EEENSD_IJSA_SA_EEENS0_18inequality_wrapperIZN2at6native12_GLOBAL__N_124unique_dim_cuda_templateIfEESt5tupleIJNSH_6TensorESM_SM_EERKSM_lbbbEUlllE0_EEPmJS6_EEE10hipError_tPvRmT3_T4_T5_T6_T7_T9_mT8_P12ihipStream_tbDpT10_ENKUlT_T0_E_clISt17integral_constantIbLb0EES1C_EEDaS17_S18_EUlS17_E_NS1_11comp_targetILNS1_3genE4ELNS1_11target_archE910ELNS1_3gpuE8ELNS1_3repE0EEENS1_30default_config_static_selectorELNS0_4arch9wavefront6targetE0EEEvT1_,"axG",@progbits,_ZN7rocprim17ROCPRIM_400000_NS6detail17trampoline_kernelINS0_14default_configENS1_25partition_config_selectorILNS1_17partition_subalgoE8ElNS0_10empty_typeEbEEZZNS1_14partition_implILS5_8ELb0ES3_jPlPS6_PKS6_NS0_5tupleIJS9_S6_EEENSD_IJSA_SA_EEENS0_18inequality_wrapperIZN2at6native12_GLOBAL__N_124unique_dim_cuda_templateIfEESt5tupleIJNSH_6TensorESM_SM_EERKSM_lbbbEUlllE0_EEPmJS6_EEE10hipError_tPvRmT3_T4_T5_T6_T7_T9_mT8_P12ihipStream_tbDpT10_ENKUlT_T0_E_clISt17integral_constantIbLb0EES1C_EEDaS17_S18_EUlS17_E_NS1_11comp_targetILNS1_3genE4ELNS1_11target_archE910ELNS1_3gpuE8ELNS1_3repE0EEENS1_30default_config_static_selectorELNS0_4arch9wavefront6targetE0EEEvT1_,comdat
.Lfunc_end931:
	.size	_ZN7rocprim17ROCPRIM_400000_NS6detail17trampoline_kernelINS0_14default_configENS1_25partition_config_selectorILNS1_17partition_subalgoE8ElNS0_10empty_typeEbEEZZNS1_14partition_implILS5_8ELb0ES3_jPlPS6_PKS6_NS0_5tupleIJS9_S6_EEENSD_IJSA_SA_EEENS0_18inequality_wrapperIZN2at6native12_GLOBAL__N_124unique_dim_cuda_templateIfEESt5tupleIJNSH_6TensorESM_SM_EERKSM_lbbbEUlllE0_EEPmJS6_EEE10hipError_tPvRmT3_T4_T5_T6_T7_T9_mT8_P12ihipStream_tbDpT10_ENKUlT_T0_E_clISt17integral_constantIbLb0EES1C_EEDaS17_S18_EUlS17_E_NS1_11comp_targetILNS1_3genE4ELNS1_11target_archE910ELNS1_3gpuE8ELNS1_3repE0EEENS1_30default_config_static_selectorELNS0_4arch9wavefront6targetE0EEEvT1_, .Lfunc_end931-_ZN7rocprim17ROCPRIM_400000_NS6detail17trampoline_kernelINS0_14default_configENS1_25partition_config_selectorILNS1_17partition_subalgoE8ElNS0_10empty_typeEbEEZZNS1_14partition_implILS5_8ELb0ES3_jPlPS6_PKS6_NS0_5tupleIJS9_S6_EEENSD_IJSA_SA_EEENS0_18inequality_wrapperIZN2at6native12_GLOBAL__N_124unique_dim_cuda_templateIfEESt5tupleIJNSH_6TensorESM_SM_EERKSM_lbbbEUlllE0_EEPmJS6_EEE10hipError_tPvRmT3_T4_T5_T6_T7_T9_mT8_P12ihipStream_tbDpT10_ENKUlT_T0_E_clISt17integral_constantIbLb0EES1C_EEDaS17_S18_EUlS17_E_NS1_11comp_targetILNS1_3genE4ELNS1_11target_archE910ELNS1_3gpuE8ELNS1_3repE0EEENS1_30default_config_static_selectorELNS0_4arch9wavefront6targetE0EEEvT1_
                                        ; -- End function
	.section	.AMDGPU.csdata,"",@progbits
; Kernel info:
; codeLenInByte = 0
; NumSgprs: 0
; NumVgprs: 0
; ScratchSize: 0
; MemoryBound: 0
; FloatMode: 240
; IeeeMode: 1
; LDSByteSize: 0 bytes/workgroup (compile time only)
; SGPRBlocks: 0
; VGPRBlocks: 0
; NumSGPRsForWavesPerEU: 1
; NumVGPRsForWavesPerEU: 1
; Occupancy: 16
; WaveLimiterHint : 0
; COMPUTE_PGM_RSRC2:SCRATCH_EN: 0
; COMPUTE_PGM_RSRC2:USER_SGPR: 15
; COMPUTE_PGM_RSRC2:TRAP_HANDLER: 0
; COMPUTE_PGM_RSRC2:TGID_X_EN: 1
; COMPUTE_PGM_RSRC2:TGID_Y_EN: 0
; COMPUTE_PGM_RSRC2:TGID_Z_EN: 0
; COMPUTE_PGM_RSRC2:TIDIG_COMP_CNT: 0
	.section	.text._ZN7rocprim17ROCPRIM_400000_NS6detail17trampoline_kernelINS0_14default_configENS1_25partition_config_selectorILNS1_17partition_subalgoE8ElNS0_10empty_typeEbEEZZNS1_14partition_implILS5_8ELb0ES3_jPlPS6_PKS6_NS0_5tupleIJS9_S6_EEENSD_IJSA_SA_EEENS0_18inequality_wrapperIZN2at6native12_GLOBAL__N_124unique_dim_cuda_templateIfEESt5tupleIJNSH_6TensorESM_SM_EERKSM_lbbbEUlllE0_EEPmJS6_EEE10hipError_tPvRmT3_T4_T5_T6_T7_T9_mT8_P12ihipStream_tbDpT10_ENKUlT_T0_E_clISt17integral_constantIbLb0EES1C_EEDaS17_S18_EUlS17_E_NS1_11comp_targetILNS1_3genE3ELNS1_11target_archE908ELNS1_3gpuE7ELNS1_3repE0EEENS1_30default_config_static_selectorELNS0_4arch9wavefront6targetE0EEEvT1_,"axG",@progbits,_ZN7rocprim17ROCPRIM_400000_NS6detail17trampoline_kernelINS0_14default_configENS1_25partition_config_selectorILNS1_17partition_subalgoE8ElNS0_10empty_typeEbEEZZNS1_14partition_implILS5_8ELb0ES3_jPlPS6_PKS6_NS0_5tupleIJS9_S6_EEENSD_IJSA_SA_EEENS0_18inequality_wrapperIZN2at6native12_GLOBAL__N_124unique_dim_cuda_templateIfEESt5tupleIJNSH_6TensorESM_SM_EERKSM_lbbbEUlllE0_EEPmJS6_EEE10hipError_tPvRmT3_T4_T5_T6_T7_T9_mT8_P12ihipStream_tbDpT10_ENKUlT_T0_E_clISt17integral_constantIbLb0EES1C_EEDaS17_S18_EUlS17_E_NS1_11comp_targetILNS1_3genE3ELNS1_11target_archE908ELNS1_3gpuE7ELNS1_3repE0EEENS1_30default_config_static_selectorELNS0_4arch9wavefront6targetE0EEEvT1_,comdat
	.globl	_ZN7rocprim17ROCPRIM_400000_NS6detail17trampoline_kernelINS0_14default_configENS1_25partition_config_selectorILNS1_17partition_subalgoE8ElNS0_10empty_typeEbEEZZNS1_14partition_implILS5_8ELb0ES3_jPlPS6_PKS6_NS0_5tupleIJS9_S6_EEENSD_IJSA_SA_EEENS0_18inequality_wrapperIZN2at6native12_GLOBAL__N_124unique_dim_cuda_templateIfEESt5tupleIJNSH_6TensorESM_SM_EERKSM_lbbbEUlllE0_EEPmJS6_EEE10hipError_tPvRmT3_T4_T5_T6_T7_T9_mT8_P12ihipStream_tbDpT10_ENKUlT_T0_E_clISt17integral_constantIbLb0EES1C_EEDaS17_S18_EUlS17_E_NS1_11comp_targetILNS1_3genE3ELNS1_11target_archE908ELNS1_3gpuE7ELNS1_3repE0EEENS1_30default_config_static_selectorELNS0_4arch9wavefront6targetE0EEEvT1_ ; -- Begin function _ZN7rocprim17ROCPRIM_400000_NS6detail17trampoline_kernelINS0_14default_configENS1_25partition_config_selectorILNS1_17partition_subalgoE8ElNS0_10empty_typeEbEEZZNS1_14partition_implILS5_8ELb0ES3_jPlPS6_PKS6_NS0_5tupleIJS9_S6_EEENSD_IJSA_SA_EEENS0_18inequality_wrapperIZN2at6native12_GLOBAL__N_124unique_dim_cuda_templateIfEESt5tupleIJNSH_6TensorESM_SM_EERKSM_lbbbEUlllE0_EEPmJS6_EEE10hipError_tPvRmT3_T4_T5_T6_T7_T9_mT8_P12ihipStream_tbDpT10_ENKUlT_T0_E_clISt17integral_constantIbLb0EES1C_EEDaS17_S18_EUlS17_E_NS1_11comp_targetILNS1_3genE3ELNS1_11target_archE908ELNS1_3gpuE7ELNS1_3repE0EEENS1_30default_config_static_selectorELNS0_4arch9wavefront6targetE0EEEvT1_
	.p2align	8
	.type	_ZN7rocprim17ROCPRIM_400000_NS6detail17trampoline_kernelINS0_14default_configENS1_25partition_config_selectorILNS1_17partition_subalgoE8ElNS0_10empty_typeEbEEZZNS1_14partition_implILS5_8ELb0ES3_jPlPS6_PKS6_NS0_5tupleIJS9_S6_EEENSD_IJSA_SA_EEENS0_18inequality_wrapperIZN2at6native12_GLOBAL__N_124unique_dim_cuda_templateIfEESt5tupleIJNSH_6TensorESM_SM_EERKSM_lbbbEUlllE0_EEPmJS6_EEE10hipError_tPvRmT3_T4_T5_T6_T7_T9_mT8_P12ihipStream_tbDpT10_ENKUlT_T0_E_clISt17integral_constantIbLb0EES1C_EEDaS17_S18_EUlS17_E_NS1_11comp_targetILNS1_3genE3ELNS1_11target_archE908ELNS1_3gpuE7ELNS1_3repE0EEENS1_30default_config_static_selectorELNS0_4arch9wavefront6targetE0EEEvT1_,@function
_ZN7rocprim17ROCPRIM_400000_NS6detail17trampoline_kernelINS0_14default_configENS1_25partition_config_selectorILNS1_17partition_subalgoE8ElNS0_10empty_typeEbEEZZNS1_14partition_implILS5_8ELb0ES3_jPlPS6_PKS6_NS0_5tupleIJS9_S6_EEENSD_IJSA_SA_EEENS0_18inequality_wrapperIZN2at6native12_GLOBAL__N_124unique_dim_cuda_templateIfEESt5tupleIJNSH_6TensorESM_SM_EERKSM_lbbbEUlllE0_EEPmJS6_EEE10hipError_tPvRmT3_T4_T5_T6_T7_T9_mT8_P12ihipStream_tbDpT10_ENKUlT_T0_E_clISt17integral_constantIbLb0EES1C_EEDaS17_S18_EUlS17_E_NS1_11comp_targetILNS1_3genE3ELNS1_11target_archE908ELNS1_3gpuE7ELNS1_3repE0EEENS1_30default_config_static_selectorELNS0_4arch9wavefront6targetE0EEEvT1_: ; @_ZN7rocprim17ROCPRIM_400000_NS6detail17trampoline_kernelINS0_14default_configENS1_25partition_config_selectorILNS1_17partition_subalgoE8ElNS0_10empty_typeEbEEZZNS1_14partition_implILS5_8ELb0ES3_jPlPS6_PKS6_NS0_5tupleIJS9_S6_EEENSD_IJSA_SA_EEENS0_18inequality_wrapperIZN2at6native12_GLOBAL__N_124unique_dim_cuda_templateIfEESt5tupleIJNSH_6TensorESM_SM_EERKSM_lbbbEUlllE0_EEPmJS6_EEE10hipError_tPvRmT3_T4_T5_T6_T7_T9_mT8_P12ihipStream_tbDpT10_ENKUlT_T0_E_clISt17integral_constantIbLb0EES1C_EEDaS17_S18_EUlS17_E_NS1_11comp_targetILNS1_3genE3ELNS1_11target_archE908ELNS1_3gpuE7ELNS1_3repE0EEENS1_30default_config_static_selectorELNS0_4arch9wavefront6targetE0EEEvT1_
; %bb.0:
	.section	.rodata,"a",@progbits
	.p2align	6, 0x0
	.amdhsa_kernel _ZN7rocprim17ROCPRIM_400000_NS6detail17trampoline_kernelINS0_14default_configENS1_25partition_config_selectorILNS1_17partition_subalgoE8ElNS0_10empty_typeEbEEZZNS1_14partition_implILS5_8ELb0ES3_jPlPS6_PKS6_NS0_5tupleIJS9_S6_EEENSD_IJSA_SA_EEENS0_18inequality_wrapperIZN2at6native12_GLOBAL__N_124unique_dim_cuda_templateIfEESt5tupleIJNSH_6TensorESM_SM_EERKSM_lbbbEUlllE0_EEPmJS6_EEE10hipError_tPvRmT3_T4_T5_T6_T7_T9_mT8_P12ihipStream_tbDpT10_ENKUlT_T0_E_clISt17integral_constantIbLb0EES1C_EEDaS17_S18_EUlS17_E_NS1_11comp_targetILNS1_3genE3ELNS1_11target_archE908ELNS1_3gpuE7ELNS1_3repE0EEENS1_30default_config_static_selectorELNS0_4arch9wavefront6targetE0EEEvT1_
		.amdhsa_group_segment_fixed_size 0
		.amdhsa_private_segment_fixed_size 0
		.amdhsa_kernarg_size 120
		.amdhsa_user_sgpr_count 15
		.amdhsa_user_sgpr_dispatch_ptr 0
		.amdhsa_user_sgpr_queue_ptr 0
		.amdhsa_user_sgpr_kernarg_segment_ptr 1
		.amdhsa_user_sgpr_dispatch_id 0
		.amdhsa_user_sgpr_private_segment_size 0
		.amdhsa_wavefront_size32 1
		.amdhsa_uses_dynamic_stack 0
		.amdhsa_enable_private_segment 0
		.amdhsa_system_sgpr_workgroup_id_x 1
		.amdhsa_system_sgpr_workgroup_id_y 0
		.amdhsa_system_sgpr_workgroup_id_z 0
		.amdhsa_system_sgpr_workgroup_info 0
		.amdhsa_system_vgpr_workitem_id 0
		.amdhsa_next_free_vgpr 1
		.amdhsa_next_free_sgpr 1
		.amdhsa_reserve_vcc 0
		.amdhsa_float_round_mode_32 0
		.amdhsa_float_round_mode_16_64 0
		.amdhsa_float_denorm_mode_32 3
		.amdhsa_float_denorm_mode_16_64 3
		.amdhsa_dx10_clamp 1
		.amdhsa_ieee_mode 1
		.amdhsa_fp16_overflow 0
		.amdhsa_workgroup_processor_mode 1
		.amdhsa_memory_ordered 1
		.amdhsa_forward_progress 0
		.amdhsa_shared_vgpr_count 0
		.amdhsa_exception_fp_ieee_invalid_op 0
		.amdhsa_exception_fp_denorm_src 0
		.amdhsa_exception_fp_ieee_div_zero 0
		.amdhsa_exception_fp_ieee_overflow 0
		.amdhsa_exception_fp_ieee_underflow 0
		.amdhsa_exception_fp_ieee_inexact 0
		.amdhsa_exception_int_div_zero 0
	.end_amdhsa_kernel
	.section	.text._ZN7rocprim17ROCPRIM_400000_NS6detail17trampoline_kernelINS0_14default_configENS1_25partition_config_selectorILNS1_17partition_subalgoE8ElNS0_10empty_typeEbEEZZNS1_14partition_implILS5_8ELb0ES3_jPlPS6_PKS6_NS0_5tupleIJS9_S6_EEENSD_IJSA_SA_EEENS0_18inequality_wrapperIZN2at6native12_GLOBAL__N_124unique_dim_cuda_templateIfEESt5tupleIJNSH_6TensorESM_SM_EERKSM_lbbbEUlllE0_EEPmJS6_EEE10hipError_tPvRmT3_T4_T5_T6_T7_T9_mT8_P12ihipStream_tbDpT10_ENKUlT_T0_E_clISt17integral_constantIbLb0EES1C_EEDaS17_S18_EUlS17_E_NS1_11comp_targetILNS1_3genE3ELNS1_11target_archE908ELNS1_3gpuE7ELNS1_3repE0EEENS1_30default_config_static_selectorELNS0_4arch9wavefront6targetE0EEEvT1_,"axG",@progbits,_ZN7rocprim17ROCPRIM_400000_NS6detail17trampoline_kernelINS0_14default_configENS1_25partition_config_selectorILNS1_17partition_subalgoE8ElNS0_10empty_typeEbEEZZNS1_14partition_implILS5_8ELb0ES3_jPlPS6_PKS6_NS0_5tupleIJS9_S6_EEENSD_IJSA_SA_EEENS0_18inequality_wrapperIZN2at6native12_GLOBAL__N_124unique_dim_cuda_templateIfEESt5tupleIJNSH_6TensorESM_SM_EERKSM_lbbbEUlllE0_EEPmJS6_EEE10hipError_tPvRmT3_T4_T5_T6_T7_T9_mT8_P12ihipStream_tbDpT10_ENKUlT_T0_E_clISt17integral_constantIbLb0EES1C_EEDaS17_S18_EUlS17_E_NS1_11comp_targetILNS1_3genE3ELNS1_11target_archE908ELNS1_3gpuE7ELNS1_3repE0EEENS1_30default_config_static_selectorELNS0_4arch9wavefront6targetE0EEEvT1_,comdat
.Lfunc_end932:
	.size	_ZN7rocprim17ROCPRIM_400000_NS6detail17trampoline_kernelINS0_14default_configENS1_25partition_config_selectorILNS1_17partition_subalgoE8ElNS0_10empty_typeEbEEZZNS1_14partition_implILS5_8ELb0ES3_jPlPS6_PKS6_NS0_5tupleIJS9_S6_EEENSD_IJSA_SA_EEENS0_18inequality_wrapperIZN2at6native12_GLOBAL__N_124unique_dim_cuda_templateIfEESt5tupleIJNSH_6TensorESM_SM_EERKSM_lbbbEUlllE0_EEPmJS6_EEE10hipError_tPvRmT3_T4_T5_T6_T7_T9_mT8_P12ihipStream_tbDpT10_ENKUlT_T0_E_clISt17integral_constantIbLb0EES1C_EEDaS17_S18_EUlS17_E_NS1_11comp_targetILNS1_3genE3ELNS1_11target_archE908ELNS1_3gpuE7ELNS1_3repE0EEENS1_30default_config_static_selectorELNS0_4arch9wavefront6targetE0EEEvT1_, .Lfunc_end932-_ZN7rocprim17ROCPRIM_400000_NS6detail17trampoline_kernelINS0_14default_configENS1_25partition_config_selectorILNS1_17partition_subalgoE8ElNS0_10empty_typeEbEEZZNS1_14partition_implILS5_8ELb0ES3_jPlPS6_PKS6_NS0_5tupleIJS9_S6_EEENSD_IJSA_SA_EEENS0_18inequality_wrapperIZN2at6native12_GLOBAL__N_124unique_dim_cuda_templateIfEESt5tupleIJNSH_6TensorESM_SM_EERKSM_lbbbEUlllE0_EEPmJS6_EEE10hipError_tPvRmT3_T4_T5_T6_T7_T9_mT8_P12ihipStream_tbDpT10_ENKUlT_T0_E_clISt17integral_constantIbLb0EES1C_EEDaS17_S18_EUlS17_E_NS1_11comp_targetILNS1_3genE3ELNS1_11target_archE908ELNS1_3gpuE7ELNS1_3repE0EEENS1_30default_config_static_selectorELNS0_4arch9wavefront6targetE0EEEvT1_
                                        ; -- End function
	.section	.AMDGPU.csdata,"",@progbits
; Kernel info:
; codeLenInByte = 0
; NumSgprs: 0
; NumVgprs: 0
; ScratchSize: 0
; MemoryBound: 0
; FloatMode: 240
; IeeeMode: 1
; LDSByteSize: 0 bytes/workgroup (compile time only)
; SGPRBlocks: 0
; VGPRBlocks: 0
; NumSGPRsForWavesPerEU: 1
; NumVGPRsForWavesPerEU: 1
; Occupancy: 16
; WaveLimiterHint : 0
; COMPUTE_PGM_RSRC2:SCRATCH_EN: 0
; COMPUTE_PGM_RSRC2:USER_SGPR: 15
; COMPUTE_PGM_RSRC2:TRAP_HANDLER: 0
; COMPUTE_PGM_RSRC2:TGID_X_EN: 1
; COMPUTE_PGM_RSRC2:TGID_Y_EN: 0
; COMPUTE_PGM_RSRC2:TGID_Z_EN: 0
; COMPUTE_PGM_RSRC2:TIDIG_COMP_CNT: 0
	.section	.text._ZN7rocprim17ROCPRIM_400000_NS6detail17trampoline_kernelINS0_14default_configENS1_25partition_config_selectorILNS1_17partition_subalgoE8ElNS0_10empty_typeEbEEZZNS1_14partition_implILS5_8ELb0ES3_jPlPS6_PKS6_NS0_5tupleIJS9_S6_EEENSD_IJSA_SA_EEENS0_18inequality_wrapperIZN2at6native12_GLOBAL__N_124unique_dim_cuda_templateIfEESt5tupleIJNSH_6TensorESM_SM_EERKSM_lbbbEUlllE0_EEPmJS6_EEE10hipError_tPvRmT3_T4_T5_T6_T7_T9_mT8_P12ihipStream_tbDpT10_ENKUlT_T0_E_clISt17integral_constantIbLb0EES1C_EEDaS17_S18_EUlS17_E_NS1_11comp_targetILNS1_3genE2ELNS1_11target_archE906ELNS1_3gpuE6ELNS1_3repE0EEENS1_30default_config_static_selectorELNS0_4arch9wavefront6targetE0EEEvT1_,"axG",@progbits,_ZN7rocprim17ROCPRIM_400000_NS6detail17trampoline_kernelINS0_14default_configENS1_25partition_config_selectorILNS1_17partition_subalgoE8ElNS0_10empty_typeEbEEZZNS1_14partition_implILS5_8ELb0ES3_jPlPS6_PKS6_NS0_5tupleIJS9_S6_EEENSD_IJSA_SA_EEENS0_18inequality_wrapperIZN2at6native12_GLOBAL__N_124unique_dim_cuda_templateIfEESt5tupleIJNSH_6TensorESM_SM_EERKSM_lbbbEUlllE0_EEPmJS6_EEE10hipError_tPvRmT3_T4_T5_T6_T7_T9_mT8_P12ihipStream_tbDpT10_ENKUlT_T0_E_clISt17integral_constantIbLb0EES1C_EEDaS17_S18_EUlS17_E_NS1_11comp_targetILNS1_3genE2ELNS1_11target_archE906ELNS1_3gpuE6ELNS1_3repE0EEENS1_30default_config_static_selectorELNS0_4arch9wavefront6targetE0EEEvT1_,comdat
	.globl	_ZN7rocprim17ROCPRIM_400000_NS6detail17trampoline_kernelINS0_14default_configENS1_25partition_config_selectorILNS1_17partition_subalgoE8ElNS0_10empty_typeEbEEZZNS1_14partition_implILS5_8ELb0ES3_jPlPS6_PKS6_NS0_5tupleIJS9_S6_EEENSD_IJSA_SA_EEENS0_18inequality_wrapperIZN2at6native12_GLOBAL__N_124unique_dim_cuda_templateIfEESt5tupleIJNSH_6TensorESM_SM_EERKSM_lbbbEUlllE0_EEPmJS6_EEE10hipError_tPvRmT3_T4_T5_T6_T7_T9_mT8_P12ihipStream_tbDpT10_ENKUlT_T0_E_clISt17integral_constantIbLb0EES1C_EEDaS17_S18_EUlS17_E_NS1_11comp_targetILNS1_3genE2ELNS1_11target_archE906ELNS1_3gpuE6ELNS1_3repE0EEENS1_30default_config_static_selectorELNS0_4arch9wavefront6targetE0EEEvT1_ ; -- Begin function _ZN7rocprim17ROCPRIM_400000_NS6detail17trampoline_kernelINS0_14default_configENS1_25partition_config_selectorILNS1_17partition_subalgoE8ElNS0_10empty_typeEbEEZZNS1_14partition_implILS5_8ELb0ES3_jPlPS6_PKS6_NS0_5tupleIJS9_S6_EEENSD_IJSA_SA_EEENS0_18inequality_wrapperIZN2at6native12_GLOBAL__N_124unique_dim_cuda_templateIfEESt5tupleIJNSH_6TensorESM_SM_EERKSM_lbbbEUlllE0_EEPmJS6_EEE10hipError_tPvRmT3_T4_T5_T6_T7_T9_mT8_P12ihipStream_tbDpT10_ENKUlT_T0_E_clISt17integral_constantIbLb0EES1C_EEDaS17_S18_EUlS17_E_NS1_11comp_targetILNS1_3genE2ELNS1_11target_archE906ELNS1_3gpuE6ELNS1_3repE0EEENS1_30default_config_static_selectorELNS0_4arch9wavefront6targetE0EEEvT1_
	.p2align	8
	.type	_ZN7rocprim17ROCPRIM_400000_NS6detail17trampoline_kernelINS0_14default_configENS1_25partition_config_selectorILNS1_17partition_subalgoE8ElNS0_10empty_typeEbEEZZNS1_14partition_implILS5_8ELb0ES3_jPlPS6_PKS6_NS0_5tupleIJS9_S6_EEENSD_IJSA_SA_EEENS0_18inequality_wrapperIZN2at6native12_GLOBAL__N_124unique_dim_cuda_templateIfEESt5tupleIJNSH_6TensorESM_SM_EERKSM_lbbbEUlllE0_EEPmJS6_EEE10hipError_tPvRmT3_T4_T5_T6_T7_T9_mT8_P12ihipStream_tbDpT10_ENKUlT_T0_E_clISt17integral_constantIbLb0EES1C_EEDaS17_S18_EUlS17_E_NS1_11comp_targetILNS1_3genE2ELNS1_11target_archE906ELNS1_3gpuE6ELNS1_3repE0EEENS1_30default_config_static_selectorELNS0_4arch9wavefront6targetE0EEEvT1_,@function
_ZN7rocprim17ROCPRIM_400000_NS6detail17trampoline_kernelINS0_14default_configENS1_25partition_config_selectorILNS1_17partition_subalgoE8ElNS0_10empty_typeEbEEZZNS1_14partition_implILS5_8ELb0ES3_jPlPS6_PKS6_NS0_5tupleIJS9_S6_EEENSD_IJSA_SA_EEENS0_18inequality_wrapperIZN2at6native12_GLOBAL__N_124unique_dim_cuda_templateIfEESt5tupleIJNSH_6TensorESM_SM_EERKSM_lbbbEUlllE0_EEPmJS6_EEE10hipError_tPvRmT3_T4_T5_T6_T7_T9_mT8_P12ihipStream_tbDpT10_ENKUlT_T0_E_clISt17integral_constantIbLb0EES1C_EEDaS17_S18_EUlS17_E_NS1_11comp_targetILNS1_3genE2ELNS1_11target_archE906ELNS1_3gpuE6ELNS1_3repE0EEENS1_30default_config_static_selectorELNS0_4arch9wavefront6targetE0EEEvT1_: ; @_ZN7rocprim17ROCPRIM_400000_NS6detail17trampoline_kernelINS0_14default_configENS1_25partition_config_selectorILNS1_17partition_subalgoE8ElNS0_10empty_typeEbEEZZNS1_14partition_implILS5_8ELb0ES3_jPlPS6_PKS6_NS0_5tupleIJS9_S6_EEENSD_IJSA_SA_EEENS0_18inequality_wrapperIZN2at6native12_GLOBAL__N_124unique_dim_cuda_templateIfEESt5tupleIJNSH_6TensorESM_SM_EERKSM_lbbbEUlllE0_EEPmJS6_EEE10hipError_tPvRmT3_T4_T5_T6_T7_T9_mT8_P12ihipStream_tbDpT10_ENKUlT_T0_E_clISt17integral_constantIbLb0EES1C_EEDaS17_S18_EUlS17_E_NS1_11comp_targetILNS1_3genE2ELNS1_11target_archE906ELNS1_3gpuE6ELNS1_3repE0EEENS1_30default_config_static_selectorELNS0_4arch9wavefront6targetE0EEEvT1_
; %bb.0:
	.section	.rodata,"a",@progbits
	.p2align	6, 0x0
	.amdhsa_kernel _ZN7rocprim17ROCPRIM_400000_NS6detail17trampoline_kernelINS0_14default_configENS1_25partition_config_selectorILNS1_17partition_subalgoE8ElNS0_10empty_typeEbEEZZNS1_14partition_implILS5_8ELb0ES3_jPlPS6_PKS6_NS0_5tupleIJS9_S6_EEENSD_IJSA_SA_EEENS0_18inequality_wrapperIZN2at6native12_GLOBAL__N_124unique_dim_cuda_templateIfEESt5tupleIJNSH_6TensorESM_SM_EERKSM_lbbbEUlllE0_EEPmJS6_EEE10hipError_tPvRmT3_T4_T5_T6_T7_T9_mT8_P12ihipStream_tbDpT10_ENKUlT_T0_E_clISt17integral_constantIbLb0EES1C_EEDaS17_S18_EUlS17_E_NS1_11comp_targetILNS1_3genE2ELNS1_11target_archE906ELNS1_3gpuE6ELNS1_3repE0EEENS1_30default_config_static_selectorELNS0_4arch9wavefront6targetE0EEEvT1_
		.amdhsa_group_segment_fixed_size 0
		.amdhsa_private_segment_fixed_size 0
		.amdhsa_kernarg_size 120
		.amdhsa_user_sgpr_count 15
		.amdhsa_user_sgpr_dispatch_ptr 0
		.amdhsa_user_sgpr_queue_ptr 0
		.amdhsa_user_sgpr_kernarg_segment_ptr 1
		.amdhsa_user_sgpr_dispatch_id 0
		.amdhsa_user_sgpr_private_segment_size 0
		.amdhsa_wavefront_size32 1
		.amdhsa_uses_dynamic_stack 0
		.amdhsa_enable_private_segment 0
		.amdhsa_system_sgpr_workgroup_id_x 1
		.amdhsa_system_sgpr_workgroup_id_y 0
		.amdhsa_system_sgpr_workgroup_id_z 0
		.amdhsa_system_sgpr_workgroup_info 0
		.amdhsa_system_vgpr_workitem_id 0
		.amdhsa_next_free_vgpr 1
		.amdhsa_next_free_sgpr 1
		.amdhsa_reserve_vcc 0
		.amdhsa_float_round_mode_32 0
		.amdhsa_float_round_mode_16_64 0
		.amdhsa_float_denorm_mode_32 3
		.amdhsa_float_denorm_mode_16_64 3
		.amdhsa_dx10_clamp 1
		.amdhsa_ieee_mode 1
		.amdhsa_fp16_overflow 0
		.amdhsa_workgroup_processor_mode 1
		.amdhsa_memory_ordered 1
		.amdhsa_forward_progress 0
		.amdhsa_shared_vgpr_count 0
		.amdhsa_exception_fp_ieee_invalid_op 0
		.amdhsa_exception_fp_denorm_src 0
		.amdhsa_exception_fp_ieee_div_zero 0
		.amdhsa_exception_fp_ieee_overflow 0
		.amdhsa_exception_fp_ieee_underflow 0
		.amdhsa_exception_fp_ieee_inexact 0
		.amdhsa_exception_int_div_zero 0
	.end_amdhsa_kernel
	.section	.text._ZN7rocprim17ROCPRIM_400000_NS6detail17trampoline_kernelINS0_14default_configENS1_25partition_config_selectorILNS1_17partition_subalgoE8ElNS0_10empty_typeEbEEZZNS1_14partition_implILS5_8ELb0ES3_jPlPS6_PKS6_NS0_5tupleIJS9_S6_EEENSD_IJSA_SA_EEENS0_18inequality_wrapperIZN2at6native12_GLOBAL__N_124unique_dim_cuda_templateIfEESt5tupleIJNSH_6TensorESM_SM_EERKSM_lbbbEUlllE0_EEPmJS6_EEE10hipError_tPvRmT3_T4_T5_T6_T7_T9_mT8_P12ihipStream_tbDpT10_ENKUlT_T0_E_clISt17integral_constantIbLb0EES1C_EEDaS17_S18_EUlS17_E_NS1_11comp_targetILNS1_3genE2ELNS1_11target_archE906ELNS1_3gpuE6ELNS1_3repE0EEENS1_30default_config_static_selectorELNS0_4arch9wavefront6targetE0EEEvT1_,"axG",@progbits,_ZN7rocprim17ROCPRIM_400000_NS6detail17trampoline_kernelINS0_14default_configENS1_25partition_config_selectorILNS1_17partition_subalgoE8ElNS0_10empty_typeEbEEZZNS1_14partition_implILS5_8ELb0ES3_jPlPS6_PKS6_NS0_5tupleIJS9_S6_EEENSD_IJSA_SA_EEENS0_18inequality_wrapperIZN2at6native12_GLOBAL__N_124unique_dim_cuda_templateIfEESt5tupleIJNSH_6TensorESM_SM_EERKSM_lbbbEUlllE0_EEPmJS6_EEE10hipError_tPvRmT3_T4_T5_T6_T7_T9_mT8_P12ihipStream_tbDpT10_ENKUlT_T0_E_clISt17integral_constantIbLb0EES1C_EEDaS17_S18_EUlS17_E_NS1_11comp_targetILNS1_3genE2ELNS1_11target_archE906ELNS1_3gpuE6ELNS1_3repE0EEENS1_30default_config_static_selectorELNS0_4arch9wavefront6targetE0EEEvT1_,comdat
.Lfunc_end933:
	.size	_ZN7rocprim17ROCPRIM_400000_NS6detail17trampoline_kernelINS0_14default_configENS1_25partition_config_selectorILNS1_17partition_subalgoE8ElNS0_10empty_typeEbEEZZNS1_14partition_implILS5_8ELb0ES3_jPlPS6_PKS6_NS0_5tupleIJS9_S6_EEENSD_IJSA_SA_EEENS0_18inequality_wrapperIZN2at6native12_GLOBAL__N_124unique_dim_cuda_templateIfEESt5tupleIJNSH_6TensorESM_SM_EERKSM_lbbbEUlllE0_EEPmJS6_EEE10hipError_tPvRmT3_T4_T5_T6_T7_T9_mT8_P12ihipStream_tbDpT10_ENKUlT_T0_E_clISt17integral_constantIbLb0EES1C_EEDaS17_S18_EUlS17_E_NS1_11comp_targetILNS1_3genE2ELNS1_11target_archE906ELNS1_3gpuE6ELNS1_3repE0EEENS1_30default_config_static_selectorELNS0_4arch9wavefront6targetE0EEEvT1_, .Lfunc_end933-_ZN7rocprim17ROCPRIM_400000_NS6detail17trampoline_kernelINS0_14default_configENS1_25partition_config_selectorILNS1_17partition_subalgoE8ElNS0_10empty_typeEbEEZZNS1_14partition_implILS5_8ELb0ES3_jPlPS6_PKS6_NS0_5tupleIJS9_S6_EEENSD_IJSA_SA_EEENS0_18inequality_wrapperIZN2at6native12_GLOBAL__N_124unique_dim_cuda_templateIfEESt5tupleIJNSH_6TensorESM_SM_EERKSM_lbbbEUlllE0_EEPmJS6_EEE10hipError_tPvRmT3_T4_T5_T6_T7_T9_mT8_P12ihipStream_tbDpT10_ENKUlT_T0_E_clISt17integral_constantIbLb0EES1C_EEDaS17_S18_EUlS17_E_NS1_11comp_targetILNS1_3genE2ELNS1_11target_archE906ELNS1_3gpuE6ELNS1_3repE0EEENS1_30default_config_static_selectorELNS0_4arch9wavefront6targetE0EEEvT1_
                                        ; -- End function
	.section	.AMDGPU.csdata,"",@progbits
; Kernel info:
; codeLenInByte = 0
; NumSgprs: 0
; NumVgprs: 0
; ScratchSize: 0
; MemoryBound: 0
; FloatMode: 240
; IeeeMode: 1
; LDSByteSize: 0 bytes/workgroup (compile time only)
; SGPRBlocks: 0
; VGPRBlocks: 0
; NumSGPRsForWavesPerEU: 1
; NumVGPRsForWavesPerEU: 1
; Occupancy: 16
; WaveLimiterHint : 0
; COMPUTE_PGM_RSRC2:SCRATCH_EN: 0
; COMPUTE_PGM_RSRC2:USER_SGPR: 15
; COMPUTE_PGM_RSRC2:TRAP_HANDLER: 0
; COMPUTE_PGM_RSRC2:TGID_X_EN: 1
; COMPUTE_PGM_RSRC2:TGID_Y_EN: 0
; COMPUTE_PGM_RSRC2:TGID_Z_EN: 0
; COMPUTE_PGM_RSRC2:TIDIG_COMP_CNT: 0
	.section	.text._ZN7rocprim17ROCPRIM_400000_NS6detail17trampoline_kernelINS0_14default_configENS1_25partition_config_selectorILNS1_17partition_subalgoE8ElNS0_10empty_typeEbEEZZNS1_14partition_implILS5_8ELb0ES3_jPlPS6_PKS6_NS0_5tupleIJS9_S6_EEENSD_IJSA_SA_EEENS0_18inequality_wrapperIZN2at6native12_GLOBAL__N_124unique_dim_cuda_templateIfEESt5tupleIJNSH_6TensorESM_SM_EERKSM_lbbbEUlllE0_EEPmJS6_EEE10hipError_tPvRmT3_T4_T5_T6_T7_T9_mT8_P12ihipStream_tbDpT10_ENKUlT_T0_E_clISt17integral_constantIbLb0EES1C_EEDaS17_S18_EUlS17_E_NS1_11comp_targetILNS1_3genE10ELNS1_11target_archE1200ELNS1_3gpuE4ELNS1_3repE0EEENS1_30default_config_static_selectorELNS0_4arch9wavefront6targetE0EEEvT1_,"axG",@progbits,_ZN7rocprim17ROCPRIM_400000_NS6detail17trampoline_kernelINS0_14default_configENS1_25partition_config_selectorILNS1_17partition_subalgoE8ElNS0_10empty_typeEbEEZZNS1_14partition_implILS5_8ELb0ES3_jPlPS6_PKS6_NS0_5tupleIJS9_S6_EEENSD_IJSA_SA_EEENS0_18inequality_wrapperIZN2at6native12_GLOBAL__N_124unique_dim_cuda_templateIfEESt5tupleIJNSH_6TensorESM_SM_EERKSM_lbbbEUlllE0_EEPmJS6_EEE10hipError_tPvRmT3_T4_T5_T6_T7_T9_mT8_P12ihipStream_tbDpT10_ENKUlT_T0_E_clISt17integral_constantIbLb0EES1C_EEDaS17_S18_EUlS17_E_NS1_11comp_targetILNS1_3genE10ELNS1_11target_archE1200ELNS1_3gpuE4ELNS1_3repE0EEENS1_30default_config_static_selectorELNS0_4arch9wavefront6targetE0EEEvT1_,comdat
	.globl	_ZN7rocprim17ROCPRIM_400000_NS6detail17trampoline_kernelINS0_14default_configENS1_25partition_config_selectorILNS1_17partition_subalgoE8ElNS0_10empty_typeEbEEZZNS1_14partition_implILS5_8ELb0ES3_jPlPS6_PKS6_NS0_5tupleIJS9_S6_EEENSD_IJSA_SA_EEENS0_18inequality_wrapperIZN2at6native12_GLOBAL__N_124unique_dim_cuda_templateIfEESt5tupleIJNSH_6TensorESM_SM_EERKSM_lbbbEUlllE0_EEPmJS6_EEE10hipError_tPvRmT3_T4_T5_T6_T7_T9_mT8_P12ihipStream_tbDpT10_ENKUlT_T0_E_clISt17integral_constantIbLb0EES1C_EEDaS17_S18_EUlS17_E_NS1_11comp_targetILNS1_3genE10ELNS1_11target_archE1200ELNS1_3gpuE4ELNS1_3repE0EEENS1_30default_config_static_selectorELNS0_4arch9wavefront6targetE0EEEvT1_ ; -- Begin function _ZN7rocprim17ROCPRIM_400000_NS6detail17trampoline_kernelINS0_14default_configENS1_25partition_config_selectorILNS1_17partition_subalgoE8ElNS0_10empty_typeEbEEZZNS1_14partition_implILS5_8ELb0ES3_jPlPS6_PKS6_NS0_5tupleIJS9_S6_EEENSD_IJSA_SA_EEENS0_18inequality_wrapperIZN2at6native12_GLOBAL__N_124unique_dim_cuda_templateIfEESt5tupleIJNSH_6TensorESM_SM_EERKSM_lbbbEUlllE0_EEPmJS6_EEE10hipError_tPvRmT3_T4_T5_T6_T7_T9_mT8_P12ihipStream_tbDpT10_ENKUlT_T0_E_clISt17integral_constantIbLb0EES1C_EEDaS17_S18_EUlS17_E_NS1_11comp_targetILNS1_3genE10ELNS1_11target_archE1200ELNS1_3gpuE4ELNS1_3repE0EEENS1_30default_config_static_selectorELNS0_4arch9wavefront6targetE0EEEvT1_
	.p2align	8
	.type	_ZN7rocprim17ROCPRIM_400000_NS6detail17trampoline_kernelINS0_14default_configENS1_25partition_config_selectorILNS1_17partition_subalgoE8ElNS0_10empty_typeEbEEZZNS1_14partition_implILS5_8ELb0ES3_jPlPS6_PKS6_NS0_5tupleIJS9_S6_EEENSD_IJSA_SA_EEENS0_18inequality_wrapperIZN2at6native12_GLOBAL__N_124unique_dim_cuda_templateIfEESt5tupleIJNSH_6TensorESM_SM_EERKSM_lbbbEUlllE0_EEPmJS6_EEE10hipError_tPvRmT3_T4_T5_T6_T7_T9_mT8_P12ihipStream_tbDpT10_ENKUlT_T0_E_clISt17integral_constantIbLb0EES1C_EEDaS17_S18_EUlS17_E_NS1_11comp_targetILNS1_3genE10ELNS1_11target_archE1200ELNS1_3gpuE4ELNS1_3repE0EEENS1_30default_config_static_selectorELNS0_4arch9wavefront6targetE0EEEvT1_,@function
_ZN7rocprim17ROCPRIM_400000_NS6detail17trampoline_kernelINS0_14default_configENS1_25partition_config_selectorILNS1_17partition_subalgoE8ElNS0_10empty_typeEbEEZZNS1_14partition_implILS5_8ELb0ES3_jPlPS6_PKS6_NS0_5tupleIJS9_S6_EEENSD_IJSA_SA_EEENS0_18inequality_wrapperIZN2at6native12_GLOBAL__N_124unique_dim_cuda_templateIfEESt5tupleIJNSH_6TensorESM_SM_EERKSM_lbbbEUlllE0_EEPmJS6_EEE10hipError_tPvRmT3_T4_T5_T6_T7_T9_mT8_P12ihipStream_tbDpT10_ENKUlT_T0_E_clISt17integral_constantIbLb0EES1C_EEDaS17_S18_EUlS17_E_NS1_11comp_targetILNS1_3genE10ELNS1_11target_archE1200ELNS1_3gpuE4ELNS1_3repE0EEENS1_30default_config_static_selectorELNS0_4arch9wavefront6targetE0EEEvT1_: ; @_ZN7rocprim17ROCPRIM_400000_NS6detail17trampoline_kernelINS0_14default_configENS1_25partition_config_selectorILNS1_17partition_subalgoE8ElNS0_10empty_typeEbEEZZNS1_14partition_implILS5_8ELb0ES3_jPlPS6_PKS6_NS0_5tupleIJS9_S6_EEENSD_IJSA_SA_EEENS0_18inequality_wrapperIZN2at6native12_GLOBAL__N_124unique_dim_cuda_templateIfEESt5tupleIJNSH_6TensorESM_SM_EERKSM_lbbbEUlllE0_EEPmJS6_EEE10hipError_tPvRmT3_T4_T5_T6_T7_T9_mT8_P12ihipStream_tbDpT10_ENKUlT_T0_E_clISt17integral_constantIbLb0EES1C_EEDaS17_S18_EUlS17_E_NS1_11comp_targetILNS1_3genE10ELNS1_11target_archE1200ELNS1_3gpuE4ELNS1_3repE0EEENS1_30default_config_static_selectorELNS0_4arch9wavefront6targetE0EEEvT1_
; %bb.0:
	.section	.rodata,"a",@progbits
	.p2align	6, 0x0
	.amdhsa_kernel _ZN7rocprim17ROCPRIM_400000_NS6detail17trampoline_kernelINS0_14default_configENS1_25partition_config_selectorILNS1_17partition_subalgoE8ElNS0_10empty_typeEbEEZZNS1_14partition_implILS5_8ELb0ES3_jPlPS6_PKS6_NS0_5tupleIJS9_S6_EEENSD_IJSA_SA_EEENS0_18inequality_wrapperIZN2at6native12_GLOBAL__N_124unique_dim_cuda_templateIfEESt5tupleIJNSH_6TensorESM_SM_EERKSM_lbbbEUlllE0_EEPmJS6_EEE10hipError_tPvRmT3_T4_T5_T6_T7_T9_mT8_P12ihipStream_tbDpT10_ENKUlT_T0_E_clISt17integral_constantIbLb0EES1C_EEDaS17_S18_EUlS17_E_NS1_11comp_targetILNS1_3genE10ELNS1_11target_archE1200ELNS1_3gpuE4ELNS1_3repE0EEENS1_30default_config_static_selectorELNS0_4arch9wavefront6targetE0EEEvT1_
		.amdhsa_group_segment_fixed_size 0
		.amdhsa_private_segment_fixed_size 0
		.amdhsa_kernarg_size 120
		.amdhsa_user_sgpr_count 15
		.amdhsa_user_sgpr_dispatch_ptr 0
		.amdhsa_user_sgpr_queue_ptr 0
		.amdhsa_user_sgpr_kernarg_segment_ptr 1
		.amdhsa_user_sgpr_dispatch_id 0
		.amdhsa_user_sgpr_private_segment_size 0
		.amdhsa_wavefront_size32 1
		.amdhsa_uses_dynamic_stack 0
		.amdhsa_enable_private_segment 0
		.amdhsa_system_sgpr_workgroup_id_x 1
		.amdhsa_system_sgpr_workgroup_id_y 0
		.amdhsa_system_sgpr_workgroup_id_z 0
		.amdhsa_system_sgpr_workgroup_info 0
		.amdhsa_system_vgpr_workitem_id 0
		.amdhsa_next_free_vgpr 1
		.amdhsa_next_free_sgpr 1
		.amdhsa_reserve_vcc 0
		.amdhsa_float_round_mode_32 0
		.amdhsa_float_round_mode_16_64 0
		.amdhsa_float_denorm_mode_32 3
		.amdhsa_float_denorm_mode_16_64 3
		.amdhsa_dx10_clamp 1
		.amdhsa_ieee_mode 1
		.amdhsa_fp16_overflow 0
		.amdhsa_workgroup_processor_mode 1
		.amdhsa_memory_ordered 1
		.amdhsa_forward_progress 0
		.amdhsa_shared_vgpr_count 0
		.amdhsa_exception_fp_ieee_invalid_op 0
		.amdhsa_exception_fp_denorm_src 0
		.amdhsa_exception_fp_ieee_div_zero 0
		.amdhsa_exception_fp_ieee_overflow 0
		.amdhsa_exception_fp_ieee_underflow 0
		.amdhsa_exception_fp_ieee_inexact 0
		.amdhsa_exception_int_div_zero 0
	.end_amdhsa_kernel
	.section	.text._ZN7rocprim17ROCPRIM_400000_NS6detail17trampoline_kernelINS0_14default_configENS1_25partition_config_selectorILNS1_17partition_subalgoE8ElNS0_10empty_typeEbEEZZNS1_14partition_implILS5_8ELb0ES3_jPlPS6_PKS6_NS0_5tupleIJS9_S6_EEENSD_IJSA_SA_EEENS0_18inequality_wrapperIZN2at6native12_GLOBAL__N_124unique_dim_cuda_templateIfEESt5tupleIJNSH_6TensorESM_SM_EERKSM_lbbbEUlllE0_EEPmJS6_EEE10hipError_tPvRmT3_T4_T5_T6_T7_T9_mT8_P12ihipStream_tbDpT10_ENKUlT_T0_E_clISt17integral_constantIbLb0EES1C_EEDaS17_S18_EUlS17_E_NS1_11comp_targetILNS1_3genE10ELNS1_11target_archE1200ELNS1_3gpuE4ELNS1_3repE0EEENS1_30default_config_static_selectorELNS0_4arch9wavefront6targetE0EEEvT1_,"axG",@progbits,_ZN7rocprim17ROCPRIM_400000_NS6detail17trampoline_kernelINS0_14default_configENS1_25partition_config_selectorILNS1_17partition_subalgoE8ElNS0_10empty_typeEbEEZZNS1_14partition_implILS5_8ELb0ES3_jPlPS6_PKS6_NS0_5tupleIJS9_S6_EEENSD_IJSA_SA_EEENS0_18inequality_wrapperIZN2at6native12_GLOBAL__N_124unique_dim_cuda_templateIfEESt5tupleIJNSH_6TensorESM_SM_EERKSM_lbbbEUlllE0_EEPmJS6_EEE10hipError_tPvRmT3_T4_T5_T6_T7_T9_mT8_P12ihipStream_tbDpT10_ENKUlT_T0_E_clISt17integral_constantIbLb0EES1C_EEDaS17_S18_EUlS17_E_NS1_11comp_targetILNS1_3genE10ELNS1_11target_archE1200ELNS1_3gpuE4ELNS1_3repE0EEENS1_30default_config_static_selectorELNS0_4arch9wavefront6targetE0EEEvT1_,comdat
.Lfunc_end934:
	.size	_ZN7rocprim17ROCPRIM_400000_NS6detail17trampoline_kernelINS0_14default_configENS1_25partition_config_selectorILNS1_17partition_subalgoE8ElNS0_10empty_typeEbEEZZNS1_14partition_implILS5_8ELb0ES3_jPlPS6_PKS6_NS0_5tupleIJS9_S6_EEENSD_IJSA_SA_EEENS0_18inequality_wrapperIZN2at6native12_GLOBAL__N_124unique_dim_cuda_templateIfEESt5tupleIJNSH_6TensorESM_SM_EERKSM_lbbbEUlllE0_EEPmJS6_EEE10hipError_tPvRmT3_T4_T5_T6_T7_T9_mT8_P12ihipStream_tbDpT10_ENKUlT_T0_E_clISt17integral_constantIbLb0EES1C_EEDaS17_S18_EUlS17_E_NS1_11comp_targetILNS1_3genE10ELNS1_11target_archE1200ELNS1_3gpuE4ELNS1_3repE0EEENS1_30default_config_static_selectorELNS0_4arch9wavefront6targetE0EEEvT1_, .Lfunc_end934-_ZN7rocprim17ROCPRIM_400000_NS6detail17trampoline_kernelINS0_14default_configENS1_25partition_config_selectorILNS1_17partition_subalgoE8ElNS0_10empty_typeEbEEZZNS1_14partition_implILS5_8ELb0ES3_jPlPS6_PKS6_NS0_5tupleIJS9_S6_EEENSD_IJSA_SA_EEENS0_18inequality_wrapperIZN2at6native12_GLOBAL__N_124unique_dim_cuda_templateIfEESt5tupleIJNSH_6TensorESM_SM_EERKSM_lbbbEUlllE0_EEPmJS6_EEE10hipError_tPvRmT3_T4_T5_T6_T7_T9_mT8_P12ihipStream_tbDpT10_ENKUlT_T0_E_clISt17integral_constantIbLb0EES1C_EEDaS17_S18_EUlS17_E_NS1_11comp_targetILNS1_3genE10ELNS1_11target_archE1200ELNS1_3gpuE4ELNS1_3repE0EEENS1_30default_config_static_selectorELNS0_4arch9wavefront6targetE0EEEvT1_
                                        ; -- End function
	.section	.AMDGPU.csdata,"",@progbits
; Kernel info:
; codeLenInByte = 0
; NumSgprs: 0
; NumVgprs: 0
; ScratchSize: 0
; MemoryBound: 0
; FloatMode: 240
; IeeeMode: 1
; LDSByteSize: 0 bytes/workgroup (compile time only)
; SGPRBlocks: 0
; VGPRBlocks: 0
; NumSGPRsForWavesPerEU: 1
; NumVGPRsForWavesPerEU: 1
; Occupancy: 15
; WaveLimiterHint : 0
; COMPUTE_PGM_RSRC2:SCRATCH_EN: 0
; COMPUTE_PGM_RSRC2:USER_SGPR: 15
; COMPUTE_PGM_RSRC2:TRAP_HANDLER: 0
; COMPUTE_PGM_RSRC2:TGID_X_EN: 1
; COMPUTE_PGM_RSRC2:TGID_Y_EN: 0
; COMPUTE_PGM_RSRC2:TGID_Z_EN: 0
; COMPUTE_PGM_RSRC2:TIDIG_COMP_CNT: 0
	.section	.text._ZN7rocprim17ROCPRIM_400000_NS6detail17trampoline_kernelINS0_14default_configENS1_25partition_config_selectorILNS1_17partition_subalgoE8ElNS0_10empty_typeEbEEZZNS1_14partition_implILS5_8ELb0ES3_jPlPS6_PKS6_NS0_5tupleIJS9_S6_EEENSD_IJSA_SA_EEENS0_18inequality_wrapperIZN2at6native12_GLOBAL__N_124unique_dim_cuda_templateIfEESt5tupleIJNSH_6TensorESM_SM_EERKSM_lbbbEUlllE0_EEPmJS6_EEE10hipError_tPvRmT3_T4_T5_T6_T7_T9_mT8_P12ihipStream_tbDpT10_ENKUlT_T0_E_clISt17integral_constantIbLb0EES1C_EEDaS17_S18_EUlS17_E_NS1_11comp_targetILNS1_3genE9ELNS1_11target_archE1100ELNS1_3gpuE3ELNS1_3repE0EEENS1_30default_config_static_selectorELNS0_4arch9wavefront6targetE0EEEvT1_,"axG",@progbits,_ZN7rocprim17ROCPRIM_400000_NS6detail17trampoline_kernelINS0_14default_configENS1_25partition_config_selectorILNS1_17partition_subalgoE8ElNS0_10empty_typeEbEEZZNS1_14partition_implILS5_8ELb0ES3_jPlPS6_PKS6_NS0_5tupleIJS9_S6_EEENSD_IJSA_SA_EEENS0_18inequality_wrapperIZN2at6native12_GLOBAL__N_124unique_dim_cuda_templateIfEESt5tupleIJNSH_6TensorESM_SM_EERKSM_lbbbEUlllE0_EEPmJS6_EEE10hipError_tPvRmT3_T4_T5_T6_T7_T9_mT8_P12ihipStream_tbDpT10_ENKUlT_T0_E_clISt17integral_constantIbLb0EES1C_EEDaS17_S18_EUlS17_E_NS1_11comp_targetILNS1_3genE9ELNS1_11target_archE1100ELNS1_3gpuE3ELNS1_3repE0EEENS1_30default_config_static_selectorELNS0_4arch9wavefront6targetE0EEEvT1_,comdat
	.globl	_ZN7rocprim17ROCPRIM_400000_NS6detail17trampoline_kernelINS0_14default_configENS1_25partition_config_selectorILNS1_17partition_subalgoE8ElNS0_10empty_typeEbEEZZNS1_14partition_implILS5_8ELb0ES3_jPlPS6_PKS6_NS0_5tupleIJS9_S6_EEENSD_IJSA_SA_EEENS0_18inequality_wrapperIZN2at6native12_GLOBAL__N_124unique_dim_cuda_templateIfEESt5tupleIJNSH_6TensorESM_SM_EERKSM_lbbbEUlllE0_EEPmJS6_EEE10hipError_tPvRmT3_T4_T5_T6_T7_T9_mT8_P12ihipStream_tbDpT10_ENKUlT_T0_E_clISt17integral_constantIbLb0EES1C_EEDaS17_S18_EUlS17_E_NS1_11comp_targetILNS1_3genE9ELNS1_11target_archE1100ELNS1_3gpuE3ELNS1_3repE0EEENS1_30default_config_static_selectorELNS0_4arch9wavefront6targetE0EEEvT1_ ; -- Begin function _ZN7rocprim17ROCPRIM_400000_NS6detail17trampoline_kernelINS0_14default_configENS1_25partition_config_selectorILNS1_17partition_subalgoE8ElNS0_10empty_typeEbEEZZNS1_14partition_implILS5_8ELb0ES3_jPlPS6_PKS6_NS0_5tupleIJS9_S6_EEENSD_IJSA_SA_EEENS0_18inequality_wrapperIZN2at6native12_GLOBAL__N_124unique_dim_cuda_templateIfEESt5tupleIJNSH_6TensorESM_SM_EERKSM_lbbbEUlllE0_EEPmJS6_EEE10hipError_tPvRmT3_T4_T5_T6_T7_T9_mT8_P12ihipStream_tbDpT10_ENKUlT_T0_E_clISt17integral_constantIbLb0EES1C_EEDaS17_S18_EUlS17_E_NS1_11comp_targetILNS1_3genE9ELNS1_11target_archE1100ELNS1_3gpuE3ELNS1_3repE0EEENS1_30default_config_static_selectorELNS0_4arch9wavefront6targetE0EEEvT1_
	.p2align	8
	.type	_ZN7rocprim17ROCPRIM_400000_NS6detail17trampoline_kernelINS0_14default_configENS1_25partition_config_selectorILNS1_17partition_subalgoE8ElNS0_10empty_typeEbEEZZNS1_14partition_implILS5_8ELb0ES3_jPlPS6_PKS6_NS0_5tupleIJS9_S6_EEENSD_IJSA_SA_EEENS0_18inequality_wrapperIZN2at6native12_GLOBAL__N_124unique_dim_cuda_templateIfEESt5tupleIJNSH_6TensorESM_SM_EERKSM_lbbbEUlllE0_EEPmJS6_EEE10hipError_tPvRmT3_T4_T5_T6_T7_T9_mT8_P12ihipStream_tbDpT10_ENKUlT_T0_E_clISt17integral_constantIbLb0EES1C_EEDaS17_S18_EUlS17_E_NS1_11comp_targetILNS1_3genE9ELNS1_11target_archE1100ELNS1_3gpuE3ELNS1_3repE0EEENS1_30default_config_static_selectorELNS0_4arch9wavefront6targetE0EEEvT1_,@function
_ZN7rocprim17ROCPRIM_400000_NS6detail17trampoline_kernelINS0_14default_configENS1_25partition_config_selectorILNS1_17partition_subalgoE8ElNS0_10empty_typeEbEEZZNS1_14partition_implILS5_8ELb0ES3_jPlPS6_PKS6_NS0_5tupleIJS9_S6_EEENSD_IJSA_SA_EEENS0_18inequality_wrapperIZN2at6native12_GLOBAL__N_124unique_dim_cuda_templateIfEESt5tupleIJNSH_6TensorESM_SM_EERKSM_lbbbEUlllE0_EEPmJS6_EEE10hipError_tPvRmT3_T4_T5_T6_T7_T9_mT8_P12ihipStream_tbDpT10_ENKUlT_T0_E_clISt17integral_constantIbLb0EES1C_EEDaS17_S18_EUlS17_E_NS1_11comp_targetILNS1_3genE9ELNS1_11target_archE1100ELNS1_3gpuE3ELNS1_3repE0EEENS1_30default_config_static_selectorELNS0_4arch9wavefront6targetE0EEEvT1_: ; @_ZN7rocprim17ROCPRIM_400000_NS6detail17trampoline_kernelINS0_14default_configENS1_25partition_config_selectorILNS1_17partition_subalgoE8ElNS0_10empty_typeEbEEZZNS1_14partition_implILS5_8ELb0ES3_jPlPS6_PKS6_NS0_5tupleIJS9_S6_EEENSD_IJSA_SA_EEENS0_18inequality_wrapperIZN2at6native12_GLOBAL__N_124unique_dim_cuda_templateIfEESt5tupleIJNSH_6TensorESM_SM_EERKSM_lbbbEUlllE0_EEPmJS6_EEE10hipError_tPvRmT3_T4_T5_T6_T7_T9_mT8_P12ihipStream_tbDpT10_ENKUlT_T0_E_clISt17integral_constantIbLb0EES1C_EEDaS17_S18_EUlS17_E_NS1_11comp_targetILNS1_3genE9ELNS1_11target_archE1100ELNS1_3gpuE3ELNS1_3repE0EEENS1_30default_config_static_selectorELNS0_4arch9wavefront6targetE0EEEvT1_
; %bb.0:
	s_clause 0x3
	s_load_b128 s[4:7], s[0:1], 0x8
	s_load_b256 s[16:23], s[0:1], 0x40
	s_load_b32 s14, s[0:1], 0x70
	s_load_b128 s[8:11], s[0:1], 0x60
	s_mov_b32 s3, 0
	v_lshlrev_b32_e32 v39, 3, v0
	v_lshrrev_b32_e32 v17, 2, v0
	v_or_b32_e32 v24, 0x200, v0
	v_or_b32_e32 v22, 0x400, v0
	v_or_b32_e32 v23, 0x600, v0
	v_or_b32_e32 v21, 0x800, v0
	v_or_b32_e32 v20, 0xa00, v0
	v_or_b32_e32 v19, 0xc00, v0
	v_or_b32_e32 v18, 0xe00, v0
	s_waitcnt lgkmcnt(0)
	s_lshl_b64 s[24:25], s[6:7], 3
	s_load_b64 s[12:13], s[18:19], 0x0
	s_add_u32 s26, s4, s24
	s_addc_u32 s5, s5, s25
	s_add_i32 s24, s14, -1
	s_lshl_b32 s14, s14, 12
	s_lshl_b32 s4, s24, 12
	;; [unrolled: 1-line block ×3, first 2 shown]
	s_add_i32 s4, s6, s4
	s_add_u32 s18, s6, s14
	s_addc_u32 s19, s7, 0
	s_cmp_eq_u32 s15, s24
	v_cmp_ge_u64_e64 s18, s[18:19], s[20:21]
	s_cselect_b32 s14, -1, 0
	s_lshl_b64 s[2:3], s[2:3], 3
	s_delay_alu instid0(VALU_DEP_1) | instskip(NEXT) | instid1(SALU_CYCLE_1)
	s_and_b32 s24, s14, s18
	s_xor_b32 s21, s24, -1
	s_add_u32 s2, s26, s2
	s_addc_u32 s3, s5, s3
	s_and_b32 vcc_lo, exec_lo, s21
	s_mov_b32 s5, -1
	s_cbranch_vccz .LBB935_2
; %bb.1:
	v_add_co_u32 v9, s5, s2, v39
	s_delay_alu instid0(VALU_DEP_1)
	v_add_co_ci_u32_e64 v10, null, s3, 0, s5
	global_load_b64 v[1:2], v39, s[2:3]
	v_add_co_u32 v3, vcc_lo, v9, 0x2000
	v_add_co_ci_u32_e32 v4, vcc_lo, 0, v10, vcc_lo
	v_add_co_u32 v5, vcc_lo, v9, 0x4000
	v_add_co_ci_u32_e32 v6, vcc_lo, 0, v10, vcc_lo
	;; [unrolled: 2-line block ×4, first 2 shown]
	s_clause 0x6
	global_load_b64 v[11:12], v[3:4], off offset:-4096
	global_load_b64 v[3:4], v[3:4], off
	global_load_b64 v[13:14], v[5:6], off offset:-4096
	global_load_b64 v[5:6], v[5:6], off
	;; [unrolled: 2-line block ×3, first 2 shown]
	global_load_b64 v[9:10], v[9:10], off
	v_lshrrev_b32_e32 v26, 2, v24
	v_lshrrev_b32_e32 v27, 2, v22
	;; [unrolled: 1-line block ×4, first 2 shown]
	v_and_b32_e32 v25, 0x78, v17
	v_lshrrev_b32_e32 v30, 2, v20
	v_lshrrev_b32_e32 v31, 2, v19
	v_lshrrev_b32_e32 v32, 2, v18
	v_and_b32_e32 v26, 0xf8, v26
	v_and_b32_e32 v27, 0x178, v27
	;; [unrolled: 1-line block ×4, first 2 shown]
	v_add_nc_u32_e32 v25, v25, v39
	v_and_b32_e32 v30, 0x2f8, v30
	v_and_b32_e32 v31, 0x378, v31
	;; [unrolled: 1-line block ×3, first 2 shown]
	v_add_nc_u32_e32 v26, v26, v39
	v_add_nc_u32_e32 v27, v27, v39
	;; [unrolled: 1-line block ×4, first 2 shown]
	s_mov_b32 s5, 0
	v_add_nc_u32_e32 v30, v30, v39
	v_add_nc_u32_e32 v31, v31, v39
	;; [unrolled: 1-line block ×3, first 2 shown]
	s_waitcnt vmcnt(7)
	ds_store_b64 v25, v[1:2]
	s_waitcnt vmcnt(6)
	ds_store_b64 v26, v[11:12] offset:4096
	s_waitcnt vmcnt(5)
	ds_store_b64 v27, v[3:4] offset:8192
	;; [unrolled: 2-line block ×7, first 2 shown]
	s_waitcnt lgkmcnt(0)
	s_barrier
.LBB935_2:
	s_and_not1_b32 vcc_lo, exec_lo, s5
	s_sub_i32 s20, s20, s4
	s_cbranch_vccnz .LBB935_13
; %bb.3:
	s_mov_b32 s4, exec_lo
                                        ; implicit-def: $vgpr1_vgpr2_vgpr3_vgpr4_vgpr5_vgpr6_vgpr7_vgpr8_vgpr9_vgpr10_vgpr11_vgpr12_vgpr13_vgpr14_vgpr15_vgpr16
	v_cmpx_gt_u32_e64 s20, v0
	s_cbranch_execnz .LBB935_23
; %bb.4:
	s_or_b32 exec_lo, exec_lo, s4
	s_delay_alu instid0(SALU_CYCLE_1)
	s_mov_b32 s4, exec_lo
	v_cmpx_gt_u32_e64 s20, v24
	s_cbranch_execnz .LBB935_24
.LBB935_5:
	s_or_b32 exec_lo, exec_lo, s4
	s_delay_alu instid0(SALU_CYCLE_1)
	s_mov_b32 s4, exec_lo
	v_cmpx_gt_u32_e64 s20, v22
	s_cbranch_execnz .LBB935_25
.LBB935_6:
	s_or_b32 exec_lo, exec_lo, s4
	s_delay_alu instid0(SALU_CYCLE_1)
	s_mov_b32 s4, exec_lo
	v_cmpx_gt_u32_e64 s20, v23
	s_cbranch_execnz .LBB935_26
.LBB935_7:
	s_or_b32 exec_lo, exec_lo, s4
	s_delay_alu instid0(SALU_CYCLE_1)
	s_mov_b32 s4, exec_lo
	v_cmpx_gt_u32_e64 s20, v21
	s_cbranch_execnz .LBB935_27
.LBB935_8:
	s_or_b32 exec_lo, exec_lo, s4
	s_delay_alu instid0(SALU_CYCLE_1)
	s_mov_b32 s4, exec_lo
	v_cmpx_gt_u32_e64 s20, v20
	s_cbranch_execnz .LBB935_28
.LBB935_9:
	s_or_b32 exec_lo, exec_lo, s4
	s_delay_alu instid0(SALU_CYCLE_1)
	s_mov_b32 s4, exec_lo
	v_cmpx_gt_u32_e64 s20, v19
	s_cbranch_execnz .LBB935_29
.LBB935_10:
	s_or_b32 exec_lo, exec_lo, s4
	s_delay_alu instid0(SALU_CYCLE_1)
	s_mov_b32 s4, exec_lo
	v_cmpx_gt_u32_e64 s20, v18
	s_cbranch_execz .LBB935_12
.LBB935_11:
	v_lshlrev_b32_e32 v15, 3, v18
	global_load_b64 v[15:16], v15, s[2:3]
.LBB935_12:
	s_or_b32 exec_lo, exec_lo, s4
	v_lshrrev_b32_e32 v24, 2, v24
	v_lshrrev_b32_e32 v22, 2, v22
	;; [unrolled: 1-line block ×4, first 2 shown]
	v_and_b32_e32 v25, 0x78, v17
	v_lshrrev_b32_e32 v20, 2, v20
	v_lshrrev_b32_e32 v19, 2, v19
	;; [unrolled: 1-line block ×3, first 2 shown]
	v_and_b32_e32 v24, 0xf8, v24
	v_and_b32_e32 v22, 0x1f8, v22
	;; [unrolled: 1-line block ×4, first 2 shown]
	v_add_nc_u32_e32 v25, v25, v39
	v_and_b32_e32 v20, 0x3f8, v20
	v_and_b32_e32 v19, 0x3f8, v19
	;; [unrolled: 1-line block ×3, first 2 shown]
	v_add_nc_u32_e32 v24, v24, v39
	v_add_nc_u32_e32 v22, v22, v39
	;; [unrolled: 1-line block ×7, first 2 shown]
	s_waitcnt vmcnt(0)
	ds_store_b64 v25, v[1:2]
	ds_store_b64 v24, v[3:4] offset:4096
	ds_store_b64 v22, v[5:6] offset:8192
	;; [unrolled: 1-line block ×7, first 2 shown]
	s_waitcnt lgkmcnt(0)
	s_barrier
.LBB935_13:
	v_add_lshl_u32 v1, v17, v39, 3
	s_waitcnt lgkmcnt(0)
	buffer_gl0_inv
	s_cmp_lg_u32 s15, 0
	v_cmp_gt_i64_e64 s26, s[22:23], 0
	s_cselect_b32 s25, -1, 0
	ds_load_2addr_b64 v[13:16], v1 offset1:1
	ds_load_2addr_b64 v[9:12], v1 offset0:2 offset1:3
	ds_load_2addr_b64 v[5:8], v1 offset0:4 offset1:5
	ds_load_2addr_b64 v[1:4], v1 offset0:6 offset1:7
	s_cmp_lg_u64 s[6:7], 0
	s_mov_b32 s18, 0
	s_cselect_b32 s4, -1, 0
	s_waitcnt lgkmcnt(0)
	s_or_b32 s4, s25, s4
	s_barrier
	s_and_b32 vcc_lo, exec_lo, s4
	buffer_gl0_inv
	s_cbranch_vccz .LBB935_22
; %bb.14:
	s_add_u32 s2, s2, -8
	s_addc_u32 s3, s3, -1
	v_cndmask_b32_e64 v25, 0, 1, s26
	s_load_b64 s[4:5], s[2:3], 0x0
	s_and_b32 vcc_lo, exec_lo, s21
	ds_store_b64 v39, v[3:4]
	v_cmp_ne_u32_e64 s2, 1, v25
	s_cbranch_vccz .LBB935_30
; %bb.15:
	v_mul_lo_u32 v19, v2, s22
	v_mul_lo_u32 v20, v1, s23
	v_mad_u64_u32 v[17:18], null, v1, s22, 0
	s_mov_b32 s3, 0
	s_and_b32 vcc_lo, exec_lo, s2
	s_mov_b32 s27, 0
	s_delay_alu instid0(VALU_DEP_1) | instskip(NEXT) | instid1(VALU_DEP_1)
	v_add3_u32 v18, v18, v20, v19
	v_lshlrev_b64 v[17:18], 2, v[17:18]
	s_cbranch_vccnz .LBB935_33
; %bb.16:
	v_mul_lo_u32 v21, v4, s22
	v_mul_lo_u32 v22, v3, s23
	v_mad_u64_u32 v[19:20], null, v3, s22, 0
	s_mov_b32 s27, -1
	s_mov_b32 s28, exec_lo
	s_delay_alu instid0(VALU_DEP_1) | instskip(SKIP_2) | instid1(VALU_DEP_3)
	v_add3_u32 v20, v20, v22, v21
	v_add_co_u32 v21, vcc_lo, s8, v17
	v_add_co_ci_u32_e32 v22, vcc_lo, s9, v18, vcc_lo
	v_lshlrev_b64 v[19:20], 2, v[19:20]
	s_delay_alu instid0(VALU_DEP_1) | instskip(NEXT) | instid1(VALU_DEP_2)
	v_add_co_u32 v19, vcc_lo, s8, v19
	v_add_co_ci_u32_e32 v20, vcc_lo, s9, v20, vcc_lo
	s_clause 0x1
	global_load_b32 v23, v[21:22], off
	global_load_b32 v24, v[19:20], off
	s_waitcnt vmcnt(0)
	v_cmpx_eq_f32_e32 v23, v24
	s_cbranch_execz .LBB935_32
; %bb.17:
	v_add_co_u32 v19, vcc_lo, v19, 4
	v_add_co_ci_u32_e32 v20, vcc_lo, 0, v20, vcc_lo
	v_add_co_u32 v21, vcc_lo, v21, 4
	v_add_co_ci_u32_e32 v22, vcc_lo, 0, v22, vcc_lo
	s_add_u32 s6, s22, -1
	s_addc_u32 s7, s23, -1
	s_mov_b64 s[18:19], 0
	s_mov_b32 s27, 0
                                        ; implicit-def: $sgpr29
	s_set_inst_prefetch_distance 0x1
	s_branch .LBB935_20
	.p2align	6
.LBB935_18:                             ;   in Loop: Header=BB935_20 Depth=1
	global_load_b32 v23, v[21:22], off
	global_load_b32 v24, v[19:20], off
	v_add_co_u32 v19, vcc_lo, v19, 4
	v_add_co_ci_u32_e32 v20, vcc_lo, 0, v20, vcc_lo
	v_add_co_u32 v21, s2, v21, 4
	s_delay_alu instid0(VALU_DEP_1)
	v_add_co_ci_u32_e64 v22, s2, 0, v22, s2
	s_add_u32 s18, s18, 1
	s_addc_u32 s19, s19, 0
	s_and_not1_b32 s2, s29, exec_lo
	s_waitcnt vmcnt(0)
	v_cmp_neq_f32_e32 vcc_lo, v23, v24
	s_and_b32 s29, vcc_lo, exec_lo
	s_delay_alu instid0(SALU_CYCLE_1)
	s_or_b32 s29, s2, s29
.LBB935_19:                             ;   in Loop: Header=BB935_20 Depth=1
	v_dual_mov_b32 v24, s19 :: v_dual_mov_b32 v23, s18
	s_and_b32 s2, exec_lo, s29
	s_delay_alu instid0(SALU_CYCLE_1) | instskip(NEXT) | instid1(SALU_CYCLE_1)
	s_or_b32 s27, s2, s27
	s_and_not1_b32 exec_lo, exec_lo, s27
	s_cbranch_execz .LBB935_31
.LBB935_20:                             ; =>This Inner Loop Header: Depth=1
	s_or_b32 s29, s29, exec_lo
	s_cmp_eq_u64 s[6:7], s[18:19]
	s_cbranch_scc0 .LBB935_18
; %bb.21:                               ;   in Loop: Header=BB935_20 Depth=1
	s_mov_b64 s[18:19], s[22:23]
                                        ; implicit-def: $vgpr19_vgpr20
                                        ; implicit-def: $vgpr21_vgpr22
	s_branch .LBB935_19
.LBB935_22:
                                        ; implicit-def: $sgpr2
                                        ; implicit-def: $vgpr18
	s_branch .LBB935_191
.LBB935_23:
	global_load_b64 v[1:2], v39, s[2:3]
	s_or_b32 exec_lo, exec_lo, s4
	s_delay_alu instid0(SALU_CYCLE_1)
	s_mov_b32 s4, exec_lo
	v_cmpx_gt_u32_e64 s20, v24
	s_cbranch_execz .LBB935_5
.LBB935_24:
	v_lshlrev_b32_e32 v3, 3, v24
	global_load_b64 v[3:4], v3, s[2:3]
	s_or_b32 exec_lo, exec_lo, s4
	s_delay_alu instid0(SALU_CYCLE_1)
	s_mov_b32 s4, exec_lo
	v_cmpx_gt_u32_e64 s20, v22
	s_cbranch_execz .LBB935_6
.LBB935_25:
	v_lshlrev_b32_e32 v5, 3, v22
	global_load_b64 v[5:6], v5, s[2:3]
	s_or_b32 exec_lo, exec_lo, s4
	s_delay_alu instid0(SALU_CYCLE_1)
	s_mov_b32 s4, exec_lo
	v_cmpx_gt_u32_e64 s20, v23
	s_cbranch_execz .LBB935_7
.LBB935_26:
	v_lshlrev_b32_e32 v7, 3, v23
	global_load_b64 v[7:8], v7, s[2:3]
	s_or_b32 exec_lo, exec_lo, s4
	s_delay_alu instid0(SALU_CYCLE_1)
	s_mov_b32 s4, exec_lo
	v_cmpx_gt_u32_e64 s20, v21
	s_cbranch_execz .LBB935_8
.LBB935_27:
	v_lshlrev_b32_e32 v9, 3, v21
	global_load_b64 v[9:10], v9, s[2:3]
	s_or_b32 exec_lo, exec_lo, s4
	s_delay_alu instid0(SALU_CYCLE_1)
	s_mov_b32 s4, exec_lo
	v_cmpx_gt_u32_e64 s20, v20
	s_cbranch_execz .LBB935_9
.LBB935_28:
	v_lshlrev_b32_e32 v11, 3, v20
	global_load_b64 v[11:12], v11, s[2:3]
	s_or_b32 exec_lo, exec_lo, s4
	s_delay_alu instid0(SALU_CYCLE_1)
	s_mov_b32 s4, exec_lo
	v_cmpx_gt_u32_e64 s20, v19
	s_cbranch_execz .LBB935_10
.LBB935_29:
	v_lshlrev_b32_e32 v13, 3, v19
	global_load_b64 v[13:14], v13, s[2:3]
	s_or_b32 exec_lo, exec_lo, s4
	s_delay_alu instid0(SALU_CYCLE_1)
	s_mov_b32 s4, exec_lo
	v_cmpx_gt_u32_e64 s20, v18
	s_cbranch_execnz .LBB935_11
	s_branch .LBB935_12
.LBB935_30:
                                        ; implicit-def: $sgpr2
                                        ; implicit-def: $vgpr18
	s_cbranch_execnz .LBB935_99
	s_branch .LBB935_190
.LBB935_31:
	s_set_inst_prefetch_distance 0x2
	s_or_b32 exec_lo, exec_lo, s27
	v_cmp_gt_i64_e32 vcc_lo, s[22:23], v[23:24]
	s_or_not1_b32 s27, vcc_lo, exec_lo
.LBB935_32:
	s_or_b32 exec_lo, exec_lo, s28
.LBB935_33:
	v_mul_lo_u32 v21, v8, s22
	v_mul_lo_u32 v22, v7, s23
	v_mad_u64_u32 v[19:20], null, v7, s22, 0
	s_and_not1_b32 vcc_lo, exec_lo, s26
	s_delay_alu instid0(VALU_DEP_1) | instskip(NEXT) | instid1(VALU_DEP_1)
	v_add3_u32 v20, v20, v22, v21
	v_lshlrev_b64 v[19:20], 2, v[19:20]
	s_cbranch_vccnz .LBB935_42
; %bb.34:
	s_delay_alu instid0(VALU_DEP_1) | instskip(NEXT) | instid1(VALU_DEP_2)
	v_add_co_u32 v21, vcc_lo, s8, v19
	v_add_co_ci_u32_e32 v22, vcc_lo, s9, v20, vcc_lo
	v_add_co_u32 v17, vcc_lo, s8, v17
	v_add_co_ci_u32_e32 v18, vcc_lo, s9, v18, vcc_lo
	s_mov_b32 s3, -1
	s_clause 0x1
	global_load_b32 v23, v[21:22], off
	global_load_b32 v24, v[17:18], off
	s_mov_b32 s28, exec_lo
	s_waitcnt vmcnt(0)
	v_cmpx_eq_f32_e32 v23, v24
	s_cbranch_execz .LBB935_41
; %bb.35:
	v_add_co_u32 v17, vcc_lo, v17, 4
	v_add_co_ci_u32_e32 v18, vcc_lo, 0, v18, vcc_lo
	v_add_co_u32 v21, vcc_lo, v21, 4
	v_add_co_ci_u32_e32 v22, vcc_lo, 0, v22, vcc_lo
	s_add_u32 s6, s22, -1
	s_addc_u32 s7, s23, -1
	s_mov_b64 s[18:19], 0
	s_mov_b32 s3, 0
                                        ; implicit-def: $sgpr29
	s_set_inst_prefetch_distance 0x1
	s_branch .LBB935_38
	.p2align	6
.LBB935_36:                             ;   in Loop: Header=BB935_38 Depth=1
	global_load_b32 v23, v[21:22], off
	global_load_b32 v24, v[17:18], off
	v_add_co_u32 v17, vcc_lo, v17, 4
	v_add_co_ci_u32_e32 v18, vcc_lo, 0, v18, vcc_lo
	v_add_co_u32 v21, s2, v21, 4
	s_delay_alu instid0(VALU_DEP_1)
	v_add_co_ci_u32_e64 v22, s2, 0, v22, s2
	s_add_u32 s18, s18, 1
	s_addc_u32 s19, s19, 0
	s_and_not1_b32 s2, s29, exec_lo
	s_waitcnt vmcnt(0)
	v_cmp_neq_f32_e32 vcc_lo, v23, v24
	s_and_b32 s29, vcc_lo, exec_lo
	s_delay_alu instid0(SALU_CYCLE_1)
	s_or_b32 s29, s2, s29
.LBB935_37:                             ;   in Loop: Header=BB935_38 Depth=1
	v_dual_mov_b32 v24, s19 :: v_dual_mov_b32 v23, s18
	s_and_b32 s2, exec_lo, s29
	s_delay_alu instid0(SALU_CYCLE_1) | instskip(NEXT) | instid1(SALU_CYCLE_1)
	s_or_b32 s3, s2, s3
	s_and_not1_b32 exec_lo, exec_lo, s3
	s_cbranch_execz .LBB935_40
.LBB935_38:                             ; =>This Inner Loop Header: Depth=1
	s_or_b32 s29, s29, exec_lo
	s_cmp_eq_u64 s[6:7], s[18:19]
	s_cbranch_scc0 .LBB935_36
; %bb.39:                               ;   in Loop: Header=BB935_38 Depth=1
	s_mov_b64 s[18:19], s[22:23]
                                        ; implicit-def: $vgpr17_vgpr18
                                        ; implicit-def: $vgpr21_vgpr22
	s_branch .LBB935_37
.LBB935_40:
	s_set_inst_prefetch_distance 0x2
	s_or_b32 exec_lo, exec_lo, s3
	v_cmp_gt_i64_e32 vcc_lo, s[22:23], v[23:24]
	s_or_not1_b32 s3, vcc_lo, exec_lo
.LBB935_41:
	s_or_b32 exec_lo, exec_lo, s28
.LBB935_42:
	v_mul_lo_u32 v21, v6, s22
	v_mul_lo_u32 v22, v5, s23
	v_mad_u64_u32 v[17:18], null, v5, s22, 0
	s_mov_b32 s28, 0
	s_and_not1_b32 vcc_lo, exec_lo, s26
	s_mov_b32 s29, 0
	s_delay_alu instid0(VALU_DEP_1) | instskip(NEXT) | instid1(VALU_DEP_1)
	v_add3_u32 v18, v18, v22, v21
	v_lshlrev_b64 v[21:22], 2, v[17:18]
	s_cbranch_vccnz .LBB935_51
; %bb.43:
	s_delay_alu instid0(VALU_DEP_1) | instskip(NEXT) | instid1(VALU_DEP_2)
	v_add_co_u32 v23, vcc_lo, s8, v21
	v_add_co_ci_u32_e32 v24, vcc_lo, s9, v22, vcc_lo
	v_add_co_u32 v17, vcc_lo, s8, v19
	v_add_co_ci_u32_e32 v18, vcc_lo, s9, v20, vcc_lo
	s_mov_b32 s29, -1
	s_clause 0x1
	global_load_b32 v19, v[23:24], off
	global_load_b32 v20, v[17:18], off
	s_mov_b32 s30, exec_lo
	s_waitcnt vmcnt(0)
	v_cmpx_eq_f32_e32 v19, v20
	s_cbranch_execz .LBB935_50
; %bb.44:
	v_add_co_u32 v17, vcc_lo, v17, 4
	v_add_co_ci_u32_e32 v18, vcc_lo, 0, v18, vcc_lo
	v_add_co_u32 v19, vcc_lo, v23, 4
	v_add_co_ci_u32_e32 v20, vcc_lo, 0, v24, vcc_lo
	s_add_u32 s6, s22, -1
	s_addc_u32 s7, s23, -1
	s_mov_b64 s[18:19], 0
	s_mov_b32 s29, 0
                                        ; implicit-def: $sgpr31
	s_set_inst_prefetch_distance 0x1
	s_branch .LBB935_47
	.p2align	6
.LBB935_45:                             ;   in Loop: Header=BB935_47 Depth=1
	global_load_b32 v23, v[19:20], off
	global_load_b32 v24, v[17:18], off
	v_add_co_u32 v17, vcc_lo, v17, 4
	v_add_co_ci_u32_e32 v18, vcc_lo, 0, v18, vcc_lo
	v_add_co_u32 v19, s2, v19, 4
	s_delay_alu instid0(VALU_DEP_1)
	v_add_co_ci_u32_e64 v20, s2, 0, v20, s2
	s_add_u32 s18, s18, 1
	s_addc_u32 s19, s19, 0
	s_and_not1_b32 s2, s31, exec_lo
	s_waitcnt vmcnt(0)
	v_cmp_neq_f32_e32 vcc_lo, v23, v24
	s_and_b32 s31, vcc_lo, exec_lo
	s_delay_alu instid0(SALU_CYCLE_1)
	s_or_b32 s31, s2, s31
.LBB935_46:                             ;   in Loop: Header=BB935_47 Depth=1
	v_dual_mov_b32 v24, s19 :: v_dual_mov_b32 v23, s18
	s_and_b32 s2, exec_lo, s31
	s_delay_alu instid0(SALU_CYCLE_1) | instskip(NEXT) | instid1(SALU_CYCLE_1)
	s_or_b32 s29, s2, s29
	s_and_not1_b32 exec_lo, exec_lo, s29
	s_cbranch_execz .LBB935_49
.LBB935_47:                             ; =>This Inner Loop Header: Depth=1
	s_or_b32 s31, s31, exec_lo
	s_cmp_eq_u64 s[6:7], s[18:19]
	s_cbranch_scc0 .LBB935_45
; %bb.48:                               ;   in Loop: Header=BB935_47 Depth=1
	s_mov_b64 s[18:19], s[22:23]
                                        ; implicit-def: $vgpr17_vgpr18
                                        ; implicit-def: $vgpr19_vgpr20
	s_branch .LBB935_46
.LBB935_49:
	s_set_inst_prefetch_distance 0x2
	s_or_b32 exec_lo, exec_lo, s29
	v_cmp_gt_i64_e32 vcc_lo, s[22:23], v[23:24]
	s_or_not1_b32 s29, vcc_lo, exec_lo
.LBB935_50:
	s_or_b32 exec_lo, exec_lo, s30
.LBB935_51:
	v_mul_lo_u32 v19, v12, s22
	v_mul_lo_u32 v20, v11, s23
	v_mad_u64_u32 v[17:18], null, v11, s22, 0
	s_and_not1_b32 vcc_lo, exec_lo, s26
	s_delay_alu instid0(VALU_DEP_1) | instskip(NEXT) | instid1(VALU_DEP_1)
	v_add3_u32 v18, v18, v20, v19
	v_lshlrev_b64 v[17:18], 2, v[17:18]
	s_cbranch_vccnz .LBB935_60
; %bb.52:
	s_delay_alu instid0(VALU_DEP_1) | instskip(NEXT) | instid1(VALU_DEP_2)
	v_add_co_u32 v23, vcc_lo, s8, v17
	v_add_co_ci_u32_e32 v24, vcc_lo, s9, v18, vcc_lo
	v_add_co_u32 v19, vcc_lo, s8, v21
	v_add_co_ci_u32_e32 v20, vcc_lo, s9, v22, vcc_lo
	s_mov_b32 s28, -1
	s_clause 0x1
	global_load_b32 v21, v[23:24], off
	global_load_b32 v22, v[19:20], off
	s_mov_b32 s30, exec_lo
	s_waitcnt vmcnt(0)
	v_cmpx_eq_f32_e32 v21, v22
	s_cbranch_execz .LBB935_59
; %bb.53:
	v_add_co_u32 v19, vcc_lo, v19, 4
	v_add_co_ci_u32_e32 v20, vcc_lo, 0, v20, vcc_lo
	v_add_co_u32 v21, vcc_lo, v23, 4
	v_add_co_ci_u32_e32 v22, vcc_lo, 0, v24, vcc_lo
	s_add_u32 s6, s22, -1
	s_addc_u32 s7, s23, -1
	s_mov_b64 s[18:19], 0
	s_mov_b32 s28, 0
                                        ; implicit-def: $sgpr31
	s_set_inst_prefetch_distance 0x1
	s_branch .LBB935_56
	.p2align	6
.LBB935_54:                             ;   in Loop: Header=BB935_56 Depth=1
	global_load_b32 v23, v[21:22], off
	global_load_b32 v24, v[19:20], off
	v_add_co_u32 v19, vcc_lo, v19, 4
	v_add_co_ci_u32_e32 v20, vcc_lo, 0, v20, vcc_lo
	v_add_co_u32 v21, s2, v21, 4
	s_delay_alu instid0(VALU_DEP_1)
	v_add_co_ci_u32_e64 v22, s2, 0, v22, s2
	s_add_u32 s18, s18, 1
	s_addc_u32 s19, s19, 0
	s_and_not1_b32 s2, s31, exec_lo
	s_waitcnt vmcnt(0)
	v_cmp_neq_f32_e32 vcc_lo, v23, v24
	s_and_b32 s31, vcc_lo, exec_lo
	s_delay_alu instid0(SALU_CYCLE_1)
	s_or_b32 s31, s2, s31
.LBB935_55:                             ;   in Loop: Header=BB935_56 Depth=1
	v_dual_mov_b32 v24, s19 :: v_dual_mov_b32 v23, s18
	s_and_b32 s2, exec_lo, s31
	s_delay_alu instid0(SALU_CYCLE_1) | instskip(NEXT) | instid1(SALU_CYCLE_1)
	s_or_b32 s28, s2, s28
	s_and_not1_b32 exec_lo, exec_lo, s28
	s_cbranch_execz .LBB935_58
.LBB935_56:                             ; =>This Inner Loop Header: Depth=1
	s_or_b32 s31, s31, exec_lo
	s_cmp_eq_u64 s[6:7], s[18:19]
	s_cbranch_scc0 .LBB935_54
; %bb.57:                               ;   in Loop: Header=BB935_56 Depth=1
	s_mov_b64 s[18:19], s[22:23]
                                        ; implicit-def: $vgpr19_vgpr20
                                        ; implicit-def: $vgpr21_vgpr22
	s_branch .LBB935_55
.LBB935_58:
	s_set_inst_prefetch_distance 0x2
	s_or_b32 exec_lo, exec_lo, s28
	v_cmp_gt_i64_e32 vcc_lo, s[22:23], v[23:24]
	s_or_not1_b32 s28, vcc_lo, exec_lo
.LBB935_59:
	s_or_b32 exec_lo, exec_lo, s30
.LBB935_60:
	v_mul_lo_u32 v21, v10, s22
	v_mul_lo_u32 v22, v9, s23
	v_mad_u64_u32 v[19:20], null, v9, s22, 0
	s_mov_b32 s30, 0
	s_and_not1_b32 vcc_lo, exec_lo, s26
	s_mov_b32 s31, 0
	s_delay_alu instid0(VALU_DEP_1) | instskip(NEXT) | instid1(VALU_DEP_1)
	v_add3_u32 v20, v20, v22, v21
	v_lshlrev_b64 v[21:22], 2, v[19:20]
	s_cbranch_vccnz .LBB935_69
; %bb.61:
	s_delay_alu instid0(VALU_DEP_1) | instskip(NEXT) | instid1(VALU_DEP_2)
	v_add_co_u32 v19, vcc_lo, s8, v21
	v_add_co_ci_u32_e32 v20, vcc_lo, s9, v22, vcc_lo
	v_add_co_u32 v17, vcc_lo, s8, v17
	v_add_co_ci_u32_e32 v18, vcc_lo, s9, v18, vcc_lo
	s_mov_b32 s31, -1
	s_clause 0x1
	global_load_b32 v23, v[19:20], off
	global_load_b32 v24, v[17:18], off
	s_mov_b32 s33, exec_lo
	s_waitcnt vmcnt(0)
	v_cmpx_eq_f32_e32 v23, v24
	s_cbranch_execz .LBB935_68
; %bb.62:
	v_add_co_u32 v17, vcc_lo, v17, 4
	v_add_co_ci_u32_e32 v18, vcc_lo, 0, v18, vcc_lo
	v_add_co_u32 v19, vcc_lo, v19, 4
	v_add_co_ci_u32_e32 v20, vcc_lo, 0, v20, vcc_lo
	s_add_u32 s6, s22, -1
	s_addc_u32 s7, s23, -1
	s_mov_b64 s[18:19], 0
	s_mov_b32 s31, 0
                                        ; implicit-def: $sgpr34
	s_set_inst_prefetch_distance 0x1
	s_branch .LBB935_65
	.p2align	6
.LBB935_63:                             ;   in Loop: Header=BB935_65 Depth=1
	global_load_b32 v23, v[19:20], off
	global_load_b32 v24, v[17:18], off
	v_add_co_u32 v17, vcc_lo, v17, 4
	v_add_co_ci_u32_e32 v18, vcc_lo, 0, v18, vcc_lo
	v_add_co_u32 v19, s2, v19, 4
	s_delay_alu instid0(VALU_DEP_1)
	v_add_co_ci_u32_e64 v20, s2, 0, v20, s2
	s_add_u32 s18, s18, 1
	s_addc_u32 s19, s19, 0
	s_and_not1_b32 s2, s34, exec_lo
	s_waitcnt vmcnt(0)
	v_cmp_neq_f32_e32 vcc_lo, v23, v24
	s_and_b32 s34, vcc_lo, exec_lo
	s_delay_alu instid0(SALU_CYCLE_1)
	s_or_b32 s34, s2, s34
.LBB935_64:                             ;   in Loop: Header=BB935_65 Depth=1
	v_dual_mov_b32 v24, s19 :: v_dual_mov_b32 v23, s18
	s_and_b32 s2, exec_lo, s34
	s_delay_alu instid0(SALU_CYCLE_1) | instskip(NEXT) | instid1(SALU_CYCLE_1)
	s_or_b32 s31, s2, s31
	s_and_not1_b32 exec_lo, exec_lo, s31
	s_cbranch_execz .LBB935_67
.LBB935_65:                             ; =>This Inner Loop Header: Depth=1
	s_or_b32 s34, s34, exec_lo
	s_cmp_eq_u64 s[6:7], s[18:19]
	s_cbranch_scc0 .LBB935_63
; %bb.66:                               ;   in Loop: Header=BB935_65 Depth=1
	s_mov_b64 s[18:19], s[22:23]
                                        ; implicit-def: $vgpr17_vgpr18
                                        ; implicit-def: $vgpr19_vgpr20
	s_branch .LBB935_64
.LBB935_67:
	s_set_inst_prefetch_distance 0x2
	s_or_b32 exec_lo, exec_lo, s31
	v_cmp_gt_i64_e32 vcc_lo, s[22:23], v[23:24]
	s_or_not1_b32 s31, vcc_lo, exec_lo
.LBB935_68:
	s_or_b32 exec_lo, exec_lo, s33
.LBB935_69:
	v_mul_lo_u32 v19, v16, s22
	v_mul_lo_u32 v20, v15, s23
	v_mad_u64_u32 v[17:18], null, v15, s22, 0
	s_and_not1_b32 vcc_lo, exec_lo, s26
	s_delay_alu instid0(VALU_DEP_1) | instskip(NEXT) | instid1(VALU_DEP_1)
	v_add3_u32 v18, v18, v20, v19
	v_lshlrev_b64 v[19:20], 2, v[17:18]
	s_cbranch_vccnz .LBB935_78
; %bb.70:
	s_delay_alu instid0(VALU_DEP_1) | instskip(NEXT) | instid1(VALU_DEP_2)
	v_add_co_u32 v23, vcc_lo, s8, v19
	v_add_co_ci_u32_e32 v24, vcc_lo, s9, v20, vcc_lo
	v_add_co_u32 v17, vcc_lo, s8, v21
	v_add_co_ci_u32_e32 v18, vcc_lo, s9, v22, vcc_lo
	s_mov_b32 s30, -1
	s_clause 0x1
	global_load_b32 v21, v[23:24], off
	global_load_b32 v22, v[17:18], off
	s_mov_b32 s33, exec_lo
	s_waitcnt vmcnt(0)
	v_cmpx_eq_f32_e32 v21, v22
	s_cbranch_execz .LBB935_77
; %bb.71:
	v_add_co_u32 v17, vcc_lo, v17, 4
	v_add_co_ci_u32_e32 v18, vcc_lo, 0, v18, vcc_lo
	v_add_co_u32 v21, vcc_lo, v23, 4
	v_add_co_ci_u32_e32 v22, vcc_lo, 0, v24, vcc_lo
	s_add_u32 s6, s22, -1
	s_addc_u32 s7, s23, -1
	s_mov_b64 s[18:19], 0
	s_mov_b32 s30, 0
                                        ; implicit-def: $sgpr34
	s_set_inst_prefetch_distance 0x1
	s_branch .LBB935_74
	.p2align	6
.LBB935_72:                             ;   in Loop: Header=BB935_74 Depth=1
	global_load_b32 v23, v[21:22], off
	global_load_b32 v24, v[17:18], off
	v_add_co_u32 v17, vcc_lo, v17, 4
	v_add_co_ci_u32_e32 v18, vcc_lo, 0, v18, vcc_lo
	v_add_co_u32 v21, s2, v21, 4
	s_delay_alu instid0(VALU_DEP_1)
	v_add_co_ci_u32_e64 v22, s2, 0, v22, s2
	s_add_u32 s18, s18, 1
	s_addc_u32 s19, s19, 0
	s_and_not1_b32 s2, s34, exec_lo
	s_waitcnt vmcnt(0)
	v_cmp_neq_f32_e32 vcc_lo, v23, v24
	s_and_b32 s34, vcc_lo, exec_lo
	s_delay_alu instid0(SALU_CYCLE_1)
	s_or_b32 s34, s2, s34
.LBB935_73:                             ;   in Loop: Header=BB935_74 Depth=1
	v_dual_mov_b32 v24, s19 :: v_dual_mov_b32 v23, s18
	s_and_b32 s2, exec_lo, s34
	s_delay_alu instid0(SALU_CYCLE_1) | instskip(NEXT) | instid1(SALU_CYCLE_1)
	s_or_b32 s30, s2, s30
	s_and_not1_b32 exec_lo, exec_lo, s30
	s_cbranch_execz .LBB935_76
.LBB935_74:                             ; =>This Inner Loop Header: Depth=1
	s_or_b32 s34, s34, exec_lo
	s_cmp_eq_u64 s[6:7], s[18:19]
	s_cbranch_scc0 .LBB935_72
; %bb.75:                               ;   in Loop: Header=BB935_74 Depth=1
	s_mov_b64 s[18:19], s[22:23]
                                        ; implicit-def: $vgpr17_vgpr18
                                        ; implicit-def: $vgpr21_vgpr22
	s_branch .LBB935_73
.LBB935_76:
	s_set_inst_prefetch_distance 0x2
	s_or_b32 exec_lo, exec_lo, s30
	v_cmp_gt_i64_e32 vcc_lo, s[22:23], v[23:24]
	s_or_not1_b32 s30, vcc_lo, exec_lo
.LBB935_77:
	s_or_b32 exec_lo, exec_lo, s33
.LBB935_78:
	v_mul_lo_u32 v21, v14, s22
	v_mul_lo_u32 v22, v13, s23
	v_mad_u64_u32 v[17:18], null, v13, s22, 0
	s_and_not1_b32 vcc_lo, exec_lo, s26
	s_mov_b32 s2, 0
	s_delay_alu instid0(VALU_DEP_1) | instskip(NEXT) | instid1(VALU_DEP_1)
	v_add3_u32 v18, v18, v22, v21
	v_lshlrev_b64 v[17:18], 2, v[17:18]
	s_cbranch_vccnz .LBB935_87
; %bb.79:
	s_delay_alu instid0(VALU_DEP_1) | instskip(NEXT) | instid1(VALU_DEP_2)
	v_add_co_u32 v21, vcc_lo, s8, v17
	v_add_co_ci_u32_e32 v22, vcc_lo, s9, v18, vcc_lo
	v_add_co_u32 v19, vcc_lo, s8, v19
	v_add_co_ci_u32_e32 v20, vcc_lo, s9, v20, vcc_lo
	s_mov_b32 s2, -1
	s_clause 0x1
	global_load_b32 v23, v[21:22], off
	global_load_b32 v24, v[19:20], off
	s_mov_b32 s33, exec_lo
	s_waitcnt vmcnt(0)
	v_cmpx_eq_f32_e32 v23, v24
	s_cbranch_execz .LBB935_86
; %bb.80:
	v_add_co_u32 v19, vcc_lo, v19, 4
	v_add_co_ci_u32_e32 v20, vcc_lo, 0, v20, vcc_lo
	v_add_co_u32 v21, vcc_lo, v21, 4
	v_add_co_ci_u32_e32 v22, vcc_lo, 0, v22, vcc_lo
	s_add_u32 s6, s22, -1
	s_addc_u32 s7, s23, -1
	s_mov_b64 s[18:19], 0
	s_mov_b32 s34, 0
                                        ; implicit-def: $sgpr35
	s_set_inst_prefetch_distance 0x1
	s_branch .LBB935_83
	.p2align	6
.LBB935_81:                             ;   in Loop: Header=BB935_83 Depth=1
	global_load_b32 v23, v[21:22], off
	global_load_b32 v24, v[19:20], off
	v_add_co_u32 v19, vcc_lo, v19, 4
	v_add_co_ci_u32_e32 v20, vcc_lo, 0, v20, vcc_lo
	v_add_co_u32 v21, s2, v21, 4
	s_delay_alu instid0(VALU_DEP_1)
	v_add_co_ci_u32_e64 v22, s2, 0, v22, s2
	s_add_u32 s18, s18, 1
	s_addc_u32 s19, s19, 0
	s_and_not1_b32 s2, s35, exec_lo
	s_waitcnt vmcnt(0)
	v_cmp_neq_f32_e32 vcc_lo, v23, v24
	s_and_b32 s35, vcc_lo, exec_lo
	s_delay_alu instid0(SALU_CYCLE_1)
	s_or_b32 s35, s2, s35
.LBB935_82:                             ;   in Loop: Header=BB935_83 Depth=1
	v_dual_mov_b32 v24, s19 :: v_dual_mov_b32 v23, s18
	s_and_b32 s2, exec_lo, s35
	s_delay_alu instid0(SALU_CYCLE_1) | instskip(NEXT) | instid1(SALU_CYCLE_1)
	s_or_b32 s34, s2, s34
	s_and_not1_b32 exec_lo, exec_lo, s34
	s_cbranch_execz .LBB935_85
.LBB935_83:                             ; =>This Inner Loop Header: Depth=1
	s_or_b32 s35, s35, exec_lo
	s_cmp_eq_u64 s[6:7], s[18:19]
	s_cbranch_scc0 .LBB935_81
; %bb.84:                               ;   in Loop: Header=BB935_83 Depth=1
	s_mov_b64 s[18:19], s[22:23]
                                        ; implicit-def: $vgpr19_vgpr20
                                        ; implicit-def: $vgpr21_vgpr22
	s_branch .LBB935_82
.LBB935_85:
	s_set_inst_prefetch_distance 0x2
	s_or_b32 exec_lo, exec_lo, s34
	v_cmp_gt_i64_e32 vcc_lo, s[22:23], v[23:24]
	s_or_not1_b32 s2, vcc_lo, exec_lo
.LBB935_86:
	s_or_b32 exec_lo, exec_lo, s33
.LBB935_87:
	s_waitcnt lgkmcnt(0)
	v_dual_mov_b32 v20, s5 :: v_dual_mov_b32 v19, s4
	s_mov_b32 s6, exec_lo
	s_barrier
	buffer_gl0_inv
	v_cmpx_ne_u32_e32 0, v0
	s_cbranch_execz .LBB935_89
; %bb.88:
	v_add_nc_u32_e32 v19, -8, v39
	ds_load_b64 v[19:20], v19
.LBB935_89:
	s_or_b32 exec_lo, exec_lo, s6
	v_cndmask_b32_e64 v22, 0, 1, s31
	v_cndmask_b32_e64 v24, 0, 1, s29
	;; [unrolled: 1-line block ×7, first 2 shown]
	v_lshlrev_b16 v22, 8, v22
	v_lshlrev_b16 v24, 8, v24
	;; [unrolled: 1-line block ×4, first 2 shown]
	s_mov_b32 s3, 0
	v_or_b32_e32 v21, v21, v22
	v_or_b32_e32 v22, v23, v24
	;; [unrolled: 1-line block ×3, first 2 shown]
	v_and_b32_e32 v23, 0xffff, v27
	s_and_not1_b32 vcc_lo, exec_lo, s26
	v_lshlrev_b32_e32 v24, 16, v21
	v_and_b32_e32 v26, 0xffff, v22
	v_lshlrev_b32_e32 v27, 16, v28
	s_mov_b32 s2, 0
	s_cbranch_vccnz .LBB935_98
; %bb.90:
	s_waitcnt lgkmcnt(0)
	v_mul_lo_u32 v22, v20, s22
	v_mul_lo_u32 v28, v19, s23
	v_mad_u64_u32 v[20:21], null, v19, s22, 0
	s_mov_b32 s2, -1
	s_mov_b32 s27, exec_lo
	s_delay_alu instid0(VALU_DEP_1) | instskip(NEXT) | instid1(VALU_DEP_1)
	v_add3_u32 v21, v21, v28, v22
	v_lshlrev_b64 v[19:20], 2, v[20:21]
	s_delay_alu instid0(VALU_DEP_1) | instskip(NEXT) | instid1(VALU_DEP_2)
	v_add_co_u32 v19, vcc_lo, s8, v19
	v_add_co_ci_u32_e32 v20, vcc_lo, s9, v20, vcc_lo
	v_add_co_u32 v17, vcc_lo, s8, v17
	v_add_co_ci_u32_e32 v18, vcc_lo, s9, v18, vcc_lo
	s_clause 0x1
	global_load_b32 v21, v[19:20], off
	global_load_b32 v22, v[17:18], off
	s_waitcnt vmcnt(0)
	v_cmpx_eq_f32_e32 v21, v22
	s_cbranch_execz .LBB935_97
; %bb.91:
	v_add_co_u32 v17, vcc_lo, v17, 4
	v_add_co_ci_u32_e32 v18, vcc_lo, 0, v18, vcc_lo
	v_add_co_u32 v19, vcc_lo, v19, 4
	v_add_co_ci_u32_e32 v20, vcc_lo, 0, v20, vcc_lo
	s_add_u32 s6, s22, -1
	s_addc_u32 s7, s23, -1
	s_mov_b64 s[18:19], 0
	s_mov_b32 s28, 0
                                        ; implicit-def: $sgpr29
	s_set_inst_prefetch_distance 0x1
	s_branch .LBB935_94
	.p2align	6
.LBB935_92:                             ;   in Loop: Header=BB935_94 Depth=1
	global_load_b32 v21, v[19:20], off
	global_load_b32 v22, v[17:18], off
	v_add_co_u32 v17, vcc_lo, v17, 4
	v_add_co_ci_u32_e32 v18, vcc_lo, 0, v18, vcc_lo
	v_add_co_u32 v19, s2, v19, 4
	s_delay_alu instid0(VALU_DEP_1)
	v_add_co_ci_u32_e64 v20, s2, 0, v20, s2
	s_add_u32 s18, s18, 1
	s_addc_u32 s19, s19, 0
	s_and_not1_b32 s2, s29, exec_lo
	s_waitcnt vmcnt(0)
	v_cmp_neq_f32_e32 vcc_lo, v21, v22
	s_and_b32 s29, vcc_lo, exec_lo
	s_delay_alu instid0(SALU_CYCLE_1)
	s_or_b32 s29, s2, s29
.LBB935_93:                             ;   in Loop: Header=BB935_94 Depth=1
	v_dual_mov_b32 v22, s19 :: v_dual_mov_b32 v21, s18
	s_and_b32 s2, exec_lo, s29
	s_delay_alu instid0(SALU_CYCLE_1) | instskip(NEXT) | instid1(SALU_CYCLE_1)
	s_or_b32 s28, s2, s28
	s_and_not1_b32 exec_lo, exec_lo, s28
	s_cbranch_execz .LBB935_96
.LBB935_94:                             ; =>This Inner Loop Header: Depth=1
	s_or_b32 s29, s29, exec_lo
	s_cmp_eq_u64 s[6:7], s[18:19]
	s_cbranch_scc0 .LBB935_92
; %bb.95:                               ;   in Loop: Header=BB935_94 Depth=1
	s_mov_b64 s[18:19], s[22:23]
                                        ; implicit-def: $vgpr17_vgpr18
                                        ; implicit-def: $vgpr19_vgpr20
	s_branch .LBB935_93
.LBB935_96:
	s_set_inst_prefetch_distance 0x2
	s_or_b32 exec_lo, exec_lo, s28
	v_cmp_gt_i64_e32 vcc_lo, s[22:23], v[21:22]
	s_or_not1_b32 s2, vcc_lo, exec_lo
.LBB935_97:
	s_or_b32 exec_lo, exec_lo, s27
.LBB935_98:
	v_or_b32_e32 v17, v23, v24
	s_delay_alu instid0(VALU_DEP_2)
	v_or_b32_e32 v18, v26, v27
	s_and_b32 vcc_lo, exec_lo, s3
	s_cbranch_vccz .LBB935_190
.LBB935_99:
	v_or_b32_e32 v17, 7, v39
	s_mov_b32 s3, 0
	s_mov_b32 s27, 0
	s_mov_b32 s28, exec_lo
	s_delay_alu instid0(VALU_DEP_1)
	v_cmpx_gt_u32_e64 s20, v17
	s_cbranch_execz .LBB935_110
; %bb.100:
	s_and_not1_b32 vcc_lo, exec_lo, s26
	s_mov_b32 s2, 0
	s_cbranch_vccnz .LBB935_109
; %bb.101:
	v_mul_lo_u32 v21, v2, s22
	v_mul_lo_u32 v22, v1, s23
	v_mad_u64_u32 v[17:18], null, v1, s22, 0
	v_mul_lo_u32 v23, v4, s22
	v_mul_lo_u32 v24, v3, s23
	s_waitcnt lgkmcnt(0)
	v_mad_u64_u32 v[19:20], null, v3, s22, 0
	s_mov_b32 s2, -1
	s_mov_b32 s26, exec_lo
	s_delay_alu instid0(VALU_DEP_4) | instskip(NEXT) | instid1(VALU_DEP_2)
	v_add3_u32 v18, v18, v22, v21
	v_add3_u32 v20, v20, v24, v23
	s_delay_alu instid0(VALU_DEP_2) | instskip(NEXT) | instid1(VALU_DEP_2)
	v_lshlrev_b64 v[17:18], 2, v[17:18]
	v_lshlrev_b64 v[21:22], 2, v[19:20]
	s_delay_alu instid0(VALU_DEP_2) | instskip(NEXT) | instid1(VALU_DEP_3)
	v_add_co_u32 v19, vcc_lo, s8, v17
	v_add_co_ci_u32_e32 v20, vcc_lo, s9, v18, vcc_lo
	s_delay_alu instid0(VALU_DEP_3) | instskip(NEXT) | instid1(VALU_DEP_4)
	v_add_co_u32 v17, vcc_lo, s8, v21
	v_add_co_ci_u32_e32 v18, vcc_lo, s9, v22, vcc_lo
	s_clause 0x1
	global_load_b32 v21, v[19:20], off
	global_load_b32 v22, v[17:18], off
	s_waitcnt vmcnt(0)
	v_cmpx_eq_f32_e32 v21, v22
	s_cbranch_execz .LBB935_108
; %bb.102:
	v_add_co_u32 v17, vcc_lo, v17, 4
	v_add_co_ci_u32_e32 v18, vcc_lo, 0, v18, vcc_lo
	v_add_co_u32 v19, vcc_lo, v19, 4
	v_add_co_ci_u32_e32 v20, vcc_lo, 0, v20, vcc_lo
	s_add_u32 s6, s22, -1
	s_addc_u32 s7, s23, -1
	s_mov_b64 s[18:19], 0
                                        ; implicit-def: $sgpr29
	s_set_inst_prefetch_distance 0x1
	s_branch .LBB935_105
	.p2align	6
.LBB935_103:                            ;   in Loop: Header=BB935_105 Depth=1
	global_load_b32 v21, v[19:20], off
	global_load_b32 v22, v[17:18], off
	v_add_co_u32 v17, vcc_lo, v17, 4
	v_add_co_ci_u32_e32 v18, vcc_lo, 0, v18, vcc_lo
	v_add_co_u32 v19, s2, v19, 4
	s_delay_alu instid0(VALU_DEP_1)
	v_add_co_ci_u32_e64 v20, s2, 0, v20, s2
	s_add_u32 s18, s18, 1
	s_addc_u32 s19, s19, 0
	s_and_not1_b32 s2, s29, exec_lo
	s_waitcnt vmcnt(0)
	v_cmp_neq_f32_e32 vcc_lo, v21, v22
	s_and_b32 s29, vcc_lo, exec_lo
	s_delay_alu instid0(SALU_CYCLE_1)
	s_or_b32 s29, s2, s29
.LBB935_104:                            ;   in Loop: Header=BB935_105 Depth=1
	v_dual_mov_b32 v22, s19 :: v_dual_mov_b32 v21, s18
	s_and_b32 s2, exec_lo, s29
	s_delay_alu instid0(SALU_CYCLE_1) | instskip(NEXT) | instid1(SALU_CYCLE_1)
	s_or_b32 s27, s2, s27
	s_and_not1_b32 exec_lo, exec_lo, s27
	s_cbranch_execz .LBB935_107
.LBB935_105:                            ; =>This Inner Loop Header: Depth=1
	s_or_b32 s29, s29, exec_lo
	s_cmp_eq_u64 s[6:7], s[18:19]
	s_cbranch_scc0 .LBB935_103
; %bb.106:                              ;   in Loop: Header=BB935_105 Depth=1
	s_mov_b64 s[18:19], s[22:23]
                                        ; implicit-def: $vgpr17_vgpr18
                                        ; implicit-def: $vgpr19_vgpr20
	s_branch .LBB935_104
.LBB935_107:
	s_set_inst_prefetch_distance 0x2
	s_or_b32 exec_lo, exec_lo, s27
	v_cmp_gt_i64_e32 vcc_lo, s[22:23], v[21:22]
	s_or_not1_b32 s2, vcc_lo, exec_lo
.LBB935_108:
	s_or_b32 exec_lo, exec_lo, s26
.LBB935_109:
	s_delay_alu instid0(SALU_CYCLE_1)
	s_and_b32 s27, s2, exec_lo
.LBB935_110:
	s_or_b32 exec_lo, exec_lo, s28
	v_or_b32_e32 v17, 6, v39
	s_mov_b32 s26, exec_lo
	s_delay_alu instid0(VALU_DEP_1)
	v_cmpx_gt_u32_e64 s20, v17
	s_cbranch_execz .LBB935_121
; %bb.111:
	v_cmp_ne_u32_e32 vcc_lo, 1, v25
	s_mov_b32 s2, 0
	s_cbranch_vccnz .LBB935_120
; %bb.112:
	v_mul_lo_u32 v21, v8, s22
	v_mul_lo_u32 v22, v7, s23
	v_mad_u64_u32 v[17:18], null, v7, s22, 0
	v_mul_lo_u32 v23, v2, s22
	v_mul_lo_u32 v24, v1, s23
	s_waitcnt lgkmcnt(0)
	v_mad_u64_u32 v[19:20], null, v1, s22, 0
	s_mov_b32 s2, -1
	s_mov_b32 s3, exec_lo
	s_delay_alu instid0(VALU_DEP_4) | instskip(NEXT) | instid1(VALU_DEP_2)
	v_add3_u32 v18, v18, v22, v21
	v_add3_u32 v20, v20, v24, v23
	s_delay_alu instid0(VALU_DEP_2) | instskip(NEXT) | instid1(VALU_DEP_2)
	v_lshlrev_b64 v[17:18], 2, v[17:18]
	v_lshlrev_b64 v[21:22], 2, v[19:20]
	s_delay_alu instid0(VALU_DEP_2) | instskip(NEXT) | instid1(VALU_DEP_3)
	v_add_co_u32 v19, vcc_lo, s8, v17
	v_add_co_ci_u32_e32 v20, vcc_lo, s9, v18, vcc_lo
	s_delay_alu instid0(VALU_DEP_3) | instskip(NEXT) | instid1(VALU_DEP_4)
	v_add_co_u32 v17, vcc_lo, s8, v21
	v_add_co_ci_u32_e32 v18, vcc_lo, s9, v22, vcc_lo
	s_clause 0x1
	global_load_b32 v21, v[19:20], off
	global_load_b32 v22, v[17:18], off
	s_waitcnt vmcnt(0)
	v_cmpx_eq_f32_e32 v21, v22
	s_cbranch_execz .LBB935_119
; %bb.113:
	v_add_co_u32 v17, vcc_lo, v17, 4
	v_add_co_ci_u32_e32 v18, vcc_lo, 0, v18, vcc_lo
	v_add_co_u32 v19, vcc_lo, v19, 4
	v_add_co_ci_u32_e32 v20, vcc_lo, 0, v20, vcc_lo
	s_add_u32 s6, s22, -1
	s_addc_u32 s7, s23, -1
	s_mov_b64 s[18:19], 0
	s_mov_b32 s28, 0
                                        ; implicit-def: $sgpr29
	s_set_inst_prefetch_distance 0x1
	s_branch .LBB935_116
	.p2align	6
.LBB935_114:                            ;   in Loop: Header=BB935_116 Depth=1
	global_load_b32 v21, v[19:20], off
	global_load_b32 v22, v[17:18], off
	v_add_co_u32 v17, vcc_lo, v17, 4
	v_add_co_ci_u32_e32 v18, vcc_lo, 0, v18, vcc_lo
	v_add_co_u32 v19, s2, v19, 4
	s_delay_alu instid0(VALU_DEP_1)
	v_add_co_ci_u32_e64 v20, s2, 0, v20, s2
	s_add_u32 s18, s18, 1
	s_addc_u32 s19, s19, 0
	s_and_not1_b32 s2, s29, exec_lo
	s_waitcnt vmcnt(0)
	v_cmp_neq_f32_e32 vcc_lo, v21, v22
	s_and_b32 s29, vcc_lo, exec_lo
	s_delay_alu instid0(SALU_CYCLE_1)
	s_or_b32 s29, s2, s29
.LBB935_115:                            ;   in Loop: Header=BB935_116 Depth=1
	v_dual_mov_b32 v22, s19 :: v_dual_mov_b32 v21, s18
	s_and_b32 s2, exec_lo, s29
	s_delay_alu instid0(SALU_CYCLE_1) | instskip(NEXT) | instid1(SALU_CYCLE_1)
	s_or_b32 s28, s2, s28
	s_and_not1_b32 exec_lo, exec_lo, s28
	s_cbranch_execz .LBB935_118
.LBB935_116:                            ; =>This Inner Loop Header: Depth=1
	s_or_b32 s29, s29, exec_lo
	s_cmp_eq_u64 s[6:7], s[18:19]
	s_cbranch_scc0 .LBB935_114
; %bb.117:                              ;   in Loop: Header=BB935_116 Depth=1
	s_mov_b64 s[18:19], s[22:23]
                                        ; implicit-def: $vgpr17_vgpr18
                                        ; implicit-def: $vgpr19_vgpr20
	s_branch .LBB935_115
.LBB935_118:
	s_set_inst_prefetch_distance 0x2
	s_or_b32 exec_lo, exec_lo, s28
	v_cmp_gt_i64_e32 vcc_lo, s[22:23], v[21:22]
	s_or_not1_b32 s2, vcc_lo, exec_lo
.LBB935_119:
	s_or_b32 exec_lo, exec_lo, s3
.LBB935_120:
	s_delay_alu instid0(SALU_CYCLE_1)
	s_and_b32 s3, s2, exec_lo
.LBB935_121:
	s_or_b32 exec_lo, exec_lo, s26
	v_or_b32_e32 v17, 5, v39
	s_mov_b32 s28, 0
	s_mov_b32 s26, 0
	s_mov_b32 s29, exec_lo
	s_delay_alu instid0(VALU_DEP_1)
	v_cmpx_gt_u32_e64 s20, v17
	s_cbranch_execz .LBB935_132
; %bb.122:
	v_cmp_ne_u32_e32 vcc_lo, 1, v25
	s_mov_b32 s2, 0
	s_cbranch_vccnz .LBB935_131
; %bb.123:
	v_mul_lo_u32 v21, v6, s22
	v_mul_lo_u32 v22, v5, s23
	v_mad_u64_u32 v[17:18], null, v5, s22, 0
	v_mul_lo_u32 v23, v8, s22
	v_mul_lo_u32 v24, v7, s23
	s_waitcnt lgkmcnt(0)
	v_mad_u64_u32 v[19:20], null, v7, s22, 0
	s_mov_b32 s2, -1
	s_mov_b32 s26, exec_lo
	s_delay_alu instid0(VALU_DEP_4) | instskip(NEXT) | instid1(VALU_DEP_2)
	v_add3_u32 v18, v18, v22, v21
	v_add3_u32 v20, v20, v24, v23
	s_delay_alu instid0(VALU_DEP_2) | instskip(NEXT) | instid1(VALU_DEP_2)
	v_lshlrev_b64 v[17:18], 2, v[17:18]
	v_lshlrev_b64 v[21:22], 2, v[19:20]
	s_delay_alu instid0(VALU_DEP_2) | instskip(NEXT) | instid1(VALU_DEP_3)
	v_add_co_u32 v19, vcc_lo, s8, v17
	v_add_co_ci_u32_e32 v20, vcc_lo, s9, v18, vcc_lo
	s_delay_alu instid0(VALU_DEP_3) | instskip(NEXT) | instid1(VALU_DEP_4)
	v_add_co_u32 v17, vcc_lo, s8, v21
	v_add_co_ci_u32_e32 v18, vcc_lo, s9, v22, vcc_lo
	s_clause 0x1
	global_load_b32 v21, v[19:20], off
	global_load_b32 v22, v[17:18], off
	s_waitcnt vmcnt(0)
	v_cmpx_eq_f32_e32 v21, v22
	s_cbranch_execz .LBB935_130
; %bb.124:
	v_add_co_u32 v17, vcc_lo, v17, 4
	v_add_co_ci_u32_e32 v18, vcc_lo, 0, v18, vcc_lo
	v_add_co_u32 v19, vcc_lo, v19, 4
	v_add_co_ci_u32_e32 v20, vcc_lo, 0, v20, vcc_lo
	s_add_u32 s6, s22, -1
	s_addc_u32 s7, s23, -1
	s_mov_b64 s[18:19], 0
	s_mov_b32 s30, 0
                                        ; implicit-def: $sgpr31
	s_set_inst_prefetch_distance 0x1
	s_branch .LBB935_127
	.p2align	6
.LBB935_125:                            ;   in Loop: Header=BB935_127 Depth=1
	global_load_b32 v21, v[19:20], off
	global_load_b32 v22, v[17:18], off
	v_add_co_u32 v17, vcc_lo, v17, 4
	v_add_co_ci_u32_e32 v18, vcc_lo, 0, v18, vcc_lo
	v_add_co_u32 v19, s2, v19, 4
	s_delay_alu instid0(VALU_DEP_1)
	v_add_co_ci_u32_e64 v20, s2, 0, v20, s2
	s_add_u32 s18, s18, 1
	s_addc_u32 s19, s19, 0
	s_and_not1_b32 s2, s31, exec_lo
	s_waitcnt vmcnt(0)
	v_cmp_neq_f32_e32 vcc_lo, v21, v22
	s_and_b32 s31, vcc_lo, exec_lo
	s_delay_alu instid0(SALU_CYCLE_1)
	s_or_b32 s31, s2, s31
.LBB935_126:                            ;   in Loop: Header=BB935_127 Depth=1
	v_dual_mov_b32 v22, s19 :: v_dual_mov_b32 v21, s18
	s_and_b32 s2, exec_lo, s31
	s_delay_alu instid0(SALU_CYCLE_1) | instskip(NEXT) | instid1(SALU_CYCLE_1)
	s_or_b32 s30, s2, s30
	s_and_not1_b32 exec_lo, exec_lo, s30
	s_cbranch_execz .LBB935_129
.LBB935_127:                            ; =>This Inner Loop Header: Depth=1
	s_or_b32 s31, s31, exec_lo
	s_cmp_eq_u64 s[6:7], s[18:19]
	s_cbranch_scc0 .LBB935_125
; %bb.128:                              ;   in Loop: Header=BB935_127 Depth=1
	s_mov_b64 s[18:19], s[22:23]
                                        ; implicit-def: $vgpr17_vgpr18
                                        ; implicit-def: $vgpr19_vgpr20
	s_branch .LBB935_126
.LBB935_129:
	s_set_inst_prefetch_distance 0x2
	s_or_b32 exec_lo, exec_lo, s30
	v_cmp_gt_i64_e32 vcc_lo, s[22:23], v[21:22]
	s_or_not1_b32 s2, vcc_lo, exec_lo
.LBB935_130:
	s_or_b32 exec_lo, exec_lo, s26
.LBB935_131:
	s_delay_alu instid0(SALU_CYCLE_1)
	s_and_b32 s26, s2, exec_lo
.LBB935_132:
	s_or_b32 exec_lo, exec_lo, s29
	v_or_b32_e32 v17, 4, v39
	s_mov_b32 s29, exec_lo
	s_delay_alu instid0(VALU_DEP_1)
	v_cmpx_gt_u32_e64 s20, v17
	s_cbranch_execz .LBB935_143
; %bb.133:
	v_cmp_ne_u32_e32 vcc_lo, 1, v25
	s_mov_b32 s2, 0
	s_cbranch_vccnz .LBB935_142
; %bb.134:
	v_mul_lo_u32 v21, v12, s22
	v_mul_lo_u32 v22, v11, s23
	v_mad_u64_u32 v[17:18], null, v11, s22, 0
	v_mul_lo_u32 v23, v6, s22
	v_mul_lo_u32 v24, v5, s23
	s_waitcnt lgkmcnt(0)
	v_mad_u64_u32 v[19:20], null, v5, s22, 0
	s_mov_b32 s2, -1
	s_mov_b32 s28, exec_lo
	s_delay_alu instid0(VALU_DEP_4) | instskip(NEXT) | instid1(VALU_DEP_2)
	v_add3_u32 v18, v18, v22, v21
	v_add3_u32 v20, v20, v24, v23
	s_delay_alu instid0(VALU_DEP_2) | instskip(NEXT) | instid1(VALU_DEP_2)
	v_lshlrev_b64 v[17:18], 2, v[17:18]
	v_lshlrev_b64 v[21:22], 2, v[19:20]
	s_delay_alu instid0(VALU_DEP_2) | instskip(NEXT) | instid1(VALU_DEP_3)
	v_add_co_u32 v19, vcc_lo, s8, v17
	v_add_co_ci_u32_e32 v20, vcc_lo, s9, v18, vcc_lo
	s_delay_alu instid0(VALU_DEP_3) | instskip(NEXT) | instid1(VALU_DEP_4)
	v_add_co_u32 v17, vcc_lo, s8, v21
	v_add_co_ci_u32_e32 v18, vcc_lo, s9, v22, vcc_lo
	s_clause 0x1
	global_load_b32 v21, v[19:20], off
	global_load_b32 v22, v[17:18], off
	s_waitcnt vmcnt(0)
	v_cmpx_eq_f32_e32 v21, v22
	s_cbranch_execz .LBB935_141
; %bb.135:
	v_add_co_u32 v17, vcc_lo, v17, 4
	v_add_co_ci_u32_e32 v18, vcc_lo, 0, v18, vcc_lo
	v_add_co_u32 v19, vcc_lo, v19, 4
	v_add_co_ci_u32_e32 v20, vcc_lo, 0, v20, vcc_lo
	s_add_u32 s6, s22, -1
	s_addc_u32 s7, s23, -1
	s_mov_b64 s[18:19], 0
	s_mov_b32 s30, 0
                                        ; implicit-def: $sgpr31
	s_set_inst_prefetch_distance 0x1
	s_branch .LBB935_138
	.p2align	6
.LBB935_136:                            ;   in Loop: Header=BB935_138 Depth=1
	global_load_b32 v21, v[19:20], off
	global_load_b32 v22, v[17:18], off
	v_add_co_u32 v17, vcc_lo, v17, 4
	v_add_co_ci_u32_e32 v18, vcc_lo, 0, v18, vcc_lo
	v_add_co_u32 v19, s2, v19, 4
	s_delay_alu instid0(VALU_DEP_1)
	v_add_co_ci_u32_e64 v20, s2, 0, v20, s2
	s_add_u32 s18, s18, 1
	s_addc_u32 s19, s19, 0
	s_and_not1_b32 s2, s31, exec_lo
	s_waitcnt vmcnt(0)
	v_cmp_neq_f32_e32 vcc_lo, v21, v22
	s_and_b32 s31, vcc_lo, exec_lo
	s_delay_alu instid0(SALU_CYCLE_1)
	s_or_b32 s31, s2, s31
.LBB935_137:                            ;   in Loop: Header=BB935_138 Depth=1
	v_dual_mov_b32 v22, s19 :: v_dual_mov_b32 v21, s18
	s_and_b32 s2, exec_lo, s31
	s_delay_alu instid0(SALU_CYCLE_1) | instskip(NEXT) | instid1(SALU_CYCLE_1)
	s_or_b32 s30, s2, s30
	s_and_not1_b32 exec_lo, exec_lo, s30
	s_cbranch_execz .LBB935_140
.LBB935_138:                            ; =>This Inner Loop Header: Depth=1
	s_or_b32 s31, s31, exec_lo
	s_cmp_eq_u64 s[6:7], s[18:19]
	s_cbranch_scc0 .LBB935_136
; %bb.139:                              ;   in Loop: Header=BB935_138 Depth=1
	s_mov_b64 s[18:19], s[22:23]
                                        ; implicit-def: $vgpr17_vgpr18
                                        ; implicit-def: $vgpr19_vgpr20
	s_branch .LBB935_137
.LBB935_140:
	s_set_inst_prefetch_distance 0x2
	s_or_b32 exec_lo, exec_lo, s30
	v_cmp_gt_i64_e32 vcc_lo, s[22:23], v[21:22]
	s_or_not1_b32 s2, vcc_lo, exec_lo
.LBB935_141:
	s_or_b32 exec_lo, exec_lo, s28
.LBB935_142:
	s_delay_alu instid0(SALU_CYCLE_1)
	s_and_b32 s28, s2, exec_lo
.LBB935_143:
	s_or_b32 exec_lo, exec_lo, s29
	v_or_b32_e32 v17, 3, v39
	s_mov_b32 s30, 0
	s_mov_b32 s29, 0
	s_mov_b32 s31, exec_lo
	s_delay_alu instid0(VALU_DEP_1)
	v_cmpx_gt_u32_e64 s20, v17
	s_cbranch_execz .LBB935_154
; %bb.144:
	v_cmp_ne_u32_e32 vcc_lo, 1, v25
	s_mov_b32 s2, 0
	s_cbranch_vccnz .LBB935_153
; %bb.145:
	v_mul_lo_u32 v21, v10, s22
	v_mul_lo_u32 v22, v9, s23
	v_mad_u64_u32 v[17:18], null, v9, s22, 0
	v_mul_lo_u32 v23, v12, s22
	v_mul_lo_u32 v24, v11, s23
	s_waitcnt lgkmcnt(0)
	v_mad_u64_u32 v[19:20], null, v11, s22, 0
	s_mov_b32 s2, -1
	s_mov_b32 s29, exec_lo
	s_delay_alu instid0(VALU_DEP_4) | instskip(NEXT) | instid1(VALU_DEP_2)
	v_add3_u32 v18, v18, v22, v21
	v_add3_u32 v20, v20, v24, v23
	s_delay_alu instid0(VALU_DEP_2) | instskip(NEXT) | instid1(VALU_DEP_2)
	v_lshlrev_b64 v[17:18], 2, v[17:18]
	v_lshlrev_b64 v[21:22], 2, v[19:20]
	s_delay_alu instid0(VALU_DEP_2) | instskip(NEXT) | instid1(VALU_DEP_3)
	v_add_co_u32 v19, vcc_lo, s8, v17
	v_add_co_ci_u32_e32 v20, vcc_lo, s9, v18, vcc_lo
	s_delay_alu instid0(VALU_DEP_3) | instskip(NEXT) | instid1(VALU_DEP_4)
	v_add_co_u32 v17, vcc_lo, s8, v21
	v_add_co_ci_u32_e32 v18, vcc_lo, s9, v22, vcc_lo
	s_clause 0x1
	global_load_b32 v21, v[19:20], off
	global_load_b32 v22, v[17:18], off
	s_waitcnt vmcnt(0)
	v_cmpx_eq_f32_e32 v21, v22
	s_cbranch_execz .LBB935_152
; %bb.146:
	v_add_co_u32 v17, vcc_lo, v17, 4
	v_add_co_ci_u32_e32 v18, vcc_lo, 0, v18, vcc_lo
	v_add_co_u32 v19, vcc_lo, v19, 4
	v_add_co_ci_u32_e32 v20, vcc_lo, 0, v20, vcc_lo
	s_add_u32 s6, s22, -1
	s_addc_u32 s7, s23, -1
	s_mov_b64 s[18:19], 0
	s_mov_b32 s33, 0
                                        ; implicit-def: $sgpr34
	s_set_inst_prefetch_distance 0x1
	s_branch .LBB935_149
	.p2align	6
.LBB935_147:                            ;   in Loop: Header=BB935_149 Depth=1
	global_load_b32 v21, v[19:20], off
	global_load_b32 v22, v[17:18], off
	v_add_co_u32 v17, vcc_lo, v17, 4
	v_add_co_ci_u32_e32 v18, vcc_lo, 0, v18, vcc_lo
	v_add_co_u32 v19, s2, v19, 4
	s_delay_alu instid0(VALU_DEP_1)
	v_add_co_ci_u32_e64 v20, s2, 0, v20, s2
	s_add_u32 s18, s18, 1
	s_addc_u32 s19, s19, 0
	s_and_not1_b32 s2, s34, exec_lo
	s_waitcnt vmcnt(0)
	v_cmp_neq_f32_e32 vcc_lo, v21, v22
	s_and_b32 s34, vcc_lo, exec_lo
	s_delay_alu instid0(SALU_CYCLE_1)
	s_or_b32 s34, s2, s34
.LBB935_148:                            ;   in Loop: Header=BB935_149 Depth=1
	v_dual_mov_b32 v22, s19 :: v_dual_mov_b32 v21, s18
	s_and_b32 s2, exec_lo, s34
	s_delay_alu instid0(SALU_CYCLE_1) | instskip(NEXT) | instid1(SALU_CYCLE_1)
	s_or_b32 s33, s2, s33
	s_and_not1_b32 exec_lo, exec_lo, s33
	s_cbranch_execz .LBB935_151
.LBB935_149:                            ; =>This Inner Loop Header: Depth=1
	s_or_b32 s34, s34, exec_lo
	s_cmp_eq_u64 s[6:7], s[18:19]
	s_cbranch_scc0 .LBB935_147
; %bb.150:                              ;   in Loop: Header=BB935_149 Depth=1
	s_mov_b64 s[18:19], s[22:23]
                                        ; implicit-def: $vgpr17_vgpr18
                                        ; implicit-def: $vgpr19_vgpr20
	s_branch .LBB935_148
.LBB935_151:
	s_set_inst_prefetch_distance 0x2
	s_or_b32 exec_lo, exec_lo, s33
	v_cmp_gt_i64_e32 vcc_lo, s[22:23], v[21:22]
	s_or_not1_b32 s2, vcc_lo, exec_lo
.LBB935_152:
	s_or_b32 exec_lo, exec_lo, s29
.LBB935_153:
	s_delay_alu instid0(SALU_CYCLE_1)
	s_and_b32 s29, s2, exec_lo
.LBB935_154:
	s_or_b32 exec_lo, exec_lo, s31
	v_or_b32_e32 v17, 2, v39
	s_mov_b32 s31, exec_lo
	s_delay_alu instid0(VALU_DEP_1)
	v_cmpx_gt_u32_e64 s20, v17
	s_cbranch_execz .LBB935_165
; %bb.155:
	v_cmp_ne_u32_e32 vcc_lo, 1, v25
	s_mov_b32 s2, 0
	s_cbranch_vccnz .LBB935_164
; %bb.156:
	v_mul_lo_u32 v21, v16, s22
	v_mul_lo_u32 v22, v15, s23
	v_mad_u64_u32 v[17:18], null, v15, s22, 0
	v_mul_lo_u32 v23, v10, s22
	v_mul_lo_u32 v24, v9, s23
	s_waitcnt lgkmcnt(0)
	v_mad_u64_u32 v[19:20], null, v9, s22, 0
	s_mov_b32 s2, -1
	s_mov_b32 s30, exec_lo
	s_delay_alu instid0(VALU_DEP_4) | instskip(NEXT) | instid1(VALU_DEP_2)
	v_add3_u32 v18, v18, v22, v21
	v_add3_u32 v20, v20, v24, v23
	s_delay_alu instid0(VALU_DEP_2) | instskip(NEXT) | instid1(VALU_DEP_2)
	v_lshlrev_b64 v[17:18], 2, v[17:18]
	v_lshlrev_b64 v[21:22], 2, v[19:20]
	s_delay_alu instid0(VALU_DEP_2) | instskip(NEXT) | instid1(VALU_DEP_3)
	v_add_co_u32 v19, vcc_lo, s8, v17
	v_add_co_ci_u32_e32 v20, vcc_lo, s9, v18, vcc_lo
	s_delay_alu instid0(VALU_DEP_3) | instskip(NEXT) | instid1(VALU_DEP_4)
	v_add_co_u32 v17, vcc_lo, s8, v21
	v_add_co_ci_u32_e32 v18, vcc_lo, s9, v22, vcc_lo
	s_clause 0x1
	global_load_b32 v21, v[19:20], off
	global_load_b32 v22, v[17:18], off
	s_waitcnt vmcnt(0)
	v_cmpx_eq_f32_e32 v21, v22
	s_cbranch_execz .LBB935_163
; %bb.157:
	v_add_co_u32 v17, vcc_lo, v17, 4
	v_add_co_ci_u32_e32 v18, vcc_lo, 0, v18, vcc_lo
	v_add_co_u32 v19, vcc_lo, v19, 4
	v_add_co_ci_u32_e32 v20, vcc_lo, 0, v20, vcc_lo
	s_add_u32 s6, s22, -1
	s_addc_u32 s7, s23, -1
	s_mov_b64 s[18:19], 0
	s_mov_b32 s33, 0
                                        ; implicit-def: $sgpr34
	s_set_inst_prefetch_distance 0x1
	s_branch .LBB935_160
	.p2align	6
.LBB935_158:                            ;   in Loop: Header=BB935_160 Depth=1
	global_load_b32 v21, v[19:20], off
	global_load_b32 v22, v[17:18], off
	v_add_co_u32 v17, vcc_lo, v17, 4
	v_add_co_ci_u32_e32 v18, vcc_lo, 0, v18, vcc_lo
	v_add_co_u32 v19, s2, v19, 4
	s_delay_alu instid0(VALU_DEP_1)
	v_add_co_ci_u32_e64 v20, s2, 0, v20, s2
	s_add_u32 s18, s18, 1
	s_addc_u32 s19, s19, 0
	s_and_not1_b32 s2, s34, exec_lo
	s_waitcnt vmcnt(0)
	v_cmp_neq_f32_e32 vcc_lo, v21, v22
	s_and_b32 s34, vcc_lo, exec_lo
	s_delay_alu instid0(SALU_CYCLE_1)
	s_or_b32 s34, s2, s34
.LBB935_159:                            ;   in Loop: Header=BB935_160 Depth=1
	v_dual_mov_b32 v22, s19 :: v_dual_mov_b32 v21, s18
	s_and_b32 s2, exec_lo, s34
	s_delay_alu instid0(SALU_CYCLE_1) | instskip(NEXT) | instid1(SALU_CYCLE_1)
	s_or_b32 s33, s2, s33
	s_and_not1_b32 exec_lo, exec_lo, s33
	s_cbranch_execz .LBB935_162
.LBB935_160:                            ; =>This Inner Loop Header: Depth=1
	s_or_b32 s34, s34, exec_lo
	s_cmp_eq_u64 s[6:7], s[18:19]
	s_cbranch_scc0 .LBB935_158
; %bb.161:                              ;   in Loop: Header=BB935_160 Depth=1
	s_mov_b64 s[18:19], s[22:23]
                                        ; implicit-def: $vgpr17_vgpr18
                                        ; implicit-def: $vgpr19_vgpr20
	s_branch .LBB935_159
.LBB935_162:
	s_set_inst_prefetch_distance 0x2
	s_or_b32 exec_lo, exec_lo, s33
	v_cmp_gt_i64_e32 vcc_lo, s[22:23], v[21:22]
	s_or_not1_b32 s2, vcc_lo, exec_lo
.LBB935_163:
	s_or_b32 exec_lo, exec_lo, s30
.LBB935_164:
	s_delay_alu instid0(SALU_CYCLE_1)
	s_and_b32 s30, s2, exec_lo
.LBB935_165:
	s_or_b32 exec_lo, exec_lo, s31
	v_or_b32_e32 v17, 1, v39
	s_mov_b32 s2, 0
	s_mov_b32 s31, exec_lo
	s_delay_alu instid0(VALU_DEP_1)
	v_cmpx_gt_u32_e64 s20, v17
	s_cbranch_execz .LBB935_176
; %bb.166:
	v_cmp_ne_u32_e32 vcc_lo, 1, v25
	s_cbranch_vccnz .LBB935_175
; %bb.167:
	v_mul_lo_u32 v21, v14, s22
	v_mul_lo_u32 v22, v13, s23
	v_mad_u64_u32 v[17:18], null, v13, s22, 0
	v_mul_lo_u32 v23, v16, s22
	v_mul_lo_u32 v24, v15, s23
	s_waitcnt lgkmcnt(0)
	v_mad_u64_u32 v[19:20], null, v15, s22, 0
	s_mov_b32 s2, -1
	s_mov_b32 s33, exec_lo
	s_delay_alu instid0(VALU_DEP_4) | instskip(NEXT) | instid1(VALU_DEP_2)
	v_add3_u32 v18, v18, v22, v21
	v_add3_u32 v20, v20, v24, v23
	s_delay_alu instid0(VALU_DEP_2) | instskip(NEXT) | instid1(VALU_DEP_2)
	v_lshlrev_b64 v[17:18], 2, v[17:18]
	v_lshlrev_b64 v[21:22], 2, v[19:20]
	s_delay_alu instid0(VALU_DEP_2) | instskip(NEXT) | instid1(VALU_DEP_3)
	v_add_co_u32 v19, vcc_lo, s8, v17
	v_add_co_ci_u32_e32 v20, vcc_lo, s9, v18, vcc_lo
	s_delay_alu instid0(VALU_DEP_3) | instskip(NEXT) | instid1(VALU_DEP_4)
	v_add_co_u32 v17, vcc_lo, s8, v21
	v_add_co_ci_u32_e32 v18, vcc_lo, s9, v22, vcc_lo
	s_clause 0x1
	global_load_b32 v21, v[19:20], off
	global_load_b32 v22, v[17:18], off
	s_waitcnt vmcnt(0)
	v_cmpx_eq_f32_e32 v21, v22
	s_cbranch_execz .LBB935_174
; %bb.168:
	v_add_co_u32 v17, vcc_lo, v17, 4
	v_add_co_ci_u32_e32 v18, vcc_lo, 0, v18, vcc_lo
	v_add_co_u32 v19, vcc_lo, v19, 4
	v_add_co_ci_u32_e32 v20, vcc_lo, 0, v20, vcc_lo
	s_add_u32 s6, s22, -1
	s_addc_u32 s7, s23, -1
	s_mov_b64 s[18:19], 0
	s_mov_b32 s34, 0
                                        ; implicit-def: $sgpr35
	s_set_inst_prefetch_distance 0x1
	s_branch .LBB935_171
	.p2align	6
.LBB935_169:                            ;   in Loop: Header=BB935_171 Depth=1
	global_load_b32 v21, v[19:20], off
	global_load_b32 v22, v[17:18], off
	v_add_co_u32 v17, vcc_lo, v17, 4
	v_add_co_ci_u32_e32 v18, vcc_lo, 0, v18, vcc_lo
	v_add_co_u32 v19, s2, v19, 4
	s_delay_alu instid0(VALU_DEP_1)
	v_add_co_ci_u32_e64 v20, s2, 0, v20, s2
	s_add_u32 s18, s18, 1
	s_addc_u32 s19, s19, 0
	s_and_not1_b32 s2, s35, exec_lo
	s_waitcnt vmcnt(0)
	v_cmp_neq_f32_e32 vcc_lo, v21, v22
	s_and_b32 s35, vcc_lo, exec_lo
	s_delay_alu instid0(SALU_CYCLE_1)
	s_or_b32 s35, s2, s35
.LBB935_170:                            ;   in Loop: Header=BB935_171 Depth=1
	v_dual_mov_b32 v22, s19 :: v_dual_mov_b32 v21, s18
	s_and_b32 s2, exec_lo, s35
	s_delay_alu instid0(SALU_CYCLE_1) | instskip(NEXT) | instid1(SALU_CYCLE_1)
	s_or_b32 s34, s2, s34
	s_and_not1_b32 exec_lo, exec_lo, s34
	s_cbranch_execz .LBB935_173
.LBB935_171:                            ; =>This Inner Loop Header: Depth=1
	s_or_b32 s35, s35, exec_lo
	s_cmp_eq_u64 s[6:7], s[18:19]
	s_cbranch_scc0 .LBB935_169
; %bb.172:                              ;   in Loop: Header=BB935_171 Depth=1
	s_mov_b64 s[18:19], s[22:23]
                                        ; implicit-def: $vgpr17_vgpr18
                                        ; implicit-def: $vgpr19_vgpr20
	s_branch .LBB935_170
.LBB935_173:
	s_set_inst_prefetch_distance 0x2
	s_or_b32 exec_lo, exec_lo, s34
	v_cmp_gt_i64_e32 vcc_lo, s[22:23], v[21:22]
	s_or_not1_b32 s2, vcc_lo, exec_lo
.LBB935_174:
	s_or_b32 exec_lo, exec_lo, s33
.LBB935_175:
	s_delay_alu instid0(SALU_CYCLE_1)
	s_and_b32 s2, s2, exec_lo
.LBB935_176:
	s_or_b32 exec_lo, exec_lo, s31
	s_waitcnt lgkmcnt(0)
	v_dual_mov_b32 v18, s5 :: v_dual_mov_b32 v17, s4
	s_mov_b32 s4, exec_lo
	s_barrier
	buffer_gl0_inv
	v_cmpx_ne_u32_e32 0, v0
	s_cbranch_execz .LBB935_178
; %bb.177:
	v_add_nc_u32_e32 v17, -8, v39
	ds_load_b64 v[17:18], v17
.LBB935_178:
	s_or_b32 exec_lo, exec_lo, s4
	v_cndmask_b32_e64 v20, 0, 1, s29
	v_cndmask_b32_e64 v22, 0, 1, s26
	;; [unrolled: 1-line block ×7, first 2 shown]
	v_lshlrev_b16 v20, 8, v20
	v_lshlrev_b16 v22, 8, v22
	;; [unrolled: 1-line block ×3, first 2 shown]
	s_mov_b32 s2, 0
	v_lshlrev_b16 v26, 8, v26
	v_or_b32_e32 v19, v19, v20
	v_or_b32_e32 v20, v21, v22
	;; [unrolled: 1-line block ×3, first 2 shown]
	s_mov_b32 s3, exec_lo
	v_and_b32_e32 v23, 0xffff, v26
	v_lshlrev_b32_e32 v24, 16, v19
	v_and_b32_e32 v26, 0xffff, v20
	v_lshlrev_b32_e32 v27, 16, v21
	v_cmpx_gt_u32_e64 s20, v39
	s_cbranch_execz .LBB935_189
; %bb.179:
	v_cmp_ne_u32_e32 vcc_lo, 1, v25
	s_cbranch_vccnz .LBB935_188
; %bb.180:
	s_waitcnt lgkmcnt(0)
	v_mul_lo_u32 v22, v18, s22
	v_mul_lo_u32 v25, v17, s23
	v_mad_u64_u32 v[18:19], null, v17, s22, 0
	v_mul_lo_u32 v17, v14, s22
	v_mul_lo_u32 v28, v13, s23
	v_mad_u64_u32 v[20:21], null, v13, s22, 0
	s_mov_b32 s2, -1
	s_mov_b32 s18, exec_lo
	s_delay_alu instid0(VALU_DEP_4) | instskip(NEXT) | instid1(VALU_DEP_2)
	v_add3_u32 v19, v19, v25, v22
	v_add3_u32 v21, v21, v28, v17
	s_delay_alu instid0(VALU_DEP_2) | instskip(NEXT) | instid1(VALU_DEP_2)
	v_lshlrev_b64 v[17:18], 2, v[18:19]
	v_lshlrev_b64 v[21:22], 2, v[20:21]
	s_delay_alu instid0(VALU_DEP_2) | instskip(NEXT) | instid1(VALU_DEP_3)
	v_add_co_u32 v19, vcc_lo, s8, v17
	v_add_co_ci_u32_e32 v20, vcc_lo, s9, v18, vcc_lo
	s_delay_alu instid0(VALU_DEP_3) | instskip(NEXT) | instid1(VALU_DEP_4)
	v_add_co_u32 v17, vcc_lo, s8, v21
	v_add_co_ci_u32_e32 v18, vcc_lo, s9, v22, vcc_lo
	s_clause 0x1
	global_load_b32 v21, v[19:20], off
	global_load_b32 v22, v[17:18], off
	s_waitcnt vmcnt(0)
	v_cmpx_eq_f32_e32 v21, v22
	s_cbranch_execz .LBB935_187
; %bb.181:
	v_add_co_u32 v17, vcc_lo, v17, 4
	v_add_co_ci_u32_e32 v18, vcc_lo, 0, v18, vcc_lo
	v_add_co_u32 v19, vcc_lo, v19, 4
	v_add_co_ci_u32_e32 v20, vcc_lo, 0, v20, vcc_lo
	s_add_u32 s4, s22, -1
	s_addc_u32 s5, s23, -1
	s_mov_b64 s[6:7], 0
	s_mov_b32 s19, 0
                                        ; implicit-def: $sgpr26
	s_set_inst_prefetch_distance 0x1
	s_branch .LBB935_184
	.p2align	6
.LBB935_182:                            ;   in Loop: Header=BB935_184 Depth=1
	global_load_b32 v21, v[19:20], off
	global_load_b32 v22, v[17:18], off
	v_add_co_u32 v17, vcc_lo, v17, 4
	v_add_co_ci_u32_e32 v18, vcc_lo, 0, v18, vcc_lo
	v_add_co_u32 v19, s2, v19, 4
	s_delay_alu instid0(VALU_DEP_1)
	v_add_co_ci_u32_e64 v20, s2, 0, v20, s2
	s_add_u32 s6, s6, 1
	s_addc_u32 s7, s7, 0
	s_and_not1_b32 s2, s26, exec_lo
	s_waitcnt vmcnt(0)
	v_cmp_neq_f32_e32 vcc_lo, v21, v22
	s_and_b32 s26, vcc_lo, exec_lo
	s_delay_alu instid0(SALU_CYCLE_1)
	s_or_b32 s26, s2, s26
.LBB935_183:                            ;   in Loop: Header=BB935_184 Depth=1
	v_dual_mov_b32 v22, s7 :: v_dual_mov_b32 v21, s6
	s_and_b32 s2, exec_lo, s26
	s_delay_alu instid0(SALU_CYCLE_1) | instskip(NEXT) | instid1(SALU_CYCLE_1)
	s_or_b32 s19, s2, s19
	s_and_not1_b32 exec_lo, exec_lo, s19
	s_cbranch_execz .LBB935_186
.LBB935_184:                            ; =>This Inner Loop Header: Depth=1
	s_or_b32 s26, s26, exec_lo
	s_cmp_eq_u64 s[4:5], s[6:7]
	s_cbranch_scc0 .LBB935_182
; %bb.185:                              ;   in Loop: Header=BB935_184 Depth=1
	s_mov_b64 s[6:7], s[22:23]
                                        ; implicit-def: $vgpr17_vgpr18
                                        ; implicit-def: $vgpr19_vgpr20
	s_branch .LBB935_183
.LBB935_186:
	s_set_inst_prefetch_distance 0x2
	s_or_b32 exec_lo, exec_lo, s19
	v_cmp_gt_i64_e32 vcc_lo, s[22:23], v[21:22]
	s_or_not1_b32 s2, vcc_lo, exec_lo
.LBB935_187:
	s_or_b32 exec_lo, exec_lo, s18
.LBB935_188:
	s_delay_alu instid0(SALU_CYCLE_1)
	s_and_b32 s2, s2, exec_lo
.LBB935_189:
	s_or_b32 exec_lo, exec_lo, s3
	s_waitcnt lgkmcnt(0)
	v_or_b32_e32 v17, v23, v24
	v_or_b32_e32 v18, v26, v27
.LBB935_190:
	s_mov_b32 s18, -1
	s_cbranch_execnz .LBB935_359
.LBB935_191:
	v_cmp_gt_i64_e64 s3, s[22:23], 0
	s_and_b32 vcc_lo, exec_lo, s21
	ds_store_b64 v39, v[3:4]
	s_cbranch_vccz .LBB935_199
; %bb.192:
	s_waitcnt lgkmcnt(0)
	v_mul_lo_u32 v19, v2, s22
	v_mul_lo_u32 v20, v1, s23
	v_mad_u64_u32 v[17:18], null, v1, s22, 0
	s_mov_b32 s19, 0
	s_and_not1_b32 vcc_lo, exec_lo, s3
	s_mov_b32 s26, 0
	s_delay_alu instid0(VALU_DEP_1) | instskip(NEXT) | instid1(VALU_DEP_1)
	v_add3_u32 v18, v18, v20, v19
	v_lshlrev_b64 v[17:18], 2, v[17:18]
	s_cbranch_vccnz .LBB935_202
; %bb.193:
	v_mul_lo_u32 v21, v4, s22
	v_mul_lo_u32 v22, v3, s23
	v_mad_u64_u32 v[19:20], null, v3, s22, 0
	s_mov_b32 s26, -1
	s_mov_b32 s27, exec_lo
	s_delay_alu instid0(VALU_DEP_1) | instskip(SKIP_2) | instid1(VALU_DEP_3)
	v_add3_u32 v20, v20, v22, v21
	v_add_co_u32 v21, vcc_lo, s8, v17
	v_add_co_ci_u32_e32 v22, vcc_lo, s9, v18, vcc_lo
	v_lshlrev_b64 v[19:20], 2, v[19:20]
	s_delay_alu instid0(VALU_DEP_1) | instskip(NEXT) | instid1(VALU_DEP_2)
	v_add_co_u32 v19, vcc_lo, s8, v19
	v_add_co_ci_u32_e32 v20, vcc_lo, s9, v20, vcc_lo
	s_clause 0x1
	global_load_b32 v23, v[21:22], off
	global_load_b32 v24, v[19:20], off
	s_waitcnt vmcnt(0)
	v_cmpx_eq_f32_e32 v23, v24
	s_cbranch_execz .LBB935_201
; %bb.194:
	v_add_co_u32 v19, vcc_lo, v19, 4
	v_add_co_ci_u32_e32 v20, vcc_lo, 0, v20, vcc_lo
	v_add_co_u32 v21, vcc_lo, v21, 4
	v_add_co_ci_u32_e32 v22, vcc_lo, 0, v22, vcc_lo
	s_add_u32 s4, s22, -1
	s_addc_u32 s5, s23, -1
	s_mov_b64 s[6:7], 0
	s_mov_b32 s26, 0
                                        ; implicit-def: $sgpr28
	s_set_inst_prefetch_distance 0x1
	s_branch .LBB935_197
	.p2align	6
.LBB935_195:                            ;   in Loop: Header=BB935_197 Depth=1
	global_load_b32 v23, v[21:22], off
	global_load_b32 v24, v[19:20], off
	v_add_co_u32 v19, vcc_lo, v19, 4
	v_add_co_ci_u32_e32 v20, vcc_lo, 0, v20, vcc_lo
	v_add_co_u32 v21, s2, v21, 4
	s_delay_alu instid0(VALU_DEP_1)
	v_add_co_ci_u32_e64 v22, s2, 0, v22, s2
	s_add_u32 s6, s6, 1
	s_addc_u32 s7, s7, 0
	s_and_not1_b32 s2, s28, exec_lo
	s_waitcnt vmcnt(0)
	v_cmp_neq_f32_e32 vcc_lo, v23, v24
	s_and_b32 s28, vcc_lo, exec_lo
	s_delay_alu instid0(SALU_CYCLE_1)
	s_or_b32 s28, s2, s28
.LBB935_196:                            ;   in Loop: Header=BB935_197 Depth=1
	v_dual_mov_b32 v24, s7 :: v_dual_mov_b32 v23, s6
	s_and_b32 s2, exec_lo, s28
	s_delay_alu instid0(SALU_CYCLE_1) | instskip(NEXT) | instid1(SALU_CYCLE_1)
	s_or_b32 s26, s2, s26
	s_and_not1_b32 exec_lo, exec_lo, s26
	s_cbranch_execz .LBB935_200
.LBB935_197:                            ; =>This Inner Loop Header: Depth=1
	s_or_b32 s28, s28, exec_lo
	s_cmp_eq_u64 s[4:5], s[6:7]
	s_cbranch_scc0 .LBB935_195
; %bb.198:                              ;   in Loop: Header=BB935_197 Depth=1
	s_mov_b64 s[6:7], s[22:23]
                                        ; implicit-def: $vgpr19_vgpr20
                                        ; implicit-def: $vgpr21_vgpr22
	s_branch .LBB935_196
.LBB935_199:
	s_waitcnt lgkmcnt(0)
                                        ; implicit-def: $sgpr2
                                        ; implicit-def: $vgpr18
	s_cbranch_execnz .LBB935_268
	s_branch .LBB935_359
.LBB935_200:
	s_set_inst_prefetch_distance 0x2
	s_or_b32 exec_lo, exec_lo, s26
	v_cmp_gt_i64_e32 vcc_lo, s[22:23], v[23:24]
	s_or_not1_b32 s26, vcc_lo, exec_lo
.LBB935_201:
	s_or_b32 exec_lo, exec_lo, s27
.LBB935_202:
	v_mul_lo_u32 v21, v8, s22
	v_mul_lo_u32 v22, v7, s23
	v_mad_u64_u32 v[19:20], null, v7, s22, 0
	s_and_not1_b32 vcc_lo, exec_lo, s3
	s_delay_alu instid0(VALU_DEP_1) | instskip(NEXT) | instid1(VALU_DEP_1)
	v_add3_u32 v20, v20, v22, v21
	v_lshlrev_b64 v[19:20], 2, v[19:20]
	s_cbranch_vccnz .LBB935_211
; %bb.203:
	s_delay_alu instid0(VALU_DEP_1) | instskip(NEXT) | instid1(VALU_DEP_2)
	v_add_co_u32 v21, vcc_lo, s8, v19
	v_add_co_ci_u32_e32 v22, vcc_lo, s9, v20, vcc_lo
	v_add_co_u32 v17, vcc_lo, s8, v17
	v_add_co_ci_u32_e32 v18, vcc_lo, s9, v18, vcc_lo
	s_mov_b32 s19, -1
	s_clause 0x1
	global_load_b32 v23, v[21:22], off
	global_load_b32 v24, v[17:18], off
	s_mov_b32 s27, exec_lo
	s_waitcnt vmcnt(0)
	v_cmpx_eq_f32_e32 v23, v24
	s_cbranch_execz .LBB935_210
; %bb.204:
	v_add_co_u32 v17, vcc_lo, v17, 4
	v_add_co_ci_u32_e32 v18, vcc_lo, 0, v18, vcc_lo
	v_add_co_u32 v21, vcc_lo, v21, 4
	v_add_co_ci_u32_e32 v22, vcc_lo, 0, v22, vcc_lo
	s_add_u32 s4, s22, -1
	s_addc_u32 s5, s23, -1
	s_mov_b64 s[6:7], 0
	s_mov_b32 s19, 0
                                        ; implicit-def: $sgpr28
	s_set_inst_prefetch_distance 0x1
	s_branch .LBB935_207
	.p2align	6
.LBB935_205:                            ;   in Loop: Header=BB935_207 Depth=1
	global_load_b32 v23, v[21:22], off
	global_load_b32 v24, v[17:18], off
	v_add_co_u32 v17, vcc_lo, v17, 4
	v_add_co_ci_u32_e32 v18, vcc_lo, 0, v18, vcc_lo
	v_add_co_u32 v21, s2, v21, 4
	s_delay_alu instid0(VALU_DEP_1)
	v_add_co_ci_u32_e64 v22, s2, 0, v22, s2
	s_add_u32 s6, s6, 1
	s_addc_u32 s7, s7, 0
	s_and_not1_b32 s2, s28, exec_lo
	s_waitcnt vmcnt(0)
	v_cmp_neq_f32_e32 vcc_lo, v23, v24
	s_and_b32 s28, vcc_lo, exec_lo
	s_delay_alu instid0(SALU_CYCLE_1)
	s_or_b32 s28, s2, s28
.LBB935_206:                            ;   in Loop: Header=BB935_207 Depth=1
	v_dual_mov_b32 v24, s7 :: v_dual_mov_b32 v23, s6
	s_and_b32 s2, exec_lo, s28
	s_delay_alu instid0(SALU_CYCLE_1) | instskip(NEXT) | instid1(SALU_CYCLE_1)
	s_or_b32 s19, s2, s19
	s_and_not1_b32 exec_lo, exec_lo, s19
	s_cbranch_execz .LBB935_209
.LBB935_207:                            ; =>This Inner Loop Header: Depth=1
	s_or_b32 s28, s28, exec_lo
	s_cmp_eq_u64 s[4:5], s[6:7]
	s_cbranch_scc0 .LBB935_205
; %bb.208:                              ;   in Loop: Header=BB935_207 Depth=1
	s_mov_b64 s[6:7], s[22:23]
                                        ; implicit-def: $vgpr17_vgpr18
                                        ; implicit-def: $vgpr21_vgpr22
	s_branch .LBB935_206
.LBB935_209:
	s_set_inst_prefetch_distance 0x2
	s_or_b32 exec_lo, exec_lo, s19
	v_cmp_gt_i64_e32 vcc_lo, s[22:23], v[23:24]
	s_or_not1_b32 s19, vcc_lo, exec_lo
.LBB935_210:
	s_or_b32 exec_lo, exec_lo, s27
.LBB935_211:
	v_mul_lo_u32 v21, v6, s22
	v_mul_lo_u32 v22, v5, s23
	v_mad_u64_u32 v[17:18], null, v5, s22, 0
	s_mov_b32 s27, 0
	s_and_not1_b32 vcc_lo, exec_lo, s3
	s_mov_b32 s28, 0
	s_delay_alu instid0(VALU_DEP_1) | instskip(NEXT) | instid1(VALU_DEP_1)
	v_add3_u32 v18, v18, v22, v21
	v_lshlrev_b64 v[21:22], 2, v[17:18]
	s_cbranch_vccnz .LBB935_220
; %bb.212:
	s_delay_alu instid0(VALU_DEP_1) | instskip(NEXT) | instid1(VALU_DEP_2)
	v_add_co_u32 v23, vcc_lo, s8, v21
	v_add_co_ci_u32_e32 v24, vcc_lo, s9, v22, vcc_lo
	v_add_co_u32 v17, vcc_lo, s8, v19
	v_add_co_ci_u32_e32 v18, vcc_lo, s9, v20, vcc_lo
	s_mov_b32 s28, -1
	s_clause 0x1
	global_load_b32 v19, v[23:24], off
	global_load_b32 v20, v[17:18], off
	s_mov_b32 s29, exec_lo
	s_waitcnt vmcnt(0)
	v_cmpx_eq_f32_e32 v19, v20
	s_cbranch_execz .LBB935_219
; %bb.213:
	v_add_co_u32 v17, vcc_lo, v17, 4
	v_add_co_ci_u32_e32 v18, vcc_lo, 0, v18, vcc_lo
	v_add_co_u32 v19, vcc_lo, v23, 4
	v_add_co_ci_u32_e32 v20, vcc_lo, 0, v24, vcc_lo
	s_add_u32 s4, s22, -1
	s_addc_u32 s5, s23, -1
	s_mov_b64 s[6:7], 0
	s_mov_b32 s28, 0
                                        ; implicit-def: $sgpr30
	s_set_inst_prefetch_distance 0x1
	s_branch .LBB935_216
	.p2align	6
.LBB935_214:                            ;   in Loop: Header=BB935_216 Depth=1
	global_load_b32 v23, v[19:20], off
	global_load_b32 v24, v[17:18], off
	v_add_co_u32 v17, vcc_lo, v17, 4
	v_add_co_ci_u32_e32 v18, vcc_lo, 0, v18, vcc_lo
	v_add_co_u32 v19, s2, v19, 4
	s_delay_alu instid0(VALU_DEP_1)
	v_add_co_ci_u32_e64 v20, s2, 0, v20, s2
	s_add_u32 s6, s6, 1
	s_addc_u32 s7, s7, 0
	s_and_not1_b32 s2, s30, exec_lo
	s_waitcnt vmcnt(0)
	v_cmp_neq_f32_e32 vcc_lo, v23, v24
	s_and_b32 s30, vcc_lo, exec_lo
	s_delay_alu instid0(SALU_CYCLE_1)
	s_or_b32 s30, s2, s30
.LBB935_215:                            ;   in Loop: Header=BB935_216 Depth=1
	v_dual_mov_b32 v24, s7 :: v_dual_mov_b32 v23, s6
	s_and_b32 s2, exec_lo, s30
	s_delay_alu instid0(SALU_CYCLE_1) | instskip(NEXT) | instid1(SALU_CYCLE_1)
	s_or_b32 s28, s2, s28
	s_and_not1_b32 exec_lo, exec_lo, s28
	s_cbranch_execz .LBB935_218
.LBB935_216:                            ; =>This Inner Loop Header: Depth=1
	s_or_b32 s30, s30, exec_lo
	s_cmp_eq_u64 s[4:5], s[6:7]
	s_cbranch_scc0 .LBB935_214
; %bb.217:                              ;   in Loop: Header=BB935_216 Depth=1
	s_mov_b64 s[6:7], s[22:23]
                                        ; implicit-def: $vgpr17_vgpr18
                                        ; implicit-def: $vgpr19_vgpr20
	s_branch .LBB935_215
.LBB935_218:
	s_set_inst_prefetch_distance 0x2
	s_or_b32 exec_lo, exec_lo, s28
	v_cmp_gt_i64_e32 vcc_lo, s[22:23], v[23:24]
	s_or_not1_b32 s28, vcc_lo, exec_lo
.LBB935_219:
	s_or_b32 exec_lo, exec_lo, s29
.LBB935_220:
	v_mul_lo_u32 v19, v12, s22
	v_mul_lo_u32 v20, v11, s23
	v_mad_u64_u32 v[17:18], null, v11, s22, 0
	s_and_not1_b32 vcc_lo, exec_lo, s3
	s_delay_alu instid0(VALU_DEP_1) | instskip(NEXT) | instid1(VALU_DEP_1)
	v_add3_u32 v18, v18, v20, v19
	v_lshlrev_b64 v[17:18], 2, v[17:18]
	s_cbranch_vccnz .LBB935_229
; %bb.221:
	s_delay_alu instid0(VALU_DEP_1) | instskip(NEXT) | instid1(VALU_DEP_2)
	v_add_co_u32 v23, vcc_lo, s8, v17
	v_add_co_ci_u32_e32 v24, vcc_lo, s9, v18, vcc_lo
	v_add_co_u32 v19, vcc_lo, s8, v21
	v_add_co_ci_u32_e32 v20, vcc_lo, s9, v22, vcc_lo
	s_mov_b32 s27, -1
	s_clause 0x1
	global_load_b32 v21, v[23:24], off
	global_load_b32 v22, v[19:20], off
	s_mov_b32 s29, exec_lo
	s_waitcnt vmcnt(0)
	v_cmpx_eq_f32_e32 v21, v22
	s_cbranch_execz .LBB935_228
; %bb.222:
	v_add_co_u32 v19, vcc_lo, v19, 4
	v_add_co_ci_u32_e32 v20, vcc_lo, 0, v20, vcc_lo
	v_add_co_u32 v21, vcc_lo, v23, 4
	v_add_co_ci_u32_e32 v22, vcc_lo, 0, v24, vcc_lo
	s_add_u32 s4, s22, -1
	s_addc_u32 s5, s23, -1
	s_mov_b64 s[6:7], 0
	s_mov_b32 s27, 0
                                        ; implicit-def: $sgpr30
	s_set_inst_prefetch_distance 0x1
	s_branch .LBB935_225
	.p2align	6
.LBB935_223:                            ;   in Loop: Header=BB935_225 Depth=1
	global_load_b32 v23, v[21:22], off
	global_load_b32 v24, v[19:20], off
	v_add_co_u32 v19, vcc_lo, v19, 4
	v_add_co_ci_u32_e32 v20, vcc_lo, 0, v20, vcc_lo
	v_add_co_u32 v21, s2, v21, 4
	s_delay_alu instid0(VALU_DEP_1)
	v_add_co_ci_u32_e64 v22, s2, 0, v22, s2
	s_add_u32 s6, s6, 1
	s_addc_u32 s7, s7, 0
	s_and_not1_b32 s2, s30, exec_lo
	s_waitcnt vmcnt(0)
	v_cmp_neq_f32_e32 vcc_lo, v23, v24
	s_and_b32 s30, vcc_lo, exec_lo
	s_delay_alu instid0(SALU_CYCLE_1)
	s_or_b32 s30, s2, s30
.LBB935_224:                            ;   in Loop: Header=BB935_225 Depth=1
	v_dual_mov_b32 v24, s7 :: v_dual_mov_b32 v23, s6
	s_and_b32 s2, exec_lo, s30
	s_delay_alu instid0(SALU_CYCLE_1) | instskip(NEXT) | instid1(SALU_CYCLE_1)
	s_or_b32 s27, s2, s27
	s_and_not1_b32 exec_lo, exec_lo, s27
	s_cbranch_execz .LBB935_227
.LBB935_225:                            ; =>This Inner Loop Header: Depth=1
	s_or_b32 s30, s30, exec_lo
	s_cmp_eq_u64 s[4:5], s[6:7]
	s_cbranch_scc0 .LBB935_223
; %bb.226:                              ;   in Loop: Header=BB935_225 Depth=1
	s_mov_b64 s[6:7], s[22:23]
                                        ; implicit-def: $vgpr19_vgpr20
                                        ; implicit-def: $vgpr21_vgpr22
	s_branch .LBB935_224
.LBB935_227:
	s_set_inst_prefetch_distance 0x2
	s_or_b32 exec_lo, exec_lo, s27
	v_cmp_gt_i64_e32 vcc_lo, s[22:23], v[23:24]
	s_or_not1_b32 s27, vcc_lo, exec_lo
.LBB935_228:
	s_or_b32 exec_lo, exec_lo, s29
.LBB935_229:
	v_mul_lo_u32 v21, v10, s22
	v_mul_lo_u32 v22, v9, s23
	v_mad_u64_u32 v[19:20], null, v9, s22, 0
	s_mov_b32 s29, 0
	s_and_not1_b32 vcc_lo, exec_lo, s3
	s_mov_b32 s30, 0
	s_delay_alu instid0(VALU_DEP_1) | instskip(NEXT) | instid1(VALU_DEP_1)
	v_add3_u32 v20, v20, v22, v21
	v_lshlrev_b64 v[19:20], 2, v[19:20]
	s_cbranch_vccnz .LBB935_238
; %bb.230:
	s_delay_alu instid0(VALU_DEP_1) | instskip(NEXT) | instid1(VALU_DEP_2)
	v_add_co_u32 v21, vcc_lo, s8, v19
	v_add_co_ci_u32_e32 v22, vcc_lo, s9, v20, vcc_lo
	v_add_co_u32 v17, vcc_lo, s8, v17
	v_add_co_ci_u32_e32 v18, vcc_lo, s9, v18, vcc_lo
	s_mov_b32 s30, -1
	s_clause 0x1
	global_load_b32 v23, v[21:22], off
	global_load_b32 v24, v[17:18], off
	s_mov_b32 s31, exec_lo
	s_waitcnt vmcnt(0)
	v_cmpx_eq_f32_e32 v23, v24
	s_cbranch_execz .LBB935_237
; %bb.231:
	v_add_co_u32 v17, vcc_lo, v17, 4
	v_add_co_ci_u32_e32 v18, vcc_lo, 0, v18, vcc_lo
	v_add_co_u32 v21, vcc_lo, v21, 4
	v_add_co_ci_u32_e32 v22, vcc_lo, 0, v22, vcc_lo
	s_add_u32 s4, s22, -1
	s_addc_u32 s5, s23, -1
	s_mov_b64 s[6:7], 0
	s_mov_b32 s30, 0
                                        ; implicit-def: $sgpr33
	s_set_inst_prefetch_distance 0x1
	s_branch .LBB935_234
	.p2align	6
.LBB935_232:                            ;   in Loop: Header=BB935_234 Depth=1
	global_load_b32 v23, v[21:22], off
	global_load_b32 v24, v[17:18], off
	v_add_co_u32 v17, vcc_lo, v17, 4
	v_add_co_ci_u32_e32 v18, vcc_lo, 0, v18, vcc_lo
	v_add_co_u32 v21, s2, v21, 4
	s_delay_alu instid0(VALU_DEP_1)
	v_add_co_ci_u32_e64 v22, s2, 0, v22, s2
	s_add_u32 s6, s6, 1
	s_addc_u32 s7, s7, 0
	s_and_not1_b32 s2, s33, exec_lo
	s_waitcnt vmcnt(0)
	v_cmp_neq_f32_e32 vcc_lo, v23, v24
	s_and_b32 s33, vcc_lo, exec_lo
	s_delay_alu instid0(SALU_CYCLE_1)
	s_or_b32 s33, s2, s33
.LBB935_233:                            ;   in Loop: Header=BB935_234 Depth=1
	v_dual_mov_b32 v24, s7 :: v_dual_mov_b32 v23, s6
	s_and_b32 s2, exec_lo, s33
	s_delay_alu instid0(SALU_CYCLE_1) | instskip(NEXT) | instid1(SALU_CYCLE_1)
	s_or_b32 s30, s2, s30
	s_and_not1_b32 exec_lo, exec_lo, s30
	s_cbranch_execz .LBB935_236
.LBB935_234:                            ; =>This Inner Loop Header: Depth=1
	s_or_b32 s33, s33, exec_lo
	s_cmp_eq_u64 s[4:5], s[6:7]
	s_cbranch_scc0 .LBB935_232
; %bb.235:                              ;   in Loop: Header=BB935_234 Depth=1
	s_mov_b64 s[6:7], s[22:23]
                                        ; implicit-def: $vgpr17_vgpr18
                                        ; implicit-def: $vgpr21_vgpr22
	s_branch .LBB935_233
.LBB935_236:
	s_set_inst_prefetch_distance 0x2
	s_or_b32 exec_lo, exec_lo, s30
	v_cmp_gt_i64_e32 vcc_lo, s[22:23], v[23:24]
	s_or_not1_b32 s30, vcc_lo, exec_lo
.LBB935_237:
	s_or_b32 exec_lo, exec_lo, s31
.LBB935_238:
	v_mul_lo_u32 v21, v16, s22
	v_mul_lo_u32 v22, v15, s23
	v_mad_u64_u32 v[17:18], null, v15, s22, 0
	s_and_not1_b32 vcc_lo, exec_lo, s3
	s_delay_alu instid0(VALU_DEP_1) | instskip(NEXT) | instid1(VALU_DEP_1)
	v_add3_u32 v18, v18, v22, v21
	v_lshlrev_b64 v[17:18], 2, v[17:18]
	s_cbranch_vccnz .LBB935_247
; %bb.239:
	s_delay_alu instid0(VALU_DEP_1) | instskip(NEXT) | instid1(VALU_DEP_2)
	v_add_co_u32 v21, vcc_lo, s8, v17
	v_add_co_ci_u32_e32 v22, vcc_lo, s9, v18, vcc_lo
	v_add_co_u32 v19, vcc_lo, s8, v19
	v_add_co_ci_u32_e32 v20, vcc_lo, s9, v20, vcc_lo
	s_mov_b32 s29, -1
	s_clause 0x1
	global_load_b32 v23, v[21:22], off
	global_load_b32 v24, v[19:20], off
	s_mov_b32 s31, exec_lo
	s_waitcnt vmcnt(0)
	v_cmpx_eq_f32_e32 v23, v24
	s_cbranch_execz .LBB935_246
; %bb.240:
	v_add_co_u32 v19, vcc_lo, v19, 4
	v_add_co_ci_u32_e32 v20, vcc_lo, 0, v20, vcc_lo
	v_add_co_u32 v21, vcc_lo, v21, 4
	v_add_co_ci_u32_e32 v22, vcc_lo, 0, v22, vcc_lo
	s_add_u32 s4, s22, -1
	s_addc_u32 s5, s23, -1
	s_mov_b64 s[6:7], 0
	s_mov_b32 s29, 0
                                        ; implicit-def: $sgpr33
	s_set_inst_prefetch_distance 0x1
	s_branch .LBB935_243
	.p2align	6
.LBB935_241:                            ;   in Loop: Header=BB935_243 Depth=1
	global_load_b32 v23, v[21:22], off
	global_load_b32 v24, v[19:20], off
	v_add_co_u32 v19, vcc_lo, v19, 4
	v_add_co_ci_u32_e32 v20, vcc_lo, 0, v20, vcc_lo
	v_add_co_u32 v21, s2, v21, 4
	s_delay_alu instid0(VALU_DEP_1)
	v_add_co_ci_u32_e64 v22, s2, 0, v22, s2
	s_add_u32 s6, s6, 1
	s_addc_u32 s7, s7, 0
	s_and_not1_b32 s2, s33, exec_lo
	s_waitcnt vmcnt(0)
	v_cmp_neq_f32_e32 vcc_lo, v23, v24
	s_and_b32 s33, vcc_lo, exec_lo
	s_delay_alu instid0(SALU_CYCLE_1)
	s_or_b32 s33, s2, s33
.LBB935_242:                            ;   in Loop: Header=BB935_243 Depth=1
	v_dual_mov_b32 v24, s7 :: v_dual_mov_b32 v23, s6
	s_and_b32 s2, exec_lo, s33
	s_delay_alu instid0(SALU_CYCLE_1) | instskip(NEXT) | instid1(SALU_CYCLE_1)
	s_or_b32 s29, s2, s29
	s_and_not1_b32 exec_lo, exec_lo, s29
	s_cbranch_execz .LBB935_245
.LBB935_243:                            ; =>This Inner Loop Header: Depth=1
	s_or_b32 s33, s33, exec_lo
	s_cmp_eq_u64 s[4:5], s[6:7]
	s_cbranch_scc0 .LBB935_241
; %bb.244:                              ;   in Loop: Header=BB935_243 Depth=1
	s_mov_b64 s[6:7], s[22:23]
                                        ; implicit-def: $vgpr19_vgpr20
                                        ; implicit-def: $vgpr21_vgpr22
	s_branch .LBB935_242
.LBB935_245:
	s_set_inst_prefetch_distance 0x2
	s_or_b32 exec_lo, exec_lo, s29
	v_cmp_gt_i64_e32 vcc_lo, s[22:23], v[23:24]
	s_or_not1_b32 s29, vcc_lo, exec_lo
.LBB935_246:
	s_or_b32 exec_lo, exec_lo, s31
.LBB935_247:
	v_mul_lo_u32 v21, v14, s22
	v_mul_lo_u32 v22, v13, s23
	v_mad_u64_u32 v[19:20], null, v13, s22, 0
	s_and_not1_b32 vcc_lo, exec_lo, s3
	s_mov_b32 s2, 0
	s_delay_alu instid0(VALU_DEP_1)
	v_add3_u32 v20, v20, v22, v21
	s_cbranch_vccnz .LBB935_256
; %bb.248:
	s_delay_alu instid0(VALU_DEP_1) | instskip(SKIP_2) | instid1(VALU_DEP_1)
	v_lshlrev_b64 v[21:22], 2, v[19:20]
	s_mov_b32 s2, -1
	s_mov_b32 s31, exec_lo
	v_add_co_u32 v21, vcc_lo, s8, v21
	s_delay_alu instid0(VALU_DEP_2)
	v_add_co_ci_u32_e32 v22, vcc_lo, s9, v22, vcc_lo
	v_add_co_u32 v17, vcc_lo, s8, v17
	v_add_co_ci_u32_e32 v18, vcc_lo, s9, v18, vcc_lo
	s_clause 0x1
	global_load_b32 v23, v[21:22], off
	global_load_b32 v24, v[17:18], off
	s_waitcnt vmcnt(0)
	v_cmpx_eq_f32_e32 v23, v24
	s_cbranch_execz .LBB935_255
; %bb.249:
	v_add_co_u32 v17, vcc_lo, v17, 4
	v_add_co_ci_u32_e32 v18, vcc_lo, 0, v18, vcc_lo
	v_add_co_u32 v21, vcc_lo, v21, 4
	v_add_co_ci_u32_e32 v22, vcc_lo, 0, v22, vcc_lo
	s_add_u32 s4, s22, -1
	s_addc_u32 s5, s23, -1
	s_mov_b64 s[6:7], 0
	s_mov_b32 s33, 0
                                        ; implicit-def: $sgpr34
	s_set_inst_prefetch_distance 0x1
	s_branch .LBB935_252
	.p2align	6
.LBB935_250:                            ;   in Loop: Header=BB935_252 Depth=1
	global_load_b32 v23, v[21:22], off
	global_load_b32 v24, v[17:18], off
	v_add_co_u32 v17, vcc_lo, v17, 4
	v_add_co_ci_u32_e32 v18, vcc_lo, 0, v18, vcc_lo
	v_add_co_u32 v21, s2, v21, 4
	s_delay_alu instid0(VALU_DEP_1)
	v_add_co_ci_u32_e64 v22, s2, 0, v22, s2
	s_add_u32 s6, s6, 1
	s_addc_u32 s7, s7, 0
	s_and_not1_b32 s2, s34, exec_lo
	s_waitcnt vmcnt(0)
	v_cmp_neq_f32_e32 vcc_lo, v23, v24
	s_and_b32 s34, vcc_lo, exec_lo
	s_delay_alu instid0(SALU_CYCLE_1)
	s_or_b32 s34, s2, s34
.LBB935_251:                            ;   in Loop: Header=BB935_252 Depth=1
	v_dual_mov_b32 v24, s7 :: v_dual_mov_b32 v23, s6
	s_and_b32 s2, exec_lo, s34
	s_delay_alu instid0(SALU_CYCLE_1) | instskip(NEXT) | instid1(SALU_CYCLE_1)
	s_or_b32 s33, s2, s33
	s_and_not1_b32 exec_lo, exec_lo, s33
	s_cbranch_execz .LBB935_254
.LBB935_252:                            ; =>This Inner Loop Header: Depth=1
	s_or_b32 s34, s34, exec_lo
	s_cmp_eq_u64 s[4:5], s[6:7]
	s_cbranch_scc0 .LBB935_250
; %bb.253:                              ;   in Loop: Header=BB935_252 Depth=1
	s_mov_b64 s[6:7], s[22:23]
                                        ; implicit-def: $vgpr17_vgpr18
                                        ; implicit-def: $vgpr21_vgpr22
	s_branch .LBB935_251
.LBB935_254:
	s_set_inst_prefetch_distance 0x2
	s_or_b32 exec_lo, exec_lo, s33
	v_cmp_gt_i64_e32 vcc_lo, s[22:23], v[23:24]
	s_or_not1_b32 s2, vcc_lo, exec_lo
.LBB935_255:
	s_or_b32 exec_lo, exec_lo, s31
.LBB935_256:
	v_cndmask_b32_e64 v18, 0, 1, s30
	v_cndmask_b32_e64 v21, 0, 1, s28
	;; [unrolled: 1-line block ×7, first 2 shown]
	v_lshlrev_b16 v21, 8, v21
	v_lshlrev_b16 v22, 8, v22
	;; [unrolled: 1-line block ×4, first 2 shown]
	s_delay_alu instid0(VALU_DEP_4) | instskip(NEXT) | instid1(VALU_DEP_4)
	v_or_b32_e32 v21, v24, v21
	v_or_b32_e32 v22, v25, v22
	s_delay_alu instid0(VALU_DEP_4) | instskip(NEXT) | instid1(VALU_DEP_4)
	v_or_b32_e32 v23, 1, v23
	v_or_b32_e32 v17, v17, v18
	s_barrier
	v_and_b32_e32 v18, 0xffff, v21
	v_lshlrev_b32_e32 v21, 16, v22
	v_and_b32_e32 v22, 0xffff, v23
	v_lshlrev_b32_e32 v17, 16, v17
	buffer_gl0_inv
                                        ; implicit-def: $sgpr2
	s_mov_b32 s4, exec_lo
	v_or_b32_e32 v18, v18, v21
	v_or_b32_e32 v17, v22, v17
	v_cmpx_ne_u32_e32 0, v0
	s_xor_b32 s19, exec_lo, s4
	s_cbranch_execz .LBB935_267
; %bb.257:
	s_and_not1_b32 vcc_lo, exec_lo, s3
	s_mov_b32 s2, 0
	s_cbranch_vccnz .LBB935_266
; %bb.258:
	v_add_nc_u32_e32 v21, -8, v39
	v_lshlrev_b64 v[19:20], 2, v[19:20]
	s_mov_b32 s2, -1
	s_mov_b32 s26, exec_lo
	ds_load_b64 v[21:22], v21
	s_waitcnt lgkmcnt(0)
	v_mul_lo_u32 v24, v22, s22
	v_mul_lo_u32 v25, v21, s23
	v_mad_u64_u32 v[22:23], null, v21, s22, 0
	s_delay_alu instid0(VALU_DEP_1) | instskip(NEXT) | instid1(VALU_DEP_1)
	v_add3_u32 v23, v23, v25, v24
	v_lshlrev_b64 v[21:22], 2, v[22:23]
	s_delay_alu instid0(VALU_DEP_1) | instskip(NEXT) | instid1(VALU_DEP_2)
	v_add_co_u32 v21, vcc_lo, s8, v21
	v_add_co_ci_u32_e32 v22, vcc_lo, s9, v22, vcc_lo
	v_add_co_u32 v19, vcc_lo, s8, v19
	v_add_co_ci_u32_e32 v20, vcc_lo, s9, v20, vcc_lo
	s_clause 0x1
	global_load_b32 v23, v[21:22], off
	global_load_b32 v24, v[19:20], off
	s_waitcnt vmcnt(0)
	v_cmpx_eq_f32_e32 v23, v24
	s_cbranch_execz .LBB935_265
; %bb.259:
	v_add_co_u32 v19, vcc_lo, v19, 4
	v_add_co_ci_u32_e32 v20, vcc_lo, 0, v20, vcc_lo
	v_add_co_u32 v21, vcc_lo, v21, 4
	v_add_co_ci_u32_e32 v22, vcc_lo, 0, v22, vcc_lo
	s_add_u32 s4, s22, -1
	s_addc_u32 s5, s23, -1
	s_mov_b64 s[6:7], 0
	s_mov_b32 s27, 0
                                        ; implicit-def: $sgpr28
	s_set_inst_prefetch_distance 0x1
	s_branch .LBB935_262
	.p2align	6
.LBB935_260:                            ;   in Loop: Header=BB935_262 Depth=1
	global_load_b32 v23, v[21:22], off
	global_load_b32 v24, v[19:20], off
	v_add_co_u32 v19, vcc_lo, v19, 4
	v_add_co_ci_u32_e32 v20, vcc_lo, 0, v20, vcc_lo
	v_add_co_u32 v21, s2, v21, 4
	s_delay_alu instid0(VALU_DEP_1)
	v_add_co_ci_u32_e64 v22, s2, 0, v22, s2
	s_add_u32 s6, s6, 1
	s_addc_u32 s7, s7, 0
	s_and_not1_b32 s2, s28, exec_lo
	s_waitcnt vmcnt(0)
	v_cmp_neq_f32_e32 vcc_lo, v23, v24
	s_and_b32 s28, vcc_lo, exec_lo
	s_delay_alu instid0(SALU_CYCLE_1)
	s_or_b32 s28, s2, s28
.LBB935_261:                            ;   in Loop: Header=BB935_262 Depth=1
	v_dual_mov_b32 v24, s7 :: v_dual_mov_b32 v23, s6
	s_and_b32 s2, exec_lo, s28
	s_delay_alu instid0(SALU_CYCLE_1) | instskip(NEXT) | instid1(SALU_CYCLE_1)
	s_or_b32 s27, s2, s27
	s_and_not1_b32 exec_lo, exec_lo, s27
	s_cbranch_execz .LBB935_264
.LBB935_262:                            ; =>This Inner Loop Header: Depth=1
	s_or_b32 s28, s28, exec_lo
	s_cmp_eq_u64 s[4:5], s[6:7]
	s_cbranch_scc0 .LBB935_260
; %bb.263:                              ;   in Loop: Header=BB935_262 Depth=1
	s_mov_b64 s[6:7], s[22:23]
                                        ; implicit-def: $vgpr19_vgpr20
                                        ; implicit-def: $vgpr21_vgpr22
	s_branch .LBB935_261
.LBB935_264:
	s_set_inst_prefetch_distance 0x2
	s_or_b32 exec_lo, exec_lo, s27
	v_cmp_gt_i64_e32 vcc_lo, s[22:23], v[23:24]
	s_or_not1_b32 s2, vcc_lo, exec_lo
.LBB935_265:
	s_or_b32 exec_lo, exec_lo, s26
.LBB935_266:
	s_delay_alu instid0(SALU_CYCLE_1)
	s_and_b32 s2, s2, exec_lo
	s_or_b32 s18, s18, exec_lo
.LBB935_267:
	s_or_b32 exec_lo, exec_lo, s19
	s_branch .LBB935_359
.LBB935_268:
	v_or_b32_e32 v17, 7, v39
	s_mov_b32 s19, 0
	s_mov_b32 s26, 0
	s_mov_b32 s27, exec_lo
	s_delay_alu instid0(VALU_DEP_1)
	v_cmpx_gt_u32_e64 s20, v17
	s_cbranch_execz .LBB935_279
; %bb.269:
	s_and_not1_b32 vcc_lo, exec_lo, s3
	s_mov_b32 s2, 0
	s_cbranch_vccnz .LBB935_278
; %bb.270:
	v_mul_lo_u32 v21, v2, s22
	v_mul_lo_u32 v22, v1, s23
	v_mad_u64_u32 v[17:18], null, v1, s22, 0
	v_mul_lo_u32 v23, v4, s22
	v_mul_lo_u32 v24, v3, s23
	v_mad_u64_u32 v[19:20], null, v3, s22, 0
	s_mov_b32 s2, -1
	s_mov_b32 s26, exec_lo
	s_delay_alu instid0(VALU_DEP_4) | instskip(NEXT) | instid1(VALU_DEP_2)
	v_add3_u32 v18, v18, v22, v21
	v_add3_u32 v20, v20, v24, v23
	s_delay_alu instid0(VALU_DEP_2) | instskip(NEXT) | instid1(VALU_DEP_2)
	v_lshlrev_b64 v[17:18], 2, v[17:18]
	v_lshlrev_b64 v[21:22], 2, v[19:20]
	s_delay_alu instid0(VALU_DEP_2) | instskip(NEXT) | instid1(VALU_DEP_3)
	v_add_co_u32 v19, vcc_lo, s8, v17
	v_add_co_ci_u32_e32 v20, vcc_lo, s9, v18, vcc_lo
	s_delay_alu instid0(VALU_DEP_3) | instskip(NEXT) | instid1(VALU_DEP_4)
	v_add_co_u32 v17, vcc_lo, s8, v21
	v_add_co_ci_u32_e32 v18, vcc_lo, s9, v22, vcc_lo
	s_clause 0x1
	global_load_b32 v21, v[19:20], off
	global_load_b32 v22, v[17:18], off
	s_waitcnt vmcnt(0)
	v_cmpx_eq_f32_e32 v21, v22
	s_cbranch_execz .LBB935_277
; %bb.271:
	v_add_co_u32 v17, vcc_lo, v17, 4
	v_add_co_ci_u32_e32 v18, vcc_lo, 0, v18, vcc_lo
	v_add_co_u32 v19, vcc_lo, v19, 4
	v_add_co_ci_u32_e32 v20, vcc_lo, 0, v20, vcc_lo
	s_add_u32 s4, s22, -1
	s_addc_u32 s5, s23, -1
	s_mov_b64 s[6:7], 0
	s_mov_b32 s28, 0
                                        ; implicit-def: $sgpr29
	s_set_inst_prefetch_distance 0x1
	s_branch .LBB935_274
	.p2align	6
.LBB935_272:                            ;   in Loop: Header=BB935_274 Depth=1
	global_load_b32 v21, v[19:20], off
	global_load_b32 v22, v[17:18], off
	v_add_co_u32 v17, vcc_lo, v17, 4
	v_add_co_ci_u32_e32 v18, vcc_lo, 0, v18, vcc_lo
	v_add_co_u32 v19, s2, v19, 4
	s_delay_alu instid0(VALU_DEP_1)
	v_add_co_ci_u32_e64 v20, s2, 0, v20, s2
	s_add_u32 s6, s6, 1
	s_addc_u32 s7, s7, 0
	s_and_not1_b32 s2, s29, exec_lo
	s_waitcnt vmcnt(0)
	v_cmp_neq_f32_e32 vcc_lo, v21, v22
	s_and_b32 s29, vcc_lo, exec_lo
	s_delay_alu instid0(SALU_CYCLE_1)
	s_or_b32 s29, s2, s29
.LBB935_273:                            ;   in Loop: Header=BB935_274 Depth=1
	v_dual_mov_b32 v22, s7 :: v_dual_mov_b32 v21, s6
	s_and_b32 s2, exec_lo, s29
	s_delay_alu instid0(SALU_CYCLE_1) | instskip(NEXT) | instid1(SALU_CYCLE_1)
	s_or_b32 s28, s2, s28
	s_and_not1_b32 exec_lo, exec_lo, s28
	s_cbranch_execz .LBB935_276
.LBB935_274:                            ; =>This Inner Loop Header: Depth=1
	s_or_b32 s29, s29, exec_lo
	s_cmp_eq_u64 s[4:5], s[6:7]
	s_cbranch_scc0 .LBB935_272
; %bb.275:                              ;   in Loop: Header=BB935_274 Depth=1
	s_mov_b64 s[6:7], s[22:23]
                                        ; implicit-def: $vgpr17_vgpr18
                                        ; implicit-def: $vgpr19_vgpr20
	s_branch .LBB935_273
.LBB935_276:
	s_set_inst_prefetch_distance 0x2
	s_or_b32 exec_lo, exec_lo, s28
	v_cmp_gt_i64_e32 vcc_lo, s[22:23], v[21:22]
	s_or_not1_b32 s2, vcc_lo, exec_lo
.LBB935_277:
	s_or_b32 exec_lo, exec_lo, s26
.LBB935_278:
	s_delay_alu instid0(SALU_CYCLE_1)
	s_and_b32 s26, s2, exec_lo
.LBB935_279:
	s_or_b32 exec_lo, exec_lo, s27
	v_or_b32_e32 v17, 6, v39
	s_mov_b32 s27, exec_lo
	s_delay_alu instid0(VALU_DEP_1)
	v_cmpx_gt_u32_e64 s20, v17
	s_cbranch_execz .LBB935_290
; %bb.280:
	s_and_not1_b32 vcc_lo, exec_lo, s3
	s_mov_b32 s2, 0
	s_cbranch_vccnz .LBB935_289
; %bb.281:
	v_mul_lo_u32 v21, v8, s22
	v_mul_lo_u32 v22, v7, s23
	v_mad_u64_u32 v[17:18], null, v7, s22, 0
	v_mul_lo_u32 v23, v2, s22
	v_mul_lo_u32 v24, v1, s23
	v_mad_u64_u32 v[19:20], null, v1, s22, 0
	s_mov_b32 s2, -1
	s_mov_b32 s19, exec_lo
	s_delay_alu instid0(VALU_DEP_4) | instskip(NEXT) | instid1(VALU_DEP_2)
	v_add3_u32 v18, v18, v22, v21
	v_add3_u32 v20, v20, v24, v23
	s_delay_alu instid0(VALU_DEP_2) | instskip(NEXT) | instid1(VALU_DEP_2)
	v_lshlrev_b64 v[17:18], 2, v[17:18]
	v_lshlrev_b64 v[21:22], 2, v[19:20]
	s_delay_alu instid0(VALU_DEP_2) | instskip(NEXT) | instid1(VALU_DEP_3)
	v_add_co_u32 v19, vcc_lo, s8, v17
	v_add_co_ci_u32_e32 v20, vcc_lo, s9, v18, vcc_lo
	s_delay_alu instid0(VALU_DEP_3) | instskip(NEXT) | instid1(VALU_DEP_4)
	v_add_co_u32 v17, vcc_lo, s8, v21
	v_add_co_ci_u32_e32 v18, vcc_lo, s9, v22, vcc_lo
	s_clause 0x1
	global_load_b32 v21, v[19:20], off
	global_load_b32 v22, v[17:18], off
	s_waitcnt vmcnt(0)
	v_cmpx_eq_f32_e32 v21, v22
	s_cbranch_execz .LBB935_288
; %bb.282:
	v_add_co_u32 v17, vcc_lo, v17, 4
	v_add_co_ci_u32_e32 v18, vcc_lo, 0, v18, vcc_lo
	v_add_co_u32 v19, vcc_lo, v19, 4
	v_add_co_ci_u32_e32 v20, vcc_lo, 0, v20, vcc_lo
	s_add_u32 s4, s22, -1
	s_addc_u32 s5, s23, -1
	s_mov_b64 s[6:7], 0
	s_mov_b32 s28, 0
                                        ; implicit-def: $sgpr29
	s_set_inst_prefetch_distance 0x1
	s_branch .LBB935_285
	.p2align	6
.LBB935_283:                            ;   in Loop: Header=BB935_285 Depth=1
	global_load_b32 v21, v[19:20], off
	global_load_b32 v22, v[17:18], off
	v_add_co_u32 v17, vcc_lo, v17, 4
	v_add_co_ci_u32_e32 v18, vcc_lo, 0, v18, vcc_lo
	v_add_co_u32 v19, s2, v19, 4
	s_delay_alu instid0(VALU_DEP_1)
	v_add_co_ci_u32_e64 v20, s2, 0, v20, s2
	s_add_u32 s6, s6, 1
	s_addc_u32 s7, s7, 0
	s_and_not1_b32 s2, s29, exec_lo
	s_waitcnt vmcnt(0)
	v_cmp_neq_f32_e32 vcc_lo, v21, v22
	s_and_b32 s29, vcc_lo, exec_lo
	s_delay_alu instid0(SALU_CYCLE_1)
	s_or_b32 s29, s2, s29
.LBB935_284:                            ;   in Loop: Header=BB935_285 Depth=1
	v_dual_mov_b32 v22, s7 :: v_dual_mov_b32 v21, s6
	s_and_b32 s2, exec_lo, s29
	s_delay_alu instid0(SALU_CYCLE_1) | instskip(NEXT) | instid1(SALU_CYCLE_1)
	s_or_b32 s28, s2, s28
	s_and_not1_b32 exec_lo, exec_lo, s28
	s_cbranch_execz .LBB935_287
.LBB935_285:                            ; =>This Inner Loop Header: Depth=1
	s_or_b32 s29, s29, exec_lo
	s_cmp_eq_u64 s[4:5], s[6:7]
	s_cbranch_scc0 .LBB935_283
; %bb.286:                              ;   in Loop: Header=BB935_285 Depth=1
	s_mov_b64 s[6:7], s[22:23]
                                        ; implicit-def: $vgpr17_vgpr18
                                        ; implicit-def: $vgpr19_vgpr20
	s_branch .LBB935_284
.LBB935_287:
	s_set_inst_prefetch_distance 0x2
	s_or_b32 exec_lo, exec_lo, s28
	v_cmp_gt_i64_e32 vcc_lo, s[22:23], v[21:22]
	s_or_not1_b32 s2, vcc_lo, exec_lo
.LBB935_288:
	s_or_b32 exec_lo, exec_lo, s19
.LBB935_289:
	s_delay_alu instid0(SALU_CYCLE_1)
	s_and_b32 s19, s2, exec_lo
.LBB935_290:
	s_or_b32 exec_lo, exec_lo, s27
	v_or_b32_e32 v17, 5, v39
	s_mov_b32 s27, 0
	s_mov_b32 s28, 0
	s_mov_b32 s29, exec_lo
	s_delay_alu instid0(VALU_DEP_1)
	v_cmpx_gt_u32_e64 s20, v17
	s_cbranch_execz .LBB935_301
; %bb.291:
	s_and_not1_b32 vcc_lo, exec_lo, s3
	s_mov_b32 s2, 0
	s_cbranch_vccnz .LBB935_300
; %bb.292:
	v_mul_lo_u32 v21, v6, s22
	v_mul_lo_u32 v22, v5, s23
	v_mad_u64_u32 v[17:18], null, v5, s22, 0
	v_mul_lo_u32 v23, v8, s22
	v_mul_lo_u32 v24, v7, s23
	v_mad_u64_u32 v[19:20], null, v7, s22, 0
	s_mov_b32 s2, -1
	s_mov_b32 s28, exec_lo
	s_delay_alu instid0(VALU_DEP_4) | instskip(NEXT) | instid1(VALU_DEP_2)
	v_add3_u32 v18, v18, v22, v21
	v_add3_u32 v20, v20, v24, v23
	s_delay_alu instid0(VALU_DEP_2) | instskip(NEXT) | instid1(VALU_DEP_2)
	v_lshlrev_b64 v[17:18], 2, v[17:18]
	v_lshlrev_b64 v[21:22], 2, v[19:20]
	s_delay_alu instid0(VALU_DEP_2) | instskip(NEXT) | instid1(VALU_DEP_3)
	v_add_co_u32 v19, vcc_lo, s8, v17
	v_add_co_ci_u32_e32 v20, vcc_lo, s9, v18, vcc_lo
	s_delay_alu instid0(VALU_DEP_3) | instskip(NEXT) | instid1(VALU_DEP_4)
	v_add_co_u32 v17, vcc_lo, s8, v21
	v_add_co_ci_u32_e32 v18, vcc_lo, s9, v22, vcc_lo
	s_clause 0x1
	global_load_b32 v21, v[19:20], off
	global_load_b32 v22, v[17:18], off
	s_waitcnt vmcnt(0)
	v_cmpx_eq_f32_e32 v21, v22
	s_cbranch_execz .LBB935_299
; %bb.293:
	v_add_co_u32 v17, vcc_lo, v17, 4
	v_add_co_ci_u32_e32 v18, vcc_lo, 0, v18, vcc_lo
	v_add_co_u32 v19, vcc_lo, v19, 4
	v_add_co_ci_u32_e32 v20, vcc_lo, 0, v20, vcc_lo
	s_add_u32 s4, s22, -1
	s_addc_u32 s5, s23, -1
	s_mov_b64 s[6:7], 0
	s_mov_b32 s30, 0
                                        ; implicit-def: $sgpr31
	s_set_inst_prefetch_distance 0x1
	s_branch .LBB935_296
	.p2align	6
.LBB935_294:                            ;   in Loop: Header=BB935_296 Depth=1
	global_load_b32 v21, v[19:20], off
	global_load_b32 v22, v[17:18], off
	v_add_co_u32 v17, vcc_lo, v17, 4
	v_add_co_ci_u32_e32 v18, vcc_lo, 0, v18, vcc_lo
	v_add_co_u32 v19, s2, v19, 4
	s_delay_alu instid0(VALU_DEP_1)
	v_add_co_ci_u32_e64 v20, s2, 0, v20, s2
	s_add_u32 s6, s6, 1
	s_addc_u32 s7, s7, 0
	s_and_not1_b32 s2, s31, exec_lo
	s_waitcnt vmcnt(0)
	v_cmp_neq_f32_e32 vcc_lo, v21, v22
	s_and_b32 s31, vcc_lo, exec_lo
	s_delay_alu instid0(SALU_CYCLE_1)
	s_or_b32 s31, s2, s31
.LBB935_295:                            ;   in Loop: Header=BB935_296 Depth=1
	v_dual_mov_b32 v22, s7 :: v_dual_mov_b32 v21, s6
	s_and_b32 s2, exec_lo, s31
	s_delay_alu instid0(SALU_CYCLE_1) | instskip(NEXT) | instid1(SALU_CYCLE_1)
	s_or_b32 s30, s2, s30
	s_and_not1_b32 exec_lo, exec_lo, s30
	s_cbranch_execz .LBB935_298
.LBB935_296:                            ; =>This Inner Loop Header: Depth=1
	s_or_b32 s31, s31, exec_lo
	s_cmp_eq_u64 s[4:5], s[6:7]
	s_cbranch_scc0 .LBB935_294
; %bb.297:                              ;   in Loop: Header=BB935_296 Depth=1
	s_mov_b64 s[6:7], s[22:23]
                                        ; implicit-def: $vgpr17_vgpr18
                                        ; implicit-def: $vgpr19_vgpr20
	s_branch .LBB935_295
.LBB935_298:
	s_set_inst_prefetch_distance 0x2
	s_or_b32 exec_lo, exec_lo, s30
	v_cmp_gt_i64_e32 vcc_lo, s[22:23], v[21:22]
	s_or_not1_b32 s2, vcc_lo, exec_lo
.LBB935_299:
	s_or_b32 exec_lo, exec_lo, s28
.LBB935_300:
	s_delay_alu instid0(SALU_CYCLE_1)
	s_and_b32 s28, s2, exec_lo
.LBB935_301:
	s_or_b32 exec_lo, exec_lo, s29
	v_or_b32_e32 v17, 4, v39
	s_mov_b32 s29, exec_lo
	s_delay_alu instid0(VALU_DEP_1)
	v_cmpx_gt_u32_e64 s20, v17
	s_cbranch_execz .LBB935_312
; %bb.302:
	s_and_not1_b32 vcc_lo, exec_lo, s3
	s_mov_b32 s2, 0
	s_cbranch_vccnz .LBB935_311
; %bb.303:
	v_mul_lo_u32 v21, v12, s22
	v_mul_lo_u32 v22, v11, s23
	v_mad_u64_u32 v[17:18], null, v11, s22, 0
	v_mul_lo_u32 v23, v6, s22
	v_mul_lo_u32 v24, v5, s23
	v_mad_u64_u32 v[19:20], null, v5, s22, 0
	s_mov_b32 s2, -1
	s_mov_b32 s27, exec_lo
	s_delay_alu instid0(VALU_DEP_4) | instskip(NEXT) | instid1(VALU_DEP_2)
	v_add3_u32 v18, v18, v22, v21
	v_add3_u32 v20, v20, v24, v23
	s_delay_alu instid0(VALU_DEP_2) | instskip(NEXT) | instid1(VALU_DEP_2)
	v_lshlrev_b64 v[17:18], 2, v[17:18]
	v_lshlrev_b64 v[21:22], 2, v[19:20]
	s_delay_alu instid0(VALU_DEP_2) | instskip(NEXT) | instid1(VALU_DEP_3)
	v_add_co_u32 v19, vcc_lo, s8, v17
	v_add_co_ci_u32_e32 v20, vcc_lo, s9, v18, vcc_lo
	s_delay_alu instid0(VALU_DEP_3) | instskip(NEXT) | instid1(VALU_DEP_4)
	v_add_co_u32 v17, vcc_lo, s8, v21
	v_add_co_ci_u32_e32 v18, vcc_lo, s9, v22, vcc_lo
	s_clause 0x1
	global_load_b32 v21, v[19:20], off
	global_load_b32 v22, v[17:18], off
	s_waitcnt vmcnt(0)
	v_cmpx_eq_f32_e32 v21, v22
	s_cbranch_execz .LBB935_310
; %bb.304:
	v_add_co_u32 v17, vcc_lo, v17, 4
	v_add_co_ci_u32_e32 v18, vcc_lo, 0, v18, vcc_lo
	v_add_co_u32 v19, vcc_lo, v19, 4
	v_add_co_ci_u32_e32 v20, vcc_lo, 0, v20, vcc_lo
	s_add_u32 s4, s22, -1
	s_addc_u32 s5, s23, -1
	s_mov_b64 s[6:7], 0
	s_mov_b32 s30, 0
                                        ; implicit-def: $sgpr31
	s_set_inst_prefetch_distance 0x1
	s_branch .LBB935_307
	.p2align	6
.LBB935_305:                            ;   in Loop: Header=BB935_307 Depth=1
	global_load_b32 v21, v[19:20], off
	global_load_b32 v22, v[17:18], off
	v_add_co_u32 v17, vcc_lo, v17, 4
	v_add_co_ci_u32_e32 v18, vcc_lo, 0, v18, vcc_lo
	v_add_co_u32 v19, s2, v19, 4
	s_delay_alu instid0(VALU_DEP_1)
	v_add_co_ci_u32_e64 v20, s2, 0, v20, s2
	s_add_u32 s6, s6, 1
	s_addc_u32 s7, s7, 0
	s_and_not1_b32 s2, s31, exec_lo
	s_waitcnt vmcnt(0)
	v_cmp_neq_f32_e32 vcc_lo, v21, v22
	s_and_b32 s31, vcc_lo, exec_lo
	s_delay_alu instid0(SALU_CYCLE_1)
	s_or_b32 s31, s2, s31
.LBB935_306:                            ;   in Loop: Header=BB935_307 Depth=1
	v_dual_mov_b32 v22, s7 :: v_dual_mov_b32 v21, s6
	s_and_b32 s2, exec_lo, s31
	s_delay_alu instid0(SALU_CYCLE_1) | instskip(NEXT) | instid1(SALU_CYCLE_1)
	s_or_b32 s30, s2, s30
	s_and_not1_b32 exec_lo, exec_lo, s30
	s_cbranch_execz .LBB935_309
.LBB935_307:                            ; =>This Inner Loop Header: Depth=1
	s_or_b32 s31, s31, exec_lo
	s_cmp_eq_u64 s[4:5], s[6:7]
	s_cbranch_scc0 .LBB935_305
; %bb.308:                              ;   in Loop: Header=BB935_307 Depth=1
	s_mov_b64 s[6:7], s[22:23]
                                        ; implicit-def: $vgpr17_vgpr18
                                        ; implicit-def: $vgpr19_vgpr20
	s_branch .LBB935_306
.LBB935_309:
	s_set_inst_prefetch_distance 0x2
	s_or_b32 exec_lo, exec_lo, s30
	v_cmp_gt_i64_e32 vcc_lo, s[22:23], v[21:22]
	s_or_not1_b32 s2, vcc_lo, exec_lo
.LBB935_310:
	s_or_b32 exec_lo, exec_lo, s27
.LBB935_311:
	s_delay_alu instid0(SALU_CYCLE_1)
	s_and_b32 s27, s2, exec_lo
.LBB935_312:
	s_or_b32 exec_lo, exec_lo, s29
	v_or_b32_e32 v17, 3, v39
	s_mov_b32 s30, 0
	s_mov_b32 s29, 0
	s_mov_b32 s31, exec_lo
	s_delay_alu instid0(VALU_DEP_1)
	v_cmpx_gt_u32_e64 s20, v17
	s_cbranch_execz .LBB935_323
; %bb.313:
	s_and_not1_b32 vcc_lo, exec_lo, s3
	s_mov_b32 s2, 0
	s_cbranch_vccnz .LBB935_322
; %bb.314:
	v_mul_lo_u32 v21, v10, s22
	v_mul_lo_u32 v22, v9, s23
	v_mad_u64_u32 v[17:18], null, v9, s22, 0
	v_mul_lo_u32 v23, v12, s22
	v_mul_lo_u32 v24, v11, s23
	v_mad_u64_u32 v[19:20], null, v11, s22, 0
	s_mov_b32 s2, -1
	s_mov_b32 s29, exec_lo
	s_delay_alu instid0(VALU_DEP_4) | instskip(NEXT) | instid1(VALU_DEP_2)
	v_add3_u32 v18, v18, v22, v21
	v_add3_u32 v20, v20, v24, v23
	s_delay_alu instid0(VALU_DEP_2) | instskip(NEXT) | instid1(VALU_DEP_2)
	v_lshlrev_b64 v[17:18], 2, v[17:18]
	v_lshlrev_b64 v[21:22], 2, v[19:20]
	s_delay_alu instid0(VALU_DEP_2) | instskip(NEXT) | instid1(VALU_DEP_3)
	v_add_co_u32 v19, vcc_lo, s8, v17
	v_add_co_ci_u32_e32 v20, vcc_lo, s9, v18, vcc_lo
	s_delay_alu instid0(VALU_DEP_3) | instskip(NEXT) | instid1(VALU_DEP_4)
	v_add_co_u32 v17, vcc_lo, s8, v21
	v_add_co_ci_u32_e32 v18, vcc_lo, s9, v22, vcc_lo
	s_clause 0x1
	global_load_b32 v21, v[19:20], off
	global_load_b32 v22, v[17:18], off
	s_waitcnt vmcnt(0)
	v_cmpx_eq_f32_e32 v21, v22
	s_cbranch_execz .LBB935_321
; %bb.315:
	v_add_co_u32 v17, vcc_lo, v17, 4
	v_add_co_ci_u32_e32 v18, vcc_lo, 0, v18, vcc_lo
	v_add_co_u32 v19, vcc_lo, v19, 4
	v_add_co_ci_u32_e32 v20, vcc_lo, 0, v20, vcc_lo
	s_add_u32 s4, s22, -1
	s_addc_u32 s5, s23, -1
	s_mov_b64 s[6:7], 0
	s_mov_b32 s33, 0
                                        ; implicit-def: $sgpr34
	s_set_inst_prefetch_distance 0x1
	s_branch .LBB935_318
	.p2align	6
.LBB935_316:                            ;   in Loop: Header=BB935_318 Depth=1
	global_load_b32 v21, v[19:20], off
	global_load_b32 v22, v[17:18], off
	v_add_co_u32 v17, vcc_lo, v17, 4
	v_add_co_ci_u32_e32 v18, vcc_lo, 0, v18, vcc_lo
	v_add_co_u32 v19, s2, v19, 4
	s_delay_alu instid0(VALU_DEP_1)
	v_add_co_ci_u32_e64 v20, s2, 0, v20, s2
	s_add_u32 s6, s6, 1
	s_addc_u32 s7, s7, 0
	s_and_not1_b32 s2, s34, exec_lo
	s_waitcnt vmcnt(0)
	v_cmp_neq_f32_e32 vcc_lo, v21, v22
	s_and_b32 s34, vcc_lo, exec_lo
	s_delay_alu instid0(SALU_CYCLE_1)
	s_or_b32 s34, s2, s34
.LBB935_317:                            ;   in Loop: Header=BB935_318 Depth=1
	v_dual_mov_b32 v22, s7 :: v_dual_mov_b32 v21, s6
	s_and_b32 s2, exec_lo, s34
	s_delay_alu instid0(SALU_CYCLE_1) | instskip(NEXT) | instid1(SALU_CYCLE_1)
	s_or_b32 s33, s2, s33
	s_and_not1_b32 exec_lo, exec_lo, s33
	s_cbranch_execz .LBB935_320
.LBB935_318:                            ; =>This Inner Loop Header: Depth=1
	s_or_b32 s34, s34, exec_lo
	s_cmp_eq_u64 s[4:5], s[6:7]
	s_cbranch_scc0 .LBB935_316
; %bb.319:                              ;   in Loop: Header=BB935_318 Depth=1
	s_mov_b64 s[6:7], s[22:23]
                                        ; implicit-def: $vgpr17_vgpr18
                                        ; implicit-def: $vgpr19_vgpr20
	s_branch .LBB935_317
.LBB935_320:
	s_set_inst_prefetch_distance 0x2
	s_or_b32 exec_lo, exec_lo, s33
	v_cmp_gt_i64_e32 vcc_lo, s[22:23], v[21:22]
	s_or_not1_b32 s2, vcc_lo, exec_lo
.LBB935_321:
	s_or_b32 exec_lo, exec_lo, s29
.LBB935_322:
	s_delay_alu instid0(SALU_CYCLE_1)
	s_and_b32 s29, s2, exec_lo
.LBB935_323:
	s_or_b32 exec_lo, exec_lo, s31
	v_or_b32_e32 v17, 2, v39
	s_mov_b32 s31, exec_lo
	s_delay_alu instid0(VALU_DEP_1)
	v_cmpx_gt_u32_e64 s20, v17
	s_cbranch_execz .LBB935_334
; %bb.324:
	s_and_not1_b32 vcc_lo, exec_lo, s3
	s_mov_b32 s2, 0
	s_cbranch_vccnz .LBB935_333
; %bb.325:
	v_mul_lo_u32 v21, v16, s22
	v_mul_lo_u32 v22, v15, s23
	v_mad_u64_u32 v[17:18], null, v15, s22, 0
	v_mul_lo_u32 v23, v10, s22
	v_mul_lo_u32 v24, v9, s23
	v_mad_u64_u32 v[19:20], null, v9, s22, 0
	s_mov_b32 s2, -1
	s_mov_b32 s30, exec_lo
	s_delay_alu instid0(VALU_DEP_4) | instskip(NEXT) | instid1(VALU_DEP_2)
	v_add3_u32 v18, v18, v22, v21
	v_add3_u32 v20, v20, v24, v23
	s_delay_alu instid0(VALU_DEP_2) | instskip(NEXT) | instid1(VALU_DEP_2)
	v_lshlrev_b64 v[17:18], 2, v[17:18]
	v_lshlrev_b64 v[21:22], 2, v[19:20]
	s_delay_alu instid0(VALU_DEP_2) | instskip(NEXT) | instid1(VALU_DEP_3)
	v_add_co_u32 v19, vcc_lo, s8, v17
	v_add_co_ci_u32_e32 v20, vcc_lo, s9, v18, vcc_lo
	s_delay_alu instid0(VALU_DEP_3) | instskip(NEXT) | instid1(VALU_DEP_4)
	v_add_co_u32 v17, vcc_lo, s8, v21
	v_add_co_ci_u32_e32 v18, vcc_lo, s9, v22, vcc_lo
	s_clause 0x1
	global_load_b32 v21, v[19:20], off
	global_load_b32 v22, v[17:18], off
	s_waitcnt vmcnt(0)
	v_cmpx_eq_f32_e32 v21, v22
	s_cbranch_execz .LBB935_332
; %bb.326:
	v_add_co_u32 v17, vcc_lo, v17, 4
	v_add_co_ci_u32_e32 v18, vcc_lo, 0, v18, vcc_lo
	v_add_co_u32 v19, vcc_lo, v19, 4
	v_add_co_ci_u32_e32 v20, vcc_lo, 0, v20, vcc_lo
	s_add_u32 s4, s22, -1
	s_addc_u32 s5, s23, -1
	s_mov_b64 s[6:7], 0
	s_mov_b32 s33, 0
                                        ; implicit-def: $sgpr34
	s_set_inst_prefetch_distance 0x1
	s_branch .LBB935_329
	.p2align	6
.LBB935_327:                            ;   in Loop: Header=BB935_329 Depth=1
	global_load_b32 v21, v[19:20], off
	global_load_b32 v22, v[17:18], off
	v_add_co_u32 v17, vcc_lo, v17, 4
	v_add_co_ci_u32_e32 v18, vcc_lo, 0, v18, vcc_lo
	v_add_co_u32 v19, s2, v19, 4
	s_delay_alu instid0(VALU_DEP_1)
	v_add_co_ci_u32_e64 v20, s2, 0, v20, s2
	s_add_u32 s6, s6, 1
	s_addc_u32 s7, s7, 0
	s_and_not1_b32 s2, s34, exec_lo
	s_waitcnt vmcnt(0)
	v_cmp_neq_f32_e32 vcc_lo, v21, v22
	s_and_b32 s34, vcc_lo, exec_lo
	s_delay_alu instid0(SALU_CYCLE_1)
	s_or_b32 s34, s2, s34
.LBB935_328:                            ;   in Loop: Header=BB935_329 Depth=1
	v_dual_mov_b32 v22, s7 :: v_dual_mov_b32 v21, s6
	s_and_b32 s2, exec_lo, s34
	s_delay_alu instid0(SALU_CYCLE_1) | instskip(NEXT) | instid1(SALU_CYCLE_1)
	s_or_b32 s33, s2, s33
	s_and_not1_b32 exec_lo, exec_lo, s33
	s_cbranch_execz .LBB935_331
.LBB935_329:                            ; =>This Inner Loop Header: Depth=1
	s_or_b32 s34, s34, exec_lo
	s_cmp_eq_u64 s[4:5], s[6:7]
	s_cbranch_scc0 .LBB935_327
; %bb.330:                              ;   in Loop: Header=BB935_329 Depth=1
	s_mov_b64 s[6:7], s[22:23]
                                        ; implicit-def: $vgpr17_vgpr18
                                        ; implicit-def: $vgpr19_vgpr20
	s_branch .LBB935_328
.LBB935_331:
	s_set_inst_prefetch_distance 0x2
	s_or_b32 exec_lo, exec_lo, s33
	v_cmp_gt_i64_e32 vcc_lo, s[22:23], v[21:22]
	s_or_not1_b32 s2, vcc_lo, exec_lo
.LBB935_332:
	s_or_b32 exec_lo, exec_lo, s30
.LBB935_333:
	s_delay_alu instid0(SALU_CYCLE_1)
	s_and_b32 s30, s2, exec_lo
.LBB935_334:
	s_or_b32 exec_lo, exec_lo, s31
	v_or_b32_e32 v17, 1, v39
	s_mov_b32 s2, 0
	s_mov_b32 s31, exec_lo
	s_delay_alu instid0(VALU_DEP_1)
	v_cmpx_gt_u32_e64 s20, v17
	s_cbranch_execz .LBB935_345
; %bb.335:
	s_and_not1_b32 vcc_lo, exec_lo, s3
	s_cbranch_vccnz .LBB935_344
; %bb.336:
	v_mul_lo_u32 v21, v14, s22
	v_mul_lo_u32 v22, v13, s23
	v_mad_u64_u32 v[17:18], null, v13, s22, 0
	v_mul_lo_u32 v23, v16, s22
	v_mul_lo_u32 v24, v15, s23
	v_mad_u64_u32 v[19:20], null, v15, s22, 0
	s_mov_b32 s2, -1
	s_mov_b32 s33, exec_lo
	s_delay_alu instid0(VALU_DEP_4) | instskip(NEXT) | instid1(VALU_DEP_2)
	v_add3_u32 v18, v18, v22, v21
	v_add3_u32 v20, v20, v24, v23
	s_delay_alu instid0(VALU_DEP_2) | instskip(NEXT) | instid1(VALU_DEP_2)
	v_lshlrev_b64 v[17:18], 2, v[17:18]
	v_lshlrev_b64 v[21:22], 2, v[19:20]
	s_delay_alu instid0(VALU_DEP_2) | instskip(NEXT) | instid1(VALU_DEP_3)
	v_add_co_u32 v19, vcc_lo, s8, v17
	v_add_co_ci_u32_e32 v20, vcc_lo, s9, v18, vcc_lo
	s_delay_alu instid0(VALU_DEP_3) | instskip(NEXT) | instid1(VALU_DEP_4)
	v_add_co_u32 v17, vcc_lo, s8, v21
	v_add_co_ci_u32_e32 v18, vcc_lo, s9, v22, vcc_lo
	s_clause 0x1
	global_load_b32 v21, v[19:20], off
	global_load_b32 v22, v[17:18], off
	s_waitcnt vmcnt(0)
	v_cmpx_eq_f32_e32 v21, v22
	s_cbranch_execz .LBB935_343
; %bb.337:
	v_add_co_u32 v17, vcc_lo, v17, 4
	v_add_co_ci_u32_e32 v18, vcc_lo, 0, v18, vcc_lo
	v_add_co_u32 v19, vcc_lo, v19, 4
	v_add_co_ci_u32_e32 v20, vcc_lo, 0, v20, vcc_lo
	s_add_u32 s4, s22, -1
	s_addc_u32 s5, s23, -1
	s_mov_b64 s[6:7], 0
	s_mov_b32 s34, 0
                                        ; implicit-def: $sgpr35
	s_set_inst_prefetch_distance 0x1
	s_branch .LBB935_340
	.p2align	6
.LBB935_338:                            ;   in Loop: Header=BB935_340 Depth=1
	global_load_b32 v21, v[19:20], off
	global_load_b32 v22, v[17:18], off
	v_add_co_u32 v17, vcc_lo, v17, 4
	v_add_co_ci_u32_e32 v18, vcc_lo, 0, v18, vcc_lo
	v_add_co_u32 v19, s2, v19, 4
	s_delay_alu instid0(VALU_DEP_1)
	v_add_co_ci_u32_e64 v20, s2, 0, v20, s2
	s_add_u32 s6, s6, 1
	s_addc_u32 s7, s7, 0
	s_and_not1_b32 s2, s35, exec_lo
	s_waitcnt vmcnt(0)
	v_cmp_neq_f32_e32 vcc_lo, v21, v22
	s_and_b32 s35, vcc_lo, exec_lo
	s_delay_alu instid0(SALU_CYCLE_1)
	s_or_b32 s35, s2, s35
.LBB935_339:                            ;   in Loop: Header=BB935_340 Depth=1
	v_dual_mov_b32 v22, s7 :: v_dual_mov_b32 v21, s6
	s_and_b32 s2, exec_lo, s35
	s_delay_alu instid0(SALU_CYCLE_1) | instskip(NEXT) | instid1(SALU_CYCLE_1)
	s_or_b32 s34, s2, s34
	s_and_not1_b32 exec_lo, exec_lo, s34
	s_cbranch_execz .LBB935_342
.LBB935_340:                            ; =>This Inner Loop Header: Depth=1
	s_or_b32 s35, s35, exec_lo
	s_cmp_eq_u64 s[4:5], s[6:7]
	s_cbranch_scc0 .LBB935_338
; %bb.341:                              ;   in Loop: Header=BB935_340 Depth=1
	s_mov_b64 s[6:7], s[22:23]
                                        ; implicit-def: $vgpr17_vgpr18
                                        ; implicit-def: $vgpr19_vgpr20
	s_branch .LBB935_339
.LBB935_342:
	s_set_inst_prefetch_distance 0x2
	s_or_b32 exec_lo, exec_lo, s34
	v_cmp_gt_i64_e32 vcc_lo, s[22:23], v[21:22]
	s_or_not1_b32 s2, vcc_lo, exec_lo
.LBB935_343:
	s_or_b32 exec_lo, exec_lo, s33
.LBB935_344:
	s_delay_alu instid0(SALU_CYCLE_1)
	s_and_b32 s2, s2, exec_lo
.LBB935_345:
	s_or_b32 exec_lo, exec_lo, s31
	v_cndmask_b32_e64 v18, 0, 1, s29
	v_cndmask_b32_e64 v19, 0, 1, s28
	;; [unrolled: 1-line block ×7, first 2 shown]
	v_lshlrev_b16 v19, 8, v19
	v_lshlrev_b16 v20, 8, v20
	;; [unrolled: 1-line block ×4, first 2 shown]
	s_mov_b32 s19, exec_lo
	v_or_b32_e32 v19, v22, v19
	v_or_b32_e32 v20, v23, v20
	;; [unrolled: 1-line block ×4, first 2 shown]
	s_delay_alu instid0(VALU_DEP_4) | instskip(NEXT) | instid1(VALU_DEP_4)
	v_and_b32_e32 v18, 0xffff, v19
	v_lshlrev_b32_e32 v19, 16, v20
	s_delay_alu instid0(VALU_DEP_4) | instskip(NEXT) | instid1(VALU_DEP_4)
	v_and_b32_e32 v20, 0xffff, v21
	v_lshlrev_b32_e32 v17, 16, v17
	s_barrier
	buffer_gl0_inv
	v_or_b32_e32 v18, v18, v19
                                        ; implicit-def: $sgpr2
	v_or_b32_e32 v17, v20, v17
	v_cmpx_ne_u32_e32 0, v0
	s_cbranch_execz .LBB935_358
; %bb.346:
	s_mov_b32 s2, 0
	s_mov_b32 s26, exec_lo
	v_cmpx_gt_u32_e64 s20, v39
	s_cbranch_execz .LBB935_357
; %bb.347:
	s_and_not1_b32 vcc_lo, exec_lo, s3
	s_cbranch_vccnz .LBB935_356
; %bb.348:
	v_add_nc_u32_e32 v19, -8, v39
	v_mul_lo_u32 v26, v13, s23
	v_mad_u64_u32 v[22:23], null, v13, s22, 0
	s_mov_b32 s2, -1
	ds_load_b64 v[19:20], v19
	s_mov_b32 s3, exec_lo
	s_waitcnt lgkmcnt(0)
	v_mul_lo_u32 v24, v20, s22
	v_mul_lo_u32 v25, v19, s23
	v_mad_u64_u32 v[20:21], null, v19, s22, 0
	v_mul_lo_u32 v19, v14, s22
	s_delay_alu instid0(VALU_DEP_2) | instskip(NEXT) | instid1(VALU_DEP_2)
	v_add3_u32 v21, v21, v25, v24
	v_add3_u32 v23, v23, v26, v19
	s_delay_alu instid0(VALU_DEP_2) | instskip(NEXT) | instid1(VALU_DEP_2)
	v_lshlrev_b64 v[19:20], 2, v[20:21]
	v_lshlrev_b64 v[23:24], 2, v[22:23]
	s_delay_alu instid0(VALU_DEP_2) | instskip(NEXT) | instid1(VALU_DEP_3)
	v_add_co_u32 v21, vcc_lo, s8, v19
	v_add_co_ci_u32_e32 v22, vcc_lo, s9, v20, vcc_lo
	s_delay_alu instid0(VALU_DEP_3) | instskip(NEXT) | instid1(VALU_DEP_4)
	v_add_co_u32 v19, vcc_lo, s8, v23
	v_add_co_ci_u32_e32 v20, vcc_lo, s9, v24, vcc_lo
	s_clause 0x1
	global_load_b32 v23, v[21:22], off
	global_load_b32 v24, v[19:20], off
	s_waitcnt vmcnt(0)
	v_cmpx_eq_f32_e32 v23, v24
	s_cbranch_execz .LBB935_355
; %bb.349:
	v_add_co_u32 v19, vcc_lo, v19, 4
	v_add_co_ci_u32_e32 v20, vcc_lo, 0, v20, vcc_lo
	v_add_co_u32 v21, vcc_lo, v21, 4
	v_add_co_ci_u32_e32 v22, vcc_lo, 0, v22, vcc_lo
	s_add_u32 s4, s22, -1
	s_addc_u32 s5, s23, -1
	s_mov_b64 s[6:7], 0
	s_mov_b32 s8, 0
                                        ; implicit-def: $sgpr9
	s_set_inst_prefetch_distance 0x1
	s_branch .LBB935_352
	.p2align	6
.LBB935_350:                            ;   in Loop: Header=BB935_352 Depth=1
	global_load_b32 v23, v[21:22], off
	global_load_b32 v24, v[19:20], off
	v_add_co_u32 v19, vcc_lo, v19, 4
	v_add_co_ci_u32_e32 v20, vcc_lo, 0, v20, vcc_lo
	v_add_co_u32 v21, s2, v21, 4
	s_delay_alu instid0(VALU_DEP_1)
	v_add_co_ci_u32_e64 v22, s2, 0, v22, s2
	s_add_u32 s6, s6, 1
	s_addc_u32 s7, s7, 0
	s_and_not1_b32 s2, s9, exec_lo
	s_waitcnt vmcnt(0)
	v_cmp_neq_f32_e32 vcc_lo, v23, v24
	s_and_b32 s9, vcc_lo, exec_lo
	s_delay_alu instid0(SALU_CYCLE_1)
	s_or_b32 s9, s2, s9
.LBB935_351:                            ;   in Loop: Header=BB935_352 Depth=1
	v_dual_mov_b32 v24, s7 :: v_dual_mov_b32 v23, s6
	s_and_b32 s2, exec_lo, s9
	s_delay_alu instid0(SALU_CYCLE_1) | instskip(NEXT) | instid1(SALU_CYCLE_1)
	s_or_b32 s8, s2, s8
	s_and_not1_b32 exec_lo, exec_lo, s8
	s_cbranch_execz .LBB935_354
.LBB935_352:                            ; =>This Inner Loop Header: Depth=1
	s_or_b32 s9, s9, exec_lo
	s_cmp_eq_u64 s[4:5], s[6:7]
	s_cbranch_scc0 .LBB935_350
; %bb.353:                              ;   in Loop: Header=BB935_352 Depth=1
	s_mov_b64 s[6:7], s[22:23]
                                        ; implicit-def: $vgpr19_vgpr20
                                        ; implicit-def: $vgpr21_vgpr22
	s_branch .LBB935_351
.LBB935_354:
	s_set_inst_prefetch_distance 0x2
	s_or_b32 exec_lo, exec_lo, s8
	v_cmp_gt_i64_e32 vcc_lo, s[22:23], v[23:24]
	s_or_not1_b32 s2, vcc_lo, exec_lo
.LBB935_355:
	s_or_b32 exec_lo, exec_lo, s3
.LBB935_356:
	s_delay_alu instid0(SALU_CYCLE_1)
	s_and_b32 s2, s2, exec_lo
.LBB935_357:
	s_or_b32 exec_lo, exec_lo, s26
	s_delay_alu instid0(SALU_CYCLE_1)
	s_and_b32 s2, s2, exec_lo
	s_or_b32 s18, s18, exec_lo
.LBB935_358:
	s_or_b32 exec_lo, exec_lo, s19
.LBB935_359:
	s_and_saveexec_b32 s3, s18
	s_cbranch_execz .LBB935_361
; %bb.360:
	s_waitcnt lgkmcnt(0)
	v_and_b32_e32 v19, 0xffffff00, v17
	v_cndmask_b32_e64 v20, 0, 1, s2
	s_delay_alu instid0(VALU_DEP_1) | instskip(NEXT) | instid1(VALU_DEP_1)
	v_or_b32_e32 v19, v20, v19
	v_and_b32_e32 v19, 0xffff, v19
	s_delay_alu instid0(VALU_DEP_1)
	v_and_or_b32 v17, 0xffff0000, v17, v19
.LBB935_361:
	s_or_b32 exec_lo, exec_lo, s3
	s_delay_alu instid0(SALU_CYCLE_1)
	s_and_not1_b32 vcc_lo, exec_lo, s24
	s_cbranch_vccnz .LBB935_363
; %bb.362:
	v_cmp_gt_u32_e32 vcc_lo, s20, v39
	s_waitcnt lgkmcnt(0)
	v_or_b32_e32 v20, 1, v39
	v_and_b32_e32 v21, 0xffffff00, v18
	v_or_b32_e32 v22, 2, v39
	v_cndmask_b32_e32 v19, 0, v17, vcc_lo
	s_delay_alu instid0(VALU_DEP_4) | instskip(SKIP_1) | instid1(VALU_DEP_4)
	v_cmp_gt_u32_e32 vcc_lo, s20, v20
	v_or_b32_e32 v20, 4, v39
	v_cmp_gt_u32_e64 s2, s20, v22
	v_or_b32_e32 v22, 3, v39
	v_and_b32_e32 v19, 0xff, v19
	s_delay_alu instid0(VALU_DEP_2) | instskip(NEXT) | instid1(VALU_DEP_2)
	v_cmp_gt_u32_e64 s3, s20, v22
	v_cndmask_b32_e32 v19, v19, v17, vcc_lo
	v_cmp_gt_u32_e32 vcc_lo, s20, v20
	v_cndmask_b32_e32 v20, v21, v18, vcc_lo
	v_or_b32_e32 v21, 5, v39
	s_delay_alu instid0(VALU_DEP_2) | instskip(SKIP_1) | instid1(VALU_DEP_1)
	v_and_b32_e32 v20, 0xffff00ff, v20
	v_and_b32_e32 v19, 0xffff, v19
	v_cndmask_b32_e64 v19, v19, v17, s2
	s_delay_alu instid0(VALU_DEP_4) | instskip(SKIP_1) | instid1(VALU_DEP_3)
	v_cmp_gt_u32_e64 s2, s20, v21
	v_or_b32_e32 v21, 6, v39
	v_and_b32_e32 v19, 0xffffff, v19
	s_delay_alu instid0(VALU_DEP_3) | instskip(NEXT) | instid1(VALU_DEP_2)
	v_cndmask_b32_e64 v20, v20, v18, s2
	v_cndmask_b32_e64 v19, v19, v17, s3
	s_delay_alu instid0(VALU_DEP_1) | instskip(SKIP_2) | instid1(VALU_DEP_3)
	v_dual_cndmask_b32 v19, v19, v17 :: v_dual_and_b32 v20, 0xff00ffff, v20
	v_cmp_gt_u32_e32 vcc_lo, s20, v21
	v_or_b32_e32 v21, 7, v39
	v_cndmask_b32_e64 v19, v19, v17, s2
	s_delay_alu instid0(VALU_DEP_1) | instskip(NEXT) | instid1(VALU_DEP_1)
	v_dual_cndmask_b32 v20, v20, v18 :: v_dual_cndmask_b32 v19, v19, v17
	v_and_b32_e32 v20, 0xffffff, v20
	s_delay_alu instid0(VALU_DEP_4) | instskip(NEXT) | instid1(VALU_DEP_2)
	v_cmp_gt_u32_e32 vcc_lo, s20, v21
	v_dual_cndmask_b32 v18, v20, v18 :: v_dual_cndmask_b32 v17, v19, v17
.LBB935_363:
	s_delay_alu instid0(VALU_DEP_1) | instskip(SKIP_1) | instid1(VALU_DEP_2)
	v_and_b32_e32 v26, 0xff, v17
	s_waitcnt lgkmcnt(0)
	v_alignbit_b32 v19, v18, v17, 24
	v_bfe_u32 v28, v17, 8, 8
	v_bfe_u32 v30, v17, 16, 8
	v_and_b32_e32 v34, 0xff, v18
	v_bfe_u32 v36, v18, 8, 8
	v_and_b32_e32 v32, 0xff, v19
	v_add_nc_u32_e32 v19, v28, v26
	v_mbcnt_lo_u32_b32 v41, -1, 0
	v_bfe_u32 v38, v18, 16, 8
	v_lshrrev_b32_e32 v40, 24, v18
	v_lshrrev_b32_e32 v42, 5, v0
	v_add3_u32 v19, v19, v30, v32
	v_and_b32_e32 v20, 15, v41
	v_and_b32_e32 v21, 16, v41
	s_and_b32 vcc_lo, exec_lo, s25
	s_mov_b32 s18, -1
	v_add3_u32 v19, v19, v34, v36
	v_cmp_eq_u32_e64 s4, 0, v20
	v_cmp_lt_u32_e64 s2, 1, v20
	v_cmp_lt_u32_e64 s5, 3, v20
	;; [unrolled: 1-line block ×3, first 2 shown]
	v_add3_u32 v43, v19, v38, v40
	v_or_b32_e32 v19, 31, v0
	v_cmp_eq_u32_e64 s7, 0, v21
	s_barrier
	buffer_gl0_inv
	v_cmp_eq_u32_e64 s6, v19, v0
	s_cbranch_vccz .LBB935_389
; %bb.364:
	v_mov_b32_dpp v19, v43 row_shr:1 row_mask:0xf bank_mask:0xf
	s_delay_alu instid0(VALU_DEP_1) | instskip(NEXT) | instid1(VALU_DEP_1)
	v_cndmask_b32_e64 v19, v19, 0, s4
	v_add_nc_u32_e32 v19, v19, v43
	s_delay_alu instid0(VALU_DEP_1) | instskip(NEXT) | instid1(VALU_DEP_1)
	v_mov_b32_dpp v20, v19 row_shr:2 row_mask:0xf bank_mask:0xf
	v_cndmask_b32_e64 v20, 0, v20, s2
	s_delay_alu instid0(VALU_DEP_1) | instskip(NEXT) | instid1(VALU_DEP_1)
	v_add_nc_u32_e32 v19, v19, v20
	v_mov_b32_dpp v20, v19 row_shr:4 row_mask:0xf bank_mask:0xf
	s_delay_alu instid0(VALU_DEP_1) | instskip(NEXT) | instid1(VALU_DEP_1)
	v_cndmask_b32_e64 v20, 0, v20, s5
	v_add_nc_u32_e32 v19, v19, v20
	s_delay_alu instid0(VALU_DEP_1) | instskip(NEXT) | instid1(VALU_DEP_1)
	v_mov_b32_dpp v20, v19 row_shr:8 row_mask:0xf bank_mask:0xf
	v_cndmask_b32_e64 v20, 0, v20, s3
	s_delay_alu instid0(VALU_DEP_1) | instskip(SKIP_3) | instid1(VALU_DEP_1)
	v_add_nc_u32_e32 v19, v19, v20
	ds_swizzle_b32 v20, v19 offset:swizzle(BROADCAST,32,15)
	s_waitcnt lgkmcnt(0)
	v_cndmask_b32_e64 v20, v20, 0, s7
	v_add_nc_u32_e32 v19, v19, v20
	s_and_saveexec_b32 s8, s6
	s_cbranch_execz .LBB935_366
; %bb.365:
	v_lshlrev_b32_e32 v20, 2, v42
	ds_store_b32 v20, v19
.LBB935_366:
	s_or_b32 exec_lo, exec_lo, s8
	s_delay_alu instid0(SALU_CYCLE_1)
	s_mov_b32 s8, exec_lo
	s_waitcnt lgkmcnt(0)
	s_barrier
	buffer_gl0_inv
	v_cmpx_gt_u32_e32 16, v0
	s_cbranch_execz .LBB935_368
; %bb.367:
	v_lshlrev_b32_e32 v20, 2, v0
	ds_load_b32 v21, v20
	s_waitcnt lgkmcnt(0)
	v_mov_b32_dpp v22, v21 row_shr:1 row_mask:0xf bank_mask:0xf
	s_delay_alu instid0(VALU_DEP_1) | instskip(NEXT) | instid1(VALU_DEP_1)
	v_cndmask_b32_e64 v22, v22, 0, s4
	v_add_nc_u32_e32 v21, v22, v21
	s_delay_alu instid0(VALU_DEP_1) | instskip(NEXT) | instid1(VALU_DEP_1)
	v_mov_b32_dpp v22, v21 row_shr:2 row_mask:0xf bank_mask:0xf
	v_cndmask_b32_e64 v22, 0, v22, s2
	s_delay_alu instid0(VALU_DEP_1) | instskip(NEXT) | instid1(VALU_DEP_1)
	v_add_nc_u32_e32 v21, v21, v22
	v_mov_b32_dpp v22, v21 row_shr:4 row_mask:0xf bank_mask:0xf
	s_delay_alu instid0(VALU_DEP_1) | instskip(NEXT) | instid1(VALU_DEP_1)
	v_cndmask_b32_e64 v22, 0, v22, s5
	v_add_nc_u32_e32 v21, v21, v22
	s_delay_alu instid0(VALU_DEP_1) | instskip(NEXT) | instid1(VALU_DEP_1)
	v_mov_b32_dpp v22, v21 row_shr:8 row_mask:0xf bank_mask:0xf
	v_cndmask_b32_e64 v22, 0, v22, s3
	s_delay_alu instid0(VALU_DEP_1)
	v_add_nc_u32_e32 v21, v21, v22
	ds_store_b32 v20, v21
.LBB935_368:
	s_or_b32 exec_lo, exec_lo, s8
	v_cmp_gt_u32_e32 vcc_lo, 32, v0
	s_mov_b32 s9, exec_lo
	s_waitcnt lgkmcnt(0)
	s_barrier
	buffer_gl0_inv
                                        ; implicit-def: $vgpr27
	v_cmpx_lt_u32_e32 31, v0
	s_cbranch_execz .LBB935_370
; %bb.369:
	v_lshl_add_u32 v20, v42, 2, -4
	ds_load_b32 v27, v20
	s_waitcnt lgkmcnt(0)
	v_add_nc_u32_e32 v19, v27, v19
.LBB935_370:
	s_or_b32 exec_lo, exec_lo, s9
	v_add_nc_u32_e32 v20, -1, v41
	s_delay_alu instid0(VALU_DEP_1) | instskip(NEXT) | instid1(VALU_DEP_1)
	v_cmp_gt_i32_e64 s8, 0, v20
	v_cndmask_b32_e64 v20, v20, v41, s8
	v_cmp_eq_u32_e64 s8, 0, v41
	s_delay_alu instid0(VALU_DEP_2)
	v_lshlrev_b32_e32 v20, 2, v20
	ds_bpermute_b32 v29, v20, v19
	s_and_saveexec_b32 s9, vcc_lo
	s_cbranch_execz .LBB935_388
; %bb.371:
	v_mov_b32_e32 v22, 0
	ds_load_b32 v19, v22 offset:60
	s_and_saveexec_b32 s18, s8
	s_cbranch_execz .LBB935_373
; %bb.372:
	s_add_i32 s22, s15, 32
	s_mov_b32 s23, 0
	v_mov_b32_e32 v20, 1
	s_lshl_b64 s[22:23], s[22:23], 3
	s_delay_alu instid0(SALU_CYCLE_1)
	s_add_u32 s22, s10, s22
	s_addc_u32 s23, s11, s23
	s_waitcnt lgkmcnt(0)
	global_store_b64 v22, v[19:20], s[22:23]
.LBB935_373:
	s_or_b32 exec_lo, exec_lo, s18
	v_xad_u32 v20, v41, -1, s15
	s_mov_b32 s19, 0
	s_mov_b32 s18, exec_lo
	s_delay_alu instid0(VALU_DEP_1) | instskip(NEXT) | instid1(VALU_DEP_1)
	v_add_nc_u32_e32 v21, 32, v20
	v_lshlrev_b64 v[21:22], 3, v[21:22]
	s_delay_alu instid0(VALU_DEP_1) | instskip(NEXT) | instid1(VALU_DEP_2)
	v_add_co_u32 v24, vcc_lo, s10, v21
	v_add_co_ci_u32_e32 v25, vcc_lo, s11, v22, vcc_lo
	global_load_b64 v[22:23], v[24:25], off glc
	s_waitcnt vmcnt(0)
	v_and_b32_e32 v21, 0xff, v23
	s_delay_alu instid0(VALU_DEP_1)
	v_cmpx_eq_u16_e32 0, v21
	s_cbranch_execz .LBB935_376
.LBB935_374:                            ; =>This Inner Loop Header: Depth=1
	global_load_b64 v[22:23], v[24:25], off glc
	s_waitcnt vmcnt(0)
	v_and_b32_e32 v21, 0xff, v23
	s_delay_alu instid0(VALU_DEP_1) | instskip(SKIP_1) | instid1(SALU_CYCLE_1)
	v_cmp_ne_u16_e32 vcc_lo, 0, v21
	s_or_b32 s19, vcc_lo, s19
	s_and_not1_b32 exec_lo, exec_lo, s19
	s_cbranch_execnz .LBB935_374
; %bb.375:
	s_or_b32 exec_lo, exec_lo, s19
.LBB935_376:
	s_delay_alu instid0(SALU_CYCLE_1)
	s_or_b32 exec_lo, exec_lo, s18
	v_cmp_ne_u32_e32 vcc_lo, 31, v41
	v_lshlrev_b32_e64 v33, v41, -1
	v_add_nc_u32_e32 v37, 2, v41
	v_add_nc_u32_e32 v46, 4, v41
	;; [unrolled: 1-line block ×3, first 2 shown]
	v_add_co_ci_u32_e32 v21, vcc_lo, 0, v41, vcc_lo
	v_add_nc_u32_e32 v50, 16, v41
	s_delay_alu instid0(VALU_DEP_2)
	v_lshlrev_b32_e32 v31, 2, v21
	v_and_b32_e32 v21, 0xff, v23
	ds_bpermute_b32 v24, v31, v22
	v_cmp_eq_u16_e32 vcc_lo, 2, v21
	v_and_or_b32 v21, vcc_lo, v33, 0x80000000
	v_cmp_gt_u32_e32 vcc_lo, 30, v41
	s_delay_alu instid0(VALU_DEP_2) | instskip(SKIP_1) | instid1(VALU_DEP_2)
	v_ctz_i32_b32_e32 v21, v21
	v_cndmask_b32_e64 v25, 0, 1, vcc_lo
	v_cmp_lt_u32_e32 vcc_lo, v41, v21
	s_waitcnt lgkmcnt(0)
	s_delay_alu instid0(VALU_DEP_2) | instskip(NEXT) | instid1(VALU_DEP_1)
	v_dual_cndmask_b32 v24, 0, v24 :: v_dual_lshlrev_b32 v25, 1, v25
	v_add_lshl_u32 v35, v25, v41, 2
	v_cmp_gt_u32_e32 vcc_lo, 28, v41
	s_delay_alu instid0(VALU_DEP_3) | instskip(SKIP_4) | instid1(VALU_DEP_1)
	v_add_nc_u32_e32 v22, v24, v22
	v_cndmask_b32_e64 v25, 0, 1, vcc_lo
	v_cmp_le_u32_e32 vcc_lo, v37, v21
	ds_bpermute_b32 v24, v35, v22
	v_lshlrev_b32_e32 v25, 2, v25
	v_add_lshl_u32 v44, v25, v41, 2
	s_waitcnt lgkmcnt(0)
	v_cndmask_b32_e32 v24, 0, v24, vcc_lo
	v_cmp_gt_u32_e32 vcc_lo, 24, v41
	s_delay_alu instid0(VALU_DEP_2) | instskip(SKIP_4) | instid1(VALU_DEP_1)
	v_add_nc_u32_e32 v22, v22, v24
	v_cndmask_b32_e64 v25, 0, 1, vcc_lo
	v_cmp_le_u32_e32 vcc_lo, v46, v21
	ds_bpermute_b32 v24, v44, v22
	v_lshlrev_b32_e32 v25, 3, v25
	v_add_lshl_u32 v47, v25, v41, 2
	s_waitcnt lgkmcnt(0)
	v_cndmask_b32_e32 v24, 0, v24, vcc_lo
	v_cmp_gt_u32_e32 vcc_lo, 16, v41
	s_delay_alu instid0(VALU_DEP_2) | instskip(SKIP_4) | instid1(VALU_DEP_1)
	v_add_nc_u32_e32 v22, v22, v24
	v_cndmask_b32_e64 v25, 0, 1, vcc_lo
	v_cmp_le_u32_e32 vcc_lo, v48, v21
	ds_bpermute_b32 v24, v47, v22
	v_lshlrev_b32_e32 v25, 4, v25
	v_add_lshl_u32 v49, v25, v41, 2
	s_waitcnt lgkmcnt(0)
	v_cndmask_b32_e32 v24, 0, v24, vcc_lo
	v_cmp_le_u32_e32 vcc_lo, v50, v21
	s_delay_alu instid0(VALU_DEP_2) | instskip(SKIP_3) | instid1(VALU_DEP_1)
	v_add_nc_u32_e32 v22, v22, v24
	ds_bpermute_b32 v24, v49, v22
	s_waitcnt lgkmcnt(0)
	v_cndmask_b32_e32 v21, 0, v24, vcc_lo
	v_dual_mov_b32 v21, 0 :: v_dual_add_nc_u32 v22, v22, v21
	s_branch .LBB935_378
.LBB935_377:                            ;   in Loop: Header=BB935_378 Depth=1
	s_or_b32 exec_lo, exec_lo, s18
	ds_bpermute_b32 v25, v31, v22
	v_and_b32_e32 v24, 0xff, v23
	v_subrev_nc_u32_e32 v20, 32, v20
	s_delay_alu instid0(VALU_DEP_2) | instskip(SKIP_1) | instid1(VALU_DEP_1)
	v_cmp_eq_u16_e32 vcc_lo, 2, v24
	v_and_or_b32 v24, vcc_lo, v33, 0x80000000
	v_ctz_i32_b32_e32 v24, v24
	s_delay_alu instid0(VALU_DEP_1) | instskip(SKIP_3) | instid1(VALU_DEP_2)
	v_cmp_lt_u32_e32 vcc_lo, v41, v24
	s_waitcnt lgkmcnt(0)
	v_cndmask_b32_e32 v25, 0, v25, vcc_lo
	v_cmp_le_u32_e32 vcc_lo, v37, v24
	v_add_nc_u32_e32 v22, v25, v22
	ds_bpermute_b32 v25, v35, v22
	s_waitcnt lgkmcnt(0)
	v_cndmask_b32_e32 v25, 0, v25, vcc_lo
	v_cmp_le_u32_e32 vcc_lo, v46, v24
	s_delay_alu instid0(VALU_DEP_2) | instskip(SKIP_4) | instid1(VALU_DEP_2)
	v_add_nc_u32_e32 v22, v22, v25
	ds_bpermute_b32 v25, v44, v22
	s_waitcnt lgkmcnt(0)
	v_cndmask_b32_e32 v25, 0, v25, vcc_lo
	v_cmp_le_u32_e32 vcc_lo, v48, v24
	v_add_nc_u32_e32 v22, v22, v25
	ds_bpermute_b32 v25, v47, v22
	s_waitcnt lgkmcnt(0)
	v_cndmask_b32_e32 v25, 0, v25, vcc_lo
	v_cmp_le_u32_e32 vcc_lo, v50, v24
	s_delay_alu instid0(VALU_DEP_2) | instskip(SKIP_3) | instid1(VALU_DEP_1)
	v_add_nc_u32_e32 v22, v22, v25
	ds_bpermute_b32 v25, v49, v22
	s_waitcnt lgkmcnt(0)
	v_cndmask_b32_e32 v24, 0, v25, vcc_lo
	v_add3_u32 v22, v24, v45, v22
.LBB935_378:                            ; =>This Loop Header: Depth=1
                                        ;     Child Loop BB935_381 Depth 2
	v_and_b32_e32 v23, 0xff, v23
	s_delay_alu instid0(VALU_DEP_2) | instskip(NEXT) | instid1(VALU_DEP_2)
	v_mov_b32_e32 v45, v22
	v_cmp_ne_u16_e32 vcc_lo, 2, v23
	v_cndmask_b32_e64 v23, 0, 1, vcc_lo
	;;#ASMSTART
	;;#ASMEND
	s_delay_alu instid0(VALU_DEP_1)
	v_cmp_ne_u32_e32 vcc_lo, 0, v23
	s_cmp_lg_u32 vcc_lo, exec_lo
	s_cbranch_scc1 .LBB935_383
; %bb.379:                              ;   in Loop: Header=BB935_378 Depth=1
	v_lshlrev_b64 v[22:23], 3, v[20:21]
	s_mov_b32 s18, exec_lo
	s_delay_alu instid0(VALU_DEP_1) | instskip(NEXT) | instid1(VALU_DEP_2)
	v_add_co_u32 v24, vcc_lo, s10, v22
	v_add_co_ci_u32_e32 v25, vcc_lo, s11, v23, vcc_lo
	global_load_b64 v[22:23], v[24:25], off glc
	s_waitcnt vmcnt(0)
	v_and_b32_e32 v51, 0xff, v23
	s_delay_alu instid0(VALU_DEP_1)
	v_cmpx_eq_u16_e32 0, v51
	s_cbranch_execz .LBB935_377
; %bb.380:                              ;   in Loop: Header=BB935_378 Depth=1
	s_mov_b32 s19, 0
.LBB935_381:                            ;   Parent Loop BB935_378 Depth=1
                                        ; =>  This Inner Loop Header: Depth=2
	global_load_b64 v[22:23], v[24:25], off glc
	s_waitcnt vmcnt(0)
	v_and_b32_e32 v51, 0xff, v23
	s_delay_alu instid0(VALU_DEP_1) | instskip(SKIP_1) | instid1(SALU_CYCLE_1)
	v_cmp_ne_u16_e32 vcc_lo, 0, v51
	s_or_b32 s19, vcc_lo, s19
	s_and_not1_b32 exec_lo, exec_lo, s19
	s_cbranch_execnz .LBB935_381
; %bb.382:                              ;   in Loop: Header=BB935_378 Depth=1
	s_or_b32 exec_lo, exec_lo, s19
	s_branch .LBB935_377
.LBB935_383:                            ;   in Loop: Header=BB935_378 Depth=1
                                        ; implicit-def: $vgpr22
                                        ; implicit-def: $vgpr23
	s_cbranch_execz .LBB935_378
; %bb.384:
	s_and_saveexec_b32 s18, s8
	s_cbranch_execz .LBB935_386
; %bb.385:
	s_add_i32 s22, s15, 32
	s_mov_b32 s23, 0
	v_dual_mov_b32 v21, 2 :: v_dual_add_nc_u32 v20, v45, v19
	s_lshl_b64 s[22:23], s[22:23], 3
	v_mov_b32_e32 v22, 0
	v_add_nc_u32_e64 v23, 0x8400, 0
	s_add_u32 s22, s10, s22
	s_addc_u32 s23, s11, s23
	global_store_b64 v22, v[20:21], s[22:23]
	ds_store_2addr_b32 v23, v19, v45 offset1:2
.LBB935_386:
	s_or_b32 exec_lo, exec_lo, s18
	v_cmp_eq_u32_e32 vcc_lo, 0, v0
	s_and_b32 exec_lo, exec_lo, vcc_lo
	s_cbranch_execz .LBB935_388
; %bb.387:
	v_mov_b32_e32 v19, 0
	ds_store_b32 v19, v45 offset:60
.LBB935_388:
	s_or_b32 exec_lo, exec_lo, s9
	s_waitcnt lgkmcnt(0)
	v_cndmask_b32_e64 v20, v29, v27, s8
	v_cmp_ne_u32_e32 vcc_lo, 0, v0
	v_mov_b32_e32 v19, 0
	s_waitcnt_vscnt null, 0x0
	s_barrier
	buffer_gl0_inv
	v_cndmask_b32_e32 v20, 0, v20, vcc_lo
	ds_load_b32 v19, v19 offset:60
	s_waitcnt lgkmcnt(0)
	s_barrier
	buffer_gl0_inv
	v_add_nc_u32_e32 v37, v19, v20
	v_add_nc_u32_e64 v19, 0x8400, 0
	s_delay_alu instid0(VALU_DEP_2) | instskip(SKIP_2) | instid1(VALU_DEP_1)
	v_add_nc_u32_e32 v35, v37, v26
	ds_load_2addr_b32 v[19:20], v19 offset1:2
	v_add_nc_u32_e32 v33, v35, v28
	v_add_nc_u32_e32 v31, v33, v30
	s_delay_alu instid0(VALU_DEP_1) | instskip(NEXT) | instid1(VALU_DEP_1)
	v_add_nc_u32_e32 v29, v31, v32
	v_add_nc_u32_e32 v27, v29, v34
	s_delay_alu instid0(VALU_DEP_1) | instskip(NEXT) | instid1(VALU_DEP_1)
	v_add_nc_u32_e32 v25, v27, v36
	v_add_nc_u32_e32 v23, v25, v38
	s_load_b64 s[8:9], s[0:1], 0x28
	v_lshrrev_b64 v[21:22], 24, v[17:18]
	s_branch .LBB935_399
.LBB935_389:
                                        ; implicit-def: $vgpr23
                                        ; implicit-def: $vgpr25
                                        ; implicit-def: $vgpr27
                                        ; implicit-def: $vgpr29
                                        ; implicit-def: $vgpr31
                                        ; implicit-def: $vgpr33
                                        ; implicit-def: $vgpr35
                                        ; implicit-def: $vgpr37
                                        ; implicit-def: $vgpr20
	s_load_b64 s[8:9], s[0:1], 0x28
	v_lshrrev_b64 v[21:22], 24, v[17:18]
	s_and_b32 vcc_lo, exec_lo, s18
	s_cbranch_vccz .LBB935_399
; %bb.390:
	s_waitcnt lgkmcnt(0)
	v_mov_b32_dpp v19, v43 row_shr:1 row_mask:0xf bank_mask:0xf
	s_delay_alu instid0(VALU_DEP_1) | instskip(NEXT) | instid1(VALU_DEP_1)
	v_cndmask_b32_e64 v19, v19, 0, s4
	v_add_nc_u32_e32 v19, v19, v43
	s_delay_alu instid0(VALU_DEP_1) | instskip(NEXT) | instid1(VALU_DEP_1)
	v_mov_b32_dpp v20, v19 row_shr:2 row_mask:0xf bank_mask:0xf
	v_cndmask_b32_e64 v20, 0, v20, s2
	s_delay_alu instid0(VALU_DEP_1) | instskip(NEXT) | instid1(VALU_DEP_1)
	v_add_nc_u32_e32 v19, v19, v20
	v_mov_b32_dpp v20, v19 row_shr:4 row_mask:0xf bank_mask:0xf
	s_delay_alu instid0(VALU_DEP_1) | instskip(NEXT) | instid1(VALU_DEP_1)
	v_cndmask_b32_e64 v20, 0, v20, s5
	v_add_nc_u32_e32 v19, v19, v20
	s_delay_alu instid0(VALU_DEP_1) | instskip(NEXT) | instid1(VALU_DEP_1)
	v_mov_b32_dpp v20, v19 row_shr:8 row_mask:0xf bank_mask:0xf
	v_cndmask_b32_e64 v20, 0, v20, s3
	s_delay_alu instid0(VALU_DEP_1) | instskip(SKIP_3) | instid1(VALU_DEP_1)
	v_add_nc_u32_e32 v19, v19, v20
	ds_swizzle_b32 v20, v19 offset:swizzle(BROADCAST,32,15)
	s_waitcnt lgkmcnt(0)
	v_cndmask_b32_e64 v20, v20, 0, s7
	v_add_nc_u32_e32 v19, v19, v20
	s_and_saveexec_b32 s0, s6
	s_cbranch_execz .LBB935_392
; %bb.391:
	v_lshlrev_b32_e32 v20, 2, v42
	ds_store_b32 v20, v19
.LBB935_392:
	s_or_b32 exec_lo, exec_lo, s0
	s_delay_alu instid0(SALU_CYCLE_1)
	s_mov_b32 s0, exec_lo
	s_waitcnt lgkmcnt(0)
	s_barrier
	buffer_gl0_inv
	v_cmpx_gt_u32_e32 16, v0
	s_cbranch_execz .LBB935_394
; %bb.393:
	v_lshlrev_b32_e32 v20, 2, v0
	ds_load_b32 v22, v20
	s_waitcnt lgkmcnt(0)
	v_mov_b32_dpp v23, v22 row_shr:1 row_mask:0xf bank_mask:0xf
	s_delay_alu instid0(VALU_DEP_1) | instskip(NEXT) | instid1(VALU_DEP_1)
	v_cndmask_b32_e64 v23, v23, 0, s4
	v_add_nc_u32_e32 v22, v23, v22
	s_delay_alu instid0(VALU_DEP_1) | instskip(NEXT) | instid1(VALU_DEP_1)
	v_mov_b32_dpp v23, v22 row_shr:2 row_mask:0xf bank_mask:0xf
	v_cndmask_b32_e64 v23, 0, v23, s2
	s_delay_alu instid0(VALU_DEP_1) | instskip(NEXT) | instid1(VALU_DEP_1)
	v_add_nc_u32_e32 v22, v22, v23
	v_mov_b32_dpp v23, v22 row_shr:4 row_mask:0xf bank_mask:0xf
	s_delay_alu instid0(VALU_DEP_1) | instskip(NEXT) | instid1(VALU_DEP_1)
	v_cndmask_b32_e64 v23, 0, v23, s5
	v_add_nc_u32_e32 v22, v22, v23
	s_delay_alu instid0(VALU_DEP_1) | instskip(NEXT) | instid1(VALU_DEP_1)
	v_mov_b32_dpp v23, v22 row_shr:8 row_mask:0xf bank_mask:0xf
	v_cndmask_b32_e64 v23, 0, v23, s3
	s_delay_alu instid0(VALU_DEP_1)
	v_add_nc_u32_e32 v22, v22, v23
	ds_store_b32 v20, v22
.LBB935_394:
	s_or_b32 exec_lo, exec_lo, s0
	v_mov_b32_e32 v20, 0
	v_mov_b32_e32 v22, 0
	s_mov_b32 s0, exec_lo
	s_waitcnt lgkmcnt(0)
	s_barrier
	buffer_gl0_inv
	v_cmpx_lt_u32_e32 31, v0
	s_cbranch_execz .LBB935_396
; %bb.395:
	v_lshl_add_u32 v22, v42, 2, -4
	ds_load_b32 v22, v22
.LBB935_396:
	s_or_b32 exec_lo, exec_lo, s0
	v_add_nc_u32_e32 v23, -1, v41
	s_waitcnt lgkmcnt(0)
	v_add_nc_u32_e32 v19, v22, v19
	s_delay_alu instid0(VALU_DEP_2) | instskip(SKIP_2) | instid1(VALU_DEP_2)
	v_cmp_gt_i32_e32 vcc_lo, 0, v23
	v_cndmask_b32_e32 v23, v23, v41, vcc_lo
	v_cmp_eq_u32_e32 vcc_lo, 0, v0
	v_lshlrev_b32_e32 v23, 2, v23
	ds_bpermute_b32 v23, v23, v19
	ds_load_b32 v19, v20 offset:60
	s_and_saveexec_b32 s0, vcc_lo
	s_cbranch_execz .LBB935_398
; %bb.397:
	v_mov_b32_e32 v24, 0
	v_mov_b32_e32 v20, 2
	s_waitcnt lgkmcnt(0)
	global_store_b64 v24, v[19:20], s[10:11] offset:256
.LBB935_398:
	s_or_b32 exec_lo, exec_lo, s0
	v_cmp_eq_u32_e64 s0, 0, v41
	s_waitcnt lgkmcnt(0)
	s_waitcnt_vscnt null, 0x0
	s_barrier
	buffer_gl0_inv
	v_cndmask_b32_e64 v20, v23, v22, s0
	s_delay_alu instid0(VALU_DEP_1) | instskip(NEXT) | instid1(VALU_DEP_1)
	v_cndmask_b32_e64 v37, v20, 0, vcc_lo
	v_dual_mov_b32 v20, 0 :: v_dual_add_nc_u32 v35, v37, v26
	s_delay_alu instid0(VALU_DEP_1) | instskip(NEXT) | instid1(VALU_DEP_1)
	v_add_nc_u32_e32 v33, v35, v28
	v_add_nc_u32_e32 v31, v33, v30
	s_delay_alu instid0(VALU_DEP_1) | instskip(NEXT) | instid1(VALU_DEP_1)
	v_add_nc_u32_e32 v29, v31, v32
	v_add_nc_u32_e32 v27, v29, v34
	;; [unrolled: 3-line block ×3, first 2 shown]
.LBB935_399:
	s_waitcnt lgkmcnt(0)
	v_cmp_gt_u32_e32 vcc_lo, 0x201, v19
	v_lshrrev_b32_e32 v43, 8, v17
	v_lshrrev_b32_e32 v42, 16, v17
	;; [unrolled: 1-line block ×4, first 2 shown]
	s_mov_b32 s0, -1
	s_cbranch_vccnz .LBB935_403
; %bb.400:
	s_and_b32 vcc_lo, exec_lo, s0
	s_cbranch_vccnz .LBB935_428
.LBB935_401:
	v_cmp_eq_u32_e32 vcc_lo, 0, v0
	s_and_b32 s0, vcc_lo, s14
	s_delay_alu instid0(SALU_CYCLE_1)
	s_and_saveexec_b32 s1, s0
	s_cbranch_execnz .LBB935_448
.LBB935_402:
	s_nop 0
	s_sendmsg sendmsg(MSG_DEALLOC_VGPRS)
	s_endpgm
.LBB935_403:
	v_add_nc_u32_e32 v24, v20, v19
	s_delay_alu instid0(VALU_DEP_1) | instskip(SKIP_1) | instid1(SALU_CYCLE_1)
	v_cmp_lt_u32_e32 vcc_lo, v37, v24
	s_or_b32 s1, s21, vcc_lo
	s_and_saveexec_b32 s0, s1
	s_cbranch_execz .LBB935_406
; %bb.404:
	v_and_b32_e32 v26, 1, v17
	s_delay_alu instid0(VALU_DEP_1)
	v_cmp_eq_u32_e32 vcc_lo, 1, v26
	s_and_b32 exec_lo, exec_lo, vcc_lo
	s_cbranch_execz .LBB935_406
; %bb.405:
	v_mov_b32_e32 v38, 0
	s_lshl_b64 s[2:3], s[12:13], 3
	s_delay_alu instid0(SALU_CYCLE_1) | instskip(SKIP_1) | instid1(VALU_DEP_1)
	s_add_u32 s1, s8, s2
	s_addc_u32 s2, s9, s3
	v_lshlrev_b64 v[44:45], 3, v[37:38]
	s_delay_alu instid0(VALU_DEP_1) | instskip(NEXT) | instid1(VALU_DEP_2)
	v_add_co_u32 v44, vcc_lo, s1, v44
	v_add_co_ci_u32_e32 v45, vcc_lo, s2, v45, vcc_lo
	global_store_b64 v[44:45], v[13:14], off
.LBB935_406:
	s_or_b32 exec_lo, exec_lo, s0
	v_cmp_lt_u32_e32 vcc_lo, v35, v24
	s_or_b32 s1, s21, vcc_lo
	s_delay_alu instid0(SALU_CYCLE_1)
	s_and_saveexec_b32 s0, s1
	s_cbranch_execz .LBB935_409
; %bb.407:
	v_and_b32_e32 v26, 1, v43
	s_delay_alu instid0(VALU_DEP_1)
	v_cmp_eq_u32_e32 vcc_lo, 1, v26
	s_and_b32 exec_lo, exec_lo, vcc_lo
	s_cbranch_execz .LBB935_409
; %bb.408:
	v_mov_b32_e32 v36, 0
	s_lshl_b64 s[2:3], s[12:13], 3
	s_delay_alu instid0(SALU_CYCLE_1) | instskip(SKIP_1) | instid1(VALU_DEP_1)
	s_add_u32 s1, s8, s2
	s_addc_u32 s2, s9, s3
	v_lshlrev_b64 v[44:45], 3, v[35:36]
	s_delay_alu instid0(VALU_DEP_1) | instskip(NEXT) | instid1(VALU_DEP_2)
	v_add_co_u32 v44, vcc_lo, s1, v44
	v_add_co_ci_u32_e32 v45, vcc_lo, s2, v45, vcc_lo
	global_store_b64 v[44:45], v[15:16], off
.LBB935_409:
	s_or_b32 exec_lo, exec_lo, s0
	v_cmp_lt_u32_e32 vcc_lo, v33, v24
	s_or_b32 s1, s21, vcc_lo
	s_delay_alu instid0(SALU_CYCLE_1)
	;; [unrolled: 24-line block ×7, first 2 shown]
	s_and_saveexec_b32 s0, s1
	s_cbranch_execz .LBB935_427
; %bb.425:
	v_and_b32_e32 v24, 1, v40
	s_delay_alu instid0(VALU_DEP_1)
	v_cmp_eq_u32_e32 vcc_lo, 1, v24
	s_and_b32 exec_lo, exec_lo, vcc_lo
	s_cbranch_execz .LBB935_427
; %bb.426:
	v_mov_b32_e32 v24, 0
	s_lshl_b64 s[2:3], s[12:13], 3
	s_delay_alu instid0(SALU_CYCLE_1) | instskip(SKIP_1) | instid1(VALU_DEP_1)
	s_add_u32 s1, s8, s2
	s_addc_u32 s2, s9, s3
	v_lshlrev_b64 v[44:45], 3, v[23:24]
	s_delay_alu instid0(VALU_DEP_1) | instskip(NEXT) | instid1(VALU_DEP_2)
	v_add_co_u32 v44, vcc_lo, s1, v44
	v_add_co_ci_u32_e32 v45, vcc_lo, s2, v45, vcc_lo
	global_store_b64 v[44:45], v[3:4], off
.LBB935_427:
	s_or_b32 exec_lo, exec_lo, s0
	s_branch .LBB935_401
.LBB935_428:
	v_and_b32_e32 v17, 1, v17
	s_mov_b32 s0, exec_lo
	s_delay_alu instid0(VALU_DEP_1)
	v_cmpx_eq_u32_e32 1, v17
	s_cbranch_execz .LBB935_430
; %bb.429:
	v_sub_nc_u32_e32 v17, v37, v20
	s_delay_alu instid0(VALU_DEP_1)
	v_lshlrev_b32_e32 v17, 3, v17
	ds_store_b64 v17, v[13:14]
.LBB935_430:
	s_or_b32 exec_lo, exec_lo, s0
	v_and_b32_e32 v13, 1, v43
	s_mov_b32 s0, exec_lo
	s_delay_alu instid0(VALU_DEP_1)
	v_cmpx_eq_u32_e32 1, v13
	s_cbranch_execz .LBB935_432
; %bb.431:
	v_sub_nc_u32_e32 v13, v35, v20
	s_delay_alu instid0(VALU_DEP_1)
	v_lshlrev_b32_e32 v13, 3, v13
	ds_store_b64 v13, v[15:16]
.LBB935_432:
	s_or_b32 exec_lo, exec_lo, s0
	;; [unrolled: 12-line block ×8, first 2 shown]
	s_delay_alu instid0(SALU_CYCLE_1)
	s_mov_b32 s1, exec_lo
	s_waitcnt lgkmcnt(0)
	s_waitcnt_vscnt null, 0x0
	s_barrier
	buffer_gl0_inv
	v_cmpx_lt_u32_e64 v0, v19
	s_cbranch_execz .LBB935_447
; %bb.445:
	v_dual_mov_b32 v2, 0 :: v_dual_mov_b32 v1, v20
	s_lshl_b64 s[2:3], s[12:13], 3
	v_mov_b32_e32 v3, v0
	s_delay_alu instid0(VALU_DEP_2) | instskip(NEXT) | instid1(VALU_DEP_1)
	v_lshlrev_b64 v[1:2], 3, v[1:2]
	v_add_co_u32 v1, vcc_lo, s2, v1
	s_delay_alu instid0(VALU_DEP_2) | instskip(SKIP_1) | instid1(VALU_DEP_2)
	v_add_co_ci_u32_e32 v2, vcc_lo, s3, v2, vcc_lo
	s_mov_b32 s2, 0
	v_add_co_u32 v1, vcc_lo, s8, v1
	s_delay_alu instid0(VALU_DEP_2) | instskip(NEXT) | instid1(VALU_DEP_2)
	v_add_co_ci_u32_e32 v2, vcc_lo, s9, v2, vcc_lo
	v_add_co_u32 v1, vcc_lo, v1, v39
	s_delay_alu instid0(VALU_DEP_2)
	v_add_co_ci_u32_e32 v2, vcc_lo, 0, v2, vcc_lo
	.p2align	6
.LBB935_446:                            ; =>This Inner Loop Header: Depth=1
	ds_load_b64 v[4:5], v39
	v_add_nc_u32_e32 v3, 0x200, v3
	v_add_nc_u32_e32 v39, 0x1000, v39
	s_delay_alu instid0(VALU_DEP_2) | instskip(SKIP_4) | instid1(VALU_DEP_1)
	v_cmp_ge_u32_e32 vcc_lo, v3, v19
	s_or_b32 s2, vcc_lo, s2
	s_waitcnt lgkmcnt(0)
	global_store_b64 v[1:2], v[4:5], off
	v_add_co_u32 v1, s0, 0x1000, v1
	v_add_co_ci_u32_e64 v2, s0, 0, v2, s0
	s_and_not1_b32 exec_lo, exec_lo, s2
	s_cbranch_execnz .LBB935_446
.LBB935_447:
	s_or_b32 exec_lo, exec_lo, s1
	v_cmp_eq_u32_e32 vcc_lo, 0, v0
	s_and_b32 s0, vcc_lo, s14
	s_delay_alu instid0(SALU_CYCLE_1)
	s_and_saveexec_b32 s1, s0
	s_cbranch_execz .LBB935_402
.LBB935_448:
	v_add_co_u32 v0, s0, s12, v19
	s_delay_alu instid0(VALU_DEP_1) | instskip(SKIP_1) | instid1(VALU_DEP_3)
	v_add_co_ci_u32_e64 v1, null, s13, 0, s0
	v_mov_b32_e32 v2, 0
	v_add_co_u32 v0, vcc_lo, v0, v20
	s_delay_alu instid0(VALU_DEP_3)
	v_add_co_ci_u32_e32 v1, vcc_lo, 0, v1, vcc_lo
	global_store_b64 v2, v[0:1], s[16:17]
	s_nop 0
	s_sendmsg sendmsg(MSG_DEALLOC_VGPRS)
	s_endpgm
	.section	.rodata,"a",@progbits
	.p2align	6, 0x0
	.amdhsa_kernel _ZN7rocprim17ROCPRIM_400000_NS6detail17trampoline_kernelINS0_14default_configENS1_25partition_config_selectorILNS1_17partition_subalgoE8ElNS0_10empty_typeEbEEZZNS1_14partition_implILS5_8ELb0ES3_jPlPS6_PKS6_NS0_5tupleIJS9_S6_EEENSD_IJSA_SA_EEENS0_18inequality_wrapperIZN2at6native12_GLOBAL__N_124unique_dim_cuda_templateIfEESt5tupleIJNSH_6TensorESM_SM_EERKSM_lbbbEUlllE0_EEPmJS6_EEE10hipError_tPvRmT3_T4_T5_T6_T7_T9_mT8_P12ihipStream_tbDpT10_ENKUlT_T0_E_clISt17integral_constantIbLb0EES1C_EEDaS17_S18_EUlS17_E_NS1_11comp_targetILNS1_3genE9ELNS1_11target_archE1100ELNS1_3gpuE3ELNS1_3repE0EEENS1_30default_config_static_selectorELNS0_4arch9wavefront6targetE0EEEvT1_
		.amdhsa_group_segment_fixed_size 33804
		.amdhsa_private_segment_fixed_size 0
		.amdhsa_kernarg_size 120
		.amdhsa_user_sgpr_count 15
		.amdhsa_user_sgpr_dispatch_ptr 0
		.amdhsa_user_sgpr_queue_ptr 0
		.amdhsa_user_sgpr_kernarg_segment_ptr 1
		.amdhsa_user_sgpr_dispatch_id 0
		.amdhsa_user_sgpr_private_segment_size 0
		.amdhsa_wavefront_size32 1
		.amdhsa_uses_dynamic_stack 0
		.amdhsa_enable_private_segment 0
		.amdhsa_system_sgpr_workgroup_id_x 1
		.amdhsa_system_sgpr_workgroup_id_y 0
		.amdhsa_system_sgpr_workgroup_id_z 0
		.amdhsa_system_sgpr_workgroup_info 0
		.amdhsa_system_vgpr_workitem_id 0
		.amdhsa_next_free_vgpr 52
		.amdhsa_next_free_sgpr 36
		.amdhsa_reserve_vcc 1
		.amdhsa_float_round_mode_32 0
		.amdhsa_float_round_mode_16_64 0
		.amdhsa_float_denorm_mode_32 3
		.amdhsa_float_denorm_mode_16_64 3
		.amdhsa_dx10_clamp 1
		.amdhsa_ieee_mode 1
		.amdhsa_fp16_overflow 0
		.amdhsa_workgroup_processor_mode 1
		.amdhsa_memory_ordered 1
		.amdhsa_forward_progress 0
		.amdhsa_shared_vgpr_count 0
		.amdhsa_exception_fp_ieee_invalid_op 0
		.amdhsa_exception_fp_denorm_src 0
		.amdhsa_exception_fp_ieee_div_zero 0
		.amdhsa_exception_fp_ieee_overflow 0
		.amdhsa_exception_fp_ieee_underflow 0
		.amdhsa_exception_fp_ieee_inexact 0
		.amdhsa_exception_int_div_zero 0
	.end_amdhsa_kernel
	.section	.text._ZN7rocprim17ROCPRIM_400000_NS6detail17trampoline_kernelINS0_14default_configENS1_25partition_config_selectorILNS1_17partition_subalgoE8ElNS0_10empty_typeEbEEZZNS1_14partition_implILS5_8ELb0ES3_jPlPS6_PKS6_NS0_5tupleIJS9_S6_EEENSD_IJSA_SA_EEENS0_18inequality_wrapperIZN2at6native12_GLOBAL__N_124unique_dim_cuda_templateIfEESt5tupleIJNSH_6TensorESM_SM_EERKSM_lbbbEUlllE0_EEPmJS6_EEE10hipError_tPvRmT3_T4_T5_T6_T7_T9_mT8_P12ihipStream_tbDpT10_ENKUlT_T0_E_clISt17integral_constantIbLb0EES1C_EEDaS17_S18_EUlS17_E_NS1_11comp_targetILNS1_3genE9ELNS1_11target_archE1100ELNS1_3gpuE3ELNS1_3repE0EEENS1_30default_config_static_selectorELNS0_4arch9wavefront6targetE0EEEvT1_,"axG",@progbits,_ZN7rocprim17ROCPRIM_400000_NS6detail17trampoline_kernelINS0_14default_configENS1_25partition_config_selectorILNS1_17partition_subalgoE8ElNS0_10empty_typeEbEEZZNS1_14partition_implILS5_8ELb0ES3_jPlPS6_PKS6_NS0_5tupleIJS9_S6_EEENSD_IJSA_SA_EEENS0_18inequality_wrapperIZN2at6native12_GLOBAL__N_124unique_dim_cuda_templateIfEESt5tupleIJNSH_6TensorESM_SM_EERKSM_lbbbEUlllE0_EEPmJS6_EEE10hipError_tPvRmT3_T4_T5_T6_T7_T9_mT8_P12ihipStream_tbDpT10_ENKUlT_T0_E_clISt17integral_constantIbLb0EES1C_EEDaS17_S18_EUlS17_E_NS1_11comp_targetILNS1_3genE9ELNS1_11target_archE1100ELNS1_3gpuE3ELNS1_3repE0EEENS1_30default_config_static_selectorELNS0_4arch9wavefront6targetE0EEEvT1_,comdat
.Lfunc_end935:
	.size	_ZN7rocprim17ROCPRIM_400000_NS6detail17trampoline_kernelINS0_14default_configENS1_25partition_config_selectorILNS1_17partition_subalgoE8ElNS0_10empty_typeEbEEZZNS1_14partition_implILS5_8ELb0ES3_jPlPS6_PKS6_NS0_5tupleIJS9_S6_EEENSD_IJSA_SA_EEENS0_18inequality_wrapperIZN2at6native12_GLOBAL__N_124unique_dim_cuda_templateIfEESt5tupleIJNSH_6TensorESM_SM_EERKSM_lbbbEUlllE0_EEPmJS6_EEE10hipError_tPvRmT3_T4_T5_T6_T7_T9_mT8_P12ihipStream_tbDpT10_ENKUlT_T0_E_clISt17integral_constantIbLb0EES1C_EEDaS17_S18_EUlS17_E_NS1_11comp_targetILNS1_3genE9ELNS1_11target_archE1100ELNS1_3gpuE3ELNS1_3repE0EEENS1_30default_config_static_selectorELNS0_4arch9wavefront6targetE0EEEvT1_, .Lfunc_end935-_ZN7rocprim17ROCPRIM_400000_NS6detail17trampoline_kernelINS0_14default_configENS1_25partition_config_selectorILNS1_17partition_subalgoE8ElNS0_10empty_typeEbEEZZNS1_14partition_implILS5_8ELb0ES3_jPlPS6_PKS6_NS0_5tupleIJS9_S6_EEENSD_IJSA_SA_EEENS0_18inequality_wrapperIZN2at6native12_GLOBAL__N_124unique_dim_cuda_templateIfEESt5tupleIJNSH_6TensorESM_SM_EERKSM_lbbbEUlllE0_EEPmJS6_EEE10hipError_tPvRmT3_T4_T5_T6_T7_T9_mT8_P12ihipStream_tbDpT10_ENKUlT_T0_E_clISt17integral_constantIbLb0EES1C_EEDaS17_S18_EUlS17_E_NS1_11comp_targetILNS1_3genE9ELNS1_11target_archE1100ELNS1_3gpuE3ELNS1_3repE0EEENS1_30default_config_static_selectorELNS0_4arch9wavefront6targetE0EEEvT1_
                                        ; -- End function
	.section	.AMDGPU.csdata,"",@progbits
; Kernel info:
; codeLenInByte = 18104
; NumSgprs: 38
; NumVgprs: 52
; ScratchSize: 0
; MemoryBound: 0
; FloatMode: 240
; IeeeMode: 1
; LDSByteSize: 33804 bytes/workgroup (compile time only)
; SGPRBlocks: 4
; VGPRBlocks: 6
; NumSGPRsForWavesPerEU: 38
; NumVGPRsForWavesPerEU: 52
; Occupancy: 12
; WaveLimiterHint : 1
; COMPUTE_PGM_RSRC2:SCRATCH_EN: 0
; COMPUTE_PGM_RSRC2:USER_SGPR: 15
; COMPUTE_PGM_RSRC2:TRAP_HANDLER: 0
; COMPUTE_PGM_RSRC2:TGID_X_EN: 1
; COMPUTE_PGM_RSRC2:TGID_Y_EN: 0
; COMPUTE_PGM_RSRC2:TGID_Z_EN: 0
; COMPUTE_PGM_RSRC2:TIDIG_COMP_CNT: 0
	.section	.text._ZN7rocprim17ROCPRIM_400000_NS6detail17trampoline_kernelINS0_14default_configENS1_25partition_config_selectorILNS1_17partition_subalgoE8ElNS0_10empty_typeEbEEZZNS1_14partition_implILS5_8ELb0ES3_jPlPS6_PKS6_NS0_5tupleIJS9_S6_EEENSD_IJSA_SA_EEENS0_18inequality_wrapperIZN2at6native12_GLOBAL__N_124unique_dim_cuda_templateIfEESt5tupleIJNSH_6TensorESM_SM_EERKSM_lbbbEUlllE0_EEPmJS6_EEE10hipError_tPvRmT3_T4_T5_T6_T7_T9_mT8_P12ihipStream_tbDpT10_ENKUlT_T0_E_clISt17integral_constantIbLb0EES1C_EEDaS17_S18_EUlS17_E_NS1_11comp_targetILNS1_3genE8ELNS1_11target_archE1030ELNS1_3gpuE2ELNS1_3repE0EEENS1_30default_config_static_selectorELNS0_4arch9wavefront6targetE0EEEvT1_,"axG",@progbits,_ZN7rocprim17ROCPRIM_400000_NS6detail17trampoline_kernelINS0_14default_configENS1_25partition_config_selectorILNS1_17partition_subalgoE8ElNS0_10empty_typeEbEEZZNS1_14partition_implILS5_8ELb0ES3_jPlPS6_PKS6_NS0_5tupleIJS9_S6_EEENSD_IJSA_SA_EEENS0_18inequality_wrapperIZN2at6native12_GLOBAL__N_124unique_dim_cuda_templateIfEESt5tupleIJNSH_6TensorESM_SM_EERKSM_lbbbEUlllE0_EEPmJS6_EEE10hipError_tPvRmT3_T4_T5_T6_T7_T9_mT8_P12ihipStream_tbDpT10_ENKUlT_T0_E_clISt17integral_constantIbLb0EES1C_EEDaS17_S18_EUlS17_E_NS1_11comp_targetILNS1_3genE8ELNS1_11target_archE1030ELNS1_3gpuE2ELNS1_3repE0EEENS1_30default_config_static_selectorELNS0_4arch9wavefront6targetE0EEEvT1_,comdat
	.globl	_ZN7rocprim17ROCPRIM_400000_NS6detail17trampoline_kernelINS0_14default_configENS1_25partition_config_selectorILNS1_17partition_subalgoE8ElNS0_10empty_typeEbEEZZNS1_14partition_implILS5_8ELb0ES3_jPlPS6_PKS6_NS0_5tupleIJS9_S6_EEENSD_IJSA_SA_EEENS0_18inequality_wrapperIZN2at6native12_GLOBAL__N_124unique_dim_cuda_templateIfEESt5tupleIJNSH_6TensorESM_SM_EERKSM_lbbbEUlllE0_EEPmJS6_EEE10hipError_tPvRmT3_T4_T5_T6_T7_T9_mT8_P12ihipStream_tbDpT10_ENKUlT_T0_E_clISt17integral_constantIbLb0EES1C_EEDaS17_S18_EUlS17_E_NS1_11comp_targetILNS1_3genE8ELNS1_11target_archE1030ELNS1_3gpuE2ELNS1_3repE0EEENS1_30default_config_static_selectorELNS0_4arch9wavefront6targetE0EEEvT1_ ; -- Begin function _ZN7rocprim17ROCPRIM_400000_NS6detail17trampoline_kernelINS0_14default_configENS1_25partition_config_selectorILNS1_17partition_subalgoE8ElNS0_10empty_typeEbEEZZNS1_14partition_implILS5_8ELb0ES3_jPlPS6_PKS6_NS0_5tupleIJS9_S6_EEENSD_IJSA_SA_EEENS0_18inequality_wrapperIZN2at6native12_GLOBAL__N_124unique_dim_cuda_templateIfEESt5tupleIJNSH_6TensorESM_SM_EERKSM_lbbbEUlllE0_EEPmJS6_EEE10hipError_tPvRmT3_T4_T5_T6_T7_T9_mT8_P12ihipStream_tbDpT10_ENKUlT_T0_E_clISt17integral_constantIbLb0EES1C_EEDaS17_S18_EUlS17_E_NS1_11comp_targetILNS1_3genE8ELNS1_11target_archE1030ELNS1_3gpuE2ELNS1_3repE0EEENS1_30default_config_static_selectorELNS0_4arch9wavefront6targetE0EEEvT1_
	.p2align	8
	.type	_ZN7rocprim17ROCPRIM_400000_NS6detail17trampoline_kernelINS0_14default_configENS1_25partition_config_selectorILNS1_17partition_subalgoE8ElNS0_10empty_typeEbEEZZNS1_14partition_implILS5_8ELb0ES3_jPlPS6_PKS6_NS0_5tupleIJS9_S6_EEENSD_IJSA_SA_EEENS0_18inequality_wrapperIZN2at6native12_GLOBAL__N_124unique_dim_cuda_templateIfEESt5tupleIJNSH_6TensorESM_SM_EERKSM_lbbbEUlllE0_EEPmJS6_EEE10hipError_tPvRmT3_T4_T5_T6_T7_T9_mT8_P12ihipStream_tbDpT10_ENKUlT_T0_E_clISt17integral_constantIbLb0EES1C_EEDaS17_S18_EUlS17_E_NS1_11comp_targetILNS1_3genE8ELNS1_11target_archE1030ELNS1_3gpuE2ELNS1_3repE0EEENS1_30default_config_static_selectorELNS0_4arch9wavefront6targetE0EEEvT1_,@function
_ZN7rocprim17ROCPRIM_400000_NS6detail17trampoline_kernelINS0_14default_configENS1_25partition_config_selectorILNS1_17partition_subalgoE8ElNS0_10empty_typeEbEEZZNS1_14partition_implILS5_8ELb0ES3_jPlPS6_PKS6_NS0_5tupleIJS9_S6_EEENSD_IJSA_SA_EEENS0_18inequality_wrapperIZN2at6native12_GLOBAL__N_124unique_dim_cuda_templateIfEESt5tupleIJNSH_6TensorESM_SM_EERKSM_lbbbEUlllE0_EEPmJS6_EEE10hipError_tPvRmT3_T4_T5_T6_T7_T9_mT8_P12ihipStream_tbDpT10_ENKUlT_T0_E_clISt17integral_constantIbLb0EES1C_EEDaS17_S18_EUlS17_E_NS1_11comp_targetILNS1_3genE8ELNS1_11target_archE1030ELNS1_3gpuE2ELNS1_3repE0EEENS1_30default_config_static_selectorELNS0_4arch9wavefront6targetE0EEEvT1_: ; @_ZN7rocprim17ROCPRIM_400000_NS6detail17trampoline_kernelINS0_14default_configENS1_25partition_config_selectorILNS1_17partition_subalgoE8ElNS0_10empty_typeEbEEZZNS1_14partition_implILS5_8ELb0ES3_jPlPS6_PKS6_NS0_5tupleIJS9_S6_EEENSD_IJSA_SA_EEENS0_18inequality_wrapperIZN2at6native12_GLOBAL__N_124unique_dim_cuda_templateIfEESt5tupleIJNSH_6TensorESM_SM_EERKSM_lbbbEUlllE0_EEPmJS6_EEE10hipError_tPvRmT3_T4_T5_T6_T7_T9_mT8_P12ihipStream_tbDpT10_ENKUlT_T0_E_clISt17integral_constantIbLb0EES1C_EEDaS17_S18_EUlS17_E_NS1_11comp_targetILNS1_3genE8ELNS1_11target_archE1030ELNS1_3gpuE2ELNS1_3repE0EEENS1_30default_config_static_selectorELNS0_4arch9wavefront6targetE0EEEvT1_
; %bb.0:
	.section	.rodata,"a",@progbits
	.p2align	6, 0x0
	.amdhsa_kernel _ZN7rocprim17ROCPRIM_400000_NS6detail17trampoline_kernelINS0_14default_configENS1_25partition_config_selectorILNS1_17partition_subalgoE8ElNS0_10empty_typeEbEEZZNS1_14partition_implILS5_8ELb0ES3_jPlPS6_PKS6_NS0_5tupleIJS9_S6_EEENSD_IJSA_SA_EEENS0_18inequality_wrapperIZN2at6native12_GLOBAL__N_124unique_dim_cuda_templateIfEESt5tupleIJNSH_6TensorESM_SM_EERKSM_lbbbEUlllE0_EEPmJS6_EEE10hipError_tPvRmT3_T4_T5_T6_T7_T9_mT8_P12ihipStream_tbDpT10_ENKUlT_T0_E_clISt17integral_constantIbLb0EES1C_EEDaS17_S18_EUlS17_E_NS1_11comp_targetILNS1_3genE8ELNS1_11target_archE1030ELNS1_3gpuE2ELNS1_3repE0EEENS1_30default_config_static_selectorELNS0_4arch9wavefront6targetE0EEEvT1_
		.amdhsa_group_segment_fixed_size 0
		.amdhsa_private_segment_fixed_size 0
		.amdhsa_kernarg_size 120
		.amdhsa_user_sgpr_count 15
		.amdhsa_user_sgpr_dispatch_ptr 0
		.amdhsa_user_sgpr_queue_ptr 0
		.amdhsa_user_sgpr_kernarg_segment_ptr 1
		.amdhsa_user_sgpr_dispatch_id 0
		.amdhsa_user_sgpr_private_segment_size 0
		.amdhsa_wavefront_size32 1
		.amdhsa_uses_dynamic_stack 0
		.amdhsa_enable_private_segment 0
		.amdhsa_system_sgpr_workgroup_id_x 1
		.amdhsa_system_sgpr_workgroup_id_y 0
		.amdhsa_system_sgpr_workgroup_id_z 0
		.amdhsa_system_sgpr_workgroup_info 0
		.amdhsa_system_vgpr_workitem_id 0
		.amdhsa_next_free_vgpr 1
		.amdhsa_next_free_sgpr 1
		.amdhsa_reserve_vcc 0
		.amdhsa_float_round_mode_32 0
		.amdhsa_float_round_mode_16_64 0
		.amdhsa_float_denorm_mode_32 3
		.amdhsa_float_denorm_mode_16_64 3
		.amdhsa_dx10_clamp 1
		.amdhsa_ieee_mode 1
		.amdhsa_fp16_overflow 0
		.amdhsa_workgroup_processor_mode 1
		.amdhsa_memory_ordered 1
		.amdhsa_forward_progress 0
		.amdhsa_shared_vgpr_count 0
		.amdhsa_exception_fp_ieee_invalid_op 0
		.amdhsa_exception_fp_denorm_src 0
		.amdhsa_exception_fp_ieee_div_zero 0
		.amdhsa_exception_fp_ieee_overflow 0
		.amdhsa_exception_fp_ieee_underflow 0
		.amdhsa_exception_fp_ieee_inexact 0
		.amdhsa_exception_int_div_zero 0
	.end_amdhsa_kernel
	.section	.text._ZN7rocprim17ROCPRIM_400000_NS6detail17trampoline_kernelINS0_14default_configENS1_25partition_config_selectorILNS1_17partition_subalgoE8ElNS0_10empty_typeEbEEZZNS1_14partition_implILS5_8ELb0ES3_jPlPS6_PKS6_NS0_5tupleIJS9_S6_EEENSD_IJSA_SA_EEENS0_18inequality_wrapperIZN2at6native12_GLOBAL__N_124unique_dim_cuda_templateIfEESt5tupleIJNSH_6TensorESM_SM_EERKSM_lbbbEUlllE0_EEPmJS6_EEE10hipError_tPvRmT3_T4_T5_T6_T7_T9_mT8_P12ihipStream_tbDpT10_ENKUlT_T0_E_clISt17integral_constantIbLb0EES1C_EEDaS17_S18_EUlS17_E_NS1_11comp_targetILNS1_3genE8ELNS1_11target_archE1030ELNS1_3gpuE2ELNS1_3repE0EEENS1_30default_config_static_selectorELNS0_4arch9wavefront6targetE0EEEvT1_,"axG",@progbits,_ZN7rocprim17ROCPRIM_400000_NS6detail17trampoline_kernelINS0_14default_configENS1_25partition_config_selectorILNS1_17partition_subalgoE8ElNS0_10empty_typeEbEEZZNS1_14partition_implILS5_8ELb0ES3_jPlPS6_PKS6_NS0_5tupleIJS9_S6_EEENSD_IJSA_SA_EEENS0_18inequality_wrapperIZN2at6native12_GLOBAL__N_124unique_dim_cuda_templateIfEESt5tupleIJNSH_6TensorESM_SM_EERKSM_lbbbEUlllE0_EEPmJS6_EEE10hipError_tPvRmT3_T4_T5_T6_T7_T9_mT8_P12ihipStream_tbDpT10_ENKUlT_T0_E_clISt17integral_constantIbLb0EES1C_EEDaS17_S18_EUlS17_E_NS1_11comp_targetILNS1_3genE8ELNS1_11target_archE1030ELNS1_3gpuE2ELNS1_3repE0EEENS1_30default_config_static_selectorELNS0_4arch9wavefront6targetE0EEEvT1_,comdat
.Lfunc_end936:
	.size	_ZN7rocprim17ROCPRIM_400000_NS6detail17trampoline_kernelINS0_14default_configENS1_25partition_config_selectorILNS1_17partition_subalgoE8ElNS0_10empty_typeEbEEZZNS1_14partition_implILS5_8ELb0ES3_jPlPS6_PKS6_NS0_5tupleIJS9_S6_EEENSD_IJSA_SA_EEENS0_18inequality_wrapperIZN2at6native12_GLOBAL__N_124unique_dim_cuda_templateIfEESt5tupleIJNSH_6TensorESM_SM_EERKSM_lbbbEUlllE0_EEPmJS6_EEE10hipError_tPvRmT3_T4_T5_T6_T7_T9_mT8_P12ihipStream_tbDpT10_ENKUlT_T0_E_clISt17integral_constantIbLb0EES1C_EEDaS17_S18_EUlS17_E_NS1_11comp_targetILNS1_3genE8ELNS1_11target_archE1030ELNS1_3gpuE2ELNS1_3repE0EEENS1_30default_config_static_selectorELNS0_4arch9wavefront6targetE0EEEvT1_, .Lfunc_end936-_ZN7rocprim17ROCPRIM_400000_NS6detail17trampoline_kernelINS0_14default_configENS1_25partition_config_selectorILNS1_17partition_subalgoE8ElNS0_10empty_typeEbEEZZNS1_14partition_implILS5_8ELb0ES3_jPlPS6_PKS6_NS0_5tupleIJS9_S6_EEENSD_IJSA_SA_EEENS0_18inequality_wrapperIZN2at6native12_GLOBAL__N_124unique_dim_cuda_templateIfEESt5tupleIJNSH_6TensorESM_SM_EERKSM_lbbbEUlllE0_EEPmJS6_EEE10hipError_tPvRmT3_T4_T5_T6_T7_T9_mT8_P12ihipStream_tbDpT10_ENKUlT_T0_E_clISt17integral_constantIbLb0EES1C_EEDaS17_S18_EUlS17_E_NS1_11comp_targetILNS1_3genE8ELNS1_11target_archE1030ELNS1_3gpuE2ELNS1_3repE0EEENS1_30default_config_static_selectorELNS0_4arch9wavefront6targetE0EEEvT1_
                                        ; -- End function
	.section	.AMDGPU.csdata,"",@progbits
; Kernel info:
; codeLenInByte = 0
; NumSgprs: 0
; NumVgprs: 0
; ScratchSize: 0
; MemoryBound: 0
; FloatMode: 240
; IeeeMode: 1
; LDSByteSize: 0 bytes/workgroup (compile time only)
; SGPRBlocks: 0
; VGPRBlocks: 0
; NumSGPRsForWavesPerEU: 1
; NumVGPRsForWavesPerEU: 1
; Occupancy: 16
; WaveLimiterHint : 0
; COMPUTE_PGM_RSRC2:SCRATCH_EN: 0
; COMPUTE_PGM_RSRC2:USER_SGPR: 15
; COMPUTE_PGM_RSRC2:TRAP_HANDLER: 0
; COMPUTE_PGM_RSRC2:TGID_X_EN: 1
; COMPUTE_PGM_RSRC2:TGID_Y_EN: 0
; COMPUTE_PGM_RSRC2:TGID_Z_EN: 0
; COMPUTE_PGM_RSRC2:TIDIG_COMP_CNT: 0
	.section	.text._ZN7rocprim17ROCPRIM_400000_NS6detail17trampoline_kernelINS0_14default_configENS1_25partition_config_selectorILNS1_17partition_subalgoE8ElNS0_10empty_typeEbEEZZNS1_14partition_implILS5_8ELb0ES3_jPlPS6_PKS6_NS0_5tupleIJS9_S6_EEENSD_IJSA_SA_EEENS0_18inequality_wrapperIZN2at6native12_GLOBAL__N_124unique_dim_cuda_templateIfEESt5tupleIJNSH_6TensorESM_SM_EERKSM_lbbbEUlllE0_EEPmJS6_EEE10hipError_tPvRmT3_T4_T5_T6_T7_T9_mT8_P12ihipStream_tbDpT10_ENKUlT_T0_E_clISt17integral_constantIbLb1EES1C_EEDaS17_S18_EUlS17_E_NS1_11comp_targetILNS1_3genE0ELNS1_11target_archE4294967295ELNS1_3gpuE0ELNS1_3repE0EEENS1_30default_config_static_selectorELNS0_4arch9wavefront6targetE0EEEvT1_,"axG",@progbits,_ZN7rocprim17ROCPRIM_400000_NS6detail17trampoline_kernelINS0_14default_configENS1_25partition_config_selectorILNS1_17partition_subalgoE8ElNS0_10empty_typeEbEEZZNS1_14partition_implILS5_8ELb0ES3_jPlPS6_PKS6_NS0_5tupleIJS9_S6_EEENSD_IJSA_SA_EEENS0_18inequality_wrapperIZN2at6native12_GLOBAL__N_124unique_dim_cuda_templateIfEESt5tupleIJNSH_6TensorESM_SM_EERKSM_lbbbEUlllE0_EEPmJS6_EEE10hipError_tPvRmT3_T4_T5_T6_T7_T9_mT8_P12ihipStream_tbDpT10_ENKUlT_T0_E_clISt17integral_constantIbLb1EES1C_EEDaS17_S18_EUlS17_E_NS1_11comp_targetILNS1_3genE0ELNS1_11target_archE4294967295ELNS1_3gpuE0ELNS1_3repE0EEENS1_30default_config_static_selectorELNS0_4arch9wavefront6targetE0EEEvT1_,comdat
	.globl	_ZN7rocprim17ROCPRIM_400000_NS6detail17trampoline_kernelINS0_14default_configENS1_25partition_config_selectorILNS1_17partition_subalgoE8ElNS0_10empty_typeEbEEZZNS1_14partition_implILS5_8ELb0ES3_jPlPS6_PKS6_NS0_5tupleIJS9_S6_EEENSD_IJSA_SA_EEENS0_18inequality_wrapperIZN2at6native12_GLOBAL__N_124unique_dim_cuda_templateIfEESt5tupleIJNSH_6TensorESM_SM_EERKSM_lbbbEUlllE0_EEPmJS6_EEE10hipError_tPvRmT3_T4_T5_T6_T7_T9_mT8_P12ihipStream_tbDpT10_ENKUlT_T0_E_clISt17integral_constantIbLb1EES1C_EEDaS17_S18_EUlS17_E_NS1_11comp_targetILNS1_3genE0ELNS1_11target_archE4294967295ELNS1_3gpuE0ELNS1_3repE0EEENS1_30default_config_static_selectorELNS0_4arch9wavefront6targetE0EEEvT1_ ; -- Begin function _ZN7rocprim17ROCPRIM_400000_NS6detail17trampoline_kernelINS0_14default_configENS1_25partition_config_selectorILNS1_17partition_subalgoE8ElNS0_10empty_typeEbEEZZNS1_14partition_implILS5_8ELb0ES3_jPlPS6_PKS6_NS0_5tupleIJS9_S6_EEENSD_IJSA_SA_EEENS0_18inequality_wrapperIZN2at6native12_GLOBAL__N_124unique_dim_cuda_templateIfEESt5tupleIJNSH_6TensorESM_SM_EERKSM_lbbbEUlllE0_EEPmJS6_EEE10hipError_tPvRmT3_T4_T5_T6_T7_T9_mT8_P12ihipStream_tbDpT10_ENKUlT_T0_E_clISt17integral_constantIbLb1EES1C_EEDaS17_S18_EUlS17_E_NS1_11comp_targetILNS1_3genE0ELNS1_11target_archE4294967295ELNS1_3gpuE0ELNS1_3repE0EEENS1_30default_config_static_selectorELNS0_4arch9wavefront6targetE0EEEvT1_
	.p2align	8
	.type	_ZN7rocprim17ROCPRIM_400000_NS6detail17trampoline_kernelINS0_14default_configENS1_25partition_config_selectorILNS1_17partition_subalgoE8ElNS0_10empty_typeEbEEZZNS1_14partition_implILS5_8ELb0ES3_jPlPS6_PKS6_NS0_5tupleIJS9_S6_EEENSD_IJSA_SA_EEENS0_18inequality_wrapperIZN2at6native12_GLOBAL__N_124unique_dim_cuda_templateIfEESt5tupleIJNSH_6TensorESM_SM_EERKSM_lbbbEUlllE0_EEPmJS6_EEE10hipError_tPvRmT3_T4_T5_T6_T7_T9_mT8_P12ihipStream_tbDpT10_ENKUlT_T0_E_clISt17integral_constantIbLb1EES1C_EEDaS17_S18_EUlS17_E_NS1_11comp_targetILNS1_3genE0ELNS1_11target_archE4294967295ELNS1_3gpuE0ELNS1_3repE0EEENS1_30default_config_static_selectorELNS0_4arch9wavefront6targetE0EEEvT1_,@function
_ZN7rocprim17ROCPRIM_400000_NS6detail17trampoline_kernelINS0_14default_configENS1_25partition_config_selectorILNS1_17partition_subalgoE8ElNS0_10empty_typeEbEEZZNS1_14partition_implILS5_8ELb0ES3_jPlPS6_PKS6_NS0_5tupleIJS9_S6_EEENSD_IJSA_SA_EEENS0_18inequality_wrapperIZN2at6native12_GLOBAL__N_124unique_dim_cuda_templateIfEESt5tupleIJNSH_6TensorESM_SM_EERKSM_lbbbEUlllE0_EEPmJS6_EEE10hipError_tPvRmT3_T4_T5_T6_T7_T9_mT8_P12ihipStream_tbDpT10_ENKUlT_T0_E_clISt17integral_constantIbLb1EES1C_EEDaS17_S18_EUlS17_E_NS1_11comp_targetILNS1_3genE0ELNS1_11target_archE4294967295ELNS1_3gpuE0ELNS1_3repE0EEENS1_30default_config_static_selectorELNS0_4arch9wavefront6targetE0EEEvT1_: ; @_ZN7rocprim17ROCPRIM_400000_NS6detail17trampoline_kernelINS0_14default_configENS1_25partition_config_selectorILNS1_17partition_subalgoE8ElNS0_10empty_typeEbEEZZNS1_14partition_implILS5_8ELb0ES3_jPlPS6_PKS6_NS0_5tupleIJS9_S6_EEENSD_IJSA_SA_EEENS0_18inequality_wrapperIZN2at6native12_GLOBAL__N_124unique_dim_cuda_templateIfEESt5tupleIJNSH_6TensorESM_SM_EERKSM_lbbbEUlllE0_EEPmJS6_EEE10hipError_tPvRmT3_T4_T5_T6_T7_T9_mT8_P12ihipStream_tbDpT10_ENKUlT_T0_E_clISt17integral_constantIbLb1EES1C_EEDaS17_S18_EUlS17_E_NS1_11comp_targetILNS1_3genE0ELNS1_11target_archE4294967295ELNS1_3gpuE0ELNS1_3repE0EEENS1_30default_config_static_selectorELNS0_4arch9wavefront6targetE0EEEvT1_
; %bb.0:
	.section	.rodata,"a",@progbits
	.p2align	6, 0x0
	.amdhsa_kernel _ZN7rocprim17ROCPRIM_400000_NS6detail17trampoline_kernelINS0_14default_configENS1_25partition_config_selectorILNS1_17partition_subalgoE8ElNS0_10empty_typeEbEEZZNS1_14partition_implILS5_8ELb0ES3_jPlPS6_PKS6_NS0_5tupleIJS9_S6_EEENSD_IJSA_SA_EEENS0_18inequality_wrapperIZN2at6native12_GLOBAL__N_124unique_dim_cuda_templateIfEESt5tupleIJNSH_6TensorESM_SM_EERKSM_lbbbEUlllE0_EEPmJS6_EEE10hipError_tPvRmT3_T4_T5_T6_T7_T9_mT8_P12ihipStream_tbDpT10_ENKUlT_T0_E_clISt17integral_constantIbLb1EES1C_EEDaS17_S18_EUlS17_E_NS1_11comp_targetILNS1_3genE0ELNS1_11target_archE4294967295ELNS1_3gpuE0ELNS1_3repE0EEENS1_30default_config_static_selectorELNS0_4arch9wavefront6targetE0EEEvT1_
		.amdhsa_group_segment_fixed_size 0
		.amdhsa_private_segment_fixed_size 0
		.amdhsa_kernarg_size 136
		.amdhsa_user_sgpr_count 15
		.amdhsa_user_sgpr_dispatch_ptr 0
		.amdhsa_user_sgpr_queue_ptr 0
		.amdhsa_user_sgpr_kernarg_segment_ptr 1
		.amdhsa_user_sgpr_dispatch_id 0
		.amdhsa_user_sgpr_private_segment_size 0
		.amdhsa_wavefront_size32 1
		.amdhsa_uses_dynamic_stack 0
		.amdhsa_enable_private_segment 0
		.amdhsa_system_sgpr_workgroup_id_x 1
		.amdhsa_system_sgpr_workgroup_id_y 0
		.amdhsa_system_sgpr_workgroup_id_z 0
		.amdhsa_system_sgpr_workgroup_info 0
		.amdhsa_system_vgpr_workitem_id 0
		.amdhsa_next_free_vgpr 1
		.amdhsa_next_free_sgpr 1
		.amdhsa_reserve_vcc 0
		.amdhsa_float_round_mode_32 0
		.amdhsa_float_round_mode_16_64 0
		.amdhsa_float_denorm_mode_32 3
		.amdhsa_float_denorm_mode_16_64 3
		.amdhsa_dx10_clamp 1
		.amdhsa_ieee_mode 1
		.amdhsa_fp16_overflow 0
		.amdhsa_workgroup_processor_mode 1
		.amdhsa_memory_ordered 1
		.amdhsa_forward_progress 0
		.amdhsa_shared_vgpr_count 0
		.amdhsa_exception_fp_ieee_invalid_op 0
		.amdhsa_exception_fp_denorm_src 0
		.amdhsa_exception_fp_ieee_div_zero 0
		.amdhsa_exception_fp_ieee_overflow 0
		.amdhsa_exception_fp_ieee_underflow 0
		.amdhsa_exception_fp_ieee_inexact 0
		.amdhsa_exception_int_div_zero 0
	.end_amdhsa_kernel
	.section	.text._ZN7rocprim17ROCPRIM_400000_NS6detail17trampoline_kernelINS0_14default_configENS1_25partition_config_selectorILNS1_17partition_subalgoE8ElNS0_10empty_typeEbEEZZNS1_14partition_implILS5_8ELb0ES3_jPlPS6_PKS6_NS0_5tupleIJS9_S6_EEENSD_IJSA_SA_EEENS0_18inequality_wrapperIZN2at6native12_GLOBAL__N_124unique_dim_cuda_templateIfEESt5tupleIJNSH_6TensorESM_SM_EERKSM_lbbbEUlllE0_EEPmJS6_EEE10hipError_tPvRmT3_T4_T5_T6_T7_T9_mT8_P12ihipStream_tbDpT10_ENKUlT_T0_E_clISt17integral_constantIbLb1EES1C_EEDaS17_S18_EUlS17_E_NS1_11comp_targetILNS1_3genE0ELNS1_11target_archE4294967295ELNS1_3gpuE0ELNS1_3repE0EEENS1_30default_config_static_selectorELNS0_4arch9wavefront6targetE0EEEvT1_,"axG",@progbits,_ZN7rocprim17ROCPRIM_400000_NS6detail17trampoline_kernelINS0_14default_configENS1_25partition_config_selectorILNS1_17partition_subalgoE8ElNS0_10empty_typeEbEEZZNS1_14partition_implILS5_8ELb0ES3_jPlPS6_PKS6_NS0_5tupleIJS9_S6_EEENSD_IJSA_SA_EEENS0_18inequality_wrapperIZN2at6native12_GLOBAL__N_124unique_dim_cuda_templateIfEESt5tupleIJNSH_6TensorESM_SM_EERKSM_lbbbEUlllE0_EEPmJS6_EEE10hipError_tPvRmT3_T4_T5_T6_T7_T9_mT8_P12ihipStream_tbDpT10_ENKUlT_T0_E_clISt17integral_constantIbLb1EES1C_EEDaS17_S18_EUlS17_E_NS1_11comp_targetILNS1_3genE0ELNS1_11target_archE4294967295ELNS1_3gpuE0ELNS1_3repE0EEENS1_30default_config_static_selectorELNS0_4arch9wavefront6targetE0EEEvT1_,comdat
.Lfunc_end937:
	.size	_ZN7rocprim17ROCPRIM_400000_NS6detail17trampoline_kernelINS0_14default_configENS1_25partition_config_selectorILNS1_17partition_subalgoE8ElNS0_10empty_typeEbEEZZNS1_14partition_implILS5_8ELb0ES3_jPlPS6_PKS6_NS0_5tupleIJS9_S6_EEENSD_IJSA_SA_EEENS0_18inequality_wrapperIZN2at6native12_GLOBAL__N_124unique_dim_cuda_templateIfEESt5tupleIJNSH_6TensorESM_SM_EERKSM_lbbbEUlllE0_EEPmJS6_EEE10hipError_tPvRmT3_T4_T5_T6_T7_T9_mT8_P12ihipStream_tbDpT10_ENKUlT_T0_E_clISt17integral_constantIbLb1EES1C_EEDaS17_S18_EUlS17_E_NS1_11comp_targetILNS1_3genE0ELNS1_11target_archE4294967295ELNS1_3gpuE0ELNS1_3repE0EEENS1_30default_config_static_selectorELNS0_4arch9wavefront6targetE0EEEvT1_, .Lfunc_end937-_ZN7rocprim17ROCPRIM_400000_NS6detail17trampoline_kernelINS0_14default_configENS1_25partition_config_selectorILNS1_17partition_subalgoE8ElNS0_10empty_typeEbEEZZNS1_14partition_implILS5_8ELb0ES3_jPlPS6_PKS6_NS0_5tupleIJS9_S6_EEENSD_IJSA_SA_EEENS0_18inequality_wrapperIZN2at6native12_GLOBAL__N_124unique_dim_cuda_templateIfEESt5tupleIJNSH_6TensorESM_SM_EERKSM_lbbbEUlllE0_EEPmJS6_EEE10hipError_tPvRmT3_T4_T5_T6_T7_T9_mT8_P12ihipStream_tbDpT10_ENKUlT_T0_E_clISt17integral_constantIbLb1EES1C_EEDaS17_S18_EUlS17_E_NS1_11comp_targetILNS1_3genE0ELNS1_11target_archE4294967295ELNS1_3gpuE0ELNS1_3repE0EEENS1_30default_config_static_selectorELNS0_4arch9wavefront6targetE0EEEvT1_
                                        ; -- End function
	.section	.AMDGPU.csdata,"",@progbits
; Kernel info:
; codeLenInByte = 0
; NumSgprs: 0
; NumVgprs: 0
; ScratchSize: 0
; MemoryBound: 0
; FloatMode: 240
; IeeeMode: 1
; LDSByteSize: 0 bytes/workgroup (compile time only)
; SGPRBlocks: 0
; VGPRBlocks: 0
; NumSGPRsForWavesPerEU: 1
; NumVGPRsForWavesPerEU: 1
; Occupancy: 16
; WaveLimiterHint : 0
; COMPUTE_PGM_RSRC2:SCRATCH_EN: 0
; COMPUTE_PGM_RSRC2:USER_SGPR: 15
; COMPUTE_PGM_RSRC2:TRAP_HANDLER: 0
; COMPUTE_PGM_RSRC2:TGID_X_EN: 1
; COMPUTE_PGM_RSRC2:TGID_Y_EN: 0
; COMPUTE_PGM_RSRC2:TGID_Z_EN: 0
; COMPUTE_PGM_RSRC2:TIDIG_COMP_CNT: 0
	.section	.text._ZN7rocprim17ROCPRIM_400000_NS6detail17trampoline_kernelINS0_14default_configENS1_25partition_config_selectorILNS1_17partition_subalgoE8ElNS0_10empty_typeEbEEZZNS1_14partition_implILS5_8ELb0ES3_jPlPS6_PKS6_NS0_5tupleIJS9_S6_EEENSD_IJSA_SA_EEENS0_18inequality_wrapperIZN2at6native12_GLOBAL__N_124unique_dim_cuda_templateIfEESt5tupleIJNSH_6TensorESM_SM_EERKSM_lbbbEUlllE0_EEPmJS6_EEE10hipError_tPvRmT3_T4_T5_T6_T7_T9_mT8_P12ihipStream_tbDpT10_ENKUlT_T0_E_clISt17integral_constantIbLb1EES1C_EEDaS17_S18_EUlS17_E_NS1_11comp_targetILNS1_3genE5ELNS1_11target_archE942ELNS1_3gpuE9ELNS1_3repE0EEENS1_30default_config_static_selectorELNS0_4arch9wavefront6targetE0EEEvT1_,"axG",@progbits,_ZN7rocprim17ROCPRIM_400000_NS6detail17trampoline_kernelINS0_14default_configENS1_25partition_config_selectorILNS1_17partition_subalgoE8ElNS0_10empty_typeEbEEZZNS1_14partition_implILS5_8ELb0ES3_jPlPS6_PKS6_NS0_5tupleIJS9_S6_EEENSD_IJSA_SA_EEENS0_18inequality_wrapperIZN2at6native12_GLOBAL__N_124unique_dim_cuda_templateIfEESt5tupleIJNSH_6TensorESM_SM_EERKSM_lbbbEUlllE0_EEPmJS6_EEE10hipError_tPvRmT3_T4_T5_T6_T7_T9_mT8_P12ihipStream_tbDpT10_ENKUlT_T0_E_clISt17integral_constantIbLb1EES1C_EEDaS17_S18_EUlS17_E_NS1_11comp_targetILNS1_3genE5ELNS1_11target_archE942ELNS1_3gpuE9ELNS1_3repE0EEENS1_30default_config_static_selectorELNS0_4arch9wavefront6targetE0EEEvT1_,comdat
	.globl	_ZN7rocprim17ROCPRIM_400000_NS6detail17trampoline_kernelINS0_14default_configENS1_25partition_config_selectorILNS1_17partition_subalgoE8ElNS0_10empty_typeEbEEZZNS1_14partition_implILS5_8ELb0ES3_jPlPS6_PKS6_NS0_5tupleIJS9_S6_EEENSD_IJSA_SA_EEENS0_18inequality_wrapperIZN2at6native12_GLOBAL__N_124unique_dim_cuda_templateIfEESt5tupleIJNSH_6TensorESM_SM_EERKSM_lbbbEUlllE0_EEPmJS6_EEE10hipError_tPvRmT3_T4_T5_T6_T7_T9_mT8_P12ihipStream_tbDpT10_ENKUlT_T0_E_clISt17integral_constantIbLb1EES1C_EEDaS17_S18_EUlS17_E_NS1_11comp_targetILNS1_3genE5ELNS1_11target_archE942ELNS1_3gpuE9ELNS1_3repE0EEENS1_30default_config_static_selectorELNS0_4arch9wavefront6targetE0EEEvT1_ ; -- Begin function _ZN7rocprim17ROCPRIM_400000_NS6detail17trampoline_kernelINS0_14default_configENS1_25partition_config_selectorILNS1_17partition_subalgoE8ElNS0_10empty_typeEbEEZZNS1_14partition_implILS5_8ELb0ES3_jPlPS6_PKS6_NS0_5tupleIJS9_S6_EEENSD_IJSA_SA_EEENS0_18inequality_wrapperIZN2at6native12_GLOBAL__N_124unique_dim_cuda_templateIfEESt5tupleIJNSH_6TensorESM_SM_EERKSM_lbbbEUlllE0_EEPmJS6_EEE10hipError_tPvRmT3_T4_T5_T6_T7_T9_mT8_P12ihipStream_tbDpT10_ENKUlT_T0_E_clISt17integral_constantIbLb1EES1C_EEDaS17_S18_EUlS17_E_NS1_11comp_targetILNS1_3genE5ELNS1_11target_archE942ELNS1_3gpuE9ELNS1_3repE0EEENS1_30default_config_static_selectorELNS0_4arch9wavefront6targetE0EEEvT1_
	.p2align	8
	.type	_ZN7rocprim17ROCPRIM_400000_NS6detail17trampoline_kernelINS0_14default_configENS1_25partition_config_selectorILNS1_17partition_subalgoE8ElNS0_10empty_typeEbEEZZNS1_14partition_implILS5_8ELb0ES3_jPlPS6_PKS6_NS0_5tupleIJS9_S6_EEENSD_IJSA_SA_EEENS0_18inequality_wrapperIZN2at6native12_GLOBAL__N_124unique_dim_cuda_templateIfEESt5tupleIJNSH_6TensorESM_SM_EERKSM_lbbbEUlllE0_EEPmJS6_EEE10hipError_tPvRmT3_T4_T5_T6_T7_T9_mT8_P12ihipStream_tbDpT10_ENKUlT_T0_E_clISt17integral_constantIbLb1EES1C_EEDaS17_S18_EUlS17_E_NS1_11comp_targetILNS1_3genE5ELNS1_11target_archE942ELNS1_3gpuE9ELNS1_3repE0EEENS1_30default_config_static_selectorELNS0_4arch9wavefront6targetE0EEEvT1_,@function
_ZN7rocprim17ROCPRIM_400000_NS6detail17trampoline_kernelINS0_14default_configENS1_25partition_config_selectorILNS1_17partition_subalgoE8ElNS0_10empty_typeEbEEZZNS1_14partition_implILS5_8ELb0ES3_jPlPS6_PKS6_NS0_5tupleIJS9_S6_EEENSD_IJSA_SA_EEENS0_18inequality_wrapperIZN2at6native12_GLOBAL__N_124unique_dim_cuda_templateIfEESt5tupleIJNSH_6TensorESM_SM_EERKSM_lbbbEUlllE0_EEPmJS6_EEE10hipError_tPvRmT3_T4_T5_T6_T7_T9_mT8_P12ihipStream_tbDpT10_ENKUlT_T0_E_clISt17integral_constantIbLb1EES1C_EEDaS17_S18_EUlS17_E_NS1_11comp_targetILNS1_3genE5ELNS1_11target_archE942ELNS1_3gpuE9ELNS1_3repE0EEENS1_30default_config_static_selectorELNS0_4arch9wavefront6targetE0EEEvT1_: ; @_ZN7rocprim17ROCPRIM_400000_NS6detail17trampoline_kernelINS0_14default_configENS1_25partition_config_selectorILNS1_17partition_subalgoE8ElNS0_10empty_typeEbEEZZNS1_14partition_implILS5_8ELb0ES3_jPlPS6_PKS6_NS0_5tupleIJS9_S6_EEENSD_IJSA_SA_EEENS0_18inequality_wrapperIZN2at6native12_GLOBAL__N_124unique_dim_cuda_templateIfEESt5tupleIJNSH_6TensorESM_SM_EERKSM_lbbbEUlllE0_EEPmJS6_EEE10hipError_tPvRmT3_T4_T5_T6_T7_T9_mT8_P12ihipStream_tbDpT10_ENKUlT_T0_E_clISt17integral_constantIbLb1EES1C_EEDaS17_S18_EUlS17_E_NS1_11comp_targetILNS1_3genE5ELNS1_11target_archE942ELNS1_3gpuE9ELNS1_3repE0EEENS1_30default_config_static_selectorELNS0_4arch9wavefront6targetE0EEEvT1_
; %bb.0:
	.section	.rodata,"a",@progbits
	.p2align	6, 0x0
	.amdhsa_kernel _ZN7rocprim17ROCPRIM_400000_NS6detail17trampoline_kernelINS0_14default_configENS1_25partition_config_selectorILNS1_17partition_subalgoE8ElNS0_10empty_typeEbEEZZNS1_14partition_implILS5_8ELb0ES3_jPlPS6_PKS6_NS0_5tupleIJS9_S6_EEENSD_IJSA_SA_EEENS0_18inequality_wrapperIZN2at6native12_GLOBAL__N_124unique_dim_cuda_templateIfEESt5tupleIJNSH_6TensorESM_SM_EERKSM_lbbbEUlllE0_EEPmJS6_EEE10hipError_tPvRmT3_T4_T5_T6_T7_T9_mT8_P12ihipStream_tbDpT10_ENKUlT_T0_E_clISt17integral_constantIbLb1EES1C_EEDaS17_S18_EUlS17_E_NS1_11comp_targetILNS1_3genE5ELNS1_11target_archE942ELNS1_3gpuE9ELNS1_3repE0EEENS1_30default_config_static_selectorELNS0_4arch9wavefront6targetE0EEEvT1_
		.amdhsa_group_segment_fixed_size 0
		.amdhsa_private_segment_fixed_size 0
		.amdhsa_kernarg_size 136
		.amdhsa_user_sgpr_count 15
		.amdhsa_user_sgpr_dispatch_ptr 0
		.amdhsa_user_sgpr_queue_ptr 0
		.amdhsa_user_sgpr_kernarg_segment_ptr 1
		.amdhsa_user_sgpr_dispatch_id 0
		.amdhsa_user_sgpr_private_segment_size 0
		.amdhsa_wavefront_size32 1
		.amdhsa_uses_dynamic_stack 0
		.amdhsa_enable_private_segment 0
		.amdhsa_system_sgpr_workgroup_id_x 1
		.amdhsa_system_sgpr_workgroup_id_y 0
		.amdhsa_system_sgpr_workgroup_id_z 0
		.amdhsa_system_sgpr_workgroup_info 0
		.amdhsa_system_vgpr_workitem_id 0
		.amdhsa_next_free_vgpr 1
		.amdhsa_next_free_sgpr 1
		.amdhsa_reserve_vcc 0
		.amdhsa_float_round_mode_32 0
		.amdhsa_float_round_mode_16_64 0
		.amdhsa_float_denorm_mode_32 3
		.amdhsa_float_denorm_mode_16_64 3
		.amdhsa_dx10_clamp 1
		.amdhsa_ieee_mode 1
		.amdhsa_fp16_overflow 0
		.amdhsa_workgroup_processor_mode 1
		.amdhsa_memory_ordered 1
		.amdhsa_forward_progress 0
		.amdhsa_shared_vgpr_count 0
		.amdhsa_exception_fp_ieee_invalid_op 0
		.amdhsa_exception_fp_denorm_src 0
		.amdhsa_exception_fp_ieee_div_zero 0
		.amdhsa_exception_fp_ieee_overflow 0
		.amdhsa_exception_fp_ieee_underflow 0
		.amdhsa_exception_fp_ieee_inexact 0
		.amdhsa_exception_int_div_zero 0
	.end_amdhsa_kernel
	.section	.text._ZN7rocprim17ROCPRIM_400000_NS6detail17trampoline_kernelINS0_14default_configENS1_25partition_config_selectorILNS1_17partition_subalgoE8ElNS0_10empty_typeEbEEZZNS1_14partition_implILS5_8ELb0ES3_jPlPS6_PKS6_NS0_5tupleIJS9_S6_EEENSD_IJSA_SA_EEENS0_18inequality_wrapperIZN2at6native12_GLOBAL__N_124unique_dim_cuda_templateIfEESt5tupleIJNSH_6TensorESM_SM_EERKSM_lbbbEUlllE0_EEPmJS6_EEE10hipError_tPvRmT3_T4_T5_T6_T7_T9_mT8_P12ihipStream_tbDpT10_ENKUlT_T0_E_clISt17integral_constantIbLb1EES1C_EEDaS17_S18_EUlS17_E_NS1_11comp_targetILNS1_3genE5ELNS1_11target_archE942ELNS1_3gpuE9ELNS1_3repE0EEENS1_30default_config_static_selectorELNS0_4arch9wavefront6targetE0EEEvT1_,"axG",@progbits,_ZN7rocprim17ROCPRIM_400000_NS6detail17trampoline_kernelINS0_14default_configENS1_25partition_config_selectorILNS1_17partition_subalgoE8ElNS0_10empty_typeEbEEZZNS1_14partition_implILS5_8ELb0ES3_jPlPS6_PKS6_NS0_5tupleIJS9_S6_EEENSD_IJSA_SA_EEENS0_18inequality_wrapperIZN2at6native12_GLOBAL__N_124unique_dim_cuda_templateIfEESt5tupleIJNSH_6TensorESM_SM_EERKSM_lbbbEUlllE0_EEPmJS6_EEE10hipError_tPvRmT3_T4_T5_T6_T7_T9_mT8_P12ihipStream_tbDpT10_ENKUlT_T0_E_clISt17integral_constantIbLb1EES1C_EEDaS17_S18_EUlS17_E_NS1_11comp_targetILNS1_3genE5ELNS1_11target_archE942ELNS1_3gpuE9ELNS1_3repE0EEENS1_30default_config_static_selectorELNS0_4arch9wavefront6targetE0EEEvT1_,comdat
.Lfunc_end938:
	.size	_ZN7rocprim17ROCPRIM_400000_NS6detail17trampoline_kernelINS0_14default_configENS1_25partition_config_selectorILNS1_17partition_subalgoE8ElNS0_10empty_typeEbEEZZNS1_14partition_implILS5_8ELb0ES3_jPlPS6_PKS6_NS0_5tupleIJS9_S6_EEENSD_IJSA_SA_EEENS0_18inequality_wrapperIZN2at6native12_GLOBAL__N_124unique_dim_cuda_templateIfEESt5tupleIJNSH_6TensorESM_SM_EERKSM_lbbbEUlllE0_EEPmJS6_EEE10hipError_tPvRmT3_T4_T5_T6_T7_T9_mT8_P12ihipStream_tbDpT10_ENKUlT_T0_E_clISt17integral_constantIbLb1EES1C_EEDaS17_S18_EUlS17_E_NS1_11comp_targetILNS1_3genE5ELNS1_11target_archE942ELNS1_3gpuE9ELNS1_3repE0EEENS1_30default_config_static_selectorELNS0_4arch9wavefront6targetE0EEEvT1_, .Lfunc_end938-_ZN7rocprim17ROCPRIM_400000_NS6detail17trampoline_kernelINS0_14default_configENS1_25partition_config_selectorILNS1_17partition_subalgoE8ElNS0_10empty_typeEbEEZZNS1_14partition_implILS5_8ELb0ES3_jPlPS6_PKS6_NS0_5tupleIJS9_S6_EEENSD_IJSA_SA_EEENS0_18inequality_wrapperIZN2at6native12_GLOBAL__N_124unique_dim_cuda_templateIfEESt5tupleIJNSH_6TensorESM_SM_EERKSM_lbbbEUlllE0_EEPmJS6_EEE10hipError_tPvRmT3_T4_T5_T6_T7_T9_mT8_P12ihipStream_tbDpT10_ENKUlT_T0_E_clISt17integral_constantIbLb1EES1C_EEDaS17_S18_EUlS17_E_NS1_11comp_targetILNS1_3genE5ELNS1_11target_archE942ELNS1_3gpuE9ELNS1_3repE0EEENS1_30default_config_static_selectorELNS0_4arch9wavefront6targetE0EEEvT1_
                                        ; -- End function
	.section	.AMDGPU.csdata,"",@progbits
; Kernel info:
; codeLenInByte = 0
; NumSgprs: 0
; NumVgprs: 0
; ScratchSize: 0
; MemoryBound: 0
; FloatMode: 240
; IeeeMode: 1
; LDSByteSize: 0 bytes/workgroup (compile time only)
; SGPRBlocks: 0
; VGPRBlocks: 0
; NumSGPRsForWavesPerEU: 1
; NumVGPRsForWavesPerEU: 1
; Occupancy: 16
; WaveLimiterHint : 0
; COMPUTE_PGM_RSRC2:SCRATCH_EN: 0
; COMPUTE_PGM_RSRC2:USER_SGPR: 15
; COMPUTE_PGM_RSRC2:TRAP_HANDLER: 0
; COMPUTE_PGM_RSRC2:TGID_X_EN: 1
; COMPUTE_PGM_RSRC2:TGID_Y_EN: 0
; COMPUTE_PGM_RSRC2:TGID_Z_EN: 0
; COMPUTE_PGM_RSRC2:TIDIG_COMP_CNT: 0
	.section	.text._ZN7rocprim17ROCPRIM_400000_NS6detail17trampoline_kernelINS0_14default_configENS1_25partition_config_selectorILNS1_17partition_subalgoE8ElNS0_10empty_typeEbEEZZNS1_14partition_implILS5_8ELb0ES3_jPlPS6_PKS6_NS0_5tupleIJS9_S6_EEENSD_IJSA_SA_EEENS0_18inequality_wrapperIZN2at6native12_GLOBAL__N_124unique_dim_cuda_templateIfEESt5tupleIJNSH_6TensorESM_SM_EERKSM_lbbbEUlllE0_EEPmJS6_EEE10hipError_tPvRmT3_T4_T5_T6_T7_T9_mT8_P12ihipStream_tbDpT10_ENKUlT_T0_E_clISt17integral_constantIbLb1EES1C_EEDaS17_S18_EUlS17_E_NS1_11comp_targetILNS1_3genE4ELNS1_11target_archE910ELNS1_3gpuE8ELNS1_3repE0EEENS1_30default_config_static_selectorELNS0_4arch9wavefront6targetE0EEEvT1_,"axG",@progbits,_ZN7rocprim17ROCPRIM_400000_NS6detail17trampoline_kernelINS0_14default_configENS1_25partition_config_selectorILNS1_17partition_subalgoE8ElNS0_10empty_typeEbEEZZNS1_14partition_implILS5_8ELb0ES3_jPlPS6_PKS6_NS0_5tupleIJS9_S6_EEENSD_IJSA_SA_EEENS0_18inequality_wrapperIZN2at6native12_GLOBAL__N_124unique_dim_cuda_templateIfEESt5tupleIJNSH_6TensorESM_SM_EERKSM_lbbbEUlllE0_EEPmJS6_EEE10hipError_tPvRmT3_T4_T5_T6_T7_T9_mT8_P12ihipStream_tbDpT10_ENKUlT_T0_E_clISt17integral_constantIbLb1EES1C_EEDaS17_S18_EUlS17_E_NS1_11comp_targetILNS1_3genE4ELNS1_11target_archE910ELNS1_3gpuE8ELNS1_3repE0EEENS1_30default_config_static_selectorELNS0_4arch9wavefront6targetE0EEEvT1_,comdat
	.globl	_ZN7rocprim17ROCPRIM_400000_NS6detail17trampoline_kernelINS0_14default_configENS1_25partition_config_selectorILNS1_17partition_subalgoE8ElNS0_10empty_typeEbEEZZNS1_14partition_implILS5_8ELb0ES3_jPlPS6_PKS6_NS0_5tupleIJS9_S6_EEENSD_IJSA_SA_EEENS0_18inequality_wrapperIZN2at6native12_GLOBAL__N_124unique_dim_cuda_templateIfEESt5tupleIJNSH_6TensorESM_SM_EERKSM_lbbbEUlllE0_EEPmJS6_EEE10hipError_tPvRmT3_T4_T5_T6_T7_T9_mT8_P12ihipStream_tbDpT10_ENKUlT_T0_E_clISt17integral_constantIbLb1EES1C_EEDaS17_S18_EUlS17_E_NS1_11comp_targetILNS1_3genE4ELNS1_11target_archE910ELNS1_3gpuE8ELNS1_3repE0EEENS1_30default_config_static_selectorELNS0_4arch9wavefront6targetE0EEEvT1_ ; -- Begin function _ZN7rocprim17ROCPRIM_400000_NS6detail17trampoline_kernelINS0_14default_configENS1_25partition_config_selectorILNS1_17partition_subalgoE8ElNS0_10empty_typeEbEEZZNS1_14partition_implILS5_8ELb0ES3_jPlPS6_PKS6_NS0_5tupleIJS9_S6_EEENSD_IJSA_SA_EEENS0_18inequality_wrapperIZN2at6native12_GLOBAL__N_124unique_dim_cuda_templateIfEESt5tupleIJNSH_6TensorESM_SM_EERKSM_lbbbEUlllE0_EEPmJS6_EEE10hipError_tPvRmT3_T4_T5_T6_T7_T9_mT8_P12ihipStream_tbDpT10_ENKUlT_T0_E_clISt17integral_constantIbLb1EES1C_EEDaS17_S18_EUlS17_E_NS1_11comp_targetILNS1_3genE4ELNS1_11target_archE910ELNS1_3gpuE8ELNS1_3repE0EEENS1_30default_config_static_selectorELNS0_4arch9wavefront6targetE0EEEvT1_
	.p2align	8
	.type	_ZN7rocprim17ROCPRIM_400000_NS6detail17trampoline_kernelINS0_14default_configENS1_25partition_config_selectorILNS1_17partition_subalgoE8ElNS0_10empty_typeEbEEZZNS1_14partition_implILS5_8ELb0ES3_jPlPS6_PKS6_NS0_5tupleIJS9_S6_EEENSD_IJSA_SA_EEENS0_18inequality_wrapperIZN2at6native12_GLOBAL__N_124unique_dim_cuda_templateIfEESt5tupleIJNSH_6TensorESM_SM_EERKSM_lbbbEUlllE0_EEPmJS6_EEE10hipError_tPvRmT3_T4_T5_T6_T7_T9_mT8_P12ihipStream_tbDpT10_ENKUlT_T0_E_clISt17integral_constantIbLb1EES1C_EEDaS17_S18_EUlS17_E_NS1_11comp_targetILNS1_3genE4ELNS1_11target_archE910ELNS1_3gpuE8ELNS1_3repE0EEENS1_30default_config_static_selectorELNS0_4arch9wavefront6targetE0EEEvT1_,@function
_ZN7rocprim17ROCPRIM_400000_NS6detail17trampoline_kernelINS0_14default_configENS1_25partition_config_selectorILNS1_17partition_subalgoE8ElNS0_10empty_typeEbEEZZNS1_14partition_implILS5_8ELb0ES3_jPlPS6_PKS6_NS0_5tupleIJS9_S6_EEENSD_IJSA_SA_EEENS0_18inequality_wrapperIZN2at6native12_GLOBAL__N_124unique_dim_cuda_templateIfEESt5tupleIJNSH_6TensorESM_SM_EERKSM_lbbbEUlllE0_EEPmJS6_EEE10hipError_tPvRmT3_T4_T5_T6_T7_T9_mT8_P12ihipStream_tbDpT10_ENKUlT_T0_E_clISt17integral_constantIbLb1EES1C_EEDaS17_S18_EUlS17_E_NS1_11comp_targetILNS1_3genE4ELNS1_11target_archE910ELNS1_3gpuE8ELNS1_3repE0EEENS1_30default_config_static_selectorELNS0_4arch9wavefront6targetE0EEEvT1_: ; @_ZN7rocprim17ROCPRIM_400000_NS6detail17trampoline_kernelINS0_14default_configENS1_25partition_config_selectorILNS1_17partition_subalgoE8ElNS0_10empty_typeEbEEZZNS1_14partition_implILS5_8ELb0ES3_jPlPS6_PKS6_NS0_5tupleIJS9_S6_EEENSD_IJSA_SA_EEENS0_18inequality_wrapperIZN2at6native12_GLOBAL__N_124unique_dim_cuda_templateIfEESt5tupleIJNSH_6TensorESM_SM_EERKSM_lbbbEUlllE0_EEPmJS6_EEE10hipError_tPvRmT3_T4_T5_T6_T7_T9_mT8_P12ihipStream_tbDpT10_ENKUlT_T0_E_clISt17integral_constantIbLb1EES1C_EEDaS17_S18_EUlS17_E_NS1_11comp_targetILNS1_3genE4ELNS1_11target_archE910ELNS1_3gpuE8ELNS1_3repE0EEENS1_30default_config_static_selectorELNS0_4arch9wavefront6targetE0EEEvT1_
; %bb.0:
	.section	.rodata,"a",@progbits
	.p2align	6, 0x0
	.amdhsa_kernel _ZN7rocprim17ROCPRIM_400000_NS6detail17trampoline_kernelINS0_14default_configENS1_25partition_config_selectorILNS1_17partition_subalgoE8ElNS0_10empty_typeEbEEZZNS1_14partition_implILS5_8ELb0ES3_jPlPS6_PKS6_NS0_5tupleIJS9_S6_EEENSD_IJSA_SA_EEENS0_18inequality_wrapperIZN2at6native12_GLOBAL__N_124unique_dim_cuda_templateIfEESt5tupleIJNSH_6TensorESM_SM_EERKSM_lbbbEUlllE0_EEPmJS6_EEE10hipError_tPvRmT3_T4_T5_T6_T7_T9_mT8_P12ihipStream_tbDpT10_ENKUlT_T0_E_clISt17integral_constantIbLb1EES1C_EEDaS17_S18_EUlS17_E_NS1_11comp_targetILNS1_3genE4ELNS1_11target_archE910ELNS1_3gpuE8ELNS1_3repE0EEENS1_30default_config_static_selectorELNS0_4arch9wavefront6targetE0EEEvT1_
		.amdhsa_group_segment_fixed_size 0
		.amdhsa_private_segment_fixed_size 0
		.amdhsa_kernarg_size 136
		.amdhsa_user_sgpr_count 15
		.amdhsa_user_sgpr_dispatch_ptr 0
		.amdhsa_user_sgpr_queue_ptr 0
		.amdhsa_user_sgpr_kernarg_segment_ptr 1
		.amdhsa_user_sgpr_dispatch_id 0
		.amdhsa_user_sgpr_private_segment_size 0
		.amdhsa_wavefront_size32 1
		.amdhsa_uses_dynamic_stack 0
		.amdhsa_enable_private_segment 0
		.amdhsa_system_sgpr_workgroup_id_x 1
		.amdhsa_system_sgpr_workgroup_id_y 0
		.amdhsa_system_sgpr_workgroup_id_z 0
		.amdhsa_system_sgpr_workgroup_info 0
		.amdhsa_system_vgpr_workitem_id 0
		.amdhsa_next_free_vgpr 1
		.amdhsa_next_free_sgpr 1
		.amdhsa_reserve_vcc 0
		.amdhsa_float_round_mode_32 0
		.amdhsa_float_round_mode_16_64 0
		.amdhsa_float_denorm_mode_32 3
		.amdhsa_float_denorm_mode_16_64 3
		.amdhsa_dx10_clamp 1
		.amdhsa_ieee_mode 1
		.amdhsa_fp16_overflow 0
		.amdhsa_workgroup_processor_mode 1
		.amdhsa_memory_ordered 1
		.amdhsa_forward_progress 0
		.amdhsa_shared_vgpr_count 0
		.amdhsa_exception_fp_ieee_invalid_op 0
		.amdhsa_exception_fp_denorm_src 0
		.amdhsa_exception_fp_ieee_div_zero 0
		.amdhsa_exception_fp_ieee_overflow 0
		.amdhsa_exception_fp_ieee_underflow 0
		.amdhsa_exception_fp_ieee_inexact 0
		.amdhsa_exception_int_div_zero 0
	.end_amdhsa_kernel
	.section	.text._ZN7rocprim17ROCPRIM_400000_NS6detail17trampoline_kernelINS0_14default_configENS1_25partition_config_selectorILNS1_17partition_subalgoE8ElNS0_10empty_typeEbEEZZNS1_14partition_implILS5_8ELb0ES3_jPlPS6_PKS6_NS0_5tupleIJS9_S6_EEENSD_IJSA_SA_EEENS0_18inequality_wrapperIZN2at6native12_GLOBAL__N_124unique_dim_cuda_templateIfEESt5tupleIJNSH_6TensorESM_SM_EERKSM_lbbbEUlllE0_EEPmJS6_EEE10hipError_tPvRmT3_T4_T5_T6_T7_T9_mT8_P12ihipStream_tbDpT10_ENKUlT_T0_E_clISt17integral_constantIbLb1EES1C_EEDaS17_S18_EUlS17_E_NS1_11comp_targetILNS1_3genE4ELNS1_11target_archE910ELNS1_3gpuE8ELNS1_3repE0EEENS1_30default_config_static_selectorELNS0_4arch9wavefront6targetE0EEEvT1_,"axG",@progbits,_ZN7rocprim17ROCPRIM_400000_NS6detail17trampoline_kernelINS0_14default_configENS1_25partition_config_selectorILNS1_17partition_subalgoE8ElNS0_10empty_typeEbEEZZNS1_14partition_implILS5_8ELb0ES3_jPlPS6_PKS6_NS0_5tupleIJS9_S6_EEENSD_IJSA_SA_EEENS0_18inequality_wrapperIZN2at6native12_GLOBAL__N_124unique_dim_cuda_templateIfEESt5tupleIJNSH_6TensorESM_SM_EERKSM_lbbbEUlllE0_EEPmJS6_EEE10hipError_tPvRmT3_T4_T5_T6_T7_T9_mT8_P12ihipStream_tbDpT10_ENKUlT_T0_E_clISt17integral_constantIbLb1EES1C_EEDaS17_S18_EUlS17_E_NS1_11comp_targetILNS1_3genE4ELNS1_11target_archE910ELNS1_3gpuE8ELNS1_3repE0EEENS1_30default_config_static_selectorELNS0_4arch9wavefront6targetE0EEEvT1_,comdat
.Lfunc_end939:
	.size	_ZN7rocprim17ROCPRIM_400000_NS6detail17trampoline_kernelINS0_14default_configENS1_25partition_config_selectorILNS1_17partition_subalgoE8ElNS0_10empty_typeEbEEZZNS1_14partition_implILS5_8ELb0ES3_jPlPS6_PKS6_NS0_5tupleIJS9_S6_EEENSD_IJSA_SA_EEENS0_18inequality_wrapperIZN2at6native12_GLOBAL__N_124unique_dim_cuda_templateIfEESt5tupleIJNSH_6TensorESM_SM_EERKSM_lbbbEUlllE0_EEPmJS6_EEE10hipError_tPvRmT3_T4_T5_T6_T7_T9_mT8_P12ihipStream_tbDpT10_ENKUlT_T0_E_clISt17integral_constantIbLb1EES1C_EEDaS17_S18_EUlS17_E_NS1_11comp_targetILNS1_3genE4ELNS1_11target_archE910ELNS1_3gpuE8ELNS1_3repE0EEENS1_30default_config_static_selectorELNS0_4arch9wavefront6targetE0EEEvT1_, .Lfunc_end939-_ZN7rocprim17ROCPRIM_400000_NS6detail17trampoline_kernelINS0_14default_configENS1_25partition_config_selectorILNS1_17partition_subalgoE8ElNS0_10empty_typeEbEEZZNS1_14partition_implILS5_8ELb0ES3_jPlPS6_PKS6_NS0_5tupleIJS9_S6_EEENSD_IJSA_SA_EEENS0_18inequality_wrapperIZN2at6native12_GLOBAL__N_124unique_dim_cuda_templateIfEESt5tupleIJNSH_6TensorESM_SM_EERKSM_lbbbEUlllE0_EEPmJS6_EEE10hipError_tPvRmT3_T4_T5_T6_T7_T9_mT8_P12ihipStream_tbDpT10_ENKUlT_T0_E_clISt17integral_constantIbLb1EES1C_EEDaS17_S18_EUlS17_E_NS1_11comp_targetILNS1_3genE4ELNS1_11target_archE910ELNS1_3gpuE8ELNS1_3repE0EEENS1_30default_config_static_selectorELNS0_4arch9wavefront6targetE0EEEvT1_
                                        ; -- End function
	.section	.AMDGPU.csdata,"",@progbits
; Kernel info:
; codeLenInByte = 0
; NumSgprs: 0
; NumVgprs: 0
; ScratchSize: 0
; MemoryBound: 0
; FloatMode: 240
; IeeeMode: 1
; LDSByteSize: 0 bytes/workgroup (compile time only)
; SGPRBlocks: 0
; VGPRBlocks: 0
; NumSGPRsForWavesPerEU: 1
; NumVGPRsForWavesPerEU: 1
; Occupancy: 16
; WaveLimiterHint : 0
; COMPUTE_PGM_RSRC2:SCRATCH_EN: 0
; COMPUTE_PGM_RSRC2:USER_SGPR: 15
; COMPUTE_PGM_RSRC2:TRAP_HANDLER: 0
; COMPUTE_PGM_RSRC2:TGID_X_EN: 1
; COMPUTE_PGM_RSRC2:TGID_Y_EN: 0
; COMPUTE_PGM_RSRC2:TGID_Z_EN: 0
; COMPUTE_PGM_RSRC2:TIDIG_COMP_CNT: 0
	.section	.text._ZN7rocprim17ROCPRIM_400000_NS6detail17trampoline_kernelINS0_14default_configENS1_25partition_config_selectorILNS1_17partition_subalgoE8ElNS0_10empty_typeEbEEZZNS1_14partition_implILS5_8ELb0ES3_jPlPS6_PKS6_NS0_5tupleIJS9_S6_EEENSD_IJSA_SA_EEENS0_18inequality_wrapperIZN2at6native12_GLOBAL__N_124unique_dim_cuda_templateIfEESt5tupleIJNSH_6TensorESM_SM_EERKSM_lbbbEUlllE0_EEPmJS6_EEE10hipError_tPvRmT3_T4_T5_T6_T7_T9_mT8_P12ihipStream_tbDpT10_ENKUlT_T0_E_clISt17integral_constantIbLb1EES1C_EEDaS17_S18_EUlS17_E_NS1_11comp_targetILNS1_3genE3ELNS1_11target_archE908ELNS1_3gpuE7ELNS1_3repE0EEENS1_30default_config_static_selectorELNS0_4arch9wavefront6targetE0EEEvT1_,"axG",@progbits,_ZN7rocprim17ROCPRIM_400000_NS6detail17trampoline_kernelINS0_14default_configENS1_25partition_config_selectorILNS1_17partition_subalgoE8ElNS0_10empty_typeEbEEZZNS1_14partition_implILS5_8ELb0ES3_jPlPS6_PKS6_NS0_5tupleIJS9_S6_EEENSD_IJSA_SA_EEENS0_18inequality_wrapperIZN2at6native12_GLOBAL__N_124unique_dim_cuda_templateIfEESt5tupleIJNSH_6TensorESM_SM_EERKSM_lbbbEUlllE0_EEPmJS6_EEE10hipError_tPvRmT3_T4_T5_T6_T7_T9_mT8_P12ihipStream_tbDpT10_ENKUlT_T0_E_clISt17integral_constantIbLb1EES1C_EEDaS17_S18_EUlS17_E_NS1_11comp_targetILNS1_3genE3ELNS1_11target_archE908ELNS1_3gpuE7ELNS1_3repE0EEENS1_30default_config_static_selectorELNS0_4arch9wavefront6targetE0EEEvT1_,comdat
	.globl	_ZN7rocprim17ROCPRIM_400000_NS6detail17trampoline_kernelINS0_14default_configENS1_25partition_config_selectorILNS1_17partition_subalgoE8ElNS0_10empty_typeEbEEZZNS1_14partition_implILS5_8ELb0ES3_jPlPS6_PKS6_NS0_5tupleIJS9_S6_EEENSD_IJSA_SA_EEENS0_18inequality_wrapperIZN2at6native12_GLOBAL__N_124unique_dim_cuda_templateIfEESt5tupleIJNSH_6TensorESM_SM_EERKSM_lbbbEUlllE0_EEPmJS6_EEE10hipError_tPvRmT3_T4_T5_T6_T7_T9_mT8_P12ihipStream_tbDpT10_ENKUlT_T0_E_clISt17integral_constantIbLb1EES1C_EEDaS17_S18_EUlS17_E_NS1_11comp_targetILNS1_3genE3ELNS1_11target_archE908ELNS1_3gpuE7ELNS1_3repE0EEENS1_30default_config_static_selectorELNS0_4arch9wavefront6targetE0EEEvT1_ ; -- Begin function _ZN7rocprim17ROCPRIM_400000_NS6detail17trampoline_kernelINS0_14default_configENS1_25partition_config_selectorILNS1_17partition_subalgoE8ElNS0_10empty_typeEbEEZZNS1_14partition_implILS5_8ELb0ES3_jPlPS6_PKS6_NS0_5tupleIJS9_S6_EEENSD_IJSA_SA_EEENS0_18inequality_wrapperIZN2at6native12_GLOBAL__N_124unique_dim_cuda_templateIfEESt5tupleIJNSH_6TensorESM_SM_EERKSM_lbbbEUlllE0_EEPmJS6_EEE10hipError_tPvRmT3_T4_T5_T6_T7_T9_mT8_P12ihipStream_tbDpT10_ENKUlT_T0_E_clISt17integral_constantIbLb1EES1C_EEDaS17_S18_EUlS17_E_NS1_11comp_targetILNS1_3genE3ELNS1_11target_archE908ELNS1_3gpuE7ELNS1_3repE0EEENS1_30default_config_static_selectorELNS0_4arch9wavefront6targetE0EEEvT1_
	.p2align	8
	.type	_ZN7rocprim17ROCPRIM_400000_NS6detail17trampoline_kernelINS0_14default_configENS1_25partition_config_selectorILNS1_17partition_subalgoE8ElNS0_10empty_typeEbEEZZNS1_14partition_implILS5_8ELb0ES3_jPlPS6_PKS6_NS0_5tupleIJS9_S6_EEENSD_IJSA_SA_EEENS0_18inequality_wrapperIZN2at6native12_GLOBAL__N_124unique_dim_cuda_templateIfEESt5tupleIJNSH_6TensorESM_SM_EERKSM_lbbbEUlllE0_EEPmJS6_EEE10hipError_tPvRmT3_T4_T5_T6_T7_T9_mT8_P12ihipStream_tbDpT10_ENKUlT_T0_E_clISt17integral_constantIbLb1EES1C_EEDaS17_S18_EUlS17_E_NS1_11comp_targetILNS1_3genE3ELNS1_11target_archE908ELNS1_3gpuE7ELNS1_3repE0EEENS1_30default_config_static_selectorELNS0_4arch9wavefront6targetE0EEEvT1_,@function
_ZN7rocprim17ROCPRIM_400000_NS6detail17trampoline_kernelINS0_14default_configENS1_25partition_config_selectorILNS1_17partition_subalgoE8ElNS0_10empty_typeEbEEZZNS1_14partition_implILS5_8ELb0ES3_jPlPS6_PKS6_NS0_5tupleIJS9_S6_EEENSD_IJSA_SA_EEENS0_18inequality_wrapperIZN2at6native12_GLOBAL__N_124unique_dim_cuda_templateIfEESt5tupleIJNSH_6TensorESM_SM_EERKSM_lbbbEUlllE0_EEPmJS6_EEE10hipError_tPvRmT3_T4_T5_T6_T7_T9_mT8_P12ihipStream_tbDpT10_ENKUlT_T0_E_clISt17integral_constantIbLb1EES1C_EEDaS17_S18_EUlS17_E_NS1_11comp_targetILNS1_3genE3ELNS1_11target_archE908ELNS1_3gpuE7ELNS1_3repE0EEENS1_30default_config_static_selectorELNS0_4arch9wavefront6targetE0EEEvT1_: ; @_ZN7rocprim17ROCPRIM_400000_NS6detail17trampoline_kernelINS0_14default_configENS1_25partition_config_selectorILNS1_17partition_subalgoE8ElNS0_10empty_typeEbEEZZNS1_14partition_implILS5_8ELb0ES3_jPlPS6_PKS6_NS0_5tupleIJS9_S6_EEENSD_IJSA_SA_EEENS0_18inequality_wrapperIZN2at6native12_GLOBAL__N_124unique_dim_cuda_templateIfEESt5tupleIJNSH_6TensorESM_SM_EERKSM_lbbbEUlllE0_EEPmJS6_EEE10hipError_tPvRmT3_T4_T5_T6_T7_T9_mT8_P12ihipStream_tbDpT10_ENKUlT_T0_E_clISt17integral_constantIbLb1EES1C_EEDaS17_S18_EUlS17_E_NS1_11comp_targetILNS1_3genE3ELNS1_11target_archE908ELNS1_3gpuE7ELNS1_3repE0EEENS1_30default_config_static_selectorELNS0_4arch9wavefront6targetE0EEEvT1_
; %bb.0:
	.section	.rodata,"a",@progbits
	.p2align	6, 0x0
	.amdhsa_kernel _ZN7rocprim17ROCPRIM_400000_NS6detail17trampoline_kernelINS0_14default_configENS1_25partition_config_selectorILNS1_17partition_subalgoE8ElNS0_10empty_typeEbEEZZNS1_14partition_implILS5_8ELb0ES3_jPlPS6_PKS6_NS0_5tupleIJS9_S6_EEENSD_IJSA_SA_EEENS0_18inequality_wrapperIZN2at6native12_GLOBAL__N_124unique_dim_cuda_templateIfEESt5tupleIJNSH_6TensorESM_SM_EERKSM_lbbbEUlllE0_EEPmJS6_EEE10hipError_tPvRmT3_T4_T5_T6_T7_T9_mT8_P12ihipStream_tbDpT10_ENKUlT_T0_E_clISt17integral_constantIbLb1EES1C_EEDaS17_S18_EUlS17_E_NS1_11comp_targetILNS1_3genE3ELNS1_11target_archE908ELNS1_3gpuE7ELNS1_3repE0EEENS1_30default_config_static_selectorELNS0_4arch9wavefront6targetE0EEEvT1_
		.amdhsa_group_segment_fixed_size 0
		.amdhsa_private_segment_fixed_size 0
		.amdhsa_kernarg_size 136
		.amdhsa_user_sgpr_count 15
		.amdhsa_user_sgpr_dispatch_ptr 0
		.amdhsa_user_sgpr_queue_ptr 0
		.amdhsa_user_sgpr_kernarg_segment_ptr 1
		.amdhsa_user_sgpr_dispatch_id 0
		.amdhsa_user_sgpr_private_segment_size 0
		.amdhsa_wavefront_size32 1
		.amdhsa_uses_dynamic_stack 0
		.amdhsa_enable_private_segment 0
		.amdhsa_system_sgpr_workgroup_id_x 1
		.amdhsa_system_sgpr_workgroup_id_y 0
		.amdhsa_system_sgpr_workgroup_id_z 0
		.amdhsa_system_sgpr_workgroup_info 0
		.amdhsa_system_vgpr_workitem_id 0
		.amdhsa_next_free_vgpr 1
		.amdhsa_next_free_sgpr 1
		.amdhsa_reserve_vcc 0
		.amdhsa_float_round_mode_32 0
		.amdhsa_float_round_mode_16_64 0
		.amdhsa_float_denorm_mode_32 3
		.amdhsa_float_denorm_mode_16_64 3
		.amdhsa_dx10_clamp 1
		.amdhsa_ieee_mode 1
		.amdhsa_fp16_overflow 0
		.amdhsa_workgroup_processor_mode 1
		.amdhsa_memory_ordered 1
		.amdhsa_forward_progress 0
		.amdhsa_shared_vgpr_count 0
		.amdhsa_exception_fp_ieee_invalid_op 0
		.amdhsa_exception_fp_denorm_src 0
		.amdhsa_exception_fp_ieee_div_zero 0
		.amdhsa_exception_fp_ieee_overflow 0
		.amdhsa_exception_fp_ieee_underflow 0
		.amdhsa_exception_fp_ieee_inexact 0
		.amdhsa_exception_int_div_zero 0
	.end_amdhsa_kernel
	.section	.text._ZN7rocprim17ROCPRIM_400000_NS6detail17trampoline_kernelINS0_14default_configENS1_25partition_config_selectorILNS1_17partition_subalgoE8ElNS0_10empty_typeEbEEZZNS1_14partition_implILS5_8ELb0ES3_jPlPS6_PKS6_NS0_5tupleIJS9_S6_EEENSD_IJSA_SA_EEENS0_18inequality_wrapperIZN2at6native12_GLOBAL__N_124unique_dim_cuda_templateIfEESt5tupleIJNSH_6TensorESM_SM_EERKSM_lbbbEUlllE0_EEPmJS6_EEE10hipError_tPvRmT3_T4_T5_T6_T7_T9_mT8_P12ihipStream_tbDpT10_ENKUlT_T0_E_clISt17integral_constantIbLb1EES1C_EEDaS17_S18_EUlS17_E_NS1_11comp_targetILNS1_3genE3ELNS1_11target_archE908ELNS1_3gpuE7ELNS1_3repE0EEENS1_30default_config_static_selectorELNS0_4arch9wavefront6targetE0EEEvT1_,"axG",@progbits,_ZN7rocprim17ROCPRIM_400000_NS6detail17trampoline_kernelINS0_14default_configENS1_25partition_config_selectorILNS1_17partition_subalgoE8ElNS0_10empty_typeEbEEZZNS1_14partition_implILS5_8ELb0ES3_jPlPS6_PKS6_NS0_5tupleIJS9_S6_EEENSD_IJSA_SA_EEENS0_18inequality_wrapperIZN2at6native12_GLOBAL__N_124unique_dim_cuda_templateIfEESt5tupleIJNSH_6TensorESM_SM_EERKSM_lbbbEUlllE0_EEPmJS6_EEE10hipError_tPvRmT3_T4_T5_T6_T7_T9_mT8_P12ihipStream_tbDpT10_ENKUlT_T0_E_clISt17integral_constantIbLb1EES1C_EEDaS17_S18_EUlS17_E_NS1_11comp_targetILNS1_3genE3ELNS1_11target_archE908ELNS1_3gpuE7ELNS1_3repE0EEENS1_30default_config_static_selectorELNS0_4arch9wavefront6targetE0EEEvT1_,comdat
.Lfunc_end940:
	.size	_ZN7rocprim17ROCPRIM_400000_NS6detail17trampoline_kernelINS0_14default_configENS1_25partition_config_selectorILNS1_17partition_subalgoE8ElNS0_10empty_typeEbEEZZNS1_14partition_implILS5_8ELb0ES3_jPlPS6_PKS6_NS0_5tupleIJS9_S6_EEENSD_IJSA_SA_EEENS0_18inequality_wrapperIZN2at6native12_GLOBAL__N_124unique_dim_cuda_templateIfEESt5tupleIJNSH_6TensorESM_SM_EERKSM_lbbbEUlllE0_EEPmJS6_EEE10hipError_tPvRmT3_T4_T5_T6_T7_T9_mT8_P12ihipStream_tbDpT10_ENKUlT_T0_E_clISt17integral_constantIbLb1EES1C_EEDaS17_S18_EUlS17_E_NS1_11comp_targetILNS1_3genE3ELNS1_11target_archE908ELNS1_3gpuE7ELNS1_3repE0EEENS1_30default_config_static_selectorELNS0_4arch9wavefront6targetE0EEEvT1_, .Lfunc_end940-_ZN7rocprim17ROCPRIM_400000_NS6detail17trampoline_kernelINS0_14default_configENS1_25partition_config_selectorILNS1_17partition_subalgoE8ElNS0_10empty_typeEbEEZZNS1_14partition_implILS5_8ELb0ES3_jPlPS6_PKS6_NS0_5tupleIJS9_S6_EEENSD_IJSA_SA_EEENS0_18inequality_wrapperIZN2at6native12_GLOBAL__N_124unique_dim_cuda_templateIfEESt5tupleIJNSH_6TensorESM_SM_EERKSM_lbbbEUlllE0_EEPmJS6_EEE10hipError_tPvRmT3_T4_T5_T6_T7_T9_mT8_P12ihipStream_tbDpT10_ENKUlT_T0_E_clISt17integral_constantIbLb1EES1C_EEDaS17_S18_EUlS17_E_NS1_11comp_targetILNS1_3genE3ELNS1_11target_archE908ELNS1_3gpuE7ELNS1_3repE0EEENS1_30default_config_static_selectorELNS0_4arch9wavefront6targetE0EEEvT1_
                                        ; -- End function
	.section	.AMDGPU.csdata,"",@progbits
; Kernel info:
; codeLenInByte = 0
; NumSgprs: 0
; NumVgprs: 0
; ScratchSize: 0
; MemoryBound: 0
; FloatMode: 240
; IeeeMode: 1
; LDSByteSize: 0 bytes/workgroup (compile time only)
; SGPRBlocks: 0
; VGPRBlocks: 0
; NumSGPRsForWavesPerEU: 1
; NumVGPRsForWavesPerEU: 1
; Occupancy: 16
; WaveLimiterHint : 0
; COMPUTE_PGM_RSRC2:SCRATCH_EN: 0
; COMPUTE_PGM_RSRC2:USER_SGPR: 15
; COMPUTE_PGM_RSRC2:TRAP_HANDLER: 0
; COMPUTE_PGM_RSRC2:TGID_X_EN: 1
; COMPUTE_PGM_RSRC2:TGID_Y_EN: 0
; COMPUTE_PGM_RSRC2:TGID_Z_EN: 0
; COMPUTE_PGM_RSRC2:TIDIG_COMP_CNT: 0
	.section	.text._ZN7rocprim17ROCPRIM_400000_NS6detail17trampoline_kernelINS0_14default_configENS1_25partition_config_selectorILNS1_17partition_subalgoE8ElNS0_10empty_typeEbEEZZNS1_14partition_implILS5_8ELb0ES3_jPlPS6_PKS6_NS0_5tupleIJS9_S6_EEENSD_IJSA_SA_EEENS0_18inequality_wrapperIZN2at6native12_GLOBAL__N_124unique_dim_cuda_templateIfEESt5tupleIJNSH_6TensorESM_SM_EERKSM_lbbbEUlllE0_EEPmJS6_EEE10hipError_tPvRmT3_T4_T5_T6_T7_T9_mT8_P12ihipStream_tbDpT10_ENKUlT_T0_E_clISt17integral_constantIbLb1EES1C_EEDaS17_S18_EUlS17_E_NS1_11comp_targetILNS1_3genE2ELNS1_11target_archE906ELNS1_3gpuE6ELNS1_3repE0EEENS1_30default_config_static_selectorELNS0_4arch9wavefront6targetE0EEEvT1_,"axG",@progbits,_ZN7rocprim17ROCPRIM_400000_NS6detail17trampoline_kernelINS0_14default_configENS1_25partition_config_selectorILNS1_17partition_subalgoE8ElNS0_10empty_typeEbEEZZNS1_14partition_implILS5_8ELb0ES3_jPlPS6_PKS6_NS0_5tupleIJS9_S6_EEENSD_IJSA_SA_EEENS0_18inequality_wrapperIZN2at6native12_GLOBAL__N_124unique_dim_cuda_templateIfEESt5tupleIJNSH_6TensorESM_SM_EERKSM_lbbbEUlllE0_EEPmJS6_EEE10hipError_tPvRmT3_T4_T5_T6_T7_T9_mT8_P12ihipStream_tbDpT10_ENKUlT_T0_E_clISt17integral_constantIbLb1EES1C_EEDaS17_S18_EUlS17_E_NS1_11comp_targetILNS1_3genE2ELNS1_11target_archE906ELNS1_3gpuE6ELNS1_3repE0EEENS1_30default_config_static_selectorELNS0_4arch9wavefront6targetE0EEEvT1_,comdat
	.globl	_ZN7rocprim17ROCPRIM_400000_NS6detail17trampoline_kernelINS0_14default_configENS1_25partition_config_selectorILNS1_17partition_subalgoE8ElNS0_10empty_typeEbEEZZNS1_14partition_implILS5_8ELb0ES3_jPlPS6_PKS6_NS0_5tupleIJS9_S6_EEENSD_IJSA_SA_EEENS0_18inequality_wrapperIZN2at6native12_GLOBAL__N_124unique_dim_cuda_templateIfEESt5tupleIJNSH_6TensorESM_SM_EERKSM_lbbbEUlllE0_EEPmJS6_EEE10hipError_tPvRmT3_T4_T5_T6_T7_T9_mT8_P12ihipStream_tbDpT10_ENKUlT_T0_E_clISt17integral_constantIbLb1EES1C_EEDaS17_S18_EUlS17_E_NS1_11comp_targetILNS1_3genE2ELNS1_11target_archE906ELNS1_3gpuE6ELNS1_3repE0EEENS1_30default_config_static_selectorELNS0_4arch9wavefront6targetE0EEEvT1_ ; -- Begin function _ZN7rocprim17ROCPRIM_400000_NS6detail17trampoline_kernelINS0_14default_configENS1_25partition_config_selectorILNS1_17partition_subalgoE8ElNS0_10empty_typeEbEEZZNS1_14partition_implILS5_8ELb0ES3_jPlPS6_PKS6_NS0_5tupleIJS9_S6_EEENSD_IJSA_SA_EEENS0_18inequality_wrapperIZN2at6native12_GLOBAL__N_124unique_dim_cuda_templateIfEESt5tupleIJNSH_6TensorESM_SM_EERKSM_lbbbEUlllE0_EEPmJS6_EEE10hipError_tPvRmT3_T4_T5_T6_T7_T9_mT8_P12ihipStream_tbDpT10_ENKUlT_T0_E_clISt17integral_constantIbLb1EES1C_EEDaS17_S18_EUlS17_E_NS1_11comp_targetILNS1_3genE2ELNS1_11target_archE906ELNS1_3gpuE6ELNS1_3repE0EEENS1_30default_config_static_selectorELNS0_4arch9wavefront6targetE0EEEvT1_
	.p2align	8
	.type	_ZN7rocprim17ROCPRIM_400000_NS6detail17trampoline_kernelINS0_14default_configENS1_25partition_config_selectorILNS1_17partition_subalgoE8ElNS0_10empty_typeEbEEZZNS1_14partition_implILS5_8ELb0ES3_jPlPS6_PKS6_NS0_5tupleIJS9_S6_EEENSD_IJSA_SA_EEENS0_18inequality_wrapperIZN2at6native12_GLOBAL__N_124unique_dim_cuda_templateIfEESt5tupleIJNSH_6TensorESM_SM_EERKSM_lbbbEUlllE0_EEPmJS6_EEE10hipError_tPvRmT3_T4_T5_T6_T7_T9_mT8_P12ihipStream_tbDpT10_ENKUlT_T0_E_clISt17integral_constantIbLb1EES1C_EEDaS17_S18_EUlS17_E_NS1_11comp_targetILNS1_3genE2ELNS1_11target_archE906ELNS1_3gpuE6ELNS1_3repE0EEENS1_30default_config_static_selectorELNS0_4arch9wavefront6targetE0EEEvT1_,@function
_ZN7rocprim17ROCPRIM_400000_NS6detail17trampoline_kernelINS0_14default_configENS1_25partition_config_selectorILNS1_17partition_subalgoE8ElNS0_10empty_typeEbEEZZNS1_14partition_implILS5_8ELb0ES3_jPlPS6_PKS6_NS0_5tupleIJS9_S6_EEENSD_IJSA_SA_EEENS0_18inequality_wrapperIZN2at6native12_GLOBAL__N_124unique_dim_cuda_templateIfEESt5tupleIJNSH_6TensorESM_SM_EERKSM_lbbbEUlllE0_EEPmJS6_EEE10hipError_tPvRmT3_T4_T5_T6_T7_T9_mT8_P12ihipStream_tbDpT10_ENKUlT_T0_E_clISt17integral_constantIbLb1EES1C_EEDaS17_S18_EUlS17_E_NS1_11comp_targetILNS1_3genE2ELNS1_11target_archE906ELNS1_3gpuE6ELNS1_3repE0EEENS1_30default_config_static_selectorELNS0_4arch9wavefront6targetE0EEEvT1_: ; @_ZN7rocprim17ROCPRIM_400000_NS6detail17trampoline_kernelINS0_14default_configENS1_25partition_config_selectorILNS1_17partition_subalgoE8ElNS0_10empty_typeEbEEZZNS1_14partition_implILS5_8ELb0ES3_jPlPS6_PKS6_NS0_5tupleIJS9_S6_EEENSD_IJSA_SA_EEENS0_18inequality_wrapperIZN2at6native12_GLOBAL__N_124unique_dim_cuda_templateIfEESt5tupleIJNSH_6TensorESM_SM_EERKSM_lbbbEUlllE0_EEPmJS6_EEE10hipError_tPvRmT3_T4_T5_T6_T7_T9_mT8_P12ihipStream_tbDpT10_ENKUlT_T0_E_clISt17integral_constantIbLb1EES1C_EEDaS17_S18_EUlS17_E_NS1_11comp_targetILNS1_3genE2ELNS1_11target_archE906ELNS1_3gpuE6ELNS1_3repE0EEENS1_30default_config_static_selectorELNS0_4arch9wavefront6targetE0EEEvT1_
; %bb.0:
	.section	.rodata,"a",@progbits
	.p2align	6, 0x0
	.amdhsa_kernel _ZN7rocprim17ROCPRIM_400000_NS6detail17trampoline_kernelINS0_14default_configENS1_25partition_config_selectorILNS1_17partition_subalgoE8ElNS0_10empty_typeEbEEZZNS1_14partition_implILS5_8ELb0ES3_jPlPS6_PKS6_NS0_5tupleIJS9_S6_EEENSD_IJSA_SA_EEENS0_18inequality_wrapperIZN2at6native12_GLOBAL__N_124unique_dim_cuda_templateIfEESt5tupleIJNSH_6TensorESM_SM_EERKSM_lbbbEUlllE0_EEPmJS6_EEE10hipError_tPvRmT3_T4_T5_T6_T7_T9_mT8_P12ihipStream_tbDpT10_ENKUlT_T0_E_clISt17integral_constantIbLb1EES1C_EEDaS17_S18_EUlS17_E_NS1_11comp_targetILNS1_3genE2ELNS1_11target_archE906ELNS1_3gpuE6ELNS1_3repE0EEENS1_30default_config_static_selectorELNS0_4arch9wavefront6targetE0EEEvT1_
		.amdhsa_group_segment_fixed_size 0
		.amdhsa_private_segment_fixed_size 0
		.amdhsa_kernarg_size 136
		.amdhsa_user_sgpr_count 15
		.amdhsa_user_sgpr_dispatch_ptr 0
		.amdhsa_user_sgpr_queue_ptr 0
		.amdhsa_user_sgpr_kernarg_segment_ptr 1
		.amdhsa_user_sgpr_dispatch_id 0
		.amdhsa_user_sgpr_private_segment_size 0
		.amdhsa_wavefront_size32 1
		.amdhsa_uses_dynamic_stack 0
		.amdhsa_enable_private_segment 0
		.amdhsa_system_sgpr_workgroup_id_x 1
		.amdhsa_system_sgpr_workgroup_id_y 0
		.amdhsa_system_sgpr_workgroup_id_z 0
		.amdhsa_system_sgpr_workgroup_info 0
		.amdhsa_system_vgpr_workitem_id 0
		.amdhsa_next_free_vgpr 1
		.amdhsa_next_free_sgpr 1
		.amdhsa_reserve_vcc 0
		.amdhsa_float_round_mode_32 0
		.amdhsa_float_round_mode_16_64 0
		.amdhsa_float_denorm_mode_32 3
		.amdhsa_float_denorm_mode_16_64 3
		.amdhsa_dx10_clamp 1
		.amdhsa_ieee_mode 1
		.amdhsa_fp16_overflow 0
		.amdhsa_workgroup_processor_mode 1
		.amdhsa_memory_ordered 1
		.amdhsa_forward_progress 0
		.amdhsa_shared_vgpr_count 0
		.amdhsa_exception_fp_ieee_invalid_op 0
		.amdhsa_exception_fp_denorm_src 0
		.amdhsa_exception_fp_ieee_div_zero 0
		.amdhsa_exception_fp_ieee_overflow 0
		.amdhsa_exception_fp_ieee_underflow 0
		.amdhsa_exception_fp_ieee_inexact 0
		.amdhsa_exception_int_div_zero 0
	.end_amdhsa_kernel
	.section	.text._ZN7rocprim17ROCPRIM_400000_NS6detail17trampoline_kernelINS0_14default_configENS1_25partition_config_selectorILNS1_17partition_subalgoE8ElNS0_10empty_typeEbEEZZNS1_14partition_implILS5_8ELb0ES3_jPlPS6_PKS6_NS0_5tupleIJS9_S6_EEENSD_IJSA_SA_EEENS0_18inequality_wrapperIZN2at6native12_GLOBAL__N_124unique_dim_cuda_templateIfEESt5tupleIJNSH_6TensorESM_SM_EERKSM_lbbbEUlllE0_EEPmJS6_EEE10hipError_tPvRmT3_T4_T5_T6_T7_T9_mT8_P12ihipStream_tbDpT10_ENKUlT_T0_E_clISt17integral_constantIbLb1EES1C_EEDaS17_S18_EUlS17_E_NS1_11comp_targetILNS1_3genE2ELNS1_11target_archE906ELNS1_3gpuE6ELNS1_3repE0EEENS1_30default_config_static_selectorELNS0_4arch9wavefront6targetE0EEEvT1_,"axG",@progbits,_ZN7rocprim17ROCPRIM_400000_NS6detail17trampoline_kernelINS0_14default_configENS1_25partition_config_selectorILNS1_17partition_subalgoE8ElNS0_10empty_typeEbEEZZNS1_14partition_implILS5_8ELb0ES3_jPlPS6_PKS6_NS0_5tupleIJS9_S6_EEENSD_IJSA_SA_EEENS0_18inequality_wrapperIZN2at6native12_GLOBAL__N_124unique_dim_cuda_templateIfEESt5tupleIJNSH_6TensorESM_SM_EERKSM_lbbbEUlllE0_EEPmJS6_EEE10hipError_tPvRmT3_T4_T5_T6_T7_T9_mT8_P12ihipStream_tbDpT10_ENKUlT_T0_E_clISt17integral_constantIbLb1EES1C_EEDaS17_S18_EUlS17_E_NS1_11comp_targetILNS1_3genE2ELNS1_11target_archE906ELNS1_3gpuE6ELNS1_3repE0EEENS1_30default_config_static_selectorELNS0_4arch9wavefront6targetE0EEEvT1_,comdat
.Lfunc_end941:
	.size	_ZN7rocprim17ROCPRIM_400000_NS6detail17trampoline_kernelINS0_14default_configENS1_25partition_config_selectorILNS1_17partition_subalgoE8ElNS0_10empty_typeEbEEZZNS1_14partition_implILS5_8ELb0ES3_jPlPS6_PKS6_NS0_5tupleIJS9_S6_EEENSD_IJSA_SA_EEENS0_18inequality_wrapperIZN2at6native12_GLOBAL__N_124unique_dim_cuda_templateIfEESt5tupleIJNSH_6TensorESM_SM_EERKSM_lbbbEUlllE0_EEPmJS6_EEE10hipError_tPvRmT3_T4_T5_T6_T7_T9_mT8_P12ihipStream_tbDpT10_ENKUlT_T0_E_clISt17integral_constantIbLb1EES1C_EEDaS17_S18_EUlS17_E_NS1_11comp_targetILNS1_3genE2ELNS1_11target_archE906ELNS1_3gpuE6ELNS1_3repE0EEENS1_30default_config_static_selectorELNS0_4arch9wavefront6targetE0EEEvT1_, .Lfunc_end941-_ZN7rocprim17ROCPRIM_400000_NS6detail17trampoline_kernelINS0_14default_configENS1_25partition_config_selectorILNS1_17partition_subalgoE8ElNS0_10empty_typeEbEEZZNS1_14partition_implILS5_8ELb0ES3_jPlPS6_PKS6_NS0_5tupleIJS9_S6_EEENSD_IJSA_SA_EEENS0_18inequality_wrapperIZN2at6native12_GLOBAL__N_124unique_dim_cuda_templateIfEESt5tupleIJNSH_6TensorESM_SM_EERKSM_lbbbEUlllE0_EEPmJS6_EEE10hipError_tPvRmT3_T4_T5_T6_T7_T9_mT8_P12ihipStream_tbDpT10_ENKUlT_T0_E_clISt17integral_constantIbLb1EES1C_EEDaS17_S18_EUlS17_E_NS1_11comp_targetILNS1_3genE2ELNS1_11target_archE906ELNS1_3gpuE6ELNS1_3repE0EEENS1_30default_config_static_selectorELNS0_4arch9wavefront6targetE0EEEvT1_
                                        ; -- End function
	.section	.AMDGPU.csdata,"",@progbits
; Kernel info:
; codeLenInByte = 0
; NumSgprs: 0
; NumVgprs: 0
; ScratchSize: 0
; MemoryBound: 0
; FloatMode: 240
; IeeeMode: 1
; LDSByteSize: 0 bytes/workgroup (compile time only)
; SGPRBlocks: 0
; VGPRBlocks: 0
; NumSGPRsForWavesPerEU: 1
; NumVGPRsForWavesPerEU: 1
; Occupancy: 16
; WaveLimiterHint : 0
; COMPUTE_PGM_RSRC2:SCRATCH_EN: 0
; COMPUTE_PGM_RSRC2:USER_SGPR: 15
; COMPUTE_PGM_RSRC2:TRAP_HANDLER: 0
; COMPUTE_PGM_RSRC2:TGID_X_EN: 1
; COMPUTE_PGM_RSRC2:TGID_Y_EN: 0
; COMPUTE_PGM_RSRC2:TGID_Z_EN: 0
; COMPUTE_PGM_RSRC2:TIDIG_COMP_CNT: 0
	.section	.text._ZN7rocprim17ROCPRIM_400000_NS6detail17trampoline_kernelINS0_14default_configENS1_25partition_config_selectorILNS1_17partition_subalgoE8ElNS0_10empty_typeEbEEZZNS1_14partition_implILS5_8ELb0ES3_jPlPS6_PKS6_NS0_5tupleIJS9_S6_EEENSD_IJSA_SA_EEENS0_18inequality_wrapperIZN2at6native12_GLOBAL__N_124unique_dim_cuda_templateIfEESt5tupleIJNSH_6TensorESM_SM_EERKSM_lbbbEUlllE0_EEPmJS6_EEE10hipError_tPvRmT3_T4_T5_T6_T7_T9_mT8_P12ihipStream_tbDpT10_ENKUlT_T0_E_clISt17integral_constantIbLb1EES1C_EEDaS17_S18_EUlS17_E_NS1_11comp_targetILNS1_3genE10ELNS1_11target_archE1200ELNS1_3gpuE4ELNS1_3repE0EEENS1_30default_config_static_selectorELNS0_4arch9wavefront6targetE0EEEvT1_,"axG",@progbits,_ZN7rocprim17ROCPRIM_400000_NS6detail17trampoline_kernelINS0_14default_configENS1_25partition_config_selectorILNS1_17partition_subalgoE8ElNS0_10empty_typeEbEEZZNS1_14partition_implILS5_8ELb0ES3_jPlPS6_PKS6_NS0_5tupleIJS9_S6_EEENSD_IJSA_SA_EEENS0_18inequality_wrapperIZN2at6native12_GLOBAL__N_124unique_dim_cuda_templateIfEESt5tupleIJNSH_6TensorESM_SM_EERKSM_lbbbEUlllE0_EEPmJS6_EEE10hipError_tPvRmT3_T4_T5_T6_T7_T9_mT8_P12ihipStream_tbDpT10_ENKUlT_T0_E_clISt17integral_constantIbLb1EES1C_EEDaS17_S18_EUlS17_E_NS1_11comp_targetILNS1_3genE10ELNS1_11target_archE1200ELNS1_3gpuE4ELNS1_3repE0EEENS1_30default_config_static_selectorELNS0_4arch9wavefront6targetE0EEEvT1_,comdat
	.globl	_ZN7rocprim17ROCPRIM_400000_NS6detail17trampoline_kernelINS0_14default_configENS1_25partition_config_selectorILNS1_17partition_subalgoE8ElNS0_10empty_typeEbEEZZNS1_14partition_implILS5_8ELb0ES3_jPlPS6_PKS6_NS0_5tupleIJS9_S6_EEENSD_IJSA_SA_EEENS0_18inequality_wrapperIZN2at6native12_GLOBAL__N_124unique_dim_cuda_templateIfEESt5tupleIJNSH_6TensorESM_SM_EERKSM_lbbbEUlllE0_EEPmJS6_EEE10hipError_tPvRmT3_T4_T5_T6_T7_T9_mT8_P12ihipStream_tbDpT10_ENKUlT_T0_E_clISt17integral_constantIbLb1EES1C_EEDaS17_S18_EUlS17_E_NS1_11comp_targetILNS1_3genE10ELNS1_11target_archE1200ELNS1_3gpuE4ELNS1_3repE0EEENS1_30default_config_static_selectorELNS0_4arch9wavefront6targetE0EEEvT1_ ; -- Begin function _ZN7rocprim17ROCPRIM_400000_NS6detail17trampoline_kernelINS0_14default_configENS1_25partition_config_selectorILNS1_17partition_subalgoE8ElNS0_10empty_typeEbEEZZNS1_14partition_implILS5_8ELb0ES3_jPlPS6_PKS6_NS0_5tupleIJS9_S6_EEENSD_IJSA_SA_EEENS0_18inequality_wrapperIZN2at6native12_GLOBAL__N_124unique_dim_cuda_templateIfEESt5tupleIJNSH_6TensorESM_SM_EERKSM_lbbbEUlllE0_EEPmJS6_EEE10hipError_tPvRmT3_T4_T5_T6_T7_T9_mT8_P12ihipStream_tbDpT10_ENKUlT_T0_E_clISt17integral_constantIbLb1EES1C_EEDaS17_S18_EUlS17_E_NS1_11comp_targetILNS1_3genE10ELNS1_11target_archE1200ELNS1_3gpuE4ELNS1_3repE0EEENS1_30default_config_static_selectorELNS0_4arch9wavefront6targetE0EEEvT1_
	.p2align	8
	.type	_ZN7rocprim17ROCPRIM_400000_NS6detail17trampoline_kernelINS0_14default_configENS1_25partition_config_selectorILNS1_17partition_subalgoE8ElNS0_10empty_typeEbEEZZNS1_14partition_implILS5_8ELb0ES3_jPlPS6_PKS6_NS0_5tupleIJS9_S6_EEENSD_IJSA_SA_EEENS0_18inequality_wrapperIZN2at6native12_GLOBAL__N_124unique_dim_cuda_templateIfEESt5tupleIJNSH_6TensorESM_SM_EERKSM_lbbbEUlllE0_EEPmJS6_EEE10hipError_tPvRmT3_T4_T5_T6_T7_T9_mT8_P12ihipStream_tbDpT10_ENKUlT_T0_E_clISt17integral_constantIbLb1EES1C_EEDaS17_S18_EUlS17_E_NS1_11comp_targetILNS1_3genE10ELNS1_11target_archE1200ELNS1_3gpuE4ELNS1_3repE0EEENS1_30default_config_static_selectorELNS0_4arch9wavefront6targetE0EEEvT1_,@function
_ZN7rocprim17ROCPRIM_400000_NS6detail17trampoline_kernelINS0_14default_configENS1_25partition_config_selectorILNS1_17partition_subalgoE8ElNS0_10empty_typeEbEEZZNS1_14partition_implILS5_8ELb0ES3_jPlPS6_PKS6_NS0_5tupleIJS9_S6_EEENSD_IJSA_SA_EEENS0_18inequality_wrapperIZN2at6native12_GLOBAL__N_124unique_dim_cuda_templateIfEESt5tupleIJNSH_6TensorESM_SM_EERKSM_lbbbEUlllE0_EEPmJS6_EEE10hipError_tPvRmT3_T4_T5_T6_T7_T9_mT8_P12ihipStream_tbDpT10_ENKUlT_T0_E_clISt17integral_constantIbLb1EES1C_EEDaS17_S18_EUlS17_E_NS1_11comp_targetILNS1_3genE10ELNS1_11target_archE1200ELNS1_3gpuE4ELNS1_3repE0EEENS1_30default_config_static_selectorELNS0_4arch9wavefront6targetE0EEEvT1_: ; @_ZN7rocprim17ROCPRIM_400000_NS6detail17trampoline_kernelINS0_14default_configENS1_25partition_config_selectorILNS1_17partition_subalgoE8ElNS0_10empty_typeEbEEZZNS1_14partition_implILS5_8ELb0ES3_jPlPS6_PKS6_NS0_5tupleIJS9_S6_EEENSD_IJSA_SA_EEENS0_18inequality_wrapperIZN2at6native12_GLOBAL__N_124unique_dim_cuda_templateIfEESt5tupleIJNSH_6TensorESM_SM_EERKSM_lbbbEUlllE0_EEPmJS6_EEE10hipError_tPvRmT3_T4_T5_T6_T7_T9_mT8_P12ihipStream_tbDpT10_ENKUlT_T0_E_clISt17integral_constantIbLb1EES1C_EEDaS17_S18_EUlS17_E_NS1_11comp_targetILNS1_3genE10ELNS1_11target_archE1200ELNS1_3gpuE4ELNS1_3repE0EEENS1_30default_config_static_selectorELNS0_4arch9wavefront6targetE0EEEvT1_
; %bb.0:
	.section	.rodata,"a",@progbits
	.p2align	6, 0x0
	.amdhsa_kernel _ZN7rocprim17ROCPRIM_400000_NS6detail17trampoline_kernelINS0_14default_configENS1_25partition_config_selectorILNS1_17partition_subalgoE8ElNS0_10empty_typeEbEEZZNS1_14partition_implILS5_8ELb0ES3_jPlPS6_PKS6_NS0_5tupleIJS9_S6_EEENSD_IJSA_SA_EEENS0_18inequality_wrapperIZN2at6native12_GLOBAL__N_124unique_dim_cuda_templateIfEESt5tupleIJNSH_6TensorESM_SM_EERKSM_lbbbEUlllE0_EEPmJS6_EEE10hipError_tPvRmT3_T4_T5_T6_T7_T9_mT8_P12ihipStream_tbDpT10_ENKUlT_T0_E_clISt17integral_constantIbLb1EES1C_EEDaS17_S18_EUlS17_E_NS1_11comp_targetILNS1_3genE10ELNS1_11target_archE1200ELNS1_3gpuE4ELNS1_3repE0EEENS1_30default_config_static_selectorELNS0_4arch9wavefront6targetE0EEEvT1_
		.amdhsa_group_segment_fixed_size 0
		.amdhsa_private_segment_fixed_size 0
		.amdhsa_kernarg_size 136
		.amdhsa_user_sgpr_count 15
		.amdhsa_user_sgpr_dispatch_ptr 0
		.amdhsa_user_sgpr_queue_ptr 0
		.amdhsa_user_sgpr_kernarg_segment_ptr 1
		.amdhsa_user_sgpr_dispatch_id 0
		.amdhsa_user_sgpr_private_segment_size 0
		.amdhsa_wavefront_size32 1
		.amdhsa_uses_dynamic_stack 0
		.amdhsa_enable_private_segment 0
		.amdhsa_system_sgpr_workgroup_id_x 1
		.amdhsa_system_sgpr_workgroup_id_y 0
		.amdhsa_system_sgpr_workgroup_id_z 0
		.amdhsa_system_sgpr_workgroup_info 0
		.amdhsa_system_vgpr_workitem_id 0
		.amdhsa_next_free_vgpr 1
		.amdhsa_next_free_sgpr 1
		.amdhsa_reserve_vcc 0
		.amdhsa_float_round_mode_32 0
		.amdhsa_float_round_mode_16_64 0
		.amdhsa_float_denorm_mode_32 3
		.amdhsa_float_denorm_mode_16_64 3
		.amdhsa_dx10_clamp 1
		.amdhsa_ieee_mode 1
		.amdhsa_fp16_overflow 0
		.amdhsa_workgroup_processor_mode 1
		.amdhsa_memory_ordered 1
		.amdhsa_forward_progress 0
		.amdhsa_shared_vgpr_count 0
		.amdhsa_exception_fp_ieee_invalid_op 0
		.amdhsa_exception_fp_denorm_src 0
		.amdhsa_exception_fp_ieee_div_zero 0
		.amdhsa_exception_fp_ieee_overflow 0
		.amdhsa_exception_fp_ieee_underflow 0
		.amdhsa_exception_fp_ieee_inexact 0
		.amdhsa_exception_int_div_zero 0
	.end_amdhsa_kernel
	.section	.text._ZN7rocprim17ROCPRIM_400000_NS6detail17trampoline_kernelINS0_14default_configENS1_25partition_config_selectorILNS1_17partition_subalgoE8ElNS0_10empty_typeEbEEZZNS1_14partition_implILS5_8ELb0ES3_jPlPS6_PKS6_NS0_5tupleIJS9_S6_EEENSD_IJSA_SA_EEENS0_18inequality_wrapperIZN2at6native12_GLOBAL__N_124unique_dim_cuda_templateIfEESt5tupleIJNSH_6TensorESM_SM_EERKSM_lbbbEUlllE0_EEPmJS6_EEE10hipError_tPvRmT3_T4_T5_T6_T7_T9_mT8_P12ihipStream_tbDpT10_ENKUlT_T0_E_clISt17integral_constantIbLb1EES1C_EEDaS17_S18_EUlS17_E_NS1_11comp_targetILNS1_3genE10ELNS1_11target_archE1200ELNS1_3gpuE4ELNS1_3repE0EEENS1_30default_config_static_selectorELNS0_4arch9wavefront6targetE0EEEvT1_,"axG",@progbits,_ZN7rocprim17ROCPRIM_400000_NS6detail17trampoline_kernelINS0_14default_configENS1_25partition_config_selectorILNS1_17partition_subalgoE8ElNS0_10empty_typeEbEEZZNS1_14partition_implILS5_8ELb0ES3_jPlPS6_PKS6_NS0_5tupleIJS9_S6_EEENSD_IJSA_SA_EEENS0_18inequality_wrapperIZN2at6native12_GLOBAL__N_124unique_dim_cuda_templateIfEESt5tupleIJNSH_6TensorESM_SM_EERKSM_lbbbEUlllE0_EEPmJS6_EEE10hipError_tPvRmT3_T4_T5_T6_T7_T9_mT8_P12ihipStream_tbDpT10_ENKUlT_T0_E_clISt17integral_constantIbLb1EES1C_EEDaS17_S18_EUlS17_E_NS1_11comp_targetILNS1_3genE10ELNS1_11target_archE1200ELNS1_3gpuE4ELNS1_3repE0EEENS1_30default_config_static_selectorELNS0_4arch9wavefront6targetE0EEEvT1_,comdat
.Lfunc_end942:
	.size	_ZN7rocprim17ROCPRIM_400000_NS6detail17trampoline_kernelINS0_14default_configENS1_25partition_config_selectorILNS1_17partition_subalgoE8ElNS0_10empty_typeEbEEZZNS1_14partition_implILS5_8ELb0ES3_jPlPS6_PKS6_NS0_5tupleIJS9_S6_EEENSD_IJSA_SA_EEENS0_18inequality_wrapperIZN2at6native12_GLOBAL__N_124unique_dim_cuda_templateIfEESt5tupleIJNSH_6TensorESM_SM_EERKSM_lbbbEUlllE0_EEPmJS6_EEE10hipError_tPvRmT3_T4_T5_T6_T7_T9_mT8_P12ihipStream_tbDpT10_ENKUlT_T0_E_clISt17integral_constantIbLb1EES1C_EEDaS17_S18_EUlS17_E_NS1_11comp_targetILNS1_3genE10ELNS1_11target_archE1200ELNS1_3gpuE4ELNS1_3repE0EEENS1_30default_config_static_selectorELNS0_4arch9wavefront6targetE0EEEvT1_, .Lfunc_end942-_ZN7rocprim17ROCPRIM_400000_NS6detail17trampoline_kernelINS0_14default_configENS1_25partition_config_selectorILNS1_17partition_subalgoE8ElNS0_10empty_typeEbEEZZNS1_14partition_implILS5_8ELb0ES3_jPlPS6_PKS6_NS0_5tupleIJS9_S6_EEENSD_IJSA_SA_EEENS0_18inequality_wrapperIZN2at6native12_GLOBAL__N_124unique_dim_cuda_templateIfEESt5tupleIJNSH_6TensorESM_SM_EERKSM_lbbbEUlllE0_EEPmJS6_EEE10hipError_tPvRmT3_T4_T5_T6_T7_T9_mT8_P12ihipStream_tbDpT10_ENKUlT_T0_E_clISt17integral_constantIbLb1EES1C_EEDaS17_S18_EUlS17_E_NS1_11comp_targetILNS1_3genE10ELNS1_11target_archE1200ELNS1_3gpuE4ELNS1_3repE0EEENS1_30default_config_static_selectorELNS0_4arch9wavefront6targetE0EEEvT1_
                                        ; -- End function
	.section	.AMDGPU.csdata,"",@progbits
; Kernel info:
; codeLenInByte = 0
; NumSgprs: 0
; NumVgprs: 0
; ScratchSize: 0
; MemoryBound: 0
; FloatMode: 240
; IeeeMode: 1
; LDSByteSize: 0 bytes/workgroup (compile time only)
; SGPRBlocks: 0
; VGPRBlocks: 0
; NumSGPRsForWavesPerEU: 1
; NumVGPRsForWavesPerEU: 1
; Occupancy: 15
; WaveLimiterHint : 0
; COMPUTE_PGM_RSRC2:SCRATCH_EN: 0
; COMPUTE_PGM_RSRC2:USER_SGPR: 15
; COMPUTE_PGM_RSRC2:TRAP_HANDLER: 0
; COMPUTE_PGM_RSRC2:TGID_X_EN: 1
; COMPUTE_PGM_RSRC2:TGID_Y_EN: 0
; COMPUTE_PGM_RSRC2:TGID_Z_EN: 0
; COMPUTE_PGM_RSRC2:TIDIG_COMP_CNT: 0
	.section	.text._ZN7rocprim17ROCPRIM_400000_NS6detail17trampoline_kernelINS0_14default_configENS1_25partition_config_selectorILNS1_17partition_subalgoE8ElNS0_10empty_typeEbEEZZNS1_14partition_implILS5_8ELb0ES3_jPlPS6_PKS6_NS0_5tupleIJS9_S6_EEENSD_IJSA_SA_EEENS0_18inequality_wrapperIZN2at6native12_GLOBAL__N_124unique_dim_cuda_templateIfEESt5tupleIJNSH_6TensorESM_SM_EERKSM_lbbbEUlllE0_EEPmJS6_EEE10hipError_tPvRmT3_T4_T5_T6_T7_T9_mT8_P12ihipStream_tbDpT10_ENKUlT_T0_E_clISt17integral_constantIbLb1EES1C_EEDaS17_S18_EUlS17_E_NS1_11comp_targetILNS1_3genE9ELNS1_11target_archE1100ELNS1_3gpuE3ELNS1_3repE0EEENS1_30default_config_static_selectorELNS0_4arch9wavefront6targetE0EEEvT1_,"axG",@progbits,_ZN7rocprim17ROCPRIM_400000_NS6detail17trampoline_kernelINS0_14default_configENS1_25partition_config_selectorILNS1_17partition_subalgoE8ElNS0_10empty_typeEbEEZZNS1_14partition_implILS5_8ELb0ES3_jPlPS6_PKS6_NS0_5tupleIJS9_S6_EEENSD_IJSA_SA_EEENS0_18inequality_wrapperIZN2at6native12_GLOBAL__N_124unique_dim_cuda_templateIfEESt5tupleIJNSH_6TensorESM_SM_EERKSM_lbbbEUlllE0_EEPmJS6_EEE10hipError_tPvRmT3_T4_T5_T6_T7_T9_mT8_P12ihipStream_tbDpT10_ENKUlT_T0_E_clISt17integral_constantIbLb1EES1C_EEDaS17_S18_EUlS17_E_NS1_11comp_targetILNS1_3genE9ELNS1_11target_archE1100ELNS1_3gpuE3ELNS1_3repE0EEENS1_30default_config_static_selectorELNS0_4arch9wavefront6targetE0EEEvT1_,comdat
	.globl	_ZN7rocprim17ROCPRIM_400000_NS6detail17trampoline_kernelINS0_14default_configENS1_25partition_config_selectorILNS1_17partition_subalgoE8ElNS0_10empty_typeEbEEZZNS1_14partition_implILS5_8ELb0ES3_jPlPS6_PKS6_NS0_5tupleIJS9_S6_EEENSD_IJSA_SA_EEENS0_18inequality_wrapperIZN2at6native12_GLOBAL__N_124unique_dim_cuda_templateIfEESt5tupleIJNSH_6TensorESM_SM_EERKSM_lbbbEUlllE0_EEPmJS6_EEE10hipError_tPvRmT3_T4_T5_T6_T7_T9_mT8_P12ihipStream_tbDpT10_ENKUlT_T0_E_clISt17integral_constantIbLb1EES1C_EEDaS17_S18_EUlS17_E_NS1_11comp_targetILNS1_3genE9ELNS1_11target_archE1100ELNS1_3gpuE3ELNS1_3repE0EEENS1_30default_config_static_selectorELNS0_4arch9wavefront6targetE0EEEvT1_ ; -- Begin function _ZN7rocprim17ROCPRIM_400000_NS6detail17trampoline_kernelINS0_14default_configENS1_25partition_config_selectorILNS1_17partition_subalgoE8ElNS0_10empty_typeEbEEZZNS1_14partition_implILS5_8ELb0ES3_jPlPS6_PKS6_NS0_5tupleIJS9_S6_EEENSD_IJSA_SA_EEENS0_18inequality_wrapperIZN2at6native12_GLOBAL__N_124unique_dim_cuda_templateIfEESt5tupleIJNSH_6TensorESM_SM_EERKSM_lbbbEUlllE0_EEPmJS6_EEE10hipError_tPvRmT3_T4_T5_T6_T7_T9_mT8_P12ihipStream_tbDpT10_ENKUlT_T0_E_clISt17integral_constantIbLb1EES1C_EEDaS17_S18_EUlS17_E_NS1_11comp_targetILNS1_3genE9ELNS1_11target_archE1100ELNS1_3gpuE3ELNS1_3repE0EEENS1_30default_config_static_selectorELNS0_4arch9wavefront6targetE0EEEvT1_
	.p2align	8
	.type	_ZN7rocprim17ROCPRIM_400000_NS6detail17trampoline_kernelINS0_14default_configENS1_25partition_config_selectorILNS1_17partition_subalgoE8ElNS0_10empty_typeEbEEZZNS1_14partition_implILS5_8ELb0ES3_jPlPS6_PKS6_NS0_5tupleIJS9_S6_EEENSD_IJSA_SA_EEENS0_18inequality_wrapperIZN2at6native12_GLOBAL__N_124unique_dim_cuda_templateIfEESt5tupleIJNSH_6TensorESM_SM_EERKSM_lbbbEUlllE0_EEPmJS6_EEE10hipError_tPvRmT3_T4_T5_T6_T7_T9_mT8_P12ihipStream_tbDpT10_ENKUlT_T0_E_clISt17integral_constantIbLb1EES1C_EEDaS17_S18_EUlS17_E_NS1_11comp_targetILNS1_3genE9ELNS1_11target_archE1100ELNS1_3gpuE3ELNS1_3repE0EEENS1_30default_config_static_selectorELNS0_4arch9wavefront6targetE0EEEvT1_,@function
_ZN7rocprim17ROCPRIM_400000_NS6detail17trampoline_kernelINS0_14default_configENS1_25partition_config_selectorILNS1_17partition_subalgoE8ElNS0_10empty_typeEbEEZZNS1_14partition_implILS5_8ELb0ES3_jPlPS6_PKS6_NS0_5tupleIJS9_S6_EEENSD_IJSA_SA_EEENS0_18inequality_wrapperIZN2at6native12_GLOBAL__N_124unique_dim_cuda_templateIfEESt5tupleIJNSH_6TensorESM_SM_EERKSM_lbbbEUlllE0_EEPmJS6_EEE10hipError_tPvRmT3_T4_T5_T6_T7_T9_mT8_P12ihipStream_tbDpT10_ENKUlT_T0_E_clISt17integral_constantIbLb1EES1C_EEDaS17_S18_EUlS17_E_NS1_11comp_targetILNS1_3genE9ELNS1_11target_archE1100ELNS1_3gpuE3ELNS1_3repE0EEENS1_30default_config_static_selectorELNS0_4arch9wavefront6targetE0EEEvT1_: ; @_ZN7rocprim17ROCPRIM_400000_NS6detail17trampoline_kernelINS0_14default_configENS1_25partition_config_selectorILNS1_17partition_subalgoE8ElNS0_10empty_typeEbEEZZNS1_14partition_implILS5_8ELb0ES3_jPlPS6_PKS6_NS0_5tupleIJS9_S6_EEENSD_IJSA_SA_EEENS0_18inequality_wrapperIZN2at6native12_GLOBAL__N_124unique_dim_cuda_templateIfEESt5tupleIJNSH_6TensorESM_SM_EERKSM_lbbbEUlllE0_EEPmJS6_EEE10hipError_tPvRmT3_T4_T5_T6_T7_T9_mT8_P12ihipStream_tbDpT10_ENKUlT_T0_E_clISt17integral_constantIbLb1EES1C_EEDaS17_S18_EUlS17_E_NS1_11comp_targetILNS1_3genE9ELNS1_11target_archE1100ELNS1_3gpuE3ELNS1_3repE0EEENS1_30default_config_static_selectorELNS0_4arch9wavefront6targetE0EEEvT1_
; %bb.0:
	s_clause 0x2
	s_load_b64 s[20:21], s[0:1], 0x28
	s_load_b256 s[8:15], s[0:1], 0x40
	s_load_b128 s[16:19], s[0:1], 0x60
	v_cmp_ne_u32_e64 s3, 0, v0
	v_cmp_eq_u32_e64 s2, 0, v0
	s_delay_alu instid0(VALU_DEP_1)
	s_and_saveexec_b32 s4, s2
	s_cbranch_execz .LBB943_4
; %bb.1:
	s_mov_b32 s6, exec_lo
	s_mov_b32 s5, exec_lo
	v_mbcnt_lo_u32_b32 v1, s6, 0
                                        ; implicit-def: $vgpr2
	s_delay_alu instid0(VALU_DEP_1)
	v_cmpx_eq_u32_e32 0, v1
	s_cbranch_execz .LBB943_3
; %bb.2:
	s_load_b64 s[22:23], s[0:1], 0x78
	s_bcnt1_i32_b32 s6, s6
	s_delay_alu instid0(SALU_CYCLE_1)
	v_dual_mov_b32 v2, 0 :: v_dual_mov_b32 v3, s6
	s_waitcnt lgkmcnt(0)
	global_atomic_add_u32 v2, v2, v3, s[22:23] glc
.LBB943_3:
	s_or_b32 exec_lo, exec_lo, s5
	s_waitcnt vmcnt(0)
	v_readfirstlane_b32 s5, v2
	s_delay_alu instid0(VALU_DEP_1)
	v_dual_mov_b32 v2, 0 :: v_dual_add_nc_u32 v1, s5, v1
	ds_store_b32 v2, v1
.LBB943_4:
	s_or_b32 exec_lo, exec_lo, s4
	v_dual_mov_b32 v2, 0 :: v_dual_lshlrev_b32 v39, 3, v0
	s_clause 0x1
	s_load_b128 s[4:7], s[0:1], 0x8
	s_load_b32 s0, s[0:1], 0x70
	s_waitcnt lgkmcnt(0)
	s_barrier
	buffer_gl0_inv
	ds_load_b32 v1, v2
	s_waitcnt lgkmcnt(0)
	s_barrier
	buffer_gl0_inv
	global_load_b64 v[3:4], v2, s[10:11]
	v_lshrrev_b32_e32 v19, 2, v0
	v_or_b32_e32 v26, 0x200, v0
	v_or_b32_e32 v25, 0x400, v0
	;; [unrolled: 1-line block ×7, first 2 shown]
	s_lshl_b64 s[10:11], s[6:7], 3
	s_delay_alu instid0(SALU_CYCLE_1)
	s_add_u32 s10, s4, s10
	s_addc_u32 s11, s5, s11
	s_add_i32 s1, s0, -1
	v_readfirstlane_b32 s23, v1
	s_lshl_b32 s4, s1, 12
	v_lshlrev_b32_e32 v1, 12, v1
	s_lshl_b32 s5, s0, 12
	s_add_i32 s0, s6, s4
	s_add_u32 s4, s6, s5
	s_addc_u32 s5, s7, 0
	v_lshlrev_b64 v[1:2], 3, v[1:2]
	v_cmp_ge_u64_e64 s4, s[4:5], s[12:13]
	s_cmp_eq_u32 s23, s1
	s_cselect_b32 s13, -1, 0
	s_delay_alu instid0(VALU_DEP_2) | instskip(NEXT) | instid1(VALU_DEP_2)
	v_add_co_u32 v17, vcc_lo, s10, v1
	s_and_b32 s1, s4, s13
	v_add_co_ci_u32_e32 v18, vcc_lo, s11, v2, vcc_lo
	s_xor_b32 s22, s1, -1
	s_mov_b32 s4, -1
	s_and_b32 vcc_lo, exec_lo, s22
	s_waitcnt vmcnt(0)
	v_readfirstlane_b32 s10, v3
	v_readfirstlane_b32 s11, v4
	s_cbranch_vccz .LBB943_6
; %bb.5:
	v_add_co_u32 v9, vcc_lo, v17, v39
	v_add_co_ci_u32_e32 v10, vcc_lo, 0, v18, vcc_lo
	v_readfirstlane_b32 s4, v17
	s_delay_alu instid0(VALU_DEP_3) | instskip(NEXT) | instid1(VALU_DEP_3)
	v_add_co_u32 v3, vcc_lo, v9, 0x2000
	v_add_co_ci_u32_e32 v4, vcc_lo, 0, v10, vcc_lo
	v_add_co_u32 v5, vcc_lo, v9, 0x4000
	v_add_co_ci_u32_e32 v6, vcc_lo, 0, v10, vcc_lo
	v_add_co_u32 v7, vcc_lo, v9, 0x6000
	v_readfirstlane_b32 s5, v18
	v_add_co_ci_u32_e32 v8, vcc_lo, 0, v10, vcc_lo
	v_add_co_u32 v9, vcc_lo, 0x7000, v9
	v_add_co_ci_u32_e32 v10, vcc_lo, 0, v10, vcc_lo
	s_clause 0x7
	global_load_b64 v[1:2], v39, s[4:5]
	global_load_b64 v[11:12], v[3:4], off offset:-4096
	global_load_b64 v[3:4], v[3:4], off
	global_load_b64 v[13:14], v[5:6], off offset:-4096
	global_load_b64 v[5:6], v[5:6], off
	;; [unrolled: 2-line block ×3, first 2 shown]
	global_load_b64 v[9:10], v[9:10], off
	v_lshrrev_b32_e32 v28, 2, v26
	v_lshrrev_b32_e32 v29, 2, v25
	;; [unrolled: 1-line block ×4, first 2 shown]
	v_and_b32_e32 v27, 0x78, v19
	v_lshrrev_b32_e32 v32, 2, v22
	v_lshrrev_b32_e32 v33, 2, v21
	;; [unrolled: 1-line block ×3, first 2 shown]
	v_and_b32_e32 v28, 0xf8, v28
	v_and_b32_e32 v29, 0x178, v29
	;; [unrolled: 1-line block ×4, first 2 shown]
	v_add_nc_u32_e32 v27, v27, v39
	v_and_b32_e32 v32, 0x2f8, v32
	v_and_b32_e32 v33, 0x378, v33
	;; [unrolled: 1-line block ×3, first 2 shown]
	v_add_nc_u32_e32 v28, v28, v39
	v_add_nc_u32_e32 v29, v29, v39
	;; [unrolled: 1-line block ×4, first 2 shown]
	s_mov_b32 s4, 0
	v_add_nc_u32_e32 v32, v32, v39
	v_add_nc_u32_e32 v33, v33, v39
	v_add_nc_u32_e32 v34, v34, v39
	s_waitcnt vmcnt(7)
	ds_store_b64 v27, v[1:2]
	s_waitcnt vmcnt(6)
	ds_store_b64 v28, v[11:12] offset:4096
	s_waitcnt vmcnt(5)
	ds_store_b64 v29, v[3:4] offset:8192
	;; [unrolled: 2-line block ×7, first 2 shown]
	s_waitcnt lgkmcnt(0)
	s_barrier
.LBB943_6:
	s_and_not1_b32 vcc_lo, exec_lo, s4
	s_sub_i32 s12, s12, s0
	s_cbranch_vccnz .LBB943_17
; %bb.7:
	s_mov_b32 s0, exec_lo
                                        ; implicit-def: $vgpr1_vgpr2_vgpr3_vgpr4_vgpr5_vgpr6_vgpr7_vgpr8_vgpr9_vgpr10_vgpr11_vgpr12_vgpr13_vgpr14_vgpr15_vgpr16
	v_cmpx_gt_u32_e64 s12, v0
	s_cbranch_execnz .LBB943_27
; %bb.8:
	s_or_b32 exec_lo, exec_lo, s0
	s_delay_alu instid0(SALU_CYCLE_1)
	s_mov_b32 s0, exec_lo
	v_cmpx_gt_u32_e64 s12, v26
	s_cbranch_execnz .LBB943_28
.LBB943_9:
	s_or_b32 exec_lo, exec_lo, s0
	s_delay_alu instid0(SALU_CYCLE_1)
	s_mov_b32 s0, exec_lo
	v_cmpx_gt_u32_e64 s12, v25
	s_cbranch_execnz .LBB943_29
.LBB943_10:
	s_or_b32 exec_lo, exec_lo, s0
	s_delay_alu instid0(SALU_CYCLE_1)
	s_mov_b32 s0, exec_lo
	v_cmpx_gt_u32_e64 s12, v24
	s_cbranch_execnz .LBB943_30
.LBB943_11:
	s_or_b32 exec_lo, exec_lo, s0
	s_delay_alu instid0(SALU_CYCLE_1)
	s_mov_b32 s0, exec_lo
	v_cmpx_gt_u32_e64 s12, v23
	s_cbranch_execnz .LBB943_31
.LBB943_12:
	s_or_b32 exec_lo, exec_lo, s0
	s_delay_alu instid0(SALU_CYCLE_1)
	s_mov_b32 s0, exec_lo
	v_cmpx_gt_u32_e64 s12, v22
	s_cbranch_execnz .LBB943_32
.LBB943_13:
	s_or_b32 exec_lo, exec_lo, s0
	s_delay_alu instid0(SALU_CYCLE_1)
	s_mov_b32 s0, exec_lo
	v_cmpx_gt_u32_e64 s12, v21
	s_cbranch_execnz .LBB943_33
.LBB943_14:
	s_or_b32 exec_lo, exec_lo, s0
	s_delay_alu instid0(SALU_CYCLE_1)
	s_mov_b32 s0, exec_lo
	v_cmpx_gt_u32_e64 s12, v20
	s_cbranch_execz .LBB943_16
.LBB943_15:
	v_lshlrev_b32_e32 v15, 3, v20
	v_readfirstlane_b32 s4, v17
	v_readfirstlane_b32 s5, v18
	global_load_b64 v[15:16], v15, s[4:5]
.LBB943_16:
	s_or_b32 exec_lo, exec_lo, s0
	v_lshrrev_b32_e32 v26, 2, v26
	v_lshrrev_b32_e32 v25, 2, v25
	;; [unrolled: 1-line block ×4, first 2 shown]
	v_and_b32_e32 v27, 0x78, v19
	v_lshrrev_b32_e32 v22, 2, v22
	v_lshrrev_b32_e32 v21, 2, v21
	;; [unrolled: 1-line block ×3, first 2 shown]
	v_and_b32_e32 v26, 0xf8, v26
	v_and_b32_e32 v25, 0x1f8, v25
	;; [unrolled: 1-line block ×4, first 2 shown]
	v_add_nc_u32_e32 v27, v27, v39
	v_and_b32_e32 v22, 0x3f8, v22
	v_and_b32_e32 v21, 0x3f8, v21
	v_and_b32_e32 v20, 0x3f8, v20
	v_add_nc_u32_e32 v26, v26, v39
	v_add_nc_u32_e32 v25, v25, v39
	;; [unrolled: 1-line block ×7, first 2 shown]
	s_waitcnt vmcnt(0)
	ds_store_b64 v27, v[1:2]
	ds_store_b64 v26, v[3:4] offset:4096
	ds_store_b64 v25, v[5:6] offset:8192
	;; [unrolled: 1-line block ×7, first 2 shown]
	s_waitcnt lgkmcnt(0)
	s_barrier
.LBB943_17:
	v_add_lshl_u32 v1, v19, v39, 3
	buffer_gl0_inv
	s_cmp_lg_u32 s23, 0
	v_cmp_gt_i64_e64 s26, s[14:15], 0
	s_cselect_b32 s24, -1, 0
	ds_load_2addr_b64 v[13:16], v1 offset1:1
	ds_load_2addr_b64 v[9:12], v1 offset0:2 offset1:3
	ds_load_2addr_b64 v[5:8], v1 offset0:4 offset1:5
	;; [unrolled: 1-line block ×3, first 2 shown]
	s_cmp_lg_u64 s[6:7], 0
	s_mov_b32 s25, 0
	s_cselect_b32 s0, -1, 0
	s_waitcnt lgkmcnt(0)
	s_or_b32 s0, s0, s24
	s_barrier
	s_and_b32 vcc_lo, exec_lo, s0
	buffer_gl0_inv
	s_cbranch_vccz .LBB943_26
; %bb.18:
	global_load_b64 v[17:18], v[17:18], off offset:-8
	v_cndmask_b32_e64 v27, 0, 1, s26
	s_and_b32 vcc_lo, exec_lo, s22
	ds_store_b64 v39, v[3:4]
	v_cmp_ne_u32_e64 s0, 1, v27
	s_cbranch_vccz .LBB943_34
; %bb.19:
	v_mul_lo_u32 v21, v2, s14
	v_mul_lo_u32 v22, v1, s15
	v_mad_u64_u32 v[19:20], null, v1, s14, 0
	s_and_b32 vcc_lo, exec_lo, s0
	s_mov_b32 s27, 0
	s_delay_alu instid0(VALU_DEP_1) | instskip(NEXT) | instid1(VALU_DEP_1)
	v_add3_u32 v20, v20, v22, v21
	v_lshlrev_b64 v[19:20], 2, v[19:20]
	s_cbranch_vccnz .LBB943_37
; %bb.20:
	v_mul_lo_u32 v23, v4, s14
	v_mul_lo_u32 v24, v3, s15
	v_mad_u64_u32 v[21:22], null, v3, s14, 0
	s_mov_b32 s27, -1
	s_mov_b32 s28, exec_lo
	s_delay_alu instid0(VALU_DEP_1) | instskip(SKIP_2) | instid1(VALU_DEP_3)
	v_add3_u32 v22, v22, v24, v23
	v_add_co_u32 v23, vcc_lo, s16, v19
	v_add_co_ci_u32_e32 v24, vcc_lo, s17, v20, vcc_lo
	v_lshlrev_b64 v[21:22], 2, v[21:22]
	s_delay_alu instid0(VALU_DEP_1) | instskip(NEXT) | instid1(VALU_DEP_2)
	v_add_co_u32 v21, vcc_lo, s16, v21
	v_add_co_ci_u32_e32 v22, vcc_lo, s17, v22, vcc_lo
	s_clause 0x1
	global_load_b32 v25, v[23:24], off
	global_load_b32 v26, v[21:22], off
	s_waitcnt vmcnt(0)
	v_cmpx_eq_f32_e32 v25, v26
	s_cbranch_execz .LBB943_36
; %bb.21:
	v_add_co_u32 v21, vcc_lo, v21, 4
	v_add_co_ci_u32_e32 v22, vcc_lo, 0, v22, vcc_lo
	v_add_co_u32 v23, vcc_lo, v23, 4
	v_add_co_ci_u32_e32 v24, vcc_lo, 0, v24, vcc_lo
	s_add_u32 s4, s14, -1
	s_addc_u32 s5, s15, -1
	s_mov_b64 s[6:7], 0
	s_mov_b32 s27, 0
                                        ; implicit-def: $sgpr29
	s_set_inst_prefetch_distance 0x1
	s_branch .LBB943_24
	.p2align	6
.LBB943_22:                             ;   in Loop: Header=BB943_24 Depth=1
	global_load_b32 v25, v[23:24], off
	global_load_b32 v26, v[21:22], off
	v_add_co_u32 v21, vcc_lo, v21, 4
	v_add_co_ci_u32_e32 v22, vcc_lo, 0, v22, vcc_lo
	v_add_co_u32 v23, s0, v23, 4
	s_delay_alu instid0(VALU_DEP_1)
	v_add_co_ci_u32_e64 v24, s0, 0, v24, s0
	s_add_u32 s6, s6, 1
	s_addc_u32 s7, s7, 0
	s_and_not1_b32 s0, s29, exec_lo
	s_waitcnt vmcnt(0)
	v_cmp_neq_f32_e32 vcc_lo, v25, v26
	s_and_b32 s29, vcc_lo, exec_lo
	s_delay_alu instid0(SALU_CYCLE_1)
	s_or_b32 s29, s0, s29
.LBB943_23:                             ;   in Loop: Header=BB943_24 Depth=1
	v_dual_mov_b32 v26, s7 :: v_dual_mov_b32 v25, s6
	s_and_b32 s0, exec_lo, s29
	s_delay_alu instid0(SALU_CYCLE_1) | instskip(NEXT) | instid1(SALU_CYCLE_1)
	s_or_b32 s27, s0, s27
	s_and_not1_b32 exec_lo, exec_lo, s27
	s_cbranch_execz .LBB943_35
.LBB943_24:                             ; =>This Inner Loop Header: Depth=1
	s_or_b32 s29, s29, exec_lo
	s_cmp_eq_u64 s[4:5], s[6:7]
	s_cbranch_scc0 .LBB943_22
; %bb.25:                               ;   in Loop: Header=BB943_24 Depth=1
	s_mov_b64 s[6:7], s[14:15]
                                        ; implicit-def: $vgpr21_vgpr22
                                        ; implicit-def: $vgpr23_vgpr24
	s_branch .LBB943_23
.LBB943_26:
                                        ; implicit-def: $sgpr0
                                        ; implicit-def: $vgpr20
	s_branch .LBB943_195
.LBB943_27:
	v_readfirstlane_b32 s4, v17
	v_readfirstlane_b32 s5, v18
	global_load_b64 v[1:2], v39, s[4:5]
	s_or_b32 exec_lo, exec_lo, s0
	s_delay_alu instid0(SALU_CYCLE_1)
	s_mov_b32 s0, exec_lo
	v_cmpx_gt_u32_e64 s12, v26
	s_cbranch_execz .LBB943_9
.LBB943_28:
	v_lshlrev_b32_e32 v3, 3, v26
	v_readfirstlane_b32 s4, v17
	v_readfirstlane_b32 s5, v18
	global_load_b64 v[3:4], v3, s[4:5]
	s_or_b32 exec_lo, exec_lo, s0
	s_delay_alu instid0(SALU_CYCLE_1)
	s_mov_b32 s0, exec_lo
	v_cmpx_gt_u32_e64 s12, v25
	s_cbranch_execz .LBB943_10
.LBB943_29:
	v_lshlrev_b32_e32 v5, 3, v25
	v_readfirstlane_b32 s4, v17
	v_readfirstlane_b32 s5, v18
	global_load_b64 v[5:6], v5, s[4:5]
	s_or_b32 exec_lo, exec_lo, s0
	s_delay_alu instid0(SALU_CYCLE_1)
	s_mov_b32 s0, exec_lo
	v_cmpx_gt_u32_e64 s12, v24
	s_cbranch_execz .LBB943_11
.LBB943_30:
	v_lshlrev_b32_e32 v7, 3, v24
	v_readfirstlane_b32 s4, v17
	v_readfirstlane_b32 s5, v18
	global_load_b64 v[7:8], v7, s[4:5]
	s_or_b32 exec_lo, exec_lo, s0
	s_delay_alu instid0(SALU_CYCLE_1)
	s_mov_b32 s0, exec_lo
	v_cmpx_gt_u32_e64 s12, v23
	s_cbranch_execz .LBB943_12
.LBB943_31:
	v_lshlrev_b32_e32 v9, 3, v23
	v_readfirstlane_b32 s4, v17
	v_readfirstlane_b32 s5, v18
	global_load_b64 v[9:10], v9, s[4:5]
	s_or_b32 exec_lo, exec_lo, s0
	s_delay_alu instid0(SALU_CYCLE_1)
	s_mov_b32 s0, exec_lo
	v_cmpx_gt_u32_e64 s12, v22
	s_cbranch_execz .LBB943_13
.LBB943_32:
	v_lshlrev_b32_e32 v11, 3, v22
	v_readfirstlane_b32 s4, v17
	v_readfirstlane_b32 s5, v18
	global_load_b64 v[11:12], v11, s[4:5]
	s_or_b32 exec_lo, exec_lo, s0
	s_delay_alu instid0(SALU_CYCLE_1)
	s_mov_b32 s0, exec_lo
	v_cmpx_gt_u32_e64 s12, v21
	s_cbranch_execz .LBB943_14
.LBB943_33:
	v_lshlrev_b32_e32 v13, 3, v21
	v_readfirstlane_b32 s4, v17
	v_readfirstlane_b32 s5, v18
	global_load_b64 v[13:14], v13, s[4:5]
	s_or_b32 exec_lo, exec_lo, s0
	s_delay_alu instid0(SALU_CYCLE_1)
	s_mov_b32 s0, exec_lo
	v_cmpx_gt_u32_e64 s12, v20
	s_cbranch_execnz .LBB943_15
	s_branch .LBB943_16
.LBB943_34:
                                        ; implicit-def: $sgpr0
                                        ; implicit-def: $vgpr20
	s_cbranch_execnz .LBB943_103
	s_branch .LBB943_194
.LBB943_35:
	s_set_inst_prefetch_distance 0x2
	s_or_b32 exec_lo, exec_lo, s27
	v_cmp_gt_i64_e32 vcc_lo, s[14:15], v[25:26]
	s_or_not1_b32 s27, vcc_lo, exec_lo
.LBB943_36:
	s_or_b32 exec_lo, exec_lo, s28
.LBB943_37:
	v_mul_lo_u32 v23, v8, s14
	v_mul_lo_u32 v24, v7, s15
	v_mad_u64_u32 v[21:22], null, v7, s14, 0
	s_and_not1_b32 vcc_lo, exec_lo, s26
	s_delay_alu instid0(VALU_DEP_1) | instskip(NEXT) | instid1(VALU_DEP_1)
	v_add3_u32 v22, v22, v24, v23
	v_lshlrev_b64 v[21:22], 2, v[21:22]
	s_cbranch_vccnz .LBB943_46
; %bb.38:
	s_delay_alu instid0(VALU_DEP_1) | instskip(NEXT) | instid1(VALU_DEP_2)
	v_add_co_u32 v23, vcc_lo, s16, v21
	v_add_co_ci_u32_e32 v24, vcc_lo, s17, v22, vcc_lo
	v_add_co_u32 v19, vcc_lo, s16, v19
	v_add_co_ci_u32_e32 v20, vcc_lo, s17, v20, vcc_lo
	s_mov_b32 s25, -1
	s_clause 0x1
	global_load_b32 v25, v[23:24], off
	global_load_b32 v26, v[19:20], off
	s_mov_b32 s28, exec_lo
	s_waitcnt vmcnt(0)
	v_cmpx_eq_f32_e32 v25, v26
	s_cbranch_execz .LBB943_45
; %bb.39:
	v_add_co_u32 v19, vcc_lo, v19, 4
	v_add_co_ci_u32_e32 v20, vcc_lo, 0, v20, vcc_lo
	v_add_co_u32 v23, vcc_lo, v23, 4
	v_add_co_ci_u32_e32 v24, vcc_lo, 0, v24, vcc_lo
	s_add_u32 s4, s14, -1
	s_addc_u32 s5, s15, -1
	s_mov_b64 s[6:7], 0
	s_mov_b32 s25, 0
                                        ; implicit-def: $sgpr29
	s_set_inst_prefetch_distance 0x1
	s_branch .LBB943_42
	.p2align	6
.LBB943_40:                             ;   in Loop: Header=BB943_42 Depth=1
	global_load_b32 v25, v[23:24], off
	global_load_b32 v26, v[19:20], off
	v_add_co_u32 v19, vcc_lo, v19, 4
	v_add_co_ci_u32_e32 v20, vcc_lo, 0, v20, vcc_lo
	v_add_co_u32 v23, s0, v23, 4
	s_delay_alu instid0(VALU_DEP_1)
	v_add_co_ci_u32_e64 v24, s0, 0, v24, s0
	s_add_u32 s6, s6, 1
	s_addc_u32 s7, s7, 0
	s_and_not1_b32 s0, s29, exec_lo
	s_waitcnt vmcnt(0)
	v_cmp_neq_f32_e32 vcc_lo, v25, v26
	s_and_b32 s29, vcc_lo, exec_lo
	s_delay_alu instid0(SALU_CYCLE_1)
	s_or_b32 s29, s0, s29
.LBB943_41:                             ;   in Loop: Header=BB943_42 Depth=1
	v_dual_mov_b32 v26, s7 :: v_dual_mov_b32 v25, s6
	s_and_b32 s0, exec_lo, s29
	s_delay_alu instid0(SALU_CYCLE_1) | instskip(NEXT) | instid1(SALU_CYCLE_1)
	s_or_b32 s25, s0, s25
	s_and_not1_b32 exec_lo, exec_lo, s25
	s_cbranch_execz .LBB943_44
.LBB943_42:                             ; =>This Inner Loop Header: Depth=1
	s_or_b32 s29, s29, exec_lo
	s_cmp_eq_u64 s[4:5], s[6:7]
	s_cbranch_scc0 .LBB943_40
; %bb.43:                               ;   in Loop: Header=BB943_42 Depth=1
	s_mov_b64 s[6:7], s[14:15]
                                        ; implicit-def: $vgpr19_vgpr20
                                        ; implicit-def: $vgpr23_vgpr24
	s_branch .LBB943_41
.LBB943_44:
	s_set_inst_prefetch_distance 0x2
	s_or_b32 exec_lo, exec_lo, s25
	v_cmp_gt_i64_e32 vcc_lo, s[14:15], v[25:26]
	s_or_not1_b32 s25, vcc_lo, exec_lo
.LBB943_45:
	s_or_b32 exec_lo, exec_lo, s28
.LBB943_46:
	v_mul_lo_u32 v23, v6, s14
	v_mul_lo_u32 v24, v5, s15
	v_mad_u64_u32 v[19:20], null, v5, s14, 0
	s_mov_b32 s28, 0
	s_and_not1_b32 vcc_lo, exec_lo, s26
	s_mov_b32 s29, 0
	s_delay_alu instid0(VALU_DEP_1) | instskip(NEXT) | instid1(VALU_DEP_1)
	v_add3_u32 v20, v20, v24, v23
	v_lshlrev_b64 v[23:24], 2, v[19:20]
	s_cbranch_vccnz .LBB943_55
; %bb.47:
	s_delay_alu instid0(VALU_DEP_1) | instskip(NEXT) | instid1(VALU_DEP_2)
	v_add_co_u32 v25, vcc_lo, s16, v23
	v_add_co_ci_u32_e32 v26, vcc_lo, s17, v24, vcc_lo
	v_add_co_u32 v19, vcc_lo, s16, v21
	v_add_co_ci_u32_e32 v20, vcc_lo, s17, v22, vcc_lo
	s_mov_b32 s29, -1
	s_clause 0x1
	global_load_b32 v21, v[25:26], off
	global_load_b32 v22, v[19:20], off
	s_mov_b32 s30, exec_lo
	s_waitcnt vmcnt(0)
	v_cmpx_eq_f32_e32 v21, v22
	s_cbranch_execz .LBB943_54
; %bb.48:
	v_add_co_u32 v19, vcc_lo, v19, 4
	v_add_co_ci_u32_e32 v20, vcc_lo, 0, v20, vcc_lo
	v_add_co_u32 v21, vcc_lo, v25, 4
	v_add_co_ci_u32_e32 v22, vcc_lo, 0, v26, vcc_lo
	s_add_u32 s4, s14, -1
	s_addc_u32 s5, s15, -1
	s_mov_b64 s[6:7], 0
	s_mov_b32 s29, 0
                                        ; implicit-def: $sgpr31
	s_set_inst_prefetch_distance 0x1
	s_branch .LBB943_51
	.p2align	6
.LBB943_49:                             ;   in Loop: Header=BB943_51 Depth=1
	global_load_b32 v25, v[21:22], off
	global_load_b32 v26, v[19:20], off
	v_add_co_u32 v19, vcc_lo, v19, 4
	v_add_co_ci_u32_e32 v20, vcc_lo, 0, v20, vcc_lo
	v_add_co_u32 v21, s0, v21, 4
	s_delay_alu instid0(VALU_DEP_1)
	v_add_co_ci_u32_e64 v22, s0, 0, v22, s0
	s_add_u32 s6, s6, 1
	s_addc_u32 s7, s7, 0
	s_and_not1_b32 s0, s31, exec_lo
	s_waitcnt vmcnt(0)
	v_cmp_neq_f32_e32 vcc_lo, v25, v26
	s_and_b32 s31, vcc_lo, exec_lo
	s_delay_alu instid0(SALU_CYCLE_1)
	s_or_b32 s31, s0, s31
.LBB943_50:                             ;   in Loop: Header=BB943_51 Depth=1
	v_dual_mov_b32 v26, s7 :: v_dual_mov_b32 v25, s6
	s_and_b32 s0, exec_lo, s31
	s_delay_alu instid0(SALU_CYCLE_1) | instskip(NEXT) | instid1(SALU_CYCLE_1)
	s_or_b32 s29, s0, s29
	s_and_not1_b32 exec_lo, exec_lo, s29
	s_cbranch_execz .LBB943_53
.LBB943_51:                             ; =>This Inner Loop Header: Depth=1
	s_or_b32 s31, s31, exec_lo
	s_cmp_eq_u64 s[4:5], s[6:7]
	s_cbranch_scc0 .LBB943_49
; %bb.52:                               ;   in Loop: Header=BB943_51 Depth=1
	s_mov_b64 s[6:7], s[14:15]
                                        ; implicit-def: $vgpr19_vgpr20
                                        ; implicit-def: $vgpr21_vgpr22
	s_branch .LBB943_50
.LBB943_53:
	s_set_inst_prefetch_distance 0x2
	s_or_b32 exec_lo, exec_lo, s29
	v_cmp_gt_i64_e32 vcc_lo, s[14:15], v[25:26]
	s_or_not1_b32 s29, vcc_lo, exec_lo
.LBB943_54:
	s_or_b32 exec_lo, exec_lo, s30
.LBB943_55:
	v_mul_lo_u32 v21, v12, s14
	v_mul_lo_u32 v22, v11, s15
	v_mad_u64_u32 v[19:20], null, v11, s14, 0
	s_and_not1_b32 vcc_lo, exec_lo, s26
	s_delay_alu instid0(VALU_DEP_1) | instskip(NEXT) | instid1(VALU_DEP_1)
	v_add3_u32 v20, v20, v22, v21
	v_lshlrev_b64 v[19:20], 2, v[19:20]
	s_cbranch_vccnz .LBB943_64
; %bb.56:
	s_delay_alu instid0(VALU_DEP_1) | instskip(NEXT) | instid1(VALU_DEP_2)
	v_add_co_u32 v25, vcc_lo, s16, v19
	v_add_co_ci_u32_e32 v26, vcc_lo, s17, v20, vcc_lo
	v_add_co_u32 v21, vcc_lo, s16, v23
	v_add_co_ci_u32_e32 v22, vcc_lo, s17, v24, vcc_lo
	s_mov_b32 s28, -1
	s_clause 0x1
	global_load_b32 v23, v[25:26], off
	global_load_b32 v24, v[21:22], off
	s_mov_b32 s30, exec_lo
	s_waitcnt vmcnt(0)
	v_cmpx_eq_f32_e32 v23, v24
	s_cbranch_execz .LBB943_63
; %bb.57:
	v_add_co_u32 v21, vcc_lo, v21, 4
	v_add_co_ci_u32_e32 v22, vcc_lo, 0, v22, vcc_lo
	v_add_co_u32 v23, vcc_lo, v25, 4
	v_add_co_ci_u32_e32 v24, vcc_lo, 0, v26, vcc_lo
	s_add_u32 s4, s14, -1
	s_addc_u32 s5, s15, -1
	s_mov_b64 s[6:7], 0
	s_mov_b32 s28, 0
                                        ; implicit-def: $sgpr31
	s_set_inst_prefetch_distance 0x1
	s_branch .LBB943_60
	.p2align	6
.LBB943_58:                             ;   in Loop: Header=BB943_60 Depth=1
	global_load_b32 v25, v[23:24], off
	global_load_b32 v26, v[21:22], off
	v_add_co_u32 v21, vcc_lo, v21, 4
	v_add_co_ci_u32_e32 v22, vcc_lo, 0, v22, vcc_lo
	v_add_co_u32 v23, s0, v23, 4
	s_delay_alu instid0(VALU_DEP_1)
	v_add_co_ci_u32_e64 v24, s0, 0, v24, s0
	s_add_u32 s6, s6, 1
	s_addc_u32 s7, s7, 0
	s_and_not1_b32 s0, s31, exec_lo
	s_waitcnt vmcnt(0)
	v_cmp_neq_f32_e32 vcc_lo, v25, v26
	s_and_b32 s31, vcc_lo, exec_lo
	s_delay_alu instid0(SALU_CYCLE_1)
	s_or_b32 s31, s0, s31
.LBB943_59:                             ;   in Loop: Header=BB943_60 Depth=1
	v_dual_mov_b32 v26, s7 :: v_dual_mov_b32 v25, s6
	s_and_b32 s0, exec_lo, s31
	s_delay_alu instid0(SALU_CYCLE_1) | instskip(NEXT) | instid1(SALU_CYCLE_1)
	s_or_b32 s28, s0, s28
	s_and_not1_b32 exec_lo, exec_lo, s28
	s_cbranch_execz .LBB943_62
.LBB943_60:                             ; =>This Inner Loop Header: Depth=1
	s_or_b32 s31, s31, exec_lo
	s_cmp_eq_u64 s[4:5], s[6:7]
	s_cbranch_scc0 .LBB943_58
; %bb.61:                               ;   in Loop: Header=BB943_60 Depth=1
	s_mov_b64 s[6:7], s[14:15]
                                        ; implicit-def: $vgpr21_vgpr22
                                        ; implicit-def: $vgpr23_vgpr24
	s_branch .LBB943_59
.LBB943_62:
	s_set_inst_prefetch_distance 0x2
	s_or_b32 exec_lo, exec_lo, s28
	v_cmp_gt_i64_e32 vcc_lo, s[14:15], v[25:26]
	s_or_not1_b32 s28, vcc_lo, exec_lo
.LBB943_63:
	s_or_b32 exec_lo, exec_lo, s30
.LBB943_64:
	v_mul_lo_u32 v23, v10, s14
	v_mul_lo_u32 v24, v9, s15
	v_mad_u64_u32 v[21:22], null, v9, s14, 0
	s_mov_b32 s30, 0
	s_and_not1_b32 vcc_lo, exec_lo, s26
	s_mov_b32 s31, 0
	s_delay_alu instid0(VALU_DEP_1) | instskip(NEXT) | instid1(VALU_DEP_1)
	v_add3_u32 v22, v22, v24, v23
	v_lshlrev_b64 v[23:24], 2, v[21:22]
	s_cbranch_vccnz .LBB943_73
; %bb.65:
	s_delay_alu instid0(VALU_DEP_1) | instskip(NEXT) | instid1(VALU_DEP_2)
	v_add_co_u32 v21, vcc_lo, s16, v23
	v_add_co_ci_u32_e32 v22, vcc_lo, s17, v24, vcc_lo
	v_add_co_u32 v19, vcc_lo, s16, v19
	v_add_co_ci_u32_e32 v20, vcc_lo, s17, v20, vcc_lo
	s_mov_b32 s31, -1
	s_clause 0x1
	global_load_b32 v25, v[21:22], off
	global_load_b32 v26, v[19:20], off
	s_mov_b32 s33, exec_lo
	s_waitcnt vmcnt(0)
	v_cmpx_eq_f32_e32 v25, v26
	s_cbranch_execz .LBB943_72
; %bb.66:
	v_add_co_u32 v19, vcc_lo, v19, 4
	v_add_co_ci_u32_e32 v20, vcc_lo, 0, v20, vcc_lo
	v_add_co_u32 v21, vcc_lo, v21, 4
	v_add_co_ci_u32_e32 v22, vcc_lo, 0, v22, vcc_lo
	s_add_u32 s4, s14, -1
	s_addc_u32 s5, s15, -1
	s_mov_b64 s[6:7], 0
	s_mov_b32 s31, 0
                                        ; implicit-def: $sgpr34
	s_set_inst_prefetch_distance 0x1
	s_branch .LBB943_69
	.p2align	6
.LBB943_67:                             ;   in Loop: Header=BB943_69 Depth=1
	global_load_b32 v25, v[21:22], off
	global_load_b32 v26, v[19:20], off
	v_add_co_u32 v19, vcc_lo, v19, 4
	v_add_co_ci_u32_e32 v20, vcc_lo, 0, v20, vcc_lo
	v_add_co_u32 v21, s0, v21, 4
	s_delay_alu instid0(VALU_DEP_1)
	v_add_co_ci_u32_e64 v22, s0, 0, v22, s0
	s_add_u32 s6, s6, 1
	s_addc_u32 s7, s7, 0
	s_and_not1_b32 s0, s34, exec_lo
	s_waitcnt vmcnt(0)
	v_cmp_neq_f32_e32 vcc_lo, v25, v26
	s_and_b32 s34, vcc_lo, exec_lo
	s_delay_alu instid0(SALU_CYCLE_1)
	s_or_b32 s34, s0, s34
.LBB943_68:                             ;   in Loop: Header=BB943_69 Depth=1
	v_dual_mov_b32 v26, s7 :: v_dual_mov_b32 v25, s6
	s_and_b32 s0, exec_lo, s34
	s_delay_alu instid0(SALU_CYCLE_1) | instskip(NEXT) | instid1(SALU_CYCLE_1)
	s_or_b32 s31, s0, s31
	s_and_not1_b32 exec_lo, exec_lo, s31
	s_cbranch_execz .LBB943_71
.LBB943_69:                             ; =>This Inner Loop Header: Depth=1
	s_or_b32 s34, s34, exec_lo
	s_cmp_eq_u64 s[4:5], s[6:7]
	s_cbranch_scc0 .LBB943_67
; %bb.70:                               ;   in Loop: Header=BB943_69 Depth=1
	s_mov_b64 s[6:7], s[14:15]
                                        ; implicit-def: $vgpr19_vgpr20
                                        ; implicit-def: $vgpr21_vgpr22
	s_branch .LBB943_68
.LBB943_71:
	s_set_inst_prefetch_distance 0x2
	s_or_b32 exec_lo, exec_lo, s31
	v_cmp_gt_i64_e32 vcc_lo, s[14:15], v[25:26]
	s_or_not1_b32 s31, vcc_lo, exec_lo
.LBB943_72:
	s_or_b32 exec_lo, exec_lo, s33
.LBB943_73:
	v_mul_lo_u32 v21, v16, s14
	v_mul_lo_u32 v22, v15, s15
	v_mad_u64_u32 v[19:20], null, v15, s14, 0
	s_and_not1_b32 vcc_lo, exec_lo, s26
	s_delay_alu instid0(VALU_DEP_1) | instskip(NEXT) | instid1(VALU_DEP_1)
	v_add3_u32 v20, v20, v22, v21
	v_lshlrev_b64 v[21:22], 2, v[19:20]
	s_cbranch_vccnz .LBB943_82
; %bb.74:
	s_delay_alu instid0(VALU_DEP_1) | instskip(NEXT) | instid1(VALU_DEP_2)
	v_add_co_u32 v25, vcc_lo, s16, v21
	v_add_co_ci_u32_e32 v26, vcc_lo, s17, v22, vcc_lo
	v_add_co_u32 v19, vcc_lo, s16, v23
	v_add_co_ci_u32_e32 v20, vcc_lo, s17, v24, vcc_lo
	s_mov_b32 s30, -1
	s_clause 0x1
	global_load_b32 v23, v[25:26], off
	global_load_b32 v24, v[19:20], off
	s_mov_b32 s33, exec_lo
	s_waitcnt vmcnt(0)
	v_cmpx_eq_f32_e32 v23, v24
	s_cbranch_execz .LBB943_81
; %bb.75:
	v_add_co_u32 v19, vcc_lo, v19, 4
	v_add_co_ci_u32_e32 v20, vcc_lo, 0, v20, vcc_lo
	v_add_co_u32 v23, vcc_lo, v25, 4
	v_add_co_ci_u32_e32 v24, vcc_lo, 0, v26, vcc_lo
	s_add_u32 s4, s14, -1
	s_addc_u32 s5, s15, -1
	s_mov_b64 s[6:7], 0
	s_mov_b32 s30, 0
                                        ; implicit-def: $sgpr34
	s_set_inst_prefetch_distance 0x1
	s_branch .LBB943_78
	.p2align	6
.LBB943_76:                             ;   in Loop: Header=BB943_78 Depth=1
	global_load_b32 v25, v[23:24], off
	global_load_b32 v26, v[19:20], off
	v_add_co_u32 v19, vcc_lo, v19, 4
	v_add_co_ci_u32_e32 v20, vcc_lo, 0, v20, vcc_lo
	v_add_co_u32 v23, s0, v23, 4
	s_delay_alu instid0(VALU_DEP_1)
	v_add_co_ci_u32_e64 v24, s0, 0, v24, s0
	s_add_u32 s6, s6, 1
	s_addc_u32 s7, s7, 0
	s_and_not1_b32 s0, s34, exec_lo
	s_waitcnt vmcnt(0)
	v_cmp_neq_f32_e32 vcc_lo, v25, v26
	s_and_b32 s34, vcc_lo, exec_lo
	s_delay_alu instid0(SALU_CYCLE_1)
	s_or_b32 s34, s0, s34
.LBB943_77:                             ;   in Loop: Header=BB943_78 Depth=1
	v_dual_mov_b32 v26, s7 :: v_dual_mov_b32 v25, s6
	s_and_b32 s0, exec_lo, s34
	s_delay_alu instid0(SALU_CYCLE_1) | instskip(NEXT) | instid1(SALU_CYCLE_1)
	s_or_b32 s30, s0, s30
	s_and_not1_b32 exec_lo, exec_lo, s30
	s_cbranch_execz .LBB943_80
.LBB943_78:                             ; =>This Inner Loop Header: Depth=1
	s_or_b32 s34, s34, exec_lo
	s_cmp_eq_u64 s[4:5], s[6:7]
	s_cbranch_scc0 .LBB943_76
; %bb.79:                               ;   in Loop: Header=BB943_78 Depth=1
	s_mov_b64 s[6:7], s[14:15]
                                        ; implicit-def: $vgpr19_vgpr20
                                        ; implicit-def: $vgpr23_vgpr24
	s_branch .LBB943_77
.LBB943_80:
	s_set_inst_prefetch_distance 0x2
	s_or_b32 exec_lo, exec_lo, s30
	v_cmp_gt_i64_e32 vcc_lo, s[14:15], v[25:26]
	s_or_not1_b32 s30, vcc_lo, exec_lo
.LBB943_81:
	s_or_b32 exec_lo, exec_lo, s33
.LBB943_82:
	v_mul_lo_u32 v23, v14, s14
	v_mul_lo_u32 v24, v13, s15
	v_mad_u64_u32 v[19:20], null, v13, s14, 0
	s_and_not1_b32 vcc_lo, exec_lo, s26
	s_mov_b32 s0, 0
	s_delay_alu instid0(VALU_DEP_1) | instskip(NEXT) | instid1(VALU_DEP_1)
	v_add3_u32 v20, v20, v24, v23
	v_lshlrev_b64 v[19:20], 2, v[19:20]
	s_cbranch_vccnz .LBB943_91
; %bb.83:
	s_delay_alu instid0(VALU_DEP_1) | instskip(NEXT) | instid1(VALU_DEP_2)
	v_add_co_u32 v23, vcc_lo, s16, v19
	v_add_co_ci_u32_e32 v24, vcc_lo, s17, v20, vcc_lo
	v_add_co_u32 v21, vcc_lo, s16, v21
	v_add_co_ci_u32_e32 v22, vcc_lo, s17, v22, vcc_lo
	s_mov_b32 s0, -1
	s_clause 0x1
	global_load_b32 v25, v[23:24], off
	global_load_b32 v26, v[21:22], off
	s_mov_b32 s33, exec_lo
	s_waitcnt vmcnt(0)
	v_cmpx_eq_f32_e32 v25, v26
	s_cbranch_execz .LBB943_90
; %bb.84:
	v_add_co_u32 v21, vcc_lo, v21, 4
	v_add_co_ci_u32_e32 v22, vcc_lo, 0, v22, vcc_lo
	v_add_co_u32 v23, vcc_lo, v23, 4
	v_add_co_ci_u32_e32 v24, vcc_lo, 0, v24, vcc_lo
	s_add_u32 s4, s14, -1
	s_addc_u32 s5, s15, -1
	s_mov_b64 s[6:7], 0
	s_mov_b32 s34, 0
                                        ; implicit-def: $sgpr35
	s_set_inst_prefetch_distance 0x1
	s_branch .LBB943_87
	.p2align	6
.LBB943_85:                             ;   in Loop: Header=BB943_87 Depth=1
	global_load_b32 v25, v[23:24], off
	global_load_b32 v26, v[21:22], off
	v_add_co_u32 v21, vcc_lo, v21, 4
	v_add_co_ci_u32_e32 v22, vcc_lo, 0, v22, vcc_lo
	v_add_co_u32 v23, s0, v23, 4
	s_delay_alu instid0(VALU_DEP_1)
	v_add_co_ci_u32_e64 v24, s0, 0, v24, s0
	s_add_u32 s6, s6, 1
	s_addc_u32 s7, s7, 0
	s_and_not1_b32 s0, s35, exec_lo
	s_waitcnt vmcnt(0)
	v_cmp_neq_f32_e32 vcc_lo, v25, v26
	s_and_b32 s35, vcc_lo, exec_lo
	s_delay_alu instid0(SALU_CYCLE_1)
	s_or_b32 s35, s0, s35
.LBB943_86:                             ;   in Loop: Header=BB943_87 Depth=1
	v_dual_mov_b32 v26, s7 :: v_dual_mov_b32 v25, s6
	s_and_b32 s0, exec_lo, s35
	s_delay_alu instid0(SALU_CYCLE_1) | instskip(NEXT) | instid1(SALU_CYCLE_1)
	s_or_b32 s34, s0, s34
	s_and_not1_b32 exec_lo, exec_lo, s34
	s_cbranch_execz .LBB943_89
.LBB943_87:                             ; =>This Inner Loop Header: Depth=1
	s_or_b32 s35, s35, exec_lo
	s_cmp_eq_u64 s[4:5], s[6:7]
	s_cbranch_scc0 .LBB943_85
; %bb.88:                               ;   in Loop: Header=BB943_87 Depth=1
	s_mov_b64 s[6:7], s[14:15]
                                        ; implicit-def: $vgpr21_vgpr22
                                        ; implicit-def: $vgpr23_vgpr24
	s_branch .LBB943_86
.LBB943_89:
	s_set_inst_prefetch_distance 0x2
	s_or_b32 exec_lo, exec_lo, s34
	v_cmp_gt_i64_e32 vcc_lo, s[14:15], v[25:26]
	s_or_not1_b32 s0, vcc_lo, exec_lo
.LBB943_90:
	s_or_b32 exec_lo, exec_lo, s33
.LBB943_91:
	s_waitcnt vmcnt(0)
	v_dual_mov_b32 v22, v18 :: v_dual_mov_b32 v21, v17
	s_waitcnt lgkmcnt(0)
	s_barrier
	buffer_gl0_inv
	s_and_saveexec_b32 s4, s3
	s_cbranch_execz .LBB943_93
; %bb.92:
	v_add_nc_u32_e32 v21, -8, v39
	ds_load_b64 v[21:22], v21
.LBB943_93:
	s_or_b32 exec_lo, exec_lo, s4
	v_cndmask_b32_e64 v24, 0, 1, s31
	v_cndmask_b32_e64 v26, 0, 1, s29
	;; [unrolled: 1-line block ×7, first 2 shown]
	v_lshlrev_b16 v24, 8, v24
	v_lshlrev_b16 v26, 8, v26
	;; [unrolled: 1-line block ×4, first 2 shown]
	s_mov_b32 s25, 0
	v_or_b32_e32 v23, v23, v24
	v_or_b32_e32 v24, v25, v26
	;; [unrolled: 1-line block ×3, first 2 shown]
	v_and_b32_e32 v25, 0xffff, v29
	s_and_not1_b32 vcc_lo, exec_lo, s26
	v_lshlrev_b32_e32 v26, 16, v23
	v_and_b32_e32 v28, 0xffff, v24
	v_lshlrev_b32_e32 v29, 16, v30
	s_mov_b32 s0, 0
	s_cbranch_vccnz .LBB943_102
; %bb.94:
	s_waitcnt lgkmcnt(0)
	v_mul_lo_u32 v24, v22, s14
	v_mul_lo_u32 v30, v21, s15
	v_mad_u64_u32 v[22:23], null, v21, s14, 0
	s_mov_b32 s0, -1
	s_mov_b32 s27, exec_lo
	s_delay_alu instid0(VALU_DEP_1) | instskip(NEXT) | instid1(VALU_DEP_1)
	v_add3_u32 v23, v23, v30, v24
	v_lshlrev_b64 v[21:22], 2, v[22:23]
	s_delay_alu instid0(VALU_DEP_1) | instskip(NEXT) | instid1(VALU_DEP_2)
	v_add_co_u32 v21, vcc_lo, s16, v21
	v_add_co_ci_u32_e32 v22, vcc_lo, s17, v22, vcc_lo
	v_add_co_u32 v19, vcc_lo, s16, v19
	v_add_co_ci_u32_e32 v20, vcc_lo, s17, v20, vcc_lo
	s_clause 0x1
	global_load_b32 v23, v[21:22], off
	global_load_b32 v24, v[19:20], off
	s_waitcnt vmcnt(0)
	v_cmpx_eq_f32_e32 v23, v24
	s_cbranch_execz .LBB943_101
; %bb.95:
	v_add_co_u32 v19, vcc_lo, v19, 4
	v_add_co_ci_u32_e32 v20, vcc_lo, 0, v20, vcc_lo
	v_add_co_u32 v21, vcc_lo, v21, 4
	v_add_co_ci_u32_e32 v22, vcc_lo, 0, v22, vcc_lo
	s_add_u32 s4, s14, -1
	s_addc_u32 s5, s15, -1
	s_mov_b64 s[6:7], 0
	s_mov_b32 s28, 0
                                        ; implicit-def: $sgpr29
	s_set_inst_prefetch_distance 0x1
	s_branch .LBB943_98
	.p2align	6
.LBB943_96:                             ;   in Loop: Header=BB943_98 Depth=1
	global_load_b32 v23, v[21:22], off
	global_load_b32 v24, v[19:20], off
	v_add_co_u32 v19, vcc_lo, v19, 4
	v_add_co_ci_u32_e32 v20, vcc_lo, 0, v20, vcc_lo
	v_add_co_u32 v21, s0, v21, 4
	s_delay_alu instid0(VALU_DEP_1)
	v_add_co_ci_u32_e64 v22, s0, 0, v22, s0
	s_add_u32 s6, s6, 1
	s_addc_u32 s7, s7, 0
	s_and_not1_b32 s0, s29, exec_lo
	s_waitcnt vmcnt(0)
	v_cmp_neq_f32_e32 vcc_lo, v23, v24
	s_and_b32 s29, vcc_lo, exec_lo
	s_delay_alu instid0(SALU_CYCLE_1)
	s_or_b32 s29, s0, s29
.LBB943_97:                             ;   in Loop: Header=BB943_98 Depth=1
	v_dual_mov_b32 v24, s7 :: v_dual_mov_b32 v23, s6
	s_and_b32 s0, exec_lo, s29
	s_delay_alu instid0(SALU_CYCLE_1) | instskip(NEXT) | instid1(SALU_CYCLE_1)
	s_or_b32 s28, s0, s28
	s_and_not1_b32 exec_lo, exec_lo, s28
	s_cbranch_execz .LBB943_100
.LBB943_98:                             ; =>This Inner Loop Header: Depth=1
	s_or_b32 s29, s29, exec_lo
	s_cmp_eq_u64 s[4:5], s[6:7]
	s_cbranch_scc0 .LBB943_96
; %bb.99:                               ;   in Loop: Header=BB943_98 Depth=1
	s_mov_b64 s[6:7], s[14:15]
                                        ; implicit-def: $vgpr19_vgpr20
                                        ; implicit-def: $vgpr21_vgpr22
	s_branch .LBB943_97
.LBB943_100:
	s_set_inst_prefetch_distance 0x2
	s_or_b32 exec_lo, exec_lo, s28
	v_cmp_gt_i64_e32 vcc_lo, s[14:15], v[23:24]
	s_or_not1_b32 s0, vcc_lo, exec_lo
.LBB943_101:
	s_or_b32 exec_lo, exec_lo, s27
.LBB943_102:
	v_or_b32_e32 v19, v25, v26
	s_delay_alu instid0(VALU_DEP_2)
	v_or_b32_e32 v20, v28, v29
	s_and_b32 vcc_lo, exec_lo, s25
	s_cbranch_vccz .LBB943_194
.LBB943_103:
	v_or_b32_e32 v19, 7, v39
	s_mov_b32 s25, 0
	s_mov_b32 s27, 0
	s_mov_b32 s28, exec_lo
	s_delay_alu instid0(VALU_DEP_1)
	v_cmpx_gt_u32_e64 s12, v19
	s_cbranch_execz .LBB943_114
; %bb.104:
	s_and_not1_b32 vcc_lo, exec_lo, s26
	s_mov_b32 s0, 0
	s_cbranch_vccnz .LBB943_113
; %bb.105:
	v_mul_lo_u32 v23, v2, s14
	v_mul_lo_u32 v24, v1, s15
	v_mad_u64_u32 v[19:20], null, v1, s14, 0
	v_mul_lo_u32 v25, v4, s14
	v_mul_lo_u32 v26, v3, s15
	s_waitcnt lgkmcnt(0)
	v_mad_u64_u32 v[21:22], null, v3, s14, 0
	s_mov_b32 s0, -1
	s_mov_b32 s26, exec_lo
	s_delay_alu instid0(VALU_DEP_4) | instskip(NEXT) | instid1(VALU_DEP_2)
	v_add3_u32 v20, v20, v24, v23
	v_add3_u32 v22, v22, v26, v25
	s_delay_alu instid0(VALU_DEP_2) | instskip(NEXT) | instid1(VALU_DEP_2)
	v_lshlrev_b64 v[19:20], 2, v[19:20]
	v_lshlrev_b64 v[23:24], 2, v[21:22]
	s_delay_alu instid0(VALU_DEP_2) | instskip(NEXT) | instid1(VALU_DEP_3)
	v_add_co_u32 v21, vcc_lo, s16, v19
	v_add_co_ci_u32_e32 v22, vcc_lo, s17, v20, vcc_lo
	s_delay_alu instid0(VALU_DEP_3) | instskip(NEXT) | instid1(VALU_DEP_4)
	v_add_co_u32 v19, vcc_lo, s16, v23
	v_add_co_ci_u32_e32 v20, vcc_lo, s17, v24, vcc_lo
	s_clause 0x1
	global_load_b32 v23, v[21:22], off
	global_load_b32 v24, v[19:20], off
	s_waitcnt vmcnt(0)
	v_cmpx_eq_f32_e32 v23, v24
	s_cbranch_execz .LBB943_112
; %bb.106:
	v_add_co_u32 v19, vcc_lo, v19, 4
	v_add_co_ci_u32_e32 v20, vcc_lo, 0, v20, vcc_lo
	v_add_co_u32 v21, vcc_lo, v21, 4
	v_add_co_ci_u32_e32 v22, vcc_lo, 0, v22, vcc_lo
	s_add_u32 s4, s14, -1
	s_addc_u32 s5, s15, -1
	s_mov_b64 s[6:7], 0
                                        ; implicit-def: $sgpr29
	s_set_inst_prefetch_distance 0x1
	s_branch .LBB943_109
	.p2align	6
.LBB943_107:                            ;   in Loop: Header=BB943_109 Depth=1
	global_load_b32 v23, v[21:22], off
	global_load_b32 v24, v[19:20], off
	v_add_co_u32 v19, vcc_lo, v19, 4
	v_add_co_ci_u32_e32 v20, vcc_lo, 0, v20, vcc_lo
	v_add_co_u32 v21, s0, v21, 4
	s_delay_alu instid0(VALU_DEP_1)
	v_add_co_ci_u32_e64 v22, s0, 0, v22, s0
	s_add_u32 s6, s6, 1
	s_addc_u32 s7, s7, 0
	s_and_not1_b32 s0, s29, exec_lo
	s_waitcnt vmcnt(0)
	v_cmp_neq_f32_e32 vcc_lo, v23, v24
	s_and_b32 s29, vcc_lo, exec_lo
	s_delay_alu instid0(SALU_CYCLE_1)
	s_or_b32 s29, s0, s29
.LBB943_108:                            ;   in Loop: Header=BB943_109 Depth=1
	v_dual_mov_b32 v24, s7 :: v_dual_mov_b32 v23, s6
	s_and_b32 s0, exec_lo, s29
	s_delay_alu instid0(SALU_CYCLE_1) | instskip(NEXT) | instid1(SALU_CYCLE_1)
	s_or_b32 s27, s0, s27
	s_and_not1_b32 exec_lo, exec_lo, s27
	s_cbranch_execz .LBB943_111
.LBB943_109:                            ; =>This Inner Loop Header: Depth=1
	s_or_b32 s29, s29, exec_lo
	s_cmp_eq_u64 s[4:5], s[6:7]
	s_cbranch_scc0 .LBB943_107
; %bb.110:                              ;   in Loop: Header=BB943_109 Depth=1
	s_mov_b64 s[6:7], s[14:15]
                                        ; implicit-def: $vgpr19_vgpr20
                                        ; implicit-def: $vgpr21_vgpr22
	s_branch .LBB943_108
.LBB943_111:
	s_set_inst_prefetch_distance 0x2
	s_or_b32 exec_lo, exec_lo, s27
	v_cmp_gt_i64_e32 vcc_lo, s[14:15], v[23:24]
	s_or_not1_b32 s0, vcc_lo, exec_lo
.LBB943_112:
	s_or_b32 exec_lo, exec_lo, s26
.LBB943_113:
	s_delay_alu instid0(SALU_CYCLE_1)
	s_and_b32 s27, s0, exec_lo
.LBB943_114:
	s_or_b32 exec_lo, exec_lo, s28
	v_or_b32_e32 v19, 6, v39
	s_mov_b32 s26, exec_lo
	s_delay_alu instid0(VALU_DEP_1)
	v_cmpx_gt_u32_e64 s12, v19
	s_cbranch_execz .LBB943_125
; %bb.115:
	v_cmp_ne_u32_e32 vcc_lo, 1, v27
	s_mov_b32 s0, 0
	s_cbranch_vccnz .LBB943_124
; %bb.116:
	v_mul_lo_u32 v23, v8, s14
	v_mul_lo_u32 v24, v7, s15
	v_mad_u64_u32 v[19:20], null, v7, s14, 0
	v_mul_lo_u32 v25, v2, s14
	v_mul_lo_u32 v26, v1, s15
	s_waitcnt lgkmcnt(0)
	v_mad_u64_u32 v[21:22], null, v1, s14, 0
	s_mov_b32 s0, -1
	s_mov_b32 s25, exec_lo
	s_delay_alu instid0(VALU_DEP_4) | instskip(NEXT) | instid1(VALU_DEP_2)
	v_add3_u32 v20, v20, v24, v23
	v_add3_u32 v22, v22, v26, v25
	s_delay_alu instid0(VALU_DEP_2) | instskip(NEXT) | instid1(VALU_DEP_2)
	v_lshlrev_b64 v[19:20], 2, v[19:20]
	v_lshlrev_b64 v[23:24], 2, v[21:22]
	s_delay_alu instid0(VALU_DEP_2) | instskip(NEXT) | instid1(VALU_DEP_3)
	v_add_co_u32 v21, vcc_lo, s16, v19
	v_add_co_ci_u32_e32 v22, vcc_lo, s17, v20, vcc_lo
	s_delay_alu instid0(VALU_DEP_3) | instskip(NEXT) | instid1(VALU_DEP_4)
	v_add_co_u32 v19, vcc_lo, s16, v23
	v_add_co_ci_u32_e32 v20, vcc_lo, s17, v24, vcc_lo
	s_clause 0x1
	global_load_b32 v23, v[21:22], off
	global_load_b32 v24, v[19:20], off
	s_waitcnt vmcnt(0)
	v_cmpx_eq_f32_e32 v23, v24
	s_cbranch_execz .LBB943_123
; %bb.117:
	v_add_co_u32 v19, vcc_lo, v19, 4
	v_add_co_ci_u32_e32 v20, vcc_lo, 0, v20, vcc_lo
	v_add_co_u32 v21, vcc_lo, v21, 4
	v_add_co_ci_u32_e32 v22, vcc_lo, 0, v22, vcc_lo
	s_add_u32 s4, s14, -1
	s_addc_u32 s5, s15, -1
	s_mov_b64 s[6:7], 0
	s_mov_b32 s28, 0
                                        ; implicit-def: $sgpr29
	s_set_inst_prefetch_distance 0x1
	s_branch .LBB943_120
	.p2align	6
.LBB943_118:                            ;   in Loop: Header=BB943_120 Depth=1
	global_load_b32 v23, v[21:22], off
	global_load_b32 v24, v[19:20], off
	v_add_co_u32 v19, vcc_lo, v19, 4
	v_add_co_ci_u32_e32 v20, vcc_lo, 0, v20, vcc_lo
	v_add_co_u32 v21, s0, v21, 4
	s_delay_alu instid0(VALU_DEP_1)
	v_add_co_ci_u32_e64 v22, s0, 0, v22, s0
	s_add_u32 s6, s6, 1
	s_addc_u32 s7, s7, 0
	s_and_not1_b32 s0, s29, exec_lo
	s_waitcnt vmcnt(0)
	v_cmp_neq_f32_e32 vcc_lo, v23, v24
	s_and_b32 s29, vcc_lo, exec_lo
	s_delay_alu instid0(SALU_CYCLE_1)
	s_or_b32 s29, s0, s29
.LBB943_119:                            ;   in Loop: Header=BB943_120 Depth=1
	v_dual_mov_b32 v24, s7 :: v_dual_mov_b32 v23, s6
	s_and_b32 s0, exec_lo, s29
	s_delay_alu instid0(SALU_CYCLE_1) | instskip(NEXT) | instid1(SALU_CYCLE_1)
	s_or_b32 s28, s0, s28
	s_and_not1_b32 exec_lo, exec_lo, s28
	s_cbranch_execz .LBB943_122
.LBB943_120:                            ; =>This Inner Loop Header: Depth=1
	s_or_b32 s29, s29, exec_lo
	s_cmp_eq_u64 s[4:5], s[6:7]
	s_cbranch_scc0 .LBB943_118
; %bb.121:                              ;   in Loop: Header=BB943_120 Depth=1
	s_mov_b64 s[6:7], s[14:15]
                                        ; implicit-def: $vgpr19_vgpr20
                                        ; implicit-def: $vgpr21_vgpr22
	s_branch .LBB943_119
.LBB943_122:
	s_set_inst_prefetch_distance 0x2
	s_or_b32 exec_lo, exec_lo, s28
	v_cmp_gt_i64_e32 vcc_lo, s[14:15], v[23:24]
	s_or_not1_b32 s0, vcc_lo, exec_lo
.LBB943_123:
	s_or_b32 exec_lo, exec_lo, s25
.LBB943_124:
	s_delay_alu instid0(SALU_CYCLE_1)
	s_and_b32 s25, s0, exec_lo
.LBB943_125:
	s_or_b32 exec_lo, exec_lo, s26
	v_or_b32_e32 v19, 5, v39
	s_mov_b32 s28, 0
	s_mov_b32 s26, 0
	s_mov_b32 s29, exec_lo
	s_delay_alu instid0(VALU_DEP_1)
	v_cmpx_gt_u32_e64 s12, v19
	s_cbranch_execz .LBB943_136
; %bb.126:
	v_cmp_ne_u32_e32 vcc_lo, 1, v27
	s_mov_b32 s0, 0
	s_cbranch_vccnz .LBB943_135
; %bb.127:
	v_mul_lo_u32 v23, v6, s14
	v_mul_lo_u32 v24, v5, s15
	v_mad_u64_u32 v[19:20], null, v5, s14, 0
	v_mul_lo_u32 v25, v8, s14
	v_mul_lo_u32 v26, v7, s15
	s_waitcnt lgkmcnt(0)
	v_mad_u64_u32 v[21:22], null, v7, s14, 0
	s_mov_b32 s0, -1
	s_mov_b32 s26, exec_lo
	s_delay_alu instid0(VALU_DEP_4) | instskip(NEXT) | instid1(VALU_DEP_2)
	v_add3_u32 v20, v20, v24, v23
	v_add3_u32 v22, v22, v26, v25
	s_delay_alu instid0(VALU_DEP_2) | instskip(NEXT) | instid1(VALU_DEP_2)
	v_lshlrev_b64 v[19:20], 2, v[19:20]
	v_lshlrev_b64 v[23:24], 2, v[21:22]
	s_delay_alu instid0(VALU_DEP_2) | instskip(NEXT) | instid1(VALU_DEP_3)
	v_add_co_u32 v21, vcc_lo, s16, v19
	v_add_co_ci_u32_e32 v22, vcc_lo, s17, v20, vcc_lo
	s_delay_alu instid0(VALU_DEP_3) | instskip(NEXT) | instid1(VALU_DEP_4)
	v_add_co_u32 v19, vcc_lo, s16, v23
	v_add_co_ci_u32_e32 v20, vcc_lo, s17, v24, vcc_lo
	s_clause 0x1
	global_load_b32 v23, v[21:22], off
	global_load_b32 v24, v[19:20], off
	s_waitcnt vmcnt(0)
	v_cmpx_eq_f32_e32 v23, v24
	s_cbranch_execz .LBB943_134
; %bb.128:
	v_add_co_u32 v19, vcc_lo, v19, 4
	v_add_co_ci_u32_e32 v20, vcc_lo, 0, v20, vcc_lo
	v_add_co_u32 v21, vcc_lo, v21, 4
	v_add_co_ci_u32_e32 v22, vcc_lo, 0, v22, vcc_lo
	s_add_u32 s4, s14, -1
	s_addc_u32 s5, s15, -1
	s_mov_b64 s[6:7], 0
	s_mov_b32 s30, 0
                                        ; implicit-def: $sgpr31
	s_set_inst_prefetch_distance 0x1
	s_branch .LBB943_131
	.p2align	6
.LBB943_129:                            ;   in Loop: Header=BB943_131 Depth=1
	global_load_b32 v23, v[21:22], off
	global_load_b32 v24, v[19:20], off
	v_add_co_u32 v19, vcc_lo, v19, 4
	v_add_co_ci_u32_e32 v20, vcc_lo, 0, v20, vcc_lo
	v_add_co_u32 v21, s0, v21, 4
	s_delay_alu instid0(VALU_DEP_1)
	v_add_co_ci_u32_e64 v22, s0, 0, v22, s0
	s_add_u32 s6, s6, 1
	s_addc_u32 s7, s7, 0
	s_and_not1_b32 s0, s31, exec_lo
	s_waitcnt vmcnt(0)
	v_cmp_neq_f32_e32 vcc_lo, v23, v24
	s_and_b32 s31, vcc_lo, exec_lo
	s_delay_alu instid0(SALU_CYCLE_1)
	s_or_b32 s31, s0, s31
.LBB943_130:                            ;   in Loop: Header=BB943_131 Depth=1
	v_dual_mov_b32 v24, s7 :: v_dual_mov_b32 v23, s6
	s_and_b32 s0, exec_lo, s31
	s_delay_alu instid0(SALU_CYCLE_1) | instskip(NEXT) | instid1(SALU_CYCLE_1)
	s_or_b32 s30, s0, s30
	s_and_not1_b32 exec_lo, exec_lo, s30
	s_cbranch_execz .LBB943_133
.LBB943_131:                            ; =>This Inner Loop Header: Depth=1
	s_or_b32 s31, s31, exec_lo
	s_cmp_eq_u64 s[4:5], s[6:7]
	s_cbranch_scc0 .LBB943_129
; %bb.132:                              ;   in Loop: Header=BB943_131 Depth=1
	s_mov_b64 s[6:7], s[14:15]
                                        ; implicit-def: $vgpr19_vgpr20
                                        ; implicit-def: $vgpr21_vgpr22
	s_branch .LBB943_130
.LBB943_133:
	s_set_inst_prefetch_distance 0x2
	s_or_b32 exec_lo, exec_lo, s30
	v_cmp_gt_i64_e32 vcc_lo, s[14:15], v[23:24]
	s_or_not1_b32 s0, vcc_lo, exec_lo
.LBB943_134:
	s_or_b32 exec_lo, exec_lo, s26
.LBB943_135:
	s_delay_alu instid0(SALU_CYCLE_1)
	s_and_b32 s26, s0, exec_lo
.LBB943_136:
	s_or_b32 exec_lo, exec_lo, s29
	v_or_b32_e32 v19, 4, v39
	s_mov_b32 s29, exec_lo
	s_delay_alu instid0(VALU_DEP_1)
	v_cmpx_gt_u32_e64 s12, v19
	s_cbranch_execz .LBB943_147
; %bb.137:
	v_cmp_ne_u32_e32 vcc_lo, 1, v27
	s_mov_b32 s0, 0
	s_cbranch_vccnz .LBB943_146
; %bb.138:
	v_mul_lo_u32 v23, v12, s14
	v_mul_lo_u32 v24, v11, s15
	v_mad_u64_u32 v[19:20], null, v11, s14, 0
	v_mul_lo_u32 v25, v6, s14
	v_mul_lo_u32 v26, v5, s15
	s_waitcnt lgkmcnt(0)
	v_mad_u64_u32 v[21:22], null, v5, s14, 0
	s_mov_b32 s0, -1
	s_mov_b32 s28, exec_lo
	s_delay_alu instid0(VALU_DEP_4) | instskip(NEXT) | instid1(VALU_DEP_2)
	v_add3_u32 v20, v20, v24, v23
	v_add3_u32 v22, v22, v26, v25
	s_delay_alu instid0(VALU_DEP_2) | instskip(NEXT) | instid1(VALU_DEP_2)
	v_lshlrev_b64 v[19:20], 2, v[19:20]
	v_lshlrev_b64 v[23:24], 2, v[21:22]
	s_delay_alu instid0(VALU_DEP_2) | instskip(NEXT) | instid1(VALU_DEP_3)
	v_add_co_u32 v21, vcc_lo, s16, v19
	v_add_co_ci_u32_e32 v22, vcc_lo, s17, v20, vcc_lo
	s_delay_alu instid0(VALU_DEP_3) | instskip(NEXT) | instid1(VALU_DEP_4)
	v_add_co_u32 v19, vcc_lo, s16, v23
	v_add_co_ci_u32_e32 v20, vcc_lo, s17, v24, vcc_lo
	s_clause 0x1
	global_load_b32 v23, v[21:22], off
	global_load_b32 v24, v[19:20], off
	s_waitcnt vmcnt(0)
	v_cmpx_eq_f32_e32 v23, v24
	s_cbranch_execz .LBB943_145
; %bb.139:
	v_add_co_u32 v19, vcc_lo, v19, 4
	v_add_co_ci_u32_e32 v20, vcc_lo, 0, v20, vcc_lo
	v_add_co_u32 v21, vcc_lo, v21, 4
	v_add_co_ci_u32_e32 v22, vcc_lo, 0, v22, vcc_lo
	s_add_u32 s4, s14, -1
	s_addc_u32 s5, s15, -1
	s_mov_b64 s[6:7], 0
	s_mov_b32 s30, 0
                                        ; implicit-def: $sgpr31
	s_set_inst_prefetch_distance 0x1
	s_branch .LBB943_142
	.p2align	6
.LBB943_140:                            ;   in Loop: Header=BB943_142 Depth=1
	global_load_b32 v23, v[21:22], off
	global_load_b32 v24, v[19:20], off
	v_add_co_u32 v19, vcc_lo, v19, 4
	v_add_co_ci_u32_e32 v20, vcc_lo, 0, v20, vcc_lo
	v_add_co_u32 v21, s0, v21, 4
	s_delay_alu instid0(VALU_DEP_1)
	v_add_co_ci_u32_e64 v22, s0, 0, v22, s0
	s_add_u32 s6, s6, 1
	s_addc_u32 s7, s7, 0
	s_and_not1_b32 s0, s31, exec_lo
	s_waitcnt vmcnt(0)
	v_cmp_neq_f32_e32 vcc_lo, v23, v24
	s_and_b32 s31, vcc_lo, exec_lo
	s_delay_alu instid0(SALU_CYCLE_1)
	s_or_b32 s31, s0, s31
.LBB943_141:                            ;   in Loop: Header=BB943_142 Depth=1
	v_dual_mov_b32 v24, s7 :: v_dual_mov_b32 v23, s6
	s_and_b32 s0, exec_lo, s31
	s_delay_alu instid0(SALU_CYCLE_1) | instskip(NEXT) | instid1(SALU_CYCLE_1)
	s_or_b32 s30, s0, s30
	s_and_not1_b32 exec_lo, exec_lo, s30
	s_cbranch_execz .LBB943_144
.LBB943_142:                            ; =>This Inner Loop Header: Depth=1
	s_or_b32 s31, s31, exec_lo
	s_cmp_eq_u64 s[4:5], s[6:7]
	s_cbranch_scc0 .LBB943_140
; %bb.143:                              ;   in Loop: Header=BB943_142 Depth=1
	s_mov_b64 s[6:7], s[14:15]
                                        ; implicit-def: $vgpr19_vgpr20
                                        ; implicit-def: $vgpr21_vgpr22
	s_branch .LBB943_141
.LBB943_144:
	s_set_inst_prefetch_distance 0x2
	s_or_b32 exec_lo, exec_lo, s30
	v_cmp_gt_i64_e32 vcc_lo, s[14:15], v[23:24]
	s_or_not1_b32 s0, vcc_lo, exec_lo
.LBB943_145:
	s_or_b32 exec_lo, exec_lo, s28
.LBB943_146:
	s_delay_alu instid0(SALU_CYCLE_1)
	s_and_b32 s28, s0, exec_lo
.LBB943_147:
	s_or_b32 exec_lo, exec_lo, s29
	v_or_b32_e32 v19, 3, v39
	s_mov_b32 s30, 0
	s_mov_b32 s29, 0
	s_mov_b32 s31, exec_lo
	s_delay_alu instid0(VALU_DEP_1)
	v_cmpx_gt_u32_e64 s12, v19
	s_cbranch_execz .LBB943_158
; %bb.148:
	v_cmp_ne_u32_e32 vcc_lo, 1, v27
	s_mov_b32 s0, 0
	s_cbranch_vccnz .LBB943_157
; %bb.149:
	v_mul_lo_u32 v23, v10, s14
	v_mul_lo_u32 v24, v9, s15
	v_mad_u64_u32 v[19:20], null, v9, s14, 0
	v_mul_lo_u32 v25, v12, s14
	v_mul_lo_u32 v26, v11, s15
	s_waitcnt lgkmcnt(0)
	v_mad_u64_u32 v[21:22], null, v11, s14, 0
	s_mov_b32 s0, -1
	s_mov_b32 s29, exec_lo
	s_delay_alu instid0(VALU_DEP_4) | instskip(NEXT) | instid1(VALU_DEP_2)
	v_add3_u32 v20, v20, v24, v23
	v_add3_u32 v22, v22, v26, v25
	s_delay_alu instid0(VALU_DEP_2) | instskip(NEXT) | instid1(VALU_DEP_2)
	v_lshlrev_b64 v[19:20], 2, v[19:20]
	v_lshlrev_b64 v[23:24], 2, v[21:22]
	s_delay_alu instid0(VALU_DEP_2) | instskip(NEXT) | instid1(VALU_DEP_3)
	v_add_co_u32 v21, vcc_lo, s16, v19
	v_add_co_ci_u32_e32 v22, vcc_lo, s17, v20, vcc_lo
	s_delay_alu instid0(VALU_DEP_3) | instskip(NEXT) | instid1(VALU_DEP_4)
	v_add_co_u32 v19, vcc_lo, s16, v23
	v_add_co_ci_u32_e32 v20, vcc_lo, s17, v24, vcc_lo
	s_clause 0x1
	global_load_b32 v23, v[21:22], off
	global_load_b32 v24, v[19:20], off
	s_waitcnt vmcnt(0)
	v_cmpx_eq_f32_e32 v23, v24
	s_cbranch_execz .LBB943_156
; %bb.150:
	v_add_co_u32 v19, vcc_lo, v19, 4
	v_add_co_ci_u32_e32 v20, vcc_lo, 0, v20, vcc_lo
	v_add_co_u32 v21, vcc_lo, v21, 4
	v_add_co_ci_u32_e32 v22, vcc_lo, 0, v22, vcc_lo
	s_add_u32 s4, s14, -1
	s_addc_u32 s5, s15, -1
	s_mov_b64 s[6:7], 0
	s_mov_b32 s33, 0
                                        ; implicit-def: $sgpr34
	s_set_inst_prefetch_distance 0x1
	s_branch .LBB943_153
	.p2align	6
.LBB943_151:                            ;   in Loop: Header=BB943_153 Depth=1
	global_load_b32 v23, v[21:22], off
	global_load_b32 v24, v[19:20], off
	v_add_co_u32 v19, vcc_lo, v19, 4
	v_add_co_ci_u32_e32 v20, vcc_lo, 0, v20, vcc_lo
	v_add_co_u32 v21, s0, v21, 4
	s_delay_alu instid0(VALU_DEP_1)
	v_add_co_ci_u32_e64 v22, s0, 0, v22, s0
	s_add_u32 s6, s6, 1
	s_addc_u32 s7, s7, 0
	s_and_not1_b32 s0, s34, exec_lo
	s_waitcnt vmcnt(0)
	v_cmp_neq_f32_e32 vcc_lo, v23, v24
	s_and_b32 s34, vcc_lo, exec_lo
	s_delay_alu instid0(SALU_CYCLE_1)
	s_or_b32 s34, s0, s34
.LBB943_152:                            ;   in Loop: Header=BB943_153 Depth=1
	v_dual_mov_b32 v24, s7 :: v_dual_mov_b32 v23, s6
	s_and_b32 s0, exec_lo, s34
	s_delay_alu instid0(SALU_CYCLE_1) | instskip(NEXT) | instid1(SALU_CYCLE_1)
	s_or_b32 s33, s0, s33
	s_and_not1_b32 exec_lo, exec_lo, s33
	s_cbranch_execz .LBB943_155
.LBB943_153:                            ; =>This Inner Loop Header: Depth=1
	s_or_b32 s34, s34, exec_lo
	s_cmp_eq_u64 s[4:5], s[6:7]
	s_cbranch_scc0 .LBB943_151
; %bb.154:                              ;   in Loop: Header=BB943_153 Depth=1
	s_mov_b64 s[6:7], s[14:15]
                                        ; implicit-def: $vgpr19_vgpr20
                                        ; implicit-def: $vgpr21_vgpr22
	s_branch .LBB943_152
.LBB943_155:
	s_set_inst_prefetch_distance 0x2
	s_or_b32 exec_lo, exec_lo, s33
	v_cmp_gt_i64_e32 vcc_lo, s[14:15], v[23:24]
	s_or_not1_b32 s0, vcc_lo, exec_lo
.LBB943_156:
	s_or_b32 exec_lo, exec_lo, s29
.LBB943_157:
	s_delay_alu instid0(SALU_CYCLE_1)
	s_and_b32 s29, s0, exec_lo
.LBB943_158:
	s_or_b32 exec_lo, exec_lo, s31
	v_or_b32_e32 v19, 2, v39
	s_mov_b32 s31, exec_lo
	s_delay_alu instid0(VALU_DEP_1)
	v_cmpx_gt_u32_e64 s12, v19
	s_cbranch_execz .LBB943_169
; %bb.159:
	v_cmp_ne_u32_e32 vcc_lo, 1, v27
	s_mov_b32 s0, 0
	s_cbranch_vccnz .LBB943_168
; %bb.160:
	v_mul_lo_u32 v23, v16, s14
	v_mul_lo_u32 v24, v15, s15
	v_mad_u64_u32 v[19:20], null, v15, s14, 0
	v_mul_lo_u32 v25, v10, s14
	v_mul_lo_u32 v26, v9, s15
	s_waitcnt lgkmcnt(0)
	v_mad_u64_u32 v[21:22], null, v9, s14, 0
	s_mov_b32 s0, -1
	s_mov_b32 s30, exec_lo
	s_delay_alu instid0(VALU_DEP_4) | instskip(NEXT) | instid1(VALU_DEP_2)
	v_add3_u32 v20, v20, v24, v23
	v_add3_u32 v22, v22, v26, v25
	s_delay_alu instid0(VALU_DEP_2) | instskip(NEXT) | instid1(VALU_DEP_2)
	v_lshlrev_b64 v[19:20], 2, v[19:20]
	v_lshlrev_b64 v[23:24], 2, v[21:22]
	s_delay_alu instid0(VALU_DEP_2) | instskip(NEXT) | instid1(VALU_DEP_3)
	v_add_co_u32 v21, vcc_lo, s16, v19
	v_add_co_ci_u32_e32 v22, vcc_lo, s17, v20, vcc_lo
	s_delay_alu instid0(VALU_DEP_3) | instskip(NEXT) | instid1(VALU_DEP_4)
	v_add_co_u32 v19, vcc_lo, s16, v23
	v_add_co_ci_u32_e32 v20, vcc_lo, s17, v24, vcc_lo
	s_clause 0x1
	global_load_b32 v23, v[21:22], off
	global_load_b32 v24, v[19:20], off
	s_waitcnt vmcnt(0)
	v_cmpx_eq_f32_e32 v23, v24
	s_cbranch_execz .LBB943_167
; %bb.161:
	v_add_co_u32 v19, vcc_lo, v19, 4
	v_add_co_ci_u32_e32 v20, vcc_lo, 0, v20, vcc_lo
	v_add_co_u32 v21, vcc_lo, v21, 4
	v_add_co_ci_u32_e32 v22, vcc_lo, 0, v22, vcc_lo
	s_add_u32 s4, s14, -1
	s_addc_u32 s5, s15, -1
	s_mov_b64 s[6:7], 0
	s_mov_b32 s33, 0
                                        ; implicit-def: $sgpr34
	s_set_inst_prefetch_distance 0x1
	s_branch .LBB943_164
	.p2align	6
.LBB943_162:                            ;   in Loop: Header=BB943_164 Depth=1
	global_load_b32 v23, v[21:22], off
	global_load_b32 v24, v[19:20], off
	v_add_co_u32 v19, vcc_lo, v19, 4
	v_add_co_ci_u32_e32 v20, vcc_lo, 0, v20, vcc_lo
	v_add_co_u32 v21, s0, v21, 4
	s_delay_alu instid0(VALU_DEP_1)
	v_add_co_ci_u32_e64 v22, s0, 0, v22, s0
	s_add_u32 s6, s6, 1
	s_addc_u32 s7, s7, 0
	s_and_not1_b32 s0, s34, exec_lo
	s_waitcnt vmcnt(0)
	v_cmp_neq_f32_e32 vcc_lo, v23, v24
	s_and_b32 s34, vcc_lo, exec_lo
	s_delay_alu instid0(SALU_CYCLE_1)
	s_or_b32 s34, s0, s34
.LBB943_163:                            ;   in Loop: Header=BB943_164 Depth=1
	v_dual_mov_b32 v24, s7 :: v_dual_mov_b32 v23, s6
	s_and_b32 s0, exec_lo, s34
	s_delay_alu instid0(SALU_CYCLE_1) | instskip(NEXT) | instid1(SALU_CYCLE_1)
	s_or_b32 s33, s0, s33
	s_and_not1_b32 exec_lo, exec_lo, s33
	s_cbranch_execz .LBB943_166
.LBB943_164:                            ; =>This Inner Loop Header: Depth=1
	s_or_b32 s34, s34, exec_lo
	s_cmp_eq_u64 s[4:5], s[6:7]
	s_cbranch_scc0 .LBB943_162
; %bb.165:                              ;   in Loop: Header=BB943_164 Depth=1
	s_mov_b64 s[6:7], s[14:15]
                                        ; implicit-def: $vgpr19_vgpr20
                                        ; implicit-def: $vgpr21_vgpr22
	s_branch .LBB943_163
.LBB943_166:
	s_set_inst_prefetch_distance 0x2
	s_or_b32 exec_lo, exec_lo, s33
	v_cmp_gt_i64_e32 vcc_lo, s[14:15], v[23:24]
	s_or_not1_b32 s0, vcc_lo, exec_lo
.LBB943_167:
	s_or_b32 exec_lo, exec_lo, s30
.LBB943_168:
	s_delay_alu instid0(SALU_CYCLE_1)
	s_and_b32 s30, s0, exec_lo
.LBB943_169:
	s_or_b32 exec_lo, exec_lo, s31
	v_or_b32_e32 v19, 1, v39
	s_mov_b32 s0, 0
	s_mov_b32 s31, exec_lo
	s_delay_alu instid0(VALU_DEP_1)
	v_cmpx_gt_u32_e64 s12, v19
	s_cbranch_execz .LBB943_180
; %bb.170:
	v_cmp_ne_u32_e32 vcc_lo, 1, v27
	s_cbranch_vccnz .LBB943_179
; %bb.171:
	v_mul_lo_u32 v23, v14, s14
	v_mul_lo_u32 v24, v13, s15
	v_mad_u64_u32 v[19:20], null, v13, s14, 0
	v_mul_lo_u32 v25, v16, s14
	v_mul_lo_u32 v26, v15, s15
	s_waitcnt lgkmcnt(0)
	v_mad_u64_u32 v[21:22], null, v15, s14, 0
	s_mov_b32 s0, -1
	s_mov_b32 s33, exec_lo
	s_delay_alu instid0(VALU_DEP_4) | instskip(NEXT) | instid1(VALU_DEP_2)
	v_add3_u32 v20, v20, v24, v23
	v_add3_u32 v22, v22, v26, v25
	s_delay_alu instid0(VALU_DEP_2) | instskip(NEXT) | instid1(VALU_DEP_2)
	v_lshlrev_b64 v[19:20], 2, v[19:20]
	v_lshlrev_b64 v[23:24], 2, v[21:22]
	s_delay_alu instid0(VALU_DEP_2) | instskip(NEXT) | instid1(VALU_DEP_3)
	v_add_co_u32 v21, vcc_lo, s16, v19
	v_add_co_ci_u32_e32 v22, vcc_lo, s17, v20, vcc_lo
	s_delay_alu instid0(VALU_DEP_3) | instskip(NEXT) | instid1(VALU_DEP_4)
	v_add_co_u32 v19, vcc_lo, s16, v23
	v_add_co_ci_u32_e32 v20, vcc_lo, s17, v24, vcc_lo
	s_clause 0x1
	global_load_b32 v23, v[21:22], off
	global_load_b32 v24, v[19:20], off
	s_waitcnt vmcnt(0)
	v_cmpx_eq_f32_e32 v23, v24
	s_cbranch_execz .LBB943_178
; %bb.172:
	v_add_co_u32 v19, vcc_lo, v19, 4
	v_add_co_ci_u32_e32 v20, vcc_lo, 0, v20, vcc_lo
	v_add_co_u32 v21, vcc_lo, v21, 4
	v_add_co_ci_u32_e32 v22, vcc_lo, 0, v22, vcc_lo
	s_add_u32 s4, s14, -1
	s_addc_u32 s5, s15, -1
	s_mov_b64 s[6:7], 0
	s_mov_b32 s34, 0
                                        ; implicit-def: $sgpr35
	s_set_inst_prefetch_distance 0x1
	s_branch .LBB943_175
	.p2align	6
.LBB943_173:                            ;   in Loop: Header=BB943_175 Depth=1
	global_load_b32 v23, v[21:22], off
	global_load_b32 v24, v[19:20], off
	v_add_co_u32 v19, vcc_lo, v19, 4
	v_add_co_ci_u32_e32 v20, vcc_lo, 0, v20, vcc_lo
	v_add_co_u32 v21, s0, v21, 4
	s_delay_alu instid0(VALU_DEP_1)
	v_add_co_ci_u32_e64 v22, s0, 0, v22, s0
	s_add_u32 s6, s6, 1
	s_addc_u32 s7, s7, 0
	s_and_not1_b32 s0, s35, exec_lo
	s_waitcnt vmcnt(0)
	v_cmp_neq_f32_e32 vcc_lo, v23, v24
	s_and_b32 s35, vcc_lo, exec_lo
	s_delay_alu instid0(SALU_CYCLE_1)
	s_or_b32 s35, s0, s35
.LBB943_174:                            ;   in Loop: Header=BB943_175 Depth=1
	v_dual_mov_b32 v24, s7 :: v_dual_mov_b32 v23, s6
	s_and_b32 s0, exec_lo, s35
	s_delay_alu instid0(SALU_CYCLE_1) | instskip(NEXT) | instid1(SALU_CYCLE_1)
	s_or_b32 s34, s0, s34
	s_and_not1_b32 exec_lo, exec_lo, s34
	s_cbranch_execz .LBB943_177
.LBB943_175:                            ; =>This Inner Loop Header: Depth=1
	s_or_b32 s35, s35, exec_lo
	s_cmp_eq_u64 s[4:5], s[6:7]
	s_cbranch_scc0 .LBB943_173
; %bb.176:                              ;   in Loop: Header=BB943_175 Depth=1
	s_mov_b64 s[6:7], s[14:15]
                                        ; implicit-def: $vgpr19_vgpr20
                                        ; implicit-def: $vgpr21_vgpr22
	s_branch .LBB943_174
.LBB943_177:
	s_set_inst_prefetch_distance 0x2
	s_or_b32 exec_lo, exec_lo, s34
	v_cmp_gt_i64_e32 vcc_lo, s[14:15], v[23:24]
	s_or_not1_b32 s0, vcc_lo, exec_lo
.LBB943_178:
	s_or_b32 exec_lo, exec_lo, s33
.LBB943_179:
	s_delay_alu instid0(SALU_CYCLE_1)
	s_and_b32 s0, s0, exec_lo
.LBB943_180:
	s_or_b32 exec_lo, exec_lo, s31
	s_waitcnt vmcnt(0) lgkmcnt(0)
	s_barrier
	buffer_gl0_inv
	s_and_saveexec_b32 s4, s3
	s_cbranch_execz .LBB943_182
; %bb.181:
	v_add_nc_u32_e32 v17, -8, v39
	ds_load_b64 v[17:18], v17
.LBB943_182:
	s_or_b32 exec_lo, exec_lo, s4
	v_cndmask_b32_e64 v20, 0, 1, s29
	v_cndmask_b32_e64 v22, 0, 1, s26
	;; [unrolled: 1-line block ×7, first 2 shown]
	v_lshlrev_b16 v20, 8, v20
	v_lshlrev_b16 v22, 8, v22
	;; [unrolled: 1-line block ×3, first 2 shown]
	s_mov_b32 s0, 0
	v_lshlrev_b16 v25, 8, v25
	v_or_b32_e32 v19, v19, v20
	v_or_b32_e32 v20, v21, v22
	;; [unrolled: 1-line block ×3, first 2 shown]
	s_mov_b32 s25, exec_lo
	v_and_b32_e32 v23, 0xffff, v25
	v_lshlrev_b32_e32 v24, 16, v19
	v_and_b32_e32 v25, 0xffff, v20
	v_lshlrev_b32_e32 v26, 16, v21
	v_cmpx_gt_u32_e64 s12, v39
	s_cbranch_execz .LBB943_193
; %bb.183:
	v_cmp_ne_u32_e32 vcc_lo, 1, v27
	s_cbranch_vccnz .LBB943_192
; %bb.184:
	s_waitcnt lgkmcnt(0)
	v_mul_lo_u32 v22, v18, s14
	v_mul_lo_u32 v27, v17, s15
	v_mad_u64_u32 v[18:19], null, v17, s14, 0
	v_mul_lo_u32 v17, v14, s14
	v_mul_lo_u32 v28, v13, s15
	v_mad_u64_u32 v[20:21], null, v13, s14, 0
	s_mov_b32 s0, -1
	s_mov_b32 s26, exec_lo
	s_delay_alu instid0(VALU_DEP_4) | instskip(NEXT) | instid1(VALU_DEP_2)
	v_add3_u32 v19, v19, v27, v22
	v_add3_u32 v21, v21, v28, v17
	s_delay_alu instid0(VALU_DEP_2) | instskip(NEXT) | instid1(VALU_DEP_2)
	v_lshlrev_b64 v[17:18], 2, v[18:19]
	v_lshlrev_b64 v[21:22], 2, v[20:21]
	s_delay_alu instid0(VALU_DEP_2) | instskip(NEXT) | instid1(VALU_DEP_3)
	v_add_co_u32 v19, vcc_lo, s16, v17
	v_add_co_ci_u32_e32 v20, vcc_lo, s17, v18, vcc_lo
	s_delay_alu instid0(VALU_DEP_3) | instskip(NEXT) | instid1(VALU_DEP_4)
	v_add_co_u32 v17, vcc_lo, s16, v21
	v_add_co_ci_u32_e32 v18, vcc_lo, s17, v22, vcc_lo
	s_clause 0x1
	global_load_b32 v21, v[19:20], off
	global_load_b32 v22, v[17:18], off
	s_waitcnt vmcnt(0)
	v_cmpx_eq_f32_e32 v21, v22
	s_cbranch_execz .LBB943_191
; %bb.185:
	v_add_co_u32 v17, vcc_lo, v17, 4
	v_add_co_ci_u32_e32 v18, vcc_lo, 0, v18, vcc_lo
	v_add_co_u32 v19, vcc_lo, v19, 4
	v_add_co_ci_u32_e32 v20, vcc_lo, 0, v20, vcc_lo
	s_add_u32 s4, s14, -1
	s_addc_u32 s5, s15, -1
	s_mov_b64 s[6:7], 0
	s_mov_b32 s27, 0
                                        ; implicit-def: $sgpr28
	s_set_inst_prefetch_distance 0x1
	s_branch .LBB943_188
	.p2align	6
.LBB943_186:                            ;   in Loop: Header=BB943_188 Depth=1
	global_load_b32 v21, v[19:20], off
	global_load_b32 v22, v[17:18], off
	v_add_co_u32 v17, vcc_lo, v17, 4
	v_add_co_ci_u32_e32 v18, vcc_lo, 0, v18, vcc_lo
	v_add_co_u32 v19, s0, v19, 4
	s_delay_alu instid0(VALU_DEP_1)
	v_add_co_ci_u32_e64 v20, s0, 0, v20, s0
	s_add_u32 s6, s6, 1
	s_addc_u32 s7, s7, 0
	s_and_not1_b32 s0, s28, exec_lo
	s_waitcnt vmcnt(0)
	v_cmp_neq_f32_e32 vcc_lo, v21, v22
	s_and_b32 s28, vcc_lo, exec_lo
	s_delay_alu instid0(SALU_CYCLE_1)
	s_or_b32 s28, s0, s28
.LBB943_187:                            ;   in Loop: Header=BB943_188 Depth=1
	v_dual_mov_b32 v22, s7 :: v_dual_mov_b32 v21, s6
	s_and_b32 s0, exec_lo, s28
	s_delay_alu instid0(SALU_CYCLE_1) | instskip(NEXT) | instid1(SALU_CYCLE_1)
	s_or_b32 s27, s0, s27
	s_and_not1_b32 exec_lo, exec_lo, s27
	s_cbranch_execz .LBB943_190
.LBB943_188:                            ; =>This Inner Loop Header: Depth=1
	s_or_b32 s28, s28, exec_lo
	s_cmp_eq_u64 s[4:5], s[6:7]
	s_cbranch_scc0 .LBB943_186
; %bb.189:                              ;   in Loop: Header=BB943_188 Depth=1
	s_mov_b64 s[6:7], s[14:15]
                                        ; implicit-def: $vgpr17_vgpr18
                                        ; implicit-def: $vgpr19_vgpr20
	s_branch .LBB943_187
.LBB943_190:
	s_set_inst_prefetch_distance 0x2
	s_or_b32 exec_lo, exec_lo, s27
	v_cmp_gt_i64_e32 vcc_lo, s[14:15], v[21:22]
	s_or_not1_b32 s0, vcc_lo, exec_lo
.LBB943_191:
	s_or_b32 exec_lo, exec_lo, s26
.LBB943_192:
	s_delay_alu instid0(SALU_CYCLE_1)
	s_and_b32 s0, s0, exec_lo
.LBB943_193:
	s_or_b32 exec_lo, exec_lo, s25
	v_or_b32_e32 v19, v23, v24
	v_or_b32_e32 v20, v25, v26
.LBB943_194:
	s_mov_b32 s25, -1
	s_cbranch_execnz .LBB943_363
.LBB943_195:
	v_cmp_gt_i64_e64 s26, s[14:15], 0
	s_and_b32 vcc_lo, exec_lo, s22
	ds_store_b64 v39, v[3:4]
	s_cbranch_vccz .LBB943_203
; %bb.196:
	v_mul_lo_u32 v19, v2, s14
	v_mul_lo_u32 v20, v1, s15
	s_waitcnt vmcnt(0) lgkmcnt(1)
	v_mad_u64_u32 v[17:18], null, v1, s14, 0
	s_mov_b32 s27, 0
	s_and_not1_b32 vcc_lo, exec_lo, s26
	s_mov_b32 s28, 0
	s_delay_alu instid0(VALU_DEP_1) | instskip(NEXT) | instid1(VALU_DEP_1)
	v_add3_u32 v18, v18, v20, v19
	v_lshlrev_b64 v[17:18], 2, v[17:18]
	s_cbranch_vccnz .LBB943_206
; %bb.197:
	v_mul_lo_u32 v21, v4, s14
	v_mul_lo_u32 v22, v3, s15
	v_mad_u64_u32 v[19:20], null, v3, s14, 0
	s_mov_b32 s28, -1
	s_mov_b32 s29, exec_lo
	s_delay_alu instid0(VALU_DEP_1) | instskip(SKIP_2) | instid1(VALU_DEP_3)
	v_add3_u32 v20, v20, v22, v21
	v_add_co_u32 v21, vcc_lo, s16, v17
	v_add_co_ci_u32_e32 v22, vcc_lo, s17, v18, vcc_lo
	v_lshlrev_b64 v[19:20], 2, v[19:20]
	s_delay_alu instid0(VALU_DEP_1) | instskip(NEXT) | instid1(VALU_DEP_2)
	v_add_co_u32 v19, vcc_lo, s16, v19
	v_add_co_ci_u32_e32 v20, vcc_lo, s17, v20, vcc_lo
	s_clause 0x1
	global_load_b32 v23, v[21:22], off
	global_load_b32 v24, v[19:20], off
	s_waitcnt vmcnt(0)
	v_cmpx_eq_f32_e32 v23, v24
	s_cbranch_execz .LBB943_205
; %bb.198:
	v_add_co_u32 v19, vcc_lo, v19, 4
	v_add_co_ci_u32_e32 v20, vcc_lo, 0, v20, vcc_lo
	v_add_co_u32 v21, vcc_lo, v21, 4
	v_add_co_ci_u32_e32 v22, vcc_lo, 0, v22, vcc_lo
	s_add_u32 s4, s14, -1
	s_addc_u32 s5, s15, -1
	s_mov_b64 s[6:7], 0
	s_mov_b32 s28, 0
                                        ; implicit-def: $sgpr30
	s_set_inst_prefetch_distance 0x1
	s_branch .LBB943_201
	.p2align	6
.LBB943_199:                            ;   in Loop: Header=BB943_201 Depth=1
	global_load_b32 v23, v[21:22], off
	global_load_b32 v24, v[19:20], off
	v_add_co_u32 v19, vcc_lo, v19, 4
	v_add_co_ci_u32_e32 v20, vcc_lo, 0, v20, vcc_lo
	v_add_co_u32 v21, s0, v21, 4
	s_delay_alu instid0(VALU_DEP_1)
	v_add_co_ci_u32_e64 v22, s0, 0, v22, s0
	s_add_u32 s6, s6, 1
	s_addc_u32 s7, s7, 0
	s_and_not1_b32 s0, s30, exec_lo
	s_waitcnt vmcnt(0)
	v_cmp_neq_f32_e32 vcc_lo, v23, v24
	s_and_b32 s30, vcc_lo, exec_lo
	s_delay_alu instid0(SALU_CYCLE_1)
	s_or_b32 s30, s0, s30
.LBB943_200:                            ;   in Loop: Header=BB943_201 Depth=1
	v_dual_mov_b32 v24, s7 :: v_dual_mov_b32 v23, s6
	s_and_b32 s0, exec_lo, s30
	s_delay_alu instid0(SALU_CYCLE_1) | instskip(NEXT) | instid1(SALU_CYCLE_1)
	s_or_b32 s28, s0, s28
	s_and_not1_b32 exec_lo, exec_lo, s28
	s_cbranch_execz .LBB943_204
.LBB943_201:                            ; =>This Inner Loop Header: Depth=1
	s_or_b32 s30, s30, exec_lo
	s_cmp_eq_u64 s[4:5], s[6:7]
	s_cbranch_scc0 .LBB943_199
; %bb.202:                              ;   in Loop: Header=BB943_201 Depth=1
	s_mov_b64 s[6:7], s[14:15]
                                        ; implicit-def: $vgpr19_vgpr20
                                        ; implicit-def: $vgpr21_vgpr22
	s_branch .LBB943_200
.LBB943_203:
                                        ; implicit-def: $sgpr0
                                        ; implicit-def: $vgpr20
	s_cbranch_execnz .LBB943_272
	s_branch .LBB943_363
.LBB943_204:
	s_set_inst_prefetch_distance 0x2
	s_or_b32 exec_lo, exec_lo, s28
	v_cmp_gt_i64_e32 vcc_lo, s[14:15], v[23:24]
	s_or_not1_b32 s28, vcc_lo, exec_lo
.LBB943_205:
	s_or_b32 exec_lo, exec_lo, s29
.LBB943_206:
	v_mul_lo_u32 v21, v8, s14
	v_mul_lo_u32 v22, v7, s15
	v_mad_u64_u32 v[19:20], null, v7, s14, 0
	s_and_not1_b32 vcc_lo, exec_lo, s26
	s_delay_alu instid0(VALU_DEP_1) | instskip(NEXT) | instid1(VALU_DEP_1)
	v_add3_u32 v20, v20, v22, v21
	v_lshlrev_b64 v[19:20], 2, v[19:20]
	s_cbranch_vccnz .LBB943_215
; %bb.207:
	s_delay_alu instid0(VALU_DEP_1) | instskip(NEXT) | instid1(VALU_DEP_2)
	v_add_co_u32 v21, vcc_lo, s16, v19
	v_add_co_ci_u32_e32 v22, vcc_lo, s17, v20, vcc_lo
	v_add_co_u32 v17, vcc_lo, s16, v17
	v_add_co_ci_u32_e32 v18, vcc_lo, s17, v18, vcc_lo
	s_mov_b32 s27, -1
	s_clause 0x1
	global_load_b32 v23, v[21:22], off
	global_load_b32 v24, v[17:18], off
	s_mov_b32 s29, exec_lo
	s_waitcnt vmcnt(0)
	v_cmpx_eq_f32_e32 v23, v24
	s_cbranch_execz .LBB943_214
; %bb.208:
	v_add_co_u32 v17, vcc_lo, v17, 4
	v_add_co_ci_u32_e32 v18, vcc_lo, 0, v18, vcc_lo
	v_add_co_u32 v21, vcc_lo, v21, 4
	v_add_co_ci_u32_e32 v22, vcc_lo, 0, v22, vcc_lo
	s_add_u32 s4, s14, -1
	s_addc_u32 s5, s15, -1
	s_mov_b64 s[6:7], 0
	s_mov_b32 s27, 0
                                        ; implicit-def: $sgpr30
	s_set_inst_prefetch_distance 0x1
	s_branch .LBB943_211
	.p2align	6
.LBB943_209:                            ;   in Loop: Header=BB943_211 Depth=1
	global_load_b32 v23, v[21:22], off
	global_load_b32 v24, v[17:18], off
	v_add_co_u32 v17, vcc_lo, v17, 4
	v_add_co_ci_u32_e32 v18, vcc_lo, 0, v18, vcc_lo
	v_add_co_u32 v21, s0, v21, 4
	s_delay_alu instid0(VALU_DEP_1)
	v_add_co_ci_u32_e64 v22, s0, 0, v22, s0
	s_add_u32 s6, s6, 1
	s_addc_u32 s7, s7, 0
	s_and_not1_b32 s0, s30, exec_lo
	s_waitcnt vmcnt(0)
	v_cmp_neq_f32_e32 vcc_lo, v23, v24
	s_and_b32 s30, vcc_lo, exec_lo
	s_delay_alu instid0(SALU_CYCLE_1)
	s_or_b32 s30, s0, s30
.LBB943_210:                            ;   in Loop: Header=BB943_211 Depth=1
	v_dual_mov_b32 v24, s7 :: v_dual_mov_b32 v23, s6
	s_and_b32 s0, exec_lo, s30
	s_delay_alu instid0(SALU_CYCLE_1) | instskip(NEXT) | instid1(SALU_CYCLE_1)
	s_or_b32 s27, s0, s27
	s_and_not1_b32 exec_lo, exec_lo, s27
	s_cbranch_execz .LBB943_213
.LBB943_211:                            ; =>This Inner Loop Header: Depth=1
	s_or_b32 s30, s30, exec_lo
	s_cmp_eq_u64 s[4:5], s[6:7]
	s_cbranch_scc0 .LBB943_209
; %bb.212:                              ;   in Loop: Header=BB943_211 Depth=1
	s_mov_b64 s[6:7], s[14:15]
                                        ; implicit-def: $vgpr17_vgpr18
                                        ; implicit-def: $vgpr21_vgpr22
	s_branch .LBB943_210
.LBB943_213:
	s_set_inst_prefetch_distance 0x2
	s_or_b32 exec_lo, exec_lo, s27
	v_cmp_gt_i64_e32 vcc_lo, s[14:15], v[23:24]
	s_or_not1_b32 s27, vcc_lo, exec_lo
.LBB943_214:
	s_or_b32 exec_lo, exec_lo, s29
.LBB943_215:
	v_mul_lo_u32 v21, v6, s14
	v_mul_lo_u32 v22, v5, s15
	v_mad_u64_u32 v[17:18], null, v5, s14, 0
	s_mov_b32 s29, 0
	s_and_not1_b32 vcc_lo, exec_lo, s26
	s_mov_b32 s30, 0
	s_delay_alu instid0(VALU_DEP_1) | instskip(NEXT) | instid1(VALU_DEP_1)
	v_add3_u32 v18, v18, v22, v21
	v_lshlrev_b64 v[21:22], 2, v[17:18]
	s_cbranch_vccnz .LBB943_224
; %bb.216:
	s_delay_alu instid0(VALU_DEP_1) | instskip(NEXT) | instid1(VALU_DEP_2)
	v_add_co_u32 v23, vcc_lo, s16, v21
	v_add_co_ci_u32_e32 v24, vcc_lo, s17, v22, vcc_lo
	v_add_co_u32 v17, vcc_lo, s16, v19
	v_add_co_ci_u32_e32 v18, vcc_lo, s17, v20, vcc_lo
	s_mov_b32 s30, -1
	s_clause 0x1
	global_load_b32 v19, v[23:24], off
	global_load_b32 v20, v[17:18], off
	s_mov_b32 s31, exec_lo
	s_waitcnt vmcnt(0)
	v_cmpx_eq_f32_e32 v19, v20
	s_cbranch_execz .LBB943_223
; %bb.217:
	v_add_co_u32 v17, vcc_lo, v17, 4
	v_add_co_ci_u32_e32 v18, vcc_lo, 0, v18, vcc_lo
	v_add_co_u32 v19, vcc_lo, v23, 4
	v_add_co_ci_u32_e32 v20, vcc_lo, 0, v24, vcc_lo
	s_add_u32 s4, s14, -1
	s_addc_u32 s5, s15, -1
	s_mov_b64 s[6:7], 0
	s_mov_b32 s30, 0
                                        ; implicit-def: $sgpr33
	s_set_inst_prefetch_distance 0x1
	s_branch .LBB943_220
	.p2align	6
.LBB943_218:                            ;   in Loop: Header=BB943_220 Depth=1
	global_load_b32 v23, v[19:20], off
	global_load_b32 v24, v[17:18], off
	v_add_co_u32 v17, vcc_lo, v17, 4
	v_add_co_ci_u32_e32 v18, vcc_lo, 0, v18, vcc_lo
	v_add_co_u32 v19, s0, v19, 4
	s_delay_alu instid0(VALU_DEP_1)
	v_add_co_ci_u32_e64 v20, s0, 0, v20, s0
	s_add_u32 s6, s6, 1
	s_addc_u32 s7, s7, 0
	s_and_not1_b32 s0, s33, exec_lo
	s_waitcnt vmcnt(0)
	v_cmp_neq_f32_e32 vcc_lo, v23, v24
	s_and_b32 s33, vcc_lo, exec_lo
	s_delay_alu instid0(SALU_CYCLE_1)
	s_or_b32 s33, s0, s33
.LBB943_219:                            ;   in Loop: Header=BB943_220 Depth=1
	v_dual_mov_b32 v24, s7 :: v_dual_mov_b32 v23, s6
	s_and_b32 s0, exec_lo, s33
	s_delay_alu instid0(SALU_CYCLE_1) | instskip(NEXT) | instid1(SALU_CYCLE_1)
	s_or_b32 s30, s0, s30
	s_and_not1_b32 exec_lo, exec_lo, s30
	s_cbranch_execz .LBB943_222
.LBB943_220:                            ; =>This Inner Loop Header: Depth=1
	s_or_b32 s33, s33, exec_lo
	s_cmp_eq_u64 s[4:5], s[6:7]
	s_cbranch_scc0 .LBB943_218
; %bb.221:                              ;   in Loop: Header=BB943_220 Depth=1
	s_mov_b64 s[6:7], s[14:15]
                                        ; implicit-def: $vgpr17_vgpr18
                                        ; implicit-def: $vgpr19_vgpr20
	s_branch .LBB943_219
.LBB943_222:
	s_set_inst_prefetch_distance 0x2
	s_or_b32 exec_lo, exec_lo, s30
	v_cmp_gt_i64_e32 vcc_lo, s[14:15], v[23:24]
	s_or_not1_b32 s30, vcc_lo, exec_lo
.LBB943_223:
	s_or_b32 exec_lo, exec_lo, s31
.LBB943_224:
	v_mul_lo_u32 v19, v12, s14
	v_mul_lo_u32 v20, v11, s15
	v_mad_u64_u32 v[17:18], null, v11, s14, 0
	s_and_not1_b32 vcc_lo, exec_lo, s26
	s_delay_alu instid0(VALU_DEP_1) | instskip(NEXT) | instid1(VALU_DEP_1)
	v_add3_u32 v18, v18, v20, v19
	v_lshlrev_b64 v[17:18], 2, v[17:18]
	s_cbranch_vccnz .LBB943_233
; %bb.225:
	s_delay_alu instid0(VALU_DEP_1) | instskip(NEXT) | instid1(VALU_DEP_2)
	v_add_co_u32 v23, vcc_lo, s16, v17
	v_add_co_ci_u32_e32 v24, vcc_lo, s17, v18, vcc_lo
	v_add_co_u32 v19, vcc_lo, s16, v21
	v_add_co_ci_u32_e32 v20, vcc_lo, s17, v22, vcc_lo
	s_mov_b32 s29, -1
	s_clause 0x1
	global_load_b32 v21, v[23:24], off
	global_load_b32 v22, v[19:20], off
	s_mov_b32 s31, exec_lo
	s_waitcnt vmcnt(0)
	v_cmpx_eq_f32_e32 v21, v22
	s_cbranch_execz .LBB943_232
; %bb.226:
	v_add_co_u32 v19, vcc_lo, v19, 4
	v_add_co_ci_u32_e32 v20, vcc_lo, 0, v20, vcc_lo
	v_add_co_u32 v21, vcc_lo, v23, 4
	v_add_co_ci_u32_e32 v22, vcc_lo, 0, v24, vcc_lo
	s_add_u32 s4, s14, -1
	s_addc_u32 s5, s15, -1
	s_mov_b64 s[6:7], 0
	s_mov_b32 s29, 0
                                        ; implicit-def: $sgpr33
	s_set_inst_prefetch_distance 0x1
	s_branch .LBB943_229
	.p2align	6
.LBB943_227:                            ;   in Loop: Header=BB943_229 Depth=1
	global_load_b32 v23, v[21:22], off
	global_load_b32 v24, v[19:20], off
	v_add_co_u32 v19, vcc_lo, v19, 4
	v_add_co_ci_u32_e32 v20, vcc_lo, 0, v20, vcc_lo
	v_add_co_u32 v21, s0, v21, 4
	s_delay_alu instid0(VALU_DEP_1)
	v_add_co_ci_u32_e64 v22, s0, 0, v22, s0
	s_add_u32 s6, s6, 1
	s_addc_u32 s7, s7, 0
	s_and_not1_b32 s0, s33, exec_lo
	s_waitcnt vmcnt(0)
	v_cmp_neq_f32_e32 vcc_lo, v23, v24
	s_and_b32 s33, vcc_lo, exec_lo
	s_delay_alu instid0(SALU_CYCLE_1)
	s_or_b32 s33, s0, s33
.LBB943_228:                            ;   in Loop: Header=BB943_229 Depth=1
	v_dual_mov_b32 v24, s7 :: v_dual_mov_b32 v23, s6
	s_and_b32 s0, exec_lo, s33
	s_delay_alu instid0(SALU_CYCLE_1) | instskip(NEXT) | instid1(SALU_CYCLE_1)
	s_or_b32 s29, s0, s29
	s_and_not1_b32 exec_lo, exec_lo, s29
	s_cbranch_execz .LBB943_231
.LBB943_229:                            ; =>This Inner Loop Header: Depth=1
	s_or_b32 s33, s33, exec_lo
	s_cmp_eq_u64 s[4:5], s[6:7]
	s_cbranch_scc0 .LBB943_227
; %bb.230:                              ;   in Loop: Header=BB943_229 Depth=1
	s_mov_b64 s[6:7], s[14:15]
                                        ; implicit-def: $vgpr19_vgpr20
                                        ; implicit-def: $vgpr21_vgpr22
	s_branch .LBB943_228
.LBB943_231:
	s_set_inst_prefetch_distance 0x2
	s_or_b32 exec_lo, exec_lo, s29
	v_cmp_gt_i64_e32 vcc_lo, s[14:15], v[23:24]
	s_or_not1_b32 s29, vcc_lo, exec_lo
.LBB943_232:
	s_or_b32 exec_lo, exec_lo, s31
.LBB943_233:
	v_mul_lo_u32 v21, v10, s14
	v_mul_lo_u32 v22, v9, s15
	v_mad_u64_u32 v[19:20], null, v9, s14, 0
	s_mov_b32 s31, 0
	s_and_not1_b32 vcc_lo, exec_lo, s26
	s_mov_b32 s33, 0
	s_delay_alu instid0(VALU_DEP_1) | instskip(NEXT) | instid1(VALU_DEP_1)
	v_add3_u32 v20, v20, v22, v21
	v_lshlrev_b64 v[21:22], 2, v[19:20]
	s_cbranch_vccnz .LBB943_242
; %bb.234:
	s_delay_alu instid0(VALU_DEP_1) | instskip(NEXT) | instid1(VALU_DEP_2)
	v_add_co_u32 v19, vcc_lo, s16, v21
	v_add_co_ci_u32_e32 v20, vcc_lo, s17, v22, vcc_lo
	v_add_co_u32 v17, vcc_lo, s16, v17
	v_add_co_ci_u32_e32 v18, vcc_lo, s17, v18, vcc_lo
	s_mov_b32 s33, -1
	s_clause 0x1
	global_load_b32 v23, v[19:20], off
	global_load_b32 v24, v[17:18], off
	s_mov_b32 s34, exec_lo
	s_waitcnt vmcnt(0)
	v_cmpx_eq_f32_e32 v23, v24
	s_cbranch_execz .LBB943_241
; %bb.235:
	v_add_co_u32 v17, vcc_lo, v17, 4
	v_add_co_ci_u32_e32 v18, vcc_lo, 0, v18, vcc_lo
	v_add_co_u32 v19, vcc_lo, v19, 4
	v_add_co_ci_u32_e32 v20, vcc_lo, 0, v20, vcc_lo
	s_add_u32 s4, s14, -1
	s_addc_u32 s5, s15, -1
	s_mov_b64 s[6:7], 0
	s_mov_b32 s33, 0
                                        ; implicit-def: $sgpr35
	s_set_inst_prefetch_distance 0x1
	s_branch .LBB943_238
	.p2align	6
.LBB943_236:                            ;   in Loop: Header=BB943_238 Depth=1
	global_load_b32 v23, v[19:20], off
	global_load_b32 v24, v[17:18], off
	v_add_co_u32 v17, vcc_lo, v17, 4
	v_add_co_ci_u32_e32 v18, vcc_lo, 0, v18, vcc_lo
	v_add_co_u32 v19, s0, v19, 4
	s_delay_alu instid0(VALU_DEP_1)
	v_add_co_ci_u32_e64 v20, s0, 0, v20, s0
	s_add_u32 s6, s6, 1
	s_addc_u32 s7, s7, 0
	s_and_not1_b32 s0, s35, exec_lo
	s_waitcnt vmcnt(0)
	v_cmp_neq_f32_e32 vcc_lo, v23, v24
	s_and_b32 s35, vcc_lo, exec_lo
	s_delay_alu instid0(SALU_CYCLE_1)
	s_or_b32 s35, s0, s35
.LBB943_237:                            ;   in Loop: Header=BB943_238 Depth=1
	v_dual_mov_b32 v24, s7 :: v_dual_mov_b32 v23, s6
	s_and_b32 s0, exec_lo, s35
	s_delay_alu instid0(SALU_CYCLE_1) | instskip(NEXT) | instid1(SALU_CYCLE_1)
	s_or_b32 s33, s0, s33
	s_and_not1_b32 exec_lo, exec_lo, s33
	s_cbranch_execz .LBB943_240
.LBB943_238:                            ; =>This Inner Loop Header: Depth=1
	s_or_b32 s35, s35, exec_lo
	s_cmp_eq_u64 s[4:5], s[6:7]
	s_cbranch_scc0 .LBB943_236
; %bb.239:                              ;   in Loop: Header=BB943_238 Depth=1
	s_mov_b64 s[6:7], s[14:15]
                                        ; implicit-def: $vgpr17_vgpr18
                                        ; implicit-def: $vgpr19_vgpr20
	s_branch .LBB943_237
.LBB943_240:
	s_set_inst_prefetch_distance 0x2
	s_or_b32 exec_lo, exec_lo, s33
	v_cmp_gt_i64_e32 vcc_lo, s[14:15], v[23:24]
	s_or_not1_b32 s33, vcc_lo, exec_lo
.LBB943_241:
	s_or_b32 exec_lo, exec_lo, s34
.LBB943_242:
	v_mul_lo_u32 v19, v16, s14
	v_mul_lo_u32 v20, v15, s15
	v_mad_u64_u32 v[17:18], null, v15, s14, 0
	s_and_not1_b32 vcc_lo, exec_lo, s26
	s_delay_alu instid0(VALU_DEP_1) | instskip(NEXT) | instid1(VALU_DEP_1)
	v_add3_u32 v18, v18, v20, v19
	v_lshlrev_b64 v[19:20], 2, v[17:18]
	s_cbranch_vccnz .LBB943_251
; %bb.243:
	s_delay_alu instid0(VALU_DEP_1) | instskip(NEXT) | instid1(VALU_DEP_2)
	v_add_co_u32 v23, vcc_lo, s16, v19
	v_add_co_ci_u32_e32 v24, vcc_lo, s17, v20, vcc_lo
	v_add_co_u32 v17, vcc_lo, s16, v21
	v_add_co_ci_u32_e32 v18, vcc_lo, s17, v22, vcc_lo
	s_mov_b32 s31, -1
	s_clause 0x1
	global_load_b32 v21, v[23:24], off
	global_load_b32 v22, v[17:18], off
	s_mov_b32 s34, exec_lo
	s_waitcnt vmcnt(0)
	v_cmpx_eq_f32_e32 v21, v22
	s_cbranch_execz .LBB943_250
; %bb.244:
	v_add_co_u32 v17, vcc_lo, v17, 4
	v_add_co_ci_u32_e32 v18, vcc_lo, 0, v18, vcc_lo
	v_add_co_u32 v21, vcc_lo, v23, 4
	v_add_co_ci_u32_e32 v22, vcc_lo, 0, v24, vcc_lo
	s_add_u32 s4, s14, -1
	s_addc_u32 s5, s15, -1
	s_mov_b64 s[6:7], 0
	s_mov_b32 s31, 0
                                        ; implicit-def: $sgpr35
	s_set_inst_prefetch_distance 0x1
	s_branch .LBB943_247
	.p2align	6
.LBB943_245:                            ;   in Loop: Header=BB943_247 Depth=1
	global_load_b32 v23, v[21:22], off
	global_load_b32 v24, v[17:18], off
	v_add_co_u32 v17, vcc_lo, v17, 4
	v_add_co_ci_u32_e32 v18, vcc_lo, 0, v18, vcc_lo
	v_add_co_u32 v21, s0, v21, 4
	s_delay_alu instid0(VALU_DEP_1)
	v_add_co_ci_u32_e64 v22, s0, 0, v22, s0
	s_add_u32 s6, s6, 1
	s_addc_u32 s7, s7, 0
	s_and_not1_b32 s0, s35, exec_lo
	s_waitcnt vmcnt(0)
	v_cmp_neq_f32_e32 vcc_lo, v23, v24
	s_and_b32 s35, vcc_lo, exec_lo
	s_delay_alu instid0(SALU_CYCLE_1)
	s_or_b32 s35, s0, s35
.LBB943_246:                            ;   in Loop: Header=BB943_247 Depth=1
	v_dual_mov_b32 v24, s7 :: v_dual_mov_b32 v23, s6
	s_and_b32 s0, exec_lo, s35
	s_delay_alu instid0(SALU_CYCLE_1) | instskip(NEXT) | instid1(SALU_CYCLE_1)
	s_or_b32 s31, s0, s31
	s_and_not1_b32 exec_lo, exec_lo, s31
	s_cbranch_execz .LBB943_249
.LBB943_247:                            ; =>This Inner Loop Header: Depth=1
	s_or_b32 s35, s35, exec_lo
	s_cmp_eq_u64 s[4:5], s[6:7]
	s_cbranch_scc0 .LBB943_245
; %bb.248:                              ;   in Loop: Header=BB943_247 Depth=1
	s_mov_b64 s[6:7], s[14:15]
                                        ; implicit-def: $vgpr17_vgpr18
                                        ; implicit-def: $vgpr21_vgpr22
	s_branch .LBB943_246
.LBB943_249:
	s_set_inst_prefetch_distance 0x2
	s_or_b32 exec_lo, exec_lo, s31
	v_cmp_gt_i64_e32 vcc_lo, s[14:15], v[23:24]
	s_or_not1_b32 s31, vcc_lo, exec_lo
.LBB943_250:
	s_or_b32 exec_lo, exec_lo, s34
.LBB943_251:
	v_mul_lo_u32 v21, v14, s14
	v_mul_lo_u32 v22, v13, s15
	v_mad_u64_u32 v[17:18], null, v13, s14, 0
	s_and_not1_b32 vcc_lo, exec_lo, s26
	s_mov_b32 s0, 0
	s_delay_alu instid0(VALU_DEP_1)
	v_add3_u32 v18, v18, v22, v21
	s_cbranch_vccnz .LBB943_260
; %bb.252:
	s_delay_alu instid0(VALU_DEP_1) | instskip(SKIP_2) | instid1(VALU_DEP_1)
	v_lshlrev_b64 v[21:22], 2, v[17:18]
	s_mov_b32 s0, -1
	s_mov_b32 s34, exec_lo
	v_add_co_u32 v21, vcc_lo, s16, v21
	s_delay_alu instid0(VALU_DEP_2)
	v_add_co_ci_u32_e32 v22, vcc_lo, s17, v22, vcc_lo
	v_add_co_u32 v19, vcc_lo, s16, v19
	v_add_co_ci_u32_e32 v20, vcc_lo, s17, v20, vcc_lo
	s_clause 0x1
	global_load_b32 v23, v[21:22], off
	global_load_b32 v24, v[19:20], off
	s_waitcnt vmcnt(0)
	v_cmpx_eq_f32_e32 v23, v24
	s_cbranch_execz .LBB943_259
; %bb.253:
	v_add_co_u32 v19, vcc_lo, v19, 4
	v_add_co_ci_u32_e32 v20, vcc_lo, 0, v20, vcc_lo
	v_add_co_u32 v21, vcc_lo, v21, 4
	v_add_co_ci_u32_e32 v22, vcc_lo, 0, v22, vcc_lo
	s_add_u32 s4, s14, -1
	s_addc_u32 s5, s15, -1
	s_mov_b64 s[6:7], 0
	s_mov_b32 s35, 0
                                        ; implicit-def: $sgpr36
	s_set_inst_prefetch_distance 0x1
	s_branch .LBB943_256
	.p2align	6
.LBB943_254:                            ;   in Loop: Header=BB943_256 Depth=1
	global_load_b32 v23, v[21:22], off
	global_load_b32 v24, v[19:20], off
	v_add_co_u32 v19, vcc_lo, v19, 4
	v_add_co_ci_u32_e32 v20, vcc_lo, 0, v20, vcc_lo
	v_add_co_u32 v21, s0, v21, 4
	s_delay_alu instid0(VALU_DEP_1)
	v_add_co_ci_u32_e64 v22, s0, 0, v22, s0
	s_add_u32 s6, s6, 1
	s_addc_u32 s7, s7, 0
	s_and_not1_b32 s0, s36, exec_lo
	s_waitcnt vmcnt(0)
	v_cmp_neq_f32_e32 vcc_lo, v23, v24
	s_and_b32 s36, vcc_lo, exec_lo
	s_delay_alu instid0(SALU_CYCLE_1)
	s_or_b32 s36, s0, s36
.LBB943_255:                            ;   in Loop: Header=BB943_256 Depth=1
	v_dual_mov_b32 v24, s7 :: v_dual_mov_b32 v23, s6
	s_and_b32 s0, exec_lo, s36
	s_delay_alu instid0(SALU_CYCLE_1) | instskip(NEXT) | instid1(SALU_CYCLE_1)
	s_or_b32 s35, s0, s35
	s_and_not1_b32 exec_lo, exec_lo, s35
	s_cbranch_execz .LBB943_258
.LBB943_256:                            ; =>This Inner Loop Header: Depth=1
	s_or_b32 s36, s36, exec_lo
	s_cmp_eq_u64 s[4:5], s[6:7]
	s_cbranch_scc0 .LBB943_254
; %bb.257:                              ;   in Loop: Header=BB943_256 Depth=1
	s_mov_b64 s[6:7], s[14:15]
                                        ; implicit-def: $vgpr19_vgpr20
                                        ; implicit-def: $vgpr21_vgpr22
	s_branch .LBB943_255
.LBB943_258:
	s_set_inst_prefetch_distance 0x2
	s_or_b32 exec_lo, exec_lo, s35
	v_cmp_gt_i64_e32 vcc_lo, s[14:15], v[23:24]
	s_or_not1_b32 s0, vcc_lo, exec_lo
.LBB943_259:
	s_or_b32 exec_lo, exec_lo, s34
.LBB943_260:
	v_cndmask_b32_e64 v20, 0, 1, s33
	v_cndmask_b32_e64 v21, 0, 1, s30
	;; [unrolled: 1-line block ×7, first 2 shown]
	v_lshlrev_b16 v21, 8, v21
	v_lshlrev_b16 v22, 8, v22
	;; [unrolled: 1-line block ×4, first 2 shown]
	s_waitcnt lgkmcnt(0)
	v_or_b32_e32 v21, v24, v21
	v_or_b32_e32 v22, v25, v22
	;; [unrolled: 1-line block ×4, first 2 shown]
	s_barrier
	v_and_b32_e32 v20, 0xffff, v21
	v_lshlrev_b32_e32 v21, 16, v22
	v_and_b32_e32 v22, 0xffff, v23
	v_lshlrev_b32_e32 v19, 16, v19
	buffer_gl0_inv
                                        ; implicit-def: $sgpr0
	v_or_b32_e32 v20, v20, v21
	v_or_b32_e32 v19, v22, v19
	s_and_saveexec_b32 s4, s3
	s_delay_alu instid0(SALU_CYCLE_1)
	s_xor_b32 s27, exec_lo, s4
	s_cbranch_execz .LBB943_271
; %bb.261:
	s_and_not1_b32 vcc_lo, exec_lo, s26
	s_mov_b32 s0, 0
	s_cbranch_vccnz .LBB943_270
; %bb.262:
	v_add_nc_u32_e32 v21, -8, v39
	v_lshlrev_b64 v[17:18], 2, v[17:18]
	s_mov_b32 s0, -1
	s_mov_b32 s28, exec_lo
	ds_load_b64 v[21:22], v21
	s_waitcnt lgkmcnt(0)
	v_mul_lo_u32 v24, v22, s14
	v_mul_lo_u32 v25, v21, s15
	v_mad_u64_u32 v[22:23], null, v21, s14, 0
	s_delay_alu instid0(VALU_DEP_1) | instskip(NEXT) | instid1(VALU_DEP_1)
	v_add3_u32 v23, v23, v25, v24
	v_lshlrev_b64 v[21:22], 2, v[22:23]
	s_delay_alu instid0(VALU_DEP_1) | instskip(NEXT) | instid1(VALU_DEP_2)
	v_add_co_u32 v21, vcc_lo, s16, v21
	v_add_co_ci_u32_e32 v22, vcc_lo, s17, v22, vcc_lo
	v_add_co_u32 v17, vcc_lo, s16, v17
	v_add_co_ci_u32_e32 v18, vcc_lo, s17, v18, vcc_lo
	s_clause 0x1
	global_load_b32 v23, v[21:22], off
	global_load_b32 v24, v[17:18], off
	s_waitcnt vmcnt(0)
	v_cmpx_eq_f32_e32 v23, v24
	s_cbranch_execz .LBB943_269
; %bb.263:
	v_add_co_u32 v17, vcc_lo, v17, 4
	v_add_co_ci_u32_e32 v18, vcc_lo, 0, v18, vcc_lo
	v_add_co_u32 v21, vcc_lo, v21, 4
	v_add_co_ci_u32_e32 v22, vcc_lo, 0, v22, vcc_lo
	s_add_u32 s4, s14, -1
	s_addc_u32 s5, s15, -1
	s_mov_b64 s[6:7], 0
	s_mov_b32 s29, 0
                                        ; implicit-def: $sgpr30
	s_set_inst_prefetch_distance 0x1
	s_branch .LBB943_266
	.p2align	6
.LBB943_264:                            ;   in Loop: Header=BB943_266 Depth=1
	global_load_b32 v23, v[21:22], off
	global_load_b32 v24, v[17:18], off
	v_add_co_u32 v17, vcc_lo, v17, 4
	v_add_co_ci_u32_e32 v18, vcc_lo, 0, v18, vcc_lo
	v_add_co_u32 v21, s0, v21, 4
	s_delay_alu instid0(VALU_DEP_1)
	v_add_co_ci_u32_e64 v22, s0, 0, v22, s0
	s_add_u32 s6, s6, 1
	s_addc_u32 s7, s7, 0
	s_and_not1_b32 s0, s30, exec_lo
	s_waitcnt vmcnt(0)
	v_cmp_neq_f32_e32 vcc_lo, v23, v24
	s_and_b32 s30, vcc_lo, exec_lo
	s_delay_alu instid0(SALU_CYCLE_1)
	s_or_b32 s30, s0, s30
.LBB943_265:                            ;   in Loop: Header=BB943_266 Depth=1
	v_dual_mov_b32 v24, s7 :: v_dual_mov_b32 v23, s6
	s_and_b32 s0, exec_lo, s30
	s_delay_alu instid0(SALU_CYCLE_1) | instskip(NEXT) | instid1(SALU_CYCLE_1)
	s_or_b32 s29, s0, s29
	s_and_not1_b32 exec_lo, exec_lo, s29
	s_cbranch_execz .LBB943_268
.LBB943_266:                            ; =>This Inner Loop Header: Depth=1
	s_or_b32 s30, s30, exec_lo
	s_cmp_eq_u64 s[4:5], s[6:7]
	s_cbranch_scc0 .LBB943_264
; %bb.267:                              ;   in Loop: Header=BB943_266 Depth=1
	s_mov_b64 s[6:7], s[14:15]
                                        ; implicit-def: $vgpr17_vgpr18
                                        ; implicit-def: $vgpr21_vgpr22
	s_branch .LBB943_265
.LBB943_268:
	s_set_inst_prefetch_distance 0x2
	s_or_b32 exec_lo, exec_lo, s29
	v_cmp_gt_i64_e32 vcc_lo, s[14:15], v[23:24]
	s_or_not1_b32 s0, vcc_lo, exec_lo
.LBB943_269:
	s_or_b32 exec_lo, exec_lo, s28
.LBB943_270:
	s_delay_alu instid0(SALU_CYCLE_1)
	s_and_b32 s0, s0, exec_lo
	s_or_b32 s25, s25, exec_lo
.LBB943_271:
	s_or_b32 exec_lo, exec_lo, s27
	s_branch .LBB943_363
.LBB943_272:
	s_waitcnt vmcnt(0) lgkmcnt(1)
	v_or_b32_e32 v17, 7, v39
	s_mov_b32 s27, 0
	s_mov_b32 s28, 0
	s_mov_b32 s29, exec_lo
	s_delay_alu instid0(VALU_DEP_1)
	v_cmpx_gt_u32_e64 s12, v17
	s_cbranch_execz .LBB943_283
; %bb.273:
	s_and_not1_b32 vcc_lo, exec_lo, s26
	s_mov_b32 s0, 0
	s_cbranch_vccnz .LBB943_282
; %bb.274:
	v_mul_lo_u32 v21, v2, s14
	v_mul_lo_u32 v22, v1, s15
	v_mad_u64_u32 v[17:18], null, v1, s14, 0
	v_mul_lo_u32 v23, v4, s14
	v_mul_lo_u32 v24, v3, s15
	v_mad_u64_u32 v[19:20], null, v3, s14, 0
	s_mov_b32 s0, -1
	s_mov_b32 s28, exec_lo
	s_delay_alu instid0(VALU_DEP_4) | instskip(NEXT) | instid1(VALU_DEP_2)
	v_add3_u32 v18, v18, v22, v21
	v_add3_u32 v20, v20, v24, v23
	s_delay_alu instid0(VALU_DEP_2) | instskip(NEXT) | instid1(VALU_DEP_2)
	v_lshlrev_b64 v[17:18], 2, v[17:18]
	v_lshlrev_b64 v[21:22], 2, v[19:20]
	s_delay_alu instid0(VALU_DEP_2) | instskip(NEXT) | instid1(VALU_DEP_3)
	v_add_co_u32 v19, vcc_lo, s16, v17
	v_add_co_ci_u32_e32 v20, vcc_lo, s17, v18, vcc_lo
	s_delay_alu instid0(VALU_DEP_3) | instskip(NEXT) | instid1(VALU_DEP_4)
	v_add_co_u32 v17, vcc_lo, s16, v21
	v_add_co_ci_u32_e32 v18, vcc_lo, s17, v22, vcc_lo
	s_clause 0x1
	global_load_b32 v21, v[19:20], off
	global_load_b32 v22, v[17:18], off
	s_waitcnt vmcnt(0)
	v_cmpx_eq_f32_e32 v21, v22
	s_cbranch_execz .LBB943_281
; %bb.275:
	v_add_co_u32 v17, vcc_lo, v17, 4
	v_add_co_ci_u32_e32 v18, vcc_lo, 0, v18, vcc_lo
	v_add_co_u32 v19, vcc_lo, v19, 4
	v_add_co_ci_u32_e32 v20, vcc_lo, 0, v20, vcc_lo
	s_add_u32 s4, s14, -1
	s_addc_u32 s5, s15, -1
	s_mov_b64 s[6:7], 0
	s_mov_b32 s30, 0
                                        ; implicit-def: $sgpr31
	s_set_inst_prefetch_distance 0x1
	s_branch .LBB943_278
	.p2align	6
.LBB943_276:                            ;   in Loop: Header=BB943_278 Depth=1
	global_load_b32 v21, v[19:20], off
	global_load_b32 v22, v[17:18], off
	v_add_co_u32 v17, vcc_lo, v17, 4
	v_add_co_ci_u32_e32 v18, vcc_lo, 0, v18, vcc_lo
	v_add_co_u32 v19, s0, v19, 4
	s_delay_alu instid0(VALU_DEP_1)
	v_add_co_ci_u32_e64 v20, s0, 0, v20, s0
	s_add_u32 s6, s6, 1
	s_addc_u32 s7, s7, 0
	s_and_not1_b32 s0, s31, exec_lo
	s_waitcnt vmcnt(0)
	v_cmp_neq_f32_e32 vcc_lo, v21, v22
	s_and_b32 s31, vcc_lo, exec_lo
	s_delay_alu instid0(SALU_CYCLE_1)
	s_or_b32 s31, s0, s31
.LBB943_277:                            ;   in Loop: Header=BB943_278 Depth=1
	v_dual_mov_b32 v22, s7 :: v_dual_mov_b32 v21, s6
	s_and_b32 s0, exec_lo, s31
	s_delay_alu instid0(SALU_CYCLE_1) | instskip(NEXT) | instid1(SALU_CYCLE_1)
	s_or_b32 s30, s0, s30
	s_and_not1_b32 exec_lo, exec_lo, s30
	s_cbranch_execz .LBB943_280
.LBB943_278:                            ; =>This Inner Loop Header: Depth=1
	s_or_b32 s31, s31, exec_lo
	s_cmp_eq_u64 s[4:5], s[6:7]
	s_cbranch_scc0 .LBB943_276
; %bb.279:                              ;   in Loop: Header=BB943_278 Depth=1
	s_mov_b64 s[6:7], s[14:15]
                                        ; implicit-def: $vgpr17_vgpr18
                                        ; implicit-def: $vgpr19_vgpr20
	s_branch .LBB943_277
.LBB943_280:
	s_set_inst_prefetch_distance 0x2
	s_or_b32 exec_lo, exec_lo, s30
	v_cmp_gt_i64_e32 vcc_lo, s[14:15], v[21:22]
	s_or_not1_b32 s0, vcc_lo, exec_lo
.LBB943_281:
	s_or_b32 exec_lo, exec_lo, s28
.LBB943_282:
	s_delay_alu instid0(SALU_CYCLE_1)
	s_and_b32 s28, s0, exec_lo
.LBB943_283:
	s_or_b32 exec_lo, exec_lo, s29
	v_or_b32_e32 v17, 6, v39
	s_mov_b32 s29, exec_lo
	s_delay_alu instid0(VALU_DEP_1)
	v_cmpx_gt_u32_e64 s12, v17
	s_cbranch_execz .LBB943_294
; %bb.284:
	s_and_not1_b32 vcc_lo, exec_lo, s26
	s_mov_b32 s0, 0
	s_cbranch_vccnz .LBB943_293
; %bb.285:
	v_mul_lo_u32 v21, v8, s14
	v_mul_lo_u32 v22, v7, s15
	v_mad_u64_u32 v[17:18], null, v7, s14, 0
	v_mul_lo_u32 v23, v2, s14
	v_mul_lo_u32 v24, v1, s15
	v_mad_u64_u32 v[19:20], null, v1, s14, 0
	s_mov_b32 s0, -1
	s_mov_b32 s27, exec_lo
	s_delay_alu instid0(VALU_DEP_4) | instskip(NEXT) | instid1(VALU_DEP_2)
	v_add3_u32 v18, v18, v22, v21
	v_add3_u32 v20, v20, v24, v23
	s_delay_alu instid0(VALU_DEP_2) | instskip(NEXT) | instid1(VALU_DEP_2)
	v_lshlrev_b64 v[17:18], 2, v[17:18]
	v_lshlrev_b64 v[21:22], 2, v[19:20]
	s_delay_alu instid0(VALU_DEP_2) | instskip(NEXT) | instid1(VALU_DEP_3)
	v_add_co_u32 v19, vcc_lo, s16, v17
	v_add_co_ci_u32_e32 v20, vcc_lo, s17, v18, vcc_lo
	s_delay_alu instid0(VALU_DEP_3) | instskip(NEXT) | instid1(VALU_DEP_4)
	v_add_co_u32 v17, vcc_lo, s16, v21
	v_add_co_ci_u32_e32 v18, vcc_lo, s17, v22, vcc_lo
	s_clause 0x1
	global_load_b32 v21, v[19:20], off
	global_load_b32 v22, v[17:18], off
	s_waitcnt vmcnt(0)
	v_cmpx_eq_f32_e32 v21, v22
	s_cbranch_execz .LBB943_292
; %bb.286:
	v_add_co_u32 v17, vcc_lo, v17, 4
	v_add_co_ci_u32_e32 v18, vcc_lo, 0, v18, vcc_lo
	v_add_co_u32 v19, vcc_lo, v19, 4
	v_add_co_ci_u32_e32 v20, vcc_lo, 0, v20, vcc_lo
	s_add_u32 s4, s14, -1
	s_addc_u32 s5, s15, -1
	s_mov_b64 s[6:7], 0
	s_mov_b32 s30, 0
                                        ; implicit-def: $sgpr31
	s_set_inst_prefetch_distance 0x1
	s_branch .LBB943_289
	.p2align	6
.LBB943_287:                            ;   in Loop: Header=BB943_289 Depth=1
	global_load_b32 v21, v[19:20], off
	global_load_b32 v22, v[17:18], off
	v_add_co_u32 v17, vcc_lo, v17, 4
	v_add_co_ci_u32_e32 v18, vcc_lo, 0, v18, vcc_lo
	v_add_co_u32 v19, s0, v19, 4
	s_delay_alu instid0(VALU_DEP_1)
	v_add_co_ci_u32_e64 v20, s0, 0, v20, s0
	s_add_u32 s6, s6, 1
	s_addc_u32 s7, s7, 0
	s_and_not1_b32 s0, s31, exec_lo
	s_waitcnt vmcnt(0)
	v_cmp_neq_f32_e32 vcc_lo, v21, v22
	s_and_b32 s31, vcc_lo, exec_lo
	s_delay_alu instid0(SALU_CYCLE_1)
	s_or_b32 s31, s0, s31
.LBB943_288:                            ;   in Loop: Header=BB943_289 Depth=1
	v_dual_mov_b32 v22, s7 :: v_dual_mov_b32 v21, s6
	s_and_b32 s0, exec_lo, s31
	s_delay_alu instid0(SALU_CYCLE_1) | instskip(NEXT) | instid1(SALU_CYCLE_1)
	s_or_b32 s30, s0, s30
	s_and_not1_b32 exec_lo, exec_lo, s30
	s_cbranch_execz .LBB943_291
.LBB943_289:                            ; =>This Inner Loop Header: Depth=1
	s_or_b32 s31, s31, exec_lo
	s_cmp_eq_u64 s[4:5], s[6:7]
	s_cbranch_scc0 .LBB943_287
; %bb.290:                              ;   in Loop: Header=BB943_289 Depth=1
	s_mov_b64 s[6:7], s[14:15]
                                        ; implicit-def: $vgpr17_vgpr18
                                        ; implicit-def: $vgpr19_vgpr20
	s_branch .LBB943_288
.LBB943_291:
	s_set_inst_prefetch_distance 0x2
	s_or_b32 exec_lo, exec_lo, s30
	v_cmp_gt_i64_e32 vcc_lo, s[14:15], v[21:22]
	s_or_not1_b32 s0, vcc_lo, exec_lo
.LBB943_292:
	s_or_b32 exec_lo, exec_lo, s27
.LBB943_293:
	s_delay_alu instid0(SALU_CYCLE_1)
	s_and_b32 s27, s0, exec_lo
.LBB943_294:
	s_or_b32 exec_lo, exec_lo, s29
	v_or_b32_e32 v17, 5, v39
	s_mov_b32 s29, 0
	s_mov_b32 s30, 0
	s_mov_b32 s31, exec_lo
	s_delay_alu instid0(VALU_DEP_1)
	v_cmpx_gt_u32_e64 s12, v17
	s_cbranch_execz .LBB943_305
; %bb.295:
	s_and_not1_b32 vcc_lo, exec_lo, s26
	s_mov_b32 s0, 0
	s_cbranch_vccnz .LBB943_304
; %bb.296:
	v_mul_lo_u32 v21, v6, s14
	v_mul_lo_u32 v22, v5, s15
	v_mad_u64_u32 v[17:18], null, v5, s14, 0
	v_mul_lo_u32 v23, v8, s14
	v_mul_lo_u32 v24, v7, s15
	v_mad_u64_u32 v[19:20], null, v7, s14, 0
	s_mov_b32 s0, -1
	s_mov_b32 s30, exec_lo
	s_delay_alu instid0(VALU_DEP_4) | instskip(NEXT) | instid1(VALU_DEP_2)
	v_add3_u32 v18, v18, v22, v21
	v_add3_u32 v20, v20, v24, v23
	s_delay_alu instid0(VALU_DEP_2) | instskip(NEXT) | instid1(VALU_DEP_2)
	v_lshlrev_b64 v[17:18], 2, v[17:18]
	v_lshlrev_b64 v[21:22], 2, v[19:20]
	s_delay_alu instid0(VALU_DEP_2) | instskip(NEXT) | instid1(VALU_DEP_3)
	v_add_co_u32 v19, vcc_lo, s16, v17
	v_add_co_ci_u32_e32 v20, vcc_lo, s17, v18, vcc_lo
	s_delay_alu instid0(VALU_DEP_3) | instskip(NEXT) | instid1(VALU_DEP_4)
	v_add_co_u32 v17, vcc_lo, s16, v21
	v_add_co_ci_u32_e32 v18, vcc_lo, s17, v22, vcc_lo
	s_clause 0x1
	global_load_b32 v21, v[19:20], off
	global_load_b32 v22, v[17:18], off
	s_waitcnt vmcnt(0)
	v_cmpx_eq_f32_e32 v21, v22
	s_cbranch_execz .LBB943_303
; %bb.297:
	v_add_co_u32 v17, vcc_lo, v17, 4
	v_add_co_ci_u32_e32 v18, vcc_lo, 0, v18, vcc_lo
	v_add_co_u32 v19, vcc_lo, v19, 4
	v_add_co_ci_u32_e32 v20, vcc_lo, 0, v20, vcc_lo
	s_add_u32 s4, s14, -1
	s_addc_u32 s5, s15, -1
	s_mov_b64 s[6:7], 0
	s_mov_b32 s33, 0
                                        ; implicit-def: $sgpr34
	s_set_inst_prefetch_distance 0x1
	s_branch .LBB943_300
	.p2align	6
.LBB943_298:                            ;   in Loop: Header=BB943_300 Depth=1
	global_load_b32 v21, v[19:20], off
	global_load_b32 v22, v[17:18], off
	v_add_co_u32 v17, vcc_lo, v17, 4
	v_add_co_ci_u32_e32 v18, vcc_lo, 0, v18, vcc_lo
	v_add_co_u32 v19, s0, v19, 4
	s_delay_alu instid0(VALU_DEP_1)
	v_add_co_ci_u32_e64 v20, s0, 0, v20, s0
	s_add_u32 s6, s6, 1
	s_addc_u32 s7, s7, 0
	s_and_not1_b32 s0, s34, exec_lo
	s_waitcnt vmcnt(0)
	v_cmp_neq_f32_e32 vcc_lo, v21, v22
	s_and_b32 s34, vcc_lo, exec_lo
	s_delay_alu instid0(SALU_CYCLE_1)
	s_or_b32 s34, s0, s34
.LBB943_299:                            ;   in Loop: Header=BB943_300 Depth=1
	v_dual_mov_b32 v22, s7 :: v_dual_mov_b32 v21, s6
	s_and_b32 s0, exec_lo, s34
	s_delay_alu instid0(SALU_CYCLE_1) | instskip(NEXT) | instid1(SALU_CYCLE_1)
	s_or_b32 s33, s0, s33
	s_and_not1_b32 exec_lo, exec_lo, s33
	s_cbranch_execz .LBB943_302
.LBB943_300:                            ; =>This Inner Loop Header: Depth=1
	s_or_b32 s34, s34, exec_lo
	s_cmp_eq_u64 s[4:5], s[6:7]
	s_cbranch_scc0 .LBB943_298
; %bb.301:                              ;   in Loop: Header=BB943_300 Depth=1
	s_mov_b64 s[6:7], s[14:15]
                                        ; implicit-def: $vgpr17_vgpr18
                                        ; implicit-def: $vgpr19_vgpr20
	s_branch .LBB943_299
.LBB943_302:
	s_set_inst_prefetch_distance 0x2
	s_or_b32 exec_lo, exec_lo, s33
	v_cmp_gt_i64_e32 vcc_lo, s[14:15], v[21:22]
	s_or_not1_b32 s0, vcc_lo, exec_lo
.LBB943_303:
	s_or_b32 exec_lo, exec_lo, s30
.LBB943_304:
	s_delay_alu instid0(SALU_CYCLE_1)
	s_and_b32 s30, s0, exec_lo
.LBB943_305:
	s_or_b32 exec_lo, exec_lo, s31
	v_or_b32_e32 v17, 4, v39
	s_mov_b32 s31, exec_lo
	s_delay_alu instid0(VALU_DEP_1)
	v_cmpx_gt_u32_e64 s12, v17
	s_cbranch_execz .LBB943_316
; %bb.306:
	s_and_not1_b32 vcc_lo, exec_lo, s26
	s_mov_b32 s0, 0
	s_cbranch_vccnz .LBB943_315
; %bb.307:
	v_mul_lo_u32 v21, v12, s14
	v_mul_lo_u32 v22, v11, s15
	v_mad_u64_u32 v[17:18], null, v11, s14, 0
	v_mul_lo_u32 v23, v6, s14
	v_mul_lo_u32 v24, v5, s15
	v_mad_u64_u32 v[19:20], null, v5, s14, 0
	s_mov_b32 s0, -1
	s_mov_b32 s29, exec_lo
	s_delay_alu instid0(VALU_DEP_4) | instskip(NEXT) | instid1(VALU_DEP_2)
	v_add3_u32 v18, v18, v22, v21
	v_add3_u32 v20, v20, v24, v23
	s_delay_alu instid0(VALU_DEP_2) | instskip(NEXT) | instid1(VALU_DEP_2)
	v_lshlrev_b64 v[17:18], 2, v[17:18]
	v_lshlrev_b64 v[21:22], 2, v[19:20]
	s_delay_alu instid0(VALU_DEP_2) | instskip(NEXT) | instid1(VALU_DEP_3)
	v_add_co_u32 v19, vcc_lo, s16, v17
	v_add_co_ci_u32_e32 v20, vcc_lo, s17, v18, vcc_lo
	s_delay_alu instid0(VALU_DEP_3) | instskip(NEXT) | instid1(VALU_DEP_4)
	v_add_co_u32 v17, vcc_lo, s16, v21
	v_add_co_ci_u32_e32 v18, vcc_lo, s17, v22, vcc_lo
	s_clause 0x1
	global_load_b32 v21, v[19:20], off
	global_load_b32 v22, v[17:18], off
	s_waitcnt vmcnt(0)
	v_cmpx_eq_f32_e32 v21, v22
	s_cbranch_execz .LBB943_314
; %bb.308:
	v_add_co_u32 v17, vcc_lo, v17, 4
	v_add_co_ci_u32_e32 v18, vcc_lo, 0, v18, vcc_lo
	v_add_co_u32 v19, vcc_lo, v19, 4
	v_add_co_ci_u32_e32 v20, vcc_lo, 0, v20, vcc_lo
	s_add_u32 s4, s14, -1
	s_addc_u32 s5, s15, -1
	s_mov_b64 s[6:7], 0
	s_mov_b32 s33, 0
                                        ; implicit-def: $sgpr34
	s_set_inst_prefetch_distance 0x1
	s_branch .LBB943_311
	.p2align	6
.LBB943_309:                            ;   in Loop: Header=BB943_311 Depth=1
	global_load_b32 v21, v[19:20], off
	global_load_b32 v22, v[17:18], off
	v_add_co_u32 v17, vcc_lo, v17, 4
	v_add_co_ci_u32_e32 v18, vcc_lo, 0, v18, vcc_lo
	v_add_co_u32 v19, s0, v19, 4
	s_delay_alu instid0(VALU_DEP_1)
	v_add_co_ci_u32_e64 v20, s0, 0, v20, s0
	s_add_u32 s6, s6, 1
	s_addc_u32 s7, s7, 0
	s_and_not1_b32 s0, s34, exec_lo
	s_waitcnt vmcnt(0)
	v_cmp_neq_f32_e32 vcc_lo, v21, v22
	s_and_b32 s34, vcc_lo, exec_lo
	s_delay_alu instid0(SALU_CYCLE_1)
	s_or_b32 s34, s0, s34
.LBB943_310:                            ;   in Loop: Header=BB943_311 Depth=1
	v_dual_mov_b32 v22, s7 :: v_dual_mov_b32 v21, s6
	s_and_b32 s0, exec_lo, s34
	s_delay_alu instid0(SALU_CYCLE_1) | instskip(NEXT) | instid1(SALU_CYCLE_1)
	s_or_b32 s33, s0, s33
	s_and_not1_b32 exec_lo, exec_lo, s33
	s_cbranch_execz .LBB943_313
.LBB943_311:                            ; =>This Inner Loop Header: Depth=1
	s_or_b32 s34, s34, exec_lo
	s_cmp_eq_u64 s[4:5], s[6:7]
	s_cbranch_scc0 .LBB943_309
; %bb.312:                              ;   in Loop: Header=BB943_311 Depth=1
	s_mov_b64 s[6:7], s[14:15]
                                        ; implicit-def: $vgpr17_vgpr18
                                        ; implicit-def: $vgpr19_vgpr20
	s_branch .LBB943_310
.LBB943_313:
	s_set_inst_prefetch_distance 0x2
	s_or_b32 exec_lo, exec_lo, s33
	v_cmp_gt_i64_e32 vcc_lo, s[14:15], v[21:22]
	s_or_not1_b32 s0, vcc_lo, exec_lo
.LBB943_314:
	s_or_b32 exec_lo, exec_lo, s29
.LBB943_315:
	s_delay_alu instid0(SALU_CYCLE_1)
	s_and_b32 s29, s0, exec_lo
.LBB943_316:
	s_or_b32 exec_lo, exec_lo, s31
	v_or_b32_e32 v17, 3, v39
	s_mov_b32 s33, 0
	s_mov_b32 s31, 0
	s_mov_b32 s34, exec_lo
	s_delay_alu instid0(VALU_DEP_1)
	v_cmpx_gt_u32_e64 s12, v17
	s_cbranch_execz .LBB943_327
; %bb.317:
	s_and_not1_b32 vcc_lo, exec_lo, s26
	s_mov_b32 s0, 0
	s_cbranch_vccnz .LBB943_326
; %bb.318:
	v_mul_lo_u32 v21, v10, s14
	v_mul_lo_u32 v22, v9, s15
	v_mad_u64_u32 v[17:18], null, v9, s14, 0
	v_mul_lo_u32 v23, v12, s14
	v_mul_lo_u32 v24, v11, s15
	v_mad_u64_u32 v[19:20], null, v11, s14, 0
	s_mov_b32 s0, -1
	s_mov_b32 s31, exec_lo
	s_delay_alu instid0(VALU_DEP_4) | instskip(NEXT) | instid1(VALU_DEP_2)
	v_add3_u32 v18, v18, v22, v21
	v_add3_u32 v20, v20, v24, v23
	s_delay_alu instid0(VALU_DEP_2) | instskip(NEXT) | instid1(VALU_DEP_2)
	v_lshlrev_b64 v[17:18], 2, v[17:18]
	v_lshlrev_b64 v[21:22], 2, v[19:20]
	s_delay_alu instid0(VALU_DEP_2) | instskip(NEXT) | instid1(VALU_DEP_3)
	v_add_co_u32 v19, vcc_lo, s16, v17
	v_add_co_ci_u32_e32 v20, vcc_lo, s17, v18, vcc_lo
	s_delay_alu instid0(VALU_DEP_3) | instskip(NEXT) | instid1(VALU_DEP_4)
	v_add_co_u32 v17, vcc_lo, s16, v21
	v_add_co_ci_u32_e32 v18, vcc_lo, s17, v22, vcc_lo
	s_clause 0x1
	global_load_b32 v21, v[19:20], off
	global_load_b32 v22, v[17:18], off
	s_waitcnt vmcnt(0)
	v_cmpx_eq_f32_e32 v21, v22
	s_cbranch_execz .LBB943_325
; %bb.319:
	v_add_co_u32 v17, vcc_lo, v17, 4
	v_add_co_ci_u32_e32 v18, vcc_lo, 0, v18, vcc_lo
	v_add_co_u32 v19, vcc_lo, v19, 4
	v_add_co_ci_u32_e32 v20, vcc_lo, 0, v20, vcc_lo
	s_add_u32 s4, s14, -1
	s_addc_u32 s5, s15, -1
	s_mov_b64 s[6:7], 0
	s_mov_b32 s35, 0
                                        ; implicit-def: $sgpr36
	s_set_inst_prefetch_distance 0x1
	s_branch .LBB943_322
	.p2align	6
.LBB943_320:                            ;   in Loop: Header=BB943_322 Depth=1
	global_load_b32 v21, v[19:20], off
	global_load_b32 v22, v[17:18], off
	v_add_co_u32 v17, vcc_lo, v17, 4
	v_add_co_ci_u32_e32 v18, vcc_lo, 0, v18, vcc_lo
	v_add_co_u32 v19, s0, v19, 4
	s_delay_alu instid0(VALU_DEP_1)
	v_add_co_ci_u32_e64 v20, s0, 0, v20, s0
	s_add_u32 s6, s6, 1
	s_addc_u32 s7, s7, 0
	s_and_not1_b32 s0, s36, exec_lo
	s_waitcnt vmcnt(0)
	v_cmp_neq_f32_e32 vcc_lo, v21, v22
	s_and_b32 s36, vcc_lo, exec_lo
	s_delay_alu instid0(SALU_CYCLE_1)
	s_or_b32 s36, s0, s36
.LBB943_321:                            ;   in Loop: Header=BB943_322 Depth=1
	v_dual_mov_b32 v22, s7 :: v_dual_mov_b32 v21, s6
	s_and_b32 s0, exec_lo, s36
	s_delay_alu instid0(SALU_CYCLE_1) | instskip(NEXT) | instid1(SALU_CYCLE_1)
	s_or_b32 s35, s0, s35
	s_and_not1_b32 exec_lo, exec_lo, s35
	s_cbranch_execz .LBB943_324
.LBB943_322:                            ; =>This Inner Loop Header: Depth=1
	s_or_b32 s36, s36, exec_lo
	s_cmp_eq_u64 s[4:5], s[6:7]
	s_cbranch_scc0 .LBB943_320
; %bb.323:                              ;   in Loop: Header=BB943_322 Depth=1
	s_mov_b64 s[6:7], s[14:15]
                                        ; implicit-def: $vgpr17_vgpr18
                                        ; implicit-def: $vgpr19_vgpr20
	s_branch .LBB943_321
.LBB943_324:
	s_set_inst_prefetch_distance 0x2
	s_or_b32 exec_lo, exec_lo, s35
	v_cmp_gt_i64_e32 vcc_lo, s[14:15], v[21:22]
	s_or_not1_b32 s0, vcc_lo, exec_lo
.LBB943_325:
	s_or_b32 exec_lo, exec_lo, s31
.LBB943_326:
	s_delay_alu instid0(SALU_CYCLE_1)
	s_and_b32 s31, s0, exec_lo
.LBB943_327:
	s_or_b32 exec_lo, exec_lo, s34
	v_or_b32_e32 v17, 2, v39
	s_mov_b32 s34, exec_lo
	s_delay_alu instid0(VALU_DEP_1)
	v_cmpx_gt_u32_e64 s12, v17
	s_cbranch_execz .LBB943_338
; %bb.328:
	s_and_not1_b32 vcc_lo, exec_lo, s26
	s_mov_b32 s0, 0
	s_cbranch_vccnz .LBB943_337
; %bb.329:
	v_mul_lo_u32 v21, v16, s14
	v_mul_lo_u32 v22, v15, s15
	v_mad_u64_u32 v[17:18], null, v15, s14, 0
	v_mul_lo_u32 v23, v10, s14
	v_mul_lo_u32 v24, v9, s15
	v_mad_u64_u32 v[19:20], null, v9, s14, 0
	s_mov_b32 s0, -1
	s_mov_b32 s33, exec_lo
	s_delay_alu instid0(VALU_DEP_4) | instskip(NEXT) | instid1(VALU_DEP_2)
	v_add3_u32 v18, v18, v22, v21
	v_add3_u32 v20, v20, v24, v23
	s_delay_alu instid0(VALU_DEP_2) | instskip(NEXT) | instid1(VALU_DEP_2)
	v_lshlrev_b64 v[17:18], 2, v[17:18]
	v_lshlrev_b64 v[21:22], 2, v[19:20]
	s_delay_alu instid0(VALU_DEP_2) | instskip(NEXT) | instid1(VALU_DEP_3)
	v_add_co_u32 v19, vcc_lo, s16, v17
	v_add_co_ci_u32_e32 v20, vcc_lo, s17, v18, vcc_lo
	s_delay_alu instid0(VALU_DEP_3) | instskip(NEXT) | instid1(VALU_DEP_4)
	v_add_co_u32 v17, vcc_lo, s16, v21
	v_add_co_ci_u32_e32 v18, vcc_lo, s17, v22, vcc_lo
	s_clause 0x1
	global_load_b32 v21, v[19:20], off
	global_load_b32 v22, v[17:18], off
	s_waitcnt vmcnt(0)
	v_cmpx_eq_f32_e32 v21, v22
	s_cbranch_execz .LBB943_336
; %bb.330:
	v_add_co_u32 v17, vcc_lo, v17, 4
	v_add_co_ci_u32_e32 v18, vcc_lo, 0, v18, vcc_lo
	v_add_co_u32 v19, vcc_lo, v19, 4
	v_add_co_ci_u32_e32 v20, vcc_lo, 0, v20, vcc_lo
	s_add_u32 s4, s14, -1
	s_addc_u32 s5, s15, -1
	s_mov_b64 s[6:7], 0
	s_mov_b32 s35, 0
                                        ; implicit-def: $sgpr36
	s_set_inst_prefetch_distance 0x1
	s_branch .LBB943_333
	.p2align	6
.LBB943_331:                            ;   in Loop: Header=BB943_333 Depth=1
	global_load_b32 v21, v[19:20], off
	global_load_b32 v22, v[17:18], off
	v_add_co_u32 v17, vcc_lo, v17, 4
	v_add_co_ci_u32_e32 v18, vcc_lo, 0, v18, vcc_lo
	v_add_co_u32 v19, s0, v19, 4
	s_delay_alu instid0(VALU_DEP_1)
	v_add_co_ci_u32_e64 v20, s0, 0, v20, s0
	s_add_u32 s6, s6, 1
	s_addc_u32 s7, s7, 0
	s_and_not1_b32 s0, s36, exec_lo
	s_waitcnt vmcnt(0)
	v_cmp_neq_f32_e32 vcc_lo, v21, v22
	s_and_b32 s36, vcc_lo, exec_lo
	s_delay_alu instid0(SALU_CYCLE_1)
	s_or_b32 s36, s0, s36
.LBB943_332:                            ;   in Loop: Header=BB943_333 Depth=1
	v_dual_mov_b32 v22, s7 :: v_dual_mov_b32 v21, s6
	s_and_b32 s0, exec_lo, s36
	s_delay_alu instid0(SALU_CYCLE_1) | instskip(NEXT) | instid1(SALU_CYCLE_1)
	s_or_b32 s35, s0, s35
	s_and_not1_b32 exec_lo, exec_lo, s35
	s_cbranch_execz .LBB943_335
.LBB943_333:                            ; =>This Inner Loop Header: Depth=1
	s_or_b32 s36, s36, exec_lo
	s_cmp_eq_u64 s[4:5], s[6:7]
	s_cbranch_scc0 .LBB943_331
; %bb.334:                              ;   in Loop: Header=BB943_333 Depth=1
	s_mov_b64 s[6:7], s[14:15]
                                        ; implicit-def: $vgpr17_vgpr18
                                        ; implicit-def: $vgpr19_vgpr20
	s_branch .LBB943_332
.LBB943_335:
	s_set_inst_prefetch_distance 0x2
	s_or_b32 exec_lo, exec_lo, s35
	v_cmp_gt_i64_e32 vcc_lo, s[14:15], v[21:22]
	s_or_not1_b32 s0, vcc_lo, exec_lo
.LBB943_336:
	s_or_b32 exec_lo, exec_lo, s33
.LBB943_337:
	s_delay_alu instid0(SALU_CYCLE_1)
	s_and_b32 s33, s0, exec_lo
.LBB943_338:
	s_or_b32 exec_lo, exec_lo, s34
	v_or_b32_e32 v17, 1, v39
	s_mov_b32 s0, 0
	s_mov_b32 s34, exec_lo
	s_delay_alu instid0(VALU_DEP_1)
	v_cmpx_gt_u32_e64 s12, v17
	s_cbranch_execz .LBB943_349
; %bb.339:
	s_and_not1_b32 vcc_lo, exec_lo, s26
	s_cbranch_vccnz .LBB943_348
; %bb.340:
	v_mul_lo_u32 v21, v14, s14
	v_mul_lo_u32 v22, v13, s15
	v_mad_u64_u32 v[17:18], null, v13, s14, 0
	v_mul_lo_u32 v23, v16, s14
	v_mul_lo_u32 v24, v15, s15
	v_mad_u64_u32 v[19:20], null, v15, s14, 0
	s_mov_b32 s0, -1
	s_mov_b32 s35, exec_lo
	s_delay_alu instid0(VALU_DEP_4) | instskip(NEXT) | instid1(VALU_DEP_2)
	v_add3_u32 v18, v18, v22, v21
	v_add3_u32 v20, v20, v24, v23
	s_delay_alu instid0(VALU_DEP_2) | instskip(NEXT) | instid1(VALU_DEP_2)
	v_lshlrev_b64 v[17:18], 2, v[17:18]
	v_lshlrev_b64 v[21:22], 2, v[19:20]
	s_delay_alu instid0(VALU_DEP_2) | instskip(NEXT) | instid1(VALU_DEP_3)
	v_add_co_u32 v19, vcc_lo, s16, v17
	v_add_co_ci_u32_e32 v20, vcc_lo, s17, v18, vcc_lo
	s_delay_alu instid0(VALU_DEP_3) | instskip(NEXT) | instid1(VALU_DEP_4)
	v_add_co_u32 v17, vcc_lo, s16, v21
	v_add_co_ci_u32_e32 v18, vcc_lo, s17, v22, vcc_lo
	s_clause 0x1
	global_load_b32 v21, v[19:20], off
	global_load_b32 v22, v[17:18], off
	s_waitcnt vmcnt(0)
	v_cmpx_eq_f32_e32 v21, v22
	s_cbranch_execz .LBB943_347
; %bb.341:
	v_add_co_u32 v17, vcc_lo, v17, 4
	v_add_co_ci_u32_e32 v18, vcc_lo, 0, v18, vcc_lo
	v_add_co_u32 v19, vcc_lo, v19, 4
	v_add_co_ci_u32_e32 v20, vcc_lo, 0, v20, vcc_lo
	s_add_u32 s4, s14, -1
	s_addc_u32 s5, s15, -1
	s_mov_b64 s[6:7], 0
	s_mov_b32 s36, 0
                                        ; implicit-def: $sgpr37
	s_set_inst_prefetch_distance 0x1
	s_branch .LBB943_344
	.p2align	6
.LBB943_342:                            ;   in Loop: Header=BB943_344 Depth=1
	global_load_b32 v21, v[19:20], off
	global_load_b32 v22, v[17:18], off
	v_add_co_u32 v17, vcc_lo, v17, 4
	v_add_co_ci_u32_e32 v18, vcc_lo, 0, v18, vcc_lo
	v_add_co_u32 v19, s0, v19, 4
	s_delay_alu instid0(VALU_DEP_1)
	v_add_co_ci_u32_e64 v20, s0, 0, v20, s0
	s_add_u32 s6, s6, 1
	s_addc_u32 s7, s7, 0
	s_and_not1_b32 s0, s37, exec_lo
	s_waitcnt vmcnt(0)
	v_cmp_neq_f32_e32 vcc_lo, v21, v22
	s_and_b32 s37, vcc_lo, exec_lo
	s_delay_alu instid0(SALU_CYCLE_1)
	s_or_b32 s37, s0, s37
.LBB943_343:                            ;   in Loop: Header=BB943_344 Depth=1
	v_dual_mov_b32 v22, s7 :: v_dual_mov_b32 v21, s6
	s_and_b32 s0, exec_lo, s37
	s_delay_alu instid0(SALU_CYCLE_1) | instskip(NEXT) | instid1(SALU_CYCLE_1)
	s_or_b32 s36, s0, s36
	s_and_not1_b32 exec_lo, exec_lo, s36
	s_cbranch_execz .LBB943_346
.LBB943_344:                            ; =>This Inner Loop Header: Depth=1
	s_or_b32 s37, s37, exec_lo
	s_cmp_eq_u64 s[4:5], s[6:7]
	s_cbranch_scc0 .LBB943_342
; %bb.345:                              ;   in Loop: Header=BB943_344 Depth=1
	s_mov_b64 s[6:7], s[14:15]
                                        ; implicit-def: $vgpr17_vgpr18
                                        ; implicit-def: $vgpr19_vgpr20
	s_branch .LBB943_343
.LBB943_346:
	s_set_inst_prefetch_distance 0x2
	s_or_b32 exec_lo, exec_lo, s36
	v_cmp_gt_i64_e32 vcc_lo, s[14:15], v[21:22]
	s_or_not1_b32 s0, vcc_lo, exec_lo
.LBB943_347:
	s_or_b32 exec_lo, exec_lo, s35
.LBB943_348:
	s_delay_alu instid0(SALU_CYCLE_1)
	s_and_b32 s0, s0, exec_lo
.LBB943_349:
	s_or_b32 exec_lo, exec_lo, s34
	v_cndmask_b32_e64 v18, 0, 1, s31
	v_cndmask_b32_e64 v19, 0, 1, s30
	;; [unrolled: 1-line block ×7, first 2 shown]
	v_lshlrev_b16 v19, 8, v19
	v_lshlrev_b16 v20, 8, v20
	;; [unrolled: 1-line block ×4, first 2 shown]
	s_waitcnt lgkmcnt(0)
	v_or_b32_e32 v19, v22, v19
	v_or_b32_e32 v20, v23, v20
	;; [unrolled: 1-line block ×4, first 2 shown]
	s_barrier
	v_and_b32_e32 v18, 0xffff, v19
	v_lshlrev_b32_e32 v19, 16, v20
	v_and_b32_e32 v21, 0xffff, v21
	v_lshlrev_b32_e32 v17, 16, v17
	buffer_gl0_inv
                                        ; implicit-def: $sgpr0
	v_or_b32_e32 v20, v18, v19
	v_or_b32_e32 v19, v21, v17
	s_and_saveexec_b32 s27, s3
	s_cbranch_execz .LBB943_362
; %bb.350:
	s_mov_b32 s0, 0
	s_mov_b32 s3, exec_lo
	v_cmpx_gt_u32_e64 s12, v39
	s_cbranch_execz .LBB943_361
; %bb.351:
	s_and_not1_b32 vcc_lo, exec_lo, s26
	s_cbranch_vccnz .LBB943_360
; %bb.352:
	v_add_nc_u32_e32 v17, -8, v39
	v_mul_lo_u32 v25, v14, s14
	v_mul_lo_u32 v26, v13, s15
	s_mov_b32 s0, -1
	ds_load_b64 v[17:18], v17
	s_waitcnt lgkmcnt(0)
	v_mul_lo_u32 v23, v18, s14
	v_mul_lo_u32 v24, v17, s15
	v_mad_u64_u32 v[21:22], null, v17, s14, 0
	v_mad_u64_u32 v[17:18], null, v13, s14, 0
	s_delay_alu instid0(VALU_DEP_2) | instskip(NEXT) | instid1(VALU_DEP_2)
	v_add3_u32 v22, v22, v24, v23
	v_add3_u32 v18, v18, v26, v25
	s_delay_alu instid0(VALU_DEP_2) | instskip(NEXT) | instid1(VALU_DEP_2)
	v_lshlrev_b64 v[21:22], 2, v[21:22]
	v_lshlrev_b64 v[17:18], 2, v[17:18]
	s_delay_alu instid0(VALU_DEP_2) | instskip(NEXT) | instid1(VALU_DEP_3)
	v_add_co_u32 v21, vcc_lo, s16, v21
	v_add_co_ci_u32_e32 v22, vcc_lo, s17, v22, vcc_lo
	s_delay_alu instid0(VALU_DEP_3) | instskip(NEXT) | instid1(VALU_DEP_4)
	v_add_co_u32 v17, vcc_lo, s16, v17
	v_add_co_ci_u32_e32 v18, vcc_lo, s17, v18, vcc_lo
	s_clause 0x1
	global_load_b32 v23, v[21:22], off
	global_load_b32 v24, v[17:18], off
	s_mov_b32 s16, exec_lo
	s_waitcnt vmcnt(0)
	v_cmpx_eq_f32_e32 v23, v24
	s_cbranch_execz .LBB943_359
; %bb.353:
	v_add_co_u32 v17, vcc_lo, v17, 4
	v_add_co_ci_u32_e32 v18, vcc_lo, 0, v18, vcc_lo
	v_add_co_u32 v21, vcc_lo, v21, 4
	v_add_co_ci_u32_e32 v22, vcc_lo, 0, v22, vcc_lo
	s_add_u32 s4, s14, -1
	s_addc_u32 s5, s15, -1
	s_mov_b64 s[6:7], 0
	s_mov_b32 s17, 0
                                        ; implicit-def: $sgpr26
	s_set_inst_prefetch_distance 0x1
	s_branch .LBB943_356
	.p2align	6
.LBB943_354:                            ;   in Loop: Header=BB943_356 Depth=1
	global_load_b32 v23, v[21:22], off
	global_load_b32 v24, v[17:18], off
	v_add_co_u32 v17, vcc_lo, v17, 4
	v_add_co_ci_u32_e32 v18, vcc_lo, 0, v18, vcc_lo
	v_add_co_u32 v21, s0, v21, 4
	s_delay_alu instid0(VALU_DEP_1)
	v_add_co_ci_u32_e64 v22, s0, 0, v22, s0
	s_add_u32 s6, s6, 1
	s_addc_u32 s7, s7, 0
	s_and_not1_b32 s0, s26, exec_lo
	s_waitcnt vmcnt(0)
	v_cmp_neq_f32_e32 vcc_lo, v23, v24
	s_and_b32 s26, vcc_lo, exec_lo
	s_delay_alu instid0(SALU_CYCLE_1)
	s_or_b32 s26, s0, s26
.LBB943_355:                            ;   in Loop: Header=BB943_356 Depth=1
	v_dual_mov_b32 v24, s7 :: v_dual_mov_b32 v23, s6
	s_and_b32 s0, exec_lo, s26
	s_delay_alu instid0(SALU_CYCLE_1) | instskip(NEXT) | instid1(SALU_CYCLE_1)
	s_or_b32 s17, s0, s17
	s_and_not1_b32 exec_lo, exec_lo, s17
	s_cbranch_execz .LBB943_358
.LBB943_356:                            ; =>This Inner Loop Header: Depth=1
	s_or_b32 s26, s26, exec_lo
	s_cmp_eq_u64 s[4:5], s[6:7]
	s_cbranch_scc0 .LBB943_354
; %bb.357:                              ;   in Loop: Header=BB943_356 Depth=1
	s_mov_b64 s[6:7], s[14:15]
                                        ; implicit-def: $vgpr17_vgpr18
                                        ; implicit-def: $vgpr21_vgpr22
	s_branch .LBB943_355
.LBB943_358:
	s_set_inst_prefetch_distance 0x2
	s_or_b32 exec_lo, exec_lo, s17
	v_cmp_gt_i64_e32 vcc_lo, s[14:15], v[23:24]
	s_or_not1_b32 s0, vcc_lo, exec_lo
.LBB943_359:
	s_or_b32 exec_lo, exec_lo, s16
.LBB943_360:
	s_delay_alu instid0(SALU_CYCLE_1)
	s_and_b32 s0, s0, exec_lo
.LBB943_361:
	s_or_b32 exec_lo, exec_lo, s3
	s_delay_alu instid0(SALU_CYCLE_1)
	s_and_b32 s0, s0, exec_lo
	s_or_b32 s25, s25, exec_lo
.LBB943_362:
	s_or_b32 exec_lo, exec_lo, s27
.LBB943_363:
	s_and_saveexec_b32 s3, s25
	s_cbranch_execz .LBB943_365
; %bb.364:
	s_waitcnt vmcnt(0) lgkmcnt(0)
	v_and_b32_e32 v17, 0xffffff00, v19
	v_cndmask_b32_e64 v18, 0, 1, s0
	s_delay_alu instid0(VALU_DEP_1) | instskip(NEXT) | instid1(VALU_DEP_1)
	v_or_b32_e32 v17, v18, v17
	v_and_b32_e32 v17, 0xffff, v17
	s_delay_alu instid0(VALU_DEP_1)
	v_and_or_b32 v19, 0xffff0000, v19, v17
.LBB943_365:
	s_or_b32 exec_lo, exec_lo, s3
	s_delay_alu instid0(SALU_CYCLE_1)
	s_and_not1_b32 vcc_lo, exec_lo, s1
	s_cbranch_vccnz .LBB943_367
; %bb.366:
	v_cmp_gt_u32_e32 vcc_lo, s12, v39
	s_waitcnt vmcnt(0) lgkmcnt(0)
	v_or_b32_e32 v18, 1, v39
	v_and_b32_e32 v21, 0xffffff00, v20
	v_or_b32_e32 v22, 2, v39
	v_cndmask_b32_e32 v17, 0, v19, vcc_lo
	s_delay_alu instid0(VALU_DEP_4) | instskip(SKIP_1) | instid1(VALU_DEP_4)
	v_cmp_gt_u32_e32 vcc_lo, s12, v18
	v_or_b32_e32 v18, 4, v39
	v_cmp_gt_u32_e64 s0, s12, v22
	v_or_b32_e32 v22, 3, v39
	v_and_b32_e32 v17, 0xff, v17
	s_delay_alu instid0(VALU_DEP_2) | instskip(NEXT) | instid1(VALU_DEP_2)
	v_cmp_gt_u32_e64 s1, s12, v22
	v_cndmask_b32_e32 v17, v17, v19, vcc_lo
	v_cmp_gt_u32_e32 vcc_lo, s12, v18
	v_cndmask_b32_e32 v18, v21, v20, vcc_lo
	v_or_b32_e32 v21, 5, v39
	s_delay_alu instid0(VALU_DEP_2) | instskip(SKIP_1) | instid1(VALU_DEP_1)
	v_and_b32_e32 v18, 0xffff00ff, v18
	v_and_b32_e32 v17, 0xffff, v17
	v_cndmask_b32_e64 v17, v17, v19, s0
	s_delay_alu instid0(VALU_DEP_4) | instskip(SKIP_1) | instid1(VALU_DEP_3)
	v_cmp_gt_u32_e64 s0, s12, v21
	v_or_b32_e32 v21, 6, v39
	v_and_b32_e32 v17, 0xffffff, v17
	s_delay_alu instid0(VALU_DEP_3) | instskip(NEXT) | instid1(VALU_DEP_2)
	v_cndmask_b32_e64 v18, v18, v20, s0
	v_cndmask_b32_e64 v17, v17, v19, s1
	s_delay_alu instid0(VALU_DEP_1) | instskip(SKIP_2) | instid1(VALU_DEP_3)
	v_dual_cndmask_b32 v17, v17, v19 :: v_dual_and_b32 v18, 0xff00ffff, v18
	v_cmp_gt_u32_e32 vcc_lo, s12, v21
	v_or_b32_e32 v21, 7, v39
	v_cndmask_b32_e64 v17, v17, v19, s0
	s_delay_alu instid0(VALU_DEP_1) | instskip(NEXT) | instid1(VALU_DEP_1)
	v_dual_cndmask_b32 v18, v18, v20 :: v_dual_cndmask_b32 v17, v17, v19
	v_and_b32_e32 v18, 0xffffff, v18
	s_delay_alu instid0(VALU_DEP_4) | instskip(NEXT) | instid1(VALU_DEP_2)
	v_cmp_gt_u32_e32 vcc_lo, s12, v21
	v_dual_cndmask_b32 v20, v18, v20 :: v_dual_cndmask_b32 v19, v17, v19
.LBB943_367:
	s_delay_alu instid0(VALU_DEP_1) | instskip(SKIP_1) | instid1(VALU_DEP_2)
	v_and_b32_e32 v28, 0xff, v19
	s_waitcnt vmcnt(0) lgkmcnt(0)
	v_alignbit_b32 v17, v20, v19, 24
	v_bfe_u32 v30, v19, 8, 8
	v_bfe_u32 v32, v19, 16, 8
	v_and_b32_e32 v36, 0xff, v20
	v_bfe_u32 v38, v20, 8, 8
	v_and_b32_e32 v34, 0xff, v17
	v_add_nc_u32_e32 v17, v30, v28
	v_mbcnt_lo_u32_b32 v42, -1, 0
	v_bfe_u32 v41, v20, 16, 8
	v_lshrrev_b32_e32 v40, 24, v20
	v_lshrrev_b32_e32 v43, 5, v0
	v_add3_u32 v17, v17, v32, v34
	v_and_b32_e32 v18, 15, v42
	v_and_b32_e32 v21, 16, v42
	s_and_b32 vcc_lo, exec_lo, s24
	s_mov_b32 s7, -1
	v_add3_u32 v17, v17, v36, v38
	v_cmp_eq_u32_e64 s3, 0, v18
	v_cmp_lt_u32_e64 s0, 1, v18
	v_cmp_lt_u32_e64 s4, 3, v18
	v_cmp_lt_u32_e64 s1, 7, v18
	v_add3_u32 v44, v17, v41, v40
	v_or_b32_e32 v17, 31, v0
	v_cmp_eq_u32_e64 s6, 0, v21
	s_barrier
	buffer_gl0_inv
	v_cmp_eq_u32_e64 s5, v17, v0
	s_cbranch_vccz .LBB943_398
; %bb.368:
	v_mov_b32_dpp v17, v44 row_shr:1 row_mask:0xf bank_mask:0xf
	s_delay_alu instid0(VALU_DEP_1) | instskip(NEXT) | instid1(VALU_DEP_1)
	v_cndmask_b32_e64 v17, v17, 0, s3
	v_add_nc_u32_e32 v17, v17, v44
	s_delay_alu instid0(VALU_DEP_1) | instskip(NEXT) | instid1(VALU_DEP_1)
	v_mov_b32_dpp v18, v17 row_shr:2 row_mask:0xf bank_mask:0xf
	v_cndmask_b32_e64 v18, 0, v18, s0
	s_delay_alu instid0(VALU_DEP_1) | instskip(NEXT) | instid1(VALU_DEP_1)
	v_add_nc_u32_e32 v17, v17, v18
	v_mov_b32_dpp v18, v17 row_shr:4 row_mask:0xf bank_mask:0xf
	s_delay_alu instid0(VALU_DEP_1) | instskip(NEXT) | instid1(VALU_DEP_1)
	v_cndmask_b32_e64 v18, 0, v18, s4
	v_add_nc_u32_e32 v17, v17, v18
	s_delay_alu instid0(VALU_DEP_1) | instskip(NEXT) | instid1(VALU_DEP_1)
	v_mov_b32_dpp v18, v17 row_shr:8 row_mask:0xf bank_mask:0xf
	v_cndmask_b32_e64 v18, 0, v18, s1
	s_delay_alu instid0(VALU_DEP_1) | instskip(SKIP_3) | instid1(VALU_DEP_1)
	v_add_nc_u32_e32 v17, v17, v18
	ds_swizzle_b32 v18, v17 offset:swizzle(BROADCAST,32,15)
	s_waitcnt lgkmcnt(0)
	v_cndmask_b32_e64 v18, v18, 0, s6
	v_add_nc_u32_e32 v17, v17, v18
	s_and_saveexec_b32 s7, s5
	s_cbranch_execz .LBB943_370
; %bb.369:
	v_lshlrev_b32_e32 v18, 2, v43
	ds_store_b32 v18, v17
.LBB943_370:
	s_or_b32 exec_lo, exec_lo, s7
	s_delay_alu instid0(SALU_CYCLE_1)
	s_mov_b32 s7, exec_lo
	s_waitcnt lgkmcnt(0)
	s_barrier
	buffer_gl0_inv
	v_cmpx_gt_u32_e32 16, v0
	s_cbranch_execz .LBB943_372
; %bb.371:
	v_lshlrev_b32_e32 v18, 2, v0
	ds_load_b32 v21, v18
	s_waitcnt lgkmcnt(0)
	v_mov_b32_dpp v22, v21 row_shr:1 row_mask:0xf bank_mask:0xf
	s_delay_alu instid0(VALU_DEP_1) | instskip(NEXT) | instid1(VALU_DEP_1)
	v_cndmask_b32_e64 v22, v22, 0, s3
	v_add_nc_u32_e32 v21, v22, v21
	s_delay_alu instid0(VALU_DEP_1) | instskip(NEXT) | instid1(VALU_DEP_1)
	v_mov_b32_dpp v22, v21 row_shr:2 row_mask:0xf bank_mask:0xf
	v_cndmask_b32_e64 v22, 0, v22, s0
	s_delay_alu instid0(VALU_DEP_1) | instskip(NEXT) | instid1(VALU_DEP_1)
	v_add_nc_u32_e32 v21, v21, v22
	v_mov_b32_dpp v22, v21 row_shr:4 row_mask:0xf bank_mask:0xf
	s_delay_alu instid0(VALU_DEP_1) | instskip(NEXT) | instid1(VALU_DEP_1)
	v_cndmask_b32_e64 v22, 0, v22, s4
	v_add_nc_u32_e32 v21, v21, v22
	s_delay_alu instid0(VALU_DEP_1) | instskip(NEXT) | instid1(VALU_DEP_1)
	v_mov_b32_dpp v22, v21 row_shr:8 row_mask:0xf bank_mask:0xf
	v_cndmask_b32_e64 v22, 0, v22, s1
	s_delay_alu instid0(VALU_DEP_1)
	v_add_nc_u32_e32 v21, v21, v22
	ds_store_b32 v18, v21
.LBB943_372:
	s_or_b32 exec_lo, exec_lo, s7
	v_cmp_gt_u32_e32 vcc_lo, 32, v0
	s_mov_b32 s12, exec_lo
	s_waitcnt lgkmcnt(0)
	s_barrier
	buffer_gl0_inv
                                        ; implicit-def: $vgpr27
	v_cmpx_lt_u32_e32 31, v0
	s_cbranch_execz .LBB943_374
; %bb.373:
	v_lshl_add_u32 v18, v43, 2, -4
	ds_load_b32 v27, v18
	s_waitcnt lgkmcnt(0)
	v_add_nc_u32_e32 v17, v27, v17
.LBB943_374:
	s_or_b32 exec_lo, exec_lo, s12
	v_add_nc_u32_e32 v18, -1, v42
	s_delay_alu instid0(VALU_DEP_1) | instskip(NEXT) | instid1(VALU_DEP_1)
	v_cmp_gt_i32_e64 s7, 0, v18
	v_cndmask_b32_e64 v18, v18, v42, s7
	v_cmp_eq_u32_e64 s7, 0, v42
	s_delay_alu instid0(VALU_DEP_2)
	v_lshlrev_b32_e32 v18, 2, v18
	ds_bpermute_b32 v29, v18, v17
	s_and_saveexec_b32 s12, vcc_lo
	s_cbranch_execz .LBB943_397
; %bb.375:
	v_mov_b32_e32 v23, 0
	ds_load_b32 v17, v23 offset:60
	s_and_saveexec_b32 s14, s7
	s_cbranch_execz .LBB943_377
; %bb.376:
	s_add_i32 s16, s23, 32
	s_mov_b32 s17, 0
	v_mov_b32_e32 v18, 1
	s_lshl_b64 s[16:17], s[16:17], 3
	s_delay_alu instid0(SALU_CYCLE_1)
	s_add_u32 s16, s18, s16
	s_addc_u32 s17, s19, s17
	s_waitcnt lgkmcnt(0)
	global_store_b64 v23, v[17:18], s[16:17]
.LBB943_377:
	s_or_b32 exec_lo, exec_lo, s14
	v_xad_u32 v21, v42, -1, s23
	s_mov_b32 s15, 0
	s_mov_b32 s14, exec_lo
	s_delay_alu instid0(VALU_DEP_1) | instskip(NEXT) | instid1(VALU_DEP_1)
	v_add_nc_u32_e32 v22, 32, v21
	v_lshlrev_b64 v[22:23], 3, v[22:23]
	s_delay_alu instid0(VALU_DEP_1) | instskip(NEXT) | instid1(VALU_DEP_2)
	v_add_co_u32 v25, vcc_lo, s18, v22
	v_add_co_ci_u32_e32 v26, vcc_lo, s19, v23, vcc_lo
	global_load_b64 v[23:24], v[25:26], off glc
	s_waitcnt vmcnt(0)
	v_and_b32_e32 v18, 0xff, v24
	s_delay_alu instid0(VALU_DEP_1)
	v_cmpx_eq_u16_e32 0, v18
	s_cbranch_execz .LBB943_383
; %bb.378:
	s_mov_b32 s16, 1
	.p2align	6
.LBB943_379:                            ; =>This Loop Header: Depth=1
                                        ;     Child Loop BB943_380 Depth 2
	s_delay_alu instid0(SALU_CYCLE_1)
	s_max_u32 s17, s16, 1
.LBB943_380:                            ;   Parent Loop BB943_379 Depth=1
                                        ; =>  This Inner Loop Header: Depth=2
	s_delay_alu instid0(SALU_CYCLE_1)
	s_add_i32 s17, s17, -1
	s_sleep 1
	s_cmp_eq_u32 s17, 0
	s_cbranch_scc0 .LBB943_380
; %bb.381:                              ;   in Loop: Header=BB943_379 Depth=1
	global_load_b64 v[23:24], v[25:26], off glc
	s_cmp_lt_u32 s16, 32
	s_cselect_b32 s17, -1, 0
	s_delay_alu instid0(SALU_CYCLE_1) | instskip(SKIP_3) | instid1(VALU_DEP_1)
	s_cmp_lg_u32 s17, 0
	s_addc_u32 s16, s16, 0
	s_waitcnt vmcnt(0)
	v_and_b32_e32 v18, 0xff, v24
	v_cmp_ne_u16_e32 vcc_lo, 0, v18
	s_or_b32 s15, vcc_lo, s15
	s_delay_alu instid0(SALU_CYCLE_1)
	s_and_not1_b32 exec_lo, exec_lo, s15
	s_cbranch_execnz .LBB943_379
; %bb.382:
	s_or_b32 exec_lo, exec_lo, s15
.LBB943_383:
	s_delay_alu instid0(SALU_CYCLE_1)
	s_or_b32 exec_lo, exec_lo, s14
	v_cmp_ne_u32_e32 vcc_lo, 31, v42
	v_and_b32_e32 v22, 0xff, v24
	v_lshlrev_b32_e64 v31, v42, -1
	v_add_nc_u32_e32 v35, 2, v42
	v_add_nc_u32_e32 v45, 4, v42
	v_add_co_ci_u32_e32 v18, vcc_lo, 0, v42, vcc_lo
	v_cmp_eq_u16_e32 vcc_lo, 2, v22
	v_add_nc_u32_e32 v48, 8, v42
	v_add_nc_u32_e32 v50, 16, v42
	v_and_or_b32 v22, vcc_lo, v31, 0x80000000
	v_cmp_gt_u32_e32 vcc_lo, 30, v42
	s_delay_alu instid0(VALU_DEP_2) | instskip(SKIP_1) | instid1(VALU_DEP_2)
	v_ctz_i32_b32_e32 v22, v22
	v_cndmask_b32_e64 v26, 0, 1, vcc_lo
	v_cmp_lt_u32_e32 vcc_lo, v42, v22
	v_lshlrev_b32_e32 v18, 2, v18
	s_delay_alu instid0(VALU_DEP_3)
	v_lshlrev_b32_e32 v26, 1, v26
	ds_bpermute_b32 v25, v18, v23
	v_add_lshl_u32 v33, v26, v42, 2
	s_waitcnt lgkmcnt(0)
	v_cndmask_b32_e32 v25, 0, v25, vcc_lo
	v_cmp_gt_u32_e32 vcc_lo, 28, v42
	s_delay_alu instid0(VALU_DEP_2) | instskip(SKIP_4) | instid1(VALU_DEP_1)
	v_add_nc_u32_e32 v23, v25, v23
	v_cndmask_b32_e64 v26, 0, 1, vcc_lo
	v_cmp_le_u32_e32 vcc_lo, v35, v22
	ds_bpermute_b32 v25, v33, v23
	v_lshlrev_b32_e32 v26, 2, v26
	v_add_lshl_u32 v37, v26, v42, 2
	s_waitcnt lgkmcnt(0)
	v_cndmask_b32_e32 v25, 0, v25, vcc_lo
	v_cmp_gt_u32_e32 vcc_lo, 24, v42
	s_delay_alu instid0(VALU_DEP_2) | instskip(SKIP_4) | instid1(VALU_DEP_1)
	v_add_nc_u32_e32 v23, v23, v25
	v_cndmask_b32_e64 v26, 0, 1, vcc_lo
	v_cmp_le_u32_e32 vcc_lo, v45, v22
	ds_bpermute_b32 v25, v37, v23
	v_lshlrev_b32_e32 v26, 3, v26
	;; [unrolled: 10-line block ×3, first 2 shown]
	v_add_lshl_u32 v49, v26, v42, 2
	s_waitcnt lgkmcnt(0)
	v_cndmask_b32_e32 v25, 0, v25, vcc_lo
	v_cmp_le_u32_e32 vcc_lo, v50, v22
	s_delay_alu instid0(VALU_DEP_2) | instskip(SKIP_3) | instid1(VALU_DEP_1)
	v_add_nc_u32_e32 v23, v23, v25
	ds_bpermute_b32 v25, v49, v23
	s_waitcnt lgkmcnt(0)
	v_cndmask_b32_e32 v22, 0, v25, vcc_lo
	v_dual_mov_b32 v22, 0 :: v_dual_add_nc_u32 v23, v23, v22
	s_branch .LBB943_385
.LBB943_384:                            ;   in Loop: Header=BB943_385 Depth=1
	s_or_b32 exec_lo, exec_lo, s14
	ds_bpermute_b32 v26, v18, v23
	v_and_b32_e32 v25, 0xff, v24
	v_subrev_nc_u32_e32 v21, 32, v21
	s_delay_alu instid0(VALU_DEP_2) | instskip(SKIP_1) | instid1(VALU_DEP_1)
	v_cmp_eq_u16_e32 vcc_lo, 2, v25
	v_and_or_b32 v25, vcc_lo, v31, 0x80000000
	v_ctz_i32_b32_e32 v25, v25
	s_delay_alu instid0(VALU_DEP_1) | instskip(SKIP_3) | instid1(VALU_DEP_2)
	v_cmp_lt_u32_e32 vcc_lo, v42, v25
	s_waitcnt lgkmcnt(0)
	v_cndmask_b32_e32 v26, 0, v26, vcc_lo
	v_cmp_le_u32_e32 vcc_lo, v35, v25
	v_add_nc_u32_e32 v23, v26, v23
	ds_bpermute_b32 v26, v33, v23
	s_waitcnt lgkmcnt(0)
	v_cndmask_b32_e32 v26, 0, v26, vcc_lo
	v_cmp_le_u32_e32 vcc_lo, v45, v25
	s_delay_alu instid0(VALU_DEP_2) | instskip(SKIP_4) | instid1(VALU_DEP_2)
	v_add_nc_u32_e32 v23, v23, v26
	ds_bpermute_b32 v26, v37, v23
	s_waitcnt lgkmcnt(0)
	v_cndmask_b32_e32 v26, 0, v26, vcc_lo
	v_cmp_le_u32_e32 vcc_lo, v48, v25
	v_add_nc_u32_e32 v23, v23, v26
	ds_bpermute_b32 v26, v47, v23
	s_waitcnt lgkmcnt(0)
	v_cndmask_b32_e32 v26, 0, v26, vcc_lo
	v_cmp_le_u32_e32 vcc_lo, v50, v25
	s_delay_alu instid0(VALU_DEP_2) | instskip(SKIP_3) | instid1(VALU_DEP_1)
	v_add_nc_u32_e32 v23, v23, v26
	ds_bpermute_b32 v26, v49, v23
	s_waitcnt lgkmcnt(0)
	v_cndmask_b32_e32 v25, 0, v26, vcc_lo
	v_add3_u32 v23, v25, v46, v23
.LBB943_385:                            ; =>This Loop Header: Depth=1
                                        ;     Child Loop BB943_388 Depth 2
                                        ;       Child Loop BB943_389 Depth 3
	v_and_b32_e32 v24, 0xff, v24
	s_delay_alu instid0(VALU_DEP_2) | instskip(NEXT) | instid1(VALU_DEP_2)
	v_mov_b32_e32 v46, v23
	v_cmp_ne_u16_e32 vcc_lo, 2, v24
	v_cndmask_b32_e64 v24, 0, 1, vcc_lo
	;;#ASMSTART
	;;#ASMEND
	s_delay_alu instid0(VALU_DEP_1)
	v_cmp_ne_u32_e32 vcc_lo, 0, v24
	s_cmp_lg_u32 vcc_lo, exec_lo
	s_cbranch_scc1 .LBB943_392
; %bb.386:                              ;   in Loop: Header=BB943_385 Depth=1
	v_lshlrev_b64 v[23:24], 3, v[21:22]
	s_mov_b32 s14, exec_lo
	s_delay_alu instid0(VALU_DEP_1) | instskip(NEXT) | instid1(VALU_DEP_2)
	v_add_co_u32 v25, vcc_lo, s18, v23
	v_add_co_ci_u32_e32 v26, vcc_lo, s19, v24, vcc_lo
	global_load_b64 v[23:24], v[25:26], off glc
	s_waitcnt vmcnt(0)
	v_and_b32_e32 v51, 0xff, v24
	s_delay_alu instid0(VALU_DEP_1)
	v_cmpx_eq_u16_e32 0, v51
	s_cbranch_execz .LBB943_384
; %bb.387:                              ;   in Loop: Header=BB943_385 Depth=1
	s_mov_b32 s16, 1
	s_mov_b32 s15, 0
	.p2align	6
.LBB943_388:                            ;   Parent Loop BB943_385 Depth=1
                                        ; =>  This Loop Header: Depth=2
                                        ;       Child Loop BB943_389 Depth 3
	s_max_u32 s17, s16, 1
.LBB943_389:                            ;   Parent Loop BB943_385 Depth=1
                                        ;     Parent Loop BB943_388 Depth=2
                                        ; =>    This Inner Loop Header: Depth=3
	s_delay_alu instid0(SALU_CYCLE_1)
	s_add_i32 s17, s17, -1
	s_sleep 1
	s_cmp_eq_u32 s17, 0
	s_cbranch_scc0 .LBB943_389
; %bb.390:                              ;   in Loop: Header=BB943_388 Depth=2
	global_load_b64 v[23:24], v[25:26], off glc
	s_cmp_lt_u32 s16, 32
	s_cselect_b32 s17, -1, 0
	s_delay_alu instid0(SALU_CYCLE_1) | instskip(SKIP_3) | instid1(VALU_DEP_1)
	s_cmp_lg_u32 s17, 0
	s_addc_u32 s16, s16, 0
	s_waitcnt vmcnt(0)
	v_and_b32_e32 v51, 0xff, v24
	v_cmp_ne_u16_e32 vcc_lo, 0, v51
	s_or_b32 s15, vcc_lo, s15
	s_delay_alu instid0(SALU_CYCLE_1)
	s_and_not1_b32 exec_lo, exec_lo, s15
	s_cbranch_execnz .LBB943_388
; %bb.391:                              ;   in Loop: Header=BB943_385 Depth=1
	s_or_b32 exec_lo, exec_lo, s15
	s_branch .LBB943_384
.LBB943_392:                            ;   in Loop: Header=BB943_385 Depth=1
                                        ; implicit-def: $vgpr23
                                        ; implicit-def: $vgpr24
	s_cbranch_execz .LBB943_385
; %bb.393:
	s_and_saveexec_b32 s14, s7
	s_cbranch_execz .LBB943_395
; %bb.394:
	s_add_i32 s16, s23, 32
	s_mov_b32 s17, 0
	v_dual_mov_b32 v22, 2 :: v_dual_add_nc_u32 v21, v46, v17
	s_lshl_b64 s[16:17], s[16:17], 3
	v_mov_b32_e32 v18, 0
	v_add_nc_u32_e64 v23, 0x8400, 0
	s_add_u32 s16, s18, s16
	s_addc_u32 s17, s19, s17
	global_store_b64 v18, v[21:22], s[16:17]
	ds_store_2addr_b32 v23, v17, v46 offset1:2
.LBB943_395:
	s_or_b32 exec_lo, exec_lo, s14
	s_delay_alu instid0(SALU_CYCLE_1)
	s_and_b32 exec_lo, exec_lo, s2
	s_cbranch_execz .LBB943_397
; %bb.396:
	v_mov_b32_e32 v17, 0
	ds_store_b32 v17, v46 offset:60
.LBB943_397:
	s_or_b32 exec_lo, exec_lo, s12
	v_mov_b32_e32 v17, 0
	s_waitcnt lgkmcnt(0)
	s_waitcnt_vscnt null, 0x0
	s_barrier
	buffer_gl0_inv
	v_cndmask_b32_e64 v18, v29, v27, s7
	ds_load_b32 v17, v17 offset:60
	s_waitcnt lgkmcnt(0)
	s_barrier
	buffer_gl0_inv
	v_cndmask_b32_e64 v18, v18, 0, s2
	s_delay_alu instid0(VALU_DEP_1) | instskip(SKIP_1) | instid1(VALU_DEP_2)
	v_add_nc_u32_e32 v37, v17, v18
	v_add_nc_u32_e64 v17, 0x8400, 0
	v_add_nc_u32_e32 v35, v37, v28
	ds_load_2addr_b32 v[17:18], v17 offset1:2
	v_add_nc_u32_e32 v33, v35, v30
	s_delay_alu instid0(VALU_DEP_1) | instskip(NEXT) | instid1(VALU_DEP_1)
	v_add_nc_u32_e32 v31, v33, v32
	v_add_nc_u32_e32 v29, v31, v34
	s_delay_alu instid0(VALU_DEP_1) | instskip(NEXT) | instid1(VALU_DEP_1)
	v_add_nc_u32_e32 v27, v29, v36
	v_add_nc_u32_e32 v25, v27, v38
	s_delay_alu instid0(VALU_DEP_1)
	v_add_nc_u32_e32 v23, v25, v41
	v_lshrrev_b64 v[21:22], 24, v[19:20]
	s_branch .LBB943_408
.LBB943_398:
                                        ; implicit-def: $vgpr23
                                        ; implicit-def: $vgpr25
                                        ; implicit-def: $vgpr27
                                        ; implicit-def: $vgpr29
                                        ; implicit-def: $vgpr31
                                        ; implicit-def: $vgpr33
                                        ; implicit-def: $vgpr35
                                        ; implicit-def: $vgpr37
                                        ; implicit-def: $vgpr18
	v_lshrrev_b64 v[21:22], 24, v[19:20]
	s_and_b32 vcc_lo, exec_lo, s7
	s_cbranch_vccz .LBB943_408
; %bb.399:
	s_waitcnt lgkmcnt(0)
	v_mov_b32_dpp v17, v44 row_shr:1 row_mask:0xf bank_mask:0xf
	s_delay_alu instid0(VALU_DEP_1) | instskip(NEXT) | instid1(VALU_DEP_1)
	v_cndmask_b32_e64 v17, v17, 0, s3
	v_add_nc_u32_e32 v17, v17, v44
	s_delay_alu instid0(VALU_DEP_1) | instskip(NEXT) | instid1(VALU_DEP_1)
	v_mov_b32_dpp v18, v17 row_shr:2 row_mask:0xf bank_mask:0xf
	v_cndmask_b32_e64 v18, 0, v18, s0
	s_delay_alu instid0(VALU_DEP_1) | instskip(NEXT) | instid1(VALU_DEP_1)
	v_add_nc_u32_e32 v17, v17, v18
	v_mov_b32_dpp v18, v17 row_shr:4 row_mask:0xf bank_mask:0xf
	s_delay_alu instid0(VALU_DEP_1) | instskip(NEXT) | instid1(VALU_DEP_1)
	v_cndmask_b32_e64 v18, 0, v18, s4
	v_add_nc_u32_e32 v17, v17, v18
	s_delay_alu instid0(VALU_DEP_1) | instskip(NEXT) | instid1(VALU_DEP_1)
	v_mov_b32_dpp v18, v17 row_shr:8 row_mask:0xf bank_mask:0xf
	v_cndmask_b32_e64 v18, 0, v18, s1
	s_delay_alu instid0(VALU_DEP_1) | instskip(SKIP_3) | instid1(VALU_DEP_1)
	v_add_nc_u32_e32 v17, v17, v18
	ds_swizzle_b32 v18, v17 offset:swizzle(BROADCAST,32,15)
	s_waitcnt lgkmcnt(0)
	v_cndmask_b32_e64 v18, v18, 0, s6
	v_add_nc_u32_e32 v17, v17, v18
	s_and_saveexec_b32 s6, s5
	s_cbranch_execz .LBB943_401
; %bb.400:
	v_lshlrev_b32_e32 v18, 2, v43
	ds_store_b32 v18, v17
.LBB943_401:
	s_or_b32 exec_lo, exec_lo, s6
	s_delay_alu instid0(SALU_CYCLE_1)
	s_mov_b32 s5, exec_lo
	s_waitcnt lgkmcnt(0)
	s_barrier
	buffer_gl0_inv
	v_cmpx_gt_u32_e32 16, v0
	s_cbranch_execz .LBB943_403
; %bb.402:
	v_lshlrev_b32_e32 v18, 2, v0
	ds_load_b32 v22, v18
	s_waitcnt lgkmcnt(0)
	v_mov_b32_dpp v23, v22 row_shr:1 row_mask:0xf bank_mask:0xf
	s_delay_alu instid0(VALU_DEP_1) | instskip(NEXT) | instid1(VALU_DEP_1)
	v_cndmask_b32_e64 v23, v23, 0, s3
	v_add_nc_u32_e32 v22, v23, v22
	s_delay_alu instid0(VALU_DEP_1) | instskip(NEXT) | instid1(VALU_DEP_1)
	v_mov_b32_dpp v23, v22 row_shr:2 row_mask:0xf bank_mask:0xf
	v_cndmask_b32_e64 v23, 0, v23, s0
	s_delay_alu instid0(VALU_DEP_1) | instskip(NEXT) | instid1(VALU_DEP_1)
	v_add_nc_u32_e32 v22, v22, v23
	v_mov_b32_dpp v23, v22 row_shr:4 row_mask:0xf bank_mask:0xf
	s_delay_alu instid0(VALU_DEP_1) | instskip(NEXT) | instid1(VALU_DEP_1)
	v_cndmask_b32_e64 v23, 0, v23, s4
	v_add_nc_u32_e32 v22, v22, v23
	s_delay_alu instid0(VALU_DEP_1) | instskip(NEXT) | instid1(VALU_DEP_1)
	v_mov_b32_dpp v23, v22 row_shr:8 row_mask:0xf bank_mask:0xf
	v_cndmask_b32_e64 v23, 0, v23, s1
	s_delay_alu instid0(VALU_DEP_1)
	v_add_nc_u32_e32 v22, v22, v23
	ds_store_b32 v18, v22
.LBB943_403:
	s_or_b32 exec_lo, exec_lo, s5
	v_mov_b32_e32 v18, 0
	v_mov_b32_e32 v22, 0
	s_mov_b32 s0, exec_lo
	s_waitcnt lgkmcnt(0)
	s_barrier
	buffer_gl0_inv
	v_cmpx_lt_u32_e32 31, v0
	s_cbranch_execz .LBB943_405
; %bb.404:
	v_lshl_add_u32 v22, v43, 2, -4
	ds_load_b32 v22, v22
.LBB943_405:
	s_or_b32 exec_lo, exec_lo, s0
	v_add_nc_u32_e32 v23, -1, v42
	s_waitcnt lgkmcnt(0)
	v_add_nc_u32_e32 v17, v22, v17
	s_delay_alu instid0(VALU_DEP_2) | instskip(SKIP_1) | instid1(VALU_DEP_1)
	v_cmp_gt_i32_e32 vcc_lo, 0, v23
	v_cndmask_b32_e32 v23, v23, v42, vcc_lo
	v_lshlrev_b32_e32 v23, 2, v23
	ds_bpermute_b32 v23, v23, v17
	ds_load_b32 v17, v18 offset:60
	s_and_saveexec_b32 s0, s2
	s_cbranch_execz .LBB943_407
; %bb.406:
	v_mov_b32_e32 v24, 0
	v_mov_b32_e32 v18, 2
	s_waitcnt lgkmcnt(0)
	global_store_b64 v24, v[17:18], s[18:19] offset:256
.LBB943_407:
	s_or_b32 exec_lo, exec_lo, s0
	v_cmp_eq_u32_e32 vcc_lo, 0, v42
	s_waitcnt lgkmcnt(0)
	s_waitcnt_vscnt null, 0x0
	s_barrier
	buffer_gl0_inv
	v_cndmask_b32_e32 v18, v23, v22, vcc_lo
	s_delay_alu instid0(VALU_DEP_1) | instskip(NEXT) | instid1(VALU_DEP_1)
	v_cndmask_b32_e64 v37, v18, 0, s2
	v_dual_mov_b32 v18, 0 :: v_dual_add_nc_u32 v35, v37, v28
	s_delay_alu instid0(VALU_DEP_1) | instskip(NEXT) | instid1(VALU_DEP_1)
	v_add_nc_u32_e32 v33, v35, v30
	v_add_nc_u32_e32 v31, v33, v32
	s_delay_alu instid0(VALU_DEP_1) | instskip(NEXT) | instid1(VALU_DEP_1)
	v_add_nc_u32_e32 v29, v31, v34
	v_add_nc_u32_e32 v27, v29, v36
	;; [unrolled: 3-line block ×3, first 2 shown]
.LBB943_408:
	s_waitcnt lgkmcnt(0)
	v_cmp_gt_u32_e32 vcc_lo, 0x201, v17
	v_lshrrev_b32_e32 v43, 8, v19
	v_lshrrev_b32_e32 v42, 16, v19
	;; [unrolled: 1-line block ×4, first 2 shown]
	s_mov_b32 s0, -1
	s_cbranch_vccnz .LBB943_412
; %bb.409:
	s_and_b32 vcc_lo, exec_lo, s0
	s_cbranch_vccnz .LBB943_437
.LBB943_410:
	s_and_b32 s0, s2, s13
	s_delay_alu instid0(SALU_CYCLE_1)
	s_and_saveexec_b32 s1, s0
	s_cbranch_execnz .LBB943_457
.LBB943_411:
	s_nop 0
	s_sendmsg sendmsg(MSG_DEALLOC_VGPRS)
	s_endpgm
.LBB943_412:
	v_add_nc_u32_e32 v24, v18, v17
	s_delay_alu instid0(VALU_DEP_1) | instskip(SKIP_1) | instid1(SALU_CYCLE_1)
	v_cmp_lt_u32_e32 vcc_lo, v37, v24
	s_or_b32 s1, s22, vcc_lo
	s_and_saveexec_b32 s0, s1
	s_cbranch_execz .LBB943_415
; %bb.413:
	v_and_b32_e32 v26, 1, v19
	s_delay_alu instid0(VALU_DEP_1)
	v_cmp_eq_u32_e32 vcc_lo, 1, v26
	s_and_b32 exec_lo, exec_lo, vcc_lo
	s_cbranch_execz .LBB943_415
; %bb.414:
	v_mov_b32_e32 v38, 0
	s_lshl_b64 s[4:5], s[10:11], 3
	s_delay_alu instid0(SALU_CYCLE_1) | instskip(SKIP_1) | instid1(VALU_DEP_1)
	s_add_u32 s1, s20, s4
	s_addc_u32 s3, s21, s5
	v_lshlrev_b64 v[44:45], 3, v[37:38]
	s_delay_alu instid0(VALU_DEP_1) | instskip(NEXT) | instid1(VALU_DEP_2)
	v_add_co_u32 v44, vcc_lo, s1, v44
	v_add_co_ci_u32_e32 v45, vcc_lo, s3, v45, vcc_lo
	global_store_b64 v[44:45], v[13:14], off
.LBB943_415:
	s_or_b32 exec_lo, exec_lo, s0
	v_cmp_lt_u32_e32 vcc_lo, v35, v24
	s_or_b32 s1, s22, vcc_lo
	s_delay_alu instid0(SALU_CYCLE_1)
	s_and_saveexec_b32 s0, s1
	s_cbranch_execz .LBB943_418
; %bb.416:
	v_and_b32_e32 v26, 1, v43
	s_delay_alu instid0(VALU_DEP_1)
	v_cmp_eq_u32_e32 vcc_lo, 1, v26
	s_and_b32 exec_lo, exec_lo, vcc_lo
	s_cbranch_execz .LBB943_418
; %bb.417:
	v_mov_b32_e32 v36, 0
	s_lshl_b64 s[4:5], s[10:11], 3
	s_delay_alu instid0(SALU_CYCLE_1) | instskip(SKIP_1) | instid1(VALU_DEP_1)
	s_add_u32 s1, s20, s4
	s_addc_u32 s3, s21, s5
	v_lshlrev_b64 v[44:45], 3, v[35:36]
	s_delay_alu instid0(VALU_DEP_1) | instskip(NEXT) | instid1(VALU_DEP_2)
	v_add_co_u32 v44, vcc_lo, s1, v44
	v_add_co_ci_u32_e32 v45, vcc_lo, s3, v45, vcc_lo
	global_store_b64 v[44:45], v[15:16], off
.LBB943_418:
	s_or_b32 exec_lo, exec_lo, s0
	v_cmp_lt_u32_e32 vcc_lo, v33, v24
	s_or_b32 s1, s22, vcc_lo
	s_delay_alu instid0(SALU_CYCLE_1)
	;; [unrolled: 24-line block ×7, first 2 shown]
	s_and_saveexec_b32 s0, s1
	s_cbranch_execz .LBB943_436
; %bb.434:
	v_and_b32_e32 v24, 1, v40
	s_delay_alu instid0(VALU_DEP_1)
	v_cmp_eq_u32_e32 vcc_lo, 1, v24
	s_and_b32 exec_lo, exec_lo, vcc_lo
	s_cbranch_execz .LBB943_436
; %bb.435:
	v_mov_b32_e32 v24, 0
	s_lshl_b64 s[4:5], s[10:11], 3
	s_delay_alu instid0(SALU_CYCLE_1) | instskip(SKIP_1) | instid1(VALU_DEP_1)
	s_add_u32 s1, s20, s4
	s_addc_u32 s3, s21, s5
	v_lshlrev_b64 v[44:45], 3, v[23:24]
	s_delay_alu instid0(VALU_DEP_1) | instskip(NEXT) | instid1(VALU_DEP_2)
	v_add_co_u32 v44, vcc_lo, s1, v44
	v_add_co_ci_u32_e32 v45, vcc_lo, s3, v45, vcc_lo
	global_store_b64 v[44:45], v[3:4], off
.LBB943_436:
	s_or_b32 exec_lo, exec_lo, s0
	s_branch .LBB943_410
.LBB943_437:
	v_and_b32_e32 v19, 1, v19
	s_mov_b32 s0, exec_lo
	s_delay_alu instid0(VALU_DEP_1)
	v_cmpx_eq_u32_e32 1, v19
	s_cbranch_execz .LBB943_439
; %bb.438:
	v_sub_nc_u32_e32 v19, v37, v18
	s_delay_alu instid0(VALU_DEP_1)
	v_lshlrev_b32_e32 v19, 3, v19
	ds_store_b64 v19, v[13:14]
.LBB943_439:
	s_or_b32 exec_lo, exec_lo, s0
	v_and_b32_e32 v13, 1, v43
	s_mov_b32 s0, exec_lo
	s_delay_alu instid0(VALU_DEP_1)
	v_cmpx_eq_u32_e32 1, v13
	s_cbranch_execz .LBB943_441
; %bb.440:
	v_sub_nc_u32_e32 v13, v35, v18
	s_delay_alu instid0(VALU_DEP_1)
	v_lshlrev_b32_e32 v13, 3, v13
	ds_store_b64 v13, v[15:16]
.LBB943_441:
	s_or_b32 exec_lo, exec_lo, s0
	;; [unrolled: 12-line block ×8, first 2 shown]
	s_delay_alu instid0(SALU_CYCLE_1)
	s_mov_b32 s1, exec_lo
	s_waitcnt lgkmcnt(0)
	s_waitcnt_vscnt null, 0x0
	s_barrier
	buffer_gl0_inv
	v_cmpx_lt_u32_e64 v0, v17
	s_cbranch_execz .LBB943_456
; %bb.454:
	v_dual_mov_b32 v2, 0 :: v_dual_mov_b32 v1, v18
	s_lshl_b64 s[4:5], s[10:11], 3
	s_mov_b32 s3, 0
	s_delay_alu instid0(VALU_DEP_1) | instskip(NEXT) | instid1(VALU_DEP_1)
	v_lshlrev_b64 v[1:2], 3, v[1:2]
	v_add_co_u32 v1, vcc_lo, s4, v1
	s_delay_alu instid0(VALU_DEP_2) | instskip(NEXT) | instid1(VALU_DEP_2)
	v_add_co_ci_u32_e32 v2, vcc_lo, s5, v2, vcc_lo
	v_add_co_u32 v1, vcc_lo, s20, v1
	s_delay_alu instid0(VALU_DEP_2) | instskip(NEXT) | instid1(VALU_DEP_2)
	v_add_co_ci_u32_e32 v2, vcc_lo, s21, v2, vcc_lo
	v_add_co_u32 v1, vcc_lo, v1, v39
	s_delay_alu instid0(VALU_DEP_2)
	v_add_co_ci_u32_e32 v2, vcc_lo, 0, v2, vcc_lo
	.p2align	6
.LBB943_455:                            ; =>This Inner Loop Header: Depth=1
	ds_load_b64 v[3:4], v39
	v_add_nc_u32_e32 v0, 0x200, v0
	v_add_nc_u32_e32 v39, 0x1000, v39
	s_delay_alu instid0(VALU_DEP_2) | instskip(SKIP_4) | instid1(VALU_DEP_1)
	v_cmp_ge_u32_e32 vcc_lo, v0, v17
	s_or_b32 s3, vcc_lo, s3
	s_waitcnt lgkmcnt(0)
	global_store_b64 v[1:2], v[3:4], off
	v_add_co_u32 v1, s0, 0x1000, v1
	v_add_co_ci_u32_e64 v2, s0, 0, v2, s0
	s_and_not1_b32 exec_lo, exec_lo, s3
	s_cbranch_execnz .LBB943_455
.LBB943_456:
	s_or_b32 exec_lo, exec_lo, s1
	s_and_b32 s0, s2, s13
	s_delay_alu instid0(SALU_CYCLE_1)
	s_and_saveexec_b32 s1, s0
	s_cbranch_execz .LBB943_411
.LBB943_457:
	v_add_co_u32 v0, s0, s10, v17
	s_delay_alu instid0(VALU_DEP_1) | instskip(SKIP_1) | instid1(VALU_DEP_3)
	v_add_co_ci_u32_e64 v1, null, s11, 0, s0
	v_mov_b32_e32 v2, 0
	v_add_co_u32 v0, vcc_lo, v0, v18
	s_delay_alu instid0(VALU_DEP_3)
	v_add_co_ci_u32_e32 v1, vcc_lo, 0, v1, vcc_lo
	global_store_b64 v2, v[0:1], s[8:9]
	s_nop 0
	s_sendmsg sendmsg(MSG_DEALLOC_VGPRS)
	s_endpgm
	.section	.rodata,"a",@progbits
	.p2align	6, 0x0
	.amdhsa_kernel _ZN7rocprim17ROCPRIM_400000_NS6detail17trampoline_kernelINS0_14default_configENS1_25partition_config_selectorILNS1_17partition_subalgoE8ElNS0_10empty_typeEbEEZZNS1_14partition_implILS5_8ELb0ES3_jPlPS6_PKS6_NS0_5tupleIJS9_S6_EEENSD_IJSA_SA_EEENS0_18inequality_wrapperIZN2at6native12_GLOBAL__N_124unique_dim_cuda_templateIfEESt5tupleIJNSH_6TensorESM_SM_EERKSM_lbbbEUlllE0_EEPmJS6_EEE10hipError_tPvRmT3_T4_T5_T6_T7_T9_mT8_P12ihipStream_tbDpT10_ENKUlT_T0_E_clISt17integral_constantIbLb1EES1C_EEDaS17_S18_EUlS17_E_NS1_11comp_targetILNS1_3genE9ELNS1_11target_archE1100ELNS1_3gpuE3ELNS1_3repE0EEENS1_30default_config_static_selectorELNS0_4arch9wavefront6targetE0EEEvT1_
		.amdhsa_group_segment_fixed_size 33804
		.amdhsa_private_segment_fixed_size 0
		.amdhsa_kernarg_size 136
		.amdhsa_user_sgpr_count 15
		.amdhsa_user_sgpr_dispatch_ptr 0
		.amdhsa_user_sgpr_queue_ptr 0
		.amdhsa_user_sgpr_kernarg_segment_ptr 1
		.amdhsa_user_sgpr_dispatch_id 0
		.amdhsa_user_sgpr_private_segment_size 0
		.amdhsa_wavefront_size32 1
		.amdhsa_uses_dynamic_stack 0
		.amdhsa_enable_private_segment 0
		.amdhsa_system_sgpr_workgroup_id_x 1
		.amdhsa_system_sgpr_workgroup_id_y 0
		.amdhsa_system_sgpr_workgroup_id_z 0
		.amdhsa_system_sgpr_workgroup_info 0
		.amdhsa_system_vgpr_workitem_id 0
		.amdhsa_next_free_vgpr 52
		.amdhsa_next_free_sgpr 38
		.amdhsa_reserve_vcc 1
		.amdhsa_float_round_mode_32 0
		.amdhsa_float_round_mode_16_64 0
		.amdhsa_float_denorm_mode_32 3
		.amdhsa_float_denorm_mode_16_64 3
		.amdhsa_dx10_clamp 1
		.amdhsa_ieee_mode 1
		.amdhsa_fp16_overflow 0
		.amdhsa_workgroup_processor_mode 1
		.amdhsa_memory_ordered 1
		.amdhsa_forward_progress 0
		.amdhsa_shared_vgpr_count 0
		.amdhsa_exception_fp_ieee_invalid_op 0
		.amdhsa_exception_fp_denorm_src 0
		.amdhsa_exception_fp_ieee_div_zero 0
		.amdhsa_exception_fp_ieee_overflow 0
		.amdhsa_exception_fp_ieee_underflow 0
		.amdhsa_exception_fp_ieee_inexact 0
		.amdhsa_exception_int_div_zero 0
	.end_amdhsa_kernel
	.section	.text._ZN7rocprim17ROCPRIM_400000_NS6detail17trampoline_kernelINS0_14default_configENS1_25partition_config_selectorILNS1_17partition_subalgoE8ElNS0_10empty_typeEbEEZZNS1_14partition_implILS5_8ELb0ES3_jPlPS6_PKS6_NS0_5tupleIJS9_S6_EEENSD_IJSA_SA_EEENS0_18inequality_wrapperIZN2at6native12_GLOBAL__N_124unique_dim_cuda_templateIfEESt5tupleIJNSH_6TensorESM_SM_EERKSM_lbbbEUlllE0_EEPmJS6_EEE10hipError_tPvRmT3_T4_T5_T6_T7_T9_mT8_P12ihipStream_tbDpT10_ENKUlT_T0_E_clISt17integral_constantIbLb1EES1C_EEDaS17_S18_EUlS17_E_NS1_11comp_targetILNS1_3genE9ELNS1_11target_archE1100ELNS1_3gpuE3ELNS1_3repE0EEENS1_30default_config_static_selectorELNS0_4arch9wavefront6targetE0EEEvT1_,"axG",@progbits,_ZN7rocprim17ROCPRIM_400000_NS6detail17trampoline_kernelINS0_14default_configENS1_25partition_config_selectorILNS1_17partition_subalgoE8ElNS0_10empty_typeEbEEZZNS1_14partition_implILS5_8ELb0ES3_jPlPS6_PKS6_NS0_5tupleIJS9_S6_EEENSD_IJSA_SA_EEENS0_18inequality_wrapperIZN2at6native12_GLOBAL__N_124unique_dim_cuda_templateIfEESt5tupleIJNSH_6TensorESM_SM_EERKSM_lbbbEUlllE0_EEPmJS6_EEE10hipError_tPvRmT3_T4_T5_T6_T7_T9_mT8_P12ihipStream_tbDpT10_ENKUlT_T0_E_clISt17integral_constantIbLb1EES1C_EEDaS17_S18_EUlS17_E_NS1_11comp_targetILNS1_3genE9ELNS1_11target_archE1100ELNS1_3gpuE3ELNS1_3repE0EEENS1_30default_config_static_selectorELNS0_4arch9wavefront6targetE0EEEvT1_,comdat
.Lfunc_end943:
	.size	_ZN7rocprim17ROCPRIM_400000_NS6detail17trampoline_kernelINS0_14default_configENS1_25partition_config_selectorILNS1_17partition_subalgoE8ElNS0_10empty_typeEbEEZZNS1_14partition_implILS5_8ELb0ES3_jPlPS6_PKS6_NS0_5tupleIJS9_S6_EEENSD_IJSA_SA_EEENS0_18inequality_wrapperIZN2at6native12_GLOBAL__N_124unique_dim_cuda_templateIfEESt5tupleIJNSH_6TensorESM_SM_EERKSM_lbbbEUlllE0_EEPmJS6_EEE10hipError_tPvRmT3_T4_T5_T6_T7_T9_mT8_P12ihipStream_tbDpT10_ENKUlT_T0_E_clISt17integral_constantIbLb1EES1C_EEDaS17_S18_EUlS17_E_NS1_11comp_targetILNS1_3genE9ELNS1_11target_archE1100ELNS1_3gpuE3ELNS1_3repE0EEENS1_30default_config_static_selectorELNS0_4arch9wavefront6targetE0EEEvT1_, .Lfunc_end943-_ZN7rocprim17ROCPRIM_400000_NS6detail17trampoline_kernelINS0_14default_configENS1_25partition_config_selectorILNS1_17partition_subalgoE8ElNS0_10empty_typeEbEEZZNS1_14partition_implILS5_8ELb0ES3_jPlPS6_PKS6_NS0_5tupleIJS9_S6_EEENSD_IJSA_SA_EEENS0_18inequality_wrapperIZN2at6native12_GLOBAL__N_124unique_dim_cuda_templateIfEESt5tupleIJNSH_6TensorESM_SM_EERKSM_lbbbEUlllE0_EEPmJS6_EEE10hipError_tPvRmT3_T4_T5_T6_T7_T9_mT8_P12ihipStream_tbDpT10_ENKUlT_T0_E_clISt17integral_constantIbLb1EES1C_EEDaS17_S18_EUlS17_E_NS1_11comp_targetILNS1_3genE9ELNS1_11target_archE1100ELNS1_3gpuE3ELNS1_3repE0EEENS1_30default_config_static_selectorELNS0_4arch9wavefront6targetE0EEEvT1_
                                        ; -- End function
	.section	.AMDGPU.csdata,"",@progbits
; Kernel info:
; codeLenInByte = 18392
; NumSgprs: 40
; NumVgprs: 52
; ScratchSize: 0
; MemoryBound: 0
; FloatMode: 240
; IeeeMode: 1
; LDSByteSize: 33804 bytes/workgroup (compile time only)
; SGPRBlocks: 4
; VGPRBlocks: 6
; NumSGPRsForWavesPerEU: 40
; NumVGPRsForWavesPerEU: 52
; Occupancy: 12
; WaveLimiterHint : 1
; COMPUTE_PGM_RSRC2:SCRATCH_EN: 0
; COMPUTE_PGM_RSRC2:USER_SGPR: 15
; COMPUTE_PGM_RSRC2:TRAP_HANDLER: 0
; COMPUTE_PGM_RSRC2:TGID_X_EN: 1
; COMPUTE_PGM_RSRC2:TGID_Y_EN: 0
; COMPUTE_PGM_RSRC2:TGID_Z_EN: 0
; COMPUTE_PGM_RSRC2:TIDIG_COMP_CNT: 0
	.section	.text._ZN7rocprim17ROCPRIM_400000_NS6detail17trampoline_kernelINS0_14default_configENS1_25partition_config_selectorILNS1_17partition_subalgoE8ElNS0_10empty_typeEbEEZZNS1_14partition_implILS5_8ELb0ES3_jPlPS6_PKS6_NS0_5tupleIJS9_S6_EEENSD_IJSA_SA_EEENS0_18inequality_wrapperIZN2at6native12_GLOBAL__N_124unique_dim_cuda_templateIfEESt5tupleIJNSH_6TensorESM_SM_EERKSM_lbbbEUlllE0_EEPmJS6_EEE10hipError_tPvRmT3_T4_T5_T6_T7_T9_mT8_P12ihipStream_tbDpT10_ENKUlT_T0_E_clISt17integral_constantIbLb1EES1C_EEDaS17_S18_EUlS17_E_NS1_11comp_targetILNS1_3genE8ELNS1_11target_archE1030ELNS1_3gpuE2ELNS1_3repE0EEENS1_30default_config_static_selectorELNS0_4arch9wavefront6targetE0EEEvT1_,"axG",@progbits,_ZN7rocprim17ROCPRIM_400000_NS6detail17trampoline_kernelINS0_14default_configENS1_25partition_config_selectorILNS1_17partition_subalgoE8ElNS0_10empty_typeEbEEZZNS1_14partition_implILS5_8ELb0ES3_jPlPS6_PKS6_NS0_5tupleIJS9_S6_EEENSD_IJSA_SA_EEENS0_18inequality_wrapperIZN2at6native12_GLOBAL__N_124unique_dim_cuda_templateIfEESt5tupleIJNSH_6TensorESM_SM_EERKSM_lbbbEUlllE0_EEPmJS6_EEE10hipError_tPvRmT3_T4_T5_T6_T7_T9_mT8_P12ihipStream_tbDpT10_ENKUlT_T0_E_clISt17integral_constantIbLb1EES1C_EEDaS17_S18_EUlS17_E_NS1_11comp_targetILNS1_3genE8ELNS1_11target_archE1030ELNS1_3gpuE2ELNS1_3repE0EEENS1_30default_config_static_selectorELNS0_4arch9wavefront6targetE0EEEvT1_,comdat
	.globl	_ZN7rocprim17ROCPRIM_400000_NS6detail17trampoline_kernelINS0_14default_configENS1_25partition_config_selectorILNS1_17partition_subalgoE8ElNS0_10empty_typeEbEEZZNS1_14partition_implILS5_8ELb0ES3_jPlPS6_PKS6_NS0_5tupleIJS9_S6_EEENSD_IJSA_SA_EEENS0_18inequality_wrapperIZN2at6native12_GLOBAL__N_124unique_dim_cuda_templateIfEESt5tupleIJNSH_6TensorESM_SM_EERKSM_lbbbEUlllE0_EEPmJS6_EEE10hipError_tPvRmT3_T4_T5_T6_T7_T9_mT8_P12ihipStream_tbDpT10_ENKUlT_T0_E_clISt17integral_constantIbLb1EES1C_EEDaS17_S18_EUlS17_E_NS1_11comp_targetILNS1_3genE8ELNS1_11target_archE1030ELNS1_3gpuE2ELNS1_3repE0EEENS1_30default_config_static_selectorELNS0_4arch9wavefront6targetE0EEEvT1_ ; -- Begin function _ZN7rocprim17ROCPRIM_400000_NS6detail17trampoline_kernelINS0_14default_configENS1_25partition_config_selectorILNS1_17partition_subalgoE8ElNS0_10empty_typeEbEEZZNS1_14partition_implILS5_8ELb0ES3_jPlPS6_PKS6_NS0_5tupleIJS9_S6_EEENSD_IJSA_SA_EEENS0_18inequality_wrapperIZN2at6native12_GLOBAL__N_124unique_dim_cuda_templateIfEESt5tupleIJNSH_6TensorESM_SM_EERKSM_lbbbEUlllE0_EEPmJS6_EEE10hipError_tPvRmT3_T4_T5_T6_T7_T9_mT8_P12ihipStream_tbDpT10_ENKUlT_T0_E_clISt17integral_constantIbLb1EES1C_EEDaS17_S18_EUlS17_E_NS1_11comp_targetILNS1_3genE8ELNS1_11target_archE1030ELNS1_3gpuE2ELNS1_3repE0EEENS1_30default_config_static_selectorELNS0_4arch9wavefront6targetE0EEEvT1_
	.p2align	8
	.type	_ZN7rocprim17ROCPRIM_400000_NS6detail17trampoline_kernelINS0_14default_configENS1_25partition_config_selectorILNS1_17partition_subalgoE8ElNS0_10empty_typeEbEEZZNS1_14partition_implILS5_8ELb0ES3_jPlPS6_PKS6_NS0_5tupleIJS9_S6_EEENSD_IJSA_SA_EEENS0_18inequality_wrapperIZN2at6native12_GLOBAL__N_124unique_dim_cuda_templateIfEESt5tupleIJNSH_6TensorESM_SM_EERKSM_lbbbEUlllE0_EEPmJS6_EEE10hipError_tPvRmT3_T4_T5_T6_T7_T9_mT8_P12ihipStream_tbDpT10_ENKUlT_T0_E_clISt17integral_constantIbLb1EES1C_EEDaS17_S18_EUlS17_E_NS1_11comp_targetILNS1_3genE8ELNS1_11target_archE1030ELNS1_3gpuE2ELNS1_3repE0EEENS1_30default_config_static_selectorELNS0_4arch9wavefront6targetE0EEEvT1_,@function
_ZN7rocprim17ROCPRIM_400000_NS6detail17trampoline_kernelINS0_14default_configENS1_25partition_config_selectorILNS1_17partition_subalgoE8ElNS0_10empty_typeEbEEZZNS1_14partition_implILS5_8ELb0ES3_jPlPS6_PKS6_NS0_5tupleIJS9_S6_EEENSD_IJSA_SA_EEENS0_18inequality_wrapperIZN2at6native12_GLOBAL__N_124unique_dim_cuda_templateIfEESt5tupleIJNSH_6TensorESM_SM_EERKSM_lbbbEUlllE0_EEPmJS6_EEE10hipError_tPvRmT3_T4_T5_T6_T7_T9_mT8_P12ihipStream_tbDpT10_ENKUlT_T0_E_clISt17integral_constantIbLb1EES1C_EEDaS17_S18_EUlS17_E_NS1_11comp_targetILNS1_3genE8ELNS1_11target_archE1030ELNS1_3gpuE2ELNS1_3repE0EEENS1_30default_config_static_selectorELNS0_4arch9wavefront6targetE0EEEvT1_: ; @_ZN7rocprim17ROCPRIM_400000_NS6detail17trampoline_kernelINS0_14default_configENS1_25partition_config_selectorILNS1_17partition_subalgoE8ElNS0_10empty_typeEbEEZZNS1_14partition_implILS5_8ELb0ES3_jPlPS6_PKS6_NS0_5tupleIJS9_S6_EEENSD_IJSA_SA_EEENS0_18inequality_wrapperIZN2at6native12_GLOBAL__N_124unique_dim_cuda_templateIfEESt5tupleIJNSH_6TensorESM_SM_EERKSM_lbbbEUlllE0_EEPmJS6_EEE10hipError_tPvRmT3_T4_T5_T6_T7_T9_mT8_P12ihipStream_tbDpT10_ENKUlT_T0_E_clISt17integral_constantIbLb1EES1C_EEDaS17_S18_EUlS17_E_NS1_11comp_targetILNS1_3genE8ELNS1_11target_archE1030ELNS1_3gpuE2ELNS1_3repE0EEENS1_30default_config_static_selectorELNS0_4arch9wavefront6targetE0EEEvT1_
; %bb.0:
	.section	.rodata,"a",@progbits
	.p2align	6, 0x0
	.amdhsa_kernel _ZN7rocprim17ROCPRIM_400000_NS6detail17trampoline_kernelINS0_14default_configENS1_25partition_config_selectorILNS1_17partition_subalgoE8ElNS0_10empty_typeEbEEZZNS1_14partition_implILS5_8ELb0ES3_jPlPS6_PKS6_NS0_5tupleIJS9_S6_EEENSD_IJSA_SA_EEENS0_18inequality_wrapperIZN2at6native12_GLOBAL__N_124unique_dim_cuda_templateIfEESt5tupleIJNSH_6TensorESM_SM_EERKSM_lbbbEUlllE0_EEPmJS6_EEE10hipError_tPvRmT3_T4_T5_T6_T7_T9_mT8_P12ihipStream_tbDpT10_ENKUlT_T0_E_clISt17integral_constantIbLb1EES1C_EEDaS17_S18_EUlS17_E_NS1_11comp_targetILNS1_3genE8ELNS1_11target_archE1030ELNS1_3gpuE2ELNS1_3repE0EEENS1_30default_config_static_selectorELNS0_4arch9wavefront6targetE0EEEvT1_
		.amdhsa_group_segment_fixed_size 0
		.amdhsa_private_segment_fixed_size 0
		.amdhsa_kernarg_size 136
		.amdhsa_user_sgpr_count 15
		.amdhsa_user_sgpr_dispatch_ptr 0
		.amdhsa_user_sgpr_queue_ptr 0
		.amdhsa_user_sgpr_kernarg_segment_ptr 1
		.amdhsa_user_sgpr_dispatch_id 0
		.amdhsa_user_sgpr_private_segment_size 0
		.amdhsa_wavefront_size32 1
		.amdhsa_uses_dynamic_stack 0
		.amdhsa_enable_private_segment 0
		.amdhsa_system_sgpr_workgroup_id_x 1
		.amdhsa_system_sgpr_workgroup_id_y 0
		.amdhsa_system_sgpr_workgroup_id_z 0
		.amdhsa_system_sgpr_workgroup_info 0
		.amdhsa_system_vgpr_workitem_id 0
		.amdhsa_next_free_vgpr 1
		.amdhsa_next_free_sgpr 1
		.amdhsa_reserve_vcc 0
		.amdhsa_float_round_mode_32 0
		.amdhsa_float_round_mode_16_64 0
		.amdhsa_float_denorm_mode_32 3
		.amdhsa_float_denorm_mode_16_64 3
		.amdhsa_dx10_clamp 1
		.amdhsa_ieee_mode 1
		.amdhsa_fp16_overflow 0
		.amdhsa_workgroup_processor_mode 1
		.amdhsa_memory_ordered 1
		.amdhsa_forward_progress 0
		.amdhsa_shared_vgpr_count 0
		.amdhsa_exception_fp_ieee_invalid_op 0
		.amdhsa_exception_fp_denorm_src 0
		.amdhsa_exception_fp_ieee_div_zero 0
		.amdhsa_exception_fp_ieee_overflow 0
		.amdhsa_exception_fp_ieee_underflow 0
		.amdhsa_exception_fp_ieee_inexact 0
		.amdhsa_exception_int_div_zero 0
	.end_amdhsa_kernel
	.section	.text._ZN7rocprim17ROCPRIM_400000_NS6detail17trampoline_kernelINS0_14default_configENS1_25partition_config_selectorILNS1_17partition_subalgoE8ElNS0_10empty_typeEbEEZZNS1_14partition_implILS5_8ELb0ES3_jPlPS6_PKS6_NS0_5tupleIJS9_S6_EEENSD_IJSA_SA_EEENS0_18inequality_wrapperIZN2at6native12_GLOBAL__N_124unique_dim_cuda_templateIfEESt5tupleIJNSH_6TensorESM_SM_EERKSM_lbbbEUlllE0_EEPmJS6_EEE10hipError_tPvRmT3_T4_T5_T6_T7_T9_mT8_P12ihipStream_tbDpT10_ENKUlT_T0_E_clISt17integral_constantIbLb1EES1C_EEDaS17_S18_EUlS17_E_NS1_11comp_targetILNS1_3genE8ELNS1_11target_archE1030ELNS1_3gpuE2ELNS1_3repE0EEENS1_30default_config_static_selectorELNS0_4arch9wavefront6targetE0EEEvT1_,"axG",@progbits,_ZN7rocprim17ROCPRIM_400000_NS6detail17trampoline_kernelINS0_14default_configENS1_25partition_config_selectorILNS1_17partition_subalgoE8ElNS0_10empty_typeEbEEZZNS1_14partition_implILS5_8ELb0ES3_jPlPS6_PKS6_NS0_5tupleIJS9_S6_EEENSD_IJSA_SA_EEENS0_18inequality_wrapperIZN2at6native12_GLOBAL__N_124unique_dim_cuda_templateIfEESt5tupleIJNSH_6TensorESM_SM_EERKSM_lbbbEUlllE0_EEPmJS6_EEE10hipError_tPvRmT3_T4_T5_T6_T7_T9_mT8_P12ihipStream_tbDpT10_ENKUlT_T0_E_clISt17integral_constantIbLb1EES1C_EEDaS17_S18_EUlS17_E_NS1_11comp_targetILNS1_3genE8ELNS1_11target_archE1030ELNS1_3gpuE2ELNS1_3repE0EEENS1_30default_config_static_selectorELNS0_4arch9wavefront6targetE0EEEvT1_,comdat
.Lfunc_end944:
	.size	_ZN7rocprim17ROCPRIM_400000_NS6detail17trampoline_kernelINS0_14default_configENS1_25partition_config_selectorILNS1_17partition_subalgoE8ElNS0_10empty_typeEbEEZZNS1_14partition_implILS5_8ELb0ES3_jPlPS6_PKS6_NS0_5tupleIJS9_S6_EEENSD_IJSA_SA_EEENS0_18inequality_wrapperIZN2at6native12_GLOBAL__N_124unique_dim_cuda_templateIfEESt5tupleIJNSH_6TensorESM_SM_EERKSM_lbbbEUlllE0_EEPmJS6_EEE10hipError_tPvRmT3_T4_T5_T6_T7_T9_mT8_P12ihipStream_tbDpT10_ENKUlT_T0_E_clISt17integral_constantIbLb1EES1C_EEDaS17_S18_EUlS17_E_NS1_11comp_targetILNS1_3genE8ELNS1_11target_archE1030ELNS1_3gpuE2ELNS1_3repE0EEENS1_30default_config_static_selectorELNS0_4arch9wavefront6targetE0EEEvT1_, .Lfunc_end944-_ZN7rocprim17ROCPRIM_400000_NS6detail17trampoline_kernelINS0_14default_configENS1_25partition_config_selectorILNS1_17partition_subalgoE8ElNS0_10empty_typeEbEEZZNS1_14partition_implILS5_8ELb0ES3_jPlPS6_PKS6_NS0_5tupleIJS9_S6_EEENSD_IJSA_SA_EEENS0_18inequality_wrapperIZN2at6native12_GLOBAL__N_124unique_dim_cuda_templateIfEESt5tupleIJNSH_6TensorESM_SM_EERKSM_lbbbEUlllE0_EEPmJS6_EEE10hipError_tPvRmT3_T4_T5_T6_T7_T9_mT8_P12ihipStream_tbDpT10_ENKUlT_T0_E_clISt17integral_constantIbLb1EES1C_EEDaS17_S18_EUlS17_E_NS1_11comp_targetILNS1_3genE8ELNS1_11target_archE1030ELNS1_3gpuE2ELNS1_3repE0EEENS1_30default_config_static_selectorELNS0_4arch9wavefront6targetE0EEEvT1_
                                        ; -- End function
	.section	.AMDGPU.csdata,"",@progbits
; Kernel info:
; codeLenInByte = 0
; NumSgprs: 0
; NumVgprs: 0
; ScratchSize: 0
; MemoryBound: 0
; FloatMode: 240
; IeeeMode: 1
; LDSByteSize: 0 bytes/workgroup (compile time only)
; SGPRBlocks: 0
; VGPRBlocks: 0
; NumSGPRsForWavesPerEU: 1
; NumVGPRsForWavesPerEU: 1
; Occupancy: 16
; WaveLimiterHint : 0
; COMPUTE_PGM_RSRC2:SCRATCH_EN: 0
; COMPUTE_PGM_RSRC2:USER_SGPR: 15
; COMPUTE_PGM_RSRC2:TRAP_HANDLER: 0
; COMPUTE_PGM_RSRC2:TGID_X_EN: 1
; COMPUTE_PGM_RSRC2:TGID_Y_EN: 0
; COMPUTE_PGM_RSRC2:TGID_Z_EN: 0
; COMPUTE_PGM_RSRC2:TIDIG_COMP_CNT: 0
	.section	.text._ZN7rocprim17ROCPRIM_400000_NS6detail17trampoline_kernelINS0_14default_configENS1_25partition_config_selectorILNS1_17partition_subalgoE8ElNS0_10empty_typeEbEEZZNS1_14partition_implILS5_8ELb0ES3_jPlPS6_PKS6_NS0_5tupleIJS9_S6_EEENSD_IJSA_SA_EEENS0_18inequality_wrapperIZN2at6native12_GLOBAL__N_124unique_dim_cuda_templateIfEESt5tupleIJNSH_6TensorESM_SM_EERKSM_lbbbEUlllE0_EEPmJS6_EEE10hipError_tPvRmT3_T4_T5_T6_T7_T9_mT8_P12ihipStream_tbDpT10_ENKUlT_T0_E_clISt17integral_constantIbLb1EES1B_IbLb0EEEEDaS17_S18_EUlS17_E_NS1_11comp_targetILNS1_3genE0ELNS1_11target_archE4294967295ELNS1_3gpuE0ELNS1_3repE0EEENS1_30default_config_static_selectorELNS0_4arch9wavefront6targetE0EEEvT1_,"axG",@progbits,_ZN7rocprim17ROCPRIM_400000_NS6detail17trampoline_kernelINS0_14default_configENS1_25partition_config_selectorILNS1_17partition_subalgoE8ElNS0_10empty_typeEbEEZZNS1_14partition_implILS5_8ELb0ES3_jPlPS6_PKS6_NS0_5tupleIJS9_S6_EEENSD_IJSA_SA_EEENS0_18inequality_wrapperIZN2at6native12_GLOBAL__N_124unique_dim_cuda_templateIfEESt5tupleIJNSH_6TensorESM_SM_EERKSM_lbbbEUlllE0_EEPmJS6_EEE10hipError_tPvRmT3_T4_T5_T6_T7_T9_mT8_P12ihipStream_tbDpT10_ENKUlT_T0_E_clISt17integral_constantIbLb1EES1B_IbLb0EEEEDaS17_S18_EUlS17_E_NS1_11comp_targetILNS1_3genE0ELNS1_11target_archE4294967295ELNS1_3gpuE0ELNS1_3repE0EEENS1_30default_config_static_selectorELNS0_4arch9wavefront6targetE0EEEvT1_,comdat
	.globl	_ZN7rocprim17ROCPRIM_400000_NS6detail17trampoline_kernelINS0_14default_configENS1_25partition_config_selectorILNS1_17partition_subalgoE8ElNS0_10empty_typeEbEEZZNS1_14partition_implILS5_8ELb0ES3_jPlPS6_PKS6_NS0_5tupleIJS9_S6_EEENSD_IJSA_SA_EEENS0_18inequality_wrapperIZN2at6native12_GLOBAL__N_124unique_dim_cuda_templateIfEESt5tupleIJNSH_6TensorESM_SM_EERKSM_lbbbEUlllE0_EEPmJS6_EEE10hipError_tPvRmT3_T4_T5_T6_T7_T9_mT8_P12ihipStream_tbDpT10_ENKUlT_T0_E_clISt17integral_constantIbLb1EES1B_IbLb0EEEEDaS17_S18_EUlS17_E_NS1_11comp_targetILNS1_3genE0ELNS1_11target_archE4294967295ELNS1_3gpuE0ELNS1_3repE0EEENS1_30default_config_static_selectorELNS0_4arch9wavefront6targetE0EEEvT1_ ; -- Begin function _ZN7rocprim17ROCPRIM_400000_NS6detail17trampoline_kernelINS0_14default_configENS1_25partition_config_selectorILNS1_17partition_subalgoE8ElNS0_10empty_typeEbEEZZNS1_14partition_implILS5_8ELb0ES3_jPlPS6_PKS6_NS0_5tupleIJS9_S6_EEENSD_IJSA_SA_EEENS0_18inequality_wrapperIZN2at6native12_GLOBAL__N_124unique_dim_cuda_templateIfEESt5tupleIJNSH_6TensorESM_SM_EERKSM_lbbbEUlllE0_EEPmJS6_EEE10hipError_tPvRmT3_T4_T5_T6_T7_T9_mT8_P12ihipStream_tbDpT10_ENKUlT_T0_E_clISt17integral_constantIbLb1EES1B_IbLb0EEEEDaS17_S18_EUlS17_E_NS1_11comp_targetILNS1_3genE0ELNS1_11target_archE4294967295ELNS1_3gpuE0ELNS1_3repE0EEENS1_30default_config_static_selectorELNS0_4arch9wavefront6targetE0EEEvT1_
	.p2align	8
	.type	_ZN7rocprim17ROCPRIM_400000_NS6detail17trampoline_kernelINS0_14default_configENS1_25partition_config_selectorILNS1_17partition_subalgoE8ElNS0_10empty_typeEbEEZZNS1_14partition_implILS5_8ELb0ES3_jPlPS6_PKS6_NS0_5tupleIJS9_S6_EEENSD_IJSA_SA_EEENS0_18inequality_wrapperIZN2at6native12_GLOBAL__N_124unique_dim_cuda_templateIfEESt5tupleIJNSH_6TensorESM_SM_EERKSM_lbbbEUlllE0_EEPmJS6_EEE10hipError_tPvRmT3_T4_T5_T6_T7_T9_mT8_P12ihipStream_tbDpT10_ENKUlT_T0_E_clISt17integral_constantIbLb1EES1B_IbLb0EEEEDaS17_S18_EUlS17_E_NS1_11comp_targetILNS1_3genE0ELNS1_11target_archE4294967295ELNS1_3gpuE0ELNS1_3repE0EEENS1_30default_config_static_selectorELNS0_4arch9wavefront6targetE0EEEvT1_,@function
_ZN7rocprim17ROCPRIM_400000_NS6detail17trampoline_kernelINS0_14default_configENS1_25partition_config_selectorILNS1_17partition_subalgoE8ElNS0_10empty_typeEbEEZZNS1_14partition_implILS5_8ELb0ES3_jPlPS6_PKS6_NS0_5tupleIJS9_S6_EEENSD_IJSA_SA_EEENS0_18inequality_wrapperIZN2at6native12_GLOBAL__N_124unique_dim_cuda_templateIfEESt5tupleIJNSH_6TensorESM_SM_EERKSM_lbbbEUlllE0_EEPmJS6_EEE10hipError_tPvRmT3_T4_T5_T6_T7_T9_mT8_P12ihipStream_tbDpT10_ENKUlT_T0_E_clISt17integral_constantIbLb1EES1B_IbLb0EEEEDaS17_S18_EUlS17_E_NS1_11comp_targetILNS1_3genE0ELNS1_11target_archE4294967295ELNS1_3gpuE0ELNS1_3repE0EEENS1_30default_config_static_selectorELNS0_4arch9wavefront6targetE0EEEvT1_: ; @_ZN7rocprim17ROCPRIM_400000_NS6detail17trampoline_kernelINS0_14default_configENS1_25partition_config_selectorILNS1_17partition_subalgoE8ElNS0_10empty_typeEbEEZZNS1_14partition_implILS5_8ELb0ES3_jPlPS6_PKS6_NS0_5tupleIJS9_S6_EEENSD_IJSA_SA_EEENS0_18inequality_wrapperIZN2at6native12_GLOBAL__N_124unique_dim_cuda_templateIfEESt5tupleIJNSH_6TensorESM_SM_EERKSM_lbbbEUlllE0_EEPmJS6_EEE10hipError_tPvRmT3_T4_T5_T6_T7_T9_mT8_P12ihipStream_tbDpT10_ENKUlT_T0_E_clISt17integral_constantIbLb1EES1B_IbLb0EEEEDaS17_S18_EUlS17_E_NS1_11comp_targetILNS1_3genE0ELNS1_11target_archE4294967295ELNS1_3gpuE0ELNS1_3repE0EEENS1_30default_config_static_selectorELNS0_4arch9wavefront6targetE0EEEvT1_
; %bb.0:
	.section	.rodata,"a",@progbits
	.p2align	6, 0x0
	.amdhsa_kernel _ZN7rocprim17ROCPRIM_400000_NS6detail17trampoline_kernelINS0_14default_configENS1_25partition_config_selectorILNS1_17partition_subalgoE8ElNS0_10empty_typeEbEEZZNS1_14partition_implILS5_8ELb0ES3_jPlPS6_PKS6_NS0_5tupleIJS9_S6_EEENSD_IJSA_SA_EEENS0_18inequality_wrapperIZN2at6native12_GLOBAL__N_124unique_dim_cuda_templateIfEESt5tupleIJNSH_6TensorESM_SM_EERKSM_lbbbEUlllE0_EEPmJS6_EEE10hipError_tPvRmT3_T4_T5_T6_T7_T9_mT8_P12ihipStream_tbDpT10_ENKUlT_T0_E_clISt17integral_constantIbLb1EES1B_IbLb0EEEEDaS17_S18_EUlS17_E_NS1_11comp_targetILNS1_3genE0ELNS1_11target_archE4294967295ELNS1_3gpuE0ELNS1_3repE0EEENS1_30default_config_static_selectorELNS0_4arch9wavefront6targetE0EEEvT1_
		.amdhsa_group_segment_fixed_size 0
		.amdhsa_private_segment_fixed_size 0
		.amdhsa_kernarg_size 120
		.amdhsa_user_sgpr_count 15
		.amdhsa_user_sgpr_dispatch_ptr 0
		.amdhsa_user_sgpr_queue_ptr 0
		.amdhsa_user_sgpr_kernarg_segment_ptr 1
		.amdhsa_user_sgpr_dispatch_id 0
		.amdhsa_user_sgpr_private_segment_size 0
		.amdhsa_wavefront_size32 1
		.amdhsa_uses_dynamic_stack 0
		.amdhsa_enable_private_segment 0
		.amdhsa_system_sgpr_workgroup_id_x 1
		.amdhsa_system_sgpr_workgroup_id_y 0
		.amdhsa_system_sgpr_workgroup_id_z 0
		.amdhsa_system_sgpr_workgroup_info 0
		.amdhsa_system_vgpr_workitem_id 0
		.amdhsa_next_free_vgpr 1
		.amdhsa_next_free_sgpr 1
		.amdhsa_reserve_vcc 0
		.amdhsa_float_round_mode_32 0
		.amdhsa_float_round_mode_16_64 0
		.amdhsa_float_denorm_mode_32 3
		.amdhsa_float_denorm_mode_16_64 3
		.amdhsa_dx10_clamp 1
		.amdhsa_ieee_mode 1
		.amdhsa_fp16_overflow 0
		.amdhsa_workgroup_processor_mode 1
		.amdhsa_memory_ordered 1
		.amdhsa_forward_progress 0
		.amdhsa_shared_vgpr_count 0
		.amdhsa_exception_fp_ieee_invalid_op 0
		.amdhsa_exception_fp_denorm_src 0
		.amdhsa_exception_fp_ieee_div_zero 0
		.amdhsa_exception_fp_ieee_overflow 0
		.amdhsa_exception_fp_ieee_underflow 0
		.amdhsa_exception_fp_ieee_inexact 0
		.amdhsa_exception_int_div_zero 0
	.end_amdhsa_kernel
	.section	.text._ZN7rocprim17ROCPRIM_400000_NS6detail17trampoline_kernelINS0_14default_configENS1_25partition_config_selectorILNS1_17partition_subalgoE8ElNS0_10empty_typeEbEEZZNS1_14partition_implILS5_8ELb0ES3_jPlPS6_PKS6_NS0_5tupleIJS9_S6_EEENSD_IJSA_SA_EEENS0_18inequality_wrapperIZN2at6native12_GLOBAL__N_124unique_dim_cuda_templateIfEESt5tupleIJNSH_6TensorESM_SM_EERKSM_lbbbEUlllE0_EEPmJS6_EEE10hipError_tPvRmT3_T4_T5_T6_T7_T9_mT8_P12ihipStream_tbDpT10_ENKUlT_T0_E_clISt17integral_constantIbLb1EES1B_IbLb0EEEEDaS17_S18_EUlS17_E_NS1_11comp_targetILNS1_3genE0ELNS1_11target_archE4294967295ELNS1_3gpuE0ELNS1_3repE0EEENS1_30default_config_static_selectorELNS0_4arch9wavefront6targetE0EEEvT1_,"axG",@progbits,_ZN7rocprim17ROCPRIM_400000_NS6detail17trampoline_kernelINS0_14default_configENS1_25partition_config_selectorILNS1_17partition_subalgoE8ElNS0_10empty_typeEbEEZZNS1_14partition_implILS5_8ELb0ES3_jPlPS6_PKS6_NS0_5tupleIJS9_S6_EEENSD_IJSA_SA_EEENS0_18inequality_wrapperIZN2at6native12_GLOBAL__N_124unique_dim_cuda_templateIfEESt5tupleIJNSH_6TensorESM_SM_EERKSM_lbbbEUlllE0_EEPmJS6_EEE10hipError_tPvRmT3_T4_T5_T6_T7_T9_mT8_P12ihipStream_tbDpT10_ENKUlT_T0_E_clISt17integral_constantIbLb1EES1B_IbLb0EEEEDaS17_S18_EUlS17_E_NS1_11comp_targetILNS1_3genE0ELNS1_11target_archE4294967295ELNS1_3gpuE0ELNS1_3repE0EEENS1_30default_config_static_selectorELNS0_4arch9wavefront6targetE0EEEvT1_,comdat
.Lfunc_end945:
	.size	_ZN7rocprim17ROCPRIM_400000_NS6detail17trampoline_kernelINS0_14default_configENS1_25partition_config_selectorILNS1_17partition_subalgoE8ElNS0_10empty_typeEbEEZZNS1_14partition_implILS5_8ELb0ES3_jPlPS6_PKS6_NS0_5tupleIJS9_S6_EEENSD_IJSA_SA_EEENS0_18inequality_wrapperIZN2at6native12_GLOBAL__N_124unique_dim_cuda_templateIfEESt5tupleIJNSH_6TensorESM_SM_EERKSM_lbbbEUlllE0_EEPmJS6_EEE10hipError_tPvRmT3_T4_T5_T6_T7_T9_mT8_P12ihipStream_tbDpT10_ENKUlT_T0_E_clISt17integral_constantIbLb1EES1B_IbLb0EEEEDaS17_S18_EUlS17_E_NS1_11comp_targetILNS1_3genE0ELNS1_11target_archE4294967295ELNS1_3gpuE0ELNS1_3repE0EEENS1_30default_config_static_selectorELNS0_4arch9wavefront6targetE0EEEvT1_, .Lfunc_end945-_ZN7rocprim17ROCPRIM_400000_NS6detail17trampoline_kernelINS0_14default_configENS1_25partition_config_selectorILNS1_17partition_subalgoE8ElNS0_10empty_typeEbEEZZNS1_14partition_implILS5_8ELb0ES3_jPlPS6_PKS6_NS0_5tupleIJS9_S6_EEENSD_IJSA_SA_EEENS0_18inequality_wrapperIZN2at6native12_GLOBAL__N_124unique_dim_cuda_templateIfEESt5tupleIJNSH_6TensorESM_SM_EERKSM_lbbbEUlllE0_EEPmJS6_EEE10hipError_tPvRmT3_T4_T5_T6_T7_T9_mT8_P12ihipStream_tbDpT10_ENKUlT_T0_E_clISt17integral_constantIbLb1EES1B_IbLb0EEEEDaS17_S18_EUlS17_E_NS1_11comp_targetILNS1_3genE0ELNS1_11target_archE4294967295ELNS1_3gpuE0ELNS1_3repE0EEENS1_30default_config_static_selectorELNS0_4arch9wavefront6targetE0EEEvT1_
                                        ; -- End function
	.section	.AMDGPU.csdata,"",@progbits
; Kernel info:
; codeLenInByte = 0
; NumSgprs: 0
; NumVgprs: 0
; ScratchSize: 0
; MemoryBound: 0
; FloatMode: 240
; IeeeMode: 1
; LDSByteSize: 0 bytes/workgroup (compile time only)
; SGPRBlocks: 0
; VGPRBlocks: 0
; NumSGPRsForWavesPerEU: 1
; NumVGPRsForWavesPerEU: 1
; Occupancy: 16
; WaveLimiterHint : 0
; COMPUTE_PGM_RSRC2:SCRATCH_EN: 0
; COMPUTE_PGM_RSRC2:USER_SGPR: 15
; COMPUTE_PGM_RSRC2:TRAP_HANDLER: 0
; COMPUTE_PGM_RSRC2:TGID_X_EN: 1
; COMPUTE_PGM_RSRC2:TGID_Y_EN: 0
; COMPUTE_PGM_RSRC2:TGID_Z_EN: 0
; COMPUTE_PGM_RSRC2:TIDIG_COMP_CNT: 0
	.section	.text._ZN7rocprim17ROCPRIM_400000_NS6detail17trampoline_kernelINS0_14default_configENS1_25partition_config_selectorILNS1_17partition_subalgoE8ElNS0_10empty_typeEbEEZZNS1_14partition_implILS5_8ELb0ES3_jPlPS6_PKS6_NS0_5tupleIJS9_S6_EEENSD_IJSA_SA_EEENS0_18inequality_wrapperIZN2at6native12_GLOBAL__N_124unique_dim_cuda_templateIfEESt5tupleIJNSH_6TensorESM_SM_EERKSM_lbbbEUlllE0_EEPmJS6_EEE10hipError_tPvRmT3_T4_T5_T6_T7_T9_mT8_P12ihipStream_tbDpT10_ENKUlT_T0_E_clISt17integral_constantIbLb1EES1B_IbLb0EEEEDaS17_S18_EUlS17_E_NS1_11comp_targetILNS1_3genE5ELNS1_11target_archE942ELNS1_3gpuE9ELNS1_3repE0EEENS1_30default_config_static_selectorELNS0_4arch9wavefront6targetE0EEEvT1_,"axG",@progbits,_ZN7rocprim17ROCPRIM_400000_NS6detail17trampoline_kernelINS0_14default_configENS1_25partition_config_selectorILNS1_17partition_subalgoE8ElNS0_10empty_typeEbEEZZNS1_14partition_implILS5_8ELb0ES3_jPlPS6_PKS6_NS0_5tupleIJS9_S6_EEENSD_IJSA_SA_EEENS0_18inequality_wrapperIZN2at6native12_GLOBAL__N_124unique_dim_cuda_templateIfEESt5tupleIJNSH_6TensorESM_SM_EERKSM_lbbbEUlllE0_EEPmJS6_EEE10hipError_tPvRmT3_T4_T5_T6_T7_T9_mT8_P12ihipStream_tbDpT10_ENKUlT_T0_E_clISt17integral_constantIbLb1EES1B_IbLb0EEEEDaS17_S18_EUlS17_E_NS1_11comp_targetILNS1_3genE5ELNS1_11target_archE942ELNS1_3gpuE9ELNS1_3repE0EEENS1_30default_config_static_selectorELNS0_4arch9wavefront6targetE0EEEvT1_,comdat
	.globl	_ZN7rocprim17ROCPRIM_400000_NS6detail17trampoline_kernelINS0_14default_configENS1_25partition_config_selectorILNS1_17partition_subalgoE8ElNS0_10empty_typeEbEEZZNS1_14partition_implILS5_8ELb0ES3_jPlPS6_PKS6_NS0_5tupleIJS9_S6_EEENSD_IJSA_SA_EEENS0_18inequality_wrapperIZN2at6native12_GLOBAL__N_124unique_dim_cuda_templateIfEESt5tupleIJNSH_6TensorESM_SM_EERKSM_lbbbEUlllE0_EEPmJS6_EEE10hipError_tPvRmT3_T4_T5_T6_T7_T9_mT8_P12ihipStream_tbDpT10_ENKUlT_T0_E_clISt17integral_constantIbLb1EES1B_IbLb0EEEEDaS17_S18_EUlS17_E_NS1_11comp_targetILNS1_3genE5ELNS1_11target_archE942ELNS1_3gpuE9ELNS1_3repE0EEENS1_30default_config_static_selectorELNS0_4arch9wavefront6targetE0EEEvT1_ ; -- Begin function _ZN7rocprim17ROCPRIM_400000_NS6detail17trampoline_kernelINS0_14default_configENS1_25partition_config_selectorILNS1_17partition_subalgoE8ElNS0_10empty_typeEbEEZZNS1_14partition_implILS5_8ELb0ES3_jPlPS6_PKS6_NS0_5tupleIJS9_S6_EEENSD_IJSA_SA_EEENS0_18inequality_wrapperIZN2at6native12_GLOBAL__N_124unique_dim_cuda_templateIfEESt5tupleIJNSH_6TensorESM_SM_EERKSM_lbbbEUlllE0_EEPmJS6_EEE10hipError_tPvRmT3_T4_T5_T6_T7_T9_mT8_P12ihipStream_tbDpT10_ENKUlT_T0_E_clISt17integral_constantIbLb1EES1B_IbLb0EEEEDaS17_S18_EUlS17_E_NS1_11comp_targetILNS1_3genE5ELNS1_11target_archE942ELNS1_3gpuE9ELNS1_3repE0EEENS1_30default_config_static_selectorELNS0_4arch9wavefront6targetE0EEEvT1_
	.p2align	8
	.type	_ZN7rocprim17ROCPRIM_400000_NS6detail17trampoline_kernelINS0_14default_configENS1_25partition_config_selectorILNS1_17partition_subalgoE8ElNS0_10empty_typeEbEEZZNS1_14partition_implILS5_8ELb0ES3_jPlPS6_PKS6_NS0_5tupleIJS9_S6_EEENSD_IJSA_SA_EEENS0_18inequality_wrapperIZN2at6native12_GLOBAL__N_124unique_dim_cuda_templateIfEESt5tupleIJNSH_6TensorESM_SM_EERKSM_lbbbEUlllE0_EEPmJS6_EEE10hipError_tPvRmT3_T4_T5_T6_T7_T9_mT8_P12ihipStream_tbDpT10_ENKUlT_T0_E_clISt17integral_constantIbLb1EES1B_IbLb0EEEEDaS17_S18_EUlS17_E_NS1_11comp_targetILNS1_3genE5ELNS1_11target_archE942ELNS1_3gpuE9ELNS1_3repE0EEENS1_30default_config_static_selectorELNS0_4arch9wavefront6targetE0EEEvT1_,@function
_ZN7rocprim17ROCPRIM_400000_NS6detail17trampoline_kernelINS0_14default_configENS1_25partition_config_selectorILNS1_17partition_subalgoE8ElNS0_10empty_typeEbEEZZNS1_14partition_implILS5_8ELb0ES3_jPlPS6_PKS6_NS0_5tupleIJS9_S6_EEENSD_IJSA_SA_EEENS0_18inequality_wrapperIZN2at6native12_GLOBAL__N_124unique_dim_cuda_templateIfEESt5tupleIJNSH_6TensorESM_SM_EERKSM_lbbbEUlllE0_EEPmJS6_EEE10hipError_tPvRmT3_T4_T5_T6_T7_T9_mT8_P12ihipStream_tbDpT10_ENKUlT_T0_E_clISt17integral_constantIbLb1EES1B_IbLb0EEEEDaS17_S18_EUlS17_E_NS1_11comp_targetILNS1_3genE5ELNS1_11target_archE942ELNS1_3gpuE9ELNS1_3repE0EEENS1_30default_config_static_selectorELNS0_4arch9wavefront6targetE0EEEvT1_: ; @_ZN7rocprim17ROCPRIM_400000_NS6detail17trampoline_kernelINS0_14default_configENS1_25partition_config_selectorILNS1_17partition_subalgoE8ElNS0_10empty_typeEbEEZZNS1_14partition_implILS5_8ELb0ES3_jPlPS6_PKS6_NS0_5tupleIJS9_S6_EEENSD_IJSA_SA_EEENS0_18inequality_wrapperIZN2at6native12_GLOBAL__N_124unique_dim_cuda_templateIfEESt5tupleIJNSH_6TensorESM_SM_EERKSM_lbbbEUlllE0_EEPmJS6_EEE10hipError_tPvRmT3_T4_T5_T6_T7_T9_mT8_P12ihipStream_tbDpT10_ENKUlT_T0_E_clISt17integral_constantIbLb1EES1B_IbLb0EEEEDaS17_S18_EUlS17_E_NS1_11comp_targetILNS1_3genE5ELNS1_11target_archE942ELNS1_3gpuE9ELNS1_3repE0EEENS1_30default_config_static_selectorELNS0_4arch9wavefront6targetE0EEEvT1_
; %bb.0:
	.section	.rodata,"a",@progbits
	.p2align	6, 0x0
	.amdhsa_kernel _ZN7rocprim17ROCPRIM_400000_NS6detail17trampoline_kernelINS0_14default_configENS1_25partition_config_selectorILNS1_17partition_subalgoE8ElNS0_10empty_typeEbEEZZNS1_14partition_implILS5_8ELb0ES3_jPlPS6_PKS6_NS0_5tupleIJS9_S6_EEENSD_IJSA_SA_EEENS0_18inequality_wrapperIZN2at6native12_GLOBAL__N_124unique_dim_cuda_templateIfEESt5tupleIJNSH_6TensorESM_SM_EERKSM_lbbbEUlllE0_EEPmJS6_EEE10hipError_tPvRmT3_T4_T5_T6_T7_T9_mT8_P12ihipStream_tbDpT10_ENKUlT_T0_E_clISt17integral_constantIbLb1EES1B_IbLb0EEEEDaS17_S18_EUlS17_E_NS1_11comp_targetILNS1_3genE5ELNS1_11target_archE942ELNS1_3gpuE9ELNS1_3repE0EEENS1_30default_config_static_selectorELNS0_4arch9wavefront6targetE0EEEvT1_
		.amdhsa_group_segment_fixed_size 0
		.amdhsa_private_segment_fixed_size 0
		.amdhsa_kernarg_size 120
		.amdhsa_user_sgpr_count 15
		.amdhsa_user_sgpr_dispatch_ptr 0
		.amdhsa_user_sgpr_queue_ptr 0
		.amdhsa_user_sgpr_kernarg_segment_ptr 1
		.amdhsa_user_sgpr_dispatch_id 0
		.amdhsa_user_sgpr_private_segment_size 0
		.amdhsa_wavefront_size32 1
		.amdhsa_uses_dynamic_stack 0
		.amdhsa_enable_private_segment 0
		.amdhsa_system_sgpr_workgroup_id_x 1
		.amdhsa_system_sgpr_workgroup_id_y 0
		.amdhsa_system_sgpr_workgroup_id_z 0
		.amdhsa_system_sgpr_workgroup_info 0
		.amdhsa_system_vgpr_workitem_id 0
		.amdhsa_next_free_vgpr 1
		.amdhsa_next_free_sgpr 1
		.amdhsa_reserve_vcc 0
		.amdhsa_float_round_mode_32 0
		.amdhsa_float_round_mode_16_64 0
		.amdhsa_float_denorm_mode_32 3
		.amdhsa_float_denorm_mode_16_64 3
		.amdhsa_dx10_clamp 1
		.amdhsa_ieee_mode 1
		.amdhsa_fp16_overflow 0
		.amdhsa_workgroup_processor_mode 1
		.amdhsa_memory_ordered 1
		.amdhsa_forward_progress 0
		.amdhsa_shared_vgpr_count 0
		.amdhsa_exception_fp_ieee_invalid_op 0
		.amdhsa_exception_fp_denorm_src 0
		.amdhsa_exception_fp_ieee_div_zero 0
		.amdhsa_exception_fp_ieee_overflow 0
		.amdhsa_exception_fp_ieee_underflow 0
		.amdhsa_exception_fp_ieee_inexact 0
		.amdhsa_exception_int_div_zero 0
	.end_amdhsa_kernel
	.section	.text._ZN7rocprim17ROCPRIM_400000_NS6detail17trampoline_kernelINS0_14default_configENS1_25partition_config_selectorILNS1_17partition_subalgoE8ElNS0_10empty_typeEbEEZZNS1_14partition_implILS5_8ELb0ES3_jPlPS6_PKS6_NS0_5tupleIJS9_S6_EEENSD_IJSA_SA_EEENS0_18inequality_wrapperIZN2at6native12_GLOBAL__N_124unique_dim_cuda_templateIfEESt5tupleIJNSH_6TensorESM_SM_EERKSM_lbbbEUlllE0_EEPmJS6_EEE10hipError_tPvRmT3_T4_T5_T6_T7_T9_mT8_P12ihipStream_tbDpT10_ENKUlT_T0_E_clISt17integral_constantIbLb1EES1B_IbLb0EEEEDaS17_S18_EUlS17_E_NS1_11comp_targetILNS1_3genE5ELNS1_11target_archE942ELNS1_3gpuE9ELNS1_3repE0EEENS1_30default_config_static_selectorELNS0_4arch9wavefront6targetE0EEEvT1_,"axG",@progbits,_ZN7rocprim17ROCPRIM_400000_NS6detail17trampoline_kernelINS0_14default_configENS1_25partition_config_selectorILNS1_17partition_subalgoE8ElNS0_10empty_typeEbEEZZNS1_14partition_implILS5_8ELb0ES3_jPlPS6_PKS6_NS0_5tupleIJS9_S6_EEENSD_IJSA_SA_EEENS0_18inequality_wrapperIZN2at6native12_GLOBAL__N_124unique_dim_cuda_templateIfEESt5tupleIJNSH_6TensorESM_SM_EERKSM_lbbbEUlllE0_EEPmJS6_EEE10hipError_tPvRmT3_T4_T5_T6_T7_T9_mT8_P12ihipStream_tbDpT10_ENKUlT_T0_E_clISt17integral_constantIbLb1EES1B_IbLb0EEEEDaS17_S18_EUlS17_E_NS1_11comp_targetILNS1_3genE5ELNS1_11target_archE942ELNS1_3gpuE9ELNS1_3repE0EEENS1_30default_config_static_selectorELNS0_4arch9wavefront6targetE0EEEvT1_,comdat
.Lfunc_end946:
	.size	_ZN7rocprim17ROCPRIM_400000_NS6detail17trampoline_kernelINS0_14default_configENS1_25partition_config_selectorILNS1_17partition_subalgoE8ElNS0_10empty_typeEbEEZZNS1_14partition_implILS5_8ELb0ES3_jPlPS6_PKS6_NS0_5tupleIJS9_S6_EEENSD_IJSA_SA_EEENS0_18inequality_wrapperIZN2at6native12_GLOBAL__N_124unique_dim_cuda_templateIfEESt5tupleIJNSH_6TensorESM_SM_EERKSM_lbbbEUlllE0_EEPmJS6_EEE10hipError_tPvRmT3_T4_T5_T6_T7_T9_mT8_P12ihipStream_tbDpT10_ENKUlT_T0_E_clISt17integral_constantIbLb1EES1B_IbLb0EEEEDaS17_S18_EUlS17_E_NS1_11comp_targetILNS1_3genE5ELNS1_11target_archE942ELNS1_3gpuE9ELNS1_3repE0EEENS1_30default_config_static_selectorELNS0_4arch9wavefront6targetE0EEEvT1_, .Lfunc_end946-_ZN7rocprim17ROCPRIM_400000_NS6detail17trampoline_kernelINS0_14default_configENS1_25partition_config_selectorILNS1_17partition_subalgoE8ElNS0_10empty_typeEbEEZZNS1_14partition_implILS5_8ELb0ES3_jPlPS6_PKS6_NS0_5tupleIJS9_S6_EEENSD_IJSA_SA_EEENS0_18inequality_wrapperIZN2at6native12_GLOBAL__N_124unique_dim_cuda_templateIfEESt5tupleIJNSH_6TensorESM_SM_EERKSM_lbbbEUlllE0_EEPmJS6_EEE10hipError_tPvRmT3_T4_T5_T6_T7_T9_mT8_P12ihipStream_tbDpT10_ENKUlT_T0_E_clISt17integral_constantIbLb1EES1B_IbLb0EEEEDaS17_S18_EUlS17_E_NS1_11comp_targetILNS1_3genE5ELNS1_11target_archE942ELNS1_3gpuE9ELNS1_3repE0EEENS1_30default_config_static_selectorELNS0_4arch9wavefront6targetE0EEEvT1_
                                        ; -- End function
	.section	.AMDGPU.csdata,"",@progbits
; Kernel info:
; codeLenInByte = 0
; NumSgprs: 0
; NumVgprs: 0
; ScratchSize: 0
; MemoryBound: 0
; FloatMode: 240
; IeeeMode: 1
; LDSByteSize: 0 bytes/workgroup (compile time only)
; SGPRBlocks: 0
; VGPRBlocks: 0
; NumSGPRsForWavesPerEU: 1
; NumVGPRsForWavesPerEU: 1
; Occupancy: 16
; WaveLimiterHint : 0
; COMPUTE_PGM_RSRC2:SCRATCH_EN: 0
; COMPUTE_PGM_RSRC2:USER_SGPR: 15
; COMPUTE_PGM_RSRC2:TRAP_HANDLER: 0
; COMPUTE_PGM_RSRC2:TGID_X_EN: 1
; COMPUTE_PGM_RSRC2:TGID_Y_EN: 0
; COMPUTE_PGM_RSRC2:TGID_Z_EN: 0
; COMPUTE_PGM_RSRC2:TIDIG_COMP_CNT: 0
	.section	.text._ZN7rocprim17ROCPRIM_400000_NS6detail17trampoline_kernelINS0_14default_configENS1_25partition_config_selectorILNS1_17partition_subalgoE8ElNS0_10empty_typeEbEEZZNS1_14partition_implILS5_8ELb0ES3_jPlPS6_PKS6_NS0_5tupleIJS9_S6_EEENSD_IJSA_SA_EEENS0_18inequality_wrapperIZN2at6native12_GLOBAL__N_124unique_dim_cuda_templateIfEESt5tupleIJNSH_6TensorESM_SM_EERKSM_lbbbEUlllE0_EEPmJS6_EEE10hipError_tPvRmT3_T4_T5_T6_T7_T9_mT8_P12ihipStream_tbDpT10_ENKUlT_T0_E_clISt17integral_constantIbLb1EES1B_IbLb0EEEEDaS17_S18_EUlS17_E_NS1_11comp_targetILNS1_3genE4ELNS1_11target_archE910ELNS1_3gpuE8ELNS1_3repE0EEENS1_30default_config_static_selectorELNS0_4arch9wavefront6targetE0EEEvT1_,"axG",@progbits,_ZN7rocprim17ROCPRIM_400000_NS6detail17trampoline_kernelINS0_14default_configENS1_25partition_config_selectorILNS1_17partition_subalgoE8ElNS0_10empty_typeEbEEZZNS1_14partition_implILS5_8ELb0ES3_jPlPS6_PKS6_NS0_5tupleIJS9_S6_EEENSD_IJSA_SA_EEENS0_18inequality_wrapperIZN2at6native12_GLOBAL__N_124unique_dim_cuda_templateIfEESt5tupleIJNSH_6TensorESM_SM_EERKSM_lbbbEUlllE0_EEPmJS6_EEE10hipError_tPvRmT3_T4_T5_T6_T7_T9_mT8_P12ihipStream_tbDpT10_ENKUlT_T0_E_clISt17integral_constantIbLb1EES1B_IbLb0EEEEDaS17_S18_EUlS17_E_NS1_11comp_targetILNS1_3genE4ELNS1_11target_archE910ELNS1_3gpuE8ELNS1_3repE0EEENS1_30default_config_static_selectorELNS0_4arch9wavefront6targetE0EEEvT1_,comdat
	.globl	_ZN7rocprim17ROCPRIM_400000_NS6detail17trampoline_kernelINS0_14default_configENS1_25partition_config_selectorILNS1_17partition_subalgoE8ElNS0_10empty_typeEbEEZZNS1_14partition_implILS5_8ELb0ES3_jPlPS6_PKS6_NS0_5tupleIJS9_S6_EEENSD_IJSA_SA_EEENS0_18inequality_wrapperIZN2at6native12_GLOBAL__N_124unique_dim_cuda_templateIfEESt5tupleIJNSH_6TensorESM_SM_EERKSM_lbbbEUlllE0_EEPmJS6_EEE10hipError_tPvRmT3_T4_T5_T6_T7_T9_mT8_P12ihipStream_tbDpT10_ENKUlT_T0_E_clISt17integral_constantIbLb1EES1B_IbLb0EEEEDaS17_S18_EUlS17_E_NS1_11comp_targetILNS1_3genE4ELNS1_11target_archE910ELNS1_3gpuE8ELNS1_3repE0EEENS1_30default_config_static_selectorELNS0_4arch9wavefront6targetE0EEEvT1_ ; -- Begin function _ZN7rocprim17ROCPRIM_400000_NS6detail17trampoline_kernelINS0_14default_configENS1_25partition_config_selectorILNS1_17partition_subalgoE8ElNS0_10empty_typeEbEEZZNS1_14partition_implILS5_8ELb0ES3_jPlPS6_PKS6_NS0_5tupleIJS9_S6_EEENSD_IJSA_SA_EEENS0_18inequality_wrapperIZN2at6native12_GLOBAL__N_124unique_dim_cuda_templateIfEESt5tupleIJNSH_6TensorESM_SM_EERKSM_lbbbEUlllE0_EEPmJS6_EEE10hipError_tPvRmT3_T4_T5_T6_T7_T9_mT8_P12ihipStream_tbDpT10_ENKUlT_T0_E_clISt17integral_constantIbLb1EES1B_IbLb0EEEEDaS17_S18_EUlS17_E_NS1_11comp_targetILNS1_3genE4ELNS1_11target_archE910ELNS1_3gpuE8ELNS1_3repE0EEENS1_30default_config_static_selectorELNS0_4arch9wavefront6targetE0EEEvT1_
	.p2align	8
	.type	_ZN7rocprim17ROCPRIM_400000_NS6detail17trampoline_kernelINS0_14default_configENS1_25partition_config_selectorILNS1_17partition_subalgoE8ElNS0_10empty_typeEbEEZZNS1_14partition_implILS5_8ELb0ES3_jPlPS6_PKS6_NS0_5tupleIJS9_S6_EEENSD_IJSA_SA_EEENS0_18inequality_wrapperIZN2at6native12_GLOBAL__N_124unique_dim_cuda_templateIfEESt5tupleIJNSH_6TensorESM_SM_EERKSM_lbbbEUlllE0_EEPmJS6_EEE10hipError_tPvRmT3_T4_T5_T6_T7_T9_mT8_P12ihipStream_tbDpT10_ENKUlT_T0_E_clISt17integral_constantIbLb1EES1B_IbLb0EEEEDaS17_S18_EUlS17_E_NS1_11comp_targetILNS1_3genE4ELNS1_11target_archE910ELNS1_3gpuE8ELNS1_3repE0EEENS1_30default_config_static_selectorELNS0_4arch9wavefront6targetE0EEEvT1_,@function
_ZN7rocprim17ROCPRIM_400000_NS6detail17trampoline_kernelINS0_14default_configENS1_25partition_config_selectorILNS1_17partition_subalgoE8ElNS0_10empty_typeEbEEZZNS1_14partition_implILS5_8ELb0ES3_jPlPS6_PKS6_NS0_5tupleIJS9_S6_EEENSD_IJSA_SA_EEENS0_18inequality_wrapperIZN2at6native12_GLOBAL__N_124unique_dim_cuda_templateIfEESt5tupleIJNSH_6TensorESM_SM_EERKSM_lbbbEUlllE0_EEPmJS6_EEE10hipError_tPvRmT3_T4_T5_T6_T7_T9_mT8_P12ihipStream_tbDpT10_ENKUlT_T0_E_clISt17integral_constantIbLb1EES1B_IbLb0EEEEDaS17_S18_EUlS17_E_NS1_11comp_targetILNS1_3genE4ELNS1_11target_archE910ELNS1_3gpuE8ELNS1_3repE0EEENS1_30default_config_static_selectorELNS0_4arch9wavefront6targetE0EEEvT1_: ; @_ZN7rocprim17ROCPRIM_400000_NS6detail17trampoline_kernelINS0_14default_configENS1_25partition_config_selectorILNS1_17partition_subalgoE8ElNS0_10empty_typeEbEEZZNS1_14partition_implILS5_8ELb0ES3_jPlPS6_PKS6_NS0_5tupleIJS9_S6_EEENSD_IJSA_SA_EEENS0_18inequality_wrapperIZN2at6native12_GLOBAL__N_124unique_dim_cuda_templateIfEESt5tupleIJNSH_6TensorESM_SM_EERKSM_lbbbEUlllE0_EEPmJS6_EEE10hipError_tPvRmT3_T4_T5_T6_T7_T9_mT8_P12ihipStream_tbDpT10_ENKUlT_T0_E_clISt17integral_constantIbLb1EES1B_IbLb0EEEEDaS17_S18_EUlS17_E_NS1_11comp_targetILNS1_3genE4ELNS1_11target_archE910ELNS1_3gpuE8ELNS1_3repE0EEENS1_30default_config_static_selectorELNS0_4arch9wavefront6targetE0EEEvT1_
; %bb.0:
	.section	.rodata,"a",@progbits
	.p2align	6, 0x0
	.amdhsa_kernel _ZN7rocprim17ROCPRIM_400000_NS6detail17trampoline_kernelINS0_14default_configENS1_25partition_config_selectorILNS1_17partition_subalgoE8ElNS0_10empty_typeEbEEZZNS1_14partition_implILS5_8ELb0ES3_jPlPS6_PKS6_NS0_5tupleIJS9_S6_EEENSD_IJSA_SA_EEENS0_18inequality_wrapperIZN2at6native12_GLOBAL__N_124unique_dim_cuda_templateIfEESt5tupleIJNSH_6TensorESM_SM_EERKSM_lbbbEUlllE0_EEPmJS6_EEE10hipError_tPvRmT3_T4_T5_T6_T7_T9_mT8_P12ihipStream_tbDpT10_ENKUlT_T0_E_clISt17integral_constantIbLb1EES1B_IbLb0EEEEDaS17_S18_EUlS17_E_NS1_11comp_targetILNS1_3genE4ELNS1_11target_archE910ELNS1_3gpuE8ELNS1_3repE0EEENS1_30default_config_static_selectorELNS0_4arch9wavefront6targetE0EEEvT1_
		.amdhsa_group_segment_fixed_size 0
		.amdhsa_private_segment_fixed_size 0
		.amdhsa_kernarg_size 120
		.amdhsa_user_sgpr_count 15
		.amdhsa_user_sgpr_dispatch_ptr 0
		.amdhsa_user_sgpr_queue_ptr 0
		.amdhsa_user_sgpr_kernarg_segment_ptr 1
		.amdhsa_user_sgpr_dispatch_id 0
		.amdhsa_user_sgpr_private_segment_size 0
		.amdhsa_wavefront_size32 1
		.amdhsa_uses_dynamic_stack 0
		.amdhsa_enable_private_segment 0
		.amdhsa_system_sgpr_workgroup_id_x 1
		.amdhsa_system_sgpr_workgroup_id_y 0
		.amdhsa_system_sgpr_workgroup_id_z 0
		.amdhsa_system_sgpr_workgroup_info 0
		.amdhsa_system_vgpr_workitem_id 0
		.amdhsa_next_free_vgpr 1
		.amdhsa_next_free_sgpr 1
		.amdhsa_reserve_vcc 0
		.amdhsa_float_round_mode_32 0
		.amdhsa_float_round_mode_16_64 0
		.amdhsa_float_denorm_mode_32 3
		.amdhsa_float_denorm_mode_16_64 3
		.amdhsa_dx10_clamp 1
		.amdhsa_ieee_mode 1
		.amdhsa_fp16_overflow 0
		.amdhsa_workgroup_processor_mode 1
		.amdhsa_memory_ordered 1
		.amdhsa_forward_progress 0
		.amdhsa_shared_vgpr_count 0
		.amdhsa_exception_fp_ieee_invalid_op 0
		.amdhsa_exception_fp_denorm_src 0
		.amdhsa_exception_fp_ieee_div_zero 0
		.amdhsa_exception_fp_ieee_overflow 0
		.amdhsa_exception_fp_ieee_underflow 0
		.amdhsa_exception_fp_ieee_inexact 0
		.amdhsa_exception_int_div_zero 0
	.end_amdhsa_kernel
	.section	.text._ZN7rocprim17ROCPRIM_400000_NS6detail17trampoline_kernelINS0_14default_configENS1_25partition_config_selectorILNS1_17partition_subalgoE8ElNS0_10empty_typeEbEEZZNS1_14partition_implILS5_8ELb0ES3_jPlPS6_PKS6_NS0_5tupleIJS9_S6_EEENSD_IJSA_SA_EEENS0_18inequality_wrapperIZN2at6native12_GLOBAL__N_124unique_dim_cuda_templateIfEESt5tupleIJNSH_6TensorESM_SM_EERKSM_lbbbEUlllE0_EEPmJS6_EEE10hipError_tPvRmT3_T4_T5_T6_T7_T9_mT8_P12ihipStream_tbDpT10_ENKUlT_T0_E_clISt17integral_constantIbLb1EES1B_IbLb0EEEEDaS17_S18_EUlS17_E_NS1_11comp_targetILNS1_3genE4ELNS1_11target_archE910ELNS1_3gpuE8ELNS1_3repE0EEENS1_30default_config_static_selectorELNS0_4arch9wavefront6targetE0EEEvT1_,"axG",@progbits,_ZN7rocprim17ROCPRIM_400000_NS6detail17trampoline_kernelINS0_14default_configENS1_25partition_config_selectorILNS1_17partition_subalgoE8ElNS0_10empty_typeEbEEZZNS1_14partition_implILS5_8ELb0ES3_jPlPS6_PKS6_NS0_5tupleIJS9_S6_EEENSD_IJSA_SA_EEENS0_18inequality_wrapperIZN2at6native12_GLOBAL__N_124unique_dim_cuda_templateIfEESt5tupleIJNSH_6TensorESM_SM_EERKSM_lbbbEUlllE0_EEPmJS6_EEE10hipError_tPvRmT3_T4_T5_T6_T7_T9_mT8_P12ihipStream_tbDpT10_ENKUlT_T0_E_clISt17integral_constantIbLb1EES1B_IbLb0EEEEDaS17_S18_EUlS17_E_NS1_11comp_targetILNS1_3genE4ELNS1_11target_archE910ELNS1_3gpuE8ELNS1_3repE0EEENS1_30default_config_static_selectorELNS0_4arch9wavefront6targetE0EEEvT1_,comdat
.Lfunc_end947:
	.size	_ZN7rocprim17ROCPRIM_400000_NS6detail17trampoline_kernelINS0_14default_configENS1_25partition_config_selectorILNS1_17partition_subalgoE8ElNS0_10empty_typeEbEEZZNS1_14partition_implILS5_8ELb0ES3_jPlPS6_PKS6_NS0_5tupleIJS9_S6_EEENSD_IJSA_SA_EEENS0_18inequality_wrapperIZN2at6native12_GLOBAL__N_124unique_dim_cuda_templateIfEESt5tupleIJNSH_6TensorESM_SM_EERKSM_lbbbEUlllE0_EEPmJS6_EEE10hipError_tPvRmT3_T4_T5_T6_T7_T9_mT8_P12ihipStream_tbDpT10_ENKUlT_T0_E_clISt17integral_constantIbLb1EES1B_IbLb0EEEEDaS17_S18_EUlS17_E_NS1_11comp_targetILNS1_3genE4ELNS1_11target_archE910ELNS1_3gpuE8ELNS1_3repE0EEENS1_30default_config_static_selectorELNS0_4arch9wavefront6targetE0EEEvT1_, .Lfunc_end947-_ZN7rocprim17ROCPRIM_400000_NS6detail17trampoline_kernelINS0_14default_configENS1_25partition_config_selectorILNS1_17partition_subalgoE8ElNS0_10empty_typeEbEEZZNS1_14partition_implILS5_8ELb0ES3_jPlPS6_PKS6_NS0_5tupleIJS9_S6_EEENSD_IJSA_SA_EEENS0_18inequality_wrapperIZN2at6native12_GLOBAL__N_124unique_dim_cuda_templateIfEESt5tupleIJNSH_6TensorESM_SM_EERKSM_lbbbEUlllE0_EEPmJS6_EEE10hipError_tPvRmT3_T4_T5_T6_T7_T9_mT8_P12ihipStream_tbDpT10_ENKUlT_T0_E_clISt17integral_constantIbLb1EES1B_IbLb0EEEEDaS17_S18_EUlS17_E_NS1_11comp_targetILNS1_3genE4ELNS1_11target_archE910ELNS1_3gpuE8ELNS1_3repE0EEENS1_30default_config_static_selectorELNS0_4arch9wavefront6targetE0EEEvT1_
                                        ; -- End function
	.section	.AMDGPU.csdata,"",@progbits
; Kernel info:
; codeLenInByte = 0
; NumSgprs: 0
; NumVgprs: 0
; ScratchSize: 0
; MemoryBound: 0
; FloatMode: 240
; IeeeMode: 1
; LDSByteSize: 0 bytes/workgroup (compile time only)
; SGPRBlocks: 0
; VGPRBlocks: 0
; NumSGPRsForWavesPerEU: 1
; NumVGPRsForWavesPerEU: 1
; Occupancy: 16
; WaveLimiterHint : 0
; COMPUTE_PGM_RSRC2:SCRATCH_EN: 0
; COMPUTE_PGM_RSRC2:USER_SGPR: 15
; COMPUTE_PGM_RSRC2:TRAP_HANDLER: 0
; COMPUTE_PGM_RSRC2:TGID_X_EN: 1
; COMPUTE_PGM_RSRC2:TGID_Y_EN: 0
; COMPUTE_PGM_RSRC2:TGID_Z_EN: 0
; COMPUTE_PGM_RSRC2:TIDIG_COMP_CNT: 0
	.section	.text._ZN7rocprim17ROCPRIM_400000_NS6detail17trampoline_kernelINS0_14default_configENS1_25partition_config_selectorILNS1_17partition_subalgoE8ElNS0_10empty_typeEbEEZZNS1_14partition_implILS5_8ELb0ES3_jPlPS6_PKS6_NS0_5tupleIJS9_S6_EEENSD_IJSA_SA_EEENS0_18inequality_wrapperIZN2at6native12_GLOBAL__N_124unique_dim_cuda_templateIfEESt5tupleIJNSH_6TensorESM_SM_EERKSM_lbbbEUlllE0_EEPmJS6_EEE10hipError_tPvRmT3_T4_T5_T6_T7_T9_mT8_P12ihipStream_tbDpT10_ENKUlT_T0_E_clISt17integral_constantIbLb1EES1B_IbLb0EEEEDaS17_S18_EUlS17_E_NS1_11comp_targetILNS1_3genE3ELNS1_11target_archE908ELNS1_3gpuE7ELNS1_3repE0EEENS1_30default_config_static_selectorELNS0_4arch9wavefront6targetE0EEEvT1_,"axG",@progbits,_ZN7rocprim17ROCPRIM_400000_NS6detail17trampoline_kernelINS0_14default_configENS1_25partition_config_selectorILNS1_17partition_subalgoE8ElNS0_10empty_typeEbEEZZNS1_14partition_implILS5_8ELb0ES3_jPlPS6_PKS6_NS0_5tupleIJS9_S6_EEENSD_IJSA_SA_EEENS0_18inequality_wrapperIZN2at6native12_GLOBAL__N_124unique_dim_cuda_templateIfEESt5tupleIJNSH_6TensorESM_SM_EERKSM_lbbbEUlllE0_EEPmJS6_EEE10hipError_tPvRmT3_T4_T5_T6_T7_T9_mT8_P12ihipStream_tbDpT10_ENKUlT_T0_E_clISt17integral_constantIbLb1EES1B_IbLb0EEEEDaS17_S18_EUlS17_E_NS1_11comp_targetILNS1_3genE3ELNS1_11target_archE908ELNS1_3gpuE7ELNS1_3repE0EEENS1_30default_config_static_selectorELNS0_4arch9wavefront6targetE0EEEvT1_,comdat
	.globl	_ZN7rocprim17ROCPRIM_400000_NS6detail17trampoline_kernelINS0_14default_configENS1_25partition_config_selectorILNS1_17partition_subalgoE8ElNS0_10empty_typeEbEEZZNS1_14partition_implILS5_8ELb0ES3_jPlPS6_PKS6_NS0_5tupleIJS9_S6_EEENSD_IJSA_SA_EEENS0_18inequality_wrapperIZN2at6native12_GLOBAL__N_124unique_dim_cuda_templateIfEESt5tupleIJNSH_6TensorESM_SM_EERKSM_lbbbEUlllE0_EEPmJS6_EEE10hipError_tPvRmT3_T4_T5_T6_T7_T9_mT8_P12ihipStream_tbDpT10_ENKUlT_T0_E_clISt17integral_constantIbLb1EES1B_IbLb0EEEEDaS17_S18_EUlS17_E_NS1_11comp_targetILNS1_3genE3ELNS1_11target_archE908ELNS1_3gpuE7ELNS1_3repE0EEENS1_30default_config_static_selectorELNS0_4arch9wavefront6targetE0EEEvT1_ ; -- Begin function _ZN7rocprim17ROCPRIM_400000_NS6detail17trampoline_kernelINS0_14default_configENS1_25partition_config_selectorILNS1_17partition_subalgoE8ElNS0_10empty_typeEbEEZZNS1_14partition_implILS5_8ELb0ES3_jPlPS6_PKS6_NS0_5tupleIJS9_S6_EEENSD_IJSA_SA_EEENS0_18inequality_wrapperIZN2at6native12_GLOBAL__N_124unique_dim_cuda_templateIfEESt5tupleIJNSH_6TensorESM_SM_EERKSM_lbbbEUlllE0_EEPmJS6_EEE10hipError_tPvRmT3_T4_T5_T6_T7_T9_mT8_P12ihipStream_tbDpT10_ENKUlT_T0_E_clISt17integral_constantIbLb1EES1B_IbLb0EEEEDaS17_S18_EUlS17_E_NS1_11comp_targetILNS1_3genE3ELNS1_11target_archE908ELNS1_3gpuE7ELNS1_3repE0EEENS1_30default_config_static_selectorELNS0_4arch9wavefront6targetE0EEEvT1_
	.p2align	8
	.type	_ZN7rocprim17ROCPRIM_400000_NS6detail17trampoline_kernelINS0_14default_configENS1_25partition_config_selectorILNS1_17partition_subalgoE8ElNS0_10empty_typeEbEEZZNS1_14partition_implILS5_8ELb0ES3_jPlPS6_PKS6_NS0_5tupleIJS9_S6_EEENSD_IJSA_SA_EEENS0_18inequality_wrapperIZN2at6native12_GLOBAL__N_124unique_dim_cuda_templateIfEESt5tupleIJNSH_6TensorESM_SM_EERKSM_lbbbEUlllE0_EEPmJS6_EEE10hipError_tPvRmT3_T4_T5_T6_T7_T9_mT8_P12ihipStream_tbDpT10_ENKUlT_T0_E_clISt17integral_constantIbLb1EES1B_IbLb0EEEEDaS17_S18_EUlS17_E_NS1_11comp_targetILNS1_3genE3ELNS1_11target_archE908ELNS1_3gpuE7ELNS1_3repE0EEENS1_30default_config_static_selectorELNS0_4arch9wavefront6targetE0EEEvT1_,@function
_ZN7rocprim17ROCPRIM_400000_NS6detail17trampoline_kernelINS0_14default_configENS1_25partition_config_selectorILNS1_17partition_subalgoE8ElNS0_10empty_typeEbEEZZNS1_14partition_implILS5_8ELb0ES3_jPlPS6_PKS6_NS0_5tupleIJS9_S6_EEENSD_IJSA_SA_EEENS0_18inequality_wrapperIZN2at6native12_GLOBAL__N_124unique_dim_cuda_templateIfEESt5tupleIJNSH_6TensorESM_SM_EERKSM_lbbbEUlllE0_EEPmJS6_EEE10hipError_tPvRmT3_T4_T5_T6_T7_T9_mT8_P12ihipStream_tbDpT10_ENKUlT_T0_E_clISt17integral_constantIbLb1EES1B_IbLb0EEEEDaS17_S18_EUlS17_E_NS1_11comp_targetILNS1_3genE3ELNS1_11target_archE908ELNS1_3gpuE7ELNS1_3repE0EEENS1_30default_config_static_selectorELNS0_4arch9wavefront6targetE0EEEvT1_: ; @_ZN7rocprim17ROCPRIM_400000_NS6detail17trampoline_kernelINS0_14default_configENS1_25partition_config_selectorILNS1_17partition_subalgoE8ElNS0_10empty_typeEbEEZZNS1_14partition_implILS5_8ELb0ES3_jPlPS6_PKS6_NS0_5tupleIJS9_S6_EEENSD_IJSA_SA_EEENS0_18inequality_wrapperIZN2at6native12_GLOBAL__N_124unique_dim_cuda_templateIfEESt5tupleIJNSH_6TensorESM_SM_EERKSM_lbbbEUlllE0_EEPmJS6_EEE10hipError_tPvRmT3_T4_T5_T6_T7_T9_mT8_P12ihipStream_tbDpT10_ENKUlT_T0_E_clISt17integral_constantIbLb1EES1B_IbLb0EEEEDaS17_S18_EUlS17_E_NS1_11comp_targetILNS1_3genE3ELNS1_11target_archE908ELNS1_3gpuE7ELNS1_3repE0EEENS1_30default_config_static_selectorELNS0_4arch9wavefront6targetE0EEEvT1_
; %bb.0:
	.section	.rodata,"a",@progbits
	.p2align	6, 0x0
	.amdhsa_kernel _ZN7rocprim17ROCPRIM_400000_NS6detail17trampoline_kernelINS0_14default_configENS1_25partition_config_selectorILNS1_17partition_subalgoE8ElNS0_10empty_typeEbEEZZNS1_14partition_implILS5_8ELb0ES3_jPlPS6_PKS6_NS0_5tupleIJS9_S6_EEENSD_IJSA_SA_EEENS0_18inequality_wrapperIZN2at6native12_GLOBAL__N_124unique_dim_cuda_templateIfEESt5tupleIJNSH_6TensorESM_SM_EERKSM_lbbbEUlllE0_EEPmJS6_EEE10hipError_tPvRmT3_T4_T5_T6_T7_T9_mT8_P12ihipStream_tbDpT10_ENKUlT_T0_E_clISt17integral_constantIbLb1EES1B_IbLb0EEEEDaS17_S18_EUlS17_E_NS1_11comp_targetILNS1_3genE3ELNS1_11target_archE908ELNS1_3gpuE7ELNS1_3repE0EEENS1_30default_config_static_selectorELNS0_4arch9wavefront6targetE0EEEvT1_
		.amdhsa_group_segment_fixed_size 0
		.amdhsa_private_segment_fixed_size 0
		.amdhsa_kernarg_size 120
		.amdhsa_user_sgpr_count 15
		.amdhsa_user_sgpr_dispatch_ptr 0
		.amdhsa_user_sgpr_queue_ptr 0
		.amdhsa_user_sgpr_kernarg_segment_ptr 1
		.amdhsa_user_sgpr_dispatch_id 0
		.amdhsa_user_sgpr_private_segment_size 0
		.amdhsa_wavefront_size32 1
		.amdhsa_uses_dynamic_stack 0
		.amdhsa_enable_private_segment 0
		.amdhsa_system_sgpr_workgroup_id_x 1
		.amdhsa_system_sgpr_workgroup_id_y 0
		.amdhsa_system_sgpr_workgroup_id_z 0
		.amdhsa_system_sgpr_workgroup_info 0
		.amdhsa_system_vgpr_workitem_id 0
		.amdhsa_next_free_vgpr 1
		.amdhsa_next_free_sgpr 1
		.amdhsa_reserve_vcc 0
		.amdhsa_float_round_mode_32 0
		.amdhsa_float_round_mode_16_64 0
		.amdhsa_float_denorm_mode_32 3
		.amdhsa_float_denorm_mode_16_64 3
		.amdhsa_dx10_clamp 1
		.amdhsa_ieee_mode 1
		.amdhsa_fp16_overflow 0
		.amdhsa_workgroup_processor_mode 1
		.amdhsa_memory_ordered 1
		.amdhsa_forward_progress 0
		.amdhsa_shared_vgpr_count 0
		.amdhsa_exception_fp_ieee_invalid_op 0
		.amdhsa_exception_fp_denorm_src 0
		.amdhsa_exception_fp_ieee_div_zero 0
		.amdhsa_exception_fp_ieee_overflow 0
		.amdhsa_exception_fp_ieee_underflow 0
		.amdhsa_exception_fp_ieee_inexact 0
		.amdhsa_exception_int_div_zero 0
	.end_amdhsa_kernel
	.section	.text._ZN7rocprim17ROCPRIM_400000_NS6detail17trampoline_kernelINS0_14default_configENS1_25partition_config_selectorILNS1_17partition_subalgoE8ElNS0_10empty_typeEbEEZZNS1_14partition_implILS5_8ELb0ES3_jPlPS6_PKS6_NS0_5tupleIJS9_S6_EEENSD_IJSA_SA_EEENS0_18inequality_wrapperIZN2at6native12_GLOBAL__N_124unique_dim_cuda_templateIfEESt5tupleIJNSH_6TensorESM_SM_EERKSM_lbbbEUlllE0_EEPmJS6_EEE10hipError_tPvRmT3_T4_T5_T6_T7_T9_mT8_P12ihipStream_tbDpT10_ENKUlT_T0_E_clISt17integral_constantIbLb1EES1B_IbLb0EEEEDaS17_S18_EUlS17_E_NS1_11comp_targetILNS1_3genE3ELNS1_11target_archE908ELNS1_3gpuE7ELNS1_3repE0EEENS1_30default_config_static_selectorELNS0_4arch9wavefront6targetE0EEEvT1_,"axG",@progbits,_ZN7rocprim17ROCPRIM_400000_NS6detail17trampoline_kernelINS0_14default_configENS1_25partition_config_selectorILNS1_17partition_subalgoE8ElNS0_10empty_typeEbEEZZNS1_14partition_implILS5_8ELb0ES3_jPlPS6_PKS6_NS0_5tupleIJS9_S6_EEENSD_IJSA_SA_EEENS0_18inequality_wrapperIZN2at6native12_GLOBAL__N_124unique_dim_cuda_templateIfEESt5tupleIJNSH_6TensorESM_SM_EERKSM_lbbbEUlllE0_EEPmJS6_EEE10hipError_tPvRmT3_T4_T5_T6_T7_T9_mT8_P12ihipStream_tbDpT10_ENKUlT_T0_E_clISt17integral_constantIbLb1EES1B_IbLb0EEEEDaS17_S18_EUlS17_E_NS1_11comp_targetILNS1_3genE3ELNS1_11target_archE908ELNS1_3gpuE7ELNS1_3repE0EEENS1_30default_config_static_selectorELNS0_4arch9wavefront6targetE0EEEvT1_,comdat
.Lfunc_end948:
	.size	_ZN7rocprim17ROCPRIM_400000_NS6detail17trampoline_kernelINS0_14default_configENS1_25partition_config_selectorILNS1_17partition_subalgoE8ElNS0_10empty_typeEbEEZZNS1_14partition_implILS5_8ELb0ES3_jPlPS6_PKS6_NS0_5tupleIJS9_S6_EEENSD_IJSA_SA_EEENS0_18inequality_wrapperIZN2at6native12_GLOBAL__N_124unique_dim_cuda_templateIfEESt5tupleIJNSH_6TensorESM_SM_EERKSM_lbbbEUlllE0_EEPmJS6_EEE10hipError_tPvRmT3_T4_T5_T6_T7_T9_mT8_P12ihipStream_tbDpT10_ENKUlT_T0_E_clISt17integral_constantIbLb1EES1B_IbLb0EEEEDaS17_S18_EUlS17_E_NS1_11comp_targetILNS1_3genE3ELNS1_11target_archE908ELNS1_3gpuE7ELNS1_3repE0EEENS1_30default_config_static_selectorELNS0_4arch9wavefront6targetE0EEEvT1_, .Lfunc_end948-_ZN7rocprim17ROCPRIM_400000_NS6detail17trampoline_kernelINS0_14default_configENS1_25partition_config_selectorILNS1_17partition_subalgoE8ElNS0_10empty_typeEbEEZZNS1_14partition_implILS5_8ELb0ES3_jPlPS6_PKS6_NS0_5tupleIJS9_S6_EEENSD_IJSA_SA_EEENS0_18inequality_wrapperIZN2at6native12_GLOBAL__N_124unique_dim_cuda_templateIfEESt5tupleIJNSH_6TensorESM_SM_EERKSM_lbbbEUlllE0_EEPmJS6_EEE10hipError_tPvRmT3_T4_T5_T6_T7_T9_mT8_P12ihipStream_tbDpT10_ENKUlT_T0_E_clISt17integral_constantIbLb1EES1B_IbLb0EEEEDaS17_S18_EUlS17_E_NS1_11comp_targetILNS1_3genE3ELNS1_11target_archE908ELNS1_3gpuE7ELNS1_3repE0EEENS1_30default_config_static_selectorELNS0_4arch9wavefront6targetE0EEEvT1_
                                        ; -- End function
	.section	.AMDGPU.csdata,"",@progbits
; Kernel info:
; codeLenInByte = 0
; NumSgprs: 0
; NumVgprs: 0
; ScratchSize: 0
; MemoryBound: 0
; FloatMode: 240
; IeeeMode: 1
; LDSByteSize: 0 bytes/workgroup (compile time only)
; SGPRBlocks: 0
; VGPRBlocks: 0
; NumSGPRsForWavesPerEU: 1
; NumVGPRsForWavesPerEU: 1
; Occupancy: 16
; WaveLimiterHint : 0
; COMPUTE_PGM_RSRC2:SCRATCH_EN: 0
; COMPUTE_PGM_RSRC2:USER_SGPR: 15
; COMPUTE_PGM_RSRC2:TRAP_HANDLER: 0
; COMPUTE_PGM_RSRC2:TGID_X_EN: 1
; COMPUTE_PGM_RSRC2:TGID_Y_EN: 0
; COMPUTE_PGM_RSRC2:TGID_Z_EN: 0
; COMPUTE_PGM_RSRC2:TIDIG_COMP_CNT: 0
	.section	.text._ZN7rocprim17ROCPRIM_400000_NS6detail17trampoline_kernelINS0_14default_configENS1_25partition_config_selectorILNS1_17partition_subalgoE8ElNS0_10empty_typeEbEEZZNS1_14partition_implILS5_8ELb0ES3_jPlPS6_PKS6_NS0_5tupleIJS9_S6_EEENSD_IJSA_SA_EEENS0_18inequality_wrapperIZN2at6native12_GLOBAL__N_124unique_dim_cuda_templateIfEESt5tupleIJNSH_6TensorESM_SM_EERKSM_lbbbEUlllE0_EEPmJS6_EEE10hipError_tPvRmT3_T4_T5_T6_T7_T9_mT8_P12ihipStream_tbDpT10_ENKUlT_T0_E_clISt17integral_constantIbLb1EES1B_IbLb0EEEEDaS17_S18_EUlS17_E_NS1_11comp_targetILNS1_3genE2ELNS1_11target_archE906ELNS1_3gpuE6ELNS1_3repE0EEENS1_30default_config_static_selectorELNS0_4arch9wavefront6targetE0EEEvT1_,"axG",@progbits,_ZN7rocprim17ROCPRIM_400000_NS6detail17trampoline_kernelINS0_14default_configENS1_25partition_config_selectorILNS1_17partition_subalgoE8ElNS0_10empty_typeEbEEZZNS1_14partition_implILS5_8ELb0ES3_jPlPS6_PKS6_NS0_5tupleIJS9_S6_EEENSD_IJSA_SA_EEENS0_18inequality_wrapperIZN2at6native12_GLOBAL__N_124unique_dim_cuda_templateIfEESt5tupleIJNSH_6TensorESM_SM_EERKSM_lbbbEUlllE0_EEPmJS6_EEE10hipError_tPvRmT3_T4_T5_T6_T7_T9_mT8_P12ihipStream_tbDpT10_ENKUlT_T0_E_clISt17integral_constantIbLb1EES1B_IbLb0EEEEDaS17_S18_EUlS17_E_NS1_11comp_targetILNS1_3genE2ELNS1_11target_archE906ELNS1_3gpuE6ELNS1_3repE0EEENS1_30default_config_static_selectorELNS0_4arch9wavefront6targetE0EEEvT1_,comdat
	.globl	_ZN7rocprim17ROCPRIM_400000_NS6detail17trampoline_kernelINS0_14default_configENS1_25partition_config_selectorILNS1_17partition_subalgoE8ElNS0_10empty_typeEbEEZZNS1_14partition_implILS5_8ELb0ES3_jPlPS6_PKS6_NS0_5tupleIJS9_S6_EEENSD_IJSA_SA_EEENS0_18inequality_wrapperIZN2at6native12_GLOBAL__N_124unique_dim_cuda_templateIfEESt5tupleIJNSH_6TensorESM_SM_EERKSM_lbbbEUlllE0_EEPmJS6_EEE10hipError_tPvRmT3_T4_T5_T6_T7_T9_mT8_P12ihipStream_tbDpT10_ENKUlT_T0_E_clISt17integral_constantIbLb1EES1B_IbLb0EEEEDaS17_S18_EUlS17_E_NS1_11comp_targetILNS1_3genE2ELNS1_11target_archE906ELNS1_3gpuE6ELNS1_3repE0EEENS1_30default_config_static_selectorELNS0_4arch9wavefront6targetE0EEEvT1_ ; -- Begin function _ZN7rocprim17ROCPRIM_400000_NS6detail17trampoline_kernelINS0_14default_configENS1_25partition_config_selectorILNS1_17partition_subalgoE8ElNS0_10empty_typeEbEEZZNS1_14partition_implILS5_8ELb0ES3_jPlPS6_PKS6_NS0_5tupleIJS9_S6_EEENSD_IJSA_SA_EEENS0_18inequality_wrapperIZN2at6native12_GLOBAL__N_124unique_dim_cuda_templateIfEESt5tupleIJNSH_6TensorESM_SM_EERKSM_lbbbEUlllE0_EEPmJS6_EEE10hipError_tPvRmT3_T4_T5_T6_T7_T9_mT8_P12ihipStream_tbDpT10_ENKUlT_T0_E_clISt17integral_constantIbLb1EES1B_IbLb0EEEEDaS17_S18_EUlS17_E_NS1_11comp_targetILNS1_3genE2ELNS1_11target_archE906ELNS1_3gpuE6ELNS1_3repE0EEENS1_30default_config_static_selectorELNS0_4arch9wavefront6targetE0EEEvT1_
	.p2align	8
	.type	_ZN7rocprim17ROCPRIM_400000_NS6detail17trampoline_kernelINS0_14default_configENS1_25partition_config_selectorILNS1_17partition_subalgoE8ElNS0_10empty_typeEbEEZZNS1_14partition_implILS5_8ELb0ES3_jPlPS6_PKS6_NS0_5tupleIJS9_S6_EEENSD_IJSA_SA_EEENS0_18inequality_wrapperIZN2at6native12_GLOBAL__N_124unique_dim_cuda_templateIfEESt5tupleIJNSH_6TensorESM_SM_EERKSM_lbbbEUlllE0_EEPmJS6_EEE10hipError_tPvRmT3_T4_T5_T6_T7_T9_mT8_P12ihipStream_tbDpT10_ENKUlT_T0_E_clISt17integral_constantIbLb1EES1B_IbLb0EEEEDaS17_S18_EUlS17_E_NS1_11comp_targetILNS1_3genE2ELNS1_11target_archE906ELNS1_3gpuE6ELNS1_3repE0EEENS1_30default_config_static_selectorELNS0_4arch9wavefront6targetE0EEEvT1_,@function
_ZN7rocprim17ROCPRIM_400000_NS6detail17trampoline_kernelINS0_14default_configENS1_25partition_config_selectorILNS1_17partition_subalgoE8ElNS0_10empty_typeEbEEZZNS1_14partition_implILS5_8ELb0ES3_jPlPS6_PKS6_NS0_5tupleIJS9_S6_EEENSD_IJSA_SA_EEENS0_18inequality_wrapperIZN2at6native12_GLOBAL__N_124unique_dim_cuda_templateIfEESt5tupleIJNSH_6TensorESM_SM_EERKSM_lbbbEUlllE0_EEPmJS6_EEE10hipError_tPvRmT3_T4_T5_T6_T7_T9_mT8_P12ihipStream_tbDpT10_ENKUlT_T0_E_clISt17integral_constantIbLb1EES1B_IbLb0EEEEDaS17_S18_EUlS17_E_NS1_11comp_targetILNS1_3genE2ELNS1_11target_archE906ELNS1_3gpuE6ELNS1_3repE0EEENS1_30default_config_static_selectorELNS0_4arch9wavefront6targetE0EEEvT1_: ; @_ZN7rocprim17ROCPRIM_400000_NS6detail17trampoline_kernelINS0_14default_configENS1_25partition_config_selectorILNS1_17partition_subalgoE8ElNS0_10empty_typeEbEEZZNS1_14partition_implILS5_8ELb0ES3_jPlPS6_PKS6_NS0_5tupleIJS9_S6_EEENSD_IJSA_SA_EEENS0_18inequality_wrapperIZN2at6native12_GLOBAL__N_124unique_dim_cuda_templateIfEESt5tupleIJNSH_6TensorESM_SM_EERKSM_lbbbEUlllE0_EEPmJS6_EEE10hipError_tPvRmT3_T4_T5_T6_T7_T9_mT8_P12ihipStream_tbDpT10_ENKUlT_T0_E_clISt17integral_constantIbLb1EES1B_IbLb0EEEEDaS17_S18_EUlS17_E_NS1_11comp_targetILNS1_3genE2ELNS1_11target_archE906ELNS1_3gpuE6ELNS1_3repE0EEENS1_30default_config_static_selectorELNS0_4arch9wavefront6targetE0EEEvT1_
; %bb.0:
	.section	.rodata,"a",@progbits
	.p2align	6, 0x0
	.amdhsa_kernel _ZN7rocprim17ROCPRIM_400000_NS6detail17trampoline_kernelINS0_14default_configENS1_25partition_config_selectorILNS1_17partition_subalgoE8ElNS0_10empty_typeEbEEZZNS1_14partition_implILS5_8ELb0ES3_jPlPS6_PKS6_NS0_5tupleIJS9_S6_EEENSD_IJSA_SA_EEENS0_18inequality_wrapperIZN2at6native12_GLOBAL__N_124unique_dim_cuda_templateIfEESt5tupleIJNSH_6TensorESM_SM_EERKSM_lbbbEUlllE0_EEPmJS6_EEE10hipError_tPvRmT3_T4_T5_T6_T7_T9_mT8_P12ihipStream_tbDpT10_ENKUlT_T0_E_clISt17integral_constantIbLb1EES1B_IbLb0EEEEDaS17_S18_EUlS17_E_NS1_11comp_targetILNS1_3genE2ELNS1_11target_archE906ELNS1_3gpuE6ELNS1_3repE0EEENS1_30default_config_static_selectorELNS0_4arch9wavefront6targetE0EEEvT1_
		.amdhsa_group_segment_fixed_size 0
		.amdhsa_private_segment_fixed_size 0
		.amdhsa_kernarg_size 120
		.amdhsa_user_sgpr_count 15
		.amdhsa_user_sgpr_dispatch_ptr 0
		.amdhsa_user_sgpr_queue_ptr 0
		.amdhsa_user_sgpr_kernarg_segment_ptr 1
		.amdhsa_user_sgpr_dispatch_id 0
		.amdhsa_user_sgpr_private_segment_size 0
		.amdhsa_wavefront_size32 1
		.amdhsa_uses_dynamic_stack 0
		.amdhsa_enable_private_segment 0
		.amdhsa_system_sgpr_workgroup_id_x 1
		.amdhsa_system_sgpr_workgroup_id_y 0
		.amdhsa_system_sgpr_workgroup_id_z 0
		.amdhsa_system_sgpr_workgroup_info 0
		.amdhsa_system_vgpr_workitem_id 0
		.amdhsa_next_free_vgpr 1
		.amdhsa_next_free_sgpr 1
		.amdhsa_reserve_vcc 0
		.amdhsa_float_round_mode_32 0
		.amdhsa_float_round_mode_16_64 0
		.amdhsa_float_denorm_mode_32 3
		.amdhsa_float_denorm_mode_16_64 3
		.amdhsa_dx10_clamp 1
		.amdhsa_ieee_mode 1
		.amdhsa_fp16_overflow 0
		.amdhsa_workgroup_processor_mode 1
		.amdhsa_memory_ordered 1
		.amdhsa_forward_progress 0
		.amdhsa_shared_vgpr_count 0
		.amdhsa_exception_fp_ieee_invalid_op 0
		.amdhsa_exception_fp_denorm_src 0
		.amdhsa_exception_fp_ieee_div_zero 0
		.amdhsa_exception_fp_ieee_overflow 0
		.amdhsa_exception_fp_ieee_underflow 0
		.amdhsa_exception_fp_ieee_inexact 0
		.amdhsa_exception_int_div_zero 0
	.end_amdhsa_kernel
	.section	.text._ZN7rocprim17ROCPRIM_400000_NS6detail17trampoline_kernelINS0_14default_configENS1_25partition_config_selectorILNS1_17partition_subalgoE8ElNS0_10empty_typeEbEEZZNS1_14partition_implILS5_8ELb0ES3_jPlPS6_PKS6_NS0_5tupleIJS9_S6_EEENSD_IJSA_SA_EEENS0_18inequality_wrapperIZN2at6native12_GLOBAL__N_124unique_dim_cuda_templateIfEESt5tupleIJNSH_6TensorESM_SM_EERKSM_lbbbEUlllE0_EEPmJS6_EEE10hipError_tPvRmT3_T4_T5_T6_T7_T9_mT8_P12ihipStream_tbDpT10_ENKUlT_T0_E_clISt17integral_constantIbLb1EES1B_IbLb0EEEEDaS17_S18_EUlS17_E_NS1_11comp_targetILNS1_3genE2ELNS1_11target_archE906ELNS1_3gpuE6ELNS1_3repE0EEENS1_30default_config_static_selectorELNS0_4arch9wavefront6targetE0EEEvT1_,"axG",@progbits,_ZN7rocprim17ROCPRIM_400000_NS6detail17trampoline_kernelINS0_14default_configENS1_25partition_config_selectorILNS1_17partition_subalgoE8ElNS0_10empty_typeEbEEZZNS1_14partition_implILS5_8ELb0ES3_jPlPS6_PKS6_NS0_5tupleIJS9_S6_EEENSD_IJSA_SA_EEENS0_18inequality_wrapperIZN2at6native12_GLOBAL__N_124unique_dim_cuda_templateIfEESt5tupleIJNSH_6TensorESM_SM_EERKSM_lbbbEUlllE0_EEPmJS6_EEE10hipError_tPvRmT3_T4_T5_T6_T7_T9_mT8_P12ihipStream_tbDpT10_ENKUlT_T0_E_clISt17integral_constantIbLb1EES1B_IbLb0EEEEDaS17_S18_EUlS17_E_NS1_11comp_targetILNS1_3genE2ELNS1_11target_archE906ELNS1_3gpuE6ELNS1_3repE0EEENS1_30default_config_static_selectorELNS0_4arch9wavefront6targetE0EEEvT1_,comdat
.Lfunc_end949:
	.size	_ZN7rocprim17ROCPRIM_400000_NS6detail17trampoline_kernelINS0_14default_configENS1_25partition_config_selectorILNS1_17partition_subalgoE8ElNS0_10empty_typeEbEEZZNS1_14partition_implILS5_8ELb0ES3_jPlPS6_PKS6_NS0_5tupleIJS9_S6_EEENSD_IJSA_SA_EEENS0_18inequality_wrapperIZN2at6native12_GLOBAL__N_124unique_dim_cuda_templateIfEESt5tupleIJNSH_6TensorESM_SM_EERKSM_lbbbEUlllE0_EEPmJS6_EEE10hipError_tPvRmT3_T4_T5_T6_T7_T9_mT8_P12ihipStream_tbDpT10_ENKUlT_T0_E_clISt17integral_constantIbLb1EES1B_IbLb0EEEEDaS17_S18_EUlS17_E_NS1_11comp_targetILNS1_3genE2ELNS1_11target_archE906ELNS1_3gpuE6ELNS1_3repE0EEENS1_30default_config_static_selectorELNS0_4arch9wavefront6targetE0EEEvT1_, .Lfunc_end949-_ZN7rocprim17ROCPRIM_400000_NS6detail17trampoline_kernelINS0_14default_configENS1_25partition_config_selectorILNS1_17partition_subalgoE8ElNS0_10empty_typeEbEEZZNS1_14partition_implILS5_8ELb0ES3_jPlPS6_PKS6_NS0_5tupleIJS9_S6_EEENSD_IJSA_SA_EEENS0_18inequality_wrapperIZN2at6native12_GLOBAL__N_124unique_dim_cuda_templateIfEESt5tupleIJNSH_6TensorESM_SM_EERKSM_lbbbEUlllE0_EEPmJS6_EEE10hipError_tPvRmT3_T4_T5_T6_T7_T9_mT8_P12ihipStream_tbDpT10_ENKUlT_T0_E_clISt17integral_constantIbLb1EES1B_IbLb0EEEEDaS17_S18_EUlS17_E_NS1_11comp_targetILNS1_3genE2ELNS1_11target_archE906ELNS1_3gpuE6ELNS1_3repE0EEENS1_30default_config_static_selectorELNS0_4arch9wavefront6targetE0EEEvT1_
                                        ; -- End function
	.section	.AMDGPU.csdata,"",@progbits
; Kernel info:
; codeLenInByte = 0
; NumSgprs: 0
; NumVgprs: 0
; ScratchSize: 0
; MemoryBound: 0
; FloatMode: 240
; IeeeMode: 1
; LDSByteSize: 0 bytes/workgroup (compile time only)
; SGPRBlocks: 0
; VGPRBlocks: 0
; NumSGPRsForWavesPerEU: 1
; NumVGPRsForWavesPerEU: 1
; Occupancy: 16
; WaveLimiterHint : 0
; COMPUTE_PGM_RSRC2:SCRATCH_EN: 0
; COMPUTE_PGM_RSRC2:USER_SGPR: 15
; COMPUTE_PGM_RSRC2:TRAP_HANDLER: 0
; COMPUTE_PGM_RSRC2:TGID_X_EN: 1
; COMPUTE_PGM_RSRC2:TGID_Y_EN: 0
; COMPUTE_PGM_RSRC2:TGID_Z_EN: 0
; COMPUTE_PGM_RSRC2:TIDIG_COMP_CNT: 0
	.section	.text._ZN7rocprim17ROCPRIM_400000_NS6detail17trampoline_kernelINS0_14default_configENS1_25partition_config_selectorILNS1_17partition_subalgoE8ElNS0_10empty_typeEbEEZZNS1_14partition_implILS5_8ELb0ES3_jPlPS6_PKS6_NS0_5tupleIJS9_S6_EEENSD_IJSA_SA_EEENS0_18inequality_wrapperIZN2at6native12_GLOBAL__N_124unique_dim_cuda_templateIfEESt5tupleIJNSH_6TensorESM_SM_EERKSM_lbbbEUlllE0_EEPmJS6_EEE10hipError_tPvRmT3_T4_T5_T6_T7_T9_mT8_P12ihipStream_tbDpT10_ENKUlT_T0_E_clISt17integral_constantIbLb1EES1B_IbLb0EEEEDaS17_S18_EUlS17_E_NS1_11comp_targetILNS1_3genE10ELNS1_11target_archE1200ELNS1_3gpuE4ELNS1_3repE0EEENS1_30default_config_static_selectorELNS0_4arch9wavefront6targetE0EEEvT1_,"axG",@progbits,_ZN7rocprim17ROCPRIM_400000_NS6detail17trampoline_kernelINS0_14default_configENS1_25partition_config_selectorILNS1_17partition_subalgoE8ElNS0_10empty_typeEbEEZZNS1_14partition_implILS5_8ELb0ES3_jPlPS6_PKS6_NS0_5tupleIJS9_S6_EEENSD_IJSA_SA_EEENS0_18inequality_wrapperIZN2at6native12_GLOBAL__N_124unique_dim_cuda_templateIfEESt5tupleIJNSH_6TensorESM_SM_EERKSM_lbbbEUlllE0_EEPmJS6_EEE10hipError_tPvRmT3_T4_T5_T6_T7_T9_mT8_P12ihipStream_tbDpT10_ENKUlT_T0_E_clISt17integral_constantIbLb1EES1B_IbLb0EEEEDaS17_S18_EUlS17_E_NS1_11comp_targetILNS1_3genE10ELNS1_11target_archE1200ELNS1_3gpuE4ELNS1_3repE0EEENS1_30default_config_static_selectorELNS0_4arch9wavefront6targetE0EEEvT1_,comdat
	.globl	_ZN7rocprim17ROCPRIM_400000_NS6detail17trampoline_kernelINS0_14default_configENS1_25partition_config_selectorILNS1_17partition_subalgoE8ElNS0_10empty_typeEbEEZZNS1_14partition_implILS5_8ELb0ES3_jPlPS6_PKS6_NS0_5tupleIJS9_S6_EEENSD_IJSA_SA_EEENS0_18inequality_wrapperIZN2at6native12_GLOBAL__N_124unique_dim_cuda_templateIfEESt5tupleIJNSH_6TensorESM_SM_EERKSM_lbbbEUlllE0_EEPmJS6_EEE10hipError_tPvRmT3_T4_T5_T6_T7_T9_mT8_P12ihipStream_tbDpT10_ENKUlT_T0_E_clISt17integral_constantIbLb1EES1B_IbLb0EEEEDaS17_S18_EUlS17_E_NS1_11comp_targetILNS1_3genE10ELNS1_11target_archE1200ELNS1_3gpuE4ELNS1_3repE0EEENS1_30default_config_static_selectorELNS0_4arch9wavefront6targetE0EEEvT1_ ; -- Begin function _ZN7rocprim17ROCPRIM_400000_NS6detail17trampoline_kernelINS0_14default_configENS1_25partition_config_selectorILNS1_17partition_subalgoE8ElNS0_10empty_typeEbEEZZNS1_14partition_implILS5_8ELb0ES3_jPlPS6_PKS6_NS0_5tupleIJS9_S6_EEENSD_IJSA_SA_EEENS0_18inequality_wrapperIZN2at6native12_GLOBAL__N_124unique_dim_cuda_templateIfEESt5tupleIJNSH_6TensorESM_SM_EERKSM_lbbbEUlllE0_EEPmJS6_EEE10hipError_tPvRmT3_T4_T5_T6_T7_T9_mT8_P12ihipStream_tbDpT10_ENKUlT_T0_E_clISt17integral_constantIbLb1EES1B_IbLb0EEEEDaS17_S18_EUlS17_E_NS1_11comp_targetILNS1_3genE10ELNS1_11target_archE1200ELNS1_3gpuE4ELNS1_3repE0EEENS1_30default_config_static_selectorELNS0_4arch9wavefront6targetE0EEEvT1_
	.p2align	8
	.type	_ZN7rocprim17ROCPRIM_400000_NS6detail17trampoline_kernelINS0_14default_configENS1_25partition_config_selectorILNS1_17partition_subalgoE8ElNS0_10empty_typeEbEEZZNS1_14partition_implILS5_8ELb0ES3_jPlPS6_PKS6_NS0_5tupleIJS9_S6_EEENSD_IJSA_SA_EEENS0_18inequality_wrapperIZN2at6native12_GLOBAL__N_124unique_dim_cuda_templateIfEESt5tupleIJNSH_6TensorESM_SM_EERKSM_lbbbEUlllE0_EEPmJS6_EEE10hipError_tPvRmT3_T4_T5_T6_T7_T9_mT8_P12ihipStream_tbDpT10_ENKUlT_T0_E_clISt17integral_constantIbLb1EES1B_IbLb0EEEEDaS17_S18_EUlS17_E_NS1_11comp_targetILNS1_3genE10ELNS1_11target_archE1200ELNS1_3gpuE4ELNS1_3repE0EEENS1_30default_config_static_selectorELNS0_4arch9wavefront6targetE0EEEvT1_,@function
_ZN7rocprim17ROCPRIM_400000_NS6detail17trampoline_kernelINS0_14default_configENS1_25partition_config_selectorILNS1_17partition_subalgoE8ElNS0_10empty_typeEbEEZZNS1_14partition_implILS5_8ELb0ES3_jPlPS6_PKS6_NS0_5tupleIJS9_S6_EEENSD_IJSA_SA_EEENS0_18inequality_wrapperIZN2at6native12_GLOBAL__N_124unique_dim_cuda_templateIfEESt5tupleIJNSH_6TensorESM_SM_EERKSM_lbbbEUlllE0_EEPmJS6_EEE10hipError_tPvRmT3_T4_T5_T6_T7_T9_mT8_P12ihipStream_tbDpT10_ENKUlT_T0_E_clISt17integral_constantIbLb1EES1B_IbLb0EEEEDaS17_S18_EUlS17_E_NS1_11comp_targetILNS1_3genE10ELNS1_11target_archE1200ELNS1_3gpuE4ELNS1_3repE0EEENS1_30default_config_static_selectorELNS0_4arch9wavefront6targetE0EEEvT1_: ; @_ZN7rocprim17ROCPRIM_400000_NS6detail17trampoline_kernelINS0_14default_configENS1_25partition_config_selectorILNS1_17partition_subalgoE8ElNS0_10empty_typeEbEEZZNS1_14partition_implILS5_8ELb0ES3_jPlPS6_PKS6_NS0_5tupleIJS9_S6_EEENSD_IJSA_SA_EEENS0_18inequality_wrapperIZN2at6native12_GLOBAL__N_124unique_dim_cuda_templateIfEESt5tupleIJNSH_6TensorESM_SM_EERKSM_lbbbEUlllE0_EEPmJS6_EEE10hipError_tPvRmT3_T4_T5_T6_T7_T9_mT8_P12ihipStream_tbDpT10_ENKUlT_T0_E_clISt17integral_constantIbLb1EES1B_IbLb0EEEEDaS17_S18_EUlS17_E_NS1_11comp_targetILNS1_3genE10ELNS1_11target_archE1200ELNS1_3gpuE4ELNS1_3repE0EEENS1_30default_config_static_selectorELNS0_4arch9wavefront6targetE0EEEvT1_
; %bb.0:
	.section	.rodata,"a",@progbits
	.p2align	6, 0x0
	.amdhsa_kernel _ZN7rocprim17ROCPRIM_400000_NS6detail17trampoline_kernelINS0_14default_configENS1_25partition_config_selectorILNS1_17partition_subalgoE8ElNS0_10empty_typeEbEEZZNS1_14partition_implILS5_8ELb0ES3_jPlPS6_PKS6_NS0_5tupleIJS9_S6_EEENSD_IJSA_SA_EEENS0_18inequality_wrapperIZN2at6native12_GLOBAL__N_124unique_dim_cuda_templateIfEESt5tupleIJNSH_6TensorESM_SM_EERKSM_lbbbEUlllE0_EEPmJS6_EEE10hipError_tPvRmT3_T4_T5_T6_T7_T9_mT8_P12ihipStream_tbDpT10_ENKUlT_T0_E_clISt17integral_constantIbLb1EES1B_IbLb0EEEEDaS17_S18_EUlS17_E_NS1_11comp_targetILNS1_3genE10ELNS1_11target_archE1200ELNS1_3gpuE4ELNS1_3repE0EEENS1_30default_config_static_selectorELNS0_4arch9wavefront6targetE0EEEvT1_
		.amdhsa_group_segment_fixed_size 0
		.amdhsa_private_segment_fixed_size 0
		.amdhsa_kernarg_size 120
		.amdhsa_user_sgpr_count 15
		.amdhsa_user_sgpr_dispatch_ptr 0
		.amdhsa_user_sgpr_queue_ptr 0
		.amdhsa_user_sgpr_kernarg_segment_ptr 1
		.amdhsa_user_sgpr_dispatch_id 0
		.amdhsa_user_sgpr_private_segment_size 0
		.amdhsa_wavefront_size32 1
		.amdhsa_uses_dynamic_stack 0
		.amdhsa_enable_private_segment 0
		.amdhsa_system_sgpr_workgroup_id_x 1
		.amdhsa_system_sgpr_workgroup_id_y 0
		.amdhsa_system_sgpr_workgroup_id_z 0
		.amdhsa_system_sgpr_workgroup_info 0
		.amdhsa_system_vgpr_workitem_id 0
		.amdhsa_next_free_vgpr 1
		.amdhsa_next_free_sgpr 1
		.amdhsa_reserve_vcc 0
		.amdhsa_float_round_mode_32 0
		.amdhsa_float_round_mode_16_64 0
		.amdhsa_float_denorm_mode_32 3
		.amdhsa_float_denorm_mode_16_64 3
		.amdhsa_dx10_clamp 1
		.amdhsa_ieee_mode 1
		.amdhsa_fp16_overflow 0
		.amdhsa_workgroup_processor_mode 1
		.amdhsa_memory_ordered 1
		.amdhsa_forward_progress 0
		.amdhsa_shared_vgpr_count 0
		.amdhsa_exception_fp_ieee_invalid_op 0
		.amdhsa_exception_fp_denorm_src 0
		.amdhsa_exception_fp_ieee_div_zero 0
		.amdhsa_exception_fp_ieee_overflow 0
		.amdhsa_exception_fp_ieee_underflow 0
		.amdhsa_exception_fp_ieee_inexact 0
		.amdhsa_exception_int_div_zero 0
	.end_amdhsa_kernel
	.section	.text._ZN7rocprim17ROCPRIM_400000_NS6detail17trampoline_kernelINS0_14default_configENS1_25partition_config_selectorILNS1_17partition_subalgoE8ElNS0_10empty_typeEbEEZZNS1_14partition_implILS5_8ELb0ES3_jPlPS6_PKS6_NS0_5tupleIJS9_S6_EEENSD_IJSA_SA_EEENS0_18inequality_wrapperIZN2at6native12_GLOBAL__N_124unique_dim_cuda_templateIfEESt5tupleIJNSH_6TensorESM_SM_EERKSM_lbbbEUlllE0_EEPmJS6_EEE10hipError_tPvRmT3_T4_T5_T6_T7_T9_mT8_P12ihipStream_tbDpT10_ENKUlT_T0_E_clISt17integral_constantIbLb1EES1B_IbLb0EEEEDaS17_S18_EUlS17_E_NS1_11comp_targetILNS1_3genE10ELNS1_11target_archE1200ELNS1_3gpuE4ELNS1_3repE0EEENS1_30default_config_static_selectorELNS0_4arch9wavefront6targetE0EEEvT1_,"axG",@progbits,_ZN7rocprim17ROCPRIM_400000_NS6detail17trampoline_kernelINS0_14default_configENS1_25partition_config_selectorILNS1_17partition_subalgoE8ElNS0_10empty_typeEbEEZZNS1_14partition_implILS5_8ELb0ES3_jPlPS6_PKS6_NS0_5tupleIJS9_S6_EEENSD_IJSA_SA_EEENS0_18inequality_wrapperIZN2at6native12_GLOBAL__N_124unique_dim_cuda_templateIfEESt5tupleIJNSH_6TensorESM_SM_EERKSM_lbbbEUlllE0_EEPmJS6_EEE10hipError_tPvRmT3_T4_T5_T6_T7_T9_mT8_P12ihipStream_tbDpT10_ENKUlT_T0_E_clISt17integral_constantIbLb1EES1B_IbLb0EEEEDaS17_S18_EUlS17_E_NS1_11comp_targetILNS1_3genE10ELNS1_11target_archE1200ELNS1_3gpuE4ELNS1_3repE0EEENS1_30default_config_static_selectorELNS0_4arch9wavefront6targetE0EEEvT1_,comdat
.Lfunc_end950:
	.size	_ZN7rocprim17ROCPRIM_400000_NS6detail17trampoline_kernelINS0_14default_configENS1_25partition_config_selectorILNS1_17partition_subalgoE8ElNS0_10empty_typeEbEEZZNS1_14partition_implILS5_8ELb0ES3_jPlPS6_PKS6_NS0_5tupleIJS9_S6_EEENSD_IJSA_SA_EEENS0_18inequality_wrapperIZN2at6native12_GLOBAL__N_124unique_dim_cuda_templateIfEESt5tupleIJNSH_6TensorESM_SM_EERKSM_lbbbEUlllE0_EEPmJS6_EEE10hipError_tPvRmT3_T4_T5_T6_T7_T9_mT8_P12ihipStream_tbDpT10_ENKUlT_T0_E_clISt17integral_constantIbLb1EES1B_IbLb0EEEEDaS17_S18_EUlS17_E_NS1_11comp_targetILNS1_3genE10ELNS1_11target_archE1200ELNS1_3gpuE4ELNS1_3repE0EEENS1_30default_config_static_selectorELNS0_4arch9wavefront6targetE0EEEvT1_, .Lfunc_end950-_ZN7rocprim17ROCPRIM_400000_NS6detail17trampoline_kernelINS0_14default_configENS1_25partition_config_selectorILNS1_17partition_subalgoE8ElNS0_10empty_typeEbEEZZNS1_14partition_implILS5_8ELb0ES3_jPlPS6_PKS6_NS0_5tupleIJS9_S6_EEENSD_IJSA_SA_EEENS0_18inequality_wrapperIZN2at6native12_GLOBAL__N_124unique_dim_cuda_templateIfEESt5tupleIJNSH_6TensorESM_SM_EERKSM_lbbbEUlllE0_EEPmJS6_EEE10hipError_tPvRmT3_T4_T5_T6_T7_T9_mT8_P12ihipStream_tbDpT10_ENKUlT_T0_E_clISt17integral_constantIbLb1EES1B_IbLb0EEEEDaS17_S18_EUlS17_E_NS1_11comp_targetILNS1_3genE10ELNS1_11target_archE1200ELNS1_3gpuE4ELNS1_3repE0EEENS1_30default_config_static_selectorELNS0_4arch9wavefront6targetE0EEEvT1_
                                        ; -- End function
	.section	.AMDGPU.csdata,"",@progbits
; Kernel info:
; codeLenInByte = 0
; NumSgprs: 0
; NumVgprs: 0
; ScratchSize: 0
; MemoryBound: 0
; FloatMode: 240
; IeeeMode: 1
; LDSByteSize: 0 bytes/workgroup (compile time only)
; SGPRBlocks: 0
; VGPRBlocks: 0
; NumSGPRsForWavesPerEU: 1
; NumVGPRsForWavesPerEU: 1
; Occupancy: 15
; WaveLimiterHint : 0
; COMPUTE_PGM_RSRC2:SCRATCH_EN: 0
; COMPUTE_PGM_RSRC2:USER_SGPR: 15
; COMPUTE_PGM_RSRC2:TRAP_HANDLER: 0
; COMPUTE_PGM_RSRC2:TGID_X_EN: 1
; COMPUTE_PGM_RSRC2:TGID_Y_EN: 0
; COMPUTE_PGM_RSRC2:TGID_Z_EN: 0
; COMPUTE_PGM_RSRC2:TIDIG_COMP_CNT: 0
	.section	.text._ZN7rocprim17ROCPRIM_400000_NS6detail17trampoline_kernelINS0_14default_configENS1_25partition_config_selectorILNS1_17partition_subalgoE8ElNS0_10empty_typeEbEEZZNS1_14partition_implILS5_8ELb0ES3_jPlPS6_PKS6_NS0_5tupleIJS9_S6_EEENSD_IJSA_SA_EEENS0_18inequality_wrapperIZN2at6native12_GLOBAL__N_124unique_dim_cuda_templateIfEESt5tupleIJNSH_6TensorESM_SM_EERKSM_lbbbEUlllE0_EEPmJS6_EEE10hipError_tPvRmT3_T4_T5_T6_T7_T9_mT8_P12ihipStream_tbDpT10_ENKUlT_T0_E_clISt17integral_constantIbLb1EES1B_IbLb0EEEEDaS17_S18_EUlS17_E_NS1_11comp_targetILNS1_3genE9ELNS1_11target_archE1100ELNS1_3gpuE3ELNS1_3repE0EEENS1_30default_config_static_selectorELNS0_4arch9wavefront6targetE0EEEvT1_,"axG",@progbits,_ZN7rocprim17ROCPRIM_400000_NS6detail17trampoline_kernelINS0_14default_configENS1_25partition_config_selectorILNS1_17partition_subalgoE8ElNS0_10empty_typeEbEEZZNS1_14partition_implILS5_8ELb0ES3_jPlPS6_PKS6_NS0_5tupleIJS9_S6_EEENSD_IJSA_SA_EEENS0_18inequality_wrapperIZN2at6native12_GLOBAL__N_124unique_dim_cuda_templateIfEESt5tupleIJNSH_6TensorESM_SM_EERKSM_lbbbEUlllE0_EEPmJS6_EEE10hipError_tPvRmT3_T4_T5_T6_T7_T9_mT8_P12ihipStream_tbDpT10_ENKUlT_T0_E_clISt17integral_constantIbLb1EES1B_IbLb0EEEEDaS17_S18_EUlS17_E_NS1_11comp_targetILNS1_3genE9ELNS1_11target_archE1100ELNS1_3gpuE3ELNS1_3repE0EEENS1_30default_config_static_selectorELNS0_4arch9wavefront6targetE0EEEvT1_,comdat
	.globl	_ZN7rocprim17ROCPRIM_400000_NS6detail17trampoline_kernelINS0_14default_configENS1_25partition_config_selectorILNS1_17partition_subalgoE8ElNS0_10empty_typeEbEEZZNS1_14partition_implILS5_8ELb0ES3_jPlPS6_PKS6_NS0_5tupleIJS9_S6_EEENSD_IJSA_SA_EEENS0_18inequality_wrapperIZN2at6native12_GLOBAL__N_124unique_dim_cuda_templateIfEESt5tupleIJNSH_6TensorESM_SM_EERKSM_lbbbEUlllE0_EEPmJS6_EEE10hipError_tPvRmT3_T4_T5_T6_T7_T9_mT8_P12ihipStream_tbDpT10_ENKUlT_T0_E_clISt17integral_constantIbLb1EES1B_IbLb0EEEEDaS17_S18_EUlS17_E_NS1_11comp_targetILNS1_3genE9ELNS1_11target_archE1100ELNS1_3gpuE3ELNS1_3repE0EEENS1_30default_config_static_selectorELNS0_4arch9wavefront6targetE0EEEvT1_ ; -- Begin function _ZN7rocprim17ROCPRIM_400000_NS6detail17trampoline_kernelINS0_14default_configENS1_25partition_config_selectorILNS1_17partition_subalgoE8ElNS0_10empty_typeEbEEZZNS1_14partition_implILS5_8ELb0ES3_jPlPS6_PKS6_NS0_5tupleIJS9_S6_EEENSD_IJSA_SA_EEENS0_18inequality_wrapperIZN2at6native12_GLOBAL__N_124unique_dim_cuda_templateIfEESt5tupleIJNSH_6TensorESM_SM_EERKSM_lbbbEUlllE0_EEPmJS6_EEE10hipError_tPvRmT3_T4_T5_T6_T7_T9_mT8_P12ihipStream_tbDpT10_ENKUlT_T0_E_clISt17integral_constantIbLb1EES1B_IbLb0EEEEDaS17_S18_EUlS17_E_NS1_11comp_targetILNS1_3genE9ELNS1_11target_archE1100ELNS1_3gpuE3ELNS1_3repE0EEENS1_30default_config_static_selectorELNS0_4arch9wavefront6targetE0EEEvT1_
	.p2align	8
	.type	_ZN7rocprim17ROCPRIM_400000_NS6detail17trampoline_kernelINS0_14default_configENS1_25partition_config_selectorILNS1_17partition_subalgoE8ElNS0_10empty_typeEbEEZZNS1_14partition_implILS5_8ELb0ES3_jPlPS6_PKS6_NS0_5tupleIJS9_S6_EEENSD_IJSA_SA_EEENS0_18inequality_wrapperIZN2at6native12_GLOBAL__N_124unique_dim_cuda_templateIfEESt5tupleIJNSH_6TensorESM_SM_EERKSM_lbbbEUlllE0_EEPmJS6_EEE10hipError_tPvRmT3_T4_T5_T6_T7_T9_mT8_P12ihipStream_tbDpT10_ENKUlT_T0_E_clISt17integral_constantIbLb1EES1B_IbLb0EEEEDaS17_S18_EUlS17_E_NS1_11comp_targetILNS1_3genE9ELNS1_11target_archE1100ELNS1_3gpuE3ELNS1_3repE0EEENS1_30default_config_static_selectorELNS0_4arch9wavefront6targetE0EEEvT1_,@function
_ZN7rocprim17ROCPRIM_400000_NS6detail17trampoline_kernelINS0_14default_configENS1_25partition_config_selectorILNS1_17partition_subalgoE8ElNS0_10empty_typeEbEEZZNS1_14partition_implILS5_8ELb0ES3_jPlPS6_PKS6_NS0_5tupleIJS9_S6_EEENSD_IJSA_SA_EEENS0_18inequality_wrapperIZN2at6native12_GLOBAL__N_124unique_dim_cuda_templateIfEESt5tupleIJNSH_6TensorESM_SM_EERKSM_lbbbEUlllE0_EEPmJS6_EEE10hipError_tPvRmT3_T4_T5_T6_T7_T9_mT8_P12ihipStream_tbDpT10_ENKUlT_T0_E_clISt17integral_constantIbLb1EES1B_IbLb0EEEEDaS17_S18_EUlS17_E_NS1_11comp_targetILNS1_3genE9ELNS1_11target_archE1100ELNS1_3gpuE3ELNS1_3repE0EEENS1_30default_config_static_selectorELNS0_4arch9wavefront6targetE0EEEvT1_: ; @_ZN7rocprim17ROCPRIM_400000_NS6detail17trampoline_kernelINS0_14default_configENS1_25partition_config_selectorILNS1_17partition_subalgoE8ElNS0_10empty_typeEbEEZZNS1_14partition_implILS5_8ELb0ES3_jPlPS6_PKS6_NS0_5tupleIJS9_S6_EEENSD_IJSA_SA_EEENS0_18inequality_wrapperIZN2at6native12_GLOBAL__N_124unique_dim_cuda_templateIfEESt5tupleIJNSH_6TensorESM_SM_EERKSM_lbbbEUlllE0_EEPmJS6_EEE10hipError_tPvRmT3_T4_T5_T6_T7_T9_mT8_P12ihipStream_tbDpT10_ENKUlT_T0_E_clISt17integral_constantIbLb1EES1B_IbLb0EEEEDaS17_S18_EUlS17_E_NS1_11comp_targetILNS1_3genE9ELNS1_11target_archE1100ELNS1_3gpuE3ELNS1_3repE0EEENS1_30default_config_static_selectorELNS0_4arch9wavefront6targetE0EEEvT1_
; %bb.0:
	s_clause 0x3
	s_load_b128 s[4:7], s[0:1], 0x8
	s_load_b256 s[16:23], s[0:1], 0x40
	s_load_b32 s14, s[0:1], 0x70
	s_load_b128 s[8:11], s[0:1], 0x60
	s_mov_b32 s3, 0
	v_lshlrev_b32_e32 v39, 3, v0
	v_lshrrev_b32_e32 v17, 2, v0
	v_or_b32_e32 v24, 0x200, v0
	v_or_b32_e32 v22, 0x400, v0
	;; [unrolled: 1-line block ×7, first 2 shown]
	s_waitcnt lgkmcnt(0)
	s_lshl_b64 s[24:25], s[6:7], 3
	s_load_b64 s[12:13], s[18:19], 0x0
	s_add_u32 s26, s4, s24
	s_addc_u32 s5, s5, s25
	s_add_i32 s24, s14, -1
	s_lshl_b32 s14, s14, 12
	s_lshl_b32 s4, s24, 12
	;; [unrolled: 1-line block ×3, first 2 shown]
	s_add_i32 s4, s6, s4
	s_add_u32 s18, s6, s14
	s_addc_u32 s19, s7, 0
	s_cmp_eq_u32 s15, s24
	v_cmp_ge_u64_e64 s18, s[18:19], s[20:21]
	s_cselect_b32 s14, -1, 0
	s_lshl_b64 s[2:3], s[2:3], 3
	s_delay_alu instid0(VALU_DEP_1) | instskip(NEXT) | instid1(SALU_CYCLE_1)
	s_and_b32 s24, s14, s18
	s_xor_b32 s21, s24, -1
	s_add_u32 s2, s26, s2
	s_addc_u32 s3, s5, s3
	s_and_b32 vcc_lo, exec_lo, s21
	s_mov_b32 s5, -1
	s_cbranch_vccz .LBB951_2
; %bb.1:
	v_add_co_u32 v9, s5, s2, v39
	s_delay_alu instid0(VALU_DEP_1)
	v_add_co_ci_u32_e64 v10, null, s3, 0, s5
	global_load_b64 v[1:2], v39, s[2:3]
	v_add_co_u32 v3, vcc_lo, v9, 0x2000
	v_add_co_ci_u32_e32 v4, vcc_lo, 0, v10, vcc_lo
	v_add_co_u32 v5, vcc_lo, v9, 0x4000
	v_add_co_ci_u32_e32 v6, vcc_lo, 0, v10, vcc_lo
	;; [unrolled: 2-line block ×4, first 2 shown]
	s_clause 0x6
	global_load_b64 v[11:12], v[3:4], off offset:-4096
	global_load_b64 v[3:4], v[3:4], off
	global_load_b64 v[13:14], v[5:6], off offset:-4096
	global_load_b64 v[5:6], v[5:6], off
	;; [unrolled: 2-line block ×3, first 2 shown]
	global_load_b64 v[9:10], v[9:10], off
	v_lshrrev_b32_e32 v26, 2, v24
	v_lshrrev_b32_e32 v27, 2, v22
	;; [unrolled: 1-line block ×4, first 2 shown]
	v_and_b32_e32 v25, 0x78, v17
	v_lshrrev_b32_e32 v30, 2, v20
	v_lshrrev_b32_e32 v31, 2, v19
	;; [unrolled: 1-line block ×3, first 2 shown]
	v_and_b32_e32 v26, 0xf8, v26
	v_and_b32_e32 v27, 0x178, v27
	;; [unrolled: 1-line block ×4, first 2 shown]
	v_add_nc_u32_e32 v25, v25, v39
	v_and_b32_e32 v30, 0x2f8, v30
	v_and_b32_e32 v31, 0x378, v31
	;; [unrolled: 1-line block ×3, first 2 shown]
	v_add_nc_u32_e32 v26, v26, v39
	v_add_nc_u32_e32 v27, v27, v39
	;; [unrolled: 1-line block ×4, first 2 shown]
	s_mov_b32 s5, 0
	v_add_nc_u32_e32 v30, v30, v39
	v_add_nc_u32_e32 v31, v31, v39
	;; [unrolled: 1-line block ×3, first 2 shown]
	s_waitcnt vmcnt(7)
	ds_store_b64 v25, v[1:2]
	s_waitcnt vmcnt(6)
	ds_store_b64 v26, v[11:12] offset:4096
	s_waitcnt vmcnt(5)
	ds_store_b64 v27, v[3:4] offset:8192
	;; [unrolled: 2-line block ×7, first 2 shown]
	s_waitcnt lgkmcnt(0)
	s_barrier
.LBB951_2:
	s_and_not1_b32 vcc_lo, exec_lo, s5
	s_sub_i32 s20, s20, s4
	s_cbranch_vccnz .LBB951_13
; %bb.3:
	s_mov_b32 s4, exec_lo
                                        ; implicit-def: $vgpr1_vgpr2_vgpr3_vgpr4_vgpr5_vgpr6_vgpr7_vgpr8_vgpr9_vgpr10_vgpr11_vgpr12_vgpr13_vgpr14_vgpr15_vgpr16
	v_cmpx_gt_u32_e64 s20, v0
	s_cbranch_execnz .LBB951_23
; %bb.4:
	s_or_b32 exec_lo, exec_lo, s4
	s_delay_alu instid0(SALU_CYCLE_1)
	s_mov_b32 s4, exec_lo
	v_cmpx_gt_u32_e64 s20, v24
	s_cbranch_execnz .LBB951_24
.LBB951_5:
	s_or_b32 exec_lo, exec_lo, s4
	s_delay_alu instid0(SALU_CYCLE_1)
	s_mov_b32 s4, exec_lo
	v_cmpx_gt_u32_e64 s20, v22
	s_cbranch_execnz .LBB951_25
.LBB951_6:
	s_or_b32 exec_lo, exec_lo, s4
	s_delay_alu instid0(SALU_CYCLE_1)
	s_mov_b32 s4, exec_lo
	v_cmpx_gt_u32_e64 s20, v23
	s_cbranch_execnz .LBB951_26
.LBB951_7:
	s_or_b32 exec_lo, exec_lo, s4
	s_delay_alu instid0(SALU_CYCLE_1)
	s_mov_b32 s4, exec_lo
	v_cmpx_gt_u32_e64 s20, v21
	s_cbranch_execnz .LBB951_27
.LBB951_8:
	s_or_b32 exec_lo, exec_lo, s4
	s_delay_alu instid0(SALU_CYCLE_1)
	s_mov_b32 s4, exec_lo
	v_cmpx_gt_u32_e64 s20, v20
	s_cbranch_execnz .LBB951_28
.LBB951_9:
	s_or_b32 exec_lo, exec_lo, s4
	s_delay_alu instid0(SALU_CYCLE_1)
	s_mov_b32 s4, exec_lo
	v_cmpx_gt_u32_e64 s20, v19
	s_cbranch_execnz .LBB951_29
.LBB951_10:
	s_or_b32 exec_lo, exec_lo, s4
	s_delay_alu instid0(SALU_CYCLE_1)
	s_mov_b32 s4, exec_lo
	v_cmpx_gt_u32_e64 s20, v18
	s_cbranch_execz .LBB951_12
.LBB951_11:
	v_lshlrev_b32_e32 v15, 3, v18
	global_load_b64 v[15:16], v15, s[2:3]
.LBB951_12:
	s_or_b32 exec_lo, exec_lo, s4
	v_lshrrev_b32_e32 v24, 2, v24
	v_lshrrev_b32_e32 v22, 2, v22
	;; [unrolled: 1-line block ×4, first 2 shown]
	v_and_b32_e32 v25, 0x78, v17
	v_lshrrev_b32_e32 v20, 2, v20
	v_lshrrev_b32_e32 v19, 2, v19
	;; [unrolled: 1-line block ×3, first 2 shown]
	v_and_b32_e32 v24, 0xf8, v24
	v_and_b32_e32 v22, 0x1f8, v22
	;; [unrolled: 1-line block ×4, first 2 shown]
	v_add_nc_u32_e32 v25, v25, v39
	v_and_b32_e32 v20, 0x3f8, v20
	v_and_b32_e32 v19, 0x3f8, v19
	;; [unrolled: 1-line block ×3, first 2 shown]
	v_add_nc_u32_e32 v24, v24, v39
	v_add_nc_u32_e32 v22, v22, v39
	;; [unrolled: 1-line block ×7, first 2 shown]
	s_waitcnt vmcnt(0)
	ds_store_b64 v25, v[1:2]
	ds_store_b64 v24, v[3:4] offset:4096
	ds_store_b64 v22, v[5:6] offset:8192
	;; [unrolled: 1-line block ×7, first 2 shown]
	s_waitcnt lgkmcnt(0)
	s_barrier
.LBB951_13:
	v_add_lshl_u32 v1, v17, v39, 3
	s_waitcnt lgkmcnt(0)
	buffer_gl0_inv
	s_cmp_lg_u32 s15, 0
	v_cmp_gt_i64_e64 s26, s[22:23], 0
	s_cselect_b32 s25, -1, 0
	ds_load_2addr_b64 v[13:16], v1 offset1:1
	ds_load_2addr_b64 v[9:12], v1 offset0:2 offset1:3
	ds_load_2addr_b64 v[5:8], v1 offset0:4 offset1:5
	;; [unrolled: 1-line block ×3, first 2 shown]
	s_cmp_lg_u64 s[6:7], 0
	s_mov_b32 s18, 0
	s_cselect_b32 s4, -1, 0
	s_waitcnt lgkmcnt(0)
	s_or_b32 s4, s25, s4
	s_barrier
	s_and_b32 vcc_lo, exec_lo, s4
	buffer_gl0_inv
	s_cbranch_vccz .LBB951_22
; %bb.14:
	s_add_u32 s2, s2, -8
	s_addc_u32 s3, s3, -1
	v_cndmask_b32_e64 v25, 0, 1, s26
	s_load_b64 s[4:5], s[2:3], 0x0
	s_and_b32 vcc_lo, exec_lo, s21
	ds_store_b64 v39, v[3:4]
	v_cmp_ne_u32_e64 s2, 1, v25
	s_cbranch_vccz .LBB951_30
; %bb.15:
	v_mul_lo_u32 v19, v2, s22
	v_mul_lo_u32 v20, v1, s23
	v_mad_u64_u32 v[17:18], null, v1, s22, 0
	s_mov_b32 s3, 0
	s_and_b32 vcc_lo, exec_lo, s2
	s_mov_b32 s27, 0
	s_delay_alu instid0(VALU_DEP_1) | instskip(NEXT) | instid1(VALU_DEP_1)
	v_add3_u32 v18, v18, v20, v19
	v_lshlrev_b64 v[17:18], 2, v[17:18]
	s_cbranch_vccnz .LBB951_33
; %bb.16:
	v_mul_lo_u32 v21, v4, s22
	v_mul_lo_u32 v22, v3, s23
	v_mad_u64_u32 v[19:20], null, v3, s22, 0
	s_mov_b32 s27, -1
	s_mov_b32 s28, exec_lo
	s_delay_alu instid0(VALU_DEP_1) | instskip(SKIP_2) | instid1(VALU_DEP_3)
	v_add3_u32 v20, v20, v22, v21
	v_add_co_u32 v21, vcc_lo, s8, v17
	v_add_co_ci_u32_e32 v22, vcc_lo, s9, v18, vcc_lo
	v_lshlrev_b64 v[19:20], 2, v[19:20]
	s_delay_alu instid0(VALU_DEP_1) | instskip(NEXT) | instid1(VALU_DEP_2)
	v_add_co_u32 v19, vcc_lo, s8, v19
	v_add_co_ci_u32_e32 v20, vcc_lo, s9, v20, vcc_lo
	s_clause 0x1
	global_load_b32 v23, v[21:22], off
	global_load_b32 v24, v[19:20], off
	s_waitcnt vmcnt(0)
	v_cmpx_eq_f32_e32 v23, v24
	s_cbranch_execz .LBB951_32
; %bb.17:
	v_add_co_u32 v19, vcc_lo, v19, 4
	v_add_co_ci_u32_e32 v20, vcc_lo, 0, v20, vcc_lo
	v_add_co_u32 v21, vcc_lo, v21, 4
	v_add_co_ci_u32_e32 v22, vcc_lo, 0, v22, vcc_lo
	s_add_u32 s6, s22, -1
	s_addc_u32 s7, s23, -1
	s_mov_b64 s[18:19], 0
	s_mov_b32 s27, 0
                                        ; implicit-def: $sgpr29
	s_set_inst_prefetch_distance 0x1
	s_branch .LBB951_20
	.p2align	6
.LBB951_18:                             ;   in Loop: Header=BB951_20 Depth=1
	global_load_b32 v23, v[21:22], off
	global_load_b32 v24, v[19:20], off
	v_add_co_u32 v19, vcc_lo, v19, 4
	v_add_co_ci_u32_e32 v20, vcc_lo, 0, v20, vcc_lo
	v_add_co_u32 v21, s2, v21, 4
	s_delay_alu instid0(VALU_DEP_1)
	v_add_co_ci_u32_e64 v22, s2, 0, v22, s2
	s_add_u32 s18, s18, 1
	s_addc_u32 s19, s19, 0
	s_and_not1_b32 s2, s29, exec_lo
	s_waitcnt vmcnt(0)
	v_cmp_neq_f32_e32 vcc_lo, v23, v24
	s_and_b32 s29, vcc_lo, exec_lo
	s_delay_alu instid0(SALU_CYCLE_1)
	s_or_b32 s29, s2, s29
.LBB951_19:                             ;   in Loop: Header=BB951_20 Depth=1
	v_dual_mov_b32 v24, s19 :: v_dual_mov_b32 v23, s18
	s_and_b32 s2, exec_lo, s29
	s_delay_alu instid0(SALU_CYCLE_1) | instskip(NEXT) | instid1(SALU_CYCLE_1)
	s_or_b32 s27, s2, s27
	s_and_not1_b32 exec_lo, exec_lo, s27
	s_cbranch_execz .LBB951_31
.LBB951_20:                             ; =>This Inner Loop Header: Depth=1
	s_or_b32 s29, s29, exec_lo
	s_cmp_eq_u64 s[6:7], s[18:19]
	s_cbranch_scc0 .LBB951_18
; %bb.21:                               ;   in Loop: Header=BB951_20 Depth=1
	s_mov_b64 s[18:19], s[22:23]
                                        ; implicit-def: $vgpr19_vgpr20
                                        ; implicit-def: $vgpr21_vgpr22
	s_branch .LBB951_19
.LBB951_22:
                                        ; implicit-def: $sgpr2
                                        ; implicit-def: $vgpr18
	s_branch .LBB951_191
.LBB951_23:
	global_load_b64 v[1:2], v39, s[2:3]
	s_or_b32 exec_lo, exec_lo, s4
	s_delay_alu instid0(SALU_CYCLE_1)
	s_mov_b32 s4, exec_lo
	v_cmpx_gt_u32_e64 s20, v24
	s_cbranch_execz .LBB951_5
.LBB951_24:
	v_lshlrev_b32_e32 v3, 3, v24
	global_load_b64 v[3:4], v3, s[2:3]
	s_or_b32 exec_lo, exec_lo, s4
	s_delay_alu instid0(SALU_CYCLE_1)
	s_mov_b32 s4, exec_lo
	v_cmpx_gt_u32_e64 s20, v22
	s_cbranch_execz .LBB951_6
.LBB951_25:
	v_lshlrev_b32_e32 v5, 3, v22
	global_load_b64 v[5:6], v5, s[2:3]
	s_or_b32 exec_lo, exec_lo, s4
	s_delay_alu instid0(SALU_CYCLE_1)
	s_mov_b32 s4, exec_lo
	v_cmpx_gt_u32_e64 s20, v23
	s_cbranch_execz .LBB951_7
.LBB951_26:
	v_lshlrev_b32_e32 v7, 3, v23
	global_load_b64 v[7:8], v7, s[2:3]
	s_or_b32 exec_lo, exec_lo, s4
	s_delay_alu instid0(SALU_CYCLE_1)
	s_mov_b32 s4, exec_lo
	v_cmpx_gt_u32_e64 s20, v21
	s_cbranch_execz .LBB951_8
.LBB951_27:
	v_lshlrev_b32_e32 v9, 3, v21
	global_load_b64 v[9:10], v9, s[2:3]
	s_or_b32 exec_lo, exec_lo, s4
	s_delay_alu instid0(SALU_CYCLE_1)
	s_mov_b32 s4, exec_lo
	v_cmpx_gt_u32_e64 s20, v20
	s_cbranch_execz .LBB951_9
.LBB951_28:
	v_lshlrev_b32_e32 v11, 3, v20
	global_load_b64 v[11:12], v11, s[2:3]
	s_or_b32 exec_lo, exec_lo, s4
	s_delay_alu instid0(SALU_CYCLE_1)
	s_mov_b32 s4, exec_lo
	v_cmpx_gt_u32_e64 s20, v19
	s_cbranch_execz .LBB951_10
.LBB951_29:
	v_lshlrev_b32_e32 v13, 3, v19
	global_load_b64 v[13:14], v13, s[2:3]
	s_or_b32 exec_lo, exec_lo, s4
	s_delay_alu instid0(SALU_CYCLE_1)
	s_mov_b32 s4, exec_lo
	v_cmpx_gt_u32_e64 s20, v18
	s_cbranch_execnz .LBB951_11
	s_branch .LBB951_12
.LBB951_30:
                                        ; implicit-def: $sgpr2
                                        ; implicit-def: $vgpr18
	s_cbranch_execnz .LBB951_99
	s_branch .LBB951_190
.LBB951_31:
	s_set_inst_prefetch_distance 0x2
	s_or_b32 exec_lo, exec_lo, s27
	v_cmp_gt_i64_e32 vcc_lo, s[22:23], v[23:24]
	s_or_not1_b32 s27, vcc_lo, exec_lo
.LBB951_32:
	s_or_b32 exec_lo, exec_lo, s28
.LBB951_33:
	v_mul_lo_u32 v21, v8, s22
	v_mul_lo_u32 v22, v7, s23
	v_mad_u64_u32 v[19:20], null, v7, s22, 0
	s_and_not1_b32 vcc_lo, exec_lo, s26
	s_delay_alu instid0(VALU_DEP_1) | instskip(NEXT) | instid1(VALU_DEP_1)
	v_add3_u32 v20, v20, v22, v21
	v_lshlrev_b64 v[19:20], 2, v[19:20]
	s_cbranch_vccnz .LBB951_42
; %bb.34:
	s_delay_alu instid0(VALU_DEP_1) | instskip(NEXT) | instid1(VALU_DEP_2)
	v_add_co_u32 v21, vcc_lo, s8, v19
	v_add_co_ci_u32_e32 v22, vcc_lo, s9, v20, vcc_lo
	v_add_co_u32 v17, vcc_lo, s8, v17
	v_add_co_ci_u32_e32 v18, vcc_lo, s9, v18, vcc_lo
	s_mov_b32 s3, -1
	s_clause 0x1
	global_load_b32 v23, v[21:22], off
	global_load_b32 v24, v[17:18], off
	s_mov_b32 s28, exec_lo
	s_waitcnt vmcnt(0)
	v_cmpx_eq_f32_e32 v23, v24
	s_cbranch_execz .LBB951_41
; %bb.35:
	v_add_co_u32 v17, vcc_lo, v17, 4
	v_add_co_ci_u32_e32 v18, vcc_lo, 0, v18, vcc_lo
	v_add_co_u32 v21, vcc_lo, v21, 4
	v_add_co_ci_u32_e32 v22, vcc_lo, 0, v22, vcc_lo
	s_add_u32 s6, s22, -1
	s_addc_u32 s7, s23, -1
	s_mov_b64 s[18:19], 0
	s_mov_b32 s3, 0
                                        ; implicit-def: $sgpr29
	s_set_inst_prefetch_distance 0x1
	s_branch .LBB951_38
	.p2align	6
.LBB951_36:                             ;   in Loop: Header=BB951_38 Depth=1
	global_load_b32 v23, v[21:22], off
	global_load_b32 v24, v[17:18], off
	v_add_co_u32 v17, vcc_lo, v17, 4
	v_add_co_ci_u32_e32 v18, vcc_lo, 0, v18, vcc_lo
	v_add_co_u32 v21, s2, v21, 4
	s_delay_alu instid0(VALU_DEP_1)
	v_add_co_ci_u32_e64 v22, s2, 0, v22, s2
	s_add_u32 s18, s18, 1
	s_addc_u32 s19, s19, 0
	s_and_not1_b32 s2, s29, exec_lo
	s_waitcnt vmcnt(0)
	v_cmp_neq_f32_e32 vcc_lo, v23, v24
	s_and_b32 s29, vcc_lo, exec_lo
	s_delay_alu instid0(SALU_CYCLE_1)
	s_or_b32 s29, s2, s29
.LBB951_37:                             ;   in Loop: Header=BB951_38 Depth=1
	v_dual_mov_b32 v24, s19 :: v_dual_mov_b32 v23, s18
	s_and_b32 s2, exec_lo, s29
	s_delay_alu instid0(SALU_CYCLE_1) | instskip(NEXT) | instid1(SALU_CYCLE_1)
	s_or_b32 s3, s2, s3
	s_and_not1_b32 exec_lo, exec_lo, s3
	s_cbranch_execz .LBB951_40
.LBB951_38:                             ; =>This Inner Loop Header: Depth=1
	s_or_b32 s29, s29, exec_lo
	s_cmp_eq_u64 s[6:7], s[18:19]
	s_cbranch_scc0 .LBB951_36
; %bb.39:                               ;   in Loop: Header=BB951_38 Depth=1
	s_mov_b64 s[18:19], s[22:23]
                                        ; implicit-def: $vgpr17_vgpr18
                                        ; implicit-def: $vgpr21_vgpr22
	s_branch .LBB951_37
.LBB951_40:
	s_set_inst_prefetch_distance 0x2
	s_or_b32 exec_lo, exec_lo, s3
	v_cmp_gt_i64_e32 vcc_lo, s[22:23], v[23:24]
	s_or_not1_b32 s3, vcc_lo, exec_lo
.LBB951_41:
	s_or_b32 exec_lo, exec_lo, s28
.LBB951_42:
	v_mul_lo_u32 v21, v6, s22
	v_mul_lo_u32 v22, v5, s23
	v_mad_u64_u32 v[17:18], null, v5, s22, 0
	s_mov_b32 s28, 0
	s_and_not1_b32 vcc_lo, exec_lo, s26
	s_mov_b32 s29, 0
	s_delay_alu instid0(VALU_DEP_1) | instskip(NEXT) | instid1(VALU_DEP_1)
	v_add3_u32 v18, v18, v22, v21
	v_lshlrev_b64 v[21:22], 2, v[17:18]
	s_cbranch_vccnz .LBB951_51
; %bb.43:
	s_delay_alu instid0(VALU_DEP_1) | instskip(NEXT) | instid1(VALU_DEP_2)
	v_add_co_u32 v23, vcc_lo, s8, v21
	v_add_co_ci_u32_e32 v24, vcc_lo, s9, v22, vcc_lo
	v_add_co_u32 v17, vcc_lo, s8, v19
	v_add_co_ci_u32_e32 v18, vcc_lo, s9, v20, vcc_lo
	s_mov_b32 s29, -1
	s_clause 0x1
	global_load_b32 v19, v[23:24], off
	global_load_b32 v20, v[17:18], off
	s_mov_b32 s30, exec_lo
	s_waitcnt vmcnt(0)
	v_cmpx_eq_f32_e32 v19, v20
	s_cbranch_execz .LBB951_50
; %bb.44:
	v_add_co_u32 v17, vcc_lo, v17, 4
	v_add_co_ci_u32_e32 v18, vcc_lo, 0, v18, vcc_lo
	v_add_co_u32 v19, vcc_lo, v23, 4
	v_add_co_ci_u32_e32 v20, vcc_lo, 0, v24, vcc_lo
	s_add_u32 s6, s22, -1
	s_addc_u32 s7, s23, -1
	s_mov_b64 s[18:19], 0
	s_mov_b32 s29, 0
                                        ; implicit-def: $sgpr31
	s_set_inst_prefetch_distance 0x1
	s_branch .LBB951_47
	.p2align	6
.LBB951_45:                             ;   in Loop: Header=BB951_47 Depth=1
	global_load_b32 v23, v[19:20], off
	global_load_b32 v24, v[17:18], off
	v_add_co_u32 v17, vcc_lo, v17, 4
	v_add_co_ci_u32_e32 v18, vcc_lo, 0, v18, vcc_lo
	v_add_co_u32 v19, s2, v19, 4
	s_delay_alu instid0(VALU_DEP_1)
	v_add_co_ci_u32_e64 v20, s2, 0, v20, s2
	s_add_u32 s18, s18, 1
	s_addc_u32 s19, s19, 0
	s_and_not1_b32 s2, s31, exec_lo
	s_waitcnt vmcnt(0)
	v_cmp_neq_f32_e32 vcc_lo, v23, v24
	s_and_b32 s31, vcc_lo, exec_lo
	s_delay_alu instid0(SALU_CYCLE_1)
	s_or_b32 s31, s2, s31
.LBB951_46:                             ;   in Loop: Header=BB951_47 Depth=1
	v_dual_mov_b32 v24, s19 :: v_dual_mov_b32 v23, s18
	s_and_b32 s2, exec_lo, s31
	s_delay_alu instid0(SALU_CYCLE_1) | instskip(NEXT) | instid1(SALU_CYCLE_1)
	s_or_b32 s29, s2, s29
	s_and_not1_b32 exec_lo, exec_lo, s29
	s_cbranch_execz .LBB951_49
.LBB951_47:                             ; =>This Inner Loop Header: Depth=1
	s_or_b32 s31, s31, exec_lo
	s_cmp_eq_u64 s[6:7], s[18:19]
	s_cbranch_scc0 .LBB951_45
; %bb.48:                               ;   in Loop: Header=BB951_47 Depth=1
	s_mov_b64 s[18:19], s[22:23]
                                        ; implicit-def: $vgpr17_vgpr18
                                        ; implicit-def: $vgpr19_vgpr20
	s_branch .LBB951_46
.LBB951_49:
	s_set_inst_prefetch_distance 0x2
	s_or_b32 exec_lo, exec_lo, s29
	v_cmp_gt_i64_e32 vcc_lo, s[22:23], v[23:24]
	s_or_not1_b32 s29, vcc_lo, exec_lo
.LBB951_50:
	s_or_b32 exec_lo, exec_lo, s30
.LBB951_51:
	v_mul_lo_u32 v19, v12, s22
	v_mul_lo_u32 v20, v11, s23
	v_mad_u64_u32 v[17:18], null, v11, s22, 0
	s_and_not1_b32 vcc_lo, exec_lo, s26
	s_delay_alu instid0(VALU_DEP_1) | instskip(NEXT) | instid1(VALU_DEP_1)
	v_add3_u32 v18, v18, v20, v19
	v_lshlrev_b64 v[17:18], 2, v[17:18]
	s_cbranch_vccnz .LBB951_60
; %bb.52:
	s_delay_alu instid0(VALU_DEP_1) | instskip(NEXT) | instid1(VALU_DEP_2)
	v_add_co_u32 v23, vcc_lo, s8, v17
	v_add_co_ci_u32_e32 v24, vcc_lo, s9, v18, vcc_lo
	v_add_co_u32 v19, vcc_lo, s8, v21
	v_add_co_ci_u32_e32 v20, vcc_lo, s9, v22, vcc_lo
	s_mov_b32 s28, -1
	s_clause 0x1
	global_load_b32 v21, v[23:24], off
	global_load_b32 v22, v[19:20], off
	s_mov_b32 s30, exec_lo
	s_waitcnt vmcnt(0)
	v_cmpx_eq_f32_e32 v21, v22
	s_cbranch_execz .LBB951_59
; %bb.53:
	v_add_co_u32 v19, vcc_lo, v19, 4
	v_add_co_ci_u32_e32 v20, vcc_lo, 0, v20, vcc_lo
	v_add_co_u32 v21, vcc_lo, v23, 4
	v_add_co_ci_u32_e32 v22, vcc_lo, 0, v24, vcc_lo
	s_add_u32 s6, s22, -1
	s_addc_u32 s7, s23, -1
	s_mov_b64 s[18:19], 0
	s_mov_b32 s28, 0
                                        ; implicit-def: $sgpr31
	s_set_inst_prefetch_distance 0x1
	s_branch .LBB951_56
	.p2align	6
.LBB951_54:                             ;   in Loop: Header=BB951_56 Depth=1
	global_load_b32 v23, v[21:22], off
	global_load_b32 v24, v[19:20], off
	v_add_co_u32 v19, vcc_lo, v19, 4
	v_add_co_ci_u32_e32 v20, vcc_lo, 0, v20, vcc_lo
	v_add_co_u32 v21, s2, v21, 4
	s_delay_alu instid0(VALU_DEP_1)
	v_add_co_ci_u32_e64 v22, s2, 0, v22, s2
	s_add_u32 s18, s18, 1
	s_addc_u32 s19, s19, 0
	s_and_not1_b32 s2, s31, exec_lo
	s_waitcnt vmcnt(0)
	v_cmp_neq_f32_e32 vcc_lo, v23, v24
	s_and_b32 s31, vcc_lo, exec_lo
	s_delay_alu instid0(SALU_CYCLE_1)
	s_or_b32 s31, s2, s31
.LBB951_55:                             ;   in Loop: Header=BB951_56 Depth=1
	v_dual_mov_b32 v24, s19 :: v_dual_mov_b32 v23, s18
	s_and_b32 s2, exec_lo, s31
	s_delay_alu instid0(SALU_CYCLE_1) | instskip(NEXT) | instid1(SALU_CYCLE_1)
	s_or_b32 s28, s2, s28
	s_and_not1_b32 exec_lo, exec_lo, s28
	s_cbranch_execz .LBB951_58
.LBB951_56:                             ; =>This Inner Loop Header: Depth=1
	s_or_b32 s31, s31, exec_lo
	s_cmp_eq_u64 s[6:7], s[18:19]
	s_cbranch_scc0 .LBB951_54
; %bb.57:                               ;   in Loop: Header=BB951_56 Depth=1
	s_mov_b64 s[18:19], s[22:23]
                                        ; implicit-def: $vgpr19_vgpr20
                                        ; implicit-def: $vgpr21_vgpr22
	s_branch .LBB951_55
.LBB951_58:
	s_set_inst_prefetch_distance 0x2
	s_or_b32 exec_lo, exec_lo, s28
	v_cmp_gt_i64_e32 vcc_lo, s[22:23], v[23:24]
	s_or_not1_b32 s28, vcc_lo, exec_lo
.LBB951_59:
	s_or_b32 exec_lo, exec_lo, s30
.LBB951_60:
	v_mul_lo_u32 v21, v10, s22
	v_mul_lo_u32 v22, v9, s23
	v_mad_u64_u32 v[19:20], null, v9, s22, 0
	s_mov_b32 s30, 0
	s_and_not1_b32 vcc_lo, exec_lo, s26
	s_mov_b32 s31, 0
	s_delay_alu instid0(VALU_DEP_1) | instskip(NEXT) | instid1(VALU_DEP_1)
	v_add3_u32 v20, v20, v22, v21
	v_lshlrev_b64 v[21:22], 2, v[19:20]
	s_cbranch_vccnz .LBB951_69
; %bb.61:
	s_delay_alu instid0(VALU_DEP_1) | instskip(NEXT) | instid1(VALU_DEP_2)
	v_add_co_u32 v19, vcc_lo, s8, v21
	v_add_co_ci_u32_e32 v20, vcc_lo, s9, v22, vcc_lo
	v_add_co_u32 v17, vcc_lo, s8, v17
	v_add_co_ci_u32_e32 v18, vcc_lo, s9, v18, vcc_lo
	s_mov_b32 s31, -1
	s_clause 0x1
	global_load_b32 v23, v[19:20], off
	global_load_b32 v24, v[17:18], off
	s_mov_b32 s33, exec_lo
	s_waitcnt vmcnt(0)
	v_cmpx_eq_f32_e32 v23, v24
	s_cbranch_execz .LBB951_68
; %bb.62:
	v_add_co_u32 v17, vcc_lo, v17, 4
	v_add_co_ci_u32_e32 v18, vcc_lo, 0, v18, vcc_lo
	v_add_co_u32 v19, vcc_lo, v19, 4
	v_add_co_ci_u32_e32 v20, vcc_lo, 0, v20, vcc_lo
	s_add_u32 s6, s22, -1
	s_addc_u32 s7, s23, -1
	s_mov_b64 s[18:19], 0
	s_mov_b32 s31, 0
                                        ; implicit-def: $sgpr34
	s_set_inst_prefetch_distance 0x1
	s_branch .LBB951_65
	.p2align	6
.LBB951_63:                             ;   in Loop: Header=BB951_65 Depth=1
	global_load_b32 v23, v[19:20], off
	global_load_b32 v24, v[17:18], off
	v_add_co_u32 v17, vcc_lo, v17, 4
	v_add_co_ci_u32_e32 v18, vcc_lo, 0, v18, vcc_lo
	v_add_co_u32 v19, s2, v19, 4
	s_delay_alu instid0(VALU_DEP_1)
	v_add_co_ci_u32_e64 v20, s2, 0, v20, s2
	s_add_u32 s18, s18, 1
	s_addc_u32 s19, s19, 0
	s_and_not1_b32 s2, s34, exec_lo
	s_waitcnt vmcnt(0)
	v_cmp_neq_f32_e32 vcc_lo, v23, v24
	s_and_b32 s34, vcc_lo, exec_lo
	s_delay_alu instid0(SALU_CYCLE_1)
	s_or_b32 s34, s2, s34
.LBB951_64:                             ;   in Loop: Header=BB951_65 Depth=1
	v_dual_mov_b32 v24, s19 :: v_dual_mov_b32 v23, s18
	s_and_b32 s2, exec_lo, s34
	s_delay_alu instid0(SALU_CYCLE_1) | instskip(NEXT) | instid1(SALU_CYCLE_1)
	s_or_b32 s31, s2, s31
	s_and_not1_b32 exec_lo, exec_lo, s31
	s_cbranch_execz .LBB951_67
.LBB951_65:                             ; =>This Inner Loop Header: Depth=1
	s_or_b32 s34, s34, exec_lo
	s_cmp_eq_u64 s[6:7], s[18:19]
	s_cbranch_scc0 .LBB951_63
; %bb.66:                               ;   in Loop: Header=BB951_65 Depth=1
	s_mov_b64 s[18:19], s[22:23]
                                        ; implicit-def: $vgpr17_vgpr18
                                        ; implicit-def: $vgpr19_vgpr20
	s_branch .LBB951_64
.LBB951_67:
	s_set_inst_prefetch_distance 0x2
	s_or_b32 exec_lo, exec_lo, s31
	v_cmp_gt_i64_e32 vcc_lo, s[22:23], v[23:24]
	s_or_not1_b32 s31, vcc_lo, exec_lo
.LBB951_68:
	s_or_b32 exec_lo, exec_lo, s33
.LBB951_69:
	v_mul_lo_u32 v19, v16, s22
	v_mul_lo_u32 v20, v15, s23
	v_mad_u64_u32 v[17:18], null, v15, s22, 0
	s_and_not1_b32 vcc_lo, exec_lo, s26
	s_delay_alu instid0(VALU_DEP_1) | instskip(NEXT) | instid1(VALU_DEP_1)
	v_add3_u32 v18, v18, v20, v19
	v_lshlrev_b64 v[19:20], 2, v[17:18]
	s_cbranch_vccnz .LBB951_78
; %bb.70:
	s_delay_alu instid0(VALU_DEP_1) | instskip(NEXT) | instid1(VALU_DEP_2)
	v_add_co_u32 v23, vcc_lo, s8, v19
	v_add_co_ci_u32_e32 v24, vcc_lo, s9, v20, vcc_lo
	v_add_co_u32 v17, vcc_lo, s8, v21
	v_add_co_ci_u32_e32 v18, vcc_lo, s9, v22, vcc_lo
	s_mov_b32 s30, -1
	s_clause 0x1
	global_load_b32 v21, v[23:24], off
	global_load_b32 v22, v[17:18], off
	s_mov_b32 s33, exec_lo
	s_waitcnt vmcnt(0)
	v_cmpx_eq_f32_e32 v21, v22
	s_cbranch_execz .LBB951_77
; %bb.71:
	v_add_co_u32 v17, vcc_lo, v17, 4
	v_add_co_ci_u32_e32 v18, vcc_lo, 0, v18, vcc_lo
	v_add_co_u32 v21, vcc_lo, v23, 4
	v_add_co_ci_u32_e32 v22, vcc_lo, 0, v24, vcc_lo
	s_add_u32 s6, s22, -1
	s_addc_u32 s7, s23, -1
	s_mov_b64 s[18:19], 0
	s_mov_b32 s30, 0
                                        ; implicit-def: $sgpr34
	s_set_inst_prefetch_distance 0x1
	s_branch .LBB951_74
	.p2align	6
.LBB951_72:                             ;   in Loop: Header=BB951_74 Depth=1
	global_load_b32 v23, v[21:22], off
	global_load_b32 v24, v[17:18], off
	v_add_co_u32 v17, vcc_lo, v17, 4
	v_add_co_ci_u32_e32 v18, vcc_lo, 0, v18, vcc_lo
	v_add_co_u32 v21, s2, v21, 4
	s_delay_alu instid0(VALU_DEP_1)
	v_add_co_ci_u32_e64 v22, s2, 0, v22, s2
	s_add_u32 s18, s18, 1
	s_addc_u32 s19, s19, 0
	s_and_not1_b32 s2, s34, exec_lo
	s_waitcnt vmcnt(0)
	v_cmp_neq_f32_e32 vcc_lo, v23, v24
	s_and_b32 s34, vcc_lo, exec_lo
	s_delay_alu instid0(SALU_CYCLE_1)
	s_or_b32 s34, s2, s34
.LBB951_73:                             ;   in Loop: Header=BB951_74 Depth=1
	v_dual_mov_b32 v24, s19 :: v_dual_mov_b32 v23, s18
	s_and_b32 s2, exec_lo, s34
	s_delay_alu instid0(SALU_CYCLE_1) | instskip(NEXT) | instid1(SALU_CYCLE_1)
	s_or_b32 s30, s2, s30
	s_and_not1_b32 exec_lo, exec_lo, s30
	s_cbranch_execz .LBB951_76
.LBB951_74:                             ; =>This Inner Loop Header: Depth=1
	s_or_b32 s34, s34, exec_lo
	s_cmp_eq_u64 s[6:7], s[18:19]
	s_cbranch_scc0 .LBB951_72
; %bb.75:                               ;   in Loop: Header=BB951_74 Depth=1
	s_mov_b64 s[18:19], s[22:23]
                                        ; implicit-def: $vgpr17_vgpr18
                                        ; implicit-def: $vgpr21_vgpr22
	s_branch .LBB951_73
.LBB951_76:
	s_set_inst_prefetch_distance 0x2
	s_or_b32 exec_lo, exec_lo, s30
	v_cmp_gt_i64_e32 vcc_lo, s[22:23], v[23:24]
	s_or_not1_b32 s30, vcc_lo, exec_lo
.LBB951_77:
	s_or_b32 exec_lo, exec_lo, s33
.LBB951_78:
	v_mul_lo_u32 v21, v14, s22
	v_mul_lo_u32 v22, v13, s23
	v_mad_u64_u32 v[17:18], null, v13, s22, 0
	s_and_not1_b32 vcc_lo, exec_lo, s26
	s_mov_b32 s2, 0
	s_delay_alu instid0(VALU_DEP_1) | instskip(NEXT) | instid1(VALU_DEP_1)
	v_add3_u32 v18, v18, v22, v21
	v_lshlrev_b64 v[17:18], 2, v[17:18]
	s_cbranch_vccnz .LBB951_87
; %bb.79:
	s_delay_alu instid0(VALU_DEP_1) | instskip(NEXT) | instid1(VALU_DEP_2)
	v_add_co_u32 v21, vcc_lo, s8, v17
	v_add_co_ci_u32_e32 v22, vcc_lo, s9, v18, vcc_lo
	v_add_co_u32 v19, vcc_lo, s8, v19
	v_add_co_ci_u32_e32 v20, vcc_lo, s9, v20, vcc_lo
	s_mov_b32 s2, -1
	s_clause 0x1
	global_load_b32 v23, v[21:22], off
	global_load_b32 v24, v[19:20], off
	s_mov_b32 s33, exec_lo
	s_waitcnt vmcnt(0)
	v_cmpx_eq_f32_e32 v23, v24
	s_cbranch_execz .LBB951_86
; %bb.80:
	v_add_co_u32 v19, vcc_lo, v19, 4
	v_add_co_ci_u32_e32 v20, vcc_lo, 0, v20, vcc_lo
	v_add_co_u32 v21, vcc_lo, v21, 4
	v_add_co_ci_u32_e32 v22, vcc_lo, 0, v22, vcc_lo
	s_add_u32 s6, s22, -1
	s_addc_u32 s7, s23, -1
	s_mov_b64 s[18:19], 0
	s_mov_b32 s34, 0
                                        ; implicit-def: $sgpr35
	s_set_inst_prefetch_distance 0x1
	s_branch .LBB951_83
	.p2align	6
.LBB951_81:                             ;   in Loop: Header=BB951_83 Depth=1
	global_load_b32 v23, v[21:22], off
	global_load_b32 v24, v[19:20], off
	v_add_co_u32 v19, vcc_lo, v19, 4
	v_add_co_ci_u32_e32 v20, vcc_lo, 0, v20, vcc_lo
	v_add_co_u32 v21, s2, v21, 4
	s_delay_alu instid0(VALU_DEP_1)
	v_add_co_ci_u32_e64 v22, s2, 0, v22, s2
	s_add_u32 s18, s18, 1
	s_addc_u32 s19, s19, 0
	s_and_not1_b32 s2, s35, exec_lo
	s_waitcnt vmcnt(0)
	v_cmp_neq_f32_e32 vcc_lo, v23, v24
	s_and_b32 s35, vcc_lo, exec_lo
	s_delay_alu instid0(SALU_CYCLE_1)
	s_or_b32 s35, s2, s35
.LBB951_82:                             ;   in Loop: Header=BB951_83 Depth=1
	v_dual_mov_b32 v24, s19 :: v_dual_mov_b32 v23, s18
	s_and_b32 s2, exec_lo, s35
	s_delay_alu instid0(SALU_CYCLE_1) | instskip(NEXT) | instid1(SALU_CYCLE_1)
	s_or_b32 s34, s2, s34
	s_and_not1_b32 exec_lo, exec_lo, s34
	s_cbranch_execz .LBB951_85
.LBB951_83:                             ; =>This Inner Loop Header: Depth=1
	s_or_b32 s35, s35, exec_lo
	s_cmp_eq_u64 s[6:7], s[18:19]
	s_cbranch_scc0 .LBB951_81
; %bb.84:                               ;   in Loop: Header=BB951_83 Depth=1
	s_mov_b64 s[18:19], s[22:23]
                                        ; implicit-def: $vgpr19_vgpr20
                                        ; implicit-def: $vgpr21_vgpr22
	s_branch .LBB951_82
.LBB951_85:
	s_set_inst_prefetch_distance 0x2
	s_or_b32 exec_lo, exec_lo, s34
	v_cmp_gt_i64_e32 vcc_lo, s[22:23], v[23:24]
	s_or_not1_b32 s2, vcc_lo, exec_lo
.LBB951_86:
	s_or_b32 exec_lo, exec_lo, s33
.LBB951_87:
	s_waitcnt lgkmcnt(0)
	v_dual_mov_b32 v20, s5 :: v_dual_mov_b32 v19, s4
	s_mov_b32 s6, exec_lo
	s_barrier
	buffer_gl0_inv
	v_cmpx_ne_u32_e32 0, v0
	s_cbranch_execz .LBB951_89
; %bb.88:
	v_add_nc_u32_e32 v19, -8, v39
	ds_load_b64 v[19:20], v19
.LBB951_89:
	s_or_b32 exec_lo, exec_lo, s6
	v_cndmask_b32_e64 v22, 0, 1, s31
	v_cndmask_b32_e64 v24, 0, 1, s29
	;; [unrolled: 1-line block ×7, first 2 shown]
	v_lshlrev_b16 v22, 8, v22
	v_lshlrev_b16 v24, 8, v24
	;; [unrolled: 1-line block ×4, first 2 shown]
	s_mov_b32 s3, 0
	v_or_b32_e32 v21, v21, v22
	v_or_b32_e32 v22, v23, v24
	;; [unrolled: 1-line block ×3, first 2 shown]
	v_and_b32_e32 v23, 0xffff, v27
	s_and_not1_b32 vcc_lo, exec_lo, s26
	v_lshlrev_b32_e32 v24, 16, v21
	v_and_b32_e32 v26, 0xffff, v22
	v_lshlrev_b32_e32 v27, 16, v28
	s_mov_b32 s2, 0
	s_cbranch_vccnz .LBB951_98
; %bb.90:
	s_waitcnt lgkmcnt(0)
	v_mul_lo_u32 v22, v20, s22
	v_mul_lo_u32 v28, v19, s23
	v_mad_u64_u32 v[20:21], null, v19, s22, 0
	s_mov_b32 s2, -1
	s_mov_b32 s27, exec_lo
	s_delay_alu instid0(VALU_DEP_1) | instskip(NEXT) | instid1(VALU_DEP_1)
	v_add3_u32 v21, v21, v28, v22
	v_lshlrev_b64 v[19:20], 2, v[20:21]
	s_delay_alu instid0(VALU_DEP_1) | instskip(NEXT) | instid1(VALU_DEP_2)
	v_add_co_u32 v19, vcc_lo, s8, v19
	v_add_co_ci_u32_e32 v20, vcc_lo, s9, v20, vcc_lo
	v_add_co_u32 v17, vcc_lo, s8, v17
	v_add_co_ci_u32_e32 v18, vcc_lo, s9, v18, vcc_lo
	s_clause 0x1
	global_load_b32 v21, v[19:20], off
	global_load_b32 v22, v[17:18], off
	s_waitcnt vmcnt(0)
	v_cmpx_eq_f32_e32 v21, v22
	s_cbranch_execz .LBB951_97
; %bb.91:
	v_add_co_u32 v17, vcc_lo, v17, 4
	v_add_co_ci_u32_e32 v18, vcc_lo, 0, v18, vcc_lo
	v_add_co_u32 v19, vcc_lo, v19, 4
	v_add_co_ci_u32_e32 v20, vcc_lo, 0, v20, vcc_lo
	s_add_u32 s6, s22, -1
	s_addc_u32 s7, s23, -1
	s_mov_b64 s[18:19], 0
	s_mov_b32 s28, 0
                                        ; implicit-def: $sgpr29
	s_set_inst_prefetch_distance 0x1
	s_branch .LBB951_94
	.p2align	6
.LBB951_92:                             ;   in Loop: Header=BB951_94 Depth=1
	global_load_b32 v21, v[19:20], off
	global_load_b32 v22, v[17:18], off
	v_add_co_u32 v17, vcc_lo, v17, 4
	v_add_co_ci_u32_e32 v18, vcc_lo, 0, v18, vcc_lo
	v_add_co_u32 v19, s2, v19, 4
	s_delay_alu instid0(VALU_DEP_1)
	v_add_co_ci_u32_e64 v20, s2, 0, v20, s2
	s_add_u32 s18, s18, 1
	s_addc_u32 s19, s19, 0
	s_and_not1_b32 s2, s29, exec_lo
	s_waitcnt vmcnt(0)
	v_cmp_neq_f32_e32 vcc_lo, v21, v22
	s_and_b32 s29, vcc_lo, exec_lo
	s_delay_alu instid0(SALU_CYCLE_1)
	s_or_b32 s29, s2, s29
.LBB951_93:                             ;   in Loop: Header=BB951_94 Depth=1
	v_dual_mov_b32 v22, s19 :: v_dual_mov_b32 v21, s18
	s_and_b32 s2, exec_lo, s29
	s_delay_alu instid0(SALU_CYCLE_1) | instskip(NEXT) | instid1(SALU_CYCLE_1)
	s_or_b32 s28, s2, s28
	s_and_not1_b32 exec_lo, exec_lo, s28
	s_cbranch_execz .LBB951_96
.LBB951_94:                             ; =>This Inner Loop Header: Depth=1
	s_or_b32 s29, s29, exec_lo
	s_cmp_eq_u64 s[6:7], s[18:19]
	s_cbranch_scc0 .LBB951_92
; %bb.95:                               ;   in Loop: Header=BB951_94 Depth=1
	s_mov_b64 s[18:19], s[22:23]
                                        ; implicit-def: $vgpr17_vgpr18
                                        ; implicit-def: $vgpr19_vgpr20
	s_branch .LBB951_93
.LBB951_96:
	s_set_inst_prefetch_distance 0x2
	s_or_b32 exec_lo, exec_lo, s28
	v_cmp_gt_i64_e32 vcc_lo, s[22:23], v[21:22]
	s_or_not1_b32 s2, vcc_lo, exec_lo
.LBB951_97:
	s_or_b32 exec_lo, exec_lo, s27
.LBB951_98:
	v_or_b32_e32 v17, v23, v24
	s_delay_alu instid0(VALU_DEP_2)
	v_or_b32_e32 v18, v26, v27
	s_and_b32 vcc_lo, exec_lo, s3
	s_cbranch_vccz .LBB951_190
.LBB951_99:
	v_or_b32_e32 v17, 7, v39
	s_mov_b32 s3, 0
	s_mov_b32 s27, 0
	s_mov_b32 s28, exec_lo
	s_delay_alu instid0(VALU_DEP_1)
	v_cmpx_gt_u32_e64 s20, v17
	s_cbranch_execz .LBB951_110
; %bb.100:
	s_and_not1_b32 vcc_lo, exec_lo, s26
	s_mov_b32 s2, 0
	s_cbranch_vccnz .LBB951_109
; %bb.101:
	v_mul_lo_u32 v21, v2, s22
	v_mul_lo_u32 v22, v1, s23
	v_mad_u64_u32 v[17:18], null, v1, s22, 0
	v_mul_lo_u32 v23, v4, s22
	v_mul_lo_u32 v24, v3, s23
	s_waitcnt lgkmcnt(0)
	v_mad_u64_u32 v[19:20], null, v3, s22, 0
	s_mov_b32 s2, -1
	s_mov_b32 s26, exec_lo
	s_delay_alu instid0(VALU_DEP_4) | instskip(NEXT) | instid1(VALU_DEP_2)
	v_add3_u32 v18, v18, v22, v21
	v_add3_u32 v20, v20, v24, v23
	s_delay_alu instid0(VALU_DEP_2) | instskip(NEXT) | instid1(VALU_DEP_2)
	v_lshlrev_b64 v[17:18], 2, v[17:18]
	v_lshlrev_b64 v[21:22], 2, v[19:20]
	s_delay_alu instid0(VALU_DEP_2) | instskip(NEXT) | instid1(VALU_DEP_3)
	v_add_co_u32 v19, vcc_lo, s8, v17
	v_add_co_ci_u32_e32 v20, vcc_lo, s9, v18, vcc_lo
	s_delay_alu instid0(VALU_DEP_3) | instskip(NEXT) | instid1(VALU_DEP_4)
	v_add_co_u32 v17, vcc_lo, s8, v21
	v_add_co_ci_u32_e32 v18, vcc_lo, s9, v22, vcc_lo
	s_clause 0x1
	global_load_b32 v21, v[19:20], off
	global_load_b32 v22, v[17:18], off
	s_waitcnt vmcnt(0)
	v_cmpx_eq_f32_e32 v21, v22
	s_cbranch_execz .LBB951_108
; %bb.102:
	v_add_co_u32 v17, vcc_lo, v17, 4
	v_add_co_ci_u32_e32 v18, vcc_lo, 0, v18, vcc_lo
	v_add_co_u32 v19, vcc_lo, v19, 4
	v_add_co_ci_u32_e32 v20, vcc_lo, 0, v20, vcc_lo
	s_add_u32 s6, s22, -1
	s_addc_u32 s7, s23, -1
	s_mov_b64 s[18:19], 0
                                        ; implicit-def: $sgpr29
	s_set_inst_prefetch_distance 0x1
	s_branch .LBB951_105
	.p2align	6
.LBB951_103:                            ;   in Loop: Header=BB951_105 Depth=1
	global_load_b32 v21, v[19:20], off
	global_load_b32 v22, v[17:18], off
	v_add_co_u32 v17, vcc_lo, v17, 4
	v_add_co_ci_u32_e32 v18, vcc_lo, 0, v18, vcc_lo
	v_add_co_u32 v19, s2, v19, 4
	s_delay_alu instid0(VALU_DEP_1)
	v_add_co_ci_u32_e64 v20, s2, 0, v20, s2
	s_add_u32 s18, s18, 1
	s_addc_u32 s19, s19, 0
	s_and_not1_b32 s2, s29, exec_lo
	s_waitcnt vmcnt(0)
	v_cmp_neq_f32_e32 vcc_lo, v21, v22
	s_and_b32 s29, vcc_lo, exec_lo
	s_delay_alu instid0(SALU_CYCLE_1)
	s_or_b32 s29, s2, s29
.LBB951_104:                            ;   in Loop: Header=BB951_105 Depth=1
	v_dual_mov_b32 v22, s19 :: v_dual_mov_b32 v21, s18
	s_and_b32 s2, exec_lo, s29
	s_delay_alu instid0(SALU_CYCLE_1) | instskip(NEXT) | instid1(SALU_CYCLE_1)
	s_or_b32 s27, s2, s27
	s_and_not1_b32 exec_lo, exec_lo, s27
	s_cbranch_execz .LBB951_107
.LBB951_105:                            ; =>This Inner Loop Header: Depth=1
	s_or_b32 s29, s29, exec_lo
	s_cmp_eq_u64 s[6:7], s[18:19]
	s_cbranch_scc0 .LBB951_103
; %bb.106:                              ;   in Loop: Header=BB951_105 Depth=1
	s_mov_b64 s[18:19], s[22:23]
                                        ; implicit-def: $vgpr17_vgpr18
                                        ; implicit-def: $vgpr19_vgpr20
	s_branch .LBB951_104
.LBB951_107:
	s_set_inst_prefetch_distance 0x2
	s_or_b32 exec_lo, exec_lo, s27
	v_cmp_gt_i64_e32 vcc_lo, s[22:23], v[21:22]
	s_or_not1_b32 s2, vcc_lo, exec_lo
.LBB951_108:
	s_or_b32 exec_lo, exec_lo, s26
.LBB951_109:
	s_delay_alu instid0(SALU_CYCLE_1)
	s_and_b32 s27, s2, exec_lo
.LBB951_110:
	s_or_b32 exec_lo, exec_lo, s28
	v_or_b32_e32 v17, 6, v39
	s_mov_b32 s26, exec_lo
	s_delay_alu instid0(VALU_DEP_1)
	v_cmpx_gt_u32_e64 s20, v17
	s_cbranch_execz .LBB951_121
; %bb.111:
	v_cmp_ne_u32_e32 vcc_lo, 1, v25
	s_mov_b32 s2, 0
	s_cbranch_vccnz .LBB951_120
; %bb.112:
	v_mul_lo_u32 v21, v8, s22
	v_mul_lo_u32 v22, v7, s23
	v_mad_u64_u32 v[17:18], null, v7, s22, 0
	v_mul_lo_u32 v23, v2, s22
	v_mul_lo_u32 v24, v1, s23
	s_waitcnt lgkmcnt(0)
	v_mad_u64_u32 v[19:20], null, v1, s22, 0
	s_mov_b32 s2, -1
	s_mov_b32 s3, exec_lo
	s_delay_alu instid0(VALU_DEP_4) | instskip(NEXT) | instid1(VALU_DEP_2)
	v_add3_u32 v18, v18, v22, v21
	v_add3_u32 v20, v20, v24, v23
	s_delay_alu instid0(VALU_DEP_2) | instskip(NEXT) | instid1(VALU_DEP_2)
	v_lshlrev_b64 v[17:18], 2, v[17:18]
	v_lshlrev_b64 v[21:22], 2, v[19:20]
	s_delay_alu instid0(VALU_DEP_2) | instskip(NEXT) | instid1(VALU_DEP_3)
	v_add_co_u32 v19, vcc_lo, s8, v17
	v_add_co_ci_u32_e32 v20, vcc_lo, s9, v18, vcc_lo
	s_delay_alu instid0(VALU_DEP_3) | instskip(NEXT) | instid1(VALU_DEP_4)
	v_add_co_u32 v17, vcc_lo, s8, v21
	v_add_co_ci_u32_e32 v18, vcc_lo, s9, v22, vcc_lo
	s_clause 0x1
	global_load_b32 v21, v[19:20], off
	global_load_b32 v22, v[17:18], off
	s_waitcnt vmcnt(0)
	v_cmpx_eq_f32_e32 v21, v22
	s_cbranch_execz .LBB951_119
; %bb.113:
	v_add_co_u32 v17, vcc_lo, v17, 4
	v_add_co_ci_u32_e32 v18, vcc_lo, 0, v18, vcc_lo
	v_add_co_u32 v19, vcc_lo, v19, 4
	v_add_co_ci_u32_e32 v20, vcc_lo, 0, v20, vcc_lo
	s_add_u32 s6, s22, -1
	s_addc_u32 s7, s23, -1
	s_mov_b64 s[18:19], 0
	s_mov_b32 s28, 0
                                        ; implicit-def: $sgpr29
	s_set_inst_prefetch_distance 0x1
	s_branch .LBB951_116
	.p2align	6
.LBB951_114:                            ;   in Loop: Header=BB951_116 Depth=1
	global_load_b32 v21, v[19:20], off
	global_load_b32 v22, v[17:18], off
	v_add_co_u32 v17, vcc_lo, v17, 4
	v_add_co_ci_u32_e32 v18, vcc_lo, 0, v18, vcc_lo
	v_add_co_u32 v19, s2, v19, 4
	s_delay_alu instid0(VALU_DEP_1)
	v_add_co_ci_u32_e64 v20, s2, 0, v20, s2
	s_add_u32 s18, s18, 1
	s_addc_u32 s19, s19, 0
	s_and_not1_b32 s2, s29, exec_lo
	s_waitcnt vmcnt(0)
	v_cmp_neq_f32_e32 vcc_lo, v21, v22
	s_and_b32 s29, vcc_lo, exec_lo
	s_delay_alu instid0(SALU_CYCLE_1)
	s_or_b32 s29, s2, s29
.LBB951_115:                            ;   in Loop: Header=BB951_116 Depth=1
	v_dual_mov_b32 v22, s19 :: v_dual_mov_b32 v21, s18
	s_and_b32 s2, exec_lo, s29
	s_delay_alu instid0(SALU_CYCLE_1) | instskip(NEXT) | instid1(SALU_CYCLE_1)
	s_or_b32 s28, s2, s28
	s_and_not1_b32 exec_lo, exec_lo, s28
	s_cbranch_execz .LBB951_118
.LBB951_116:                            ; =>This Inner Loop Header: Depth=1
	s_or_b32 s29, s29, exec_lo
	s_cmp_eq_u64 s[6:7], s[18:19]
	s_cbranch_scc0 .LBB951_114
; %bb.117:                              ;   in Loop: Header=BB951_116 Depth=1
	s_mov_b64 s[18:19], s[22:23]
                                        ; implicit-def: $vgpr17_vgpr18
                                        ; implicit-def: $vgpr19_vgpr20
	s_branch .LBB951_115
.LBB951_118:
	s_set_inst_prefetch_distance 0x2
	s_or_b32 exec_lo, exec_lo, s28
	v_cmp_gt_i64_e32 vcc_lo, s[22:23], v[21:22]
	s_or_not1_b32 s2, vcc_lo, exec_lo
.LBB951_119:
	s_or_b32 exec_lo, exec_lo, s3
.LBB951_120:
	s_delay_alu instid0(SALU_CYCLE_1)
	s_and_b32 s3, s2, exec_lo
.LBB951_121:
	s_or_b32 exec_lo, exec_lo, s26
	v_or_b32_e32 v17, 5, v39
	s_mov_b32 s28, 0
	s_mov_b32 s26, 0
	s_mov_b32 s29, exec_lo
	s_delay_alu instid0(VALU_DEP_1)
	v_cmpx_gt_u32_e64 s20, v17
	s_cbranch_execz .LBB951_132
; %bb.122:
	v_cmp_ne_u32_e32 vcc_lo, 1, v25
	s_mov_b32 s2, 0
	s_cbranch_vccnz .LBB951_131
; %bb.123:
	v_mul_lo_u32 v21, v6, s22
	v_mul_lo_u32 v22, v5, s23
	v_mad_u64_u32 v[17:18], null, v5, s22, 0
	v_mul_lo_u32 v23, v8, s22
	v_mul_lo_u32 v24, v7, s23
	s_waitcnt lgkmcnt(0)
	v_mad_u64_u32 v[19:20], null, v7, s22, 0
	s_mov_b32 s2, -1
	s_mov_b32 s26, exec_lo
	s_delay_alu instid0(VALU_DEP_4) | instskip(NEXT) | instid1(VALU_DEP_2)
	v_add3_u32 v18, v18, v22, v21
	v_add3_u32 v20, v20, v24, v23
	s_delay_alu instid0(VALU_DEP_2) | instskip(NEXT) | instid1(VALU_DEP_2)
	v_lshlrev_b64 v[17:18], 2, v[17:18]
	v_lshlrev_b64 v[21:22], 2, v[19:20]
	s_delay_alu instid0(VALU_DEP_2) | instskip(NEXT) | instid1(VALU_DEP_3)
	v_add_co_u32 v19, vcc_lo, s8, v17
	v_add_co_ci_u32_e32 v20, vcc_lo, s9, v18, vcc_lo
	s_delay_alu instid0(VALU_DEP_3) | instskip(NEXT) | instid1(VALU_DEP_4)
	v_add_co_u32 v17, vcc_lo, s8, v21
	v_add_co_ci_u32_e32 v18, vcc_lo, s9, v22, vcc_lo
	s_clause 0x1
	global_load_b32 v21, v[19:20], off
	global_load_b32 v22, v[17:18], off
	s_waitcnt vmcnt(0)
	v_cmpx_eq_f32_e32 v21, v22
	s_cbranch_execz .LBB951_130
; %bb.124:
	v_add_co_u32 v17, vcc_lo, v17, 4
	v_add_co_ci_u32_e32 v18, vcc_lo, 0, v18, vcc_lo
	v_add_co_u32 v19, vcc_lo, v19, 4
	v_add_co_ci_u32_e32 v20, vcc_lo, 0, v20, vcc_lo
	s_add_u32 s6, s22, -1
	s_addc_u32 s7, s23, -1
	s_mov_b64 s[18:19], 0
	s_mov_b32 s30, 0
                                        ; implicit-def: $sgpr31
	s_set_inst_prefetch_distance 0x1
	s_branch .LBB951_127
	.p2align	6
.LBB951_125:                            ;   in Loop: Header=BB951_127 Depth=1
	global_load_b32 v21, v[19:20], off
	global_load_b32 v22, v[17:18], off
	v_add_co_u32 v17, vcc_lo, v17, 4
	v_add_co_ci_u32_e32 v18, vcc_lo, 0, v18, vcc_lo
	v_add_co_u32 v19, s2, v19, 4
	s_delay_alu instid0(VALU_DEP_1)
	v_add_co_ci_u32_e64 v20, s2, 0, v20, s2
	s_add_u32 s18, s18, 1
	s_addc_u32 s19, s19, 0
	s_and_not1_b32 s2, s31, exec_lo
	s_waitcnt vmcnt(0)
	v_cmp_neq_f32_e32 vcc_lo, v21, v22
	s_and_b32 s31, vcc_lo, exec_lo
	s_delay_alu instid0(SALU_CYCLE_1)
	s_or_b32 s31, s2, s31
.LBB951_126:                            ;   in Loop: Header=BB951_127 Depth=1
	v_dual_mov_b32 v22, s19 :: v_dual_mov_b32 v21, s18
	s_and_b32 s2, exec_lo, s31
	s_delay_alu instid0(SALU_CYCLE_1) | instskip(NEXT) | instid1(SALU_CYCLE_1)
	s_or_b32 s30, s2, s30
	s_and_not1_b32 exec_lo, exec_lo, s30
	s_cbranch_execz .LBB951_129
.LBB951_127:                            ; =>This Inner Loop Header: Depth=1
	s_or_b32 s31, s31, exec_lo
	s_cmp_eq_u64 s[6:7], s[18:19]
	s_cbranch_scc0 .LBB951_125
; %bb.128:                              ;   in Loop: Header=BB951_127 Depth=1
	s_mov_b64 s[18:19], s[22:23]
                                        ; implicit-def: $vgpr17_vgpr18
                                        ; implicit-def: $vgpr19_vgpr20
	s_branch .LBB951_126
.LBB951_129:
	s_set_inst_prefetch_distance 0x2
	s_or_b32 exec_lo, exec_lo, s30
	v_cmp_gt_i64_e32 vcc_lo, s[22:23], v[21:22]
	s_or_not1_b32 s2, vcc_lo, exec_lo
.LBB951_130:
	s_or_b32 exec_lo, exec_lo, s26
.LBB951_131:
	s_delay_alu instid0(SALU_CYCLE_1)
	s_and_b32 s26, s2, exec_lo
.LBB951_132:
	s_or_b32 exec_lo, exec_lo, s29
	v_or_b32_e32 v17, 4, v39
	s_mov_b32 s29, exec_lo
	s_delay_alu instid0(VALU_DEP_1)
	v_cmpx_gt_u32_e64 s20, v17
	s_cbranch_execz .LBB951_143
; %bb.133:
	v_cmp_ne_u32_e32 vcc_lo, 1, v25
	s_mov_b32 s2, 0
	s_cbranch_vccnz .LBB951_142
; %bb.134:
	v_mul_lo_u32 v21, v12, s22
	v_mul_lo_u32 v22, v11, s23
	v_mad_u64_u32 v[17:18], null, v11, s22, 0
	v_mul_lo_u32 v23, v6, s22
	v_mul_lo_u32 v24, v5, s23
	s_waitcnt lgkmcnt(0)
	v_mad_u64_u32 v[19:20], null, v5, s22, 0
	s_mov_b32 s2, -1
	s_mov_b32 s28, exec_lo
	s_delay_alu instid0(VALU_DEP_4) | instskip(NEXT) | instid1(VALU_DEP_2)
	v_add3_u32 v18, v18, v22, v21
	v_add3_u32 v20, v20, v24, v23
	s_delay_alu instid0(VALU_DEP_2) | instskip(NEXT) | instid1(VALU_DEP_2)
	v_lshlrev_b64 v[17:18], 2, v[17:18]
	v_lshlrev_b64 v[21:22], 2, v[19:20]
	s_delay_alu instid0(VALU_DEP_2) | instskip(NEXT) | instid1(VALU_DEP_3)
	v_add_co_u32 v19, vcc_lo, s8, v17
	v_add_co_ci_u32_e32 v20, vcc_lo, s9, v18, vcc_lo
	s_delay_alu instid0(VALU_DEP_3) | instskip(NEXT) | instid1(VALU_DEP_4)
	v_add_co_u32 v17, vcc_lo, s8, v21
	v_add_co_ci_u32_e32 v18, vcc_lo, s9, v22, vcc_lo
	s_clause 0x1
	global_load_b32 v21, v[19:20], off
	global_load_b32 v22, v[17:18], off
	s_waitcnt vmcnt(0)
	v_cmpx_eq_f32_e32 v21, v22
	s_cbranch_execz .LBB951_141
; %bb.135:
	v_add_co_u32 v17, vcc_lo, v17, 4
	v_add_co_ci_u32_e32 v18, vcc_lo, 0, v18, vcc_lo
	v_add_co_u32 v19, vcc_lo, v19, 4
	v_add_co_ci_u32_e32 v20, vcc_lo, 0, v20, vcc_lo
	s_add_u32 s6, s22, -1
	s_addc_u32 s7, s23, -1
	s_mov_b64 s[18:19], 0
	s_mov_b32 s30, 0
                                        ; implicit-def: $sgpr31
	s_set_inst_prefetch_distance 0x1
	s_branch .LBB951_138
	.p2align	6
.LBB951_136:                            ;   in Loop: Header=BB951_138 Depth=1
	global_load_b32 v21, v[19:20], off
	global_load_b32 v22, v[17:18], off
	v_add_co_u32 v17, vcc_lo, v17, 4
	v_add_co_ci_u32_e32 v18, vcc_lo, 0, v18, vcc_lo
	v_add_co_u32 v19, s2, v19, 4
	s_delay_alu instid0(VALU_DEP_1)
	v_add_co_ci_u32_e64 v20, s2, 0, v20, s2
	s_add_u32 s18, s18, 1
	s_addc_u32 s19, s19, 0
	s_and_not1_b32 s2, s31, exec_lo
	s_waitcnt vmcnt(0)
	v_cmp_neq_f32_e32 vcc_lo, v21, v22
	s_and_b32 s31, vcc_lo, exec_lo
	s_delay_alu instid0(SALU_CYCLE_1)
	s_or_b32 s31, s2, s31
.LBB951_137:                            ;   in Loop: Header=BB951_138 Depth=1
	v_dual_mov_b32 v22, s19 :: v_dual_mov_b32 v21, s18
	s_and_b32 s2, exec_lo, s31
	s_delay_alu instid0(SALU_CYCLE_1) | instskip(NEXT) | instid1(SALU_CYCLE_1)
	s_or_b32 s30, s2, s30
	s_and_not1_b32 exec_lo, exec_lo, s30
	s_cbranch_execz .LBB951_140
.LBB951_138:                            ; =>This Inner Loop Header: Depth=1
	s_or_b32 s31, s31, exec_lo
	s_cmp_eq_u64 s[6:7], s[18:19]
	s_cbranch_scc0 .LBB951_136
; %bb.139:                              ;   in Loop: Header=BB951_138 Depth=1
	s_mov_b64 s[18:19], s[22:23]
                                        ; implicit-def: $vgpr17_vgpr18
                                        ; implicit-def: $vgpr19_vgpr20
	s_branch .LBB951_137
.LBB951_140:
	s_set_inst_prefetch_distance 0x2
	s_or_b32 exec_lo, exec_lo, s30
	v_cmp_gt_i64_e32 vcc_lo, s[22:23], v[21:22]
	s_or_not1_b32 s2, vcc_lo, exec_lo
.LBB951_141:
	s_or_b32 exec_lo, exec_lo, s28
.LBB951_142:
	s_delay_alu instid0(SALU_CYCLE_1)
	s_and_b32 s28, s2, exec_lo
.LBB951_143:
	s_or_b32 exec_lo, exec_lo, s29
	v_or_b32_e32 v17, 3, v39
	s_mov_b32 s30, 0
	s_mov_b32 s29, 0
	s_mov_b32 s31, exec_lo
	s_delay_alu instid0(VALU_DEP_1)
	v_cmpx_gt_u32_e64 s20, v17
	s_cbranch_execz .LBB951_154
; %bb.144:
	v_cmp_ne_u32_e32 vcc_lo, 1, v25
	s_mov_b32 s2, 0
	s_cbranch_vccnz .LBB951_153
; %bb.145:
	v_mul_lo_u32 v21, v10, s22
	v_mul_lo_u32 v22, v9, s23
	v_mad_u64_u32 v[17:18], null, v9, s22, 0
	v_mul_lo_u32 v23, v12, s22
	v_mul_lo_u32 v24, v11, s23
	s_waitcnt lgkmcnt(0)
	v_mad_u64_u32 v[19:20], null, v11, s22, 0
	s_mov_b32 s2, -1
	s_mov_b32 s29, exec_lo
	s_delay_alu instid0(VALU_DEP_4) | instskip(NEXT) | instid1(VALU_DEP_2)
	v_add3_u32 v18, v18, v22, v21
	v_add3_u32 v20, v20, v24, v23
	s_delay_alu instid0(VALU_DEP_2) | instskip(NEXT) | instid1(VALU_DEP_2)
	v_lshlrev_b64 v[17:18], 2, v[17:18]
	v_lshlrev_b64 v[21:22], 2, v[19:20]
	s_delay_alu instid0(VALU_DEP_2) | instskip(NEXT) | instid1(VALU_DEP_3)
	v_add_co_u32 v19, vcc_lo, s8, v17
	v_add_co_ci_u32_e32 v20, vcc_lo, s9, v18, vcc_lo
	s_delay_alu instid0(VALU_DEP_3) | instskip(NEXT) | instid1(VALU_DEP_4)
	v_add_co_u32 v17, vcc_lo, s8, v21
	v_add_co_ci_u32_e32 v18, vcc_lo, s9, v22, vcc_lo
	s_clause 0x1
	global_load_b32 v21, v[19:20], off
	global_load_b32 v22, v[17:18], off
	s_waitcnt vmcnt(0)
	v_cmpx_eq_f32_e32 v21, v22
	s_cbranch_execz .LBB951_152
; %bb.146:
	v_add_co_u32 v17, vcc_lo, v17, 4
	v_add_co_ci_u32_e32 v18, vcc_lo, 0, v18, vcc_lo
	v_add_co_u32 v19, vcc_lo, v19, 4
	v_add_co_ci_u32_e32 v20, vcc_lo, 0, v20, vcc_lo
	s_add_u32 s6, s22, -1
	s_addc_u32 s7, s23, -1
	s_mov_b64 s[18:19], 0
	s_mov_b32 s33, 0
                                        ; implicit-def: $sgpr34
	s_set_inst_prefetch_distance 0x1
	s_branch .LBB951_149
	.p2align	6
.LBB951_147:                            ;   in Loop: Header=BB951_149 Depth=1
	global_load_b32 v21, v[19:20], off
	global_load_b32 v22, v[17:18], off
	v_add_co_u32 v17, vcc_lo, v17, 4
	v_add_co_ci_u32_e32 v18, vcc_lo, 0, v18, vcc_lo
	v_add_co_u32 v19, s2, v19, 4
	s_delay_alu instid0(VALU_DEP_1)
	v_add_co_ci_u32_e64 v20, s2, 0, v20, s2
	s_add_u32 s18, s18, 1
	s_addc_u32 s19, s19, 0
	s_and_not1_b32 s2, s34, exec_lo
	s_waitcnt vmcnt(0)
	v_cmp_neq_f32_e32 vcc_lo, v21, v22
	s_and_b32 s34, vcc_lo, exec_lo
	s_delay_alu instid0(SALU_CYCLE_1)
	s_or_b32 s34, s2, s34
.LBB951_148:                            ;   in Loop: Header=BB951_149 Depth=1
	v_dual_mov_b32 v22, s19 :: v_dual_mov_b32 v21, s18
	s_and_b32 s2, exec_lo, s34
	s_delay_alu instid0(SALU_CYCLE_1) | instskip(NEXT) | instid1(SALU_CYCLE_1)
	s_or_b32 s33, s2, s33
	s_and_not1_b32 exec_lo, exec_lo, s33
	s_cbranch_execz .LBB951_151
.LBB951_149:                            ; =>This Inner Loop Header: Depth=1
	s_or_b32 s34, s34, exec_lo
	s_cmp_eq_u64 s[6:7], s[18:19]
	s_cbranch_scc0 .LBB951_147
; %bb.150:                              ;   in Loop: Header=BB951_149 Depth=1
	s_mov_b64 s[18:19], s[22:23]
                                        ; implicit-def: $vgpr17_vgpr18
                                        ; implicit-def: $vgpr19_vgpr20
	s_branch .LBB951_148
.LBB951_151:
	s_set_inst_prefetch_distance 0x2
	s_or_b32 exec_lo, exec_lo, s33
	v_cmp_gt_i64_e32 vcc_lo, s[22:23], v[21:22]
	s_or_not1_b32 s2, vcc_lo, exec_lo
.LBB951_152:
	s_or_b32 exec_lo, exec_lo, s29
.LBB951_153:
	s_delay_alu instid0(SALU_CYCLE_1)
	s_and_b32 s29, s2, exec_lo
.LBB951_154:
	s_or_b32 exec_lo, exec_lo, s31
	v_or_b32_e32 v17, 2, v39
	s_mov_b32 s31, exec_lo
	s_delay_alu instid0(VALU_DEP_1)
	v_cmpx_gt_u32_e64 s20, v17
	s_cbranch_execz .LBB951_165
; %bb.155:
	v_cmp_ne_u32_e32 vcc_lo, 1, v25
	s_mov_b32 s2, 0
	s_cbranch_vccnz .LBB951_164
; %bb.156:
	v_mul_lo_u32 v21, v16, s22
	v_mul_lo_u32 v22, v15, s23
	v_mad_u64_u32 v[17:18], null, v15, s22, 0
	v_mul_lo_u32 v23, v10, s22
	v_mul_lo_u32 v24, v9, s23
	s_waitcnt lgkmcnt(0)
	v_mad_u64_u32 v[19:20], null, v9, s22, 0
	s_mov_b32 s2, -1
	s_mov_b32 s30, exec_lo
	s_delay_alu instid0(VALU_DEP_4) | instskip(NEXT) | instid1(VALU_DEP_2)
	v_add3_u32 v18, v18, v22, v21
	v_add3_u32 v20, v20, v24, v23
	s_delay_alu instid0(VALU_DEP_2) | instskip(NEXT) | instid1(VALU_DEP_2)
	v_lshlrev_b64 v[17:18], 2, v[17:18]
	v_lshlrev_b64 v[21:22], 2, v[19:20]
	s_delay_alu instid0(VALU_DEP_2) | instskip(NEXT) | instid1(VALU_DEP_3)
	v_add_co_u32 v19, vcc_lo, s8, v17
	v_add_co_ci_u32_e32 v20, vcc_lo, s9, v18, vcc_lo
	s_delay_alu instid0(VALU_DEP_3) | instskip(NEXT) | instid1(VALU_DEP_4)
	v_add_co_u32 v17, vcc_lo, s8, v21
	v_add_co_ci_u32_e32 v18, vcc_lo, s9, v22, vcc_lo
	s_clause 0x1
	global_load_b32 v21, v[19:20], off
	global_load_b32 v22, v[17:18], off
	s_waitcnt vmcnt(0)
	v_cmpx_eq_f32_e32 v21, v22
	s_cbranch_execz .LBB951_163
; %bb.157:
	v_add_co_u32 v17, vcc_lo, v17, 4
	v_add_co_ci_u32_e32 v18, vcc_lo, 0, v18, vcc_lo
	v_add_co_u32 v19, vcc_lo, v19, 4
	v_add_co_ci_u32_e32 v20, vcc_lo, 0, v20, vcc_lo
	s_add_u32 s6, s22, -1
	s_addc_u32 s7, s23, -1
	s_mov_b64 s[18:19], 0
	s_mov_b32 s33, 0
                                        ; implicit-def: $sgpr34
	s_set_inst_prefetch_distance 0x1
	s_branch .LBB951_160
	.p2align	6
.LBB951_158:                            ;   in Loop: Header=BB951_160 Depth=1
	global_load_b32 v21, v[19:20], off
	global_load_b32 v22, v[17:18], off
	v_add_co_u32 v17, vcc_lo, v17, 4
	v_add_co_ci_u32_e32 v18, vcc_lo, 0, v18, vcc_lo
	v_add_co_u32 v19, s2, v19, 4
	s_delay_alu instid0(VALU_DEP_1)
	v_add_co_ci_u32_e64 v20, s2, 0, v20, s2
	s_add_u32 s18, s18, 1
	s_addc_u32 s19, s19, 0
	s_and_not1_b32 s2, s34, exec_lo
	s_waitcnt vmcnt(0)
	v_cmp_neq_f32_e32 vcc_lo, v21, v22
	s_and_b32 s34, vcc_lo, exec_lo
	s_delay_alu instid0(SALU_CYCLE_1)
	s_or_b32 s34, s2, s34
.LBB951_159:                            ;   in Loop: Header=BB951_160 Depth=1
	v_dual_mov_b32 v22, s19 :: v_dual_mov_b32 v21, s18
	s_and_b32 s2, exec_lo, s34
	s_delay_alu instid0(SALU_CYCLE_1) | instskip(NEXT) | instid1(SALU_CYCLE_1)
	s_or_b32 s33, s2, s33
	s_and_not1_b32 exec_lo, exec_lo, s33
	s_cbranch_execz .LBB951_162
.LBB951_160:                            ; =>This Inner Loop Header: Depth=1
	s_or_b32 s34, s34, exec_lo
	s_cmp_eq_u64 s[6:7], s[18:19]
	s_cbranch_scc0 .LBB951_158
; %bb.161:                              ;   in Loop: Header=BB951_160 Depth=1
	s_mov_b64 s[18:19], s[22:23]
                                        ; implicit-def: $vgpr17_vgpr18
                                        ; implicit-def: $vgpr19_vgpr20
	s_branch .LBB951_159
.LBB951_162:
	s_set_inst_prefetch_distance 0x2
	s_or_b32 exec_lo, exec_lo, s33
	v_cmp_gt_i64_e32 vcc_lo, s[22:23], v[21:22]
	s_or_not1_b32 s2, vcc_lo, exec_lo
.LBB951_163:
	s_or_b32 exec_lo, exec_lo, s30
.LBB951_164:
	s_delay_alu instid0(SALU_CYCLE_1)
	s_and_b32 s30, s2, exec_lo
.LBB951_165:
	s_or_b32 exec_lo, exec_lo, s31
	v_or_b32_e32 v17, 1, v39
	s_mov_b32 s2, 0
	s_mov_b32 s31, exec_lo
	s_delay_alu instid0(VALU_DEP_1)
	v_cmpx_gt_u32_e64 s20, v17
	s_cbranch_execz .LBB951_176
; %bb.166:
	v_cmp_ne_u32_e32 vcc_lo, 1, v25
	s_cbranch_vccnz .LBB951_175
; %bb.167:
	v_mul_lo_u32 v21, v14, s22
	v_mul_lo_u32 v22, v13, s23
	v_mad_u64_u32 v[17:18], null, v13, s22, 0
	v_mul_lo_u32 v23, v16, s22
	v_mul_lo_u32 v24, v15, s23
	s_waitcnt lgkmcnt(0)
	v_mad_u64_u32 v[19:20], null, v15, s22, 0
	s_mov_b32 s2, -1
	s_mov_b32 s33, exec_lo
	s_delay_alu instid0(VALU_DEP_4) | instskip(NEXT) | instid1(VALU_DEP_2)
	v_add3_u32 v18, v18, v22, v21
	v_add3_u32 v20, v20, v24, v23
	s_delay_alu instid0(VALU_DEP_2) | instskip(NEXT) | instid1(VALU_DEP_2)
	v_lshlrev_b64 v[17:18], 2, v[17:18]
	v_lshlrev_b64 v[21:22], 2, v[19:20]
	s_delay_alu instid0(VALU_DEP_2) | instskip(NEXT) | instid1(VALU_DEP_3)
	v_add_co_u32 v19, vcc_lo, s8, v17
	v_add_co_ci_u32_e32 v20, vcc_lo, s9, v18, vcc_lo
	s_delay_alu instid0(VALU_DEP_3) | instskip(NEXT) | instid1(VALU_DEP_4)
	v_add_co_u32 v17, vcc_lo, s8, v21
	v_add_co_ci_u32_e32 v18, vcc_lo, s9, v22, vcc_lo
	s_clause 0x1
	global_load_b32 v21, v[19:20], off
	global_load_b32 v22, v[17:18], off
	s_waitcnt vmcnt(0)
	v_cmpx_eq_f32_e32 v21, v22
	s_cbranch_execz .LBB951_174
; %bb.168:
	v_add_co_u32 v17, vcc_lo, v17, 4
	v_add_co_ci_u32_e32 v18, vcc_lo, 0, v18, vcc_lo
	v_add_co_u32 v19, vcc_lo, v19, 4
	v_add_co_ci_u32_e32 v20, vcc_lo, 0, v20, vcc_lo
	s_add_u32 s6, s22, -1
	s_addc_u32 s7, s23, -1
	s_mov_b64 s[18:19], 0
	s_mov_b32 s34, 0
                                        ; implicit-def: $sgpr35
	s_set_inst_prefetch_distance 0x1
	s_branch .LBB951_171
	.p2align	6
.LBB951_169:                            ;   in Loop: Header=BB951_171 Depth=1
	global_load_b32 v21, v[19:20], off
	global_load_b32 v22, v[17:18], off
	v_add_co_u32 v17, vcc_lo, v17, 4
	v_add_co_ci_u32_e32 v18, vcc_lo, 0, v18, vcc_lo
	v_add_co_u32 v19, s2, v19, 4
	s_delay_alu instid0(VALU_DEP_1)
	v_add_co_ci_u32_e64 v20, s2, 0, v20, s2
	s_add_u32 s18, s18, 1
	s_addc_u32 s19, s19, 0
	s_and_not1_b32 s2, s35, exec_lo
	s_waitcnt vmcnt(0)
	v_cmp_neq_f32_e32 vcc_lo, v21, v22
	s_and_b32 s35, vcc_lo, exec_lo
	s_delay_alu instid0(SALU_CYCLE_1)
	s_or_b32 s35, s2, s35
.LBB951_170:                            ;   in Loop: Header=BB951_171 Depth=1
	v_dual_mov_b32 v22, s19 :: v_dual_mov_b32 v21, s18
	s_and_b32 s2, exec_lo, s35
	s_delay_alu instid0(SALU_CYCLE_1) | instskip(NEXT) | instid1(SALU_CYCLE_1)
	s_or_b32 s34, s2, s34
	s_and_not1_b32 exec_lo, exec_lo, s34
	s_cbranch_execz .LBB951_173
.LBB951_171:                            ; =>This Inner Loop Header: Depth=1
	s_or_b32 s35, s35, exec_lo
	s_cmp_eq_u64 s[6:7], s[18:19]
	s_cbranch_scc0 .LBB951_169
; %bb.172:                              ;   in Loop: Header=BB951_171 Depth=1
	s_mov_b64 s[18:19], s[22:23]
                                        ; implicit-def: $vgpr17_vgpr18
                                        ; implicit-def: $vgpr19_vgpr20
	s_branch .LBB951_170
.LBB951_173:
	s_set_inst_prefetch_distance 0x2
	s_or_b32 exec_lo, exec_lo, s34
	v_cmp_gt_i64_e32 vcc_lo, s[22:23], v[21:22]
	s_or_not1_b32 s2, vcc_lo, exec_lo
.LBB951_174:
	s_or_b32 exec_lo, exec_lo, s33
.LBB951_175:
	s_delay_alu instid0(SALU_CYCLE_1)
	s_and_b32 s2, s2, exec_lo
.LBB951_176:
	s_or_b32 exec_lo, exec_lo, s31
	s_waitcnt lgkmcnt(0)
	v_dual_mov_b32 v18, s5 :: v_dual_mov_b32 v17, s4
	s_mov_b32 s4, exec_lo
	s_barrier
	buffer_gl0_inv
	v_cmpx_ne_u32_e32 0, v0
	s_cbranch_execz .LBB951_178
; %bb.177:
	v_add_nc_u32_e32 v17, -8, v39
	ds_load_b64 v[17:18], v17
.LBB951_178:
	s_or_b32 exec_lo, exec_lo, s4
	v_cndmask_b32_e64 v20, 0, 1, s29
	v_cndmask_b32_e64 v22, 0, 1, s26
	;; [unrolled: 1-line block ×7, first 2 shown]
	v_lshlrev_b16 v20, 8, v20
	v_lshlrev_b16 v22, 8, v22
	;; [unrolled: 1-line block ×3, first 2 shown]
	s_mov_b32 s2, 0
	v_lshlrev_b16 v26, 8, v26
	v_or_b32_e32 v19, v19, v20
	v_or_b32_e32 v20, v21, v22
	;; [unrolled: 1-line block ×3, first 2 shown]
	s_mov_b32 s3, exec_lo
	v_and_b32_e32 v23, 0xffff, v26
	v_lshlrev_b32_e32 v24, 16, v19
	v_and_b32_e32 v26, 0xffff, v20
	v_lshlrev_b32_e32 v27, 16, v21
	v_cmpx_gt_u32_e64 s20, v39
	s_cbranch_execz .LBB951_189
; %bb.179:
	v_cmp_ne_u32_e32 vcc_lo, 1, v25
	s_cbranch_vccnz .LBB951_188
; %bb.180:
	s_waitcnt lgkmcnt(0)
	v_mul_lo_u32 v22, v18, s22
	v_mul_lo_u32 v25, v17, s23
	v_mad_u64_u32 v[18:19], null, v17, s22, 0
	v_mul_lo_u32 v17, v14, s22
	v_mul_lo_u32 v28, v13, s23
	v_mad_u64_u32 v[20:21], null, v13, s22, 0
	s_mov_b32 s2, -1
	s_mov_b32 s18, exec_lo
	s_delay_alu instid0(VALU_DEP_4) | instskip(NEXT) | instid1(VALU_DEP_2)
	v_add3_u32 v19, v19, v25, v22
	v_add3_u32 v21, v21, v28, v17
	s_delay_alu instid0(VALU_DEP_2) | instskip(NEXT) | instid1(VALU_DEP_2)
	v_lshlrev_b64 v[17:18], 2, v[18:19]
	v_lshlrev_b64 v[21:22], 2, v[20:21]
	s_delay_alu instid0(VALU_DEP_2) | instskip(NEXT) | instid1(VALU_DEP_3)
	v_add_co_u32 v19, vcc_lo, s8, v17
	v_add_co_ci_u32_e32 v20, vcc_lo, s9, v18, vcc_lo
	s_delay_alu instid0(VALU_DEP_3) | instskip(NEXT) | instid1(VALU_DEP_4)
	v_add_co_u32 v17, vcc_lo, s8, v21
	v_add_co_ci_u32_e32 v18, vcc_lo, s9, v22, vcc_lo
	s_clause 0x1
	global_load_b32 v21, v[19:20], off
	global_load_b32 v22, v[17:18], off
	s_waitcnt vmcnt(0)
	v_cmpx_eq_f32_e32 v21, v22
	s_cbranch_execz .LBB951_187
; %bb.181:
	v_add_co_u32 v17, vcc_lo, v17, 4
	v_add_co_ci_u32_e32 v18, vcc_lo, 0, v18, vcc_lo
	v_add_co_u32 v19, vcc_lo, v19, 4
	v_add_co_ci_u32_e32 v20, vcc_lo, 0, v20, vcc_lo
	s_add_u32 s4, s22, -1
	s_addc_u32 s5, s23, -1
	s_mov_b64 s[6:7], 0
	s_mov_b32 s19, 0
                                        ; implicit-def: $sgpr26
	s_set_inst_prefetch_distance 0x1
	s_branch .LBB951_184
	.p2align	6
.LBB951_182:                            ;   in Loop: Header=BB951_184 Depth=1
	global_load_b32 v21, v[19:20], off
	global_load_b32 v22, v[17:18], off
	v_add_co_u32 v17, vcc_lo, v17, 4
	v_add_co_ci_u32_e32 v18, vcc_lo, 0, v18, vcc_lo
	v_add_co_u32 v19, s2, v19, 4
	s_delay_alu instid0(VALU_DEP_1)
	v_add_co_ci_u32_e64 v20, s2, 0, v20, s2
	s_add_u32 s6, s6, 1
	s_addc_u32 s7, s7, 0
	s_and_not1_b32 s2, s26, exec_lo
	s_waitcnt vmcnt(0)
	v_cmp_neq_f32_e32 vcc_lo, v21, v22
	s_and_b32 s26, vcc_lo, exec_lo
	s_delay_alu instid0(SALU_CYCLE_1)
	s_or_b32 s26, s2, s26
.LBB951_183:                            ;   in Loop: Header=BB951_184 Depth=1
	v_dual_mov_b32 v22, s7 :: v_dual_mov_b32 v21, s6
	s_and_b32 s2, exec_lo, s26
	s_delay_alu instid0(SALU_CYCLE_1) | instskip(NEXT) | instid1(SALU_CYCLE_1)
	s_or_b32 s19, s2, s19
	s_and_not1_b32 exec_lo, exec_lo, s19
	s_cbranch_execz .LBB951_186
.LBB951_184:                            ; =>This Inner Loop Header: Depth=1
	s_or_b32 s26, s26, exec_lo
	s_cmp_eq_u64 s[4:5], s[6:7]
	s_cbranch_scc0 .LBB951_182
; %bb.185:                              ;   in Loop: Header=BB951_184 Depth=1
	s_mov_b64 s[6:7], s[22:23]
                                        ; implicit-def: $vgpr17_vgpr18
                                        ; implicit-def: $vgpr19_vgpr20
	s_branch .LBB951_183
.LBB951_186:
	s_set_inst_prefetch_distance 0x2
	s_or_b32 exec_lo, exec_lo, s19
	v_cmp_gt_i64_e32 vcc_lo, s[22:23], v[21:22]
	s_or_not1_b32 s2, vcc_lo, exec_lo
.LBB951_187:
	s_or_b32 exec_lo, exec_lo, s18
.LBB951_188:
	s_delay_alu instid0(SALU_CYCLE_1)
	s_and_b32 s2, s2, exec_lo
.LBB951_189:
	s_or_b32 exec_lo, exec_lo, s3
	s_waitcnt lgkmcnt(0)
	v_or_b32_e32 v17, v23, v24
	v_or_b32_e32 v18, v26, v27
.LBB951_190:
	s_mov_b32 s18, -1
	s_cbranch_execnz .LBB951_359
.LBB951_191:
	v_cmp_gt_i64_e64 s3, s[22:23], 0
	s_and_b32 vcc_lo, exec_lo, s21
	ds_store_b64 v39, v[3:4]
	s_cbranch_vccz .LBB951_199
; %bb.192:
	s_waitcnt lgkmcnt(0)
	v_mul_lo_u32 v19, v2, s22
	v_mul_lo_u32 v20, v1, s23
	v_mad_u64_u32 v[17:18], null, v1, s22, 0
	s_mov_b32 s19, 0
	s_and_not1_b32 vcc_lo, exec_lo, s3
	s_mov_b32 s26, 0
	s_delay_alu instid0(VALU_DEP_1) | instskip(NEXT) | instid1(VALU_DEP_1)
	v_add3_u32 v18, v18, v20, v19
	v_lshlrev_b64 v[17:18], 2, v[17:18]
	s_cbranch_vccnz .LBB951_202
; %bb.193:
	v_mul_lo_u32 v21, v4, s22
	v_mul_lo_u32 v22, v3, s23
	v_mad_u64_u32 v[19:20], null, v3, s22, 0
	s_mov_b32 s26, -1
	s_mov_b32 s27, exec_lo
	s_delay_alu instid0(VALU_DEP_1) | instskip(SKIP_2) | instid1(VALU_DEP_3)
	v_add3_u32 v20, v20, v22, v21
	v_add_co_u32 v21, vcc_lo, s8, v17
	v_add_co_ci_u32_e32 v22, vcc_lo, s9, v18, vcc_lo
	v_lshlrev_b64 v[19:20], 2, v[19:20]
	s_delay_alu instid0(VALU_DEP_1) | instskip(NEXT) | instid1(VALU_DEP_2)
	v_add_co_u32 v19, vcc_lo, s8, v19
	v_add_co_ci_u32_e32 v20, vcc_lo, s9, v20, vcc_lo
	s_clause 0x1
	global_load_b32 v23, v[21:22], off
	global_load_b32 v24, v[19:20], off
	s_waitcnt vmcnt(0)
	v_cmpx_eq_f32_e32 v23, v24
	s_cbranch_execz .LBB951_201
; %bb.194:
	v_add_co_u32 v19, vcc_lo, v19, 4
	v_add_co_ci_u32_e32 v20, vcc_lo, 0, v20, vcc_lo
	v_add_co_u32 v21, vcc_lo, v21, 4
	v_add_co_ci_u32_e32 v22, vcc_lo, 0, v22, vcc_lo
	s_add_u32 s4, s22, -1
	s_addc_u32 s5, s23, -1
	s_mov_b64 s[6:7], 0
	s_mov_b32 s26, 0
                                        ; implicit-def: $sgpr28
	s_set_inst_prefetch_distance 0x1
	s_branch .LBB951_197
	.p2align	6
.LBB951_195:                            ;   in Loop: Header=BB951_197 Depth=1
	global_load_b32 v23, v[21:22], off
	global_load_b32 v24, v[19:20], off
	v_add_co_u32 v19, vcc_lo, v19, 4
	v_add_co_ci_u32_e32 v20, vcc_lo, 0, v20, vcc_lo
	v_add_co_u32 v21, s2, v21, 4
	s_delay_alu instid0(VALU_DEP_1)
	v_add_co_ci_u32_e64 v22, s2, 0, v22, s2
	s_add_u32 s6, s6, 1
	s_addc_u32 s7, s7, 0
	s_and_not1_b32 s2, s28, exec_lo
	s_waitcnt vmcnt(0)
	v_cmp_neq_f32_e32 vcc_lo, v23, v24
	s_and_b32 s28, vcc_lo, exec_lo
	s_delay_alu instid0(SALU_CYCLE_1)
	s_or_b32 s28, s2, s28
.LBB951_196:                            ;   in Loop: Header=BB951_197 Depth=1
	v_dual_mov_b32 v24, s7 :: v_dual_mov_b32 v23, s6
	s_and_b32 s2, exec_lo, s28
	s_delay_alu instid0(SALU_CYCLE_1) | instskip(NEXT) | instid1(SALU_CYCLE_1)
	s_or_b32 s26, s2, s26
	s_and_not1_b32 exec_lo, exec_lo, s26
	s_cbranch_execz .LBB951_200
.LBB951_197:                            ; =>This Inner Loop Header: Depth=1
	s_or_b32 s28, s28, exec_lo
	s_cmp_eq_u64 s[4:5], s[6:7]
	s_cbranch_scc0 .LBB951_195
; %bb.198:                              ;   in Loop: Header=BB951_197 Depth=1
	s_mov_b64 s[6:7], s[22:23]
                                        ; implicit-def: $vgpr19_vgpr20
                                        ; implicit-def: $vgpr21_vgpr22
	s_branch .LBB951_196
.LBB951_199:
	s_waitcnt lgkmcnt(0)
                                        ; implicit-def: $sgpr2
                                        ; implicit-def: $vgpr18
	s_cbranch_execnz .LBB951_268
	s_branch .LBB951_359
.LBB951_200:
	s_set_inst_prefetch_distance 0x2
	s_or_b32 exec_lo, exec_lo, s26
	v_cmp_gt_i64_e32 vcc_lo, s[22:23], v[23:24]
	s_or_not1_b32 s26, vcc_lo, exec_lo
.LBB951_201:
	s_or_b32 exec_lo, exec_lo, s27
.LBB951_202:
	v_mul_lo_u32 v21, v8, s22
	v_mul_lo_u32 v22, v7, s23
	v_mad_u64_u32 v[19:20], null, v7, s22, 0
	s_and_not1_b32 vcc_lo, exec_lo, s3
	s_delay_alu instid0(VALU_DEP_1) | instskip(NEXT) | instid1(VALU_DEP_1)
	v_add3_u32 v20, v20, v22, v21
	v_lshlrev_b64 v[19:20], 2, v[19:20]
	s_cbranch_vccnz .LBB951_211
; %bb.203:
	s_delay_alu instid0(VALU_DEP_1) | instskip(NEXT) | instid1(VALU_DEP_2)
	v_add_co_u32 v21, vcc_lo, s8, v19
	v_add_co_ci_u32_e32 v22, vcc_lo, s9, v20, vcc_lo
	v_add_co_u32 v17, vcc_lo, s8, v17
	v_add_co_ci_u32_e32 v18, vcc_lo, s9, v18, vcc_lo
	s_mov_b32 s19, -1
	s_clause 0x1
	global_load_b32 v23, v[21:22], off
	global_load_b32 v24, v[17:18], off
	s_mov_b32 s27, exec_lo
	s_waitcnt vmcnt(0)
	v_cmpx_eq_f32_e32 v23, v24
	s_cbranch_execz .LBB951_210
; %bb.204:
	v_add_co_u32 v17, vcc_lo, v17, 4
	v_add_co_ci_u32_e32 v18, vcc_lo, 0, v18, vcc_lo
	v_add_co_u32 v21, vcc_lo, v21, 4
	v_add_co_ci_u32_e32 v22, vcc_lo, 0, v22, vcc_lo
	s_add_u32 s4, s22, -1
	s_addc_u32 s5, s23, -1
	s_mov_b64 s[6:7], 0
	s_mov_b32 s19, 0
                                        ; implicit-def: $sgpr28
	s_set_inst_prefetch_distance 0x1
	s_branch .LBB951_207
	.p2align	6
.LBB951_205:                            ;   in Loop: Header=BB951_207 Depth=1
	global_load_b32 v23, v[21:22], off
	global_load_b32 v24, v[17:18], off
	v_add_co_u32 v17, vcc_lo, v17, 4
	v_add_co_ci_u32_e32 v18, vcc_lo, 0, v18, vcc_lo
	v_add_co_u32 v21, s2, v21, 4
	s_delay_alu instid0(VALU_DEP_1)
	v_add_co_ci_u32_e64 v22, s2, 0, v22, s2
	s_add_u32 s6, s6, 1
	s_addc_u32 s7, s7, 0
	s_and_not1_b32 s2, s28, exec_lo
	s_waitcnt vmcnt(0)
	v_cmp_neq_f32_e32 vcc_lo, v23, v24
	s_and_b32 s28, vcc_lo, exec_lo
	s_delay_alu instid0(SALU_CYCLE_1)
	s_or_b32 s28, s2, s28
.LBB951_206:                            ;   in Loop: Header=BB951_207 Depth=1
	v_dual_mov_b32 v24, s7 :: v_dual_mov_b32 v23, s6
	s_and_b32 s2, exec_lo, s28
	s_delay_alu instid0(SALU_CYCLE_1) | instskip(NEXT) | instid1(SALU_CYCLE_1)
	s_or_b32 s19, s2, s19
	s_and_not1_b32 exec_lo, exec_lo, s19
	s_cbranch_execz .LBB951_209
.LBB951_207:                            ; =>This Inner Loop Header: Depth=1
	s_or_b32 s28, s28, exec_lo
	s_cmp_eq_u64 s[4:5], s[6:7]
	s_cbranch_scc0 .LBB951_205
; %bb.208:                              ;   in Loop: Header=BB951_207 Depth=1
	s_mov_b64 s[6:7], s[22:23]
                                        ; implicit-def: $vgpr17_vgpr18
                                        ; implicit-def: $vgpr21_vgpr22
	s_branch .LBB951_206
.LBB951_209:
	s_set_inst_prefetch_distance 0x2
	s_or_b32 exec_lo, exec_lo, s19
	v_cmp_gt_i64_e32 vcc_lo, s[22:23], v[23:24]
	s_or_not1_b32 s19, vcc_lo, exec_lo
.LBB951_210:
	s_or_b32 exec_lo, exec_lo, s27
.LBB951_211:
	v_mul_lo_u32 v21, v6, s22
	v_mul_lo_u32 v22, v5, s23
	v_mad_u64_u32 v[17:18], null, v5, s22, 0
	s_mov_b32 s27, 0
	s_and_not1_b32 vcc_lo, exec_lo, s3
	s_mov_b32 s28, 0
	s_delay_alu instid0(VALU_DEP_1) | instskip(NEXT) | instid1(VALU_DEP_1)
	v_add3_u32 v18, v18, v22, v21
	v_lshlrev_b64 v[21:22], 2, v[17:18]
	s_cbranch_vccnz .LBB951_220
; %bb.212:
	s_delay_alu instid0(VALU_DEP_1) | instskip(NEXT) | instid1(VALU_DEP_2)
	v_add_co_u32 v23, vcc_lo, s8, v21
	v_add_co_ci_u32_e32 v24, vcc_lo, s9, v22, vcc_lo
	v_add_co_u32 v17, vcc_lo, s8, v19
	v_add_co_ci_u32_e32 v18, vcc_lo, s9, v20, vcc_lo
	s_mov_b32 s28, -1
	s_clause 0x1
	global_load_b32 v19, v[23:24], off
	global_load_b32 v20, v[17:18], off
	s_mov_b32 s29, exec_lo
	s_waitcnt vmcnt(0)
	v_cmpx_eq_f32_e32 v19, v20
	s_cbranch_execz .LBB951_219
; %bb.213:
	v_add_co_u32 v17, vcc_lo, v17, 4
	v_add_co_ci_u32_e32 v18, vcc_lo, 0, v18, vcc_lo
	v_add_co_u32 v19, vcc_lo, v23, 4
	v_add_co_ci_u32_e32 v20, vcc_lo, 0, v24, vcc_lo
	s_add_u32 s4, s22, -1
	s_addc_u32 s5, s23, -1
	s_mov_b64 s[6:7], 0
	s_mov_b32 s28, 0
                                        ; implicit-def: $sgpr30
	s_set_inst_prefetch_distance 0x1
	s_branch .LBB951_216
	.p2align	6
.LBB951_214:                            ;   in Loop: Header=BB951_216 Depth=1
	global_load_b32 v23, v[19:20], off
	global_load_b32 v24, v[17:18], off
	v_add_co_u32 v17, vcc_lo, v17, 4
	v_add_co_ci_u32_e32 v18, vcc_lo, 0, v18, vcc_lo
	v_add_co_u32 v19, s2, v19, 4
	s_delay_alu instid0(VALU_DEP_1)
	v_add_co_ci_u32_e64 v20, s2, 0, v20, s2
	s_add_u32 s6, s6, 1
	s_addc_u32 s7, s7, 0
	s_and_not1_b32 s2, s30, exec_lo
	s_waitcnt vmcnt(0)
	v_cmp_neq_f32_e32 vcc_lo, v23, v24
	s_and_b32 s30, vcc_lo, exec_lo
	s_delay_alu instid0(SALU_CYCLE_1)
	s_or_b32 s30, s2, s30
.LBB951_215:                            ;   in Loop: Header=BB951_216 Depth=1
	v_dual_mov_b32 v24, s7 :: v_dual_mov_b32 v23, s6
	s_and_b32 s2, exec_lo, s30
	s_delay_alu instid0(SALU_CYCLE_1) | instskip(NEXT) | instid1(SALU_CYCLE_1)
	s_or_b32 s28, s2, s28
	s_and_not1_b32 exec_lo, exec_lo, s28
	s_cbranch_execz .LBB951_218
.LBB951_216:                            ; =>This Inner Loop Header: Depth=1
	s_or_b32 s30, s30, exec_lo
	s_cmp_eq_u64 s[4:5], s[6:7]
	s_cbranch_scc0 .LBB951_214
; %bb.217:                              ;   in Loop: Header=BB951_216 Depth=1
	s_mov_b64 s[6:7], s[22:23]
                                        ; implicit-def: $vgpr17_vgpr18
                                        ; implicit-def: $vgpr19_vgpr20
	s_branch .LBB951_215
.LBB951_218:
	s_set_inst_prefetch_distance 0x2
	s_or_b32 exec_lo, exec_lo, s28
	v_cmp_gt_i64_e32 vcc_lo, s[22:23], v[23:24]
	s_or_not1_b32 s28, vcc_lo, exec_lo
.LBB951_219:
	s_or_b32 exec_lo, exec_lo, s29
.LBB951_220:
	v_mul_lo_u32 v19, v12, s22
	v_mul_lo_u32 v20, v11, s23
	v_mad_u64_u32 v[17:18], null, v11, s22, 0
	s_and_not1_b32 vcc_lo, exec_lo, s3
	s_delay_alu instid0(VALU_DEP_1) | instskip(NEXT) | instid1(VALU_DEP_1)
	v_add3_u32 v18, v18, v20, v19
	v_lshlrev_b64 v[17:18], 2, v[17:18]
	s_cbranch_vccnz .LBB951_229
; %bb.221:
	s_delay_alu instid0(VALU_DEP_1) | instskip(NEXT) | instid1(VALU_DEP_2)
	v_add_co_u32 v23, vcc_lo, s8, v17
	v_add_co_ci_u32_e32 v24, vcc_lo, s9, v18, vcc_lo
	v_add_co_u32 v19, vcc_lo, s8, v21
	v_add_co_ci_u32_e32 v20, vcc_lo, s9, v22, vcc_lo
	s_mov_b32 s27, -1
	s_clause 0x1
	global_load_b32 v21, v[23:24], off
	global_load_b32 v22, v[19:20], off
	s_mov_b32 s29, exec_lo
	s_waitcnt vmcnt(0)
	v_cmpx_eq_f32_e32 v21, v22
	s_cbranch_execz .LBB951_228
; %bb.222:
	v_add_co_u32 v19, vcc_lo, v19, 4
	v_add_co_ci_u32_e32 v20, vcc_lo, 0, v20, vcc_lo
	v_add_co_u32 v21, vcc_lo, v23, 4
	v_add_co_ci_u32_e32 v22, vcc_lo, 0, v24, vcc_lo
	s_add_u32 s4, s22, -1
	s_addc_u32 s5, s23, -1
	s_mov_b64 s[6:7], 0
	s_mov_b32 s27, 0
                                        ; implicit-def: $sgpr30
	s_set_inst_prefetch_distance 0x1
	s_branch .LBB951_225
	.p2align	6
.LBB951_223:                            ;   in Loop: Header=BB951_225 Depth=1
	global_load_b32 v23, v[21:22], off
	global_load_b32 v24, v[19:20], off
	v_add_co_u32 v19, vcc_lo, v19, 4
	v_add_co_ci_u32_e32 v20, vcc_lo, 0, v20, vcc_lo
	v_add_co_u32 v21, s2, v21, 4
	s_delay_alu instid0(VALU_DEP_1)
	v_add_co_ci_u32_e64 v22, s2, 0, v22, s2
	s_add_u32 s6, s6, 1
	s_addc_u32 s7, s7, 0
	s_and_not1_b32 s2, s30, exec_lo
	s_waitcnt vmcnt(0)
	v_cmp_neq_f32_e32 vcc_lo, v23, v24
	s_and_b32 s30, vcc_lo, exec_lo
	s_delay_alu instid0(SALU_CYCLE_1)
	s_or_b32 s30, s2, s30
.LBB951_224:                            ;   in Loop: Header=BB951_225 Depth=1
	v_dual_mov_b32 v24, s7 :: v_dual_mov_b32 v23, s6
	s_and_b32 s2, exec_lo, s30
	s_delay_alu instid0(SALU_CYCLE_1) | instskip(NEXT) | instid1(SALU_CYCLE_1)
	s_or_b32 s27, s2, s27
	s_and_not1_b32 exec_lo, exec_lo, s27
	s_cbranch_execz .LBB951_227
.LBB951_225:                            ; =>This Inner Loop Header: Depth=1
	s_or_b32 s30, s30, exec_lo
	s_cmp_eq_u64 s[4:5], s[6:7]
	s_cbranch_scc0 .LBB951_223
; %bb.226:                              ;   in Loop: Header=BB951_225 Depth=1
	s_mov_b64 s[6:7], s[22:23]
                                        ; implicit-def: $vgpr19_vgpr20
                                        ; implicit-def: $vgpr21_vgpr22
	s_branch .LBB951_224
.LBB951_227:
	s_set_inst_prefetch_distance 0x2
	s_or_b32 exec_lo, exec_lo, s27
	v_cmp_gt_i64_e32 vcc_lo, s[22:23], v[23:24]
	s_or_not1_b32 s27, vcc_lo, exec_lo
.LBB951_228:
	s_or_b32 exec_lo, exec_lo, s29
.LBB951_229:
	v_mul_lo_u32 v21, v10, s22
	v_mul_lo_u32 v22, v9, s23
	v_mad_u64_u32 v[19:20], null, v9, s22, 0
	s_mov_b32 s29, 0
	s_and_not1_b32 vcc_lo, exec_lo, s3
	s_mov_b32 s30, 0
	s_delay_alu instid0(VALU_DEP_1) | instskip(NEXT) | instid1(VALU_DEP_1)
	v_add3_u32 v20, v20, v22, v21
	v_lshlrev_b64 v[19:20], 2, v[19:20]
	s_cbranch_vccnz .LBB951_238
; %bb.230:
	s_delay_alu instid0(VALU_DEP_1) | instskip(NEXT) | instid1(VALU_DEP_2)
	v_add_co_u32 v21, vcc_lo, s8, v19
	v_add_co_ci_u32_e32 v22, vcc_lo, s9, v20, vcc_lo
	v_add_co_u32 v17, vcc_lo, s8, v17
	v_add_co_ci_u32_e32 v18, vcc_lo, s9, v18, vcc_lo
	s_mov_b32 s30, -1
	s_clause 0x1
	global_load_b32 v23, v[21:22], off
	global_load_b32 v24, v[17:18], off
	s_mov_b32 s31, exec_lo
	s_waitcnt vmcnt(0)
	v_cmpx_eq_f32_e32 v23, v24
	s_cbranch_execz .LBB951_237
; %bb.231:
	v_add_co_u32 v17, vcc_lo, v17, 4
	v_add_co_ci_u32_e32 v18, vcc_lo, 0, v18, vcc_lo
	v_add_co_u32 v21, vcc_lo, v21, 4
	v_add_co_ci_u32_e32 v22, vcc_lo, 0, v22, vcc_lo
	s_add_u32 s4, s22, -1
	s_addc_u32 s5, s23, -1
	s_mov_b64 s[6:7], 0
	s_mov_b32 s30, 0
                                        ; implicit-def: $sgpr33
	s_set_inst_prefetch_distance 0x1
	s_branch .LBB951_234
	.p2align	6
.LBB951_232:                            ;   in Loop: Header=BB951_234 Depth=1
	global_load_b32 v23, v[21:22], off
	global_load_b32 v24, v[17:18], off
	v_add_co_u32 v17, vcc_lo, v17, 4
	v_add_co_ci_u32_e32 v18, vcc_lo, 0, v18, vcc_lo
	v_add_co_u32 v21, s2, v21, 4
	s_delay_alu instid0(VALU_DEP_1)
	v_add_co_ci_u32_e64 v22, s2, 0, v22, s2
	s_add_u32 s6, s6, 1
	s_addc_u32 s7, s7, 0
	s_and_not1_b32 s2, s33, exec_lo
	s_waitcnt vmcnt(0)
	v_cmp_neq_f32_e32 vcc_lo, v23, v24
	s_and_b32 s33, vcc_lo, exec_lo
	s_delay_alu instid0(SALU_CYCLE_1)
	s_or_b32 s33, s2, s33
.LBB951_233:                            ;   in Loop: Header=BB951_234 Depth=1
	v_dual_mov_b32 v24, s7 :: v_dual_mov_b32 v23, s6
	s_and_b32 s2, exec_lo, s33
	s_delay_alu instid0(SALU_CYCLE_1) | instskip(NEXT) | instid1(SALU_CYCLE_1)
	s_or_b32 s30, s2, s30
	s_and_not1_b32 exec_lo, exec_lo, s30
	s_cbranch_execz .LBB951_236
.LBB951_234:                            ; =>This Inner Loop Header: Depth=1
	s_or_b32 s33, s33, exec_lo
	s_cmp_eq_u64 s[4:5], s[6:7]
	s_cbranch_scc0 .LBB951_232
; %bb.235:                              ;   in Loop: Header=BB951_234 Depth=1
	s_mov_b64 s[6:7], s[22:23]
                                        ; implicit-def: $vgpr17_vgpr18
                                        ; implicit-def: $vgpr21_vgpr22
	s_branch .LBB951_233
.LBB951_236:
	s_set_inst_prefetch_distance 0x2
	s_or_b32 exec_lo, exec_lo, s30
	v_cmp_gt_i64_e32 vcc_lo, s[22:23], v[23:24]
	s_or_not1_b32 s30, vcc_lo, exec_lo
.LBB951_237:
	s_or_b32 exec_lo, exec_lo, s31
.LBB951_238:
	v_mul_lo_u32 v21, v16, s22
	v_mul_lo_u32 v22, v15, s23
	v_mad_u64_u32 v[17:18], null, v15, s22, 0
	s_and_not1_b32 vcc_lo, exec_lo, s3
	s_delay_alu instid0(VALU_DEP_1) | instskip(NEXT) | instid1(VALU_DEP_1)
	v_add3_u32 v18, v18, v22, v21
	v_lshlrev_b64 v[17:18], 2, v[17:18]
	s_cbranch_vccnz .LBB951_247
; %bb.239:
	s_delay_alu instid0(VALU_DEP_1) | instskip(NEXT) | instid1(VALU_DEP_2)
	v_add_co_u32 v21, vcc_lo, s8, v17
	v_add_co_ci_u32_e32 v22, vcc_lo, s9, v18, vcc_lo
	v_add_co_u32 v19, vcc_lo, s8, v19
	v_add_co_ci_u32_e32 v20, vcc_lo, s9, v20, vcc_lo
	s_mov_b32 s29, -1
	s_clause 0x1
	global_load_b32 v23, v[21:22], off
	global_load_b32 v24, v[19:20], off
	s_mov_b32 s31, exec_lo
	s_waitcnt vmcnt(0)
	v_cmpx_eq_f32_e32 v23, v24
	s_cbranch_execz .LBB951_246
; %bb.240:
	v_add_co_u32 v19, vcc_lo, v19, 4
	v_add_co_ci_u32_e32 v20, vcc_lo, 0, v20, vcc_lo
	v_add_co_u32 v21, vcc_lo, v21, 4
	v_add_co_ci_u32_e32 v22, vcc_lo, 0, v22, vcc_lo
	s_add_u32 s4, s22, -1
	s_addc_u32 s5, s23, -1
	s_mov_b64 s[6:7], 0
	s_mov_b32 s29, 0
                                        ; implicit-def: $sgpr33
	s_set_inst_prefetch_distance 0x1
	s_branch .LBB951_243
	.p2align	6
.LBB951_241:                            ;   in Loop: Header=BB951_243 Depth=1
	global_load_b32 v23, v[21:22], off
	global_load_b32 v24, v[19:20], off
	v_add_co_u32 v19, vcc_lo, v19, 4
	v_add_co_ci_u32_e32 v20, vcc_lo, 0, v20, vcc_lo
	v_add_co_u32 v21, s2, v21, 4
	s_delay_alu instid0(VALU_DEP_1)
	v_add_co_ci_u32_e64 v22, s2, 0, v22, s2
	s_add_u32 s6, s6, 1
	s_addc_u32 s7, s7, 0
	s_and_not1_b32 s2, s33, exec_lo
	s_waitcnt vmcnt(0)
	v_cmp_neq_f32_e32 vcc_lo, v23, v24
	s_and_b32 s33, vcc_lo, exec_lo
	s_delay_alu instid0(SALU_CYCLE_1)
	s_or_b32 s33, s2, s33
.LBB951_242:                            ;   in Loop: Header=BB951_243 Depth=1
	v_dual_mov_b32 v24, s7 :: v_dual_mov_b32 v23, s6
	s_and_b32 s2, exec_lo, s33
	s_delay_alu instid0(SALU_CYCLE_1) | instskip(NEXT) | instid1(SALU_CYCLE_1)
	s_or_b32 s29, s2, s29
	s_and_not1_b32 exec_lo, exec_lo, s29
	s_cbranch_execz .LBB951_245
.LBB951_243:                            ; =>This Inner Loop Header: Depth=1
	s_or_b32 s33, s33, exec_lo
	s_cmp_eq_u64 s[4:5], s[6:7]
	s_cbranch_scc0 .LBB951_241
; %bb.244:                              ;   in Loop: Header=BB951_243 Depth=1
	s_mov_b64 s[6:7], s[22:23]
                                        ; implicit-def: $vgpr19_vgpr20
                                        ; implicit-def: $vgpr21_vgpr22
	s_branch .LBB951_242
.LBB951_245:
	s_set_inst_prefetch_distance 0x2
	s_or_b32 exec_lo, exec_lo, s29
	v_cmp_gt_i64_e32 vcc_lo, s[22:23], v[23:24]
	s_or_not1_b32 s29, vcc_lo, exec_lo
.LBB951_246:
	s_or_b32 exec_lo, exec_lo, s31
.LBB951_247:
	v_mul_lo_u32 v21, v14, s22
	v_mul_lo_u32 v22, v13, s23
	v_mad_u64_u32 v[19:20], null, v13, s22, 0
	s_and_not1_b32 vcc_lo, exec_lo, s3
	s_mov_b32 s2, 0
	s_delay_alu instid0(VALU_DEP_1)
	v_add3_u32 v20, v20, v22, v21
	s_cbranch_vccnz .LBB951_256
; %bb.248:
	s_delay_alu instid0(VALU_DEP_1) | instskip(SKIP_2) | instid1(VALU_DEP_1)
	v_lshlrev_b64 v[21:22], 2, v[19:20]
	s_mov_b32 s2, -1
	s_mov_b32 s31, exec_lo
	v_add_co_u32 v21, vcc_lo, s8, v21
	s_delay_alu instid0(VALU_DEP_2)
	v_add_co_ci_u32_e32 v22, vcc_lo, s9, v22, vcc_lo
	v_add_co_u32 v17, vcc_lo, s8, v17
	v_add_co_ci_u32_e32 v18, vcc_lo, s9, v18, vcc_lo
	s_clause 0x1
	global_load_b32 v23, v[21:22], off
	global_load_b32 v24, v[17:18], off
	s_waitcnt vmcnt(0)
	v_cmpx_eq_f32_e32 v23, v24
	s_cbranch_execz .LBB951_255
; %bb.249:
	v_add_co_u32 v17, vcc_lo, v17, 4
	v_add_co_ci_u32_e32 v18, vcc_lo, 0, v18, vcc_lo
	v_add_co_u32 v21, vcc_lo, v21, 4
	v_add_co_ci_u32_e32 v22, vcc_lo, 0, v22, vcc_lo
	s_add_u32 s4, s22, -1
	s_addc_u32 s5, s23, -1
	s_mov_b64 s[6:7], 0
	s_mov_b32 s33, 0
                                        ; implicit-def: $sgpr34
	s_set_inst_prefetch_distance 0x1
	s_branch .LBB951_252
	.p2align	6
.LBB951_250:                            ;   in Loop: Header=BB951_252 Depth=1
	global_load_b32 v23, v[21:22], off
	global_load_b32 v24, v[17:18], off
	v_add_co_u32 v17, vcc_lo, v17, 4
	v_add_co_ci_u32_e32 v18, vcc_lo, 0, v18, vcc_lo
	v_add_co_u32 v21, s2, v21, 4
	s_delay_alu instid0(VALU_DEP_1)
	v_add_co_ci_u32_e64 v22, s2, 0, v22, s2
	s_add_u32 s6, s6, 1
	s_addc_u32 s7, s7, 0
	s_and_not1_b32 s2, s34, exec_lo
	s_waitcnt vmcnt(0)
	v_cmp_neq_f32_e32 vcc_lo, v23, v24
	s_and_b32 s34, vcc_lo, exec_lo
	s_delay_alu instid0(SALU_CYCLE_1)
	s_or_b32 s34, s2, s34
.LBB951_251:                            ;   in Loop: Header=BB951_252 Depth=1
	v_dual_mov_b32 v24, s7 :: v_dual_mov_b32 v23, s6
	s_and_b32 s2, exec_lo, s34
	s_delay_alu instid0(SALU_CYCLE_1) | instskip(NEXT) | instid1(SALU_CYCLE_1)
	s_or_b32 s33, s2, s33
	s_and_not1_b32 exec_lo, exec_lo, s33
	s_cbranch_execz .LBB951_254
.LBB951_252:                            ; =>This Inner Loop Header: Depth=1
	s_or_b32 s34, s34, exec_lo
	s_cmp_eq_u64 s[4:5], s[6:7]
	s_cbranch_scc0 .LBB951_250
; %bb.253:                              ;   in Loop: Header=BB951_252 Depth=1
	s_mov_b64 s[6:7], s[22:23]
                                        ; implicit-def: $vgpr17_vgpr18
                                        ; implicit-def: $vgpr21_vgpr22
	s_branch .LBB951_251
.LBB951_254:
	s_set_inst_prefetch_distance 0x2
	s_or_b32 exec_lo, exec_lo, s33
	v_cmp_gt_i64_e32 vcc_lo, s[22:23], v[23:24]
	s_or_not1_b32 s2, vcc_lo, exec_lo
.LBB951_255:
	s_or_b32 exec_lo, exec_lo, s31
.LBB951_256:
	v_cndmask_b32_e64 v18, 0, 1, s30
	v_cndmask_b32_e64 v21, 0, 1, s28
	v_cndmask_b32_e64 v22, 0, 1, s26
	v_cndmask_b32_e64 v23, 0, 1, s2
	v_cndmask_b32_e64 v17, 0, 1, s29
	v_cndmask_b32_e64 v24, 0, 1, s27
	v_cndmask_b32_e64 v25, 0, 1, s19
	v_lshlrev_b16 v21, 8, v21
	v_lshlrev_b16 v22, 8, v22
	;; [unrolled: 1-line block ×4, first 2 shown]
	s_delay_alu instid0(VALU_DEP_4) | instskip(NEXT) | instid1(VALU_DEP_4)
	v_or_b32_e32 v21, v24, v21
	v_or_b32_e32 v22, v25, v22
	s_delay_alu instid0(VALU_DEP_4) | instskip(NEXT) | instid1(VALU_DEP_4)
	v_or_b32_e32 v23, 1, v23
	v_or_b32_e32 v17, v17, v18
	s_barrier
	v_and_b32_e32 v18, 0xffff, v21
	v_lshlrev_b32_e32 v21, 16, v22
	v_and_b32_e32 v22, 0xffff, v23
	v_lshlrev_b32_e32 v17, 16, v17
	buffer_gl0_inv
                                        ; implicit-def: $sgpr2
	s_mov_b32 s4, exec_lo
	v_or_b32_e32 v18, v18, v21
	v_or_b32_e32 v17, v22, v17
	v_cmpx_ne_u32_e32 0, v0
	s_xor_b32 s19, exec_lo, s4
	s_cbranch_execz .LBB951_267
; %bb.257:
	s_and_not1_b32 vcc_lo, exec_lo, s3
	s_mov_b32 s2, 0
	s_cbranch_vccnz .LBB951_266
; %bb.258:
	v_add_nc_u32_e32 v21, -8, v39
	v_lshlrev_b64 v[19:20], 2, v[19:20]
	s_mov_b32 s2, -1
	s_mov_b32 s26, exec_lo
	ds_load_b64 v[21:22], v21
	s_waitcnt lgkmcnt(0)
	v_mul_lo_u32 v24, v22, s22
	v_mul_lo_u32 v25, v21, s23
	v_mad_u64_u32 v[22:23], null, v21, s22, 0
	s_delay_alu instid0(VALU_DEP_1) | instskip(NEXT) | instid1(VALU_DEP_1)
	v_add3_u32 v23, v23, v25, v24
	v_lshlrev_b64 v[21:22], 2, v[22:23]
	s_delay_alu instid0(VALU_DEP_1) | instskip(NEXT) | instid1(VALU_DEP_2)
	v_add_co_u32 v21, vcc_lo, s8, v21
	v_add_co_ci_u32_e32 v22, vcc_lo, s9, v22, vcc_lo
	v_add_co_u32 v19, vcc_lo, s8, v19
	v_add_co_ci_u32_e32 v20, vcc_lo, s9, v20, vcc_lo
	s_clause 0x1
	global_load_b32 v23, v[21:22], off
	global_load_b32 v24, v[19:20], off
	s_waitcnt vmcnt(0)
	v_cmpx_eq_f32_e32 v23, v24
	s_cbranch_execz .LBB951_265
; %bb.259:
	v_add_co_u32 v19, vcc_lo, v19, 4
	v_add_co_ci_u32_e32 v20, vcc_lo, 0, v20, vcc_lo
	v_add_co_u32 v21, vcc_lo, v21, 4
	v_add_co_ci_u32_e32 v22, vcc_lo, 0, v22, vcc_lo
	s_add_u32 s4, s22, -1
	s_addc_u32 s5, s23, -1
	s_mov_b64 s[6:7], 0
	s_mov_b32 s27, 0
                                        ; implicit-def: $sgpr28
	s_set_inst_prefetch_distance 0x1
	s_branch .LBB951_262
	.p2align	6
.LBB951_260:                            ;   in Loop: Header=BB951_262 Depth=1
	global_load_b32 v23, v[21:22], off
	global_load_b32 v24, v[19:20], off
	v_add_co_u32 v19, vcc_lo, v19, 4
	v_add_co_ci_u32_e32 v20, vcc_lo, 0, v20, vcc_lo
	v_add_co_u32 v21, s2, v21, 4
	s_delay_alu instid0(VALU_DEP_1)
	v_add_co_ci_u32_e64 v22, s2, 0, v22, s2
	s_add_u32 s6, s6, 1
	s_addc_u32 s7, s7, 0
	s_and_not1_b32 s2, s28, exec_lo
	s_waitcnt vmcnt(0)
	v_cmp_neq_f32_e32 vcc_lo, v23, v24
	s_and_b32 s28, vcc_lo, exec_lo
	s_delay_alu instid0(SALU_CYCLE_1)
	s_or_b32 s28, s2, s28
.LBB951_261:                            ;   in Loop: Header=BB951_262 Depth=1
	v_dual_mov_b32 v24, s7 :: v_dual_mov_b32 v23, s6
	s_and_b32 s2, exec_lo, s28
	s_delay_alu instid0(SALU_CYCLE_1) | instskip(NEXT) | instid1(SALU_CYCLE_1)
	s_or_b32 s27, s2, s27
	s_and_not1_b32 exec_lo, exec_lo, s27
	s_cbranch_execz .LBB951_264
.LBB951_262:                            ; =>This Inner Loop Header: Depth=1
	s_or_b32 s28, s28, exec_lo
	s_cmp_eq_u64 s[4:5], s[6:7]
	s_cbranch_scc0 .LBB951_260
; %bb.263:                              ;   in Loop: Header=BB951_262 Depth=1
	s_mov_b64 s[6:7], s[22:23]
                                        ; implicit-def: $vgpr19_vgpr20
                                        ; implicit-def: $vgpr21_vgpr22
	s_branch .LBB951_261
.LBB951_264:
	s_set_inst_prefetch_distance 0x2
	s_or_b32 exec_lo, exec_lo, s27
	v_cmp_gt_i64_e32 vcc_lo, s[22:23], v[23:24]
	s_or_not1_b32 s2, vcc_lo, exec_lo
.LBB951_265:
	s_or_b32 exec_lo, exec_lo, s26
.LBB951_266:
	s_delay_alu instid0(SALU_CYCLE_1)
	s_and_b32 s2, s2, exec_lo
	s_or_b32 s18, s18, exec_lo
.LBB951_267:
	s_or_b32 exec_lo, exec_lo, s19
	s_branch .LBB951_359
.LBB951_268:
	v_or_b32_e32 v17, 7, v39
	s_mov_b32 s19, 0
	s_mov_b32 s26, 0
	s_mov_b32 s27, exec_lo
	s_delay_alu instid0(VALU_DEP_1)
	v_cmpx_gt_u32_e64 s20, v17
	s_cbranch_execz .LBB951_279
; %bb.269:
	s_and_not1_b32 vcc_lo, exec_lo, s3
	s_mov_b32 s2, 0
	s_cbranch_vccnz .LBB951_278
; %bb.270:
	v_mul_lo_u32 v21, v2, s22
	v_mul_lo_u32 v22, v1, s23
	v_mad_u64_u32 v[17:18], null, v1, s22, 0
	v_mul_lo_u32 v23, v4, s22
	v_mul_lo_u32 v24, v3, s23
	v_mad_u64_u32 v[19:20], null, v3, s22, 0
	s_mov_b32 s2, -1
	s_mov_b32 s26, exec_lo
	s_delay_alu instid0(VALU_DEP_4) | instskip(NEXT) | instid1(VALU_DEP_2)
	v_add3_u32 v18, v18, v22, v21
	v_add3_u32 v20, v20, v24, v23
	s_delay_alu instid0(VALU_DEP_2) | instskip(NEXT) | instid1(VALU_DEP_2)
	v_lshlrev_b64 v[17:18], 2, v[17:18]
	v_lshlrev_b64 v[21:22], 2, v[19:20]
	s_delay_alu instid0(VALU_DEP_2) | instskip(NEXT) | instid1(VALU_DEP_3)
	v_add_co_u32 v19, vcc_lo, s8, v17
	v_add_co_ci_u32_e32 v20, vcc_lo, s9, v18, vcc_lo
	s_delay_alu instid0(VALU_DEP_3) | instskip(NEXT) | instid1(VALU_DEP_4)
	v_add_co_u32 v17, vcc_lo, s8, v21
	v_add_co_ci_u32_e32 v18, vcc_lo, s9, v22, vcc_lo
	s_clause 0x1
	global_load_b32 v21, v[19:20], off
	global_load_b32 v22, v[17:18], off
	s_waitcnt vmcnt(0)
	v_cmpx_eq_f32_e32 v21, v22
	s_cbranch_execz .LBB951_277
; %bb.271:
	v_add_co_u32 v17, vcc_lo, v17, 4
	v_add_co_ci_u32_e32 v18, vcc_lo, 0, v18, vcc_lo
	v_add_co_u32 v19, vcc_lo, v19, 4
	v_add_co_ci_u32_e32 v20, vcc_lo, 0, v20, vcc_lo
	s_add_u32 s4, s22, -1
	s_addc_u32 s5, s23, -1
	s_mov_b64 s[6:7], 0
	s_mov_b32 s28, 0
                                        ; implicit-def: $sgpr29
	s_set_inst_prefetch_distance 0x1
	s_branch .LBB951_274
	.p2align	6
.LBB951_272:                            ;   in Loop: Header=BB951_274 Depth=1
	global_load_b32 v21, v[19:20], off
	global_load_b32 v22, v[17:18], off
	v_add_co_u32 v17, vcc_lo, v17, 4
	v_add_co_ci_u32_e32 v18, vcc_lo, 0, v18, vcc_lo
	v_add_co_u32 v19, s2, v19, 4
	s_delay_alu instid0(VALU_DEP_1)
	v_add_co_ci_u32_e64 v20, s2, 0, v20, s2
	s_add_u32 s6, s6, 1
	s_addc_u32 s7, s7, 0
	s_and_not1_b32 s2, s29, exec_lo
	s_waitcnt vmcnt(0)
	v_cmp_neq_f32_e32 vcc_lo, v21, v22
	s_and_b32 s29, vcc_lo, exec_lo
	s_delay_alu instid0(SALU_CYCLE_1)
	s_or_b32 s29, s2, s29
.LBB951_273:                            ;   in Loop: Header=BB951_274 Depth=1
	v_dual_mov_b32 v22, s7 :: v_dual_mov_b32 v21, s6
	s_and_b32 s2, exec_lo, s29
	s_delay_alu instid0(SALU_CYCLE_1) | instskip(NEXT) | instid1(SALU_CYCLE_1)
	s_or_b32 s28, s2, s28
	s_and_not1_b32 exec_lo, exec_lo, s28
	s_cbranch_execz .LBB951_276
.LBB951_274:                            ; =>This Inner Loop Header: Depth=1
	s_or_b32 s29, s29, exec_lo
	s_cmp_eq_u64 s[4:5], s[6:7]
	s_cbranch_scc0 .LBB951_272
; %bb.275:                              ;   in Loop: Header=BB951_274 Depth=1
	s_mov_b64 s[6:7], s[22:23]
                                        ; implicit-def: $vgpr17_vgpr18
                                        ; implicit-def: $vgpr19_vgpr20
	s_branch .LBB951_273
.LBB951_276:
	s_set_inst_prefetch_distance 0x2
	s_or_b32 exec_lo, exec_lo, s28
	v_cmp_gt_i64_e32 vcc_lo, s[22:23], v[21:22]
	s_or_not1_b32 s2, vcc_lo, exec_lo
.LBB951_277:
	s_or_b32 exec_lo, exec_lo, s26
.LBB951_278:
	s_delay_alu instid0(SALU_CYCLE_1)
	s_and_b32 s26, s2, exec_lo
.LBB951_279:
	s_or_b32 exec_lo, exec_lo, s27
	v_or_b32_e32 v17, 6, v39
	s_mov_b32 s27, exec_lo
	s_delay_alu instid0(VALU_DEP_1)
	v_cmpx_gt_u32_e64 s20, v17
	s_cbranch_execz .LBB951_290
; %bb.280:
	s_and_not1_b32 vcc_lo, exec_lo, s3
	s_mov_b32 s2, 0
	s_cbranch_vccnz .LBB951_289
; %bb.281:
	v_mul_lo_u32 v21, v8, s22
	v_mul_lo_u32 v22, v7, s23
	v_mad_u64_u32 v[17:18], null, v7, s22, 0
	v_mul_lo_u32 v23, v2, s22
	v_mul_lo_u32 v24, v1, s23
	v_mad_u64_u32 v[19:20], null, v1, s22, 0
	s_mov_b32 s2, -1
	s_mov_b32 s19, exec_lo
	s_delay_alu instid0(VALU_DEP_4) | instskip(NEXT) | instid1(VALU_DEP_2)
	v_add3_u32 v18, v18, v22, v21
	v_add3_u32 v20, v20, v24, v23
	s_delay_alu instid0(VALU_DEP_2) | instskip(NEXT) | instid1(VALU_DEP_2)
	v_lshlrev_b64 v[17:18], 2, v[17:18]
	v_lshlrev_b64 v[21:22], 2, v[19:20]
	s_delay_alu instid0(VALU_DEP_2) | instskip(NEXT) | instid1(VALU_DEP_3)
	v_add_co_u32 v19, vcc_lo, s8, v17
	v_add_co_ci_u32_e32 v20, vcc_lo, s9, v18, vcc_lo
	s_delay_alu instid0(VALU_DEP_3) | instskip(NEXT) | instid1(VALU_DEP_4)
	v_add_co_u32 v17, vcc_lo, s8, v21
	v_add_co_ci_u32_e32 v18, vcc_lo, s9, v22, vcc_lo
	s_clause 0x1
	global_load_b32 v21, v[19:20], off
	global_load_b32 v22, v[17:18], off
	s_waitcnt vmcnt(0)
	v_cmpx_eq_f32_e32 v21, v22
	s_cbranch_execz .LBB951_288
; %bb.282:
	v_add_co_u32 v17, vcc_lo, v17, 4
	v_add_co_ci_u32_e32 v18, vcc_lo, 0, v18, vcc_lo
	v_add_co_u32 v19, vcc_lo, v19, 4
	v_add_co_ci_u32_e32 v20, vcc_lo, 0, v20, vcc_lo
	s_add_u32 s4, s22, -1
	s_addc_u32 s5, s23, -1
	s_mov_b64 s[6:7], 0
	s_mov_b32 s28, 0
                                        ; implicit-def: $sgpr29
	s_set_inst_prefetch_distance 0x1
	s_branch .LBB951_285
	.p2align	6
.LBB951_283:                            ;   in Loop: Header=BB951_285 Depth=1
	global_load_b32 v21, v[19:20], off
	global_load_b32 v22, v[17:18], off
	v_add_co_u32 v17, vcc_lo, v17, 4
	v_add_co_ci_u32_e32 v18, vcc_lo, 0, v18, vcc_lo
	v_add_co_u32 v19, s2, v19, 4
	s_delay_alu instid0(VALU_DEP_1)
	v_add_co_ci_u32_e64 v20, s2, 0, v20, s2
	s_add_u32 s6, s6, 1
	s_addc_u32 s7, s7, 0
	s_and_not1_b32 s2, s29, exec_lo
	s_waitcnt vmcnt(0)
	v_cmp_neq_f32_e32 vcc_lo, v21, v22
	s_and_b32 s29, vcc_lo, exec_lo
	s_delay_alu instid0(SALU_CYCLE_1)
	s_or_b32 s29, s2, s29
.LBB951_284:                            ;   in Loop: Header=BB951_285 Depth=1
	v_dual_mov_b32 v22, s7 :: v_dual_mov_b32 v21, s6
	s_and_b32 s2, exec_lo, s29
	s_delay_alu instid0(SALU_CYCLE_1) | instskip(NEXT) | instid1(SALU_CYCLE_1)
	s_or_b32 s28, s2, s28
	s_and_not1_b32 exec_lo, exec_lo, s28
	s_cbranch_execz .LBB951_287
.LBB951_285:                            ; =>This Inner Loop Header: Depth=1
	s_or_b32 s29, s29, exec_lo
	s_cmp_eq_u64 s[4:5], s[6:7]
	s_cbranch_scc0 .LBB951_283
; %bb.286:                              ;   in Loop: Header=BB951_285 Depth=1
	s_mov_b64 s[6:7], s[22:23]
                                        ; implicit-def: $vgpr17_vgpr18
                                        ; implicit-def: $vgpr19_vgpr20
	s_branch .LBB951_284
.LBB951_287:
	s_set_inst_prefetch_distance 0x2
	s_or_b32 exec_lo, exec_lo, s28
	v_cmp_gt_i64_e32 vcc_lo, s[22:23], v[21:22]
	s_or_not1_b32 s2, vcc_lo, exec_lo
.LBB951_288:
	s_or_b32 exec_lo, exec_lo, s19
.LBB951_289:
	s_delay_alu instid0(SALU_CYCLE_1)
	s_and_b32 s19, s2, exec_lo
.LBB951_290:
	s_or_b32 exec_lo, exec_lo, s27
	v_or_b32_e32 v17, 5, v39
	s_mov_b32 s27, 0
	s_mov_b32 s28, 0
	s_mov_b32 s29, exec_lo
	s_delay_alu instid0(VALU_DEP_1)
	v_cmpx_gt_u32_e64 s20, v17
	s_cbranch_execz .LBB951_301
; %bb.291:
	s_and_not1_b32 vcc_lo, exec_lo, s3
	s_mov_b32 s2, 0
	s_cbranch_vccnz .LBB951_300
; %bb.292:
	v_mul_lo_u32 v21, v6, s22
	v_mul_lo_u32 v22, v5, s23
	v_mad_u64_u32 v[17:18], null, v5, s22, 0
	v_mul_lo_u32 v23, v8, s22
	v_mul_lo_u32 v24, v7, s23
	v_mad_u64_u32 v[19:20], null, v7, s22, 0
	s_mov_b32 s2, -1
	s_mov_b32 s28, exec_lo
	s_delay_alu instid0(VALU_DEP_4) | instskip(NEXT) | instid1(VALU_DEP_2)
	v_add3_u32 v18, v18, v22, v21
	v_add3_u32 v20, v20, v24, v23
	s_delay_alu instid0(VALU_DEP_2) | instskip(NEXT) | instid1(VALU_DEP_2)
	v_lshlrev_b64 v[17:18], 2, v[17:18]
	v_lshlrev_b64 v[21:22], 2, v[19:20]
	s_delay_alu instid0(VALU_DEP_2) | instskip(NEXT) | instid1(VALU_DEP_3)
	v_add_co_u32 v19, vcc_lo, s8, v17
	v_add_co_ci_u32_e32 v20, vcc_lo, s9, v18, vcc_lo
	s_delay_alu instid0(VALU_DEP_3) | instskip(NEXT) | instid1(VALU_DEP_4)
	v_add_co_u32 v17, vcc_lo, s8, v21
	v_add_co_ci_u32_e32 v18, vcc_lo, s9, v22, vcc_lo
	s_clause 0x1
	global_load_b32 v21, v[19:20], off
	global_load_b32 v22, v[17:18], off
	s_waitcnt vmcnt(0)
	v_cmpx_eq_f32_e32 v21, v22
	s_cbranch_execz .LBB951_299
; %bb.293:
	v_add_co_u32 v17, vcc_lo, v17, 4
	v_add_co_ci_u32_e32 v18, vcc_lo, 0, v18, vcc_lo
	v_add_co_u32 v19, vcc_lo, v19, 4
	v_add_co_ci_u32_e32 v20, vcc_lo, 0, v20, vcc_lo
	s_add_u32 s4, s22, -1
	s_addc_u32 s5, s23, -1
	s_mov_b64 s[6:7], 0
	s_mov_b32 s30, 0
                                        ; implicit-def: $sgpr31
	s_set_inst_prefetch_distance 0x1
	s_branch .LBB951_296
	.p2align	6
.LBB951_294:                            ;   in Loop: Header=BB951_296 Depth=1
	global_load_b32 v21, v[19:20], off
	global_load_b32 v22, v[17:18], off
	v_add_co_u32 v17, vcc_lo, v17, 4
	v_add_co_ci_u32_e32 v18, vcc_lo, 0, v18, vcc_lo
	v_add_co_u32 v19, s2, v19, 4
	s_delay_alu instid0(VALU_DEP_1)
	v_add_co_ci_u32_e64 v20, s2, 0, v20, s2
	s_add_u32 s6, s6, 1
	s_addc_u32 s7, s7, 0
	s_and_not1_b32 s2, s31, exec_lo
	s_waitcnt vmcnt(0)
	v_cmp_neq_f32_e32 vcc_lo, v21, v22
	s_and_b32 s31, vcc_lo, exec_lo
	s_delay_alu instid0(SALU_CYCLE_1)
	s_or_b32 s31, s2, s31
.LBB951_295:                            ;   in Loop: Header=BB951_296 Depth=1
	v_dual_mov_b32 v22, s7 :: v_dual_mov_b32 v21, s6
	s_and_b32 s2, exec_lo, s31
	s_delay_alu instid0(SALU_CYCLE_1) | instskip(NEXT) | instid1(SALU_CYCLE_1)
	s_or_b32 s30, s2, s30
	s_and_not1_b32 exec_lo, exec_lo, s30
	s_cbranch_execz .LBB951_298
.LBB951_296:                            ; =>This Inner Loop Header: Depth=1
	s_or_b32 s31, s31, exec_lo
	s_cmp_eq_u64 s[4:5], s[6:7]
	s_cbranch_scc0 .LBB951_294
; %bb.297:                              ;   in Loop: Header=BB951_296 Depth=1
	s_mov_b64 s[6:7], s[22:23]
                                        ; implicit-def: $vgpr17_vgpr18
                                        ; implicit-def: $vgpr19_vgpr20
	s_branch .LBB951_295
.LBB951_298:
	s_set_inst_prefetch_distance 0x2
	s_or_b32 exec_lo, exec_lo, s30
	v_cmp_gt_i64_e32 vcc_lo, s[22:23], v[21:22]
	s_or_not1_b32 s2, vcc_lo, exec_lo
.LBB951_299:
	s_or_b32 exec_lo, exec_lo, s28
.LBB951_300:
	s_delay_alu instid0(SALU_CYCLE_1)
	s_and_b32 s28, s2, exec_lo
.LBB951_301:
	s_or_b32 exec_lo, exec_lo, s29
	v_or_b32_e32 v17, 4, v39
	s_mov_b32 s29, exec_lo
	s_delay_alu instid0(VALU_DEP_1)
	v_cmpx_gt_u32_e64 s20, v17
	s_cbranch_execz .LBB951_312
; %bb.302:
	s_and_not1_b32 vcc_lo, exec_lo, s3
	s_mov_b32 s2, 0
	s_cbranch_vccnz .LBB951_311
; %bb.303:
	v_mul_lo_u32 v21, v12, s22
	v_mul_lo_u32 v22, v11, s23
	v_mad_u64_u32 v[17:18], null, v11, s22, 0
	v_mul_lo_u32 v23, v6, s22
	v_mul_lo_u32 v24, v5, s23
	v_mad_u64_u32 v[19:20], null, v5, s22, 0
	s_mov_b32 s2, -1
	s_mov_b32 s27, exec_lo
	s_delay_alu instid0(VALU_DEP_4) | instskip(NEXT) | instid1(VALU_DEP_2)
	v_add3_u32 v18, v18, v22, v21
	v_add3_u32 v20, v20, v24, v23
	s_delay_alu instid0(VALU_DEP_2) | instskip(NEXT) | instid1(VALU_DEP_2)
	v_lshlrev_b64 v[17:18], 2, v[17:18]
	v_lshlrev_b64 v[21:22], 2, v[19:20]
	s_delay_alu instid0(VALU_DEP_2) | instskip(NEXT) | instid1(VALU_DEP_3)
	v_add_co_u32 v19, vcc_lo, s8, v17
	v_add_co_ci_u32_e32 v20, vcc_lo, s9, v18, vcc_lo
	s_delay_alu instid0(VALU_DEP_3) | instskip(NEXT) | instid1(VALU_DEP_4)
	v_add_co_u32 v17, vcc_lo, s8, v21
	v_add_co_ci_u32_e32 v18, vcc_lo, s9, v22, vcc_lo
	s_clause 0x1
	global_load_b32 v21, v[19:20], off
	global_load_b32 v22, v[17:18], off
	s_waitcnt vmcnt(0)
	v_cmpx_eq_f32_e32 v21, v22
	s_cbranch_execz .LBB951_310
; %bb.304:
	v_add_co_u32 v17, vcc_lo, v17, 4
	v_add_co_ci_u32_e32 v18, vcc_lo, 0, v18, vcc_lo
	v_add_co_u32 v19, vcc_lo, v19, 4
	v_add_co_ci_u32_e32 v20, vcc_lo, 0, v20, vcc_lo
	s_add_u32 s4, s22, -1
	s_addc_u32 s5, s23, -1
	s_mov_b64 s[6:7], 0
	s_mov_b32 s30, 0
                                        ; implicit-def: $sgpr31
	s_set_inst_prefetch_distance 0x1
	s_branch .LBB951_307
	.p2align	6
.LBB951_305:                            ;   in Loop: Header=BB951_307 Depth=1
	global_load_b32 v21, v[19:20], off
	global_load_b32 v22, v[17:18], off
	v_add_co_u32 v17, vcc_lo, v17, 4
	v_add_co_ci_u32_e32 v18, vcc_lo, 0, v18, vcc_lo
	v_add_co_u32 v19, s2, v19, 4
	s_delay_alu instid0(VALU_DEP_1)
	v_add_co_ci_u32_e64 v20, s2, 0, v20, s2
	s_add_u32 s6, s6, 1
	s_addc_u32 s7, s7, 0
	s_and_not1_b32 s2, s31, exec_lo
	s_waitcnt vmcnt(0)
	v_cmp_neq_f32_e32 vcc_lo, v21, v22
	s_and_b32 s31, vcc_lo, exec_lo
	s_delay_alu instid0(SALU_CYCLE_1)
	s_or_b32 s31, s2, s31
.LBB951_306:                            ;   in Loop: Header=BB951_307 Depth=1
	v_dual_mov_b32 v22, s7 :: v_dual_mov_b32 v21, s6
	s_and_b32 s2, exec_lo, s31
	s_delay_alu instid0(SALU_CYCLE_1) | instskip(NEXT) | instid1(SALU_CYCLE_1)
	s_or_b32 s30, s2, s30
	s_and_not1_b32 exec_lo, exec_lo, s30
	s_cbranch_execz .LBB951_309
.LBB951_307:                            ; =>This Inner Loop Header: Depth=1
	s_or_b32 s31, s31, exec_lo
	s_cmp_eq_u64 s[4:5], s[6:7]
	s_cbranch_scc0 .LBB951_305
; %bb.308:                              ;   in Loop: Header=BB951_307 Depth=1
	s_mov_b64 s[6:7], s[22:23]
                                        ; implicit-def: $vgpr17_vgpr18
                                        ; implicit-def: $vgpr19_vgpr20
	s_branch .LBB951_306
.LBB951_309:
	s_set_inst_prefetch_distance 0x2
	s_or_b32 exec_lo, exec_lo, s30
	v_cmp_gt_i64_e32 vcc_lo, s[22:23], v[21:22]
	s_or_not1_b32 s2, vcc_lo, exec_lo
.LBB951_310:
	s_or_b32 exec_lo, exec_lo, s27
.LBB951_311:
	s_delay_alu instid0(SALU_CYCLE_1)
	s_and_b32 s27, s2, exec_lo
.LBB951_312:
	s_or_b32 exec_lo, exec_lo, s29
	v_or_b32_e32 v17, 3, v39
	s_mov_b32 s30, 0
	s_mov_b32 s29, 0
	s_mov_b32 s31, exec_lo
	s_delay_alu instid0(VALU_DEP_1)
	v_cmpx_gt_u32_e64 s20, v17
	s_cbranch_execz .LBB951_323
; %bb.313:
	s_and_not1_b32 vcc_lo, exec_lo, s3
	s_mov_b32 s2, 0
	s_cbranch_vccnz .LBB951_322
; %bb.314:
	v_mul_lo_u32 v21, v10, s22
	v_mul_lo_u32 v22, v9, s23
	v_mad_u64_u32 v[17:18], null, v9, s22, 0
	v_mul_lo_u32 v23, v12, s22
	v_mul_lo_u32 v24, v11, s23
	v_mad_u64_u32 v[19:20], null, v11, s22, 0
	s_mov_b32 s2, -1
	s_mov_b32 s29, exec_lo
	s_delay_alu instid0(VALU_DEP_4) | instskip(NEXT) | instid1(VALU_DEP_2)
	v_add3_u32 v18, v18, v22, v21
	v_add3_u32 v20, v20, v24, v23
	s_delay_alu instid0(VALU_DEP_2) | instskip(NEXT) | instid1(VALU_DEP_2)
	v_lshlrev_b64 v[17:18], 2, v[17:18]
	v_lshlrev_b64 v[21:22], 2, v[19:20]
	s_delay_alu instid0(VALU_DEP_2) | instskip(NEXT) | instid1(VALU_DEP_3)
	v_add_co_u32 v19, vcc_lo, s8, v17
	v_add_co_ci_u32_e32 v20, vcc_lo, s9, v18, vcc_lo
	s_delay_alu instid0(VALU_DEP_3) | instskip(NEXT) | instid1(VALU_DEP_4)
	v_add_co_u32 v17, vcc_lo, s8, v21
	v_add_co_ci_u32_e32 v18, vcc_lo, s9, v22, vcc_lo
	s_clause 0x1
	global_load_b32 v21, v[19:20], off
	global_load_b32 v22, v[17:18], off
	s_waitcnt vmcnt(0)
	v_cmpx_eq_f32_e32 v21, v22
	s_cbranch_execz .LBB951_321
; %bb.315:
	v_add_co_u32 v17, vcc_lo, v17, 4
	v_add_co_ci_u32_e32 v18, vcc_lo, 0, v18, vcc_lo
	v_add_co_u32 v19, vcc_lo, v19, 4
	v_add_co_ci_u32_e32 v20, vcc_lo, 0, v20, vcc_lo
	s_add_u32 s4, s22, -1
	s_addc_u32 s5, s23, -1
	s_mov_b64 s[6:7], 0
	s_mov_b32 s33, 0
                                        ; implicit-def: $sgpr34
	s_set_inst_prefetch_distance 0x1
	s_branch .LBB951_318
	.p2align	6
.LBB951_316:                            ;   in Loop: Header=BB951_318 Depth=1
	global_load_b32 v21, v[19:20], off
	global_load_b32 v22, v[17:18], off
	v_add_co_u32 v17, vcc_lo, v17, 4
	v_add_co_ci_u32_e32 v18, vcc_lo, 0, v18, vcc_lo
	v_add_co_u32 v19, s2, v19, 4
	s_delay_alu instid0(VALU_DEP_1)
	v_add_co_ci_u32_e64 v20, s2, 0, v20, s2
	s_add_u32 s6, s6, 1
	s_addc_u32 s7, s7, 0
	s_and_not1_b32 s2, s34, exec_lo
	s_waitcnt vmcnt(0)
	v_cmp_neq_f32_e32 vcc_lo, v21, v22
	s_and_b32 s34, vcc_lo, exec_lo
	s_delay_alu instid0(SALU_CYCLE_1)
	s_or_b32 s34, s2, s34
.LBB951_317:                            ;   in Loop: Header=BB951_318 Depth=1
	v_dual_mov_b32 v22, s7 :: v_dual_mov_b32 v21, s6
	s_and_b32 s2, exec_lo, s34
	s_delay_alu instid0(SALU_CYCLE_1) | instskip(NEXT) | instid1(SALU_CYCLE_1)
	s_or_b32 s33, s2, s33
	s_and_not1_b32 exec_lo, exec_lo, s33
	s_cbranch_execz .LBB951_320
.LBB951_318:                            ; =>This Inner Loop Header: Depth=1
	s_or_b32 s34, s34, exec_lo
	s_cmp_eq_u64 s[4:5], s[6:7]
	s_cbranch_scc0 .LBB951_316
; %bb.319:                              ;   in Loop: Header=BB951_318 Depth=1
	s_mov_b64 s[6:7], s[22:23]
                                        ; implicit-def: $vgpr17_vgpr18
                                        ; implicit-def: $vgpr19_vgpr20
	s_branch .LBB951_317
.LBB951_320:
	s_set_inst_prefetch_distance 0x2
	s_or_b32 exec_lo, exec_lo, s33
	v_cmp_gt_i64_e32 vcc_lo, s[22:23], v[21:22]
	s_or_not1_b32 s2, vcc_lo, exec_lo
.LBB951_321:
	s_or_b32 exec_lo, exec_lo, s29
.LBB951_322:
	s_delay_alu instid0(SALU_CYCLE_1)
	s_and_b32 s29, s2, exec_lo
.LBB951_323:
	s_or_b32 exec_lo, exec_lo, s31
	v_or_b32_e32 v17, 2, v39
	s_mov_b32 s31, exec_lo
	s_delay_alu instid0(VALU_DEP_1)
	v_cmpx_gt_u32_e64 s20, v17
	s_cbranch_execz .LBB951_334
; %bb.324:
	s_and_not1_b32 vcc_lo, exec_lo, s3
	s_mov_b32 s2, 0
	s_cbranch_vccnz .LBB951_333
; %bb.325:
	v_mul_lo_u32 v21, v16, s22
	v_mul_lo_u32 v22, v15, s23
	v_mad_u64_u32 v[17:18], null, v15, s22, 0
	v_mul_lo_u32 v23, v10, s22
	v_mul_lo_u32 v24, v9, s23
	v_mad_u64_u32 v[19:20], null, v9, s22, 0
	s_mov_b32 s2, -1
	s_mov_b32 s30, exec_lo
	s_delay_alu instid0(VALU_DEP_4) | instskip(NEXT) | instid1(VALU_DEP_2)
	v_add3_u32 v18, v18, v22, v21
	v_add3_u32 v20, v20, v24, v23
	s_delay_alu instid0(VALU_DEP_2) | instskip(NEXT) | instid1(VALU_DEP_2)
	v_lshlrev_b64 v[17:18], 2, v[17:18]
	v_lshlrev_b64 v[21:22], 2, v[19:20]
	s_delay_alu instid0(VALU_DEP_2) | instskip(NEXT) | instid1(VALU_DEP_3)
	v_add_co_u32 v19, vcc_lo, s8, v17
	v_add_co_ci_u32_e32 v20, vcc_lo, s9, v18, vcc_lo
	s_delay_alu instid0(VALU_DEP_3) | instskip(NEXT) | instid1(VALU_DEP_4)
	v_add_co_u32 v17, vcc_lo, s8, v21
	v_add_co_ci_u32_e32 v18, vcc_lo, s9, v22, vcc_lo
	s_clause 0x1
	global_load_b32 v21, v[19:20], off
	global_load_b32 v22, v[17:18], off
	s_waitcnt vmcnt(0)
	v_cmpx_eq_f32_e32 v21, v22
	s_cbranch_execz .LBB951_332
; %bb.326:
	v_add_co_u32 v17, vcc_lo, v17, 4
	v_add_co_ci_u32_e32 v18, vcc_lo, 0, v18, vcc_lo
	v_add_co_u32 v19, vcc_lo, v19, 4
	v_add_co_ci_u32_e32 v20, vcc_lo, 0, v20, vcc_lo
	s_add_u32 s4, s22, -1
	s_addc_u32 s5, s23, -1
	s_mov_b64 s[6:7], 0
	s_mov_b32 s33, 0
                                        ; implicit-def: $sgpr34
	s_set_inst_prefetch_distance 0x1
	s_branch .LBB951_329
	.p2align	6
.LBB951_327:                            ;   in Loop: Header=BB951_329 Depth=1
	global_load_b32 v21, v[19:20], off
	global_load_b32 v22, v[17:18], off
	v_add_co_u32 v17, vcc_lo, v17, 4
	v_add_co_ci_u32_e32 v18, vcc_lo, 0, v18, vcc_lo
	v_add_co_u32 v19, s2, v19, 4
	s_delay_alu instid0(VALU_DEP_1)
	v_add_co_ci_u32_e64 v20, s2, 0, v20, s2
	s_add_u32 s6, s6, 1
	s_addc_u32 s7, s7, 0
	s_and_not1_b32 s2, s34, exec_lo
	s_waitcnt vmcnt(0)
	v_cmp_neq_f32_e32 vcc_lo, v21, v22
	s_and_b32 s34, vcc_lo, exec_lo
	s_delay_alu instid0(SALU_CYCLE_1)
	s_or_b32 s34, s2, s34
.LBB951_328:                            ;   in Loop: Header=BB951_329 Depth=1
	v_dual_mov_b32 v22, s7 :: v_dual_mov_b32 v21, s6
	s_and_b32 s2, exec_lo, s34
	s_delay_alu instid0(SALU_CYCLE_1) | instskip(NEXT) | instid1(SALU_CYCLE_1)
	s_or_b32 s33, s2, s33
	s_and_not1_b32 exec_lo, exec_lo, s33
	s_cbranch_execz .LBB951_331
.LBB951_329:                            ; =>This Inner Loop Header: Depth=1
	s_or_b32 s34, s34, exec_lo
	s_cmp_eq_u64 s[4:5], s[6:7]
	s_cbranch_scc0 .LBB951_327
; %bb.330:                              ;   in Loop: Header=BB951_329 Depth=1
	s_mov_b64 s[6:7], s[22:23]
                                        ; implicit-def: $vgpr17_vgpr18
                                        ; implicit-def: $vgpr19_vgpr20
	s_branch .LBB951_328
.LBB951_331:
	s_set_inst_prefetch_distance 0x2
	s_or_b32 exec_lo, exec_lo, s33
	v_cmp_gt_i64_e32 vcc_lo, s[22:23], v[21:22]
	s_or_not1_b32 s2, vcc_lo, exec_lo
.LBB951_332:
	s_or_b32 exec_lo, exec_lo, s30
.LBB951_333:
	s_delay_alu instid0(SALU_CYCLE_1)
	s_and_b32 s30, s2, exec_lo
.LBB951_334:
	s_or_b32 exec_lo, exec_lo, s31
	v_or_b32_e32 v17, 1, v39
	s_mov_b32 s2, 0
	s_mov_b32 s31, exec_lo
	s_delay_alu instid0(VALU_DEP_1)
	v_cmpx_gt_u32_e64 s20, v17
	s_cbranch_execz .LBB951_345
; %bb.335:
	s_and_not1_b32 vcc_lo, exec_lo, s3
	s_cbranch_vccnz .LBB951_344
; %bb.336:
	v_mul_lo_u32 v21, v14, s22
	v_mul_lo_u32 v22, v13, s23
	v_mad_u64_u32 v[17:18], null, v13, s22, 0
	v_mul_lo_u32 v23, v16, s22
	v_mul_lo_u32 v24, v15, s23
	v_mad_u64_u32 v[19:20], null, v15, s22, 0
	s_mov_b32 s2, -1
	s_mov_b32 s33, exec_lo
	s_delay_alu instid0(VALU_DEP_4) | instskip(NEXT) | instid1(VALU_DEP_2)
	v_add3_u32 v18, v18, v22, v21
	v_add3_u32 v20, v20, v24, v23
	s_delay_alu instid0(VALU_DEP_2) | instskip(NEXT) | instid1(VALU_DEP_2)
	v_lshlrev_b64 v[17:18], 2, v[17:18]
	v_lshlrev_b64 v[21:22], 2, v[19:20]
	s_delay_alu instid0(VALU_DEP_2) | instskip(NEXT) | instid1(VALU_DEP_3)
	v_add_co_u32 v19, vcc_lo, s8, v17
	v_add_co_ci_u32_e32 v20, vcc_lo, s9, v18, vcc_lo
	s_delay_alu instid0(VALU_DEP_3) | instskip(NEXT) | instid1(VALU_DEP_4)
	v_add_co_u32 v17, vcc_lo, s8, v21
	v_add_co_ci_u32_e32 v18, vcc_lo, s9, v22, vcc_lo
	s_clause 0x1
	global_load_b32 v21, v[19:20], off
	global_load_b32 v22, v[17:18], off
	s_waitcnt vmcnt(0)
	v_cmpx_eq_f32_e32 v21, v22
	s_cbranch_execz .LBB951_343
; %bb.337:
	v_add_co_u32 v17, vcc_lo, v17, 4
	v_add_co_ci_u32_e32 v18, vcc_lo, 0, v18, vcc_lo
	v_add_co_u32 v19, vcc_lo, v19, 4
	v_add_co_ci_u32_e32 v20, vcc_lo, 0, v20, vcc_lo
	s_add_u32 s4, s22, -1
	s_addc_u32 s5, s23, -1
	s_mov_b64 s[6:7], 0
	s_mov_b32 s34, 0
                                        ; implicit-def: $sgpr35
	s_set_inst_prefetch_distance 0x1
	s_branch .LBB951_340
	.p2align	6
.LBB951_338:                            ;   in Loop: Header=BB951_340 Depth=1
	global_load_b32 v21, v[19:20], off
	global_load_b32 v22, v[17:18], off
	v_add_co_u32 v17, vcc_lo, v17, 4
	v_add_co_ci_u32_e32 v18, vcc_lo, 0, v18, vcc_lo
	v_add_co_u32 v19, s2, v19, 4
	s_delay_alu instid0(VALU_DEP_1)
	v_add_co_ci_u32_e64 v20, s2, 0, v20, s2
	s_add_u32 s6, s6, 1
	s_addc_u32 s7, s7, 0
	s_and_not1_b32 s2, s35, exec_lo
	s_waitcnt vmcnt(0)
	v_cmp_neq_f32_e32 vcc_lo, v21, v22
	s_and_b32 s35, vcc_lo, exec_lo
	s_delay_alu instid0(SALU_CYCLE_1)
	s_or_b32 s35, s2, s35
.LBB951_339:                            ;   in Loop: Header=BB951_340 Depth=1
	v_dual_mov_b32 v22, s7 :: v_dual_mov_b32 v21, s6
	s_and_b32 s2, exec_lo, s35
	s_delay_alu instid0(SALU_CYCLE_1) | instskip(NEXT) | instid1(SALU_CYCLE_1)
	s_or_b32 s34, s2, s34
	s_and_not1_b32 exec_lo, exec_lo, s34
	s_cbranch_execz .LBB951_342
.LBB951_340:                            ; =>This Inner Loop Header: Depth=1
	s_or_b32 s35, s35, exec_lo
	s_cmp_eq_u64 s[4:5], s[6:7]
	s_cbranch_scc0 .LBB951_338
; %bb.341:                              ;   in Loop: Header=BB951_340 Depth=1
	s_mov_b64 s[6:7], s[22:23]
                                        ; implicit-def: $vgpr17_vgpr18
                                        ; implicit-def: $vgpr19_vgpr20
	s_branch .LBB951_339
.LBB951_342:
	s_set_inst_prefetch_distance 0x2
	s_or_b32 exec_lo, exec_lo, s34
	v_cmp_gt_i64_e32 vcc_lo, s[22:23], v[21:22]
	s_or_not1_b32 s2, vcc_lo, exec_lo
.LBB951_343:
	s_or_b32 exec_lo, exec_lo, s33
.LBB951_344:
	s_delay_alu instid0(SALU_CYCLE_1)
	s_and_b32 s2, s2, exec_lo
.LBB951_345:
	s_or_b32 exec_lo, exec_lo, s31
	v_cndmask_b32_e64 v18, 0, 1, s29
	v_cndmask_b32_e64 v19, 0, 1, s28
	;; [unrolled: 1-line block ×7, first 2 shown]
	v_lshlrev_b16 v19, 8, v19
	v_lshlrev_b16 v20, 8, v20
	;; [unrolled: 1-line block ×4, first 2 shown]
	s_mov_b32 s19, exec_lo
	v_or_b32_e32 v19, v22, v19
	v_or_b32_e32 v20, v23, v20
	;; [unrolled: 1-line block ×4, first 2 shown]
	s_delay_alu instid0(VALU_DEP_4) | instskip(NEXT) | instid1(VALU_DEP_4)
	v_and_b32_e32 v18, 0xffff, v19
	v_lshlrev_b32_e32 v19, 16, v20
	s_delay_alu instid0(VALU_DEP_4) | instskip(NEXT) | instid1(VALU_DEP_4)
	v_and_b32_e32 v20, 0xffff, v21
	v_lshlrev_b32_e32 v17, 16, v17
	s_barrier
	buffer_gl0_inv
	v_or_b32_e32 v18, v18, v19
                                        ; implicit-def: $sgpr2
	v_or_b32_e32 v17, v20, v17
	v_cmpx_ne_u32_e32 0, v0
	s_cbranch_execz .LBB951_358
; %bb.346:
	s_mov_b32 s2, 0
	s_mov_b32 s26, exec_lo
	v_cmpx_gt_u32_e64 s20, v39
	s_cbranch_execz .LBB951_357
; %bb.347:
	s_and_not1_b32 vcc_lo, exec_lo, s3
	s_cbranch_vccnz .LBB951_356
; %bb.348:
	v_add_nc_u32_e32 v19, -8, v39
	v_mul_lo_u32 v26, v13, s23
	v_mad_u64_u32 v[22:23], null, v13, s22, 0
	s_mov_b32 s2, -1
	ds_load_b64 v[19:20], v19
	s_mov_b32 s3, exec_lo
	s_waitcnt lgkmcnt(0)
	v_mul_lo_u32 v24, v20, s22
	v_mul_lo_u32 v25, v19, s23
	v_mad_u64_u32 v[20:21], null, v19, s22, 0
	v_mul_lo_u32 v19, v14, s22
	s_delay_alu instid0(VALU_DEP_2) | instskip(NEXT) | instid1(VALU_DEP_2)
	v_add3_u32 v21, v21, v25, v24
	v_add3_u32 v23, v23, v26, v19
	s_delay_alu instid0(VALU_DEP_2) | instskip(NEXT) | instid1(VALU_DEP_2)
	v_lshlrev_b64 v[19:20], 2, v[20:21]
	v_lshlrev_b64 v[23:24], 2, v[22:23]
	s_delay_alu instid0(VALU_DEP_2) | instskip(NEXT) | instid1(VALU_DEP_3)
	v_add_co_u32 v21, vcc_lo, s8, v19
	v_add_co_ci_u32_e32 v22, vcc_lo, s9, v20, vcc_lo
	s_delay_alu instid0(VALU_DEP_3) | instskip(NEXT) | instid1(VALU_DEP_4)
	v_add_co_u32 v19, vcc_lo, s8, v23
	v_add_co_ci_u32_e32 v20, vcc_lo, s9, v24, vcc_lo
	s_clause 0x1
	global_load_b32 v23, v[21:22], off
	global_load_b32 v24, v[19:20], off
	s_waitcnt vmcnt(0)
	v_cmpx_eq_f32_e32 v23, v24
	s_cbranch_execz .LBB951_355
; %bb.349:
	v_add_co_u32 v19, vcc_lo, v19, 4
	v_add_co_ci_u32_e32 v20, vcc_lo, 0, v20, vcc_lo
	v_add_co_u32 v21, vcc_lo, v21, 4
	v_add_co_ci_u32_e32 v22, vcc_lo, 0, v22, vcc_lo
	s_add_u32 s4, s22, -1
	s_addc_u32 s5, s23, -1
	s_mov_b64 s[6:7], 0
	s_mov_b32 s8, 0
                                        ; implicit-def: $sgpr9
	s_set_inst_prefetch_distance 0x1
	s_branch .LBB951_352
	.p2align	6
.LBB951_350:                            ;   in Loop: Header=BB951_352 Depth=1
	global_load_b32 v23, v[21:22], off
	global_load_b32 v24, v[19:20], off
	v_add_co_u32 v19, vcc_lo, v19, 4
	v_add_co_ci_u32_e32 v20, vcc_lo, 0, v20, vcc_lo
	v_add_co_u32 v21, s2, v21, 4
	s_delay_alu instid0(VALU_DEP_1)
	v_add_co_ci_u32_e64 v22, s2, 0, v22, s2
	s_add_u32 s6, s6, 1
	s_addc_u32 s7, s7, 0
	s_and_not1_b32 s2, s9, exec_lo
	s_waitcnt vmcnt(0)
	v_cmp_neq_f32_e32 vcc_lo, v23, v24
	s_and_b32 s9, vcc_lo, exec_lo
	s_delay_alu instid0(SALU_CYCLE_1)
	s_or_b32 s9, s2, s9
.LBB951_351:                            ;   in Loop: Header=BB951_352 Depth=1
	v_dual_mov_b32 v24, s7 :: v_dual_mov_b32 v23, s6
	s_and_b32 s2, exec_lo, s9
	s_delay_alu instid0(SALU_CYCLE_1) | instskip(NEXT) | instid1(SALU_CYCLE_1)
	s_or_b32 s8, s2, s8
	s_and_not1_b32 exec_lo, exec_lo, s8
	s_cbranch_execz .LBB951_354
.LBB951_352:                            ; =>This Inner Loop Header: Depth=1
	s_or_b32 s9, s9, exec_lo
	s_cmp_eq_u64 s[4:5], s[6:7]
	s_cbranch_scc0 .LBB951_350
; %bb.353:                              ;   in Loop: Header=BB951_352 Depth=1
	s_mov_b64 s[6:7], s[22:23]
                                        ; implicit-def: $vgpr19_vgpr20
                                        ; implicit-def: $vgpr21_vgpr22
	s_branch .LBB951_351
.LBB951_354:
	s_set_inst_prefetch_distance 0x2
	s_or_b32 exec_lo, exec_lo, s8
	v_cmp_gt_i64_e32 vcc_lo, s[22:23], v[23:24]
	s_or_not1_b32 s2, vcc_lo, exec_lo
.LBB951_355:
	s_or_b32 exec_lo, exec_lo, s3
.LBB951_356:
	s_delay_alu instid0(SALU_CYCLE_1)
	s_and_b32 s2, s2, exec_lo
.LBB951_357:
	s_or_b32 exec_lo, exec_lo, s26
	s_delay_alu instid0(SALU_CYCLE_1)
	s_and_b32 s2, s2, exec_lo
	s_or_b32 s18, s18, exec_lo
.LBB951_358:
	s_or_b32 exec_lo, exec_lo, s19
.LBB951_359:
	s_and_saveexec_b32 s3, s18
	s_cbranch_execz .LBB951_361
; %bb.360:
	s_waitcnt lgkmcnt(0)
	v_and_b32_e32 v19, 0xffffff00, v17
	v_cndmask_b32_e64 v20, 0, 1, s2
	s_delay_alu instid0(VALU_DEP_1) | instskip(NEXT) | instid1(VALU_DEP_1)
	v_or_b32_e32 v19, v20, v19
	v_and_b32_e32 v19, 0xffff, v19
	s_delay_alu instid0(VALU_DEP_1)
	v_and_or_b32 v17, 0xffff0000, v17, v19
.LBB951_361:
	s_or_b32 exec_lo, exec_lo, s3
	s_delay_alu instid0(SALU_CYCLE_1)
	s_and_not1_b32 vcc_lo, exec_lo, s24
	s_cbranch_vccnz .LBB951_363
; %bb.362:
	v_cmp_gt_u32_e32 vcc_lo, s20, v39
	s_waitcnt lgkmcnt(0)
	v_or_b32_e32 v20, 1, v39
	v_and_b32_e32 v21, 0xffffff00, v18
	v_or_b32_e32 v22, 2, v39
	v_cndmask_b32_e32 v19, 0, v17, vcc_lo
	s_delay_alu instid0(VALU_DEP_4) | instskip(SKIP_1) | instid1(VALU_DEP_4)
	v_cmp_gt_u32_e32 vcc_lo, s20, v20
	v_or_b32_e32 v20, 4, v39
	v_cmp_gt_u32_e64 s2, s20, v22
	v_or_b32_e32 v22, 3, v39
	v_and_b32_e32 v19, 0xff, v19
	s_delay_alu instid0(VALU_DEP_2) | instskip(NEXT) | instid1(VALU_DEP_2)
	v_cmp_gt_u32_e64 s3, s20, v22
	v_cndmask_b32_e32 v19, v19, v17, vcc_lo
	v_cmp_gt_u32_e32 vcc_lo, s20, v20
	v_cndmask_b32_e32 v20, v21, v18, vcc_lo
	v_or_b32_e32 v21, 5, v39
	s_delay_alu instid0(VALU_DEP_2) | instskip(SKIP_1) | instid1(VALU_DEP_1)
	v_and_b32_e32 v20, 0xffff00ff, v20
	v_and_b32_e32 v19, 0xffff, v19
	v_cndmask_b32_e64 v19, v19, v17, s2
	s_delay_alu instid0(VALU_DEP_4) | instskip(SKIP_1) | instid1(VALU_DEP_3)
	v_cmp_gt_u32_e64 s2, s20, v21
	v_or_b32_e32 v21, 6, v39
	v_and_b32_e32 v19, 0xffffff, v19
	s_delay_alu instid0(VALU_DEP_3) | instskip(NEXT) | instid1(VALU_DEP_2)
	v_cndmask_b32_e64 v20, v20, v18, s2
	v_cndmask_b32_e64 v19, v19, v17, s3
	s_delay_alu instid0(VALU_DEP_1) | instskip(SKIP_2) | instid1(VALU_DEP_3)
	v_dual_cndmask_b32 v19, v19, v17 :: v_dual_and_b32 v20, 0xff00ffff, v20
	v_cmp_gt_u32_e32 vcc_lo, s20, v21
	v_or_b32_e32 v21, 7, v39
	v_cndmask_b32_e64 v19, v19, v17, s2
	s_delay_alu instid0(VALU_DEP_1) | instskip(NEXT) | instid1(VALU_DEP_1)
	v_dual_cndmask_b32 v20, v20, v18 :: v_dual_cndmask_b32 v19, v19, v17
	v_and_b32_e32 v20, 0xffffff, v20
	s_delay_alu instid0(VALU_DEP_4) | instskip(NEXT) | instid1(VALU_DEP_2)
	v_cmp_gt_u32_e32 vcc_lo, s20, v21
	v_dual_cndmask_b32 v18, v20, v18 :: v_dual_cndmask_b32 v17, v19, v17
.LBB951_363:
	s_delay_alu instid0(VALU_DEP_1) | instskip(SKIP_1) | instid1(VALU_DEP_2)
	v_and_b32_e32 v26, 0xff, v17
	s_waitcnt lgkmcnt(0)
	v_alignbit_b32 v19, v18, v17, 24
	v_bfe_u32 v28, v17, 8, 8
	v_bfe_u32 v30, v17, 16, 8
	v_and_b32_e32 v34, 0xff, v18
	v_bfe_u32 v36, v18, 8, 8
	v_and_b32_e32 v32, 0xff, v19
	v_add_nc_u32_e32 v19, v28, v26
	v_mbcnt_lo_u32_b32 v41, -1, 0
	v_bfe_u32 v38, v18, 16, 8
	v_lshrrev_b32_e32 v40, 24, v18
	v_lshrrev_b32_e32 v42, 5, v0
	v_add3_u32 v19, v19, v30, v32
	v_and_b32_e32 v20, 15, v41
	v_and_b32_e32 v21, 16, v41
	s_and_b32 vcc_lo, exec_lo, s25
	s_mov_b32 s18, -1
	v_add3_u32 v19, v19, v34, v36
	v_cmp_eq_u32_e64 s4, 0, v20
	v_cmp_lt_u32_e64 s2, 1, v20
	v_cmp_lt_u32_e64 s5, 3, v20
	;; [unrolled: 1-line block ×3, first 2 shown]
	v_add3_u32 v43, v19, v38, v40
	v_or_b32_e32 v19, 31, v0
	v_cmp_eq_u32_e64 s7, 0, v21
	s_barrier
	buffer_gl0_inv
	v_cmp_eq_u32_e64 s6, v19, v0
	s_cbranch_vccz .LBB951_394
; %bb.364:
	v_mov_b32_dpp v19, v43 row_shr:1 row_mask:0xf bank_mask:0xf
	s_delay_alu instid0(VALU_DEP_1) | instskip(NEXT) | instid1(VALU_DEP_1)
	v_cndmask_b32_e64 v19, v19, 0, s4
	v_add_nc_u32_e32 v19, v19, v43
	s_delay_alu instid0(VALU_DEP_1) | instskip(NEXT) | instid1(VALU_DEP_1)
	v_mov_b32_dpp v20, v19 row_shr:2 row_mask:0xf bank_mask:0xf
	v_cndmask_b32_e64 v20, 0, v20, s2
	s_delay_alu instid0(VALU_DEP_1) | instskip(NEXT) | instid1(VALU_DEP_1)
	v_add_nc_u32_e32 v19, v19, v20
	v_mov_b32_dpp v20, v19 row_shr:4 row_mask:0xf bank_mask:0xf
	s_delay_alu instid0(VALU_DEP_1) | instskip(NEXT) | instid1(VALU_DEP_1)
	v_cndmask_b32_e64 v20, 0, v20, s5
	v_add_nc_u32_e32 v19, v19, v20
	s_delay_alu instid0(VALU_DEP_1) | instskip(NEXT) | instid1(VALU_DEP_1)
	v_mov_b32_dpp v20, v19 row_shr:8 row_mask:0xf bank_mask:0xf
	v_cndmask_b32_e64 v20, 0, v20, s3
	s_delay_alu instid0(VALU_DEP_1) | instskip(SKIP_3) | instid1(VALU_DEP_1)
	v_add_nc_u32_e32 v19, v19, v20
	ds_swizzle_b32 v20, v19 offset:swizzle(BROADCAST,32,15)
	s_waitcnt lgkmcnt(0)
	v_cndmask_b32_e64 v20, v20, 0, s7
	v_add_nc_u32_e32 v19, v19, v20
	s_and_saveexec_b32 s8, s6
	s_cbranch_execz .LBB951_366
; %bb.365:
	v_lshlrev_b32_e32 v20, 2, v42
	ds_store_b32 v20, v19
.LBB951_366:
	s_or_b32 exec_lo, exec_lo, s8
	s_delay_alu instid0(SALU_CYCLE_1)
	s_mov_b32 s8, exec_lo
	s_waitcnt lgkmcnt(0)
	s_barrier
	buffer_gl0_inv
	v_cmpx_gt_u32_e32 16, v0
	s_cbranch_execz .LBB951_368
; %bb.367:
	v_lshlrev_b32_e32 v20, 2, v0
	ds_load_b32 v21, v20
	s_waitcnt lgkmcnt(0)
	v_mov_b32_dpp v22, v21 row_shr:1 row_mask:0xf bank_mask:0xf
	s_delay_alu instid0(VALU_DEP_1) | instskip(NEXT) | instid1(VALU_DEP_1)
	v_cndmask_b32_e64 v22, v22, 0, s4
	v_add_nc_u32_e32 v21, v22, v21
	s_delay_alu instid0(VALU_DEP_1) | instskip(NEXT) | instid1(VALU_DEP_1)
	v_mov_b32_dpp v22, v21 row_shr:2 row_mask:0xf bank_mask:0xf
	v_cndmask_b32_e64 v22, 0, v22, s2
	s_delay_alu instid0(VALU_DEP_1) | instskip(NEXT) | instid1(VALU_DEP_1)
	v_add_nc_u32_e32 v21, v21, v22
	v_mov_b32_dpp v22, v21 row_shr:4 row_mask:0xf bank_mask:0xf
	s_delay_alu instid0(VALU_DEP_1) | instskip(NEXT) | instid1(VALU_DEP_1)
	v_cndmask_b32_e64 v22, 0, v22, s5
	v_add_nc_u32_e32 v21, v21, v22
	s_delay_alu instid0(VALU_DEP_1) | instskip(NEXT) | instid1(VALU_DEP_1)
	v_mov_b32_dpp v22, v21 row_shr:8 row_mask:0xf bank_mask:0xf
	v_cndmask_b32_e64 v22, 0, v22, s3
	s_delay_alu instid0(VALU_DEP_1)
	v_add_nc_u32_e32 v21, v21, v22
	ds_store_b32 v20, v21
.LBB951_368:
	s_or_b32 exec_lo, exec_lo, s8
	v_cmp_gt_u32_e32 vcc_lo, 32, v0
	s_mov_b32 s9, exec_lo
	s_waitcnt lgkmcnt(0)
	s_barrier
	buffer_gl0_inv
                                        ; implicit-def: $vgpr27
	v_cmpx_lt_u32_e32 31, v0
	s_cbranch_execz .LBB951_370
; %bb.369:
	v_lshl_add_u32 v20, v42, 2, -4
	ds_load_b32 v27, v20
	s_waitcnt lgkmcnt(0)
	v_add_nc_u32_e32 v19, v27, v19
.LBB951_370:
	s_or_b32 exec_lo, exec_lo, s9
	v_add_nc_u32_e32 v20, -1, v41
	s_delay_alu instid0(VALU_DEP_1) | instskip(NEXT) | instid1(VALU_DEP_1)
	v_cmp_gt_i32_e64 s8, 0, v20
	v_cndmask_b32_e64 v20, v20, v41, s8
	v_cmp_eq_u32_e64 s8, 0, v41
	s_delay_alu instid0(VALU_DEP_2)
	v_lshlrev_b32_e32 v20, 2, v20
	ds_bpermute_b32 v29, v20, v19
	s_and_saveexec_b32 s9, vcc_lo
	s_cbranch_execz .LBB951_393
; %bb.371:
	v_mov_b32_e32 v22, 0
	ds_load_b32 v19, v22 offset:60
	s_and_saveexec_b32 s18, s8
	s_cbranch_execz .LBB951_373
; %bb.372:
	s_add_i32 s22, s15, 32
	s_mov_b32 s23, 0
	v_mov_b32_e32 v20, 1
	s_lshl_b64 s[22:23], s[22:23], 3
	s_delay_alu instid0(SALU_CYCLE_1)
	s_add_u32 s22, s10, s22
	s_addc_u32 s23, s11, s23
	s_waitcnt lgkmcnt(0)
	global_store_b64 v22, v[19:20], s[22:23]
.LBB951_373:
	s_or_b32 exec_lo, exec_lo, s18
	v_xad_u32 v20, v41, -1, s15
	s_mov_b32 s19, 0
	s_mov_b32 s18, exec_lo
	s_delay_alu instid0(VALU_DEP_1) | instskip(NEXT) | instid1(VALU_DEP_1)
	v_add_nc_u32_e32 v21, 32, v20
	v_lshlrev_b64 v[21:22], 3, v[21:22]
	s_delay_alu instid0(VALU_DEP_1) | instskip(NEXT) | instid1(VALU_DEP_2)
	v_add_co_u32 v24, vcc_lo, s10, v21
	v_add_co_ci_u32_e32 v25, vcc_lo, s11, v22, vcc_lo
	global_load_b64 v[22:23], v[24:25], off glc
	s_waitcnt vmcnt(0)
	v_and_b32_e32 v21, 0xff, v23
	s_delay_alu instid0(VALU_DEP_1)
	v_cmpx_eq_u16_e32 0, v21
	s_cbranch_execz .LBB951_379
; %bb.374:
	s_mov_b32 s20, 1
	.p2align	6
.LBB951_375:                            ; =>This Loop Header: Depth=1
                                        ;     Child Loop BB951_376 Depth 2
	s_delay_alu instid0(SALU_CYCLE_1)
	s_max_u32 s22, s20, 1
.LBB951_376:                            ;   Parent Loop BB951_375 Depth=1
                                        ; =>  This Inner Loop Header: Depth=2
	s_delay_alu instid0(SALU_CYCLE_1)
	s_add_i32 s22, s22, -1
	s_sleep 1
	s_cmp_eq_u32 s22, 0
	s_cbranch_scc0 .LBB951_376
; %bb.377:                              ;   in Loop: Header=BB951_375 Depth=1
	global_load_b64 v[22:23], v[24:25], off glc
	s_cmp_lt_u32 s20, 32
	s_cselect_b32 s22, -1, 0
	s_delay_alu instid0(SALU_CYCLE_1) | instskip(SKIP_3) | instid1(VALU_DEP_1)
	s_cmp_lg_u32 s22, 0
	s_addc_u32 s20, s20, 0
	s_waitcnt vmcnt(0)
	v_and_b32_e32 v21, 0xff, v23
	v_cmp_ne_u16_e32 vcc_lo, 0, v21
	s_or_b32 s19, vcc_lo, s19
	s_delay_alu instid0(SALU_CYCLE_1)
	s_and_not1_b32 exec_lo, exec_lo, s19
	s_cbranch_execnz .LBB951_375
; %bb.378:
	s_or_b32 exec_lo, exec_lo, s19
.LBB951_379:
	s_delay_alu instid0(SALU_CYCLE_1)
	s_or_b32 exec_lo, exec_lo, s18
	v_cmp_ne_u32_e32 vcc_lo, 31, v41
	v_lshlrev_b32_e64 v33, v41, -1
	v_add_nc_u32_e32 v37, 2, v41
	v_add_nc_u32_e32 v46, 4, v41
	;; [unrolled: 1-line block ×3, first 2 shown]
	v_add_co_ci_u32_e32 v21, vcc_lo, 0, v41, vcc_lo
	v_add_nc_u32_e32 v50, 16, v41
	s_delay_alu instid0(VALU_DEP_2)
	v_lshlrev_b32_e32 v31, 2, v21
	v_and_b32_e32 v21, 0xff, v23
	ds_bpermute_b32 v24, v31, v22
	v_cmp_eq_u16_e32 vcc_lo, 2, v21
	v_and_or_b32 v21, vcc_lo, v33, 0x80000000
	v_cmp_gt_u32_e32 vcc_lo, 30, v41
	s_delay_alu instid0(VALU_DEP_2) | instskip(SKIP_1) | instid1(VALU_DEP_2)
	v_ctz_i32_b32_e32 v21, v21
	v_cndmask_b32_e64 v25, 0, 1, vcc_lo
	v_cmp_lt_u32_e32 vcc_lo, v41, v21
	s_waitcnt lgkmcnt(0)
	s_delay_alu instid0(VALU_DEP_2) | instskip(NEXT) | instid1(VALU_DEP_1)
	v_dual_cndmask_b32 v24, 0, v24 :: v_dual_lshlrev_b32 v25, 1, v25
	v_add_lshl_u32 v35, v25, v41, 2
	v_cmp_gt_u32_e32 vcc_lo, 28, v41
	s_delay_alu instid0(VALU_DEP_3) | instskip(SKIP_4) | instid1(VALU_DEP_1)
	v_add_nc_u32_e32 v22, v24, v22
	v_cndmask_b32_e64 v25, 0, 1, vcc_lo
	v_cmp_le_u32_e32 vcc_lo, v37, v21
	ds_bpermute_b32 v24, v35, v22
	v_lshlrev_b32_e32 v25, 2, v25
	v_add_lshl_u32 v44, v25, v41, 2
	s_waitcnt lgkmcnt(0)
	v_cndmask_b32_e32 v24, 0, v24, vcc_lo
	v_cmp_gt_u32_e32 vcc_lo, 24, v41
	s_delay_alu instid0(VALU_DEP_2) | instskip(SKIP_4) | instid1(VALU_DEP_1)
	v_add_nc_u32_e32 v22, v22, v24
	v_cndmask_b32_e64 v25, 0, 1, vcc_lo
	v_cmp_le_u32_e32 vcc_lo, v46, v21
	ds_bpermute_b32 v24, v44, v22
	v_lshlrev_b32_e32 v25, 3, v25
	v_add_lshl_u32 v47, v25, v41, 2
	s_waitcnt lgkmcnt(0)
	v_cndmask_b32_e32 v24, 0, v24, vcc_lo
	v_cmp_gt_u32_e32 vcc_lo, 16, v41
	s_delay_alu instid0(VALU_DEP_2) | instskip(SKIP_4) | instid1(VALU_DEP_1)
	v_add_nc_u32_e32 v22, v22, v24
	v_cndmask_b32_e64 v25, 0, 1, vcc_lo
	v_cmp_le_u32_e32 vcc_lo, v48, v21
	ds_bpermute_b32 v24, v47, v22
	v_lshlrev_b32_e32 v25, 4, v25
	v_add_lshl_u32 v49, v25, v41, 2
	s_waitcnt lgkmcnt(0)
	v_cndmask_b32_e32 v24, 0, v24, vcc_lo
	v_cmp_le_u32_e32 vcc_lo, v50, v21
	s_delay_alu instid0(VALU_DEP_2) | instskip(SKIP_3) | instid1(VALU_DEP_1)
	v_add_nc_u32_e32 v22, v22, v24
	ds_bpermute_b32 v24, v49, v22
	s_waitcnt lgkmcnt(0)
	v_cndmask_b32_e32 v21, 0, v24, vcc_lo
	v_dual_mov_b32 v21, 0 :: v_dual_add_nc_u32 v22, v22, v21
	s_branch .LBB951_381
.LBB951_380:                            ;   in Loop: Header=BB951_381 Depth=1
	s_or_b32 exec_lo, exec_lo, s18
	ds_bpermute_b32 v25, v31, v22
	v_and_b32_e32 v24, 0xff, v23
	v_subrev_nc_u32_e32 v20, 32, v20
	s_delay_alu instid0(VALU_DEP_2) | instskip(SKIP_1) | instid1(VALU_DEP_1)
	v_cmp_eq_u16_e32 vcc_lo, 2, v24
	v_and_or_b32 v24, vcc_lo, v33, 0x80000000
	v_ctz_i32_b32_e32 v24, v24
	s_delay_alu instid0(VALU_DEP_1) | instskip(SKIP_3) | instid1(VALU_DEP_2)
	v_cmp_lt_u32_e32 vcc_lo, v41, v24
	s_waitcnt lgkmcnt(0)
	v_cndmask_b32_e32 v25, 0, v25, vcc_lo
	v_cmp_le_u32_e32 vcc_lo, v37, v24
	v_add_nc_u32_e32 v22, v25, v22
	ds_bpermute_b32 v25, v35, v22
	s_waitcnt lgkmcnt(0)
	v_cndmask_b32_e32 v25, 0, v25, vcc_lo
	v_cmp_le_u32_e32 vcc_lo, v46, v24
	s_delay_alu instid0(VALU_DEP_2) | instskip(SKIP_4) | instid1(VALU_DEP_2)
	v_add_nc_u32_e32 v22, v22, v25
	ds_bpermute_b32 v25, v44, v22
	s_waitcnt lgkmcnt(0)
	v_cndmask_b32_e32 v25, 0, v25, vcc_lo
	v_cmp_le_u32_e32 vcc_lo, v48, v24
	v_add_nc_u32_e32 v22, v22, v25
	ds_bpermute_b32 v25, v47, v22
	s_waitcnt lgkmcnt(0)
	v_cndmask_b32_e32 v25, 0, v25, vcc_lo
	v_cmp_le_u32_e32 vcc_lo, v50, v24
	s_delay_alu instid0(VALU_DEP_2) | instskip(SKIP_3) | instid1(VALU_DEP_1)
	v_add_nc_u32_e32 v22, v22, v25
	ds_bpermute_b32 v25, v49, v22
	s_waitcnt lgkmcnt(0)
	v_cndmask_b32_e32 v24, 0, v25, vcc_lo
	v_add3_u32 v22, v24, v45, v22
.LBB951_381:                            ; =>This Loop Header: Depth=1
                                        ;     Child Loop BB951_384 Depth 2
                                        ;       Child Loop BB951_385 Depth 3
	v_and_b32_e32 v23, 0xff, v23
	s_delay_alu instid0(VALU_DEP_2) | instskip(NEXT) | instid1(VALU_DEP_2)
	v_mov_b32_e32 v45, v22
	v_cmp_ne_u16_e32 vcc_lo, 2, v23
	v_cndmask_b32_e64 v23, 0, 1, vcc_lo
	;;#ASMSTART
	;;#ASMEND
	s_delay_alu instid0(VALU_DEP_1)
	v_cmp_ne_u32_e32 vcc_lo, 0, v23
	s_cmp_lg_u32 vcc_lo, exec_lo
	s_cbranch_scc1 .LBB951_388
; %bb.382:                              ;   in Loop: Header=BB951_381 Depth=1
	v_lshlrev_b64 v[22:23], 3, v[20:21]
	s_mov_b32 s18, exec_lo
	s_delay_alu instid0(VALU_DEP_1) | instskip(NEXT) | instid1(VALU_DEP_2)
	v_add_co_u32 v24, vcc_lo, s10, v22
	v_add_co_ci_u32_e32 v25, vcc_lo, s11, v23, vcc_lo
	global_load_b64 v[22:23], v[24:25], off glc
	s_waitcnt vmcnt(0)
	v_and_b32_e32 v51, 0xff, v23
	s_delay_alu instid0(VALU_DEP_1)
	v_cmpx_eq_u16_e32 0, v51
	s_cbranch_execz .LBB951_380
; %bb.383:                              ;   in Loop: Header=BB951_381 Depth=1
	s_mov_b32 s20, 1
	s_mov_b32 s19, 0
	.p2align	6
.LBB951_384:                            ;   Parent Loop BB951_381 Depth=1
                                        ; =>  This Loop Header: Depth=2
                                        ;       Child Loop BB951_385 Depth 3
	s_max_u32 s22, s20, 1
.LBB951_385:                            ;   Parent Loop BB951_381 Depth=1
                                        ;     Parent Loop BB951_384 Depth=2
                                        ; =>    This Inner Loop Header: Depth=3
	s_delay_alu instid0(SALU_CYCLE_1)
	s_add_i32 s22, s22, -1
	s_sleep 1
	s_cmp_eq_u32 s22, 0
	s_cbranch_scc0 .LBB951_385
; %bb.386:                              ;   in Loop: Header=BB951_384 Depth=2
	global_load_b64 v[22:23], v[24:25], off glc
	s_cmp_lt_u32 s20, 32
	s_cselect_b32 s22, -1, 0
	s_delay_alu instid0(SALU_CYCLE_1) | instskip(SKIP_3) | instid1(VALU_DEP_1)
	s_cmp_lg_u32 s22, 0
	s_addc_u32 s20, s20, 0
	s_waitcnt vmcnt(0)
	v_and_b32_e32 v51, 0xff, v23
	v_cmp_ne_u16_e32 vcc_lo, 0, v51
	s_or_b32 s19, vcc_lo, s19
	s_delay_alu instid0(SALU_CYCLE_1)
	s_and_not1_b32 exec_lo, exec_lo, s19
	s_cbranch_execnz .LBB951_384
; %bb.387:                              ;   in Loop: Header=BB951_381 Depth=1
	s_or_b32 exec_lo, exec_lo, s19
	s_branch .LBB951_380
.LBB951_388:                            ;   in Loop: Header=BB951_381 Depth=1
                                        ; implicit-def: $vgpr22
                                        ; implicit-def: $vgpr23
	s_cbranch_execz .LBB951_381
; %bb.389:
	s_and_saveexec_b32 s18, s8
	s_cbranch_execz .LBB951_391
; %bb.390:
	s_add_i32 s22, s15, 32
	s_mov_b32 s23, 0
	v_dual_mov_b32 v21, 2 :: v_dual_add_nc_u32 v20, v45, v19
	s_lshl_b64 s[22:23], s[22:23], 3
	v_mov_b32_e32 v22, 0
	v_add_nc_u32_e64 v23, 0x8400, 0
	s_add_u32 s22, s10, s22
	s_addc_u32 s23, s11, s23
	global_store_b64 v22, v[20:21], s[22:23]
	ds_store_2addr_b32 v23, v19, v45 offset1:2
.LBB951_391:
	s_or_b32 exec_lo, exec_lo, s18
	v_cmp_eq_u32_e32 vcc_lo, 0, v0
	s_and_b32 exec_lo, exec_lo, vcc_lo
	s_cbranch_execz .LBB951_393
; %bb.392:
	v_mov_b32_e32 v19, 0
	ds_store_b32 v19, v45 offset:60
.LBB951_393:
	s_or_b32 exec_lo, exec_lo, s9
	s_waitcnt lgkmcnt(0)
	v_cndmask_b32_e64 v20, v29, v27, s8
	v_cmp_ne_u32_e32 vcc_lo, 0, v0
	v_mov_b32_e32 v19, 0
	s_waitcnt_vscnt null, 0x0
	s_barrier
	buffer_gl0_inv
	v_cndmask_b32_e32 v20, 0, v20, vcc_lo
	ds_load_b32 v19, v19 offset:60
	s_waitcnt lgkmcnt(0)
	s_barrier
	buffer_gl0_inv
	v_add_nc_u32_e32 v37, v19, v20
	v_add_nc_u32_e64 v19, 0x8400, 0
	s_delay_alu instid0(VALU_DEP_2) | instskip(SKIP_2) | instid1(VALU_DEP_1)
	v_add_nc_u32_e32 v35, v37, v26
	ds_load_2addr_b32 v[19:20], v19 offset1:2
	v_add_nc_u32_e32 v33, v35, v28
	v_add_nc_u32_e32 v31, v33, v30
	s_delay_alu instid0(VALU_DEP_1) | instskip(NEXT) | instid1(VALU_DEP_1)
	v_add_nc_u32_e32 v29, v31, v32
	v_add_nc_u32_e32 v27, v29, v34
	s_delay_alu instid0(VALU_DEP_1) | instskip(NEXT) | instid1(VALU_DEP_1)
	v_add_nc_u32_e32 v25, v27, v36
	v_add_nc_u32_e32 v23, v25, v38
	s_load_b64 s[8:9], s[0:1], 0x28
	v_lshrrev_b64 v[21:22], 24, v[17:18]
	s_branch .LBB951_404
.LBB951_394:
                                        ; implicit-def: $vgpr23
                                        ; implicit-def: $vgpr25
                                        ; implicit-def: $vgpr27
                                        ; implicit-def: $vgpr29
                                        ; implicit-def: $vgpr31
                                        ; implicit-def: $vgpr33
                                        ; implicit-def: $vgpr35
                                        ; implicit-def: $vgpr37
                                        ; implicit-def: $vgpr20
	s_load_b64 s[8:9], s[0:1], 0x28
	v_lshrrev_b64 v[21:22], 24, v[17:18]
	s_and_b32 vcc_lo, exec_lo, s18
	s_cbranch_vccz .LBB951_404
; %bb.395:
	s_waitcnt lgkmcnt(0)
	v_mov_b32_dpp v19, v43 row_shr:1 row_mask:0xf bank_mask:0xf
	s_delay_alu instid0(VALU_DEP_1) | instskip(NEXT) | instid1(VALU_DEP_1)
	v_cndmask_b32_e64 v19, v19, 0, s4
	v_add_nc_u32_e32 v19, v19, v43
	s_delay_alu instid0(VALU_DEP_1) | instskip(NEXT) | instid1(VALU_DEP_1)
	v_mov_b32_dpp v20, v19 row_shr:2 row_mask:0xf bank_mask:0xf
	v_cndmask_b32_e64 v20, 0, v20, s2
	s_delay_alu instid0(VALU_DEP_1) | instskip(NEXT) | instid1(VALU_DEP_1)
	v_add_nc_u32_e32 v19, v19, v20
	v_mov_b32_dpp v20, v19 row_shr:4 row_mask:0xf bank_mask:0xf
	s_delay_alu instid0(VALU_DEP_1) | instskip(NEXT) | instid1(VALU_DEP_1)
	v_cndmask_b32_e64 v20, 0, v20, s5
	v_add_nc_u32_e32 v19, v19, v20
	s_delay_alu instid0(VALU_DEP_1) | instskip(NEXT) | instid1(VALU_DEP_1)
	v_mov_b32_dpp v20, v19 row_shr:8 row_mask:0xf bank_mask:0xf
	v_cndmask_b32_e64 v20, 0, v20, s3
	s_delay_alu instid0(VALU_DEP_1) | instskip(SKIP_3) | instid1(VALU_DEP_1)
	v_add_nc_u32_e32 v19, v19, v20
	ds_swizzle_b32 v20, v19 offset:swizzle(BROADCAST,32,15)
	s_waitcnt lgkmcnt(0)
	v_cndmask_b32_e64 v20, v20, 0, s7
	v_add_nc_u32_e32 v19, v19, v20
	s_and_saveexec_b32 s0, s6
	s_cbranch_execz .LBB951_397
; %bb.396:
	v_lshlrev_b32_e32 v20, 2, v42
	ds_store_b32 v20, v19
.LBB951_397:
	s_or_b32 exec_lo, exec_lo, s0
	s_delay_alu instid0(SALU_CYCLE_1)
	s_mov_b32 s0, exec_lo
	s_waitcnt lgkmcnt(0)
	s_barrier
	buffer_gl0_inv
	v_cmpx_gt_u32_e32 16, v0
	s_cbranch_execz .LBB951_399
; %bb.398:
	v_lshlrev_b32_e32 v20, 2, v0
	ds_load_b32 v22, v20
	s_waitcnt lgkmcnt(0)
	v_mov_b32_dpp v23, v22 row_shr:1 row_mask:0xf bank_mask:0xf
	s_delay_alu instid0(VALU_DEP_1) | instskip(NEXT) | instid1(VALU_DEP_1)
	v_cndmask_b32_e64 v23, v23, 0, s4
	v_add_nc_u32_e32 v22, v23, v22
	s_delay_alu instid0(VALU_DEP_1) | instskip(NEXT) | instid1(VALU_DEP_1)
	v_mov_b32_dpp v23, v22 row_shr:2 row_mask:0xf bank_mask:0xf
	v_cndmask_b32_e64 v23, 0, v23, s2
	s_delay_alu instid0(VALU_DEP_1) | instskip(NEXT) | instid1(VALU_DEP_1)
	v_add_nc_u32_e32 v22, v22, v23
	v_mov_b32_dpp v23, v22 row_shr:4 row_mask:0xf bank_mask:0xf
	s_delay_alu instid0(VALU_DEP_1) | instskip(NEXT) | instid1(VALU_DEP_1)
	v_cndmask_b32_e64 v23, 0, v23, s5
	v_add_nc_u32_e32 v22, v22, v23
	s_delay_alu instid0(VALU_DEP_1) | instskip(NEXT) | instid1(VALU_DEP_1)
	v_mov_b32_dpp v23, v22 row_shr:8 row_mask:0xf bank_mask:0xf
	v_cndmask_b32_e64 v23, 0, v23, s3
	s_delay_alu instid0(VALU_DEP_1)
	v_add_nc_u32_e32 v22, v22, v23
	ds_store_b32 v20, v22
.LBB951_399:
	s_or_b32 exec_lo, exec_lo, s0
	v_mov_b32_e32 v20, 0
	v_mov_b32_e32 v22, 0
	s_mov_b32 s0, exec_lo
	s_waitcnt lgkmcnt(0)
	s_barrier
	buffer_gl0_inv
	v_cmpx_lt_u32_e32 31, v0
	s_cbranch_execz .LBB951_401
; %bb.400:
	v_lshl_add_u32 v22, v42, 2, -4
	ds_load_b32 v22, v22
.LBB951_401:
	s_or_b32 exec_lo, exec_lo, s0
	v_add_nc_u32_e32 v23, -1, v41
	s_waitcnt lgkmcnt(0)
	v_add_nc_u32_e32 v19, v22, v19
	s_delay_alu instid0(VALU_DEP_2) | instskip(SKIP_2) | instid1(VALU_DEP_2)
	v_cmp_gt_i32_e32 vcc_lo, 0, v23
	v_cndmask_b32_e32 v23, v23, v41, vcc_lo
	v_cmp_eq_u32_e32 vcc_lo, 0, v0
	v_lshlrev_b32_e32 v23, 2, v23
	ds_bpermute_b32 v23, v23, v19
	ds_load_b32 v19, v20 offset:60
	s_and_saveexec_b32 s0, vcc_lo
	s_cbranch_execz .LBB951_403
; %bb.402:
	v_mov_b32_e32 v24, 0
	v_mov_b32_e32 v20, 2
	s_waitcnt lgkmcnt(0)
	global_store_b64 v24, v[19:20], s[10:11] offset:256
.LBB951_403:
	s_or_b32 exec_lo, exec_lo, s0
	v_cmp_eq_u32_e64 s0, 0, v41
	s_waitcnt lgkmcnt(0)
	s_waitcnt_vscnt null, 0x0
	s_barrier
	buffer_gl0_inv
	v_cndmask_b32_e64 v20, v23, v22, s0
	s_delay_alu instid0(VALU_DEP_1) | instskip(NEXT) | instid1(VALU_DEP_1)
	v_cndmask_b32_e64 v37, v20, 0, vcc_lo
	v_dual_mov_b32 v20, 0 :: v_dual_add_nc_u32 v35, v37, v26
	s_delay_alu instid0(VALU_DEP_1) | instskip(NEXT) | instid1(VALU_DEP_1)
	v_add_nc_u32_e32 v33, v35, v28
	v_add_nc_u32_e32 v31, v33, v30
	s_delay_alu instid0(VALU_DEP_1) | instskip(NEXT) | instid1(VALU_DEP_1)
	v_add_nc_u32_e32 v29, v31, v32
	v_add_nc_u32_e32 v27, v29, v34
	;; [unrolled: 3-line block ×3, first 2 shown]
.LBB951_404:
	s_waitcnt lgkmcnt(0)
	v_cmp_gt_u32_e32 vcc_lo, 0x201, v19
	v_lshrrev_b32_e32 v43, 8, v17
	v_lshrrev_b32_e32 v42, 16, v17
	;; [unrolled: 1-line block ×4, first 2 shown]
	s_mov_b32 s0, -1
	s_cbranch_vccnz .LBB951_408
; %bb.405:
	s_and_b32 vcc_lo, exec_lo, s0
	s_cbranch_vccnz .LBB951_433
.LBB951_406:
	v_cmp_eq_u32_e32 vcc_lo, 0, v0
	s_and_b32 s0, vcc_lo, s14
	s_delay_alu instid0(SALU_CYCLE_1)
	s_and_saveexec_b32 s1, s0
	s_cbranch_execnz .LBB951_453
.LBB951_407:
	s_nop 0
	s_sendmsg sendmsg(MSG_DEALLOC_VGPRS)
	s_endpgm
.LBB951_408:
	v_add_nc_u32_e32 v24, v20, v19
	s_delay_alu instid0(VALU_DEP_1) | instskip(SKIP_1) | instid1(SALU_CYCLE_1)
	v_cmp_lt_u32_e32 vcc_lo, v37, v24
	s_or_b32 s1, s21, vcc_lo
	s_and_saveexec_b32 s0, s1
	s_cbranch_execz .LBB951_411
; %bb.409:
	v_and_b32_e32 v26, 1, v17
	s_delay_alu instid0(VALU_DEP_1)
	v_cmp_eq_u32_e32 vcc_lo, 1, v26
	s_and_b32 exec_lo, exec_lo, vcc_lo
	s_cbranch_execz .LBB951_411
; %bb.410:
	v_mov_b32_e32 v38, 0
	s_lshl_b64 s[2:3], s[12:13], 3
	s_delay_alu instid0(SALU_CYCLE_1) | instskip(SKIP_1) | instid1(VALU_DEP_1)
	s_add_u32 s1, s8, s2
	s_addc_u32 s2, s9, s3
	v_lshlrev_b64 v[44:45], 3, v[37:38]
	s_delay_alu instid0(VALU_DEP_1) | instskip(NEXT) | instid1(VALU_DEP_2)
	v_add_co_u32 v44, vcc_lo, s1, v44
	v_add_co_ci_u32_e32 v45, vcc_lo, s2, v45, vcc_lo
	global_store_b64 v[44:45], v[13:14], off
.LBB951_411:
	s_or_b32 exec_lo, exec_lo, s0
	v_cmp_lt_u32_e32 vcc_lo, v35, v24
	s_or_b32 s1, s21, vcc_lo
	s_delay_alu instid0(SALU_CYCLE_1)
	s_and_saveexec_b32 s0, s1
	s_cbranch_execz .LBB951_414
; %bb.412:
	v_and_b32_e32 v26, 1, v43
	s_delay_alu instid0(VALU_DEP_1)
	v_cmp_eq_u32_e32 vcc_lo, 1, v26
	s_and_b32 exec_lo, exec_lo, vcc_lo
	s_cbranch_execz .LBB951_414
; %bb.413:
	v_mov_b32_e32 v36, 0
	s_lshl_b64 s[2:3], s[12:13], 3
	s_delay_alu instid0(SALU_CYCLE_1) | instskip(SKIP_1) | instid1(VALU_DEP_1)
	s_add_u32 s1, s8, s2
	s_addc_u32 s2, s9, s3
	v_lshlrev_b64 v[44:45], 3, v[35:36]
	s_delay_alu instid0(VALU_DEP_1) | instskip(NEXT) | instid1(VALU_DEP_2)
	v_add_co_u32 v44, vcc_lo, s1, v44
	v_add_co_ci_u32_e32 v45, vcc_lo, s2, v45, vcc_lo
	global_store_b64 v[44:45], v[15:16], off
.LBB951_414:
	s_or_b32 exec_lo, exec_lo, s0
	v_cmp_lt_u32_e32 vcc_lo, v33, v24
	s_or_b32 s1, s21, vcc_lo
	s_delay_alu instid0(SALU_CYCLE_1)
	;; [unrolled: 24-line block ×7, first 2 shown]
	s_and_saveexec_b32 s0, s1
	s_cbranch_execz .LBB951_432
; %bb.430:
	v_and_b32_e32 v24, 1, v40
	s_delay_alu instid0(VALU_DEP_1)
	v_cmp_eq_u32_e32 vcc_lo, 1, v24
	s_and_b32 exec_lo, exec_lo, vcc_lo
	s_cbranch_execz .LBB951_432
; %bb.431:
	v_mov_b32_e32 v24, 0
	s_lshl_b64 s[2:3], s[12:13], 3
	s_delay_alu instid0(SALU_CYCLE_1) | instskip(SKIP_1) | instid1(VALU_DEP_1)
	s_add_u32 s1, s8, s2
	s_addc_u32 s2, s9, s3
	v_lshlrev_b64 v[44:45], 3, v[23:24]
	s_delay_alu instid0(VALU_DEP_1) | instskip(NEXT) | instid1(VALU_DEP_2)
	v_add_co_u32 v44, vcc_lo, s1, v44
	v_add_co_ci_u32_e32 v45, vcc_lo, s2, v45, vcc_lo
	global_store_b64 v[44:45], v[3:4], off
.LBB951_432:
	s_or_b32 exec_lo, exec_lo, s0
	s_branch .LBB951_406
.LBB951_433:
	v_and_b32_e32 v17, 1, v17
	s_mov_b32 s0, exec_lo
	s_delay_alu instid0(VALU_DEP_1)
	v_cmpx_eq_u32_e32 1, v17
	s_cbranch_execz .LBB951_435
; %bb.434:
	v_sub_nc_u32_e32 v17, v37, v20
	s_delay_alu instid0(VALU_DEP_1)
	v_lshlrev_b32_e32 v17, 3, v17
	ds_store_b64 v17, v[13:14]
.LBB951_435:
	s_or_b32 exec_lo, exec_lo, s0
	v_and_b32_e32 v13, 1, v43
	s_mov_b32 s0, exec_lo
	s_delay_alu instid0(VALU_DEP_1)
	v_cmpx_eq_u32_e32 1, v13
	s_cbranch_execz .LBB951_437
; %bb.436:
	v_sub_nc_u32_e32 v13, v35, v20
	s_delay_alu instid0(VALU_DEP_1)
	v_lshlrev_b32_e32 v13, 3, v13
	ds_store_b64 v13, v[15:16]
.LBB951_437:
	s_or_b32 exec_lo, exec_lo, s0
	;; [unrolled: 12-line block ×8, first 2 shown]
	s_delay_alu instid0(SALU_CYCLE_1)
	s_mov_b32 s1, exec_lo
	s_waitcnt lgkmcnt(0)
	s_waitcnt_vscnt null, 0x0
	s_barrier
	buffer_gl0_inv
	v_cmpx_lt_u32_e64 v0, v19
	s_cbranch_execz .LBB951_452
; %bb.450:
	v_dual_mov_b32 v2, 0 :: v_dual_mov_b32 v1, v20
	s_lshl_b64 s[2:3], s[12:13], 3
	v_mov_b32_e32 v3, v0
	s_delay_alu instid0(VALU_DEP_2) | instskip(NEXT) | instid1(VALU_DEP_1)
	v_lshlrev_b64 v[1:2], 3, v[1:2]
	v_add_co_u32 v1, vcc_lo, s2, v1
	s_delay_alu instid0(VALU_DEP_2) | instskip(SKIP_1) | instid1(VALU_DEP_2)
	v_add_co_ci_u32_e32 v2, vcc_lo, s3, v2, vcc_lo
	s_mov_b32 s2, 0
	v_add_co_u32 v1, vcc_lo, s8, v1
	s_delay_alu instid0(VALU_DEP_2) | instskip(NEXT) | instid1(VALU_DEP_2)
	v_add_co_ci_u32_e32 v2, vcc_lo, s9, v2, vcc_lo
	v_add_co_u32 v1, vcc_lo, v1, v39
	s_delay_alu instid0(VALU_DEP_2)
	v_add_co_ci_u32_e32 v2, vcc_lo, 0, v2, vcc_lo
	.p2align	6
.LBB951_451:                            ; =>This Inner Loop Header: Depth=1
	ds_load_b64 v[4:5], v39
	v_add_nc_u32_e32 v3, 0x200, v3
	v_add_nc_u32_e32 v39, 0x1000, v39
	s_delay_alu instid0(VALU_DEP_2) | instskip(SKIP_4) | instid1(VALU_DEP_1)
	v_cmp_ge_u32_e32 vcc_lo, v3, v19
	s_or_b32 s2, vcc_lo, s2
	s_waitcnt lgkmcnt(0)
	global_store_b64 v[1:2], v[4:5], off
	v_add_co_u32 v1, s0, 0x1000, v1
	v_add_co_ci_u32_e64 v2, s0, 0, v2, s0
	s_and_not1_b32 exec_lo, exec_lo, s2
	s_cbranch_execnz .LBB951_451
.LBB951_452:
	s_or_b32 exec_lo, exec_lo, s1
	v_cmp_eq_u32_e32 vcc_lo, 0, v0
	s_and_b32 s0, vcc_lo, s14
	s_delay_alu instid0(SALU_CYCLE_1)
	s_and_saveexec_b32 s1, s0
	s_cbranch_execz .LBB951_407
.LBB951_453:
	v_add_co_u32 v0, s0, s12, v19
	s_delay_alu instid0(VALU_DEP_1) | instskip(SKIP_1) | instid1(VALU_DEP_3)
	v_add_co_ci_u32_e64 v1, null, s13, 0, s0
	v_mov_b32_e32 v2, 0
	v_add_co_u32 v0, vcc_lo, v0, v20
	s_delay_alu instid0(VALU_DEP_3)
	v_add_co_ci_u32_e32 v1, vcc_lo, 0, v1, vcc_lo
	global_store_b64 v2, v[0:1], s[16:17]
	s_nop 0
	s_sendmsg sendmsg(MSG_DEALLOC_VGPRS)
	s_endpgm
	.section	.rodata,"a",@progbits
	.p2align	6, 0x0
	.amdhsa_kernel _ZN7rocprim17ROCPRIM_400000_NS6detail17trampoline_kernelINS0_14default_configENS1_25partition_config_selectorILNS1_17partition_subalgoE8ElNS0_10empty_typeEbEEZZNS1_14partition_implILS5_8ELb0ES3_jPlPS6_PKS6_NS0_5tupleIJS9_S6_EEENSD_IJSA_SA_EEENS0_18inequality_wrapperIZN2at6native12_GLOBAL__N_124unique_dim_cuda_templateIfEESt5tupleIJNSH_6TensorESM_SM_EERKSM_lbbbEUlllE0_EEPmJS6_EEE10hipError_tPvRmT3_T4_T5_T6_T7_T9_mT8_P12ihipStream_tbDpT10_ENKUlT_T0_E_clISt17integral_constantIbLb1EES1B_IbLb0EEEEDaS17_S18_EUlS17_E_NS1_11comp_targetILNS1_3genE9ELNS1_11target_archE1100ELNS1_3gpuE3ELNS1_3repE0EEENS1_30default_config_static_selectorELNS0_4arch9wavefront6targetE0EEEvT1_
		.amdhsa_group_segment_fixed_size 33804
		.amdhsa_private_segment_fixed_size 0
		.amdhsa_kernarg_size 120
		.amdhsa_user_sgpr_count 15
		.amdhsa_user_sgpr_dispatch_ptr 0
		.amdhsa_user_sgpr_queue_ptr 0
		.amdhsa_user_sgpr_kernarg_segment_ptr 1
		.amdhsa_user_sgpr_dispatch_id 0
		.amdhsa_user_sgpr_private_segment_size 0
		.amdhsa_wavefront_size32 1
		.amdhsa_uses_dynamic_stack 0
		.amdhsa_enable_private_segment 0
		.amdhsa_system_sgpr_workgroup_id_x 1
		.amdhsa_system_sgpr_workgroup_id_y 0
		.amdhsa_system_sgpr_workgroup_id_z 0
		.amdhsa_system_sgpr_workgroup_info 0
		.amdhsa_system_vgpr_workitem_id 0
		.amdhsa_next_free_vgpr 52
		.amdhsa_next_free_sgpr 36
		.amdhsa_reserve_vcc 1
		.amdhsa_float_round_mode_32 0
		.amdhsa_float_round_mode_16_64 0
		.amdhsa_float_denorm_mode_32 3
		.amdhsa_float_denorm_mode_16_64 3
		.amdhsa_dx10_clamp 1
		.amdhsa_ieee_mode 1
		.amdhsa_fp16_overflow 0
		.amdhsa_workgroup_processor_mode 1
		.amdhsa_memory_ordered 1
		.amdhsa_forward_progress 0
		.amdhsa_shared_vgpr_count 0
		.amdhsa_exception_fp_ieee_invalid_op 0
		.amdhsa_exception_fp_denorm_src 0
		.amdhsa_exception_fp_ieee_div_zero 0
		.amdhsa_exception_fp_ieee_overflow 0
		.amdhsa_exception_fp_ieee_underflow 0
		.amdhsa_exception_fp_ieee_inexact 0
		.amdhsa_exception_int_div_zero 0
	.end_amdhsa_kernel
	.section	.text._ZN7rocprim17ROCPRIM_400000_NS6detail17trampoline_kernelINS0_14default_configENS1_25partition_config_selectorILNS1_17partition_subalgoE8ElNS0_10empty_typeEbEEZZNS1_14partition_implILS5_8ELb0ES3_jPlPS6_PKS6_NS0_5tupleIJS9_S6_EEENSD_IJSA_SA_EEENS0_18inequality_wrapperIZN2at6native12_GLOBAL__N_124unique_dim_cuda_templateIfEESt5tupleIJNSH_6TensorESM_SM_EERKSM_lbbbEUlllE0_EEPmJS6_EEE10hipError_tPvRmT3_T4_T5_T6_T7_T9_mT8_P12ihipStream_tbDpT10_ENKUlT_T0_E_clISt17integral_constantIbLb1EES1B_IbLb0EEEEDaS17_S18_EUlS17_E_NS1_11comp_targetILNS1_3genE9ELNS1_11target_archE1100ELNS1_3gpuE3ELNS1_3repE0EEENS1_30default_config_static_selectorELNS0_4arch9wavefront6targetE0EEEvT1_,"axG",@progbits,_ZN7rocprim17ROCPRIM_400000_NS6detail17trampoline_kernelINS0_14default_configENS1_25partition_config_selectorILNS1_17partition_subalgoE8ElNS0_10empty_typeEbEEZZNS1_14partition_implILS5_8ELb0ES3_jPlPS6_PKS6_NS0_5tupleIJS9_S6_EEENSD_IJSA_SA_EEENS0_18inequality_wrapperIZN2at6native12_GLOBAL__N_124unique_dim_cuda_templateIfEESt5tupleIJNSH_6TensorESM_SM_EERKSM_lbbbEUlllE0_EEPmJS6_EEE10hipError_tPvRmT3_T4_T5_T6_T7_T9_mT8_P12ihipStream_tbDpT10_ENKUlT_T0_E_clISt17integral_constantIbLb1EES1B_IbLb0EEEEDaS17_S18_EUlS17_E_NS1_11comp_targetILNS1_3genE9ELNS1_11target_archE1100ELNS1_3gpuE3ELNS1_3repE0EEENS1_30default_config_static_selectorELNS0_4arch9wavefront6targetE0EEEvT1_,comdat
.Lfunc_end951:
	.size	_ZN7rocprim17ROCPRIM_400000_NS6detail17trampoline_kernelINS0_14default_configENS1_25partition_config_selectorILNS1_17partition_subalgoE8ElNS0_10empty_typeEbEEZZNS1_14partition_implILS5_8ELb0ES3_jPlPS6_PKS6_NS0_5tupleIJS9_S6_EEENSD_IJSA_SA_EEENS0_18inequality_wrapperIZN2at6native12_GLOBAL__N_124unique_dim_cuda_templateIfEESt5tupleIJNSH_6TensorESM_SM_EERKSM_lbbbEUlllE0_EEPmJS6_EEE10hipError_tPvRmT3_T4_T5_T6_T7_T9_mT8_P12ihipStream_tbDpT10_ENKUlT_T0_E_clISt17integral_constantIbLb1EES1B_IbLb0EEEEDaS17_S18_EUlS17_E_NS1_11comp_targetILNS1_3genE9ELNS1_11target_archE1100ELNS1_3gpuE3ELNS1_3repE0EEENS1_30default_config_static_selectorELNS0_4arch9wavefront6targetE0EEEvT1_, .Lfunc_end951-_ZN7rocprim17ROCPRIM_400000_NS6detail17trampoline_kernelINS0_14default_configENS1_25partition_config_selectorILNS1_17partition_subalgoE8ElNS0_10empty_typeEbEEZZNS1_14partition_implILS5_8ELb0ES3_jPlPS6_PKS6_NS0_5tupleIJS9_S6_EEENSD_IJSA_SA_EEENS0_18inequality_wrapperIZN2at6native12_GLOBAL__N_124unique_dim_cuda_templateIfEESt5tupleIJNSH_6TensorESM_SM_EERKSM_lbbbEUlllE0_EEPmJS6_EEE10hipError_tPvRmT3_T4_T5_T6_T7_T9_mT8_P12ihipStream_tbDpT10_ENKUlT_T0_E_clISt17integral_constantIbLb1EES1B_IbLb0EEEEDaS17_S18_EUlS17_E_NS1_11comp_targetILNS1_3genE9ELNS1_11target_archE1100ELNS1_3gpuE3ELNS1_3repE0EEENS1_30default_config_static_selectorELNS0_4arch9wavefront6targetE0EEEvT1_
                                        ; -- End function
	.section	.AMDGPU.csdata,"",@progbits
; Kernel info:
; codeLenInByte = 18204
; NumSgprs: 38
; NumVgprs: 52
; ScratchSize: 0
; MemoryBound: 0
; FloatMode: 240
; IeeeMode: 1
; LDSByteSize: 33804 bytes/workgroup (compile time only)
; SGPRBlocks: 4
; VGPRBlocks: 6
; NumSGPRsForWavesPerEU: 38
; NumVGPRsForWavesPerEU: 52
; Occupancy: 12
; WaveLimiterHint : 1
; COMPUTE_PGM_RSRC2:SCRATCH_EN: 0
; COMPUTE_PGM_RSRC2:USER_SGPR: 15
; COMPUTE_PGM_RSRC2:TRAP_HANDLER: 0
; COMPUTE_PGM_RSRC2:TGID_X_EN: 1
; COMPUTE_PGM_RSRC2:TGID_Y_EN: 0
; COMPUTE_PGM_RSRC2:TGID_Z_EN: 0
; COMPUTE_PGM_RSRC2:TIDIG_COMP_CNT: 0
	.section	.text._ZN7rocprim17ROCPRIM_400000_NS6detail17trampoline_kernelINS0_14default_configENS1_25partition_config_selectorILNS1_17partition_subalgoE8ElNS0_10empty_typeEbEEZZNS1_14partition_implILS5_8ELb0ES3_jPlPS6_PKS6_NS0_5tupleIJS9_S6_EEENSD_IJSA_SA_EEENS0_18inequality_wrapperIZN2at6native12_GLOBAL__N_124unique_dim_cuda_templateIfEESt5tupleIJNSH_6TensorESM_SM_EERKSM_lbbbEUlllE0_EEPmJS6_EEE10hipError_tPvRmT3_T4_T5_T6_T7_T9_mT8_P12ihipStream_tbDpT10_ENKUlT_T0_E_clISt17integral_constantIbLb1EES1B_IbLb0EEEEDaS17_S18_EUlS17_E_NS1_11comp_targetILNS1_3genE8ELNS1_11target_archE1030ELNS1_3gpuE2ELNS1_3repE0EEENS1_30default_config_static_selectorELNS0_4arch9wavefront6targetE0EEEvT1_,"axG",@progbits,_ZN7rocprim17ROCPRIM_400000_NS6detail17trampoline_kernelINS0_14default_configENS1_25partition_config_selectorILNS1_17partition_subalgoE8ElNS0_10empty_typeEbEEZZNS1_14partition_implILS5_8ELb0ES3_jPlPS6_PKS6_NS0_5tupleIJS9_S6_EEENSD_IJSA_SA_EEENS0_18inequality_wrapperIZN2at6native12_GLOBAL__N_124unique_dim_cuda_templateIfEESt5tupleIJNSH_6TensorESM_SM_EERKSM_lbbbEUlllE0_EEPmJS6_EEE10hipError_tPvRmT3_T4_T5_T6_T7_T9_mT8_P12ihipStream_tbDpT10_ENKUlT_T0_E_clISt17integral_constantIbLb1EES1B_IbLb0EEEEDaS17_S18_EUlS17_E_NS1_11comp_targetILNS1_3genE8ELNS1_11target_archE1030ELNS1_3gpuE2ELNS1_3repE0EEENS1_30default_config_static_selectorELNS0_4arch9wavefront6targetE0EEEvT1_,comdat
	.globl	_ZN7rocprim17ROCPRIM_400000_NS6detail17trampoline_kernelINS0_14default_configENS1_25partition_config_selectorILNS1_17partition_subalgoE8ElNS0_10empty_typeEbEEZZNS1_14partition_implILS5_8ELb0ES3_jPlPS6_PKS6_NS0_5tupleIJS9_S6_EEENSD_IJSA_SA_EEENS0_18inequality_wrapperIZN2at6native12_GLOBAL__N_124unique_dim_cuda_templateIfEESt5tupleIJNSH_6TensorESM_SM_EERKSM_lbbbEUlllE0_EEPmJS6_EEE10hipError_tPvRmT3_T4_T5_T6_T7_T9_mT8_P12ihipStream_tbDpT10_ENKUlT_T0_E_clISt17integral_constantIbLb1EES1B_IbLb0EEEEDaS17_S18_EUlS17_E_NS1_11comp_targetILNS1_3genE8ELNS1_11target_archE1030ELNS1_3gpuE2ELNS1_3repE0EEENS1_30default_config_static_selectorELNS0_4arch9wavefront6targetE0EEEvT1_ ; -- Begin function _ZN7rocprim17ROCPRIM_400000_NS6detail17trampoline_kernelINS0_14default_configENS1_25partition_config_selectorILNS1_17partition_subalgoE8ElNS0_10empty_typeEbEEZZNS1_14partition_implILS5_8ELb0ES3_jPlPS6_PKS6_NS0_5tupleIJS9_S6_EEENSD_IJSA_SA_EEENS0_18inequality_wrapperIZN2at6native12_GLOBAL__N_124unique_dim_cuda_templateIfEESt5tupleIJNSH_6TensorESM_SM_EERKSM_lbbbEUlllE0_EEPmJS6_EEE10hipError_tPvRmT3_T4_T5_T6_T7_T9_mT8_P12ihipStream_tbDpT10_ENKUlT_T0_E_clISt17integral_constantIbLb1EES1B_IbLb0EEEEDaS17_S18_EUlS17_E_NS1_11comp_targetILNS1_3genE8ELNS1_11target_archE1030ELNS1_3gpuE2ELNS1_3repE0EEENS1_30default_config_static_selectorELNS0_4arch9wavefront6targetE0EEEvT1_
	.p2align	8
	.type	_ZN7rocprim17ROCPRIM_400000_NS6detail17trampoline_kernelINS0_14default_configENS1_25partition_config_selectorILNS1_17partition_subalgoE8ElNS0_10empty_typeEbEEZZNS1_14partition_implILS5_8ELb0ES3_jPlPS6_PKS6_NS0_5tupleIJS9_S6_EEENSD_IJSA_SA_EEENS0_18inequality_wrapperIZN2at6native12_GLOBAL__N_124unique_dim_cuda_templateIfEESt5tupleIJNSH_6TensorESM_SM_EERKSM_lbbbEUlllE0_EEPmJS6_EEE10hipError_tPvRmT3_T4_T5_T6_T7_T9_mT8_P12ihipStream_tbDpT10_ENKUlT_T0_E_clISt17integral_constantIbLb1EES1B_IbLb0EEEEDaS17_S18_EUlS17_E_NS1_11comp_targetILNS1_3genE8ELNS1_11target_archE1030ELNS1_3gpuE2ELNS1_3repE0EEENS1_30default_config_static_selectorELNS0_4arch9wavefront6targetE0EEEvT1_,@function
_ZN7rocprim17ROCPRIM_400000_NS6detail17trampoline_kernelINS0_14default_configENS1_25partition_config_selectorILNS1_17partition_subalgoE8ElNS0_10empty_typeEbEEZZNS1_14partition_implILS5_8ELb0ES3_jPlPS6_PKS6_NS0_5tupleIJS9_S6_EEENSD_IJSA_SA_EEENS0_18inequality_wrapperIZN2at6native12_GLOBAL__N_124unique_dim_cuda_templateIfEESt5tupleIJNSH_6TensorESM_SM_EERKSM_lbbbEUlllE0_EEPmJS6_EEE10hipError_tPvRmT3_T4_T5_T6_T7_T9_mT8_P12ihipStream_tbDpT10_ENKUlT_T0_E_clISt17integral_constantIbLb1EES1B_IbLb0EEEEDaS17_S18_EUlS17_E_NS1_11comp_targetILNS1_3genE8ELNS1_11target_archE1030ELNS1_3gpuE2ELNS1_3repE0EEENS1_30default_config_static_selectorELNS0_4arch9wavefront6targetE0EEEvT1_: ; @_ZN7rocprim17ROCPRIM_400000_NS6detail17trampoline_kernelINS0_14default_configENS1_25partition_config_selectorILNS1_17partition_subalgoE8ElNS0_10empty_typeEbEEZZNS1_14partition_implILS5_8ELb0ES3_jPlPS6_PKS6_NS0_5tupleIJS9_S6_EEENSD_IJSA_SA_EEENS0_18inequality_wrapperIZN2at6native12_GLOBAL__N_124unique_dim_cuda_templateIfEESt5tupleIJNSH_6TensorESM_SM_EERKSM_lbbbEUlllE0_EEPmJS6_EEE10hipError_tPvRmT3_T4_T5_T6_T7_T9_mT8_P12ihipStream_tbDpT10_ENKUlT_T0_E_clISt17integral_constantIbLb1EES1B_IbLb0EEEEDaS17_S18_EUlS17_E_NS1_11comp_targetILNS1_3genE8ELNS1_11target_archE1030ELNS1_3gpuE2ELNS1_3repE0EEENS1_30default_config_static_selectorELNS0_4arch9wavefront6targetE0EEEvT1_
; %bb.0:
	.section	.rodata,"a",@progbits
	.p2align	6, 0x0
	.amdhsa_kernel _ZN7rocprim17ROCPRIM_400000_NS6detail17trampoline_kernelINS0_14default_configENS1_25partition_config_selectorILNS1_17partition_subalgoE8ElNS0_10empty_typeEbEEZZNS1_14partition_implILS5_8ELb0ES3_jPlPS6_PKS6_NS0_5tupleIJS9_S6_EEENSD_IJSA_SA_EEENS0_18inequality_wrapperIZN2at6native12_GLOBAL__N_124unique_dim_cuda_templateIfEESt5tupleIJNSH_6TensorESM_SM_EERKSM_lbbbEUlllE0_EEPmJS6_EEE10hipError_tPvRmT3_T4_T5_T6_T7_T9_mT8_P12ihipStream_tbDpT10_ENKUlT_T0_E_clISt17integral_constantIbLb1EES1B_IbLb0EEEEDaS17_S18_EUlS17_E_NS1_11comp_targetILNS1_3genE8ELNS1_11target_archE1030ELNS1_3gpuE2ELNS1_3repE0EEENS1_30default_config_static_selectorELNS0_4arch9wavefront6targetE0EEEvT1_
		.amdhsa_group_segment_fixed_size 0
		.amdhsa_private_segment_fixed_size 0
		.amdhsa_kernarg_size 120
		.amdhsa_user_sgpr_count 15
		.amdhsa_user_sgpr_dispatch_ptr 0
		.amdhsa_user_sgpr_queue_ptr 0
		.amdhsa_user_sgpr_kernarg_segment_ptr 1
		.amdhsa_user_sgpr_dispatch_id 0
		.amdhsa_user_sgpr_private_segment_size 0
		.amdhsa_wavefront_size32 1
		.amdhsa_uses_dynamic_stack 0
		.amdhsa_enable_private_segment 0
		.amdhsa_system_sgpr_workgroup_id_x 1
		.amdhsa_system_sgpr_workgroup_id_y 0
		.amdhsa_system_sgpr_workgroup_id_z 0
		.amdhsa_system_sgpr_workgroup_info 0
		.amdhsa_system_vgpr_workitem_id 0
		.amdhsa_next_free_vgpr 1
		.amdhsa_next_free_sgpr 1
		.amdhsa_reserve_vcc 0
		.amdhsa_float_round_mode_32 0
		.amdhsa_float_round_mode_16_64 0
		.amdhsa_float_denorm_mode_32 3
		.amdhsa_float_denorm_mode_16_64 3
		.amdhsa_dx10_clamp 1
		.amdhsa_ieee_mode 1
		.amdhsa_fp16_overflow 0
		.amdhsa_workgroup_processor_mode 1
		.amdhsa_memory_ordered 1
		.amdhsa_forward_progress 0
		.amdhsa_shared_vgpr_count 0
		.amdhsa_exception_fp_ieee_invalid_op 0
		.amdhsa_exception_fp_denorm_src 0
		.amdhsa_exception_fp_ieee_div_zero 0
		.amdhsa_exception_fp_ieee_overflow 0
		.amdhsa_exception_fp_ieee_underflow 0
		.amdhsa_exception_fp_ieee_inexact 0
		.amdhsa_exception_int_div_zero 0
	.end_amdhsa_kernel
	.section	.text._ZN7rocprim17ROCPRIM_400000_NS6detail17trampoline_kernelINS0_14default_configENS1_25partition_config_selectorILNS1_17partition_subalgoE8ElNS0_10empty_typeEbEEZZNS1_14partition_implILS5_8ELb0ES3_jPlPS6_PKS6_NS0_5tupleIJS9_S6_EEENSD_IJSA_SA_EEENS0_18inequality_wrapperIZN2at6native12_GLOBAL__N_124unique_dim_cuda_templateIfEESt5tupleIJNSH_6TensorESM_SM_EERKSM_lbbbEUlllE0_EEPmJS6_EEE10hipError_tPvRmT3_T4_T5_T6_T7_T9_mT8_P12ihipStream_tbDpT10_ENKUlT_T0_E_clISt17integral_constantIbLb1EES1B_IbLb0EEEEDaS17_S18_EUlS17_E_NS1_11comp_targetILNS1_3genE8ELNS1_11target_archE1030ELNS1_3gpuE2ELNS1_3repE0EEENS1_30default_config_static_selectorELNS0_4arch9wavefront6targetE0EEEvT1_,"axG",@progbits,_ZN7rocprim17ROCPRIM_400000_NS6detail17trampoline_kernelINS0_14default_configENS1_25partition_config_selectorILNS1_17partition_subalgoE8ElNS0_10empty_typeEbEEZZNS1_14partition_implILS5_8ELb0ES3_jPlPS6_PKS6_NS0_5tupleIJS9_S6_EEENSD_IJSA_SA_EEENS0_18inequality_wrapperIZN2at6native12_GLOBAL__N_124unique_dim_cuda_templateIfEESt5tupleIJNSH_6TensorESM_SM_EERKSM_lbbbEUlllE0_EEPmJS6_EEE10hipError_tPvRmT3_T4_T5_T6_T7_T9_mT8_P12ihipStream_tbDpT10_ENKUlT_T0_E_clISt17integral_constantIbLb1EES1B_IbLb0EEEEDaS17_S18_EUlS17_E_NS1_11comp_targetILNS1_3genE8ELNS1_11target_archE1030ELNS1_3gpuE2ELNS1_3repE0EEENS1_30default_config_static_selectorELNS0_4arch9wavefront6targetE0EEEvT1_,comdat
.Lfunc_end952:
	.size	_ZN7rocprim17ROCPRIM_400000_NS6detail17trampoline_kernelINS0_14default_configENS1_25partition_config_selectorILNS1_17partition_subalgoE8ElNS0_10empty_typeEbEEZZNS1_14partition_implILS5_8ELb0ES3_jPlPS6_PKS6_NS0_5tupleIJS9_S6_EEENSD_IJSA_SA_EEENS0_18inequality_wrapperIZN2at6native12_GLOBAL__N_124unique_dim_cuda_templateIfEESt5tupleIJNSH_6TensorESM_SM_EERKSM_lbbbEUlllE0_EEPmJS6_EEE10hipError_tPvRmT3_T4_T5_T6_T7_T9_mT8_P12ihipStream_tbDpT10_ENKUlT_T0_E_clISt17integral_constantIbLb1EES1B_IbLb0EEEEDaS17_S18_EUlS17_E_NS1_11comp_targetILNS1_3genE8ELNS1_11target_archE1030ELNS1_3gpuE2ELNS1_3repE0EEENS1_30default_config_static_selectorELNS0_4arch9wavefront6targetE0EEEvT1_, .Lfunc_end952-_ZN7rocprim17ROCPRIM_400000_NS6detail17trampoline_kernelINS0_14default_configENS1_25partition_config_selectorILNS1_17partition_subalgoE8ElNS0_10empty_typeEbEEZZNS1_14partition_implILS5_8ELb0ES3_jPlPS6_PKS6_NS0_5tupleIJS9_S6_EEENSD_IJSA_SA_EEENS0_18inequality_wrapperIZN2at6native12_GLOBAL__N_124unique_dim_cuda_templateIfEESt5tupleIJNSH_6TensorESM_SM_EERKSM_lbbbEUlllE0_EEPmJS6_EEE10hipError_tPvRmT3_T4_T5_T6_T7_T9_mT8_P12ihipStream_tbDpT10_ENKUlT_T0_E_clISt17integral_constantIbLb1EES1B_IbLb0EEEEDaS17_S18_EUlS17_E_NS1_11comp_targetILNS1_3genE8ELNS1_11target_archE1030ELNS1_3gpuE2ELNS1_3repE0EEENS1_30default_config_static_selectorELNS0_4arch9wavefront6targetE0EEEvT1_
                                        ; -- End function
	.section	.AMDGPU.csdata,"",@progbits
; Kernel info:
; codeLenInByte = 0
; NumSgprs: 0
; NumVgprs: 0
; ScratchSize: 0
; MemoryBound: 0
; FloatMode: 240
; IeeeMode: 1
; LDSByteSize: 0 bytes/workgroup (compile time only)
; SGPRBlocks: 0
; VGPRBlocks: 0
; NumSGPRsForWavesPerEU: 1
; NumVGPRsForWavesPerEU: 1
; Occupancy: 16
; WaveLimiterHint : 0
; COMPUTE_PGM_RSRC2:SCRATCH_EN: 0
; COMPUTE_PGM_RSRC2:USER_SGPR: 15
; COMPUTE_PGM_RSRC2:TRAP_HANDLER: 0
; COMPUTE_PGM_RSRC2:TGID_X_EN: 1
; COMPUTE_PGM_RSRC2:TGID_Y_EN: 0
; COMPUTE_PGM_RSRC2:TGID_Z_EN: 0
; COMPUTE_PGM_RSRC2:TIDIG_COMP_CNT: 0
	.section	.text._ZN7rocprim17ROCPRIM_400000_NS6detail17trampoline_kernelINS0_14default_configENS1_25partition_config_selectorILNS1_17partition_subalgoE8ElNS0_10empty_typeEbEEZZNS1_14partition_implILS5_8ELb0ES3_jPlPS6_PKS6_NS0_5tupleIJS9_S6_EEENSD_IJSA_SA_EEENS0_18inequality_wrapperIZN2at6native12_GLOBAL__N_124unique_dim_cuda_templateIfEESt5tupleIJNSH_6TensorESM_SM_EERKSM_lbbbEUlllE0_EEPmJS6_EEE10hipError_tPvRmT3_T4_T5_T6_T7_T9_mT8_P12ihipStream_tbDpT10_ENKUlT_T0_E_clISt17integral_constantIbLb0EES1B_IbLb1EEEEDaS17_S18_EUlS17_E_NS1_11comp_targetILNS1_3genE0ELNS1_11target_archE4294967295ELNS1_3gpuE0ELNS1_3repE0EEENS1_30default_config_static_selectorELNS0_4arch9wavefront6targetE0EEEvT1_,"axG",@progbits,_ZN7rocprim17ROCPRIM_400000_NS6detail17trampoline_kernelINS0_14default_configENS1_25partition_config_selectorILNS1_17partition_subalgoE8ElNS0_10empty_typeEbEEZZNS1_14partition_implILS5_8ELb0ES3_jPlPS6_PKS6_NS0_5tupleIJS9_S6_EEENSD_IJSA_SA_EEENS0_18inequality_wrapperIZN2at6native12_GLOBAL__N_124unique_dim_cuda_templateIfEESt5tupleIJNSH_6TensorESM_SM_EERKSM_lbbbEUlllE0_EEPmJS6_EEE10hipError_tPvRmT3_T4_T5_T6_T7_T9_mT8_P12ihipStream_tbDpT10_ENKUlT_T0_E_clISt17integral_constantIbLb0EES1B_IbLb1EEEEDaS17_S18_EUlS17_E_NS1_11comp_targetILNS1_3genE0ELNS1_11target_archE4294967295ELNS1_3gpuE0ELNS1_3repE0EEENS1_30default_config_static_selectorELNS0_4arch9wavefront6targetE0EEEvT1_,comdat
	.globl	_ZN7rocprim17ROCPRIM_400000_NS6detail17trampoline_kernelINS0_14default_configENS1_25partition_config_selectorILNS1_17partition_subalgoE8ElNS0_10empty_typeEbEEZZNS1_14partition_implILS5_8ELb0ES3_jPlPS6_PKS6_NS0_5tupleIJS9_S6_EEENSD_IJSA_SA_EEENS0_18inequality_wrapperIZN2at6native12_GLOBAL__N_124unique_dim_cuda_templateIfEESt5tupleIJNSH_6TensorESM_SM_EERKSM_lbbbEUlllE0_EEPmJS6_EEE10hipError_tPvRmT3_T4_T5_T6_T7_T9_mT8_P12ihipStream_tbDpT10_ENKUlT_T0_E_clISt17integral_constantIbLb0EES1B_IbLb1EEEEDaS17_S18_EUlS17_E_NS1_11comp_targetILNS1_3genE0ELNS1_11target_archE4294967295ELNS1_3gpuE0ELNS1_3repE0EEENS1_30default_config_static_selectorELNS0_4arch9wavefront6targetE0EEEvT1_ ; -- Begin function _ZN7rocprim17ROCPRIM_400000_NS6detail17trampoline_kernelINS0_14default_configENS1_25partition_config_selectorILNS1_17partition_subalgoE8ElNS0_10empty_typeEbEEZZNS1_14partition_implILS5_8ELb0ES3_jPlPS6_PKS6_NS0_5tupleIJS9_S6_EEENSD_IJSA_SA_EEENS0_18inequality_wrapperIZN2at6native12_GLOBAL__N_124unique_dim_cuda_templateIfEESt5tupleIJNSH_6TensorESM_SM_EERKSM_lbbbEUlllE0_EEPmJS6_EEE10hipError_tPvRmT3_T4_T5_T6_T7_T9_mT8_P12ihipStream_tbDpT10_ENKUlT_T0_E_clISt17integral_constantIbLb0EES1B_IbLb1EEEEDaS17_S18_EUlS17_E_NS1_11comp_targetILNS1_3genE0ELNS1_11target_archE4294967295ELNS1_3gpuE0ELNS1_3repE0EEENS1_30default_config_static_selectorELNS0_4arch9wavefront6targetE0EEEvT1_
	.p2align	8
	.type	_ZN7rocprim17ROCPRIM_400000_NS6detail17trampoline_kernelINS0_14default_configENS1_25partition_config_selectorILNS1_17partition_subalgoE8ElNS0_10empty_typeEbEEZZNS1_14partition_implILS5_8ELb0ES3_jPlPS6_PKS6_NS0_5tupleIJS9_S6_EEENSD_IJSA_SA_EEENS0_18inequality_wrapperIZN2at6native12_GLOBAL__N_124unique_dim_cuda_templateIfEESt5tupleIJNSH_6TensorESM_SM_EERKSM_lbbbEUlllE0_EEPmJS6_EEE10hipError_tPvRmT3_T4_T5_T6_T7_T9_mT8_P12ihipStream_tbDpT10_ENKUlT_T0_E_clISt17integral_constantIbLb0EES1B_IbLb1EEEEDaS17_S18_EUlS17_E_NS1_11comp_targetILNS1_3genE0ELNS1_11target_archE4294967295ELNS1_3gpuE0ELNS1_3repE0EEENS1_30default_config_static_selectorELNS0_4arch9wavefront6targetE0EEEvT1_,@function
_ZN7rocprim17ROCPRIM_400000_NS6detail17trampoline_kernelINS0_14default_configENS1_25partition_config_selectorILNS1_17partition_subalgoE8ElNS0_10empty_typeEbEEZZNS1_14partition_implILS5_8ELb0ES3_jPlPS6_PKS6_NS0_5tupleIJS9_S6_EEENSD_IJSA_SA_EEENS0_18inequality_wrapperIZN2at6native12_GLOBAL__N_124unique_dim_cuda_templateIfEESt5tupleIJNSH_6TensorESM_SM_EERKSM_lbbbEUlllE0_EEPmJS6_EEE10hipError_tPvRmT3_T4_T5_T6_T7_T9_mT8_P12ihipStream_tbDpT10_ENKUlT_T0_E_clISt17integral_constantIbLb0EES1B_IbLb1EEEEDaS17_S18_EUlS17_E_NS1_11comp_targetILNS1_3genE0ELNS1_11target_archE4294967295ELNS1_3gpuE0ELNS1_3repE0EEENS1_30default_config_static_selectorELNS0_4arch9wavefront6targetE0EEEvT1_: ; @_ZN7rocprim17ROCPRIM_400000_NS6detail17trampoline_kernelINS0_14default_configENS1_25partition_config_selectorILNS1_17partition_subalgoE8ElNS0_10empty_typeEbEEZZNS1_14partition_implILS5_8ELb0ES3_jPlPS6_PKS6_NS0_5tupleIJS9_S6_EEENSD_IJSA_SA_EEENS0_18inequality_wrapperIZN2at6native12_GLOBAL__N_124unique_dim_cuda_templateIfEESt5tupleIJNSH_6TensorESM_SM_EERKSM_lbbbEUlllE0_EEPmJS6_EEE10hipError_tPvRmT3_T4_T5_T6_T7_T9_mT8_P12ihipStream_tbDpT10_ENKUlT_T0_E_clISt17integral_constantIbLb0EES1B_IbLb1EEEEDaS17_S18_EUlS17_E_NS1_11comp_targetILNS1_3genE0ELNS1_11target_archE4294967295ELNS1_3gpuE0ELNS1_3repE0EEENS1_30default_config_static_selectorELNS0_4arch9wavefront6targetE0EEEvT1_
; %bb.0:
	.section	.rodata,"a",@progbits
	.p2align	6, 0x0
	.amdhsa_kernel _ZN7rocprim17ROCPRIM_400000_NS6detail17trampoline_kernelINS0_14default_configENS1_25partition_config_selectorILNS1_17partition_subalgoE8ElNS0_10empty_typeEbEEZZNS1_14partition_implILS5_8ELb0ES3_jPlPS6_PKS6_NS0_5tupleIJS9_S6_EEENSD_IJSA_SA_EEENS0_18inequality_wrapperIZN2at6native12_GLOBAL__N_124unique_dim_cuda_templateIfEESt5tupleIJNSH_6TensorESM_SM_EERKSM_lbbbEUlllE0_EEPmJS6_EEE10hipError_tPvRmT3_T4_T5_T6_T7_T9_mT8_P12ihipStream_tbDpT10_ENKUlT_T0_E_clISt17integral_constantIbLb0EES1B_IbLb1EEEEDaS17_S18_EUlS17_E_NS1_11comp_targetILNS1_3genE0ELNS1_11target_archE4294967295ELNS1_3gpuE0ELNS1_3repE0EEENS1_30default_config_static_selectorELNS0_4arch9wavefront6targetE0EEEvT1_
		.amdhsa_group_segment_fixed_size 0
		.amdhsa_private_segment_fixed_size 0
		.amdhsa_kernarg_size 136
		.amdhsa_user_sgpr_count 15
		.amdhsa_user_sgpr_dispatch_ptr 0
		.amdhsa_user_sgpr_queue_ptr 0
		.amdhsa_user_sgpr_kernarg_segment_ptr 1
		.amdhsa_user_sgpr_dispatch_id 0
		.amdhsa_user_sgpr_private_segment_size 0
		.amdhsa_wavefront_size32 1
		.amdhsa_uses_dynamic_stack 0
		.amdhsa_enable_private_segment 0
		.amdhsa_system_sgpr_workgroup_id_x 1
		.amdhsa_system_sgpr_workgroup_id_y 0
		.amdhsa_system_sgpr_workgroup_id_z 0
		.amdhsa_system_sgpr_workgroup_info 0
		.amdhsa_system_vgpr_workitem_id 0
		.amdhsa_next_free_vgpr 1
		.amdhsa_next_free_sgpr 1
		.amdhsa_reserve_vcc 0
		.amdhsa_float_round_mode_32 0
		.amdhsa_float_round_mode_16_64 0
		.amdhsa_float_denorm_mode_32 3
		.amdhsa_float_denorm_mode_16_64 3
		.amdhsa_dx10_clamp 1
		.amdhsa_ieee_mode 1
		.amdhsa_fp16_overflow 0
		.amdhsa_workgroup_processor_mode 1
		.amdhsa_memory_ordered 1
		.amdhsa_forward_progress 0
		.amdhsa_shared_vgpr_count 0
		.amdhsa_exception_fp_ieee_invalid_op 0
		.amdhsa_exception_fp_denorm_src 0
		.amdhsa_exception_fp_ieee_div_zero 0
		.amdhsa_exception_fp_ieee_overflow 0
		.amdhsa_exception_fp_ieee_underflow 0
		.amdhsa_exception_fp_ieee_inexact 0
		.amdhsa_exception_int_div_zero 0
	.end_amdhsa_kernel
	.section	.text._ZN7rocprim17ROCPRIM_400000_NS6detail17trampoline_kernelINS0_14default_configENS1_25partition_config_selectorILNS1_17partition_subalgoE8ElNS0_10empty_typeEbEEZZNS1_14partition_implILS5_8ELb0ES3_jPlPS6_PKS6_NS0_5tupleIJS9_S6_EEENSD_IJSA_SA_EEENS0_18inequality_wrapperIZN2at6native12_GLOBAL__N_124unique_dim_cuda_templateIfEESt5tupleIJNSH_6TensorESM_SM_EERKSM_lbbbEUlllE0_EEPmJS6_EEE10hipError_tPvRmT3_T4_T5_T6_T7_T9_mT8_P12ihipStream_tbDpT10_ENKUlT_T0_E_clISt17integral_constantIbLb0EES1B_IbLb1EEEEDaS17_S18_EUlS17_E_NS1_11comp_targetILNS1_3genE0ELNS1_11target_archE4294967295ELNS1_3gpuE0ELNS1_3repE0EEENS1_30default_config_static_selectorELNS0_4arch9wavefront6targetE0EEEvT1_,"axG",@progbits,_ZN7rocprim17ROCPRIM_400000_NS6detail17trampoline_kernelINS0_14default_configENS1_25partition_config_selectorILNS1_17partition_subalgoE8ElNS0_10empty_typeEbEEZZNS1_14partition_implILS5_8ELb0ES3_jPlPS6_PKS6_NS0_5tupleIJS9_S6_EEENSD_IJSA_SA_EEENS0_18inequality_wrapperIZN2at6native12_GLOBAL__N_124unique_dim_cuda_templateIfEESt5tupleIJNSH_6TensorESM_SM_EERKSM_lbbbEUlllE0_EEPmJS6_EEE10hipError_tPvRmT3_T4_T5_T6_T7_T9_mT8_P12ihipStream_tbDpT10_ENKUlT_T0_E_clISt17integral_constantIbLb0EES1B_IbLb1EEEEDaS17_S18_EUlS17_E_NS1_11comp_targetILNS1_3genE0ELNS1_11target_archE4294967295ELNS1_3gpuE0ELNS1_3repE0EEENS1_30default_config_static_selectorELNS0_4arch9wavefront6targetE0EEEvT1_,comdat
.Lfunc_end953:
	.size	_ZN7rocprim17ROCPRIM_400000_NS6detail17trampoline_kernelINS0_14default_configENS1_25partition_config_selectorILNS1_17partition_subalgoE8ElNS0_10empty_typeEbEEZZNS1_14partition_implILS5_8ELb0ES3_jPlPS6_PKS6_NS0_5tupleIJS9_S6_EEENSD_IJSA_SA_EEENS0_18inequality_wrapperIZN2at6native12_GLOBAL__N_124unique_dim_cuda_templateIfEESt5tupleIJNSH_6TensorESM_SM_EERKSM_lbbbEUlllE0_EEPmJS6_EEE10hipError_tPvRmT3_T4_T5_T6_T7_T9_mT8_P12ihipStream_tbDpT10_ENKUlT_T0_E_clISt17integral_constantIbLb0EES1B_IbLb1EEEEDaS17_S18_EUlS17_E_NS1_11comp_targetILNS1_3genE0ELNS1_11target_archE4294967295ELNS1_3gpuE0ELNS1_3repE0EEENS1_30default_config_static_selectorELNS0_4arch9wavefront6targetE0EEEvT1_, .Lfunc_end953-_ZN7rocprim17ROCPRIM_400000_NS6detail17trampoline_kernelINS0_14default_configENS1_25partition_config_selectorILNS1_17partition_subalgoE8ElNS0_10empty_typeEbEEZZNS1_14partition_implILS5_8ELb0ES3_jPlPS6_PKS6_NS0_5tupleIJS9_S6_EEENSD_IJSA_SA_EEENS0_18inequality_wrapperIZN2at6native12_GLOBAL__N_124unique_dim_cuda_templateIfEESt5tupleIJNSH_6TensorESM_SM_EERKSM_lbbbEUlllE0_EEPmJS6_EEE10hipError_tPvRmT3_T4_T5_T6_T7_T9_mT8_P12ihipStream_tbDpT10_ENKUlT_T0_E_clISt17integral_constantIbLb0EES1B_IbLb1EEEEDaS17_S18_EUlS17_E_NS1_11comp_targetILNS1_3genE0ELNS1_11target_archE4294967295ELNS1_3gpuE0ELNS1_3repE0EEENS1_30default_config_static_selectorELNS0_4arch9wavefront6targetE0EEEvT1_
                                        ; -- End function
	.section	.AMDGPU.csdata,"",@progbits
; Kernel info:
; codeLenInByte = 0
; NumSgprs: 0
; NumVgprs: 0
; ScratchSize: 0
; MemoryBound: 0
; FloatMode: 240
; IeeeMode: 1
; LDSByteSize: 0 bytes/workgroup (compile time only)
; SGPRBlocks: 0
; VGPRBlocks: 0
; NumSGPRsForWavesPerEU: 1
; NumVGPRsForWavesPerEU: 1
; Occupancy: 16
; WaveLimiterHint : 0
; COMPUTE_PGM_RSRC2:SCRATCH_EN: 0
; COMPUTE_PGM_RSRC2:USER_SGPR: 15
; COMPUTE_PGM_RSRC2:TRAP_HANDLER: 0
; COMPUTE_PGM_RSRC2:TGID_X_EN: 1
; COMPUTE_PGM_RSRC2:TGID_Y_EN: 0
; COMPUTE_PGM_RSRC2:TGID_Z_EN: 0
; COMPUTE_PGM_RSRC2:TIDIG_COMP_CNT: 0
	.section	.text._ZN7rocprim17ROCPRIM_400000_NS6detail17trampoline_kernelINS0_14default_configENS1_25partition_config_selectorILNS1_17partition_subalgoE8ElNS0_10empty_typeEbEEZZNS1_14partition_implILS5_8ELb0ES3_jPlPS6_PKS6_NS0_5tupleIJS9_S6_EEENSD_IJSA_SA_EEENS0_18inequality_wrapperIZN2at6native12_GLOBAL__N_124unique_dim_cuda_templateIfEESt5tupleIJNSH_6TensorESM_SM_EERKSM_lbbbEUlllE0_EEPmJS6_EEE10hipError_tPvRmT3_T4_T5_T6_T7_T9_mT8_P12ihipStream_tbDpT10_ENKUlT_T0_E_clISt17integral_constantIbLb0EES1B_IbLb1EEEEDaS17_S18_EUlS17_E_NS1_11comp_targetILNS1_3genE5ELNS1_11target_archE942ELNS1_3gpuE9ELNS1_3repE0EEENS1_30default_config_static_selectorELNS0_4arch9wavefront6targetE0EEEvT1_,"axG",@progbits,_ZN7rocprim17ROCPRIM_400000_NS6detail17trampoline_kernelINS0_14default_configENS1_25partition_config_selectorILNS1_17partition_subalgoE8ElNS0_10empty_typeEbEEZZNS1_14partition_implILS5_8ELb0ES3_jPlPS6_PKS6_NS0_5tupleIJS9_S6_EEENSD_IJSA_SA_EEENS0_18inequality_wrapperIZN2at6native12_GLOBAL__N_124unique_dim_cuda_templateIfEESt5tupleIJNSH_6TensorESM_SM_EERKSM_lbbbEUlllE0_EEPmJS6_EEE10hipError_tPvRmT3_T4_T5_T6_T7_T9_mT8_P12ihipStream_tbDpT10_ENKUlT_T0_E_clISt17integral_constantIbLb0EES1B_IbLb1EEEEDaS17_S18_EUlS17_E_NS1_11comp_targetILNS1_3genE5ELNS1_11target_archE942ELNS1_3gpuE9ELNS1_3repE0EEENS1_30default_config_static_selectorELNS0_4arch9wavefront6targetE0EEEvT1_,comdat
	.globl	_ZN7rocprim17ROCPRIM_400000_NS6detail17trampoline_kernelINS0_14default_configENS1_25partition_config_selectorILNS1_17partition_subalgoE8ElNS0_10empty_typeEbEEZZNS1_14partition_implILS5_8ELb0ES3_jPlPS6_PKS6_NS0_5tupleIJS9_S6_EEENSD_IJSA_SA_EEENS0_18inequality_wrapperIZN2at6native12_GLOBAL__N_124unique_dim_cuda_templateIfEESt5tupleIJNSH_6TensorESM_SM_EERKSM_lbbbEUlllE0_EEPmJS6_EEE10hipError_tPvRmT3_T4_T5_T6_T7_T9_mT8_P12ihipStream_tbDpT10_ENKUlT_T0_E_clISt17integral_constantIbLb0EES1B_IbLb1EEEEDaS17_S18_EUlS17_E_NS1_11comp_targetILNS1_3genE5ELNS1_11target_archE942ELNS1_3gpuE9ELNS1_3repE0EEENS1_30default_config_static_selectorELNS0_4arch9wavefront6targetE0EEEvT1_ ; -- Begin function _ZN7rocprim17ROCPRIM_400000_NS6detail17trampoline_kernelINS0_14default_configENS1_25partition_config_selectorILNS1_17partition_subalgoE8ElNS0_10empty_typeEbEEZZNS1_14partition_implILS5_8ELb0ES3_jPlPS6_PKS6_NS0_5tupleIJS9_S6_EEENSD_IJSA_SA_EEENS0_18inequality_wrapperIZN2at6native12_GLOBAL__N_124unique_dim_cuda_templateIfEESt5tupleIJNSH_6TensorESM_SM_EERKSM_lbbbEUlllE0_EEPmJS6_EEE10hipError_tPvRmT3_T4_T5_T6_T7_T9_mT8_P12ihipStream_tbDpT10_ENKUlT_T0_E_clISt17integral_constantIbLb0EES1B_IbLb1EEEEDaS17_S18_EUlS17_E_NS1_11comp_targetILNS1_3genE5ELNS1_11target_archE942ELNS1_3gpuE9ELNS1_3repE0EEENS1_30default_config_static_selectorELNS0_4arch9wavefront6targetE0EEEvT1_
	.p2align	8
	.type	_ZN7rocprim17ROCPRIM_400000_NS6detail17trampoline_kernelINS0_14default_configENS1_25partition_config_selectorILNS1_17partition_subalgoE8ElNS0_10empty_typeEbEEZZNS1_14partition_implILS5_8ELb0ES3_jPlPS6_PKS6_NS0_5tupleIJS9_S6_EEENSD_IJSA_SA_EEENS0_18inequality_wrapperIZN2at6native12_GLOBAL__N_124unique_dim_cuda_templateIfEESt5tupleIJNSH_6TensorESM_SM_EERKSM_lbbbEUlllE0_EEPmJS6_EEE10hipError_tPvRmT3_T4_T5_T6_T7_T9_mT8_P12ihipStream_tbDpT10_ENKUlT_T0_E_clISt17integral_constantIbLb0EES1B_IbLb1EEEEDaS17_S18_EUlS17_E_NS1_11comp_targetILNS1_3genE5ELNS1_11target_archE942ELNS1_3gpuE9ELNS1_3repE0EEENS1_30default_config_static_selectorELNS0_4arch9wavefront6targetE0EEEvT1_,@function
_ZN7rocprim17ROCPRIM_400000_NS6detail17trampoline_kernelINS0_14default_configENS1_25partition_config_selectorILNS1_17partition_subalgoE8ElNS0_10empty_typeEbEEZZNS1_14partition_implILS5_8ELb0ES3_jPlPS6_PKS6_NS0_5tupleIJS9_S6_EEENSD_IJSA_SA_EEENS0_18inequality_wrapperIZN2at6native12_GLOBAL__N_124unique_dim_cuda_templateIfEESt5tupleIJNSH_6TensorESM_SM_EERKSM_lbbbEUlllE0_EEPmJS6_EEE10hipError_tPvRmT3_T4_T5_T6_T7_T9_mT8_P12ihipStream_tbDpT10_ENKUlT_T0_E_clISt17integral_constantIbLb0EES1B_IbLb1EEEEDaS17_S18_EUlS17_E_NS1_11comp_targetILNS1_3genE5ELNS1_11target_archE942ELNS1_3gpuE9ELNS1_3repE0EEENS1_30default_config_static_selectorELNS0_4arch9wavefront6targetE0EEEvT1_: ; @_ZN7rocprim17ROCPRIM_400000_NS6detail17trampoline_kernelINS0_14default_configENS1_25partition_config_selectorILNS1_17partition_subalgoE8ElNS0_10empty_typeEbEEZZNS1_14partition_implILS5_8ELb0ES3_jPlPS6_PKS6_NS0_5tupleIJS9_S6_EEENSD_IJSA_SA_EEENS0_18inequality_wrapperIZN2at6native12_GLOBAL__N_124unique_dim_cuda_templateIfEESt5tupleIJNSH_6TensorESM_SM_EERKSM_lbbbEUlllE0_EEPmJS6_EEE10hipError_tPvRmT3_T4_T5_T6_T7_T9_mT8_P12ihipStream_tbDpT10_ENKUlT_T0_E_clISt17integral_constantIbLb0EES1B_IbLb1EEEEDaS17_S18_EUlS17_E_NS1_11comp_targetILNS1_3genE5ELNS1_11target_archE942ELNS1_3gpuE9ELNS1_3repE0EEENS1_30default_config_static_selectorELNS0_4arch9wavefront6targetE0EEEvT1_
; %bb.0:
	.section	.rodata,"a",@progbits
	.p2align	6, 0x0
	.amdhsa_kernel _ZN7rocprim17ROCPRIM_400000_NS6detail17trampoline_kernelINS0_14default_configENS1_25partition_config_selectorILNS1_17partition_subalgoE8ElNS0_10empty_typeEbEEZZNS1_14partition_implILS5_8ELb0ES3_jPlPS6_PKS6_NS0_5tupleIJS9_S6_EEENSD_IJSA_SA_EEENS0_18inequality_wrapperIZN2at6native12_GLOBAL__N_124unique_dim_cuda_templateIfEESt5tupleIJNSH_6TensorESM_SM_EERKSM_lbbbEUlllE0_EEPmJS6_EEE10hipError_tPvRmT3_T4_T5_T6_T7_T9_mT8_P12ihipStream_tbDpT10_ENKUlT_T0_E_clISt17integral_constantIbLb0EES1B_IbLb1EEEEDaS17_S18_EUlS17_E_NS1_11comp_targetILNS1_3genE5ELNS1_11target_archE942ELNS1_3gpuE9ELNS1_3repE0EEENS1_30default_config_static_selectorELNS0_4arch9wavefront6targetE0EEEvT1_
		.amdhsa_group_segment_fixed_size 0
		.amdhsa_private_segment_fixed_size 0
		.amdhsa_kernarg_size 136
		.amdhsa_user_sgpr_count 15
		.amdhsa_user_sgpr_dispatch_ptr 0
		.amdhsa_user_sgpr_queue_ptr 0
		.amdhsa_user_sgpr_kernarg_segment_ptr 1
		.amdhsa_user_sgpr_dispatch_id 0
		.amdhsa_user_sgpr_private_segment_size 0
		.amdhsa_wavefront_size32 1
		.amdhsa_uses_dynamic_stack 0
		.amdhsa_enable_private_segment 0
		.amdhsa_system_sgpr_workgroup_id_x 1
		.amdhsa_system_sgpr_workgroup_id_y 0
		.amdhsa_system_sgpr_workgroup_id_z 0
		.amdhsa_system_sgpr_workgroup_info 0
		.amdhsa_system_vgpr_workitem_id 0
		.amdhsa_next_free_vgpr 1
		.amdhsa_next_free_sgpr 1
		.amdhsa_reserve_vcc 0
		.amdhsa_float_round_mode_32 0
		.amdhsa_float_round_mode_16_64 0
		.amdhsa_float_denorm_mode_32 3
		.amdhsa_float_denorm_mode_16_64 3
		.amdhsa_dx10_clamp 1
		.amdhsa_ieee_mode 1
		.amdhsa_fp16_overflow 0
		.amdhsa_workgroup_processor_mode 1
		.amdhsa_memory_ordered 1
		.amdhsa_forward_progress 0
		.amdhsa_shared_vgpr_count 0
		.amdhsa_exception_fp_ieee_invalid_op 0
		.amdhsa_exception_fp_denorm_src 0
		.amdhsa_exception_fp_ieee_div_zero 0
		.amdhsa_exception_fp_ieee_overflow 0
		.amdhsa_exception_fp_ieee_underflow 0
		.amdhsa_exception_fp_ieee_inexact 0
		.amdhsa_exception_int_div_zero 0
	.end_amdhsa_kernel
	.section	.text._ZN7rocprim17ROCPRIM_400000_NS6detail17trampoline_kernelINS0_14default_configENS1_25partition_config_selectorILNS1_17partition_subalgoE8ElNS0_10empty_typeEbEEZZNS1_14partition_implILS5_8ELb0ES3_jPlPS6_PKS6_NS0_5tupleIJS9_S6_EEENSD_IJSA_SA_EEENS0_18inequality_wrapperIZN2at6native12_GLOBAL__N_124unique_dim_cuda_templateIfEESt5tupleIJNSH_6TensorESM_SM_EERKSM_lbbbEUlllE0_EEPmJS6_EEE10hipError_tPvRmT3_T4_T5_T6_T7_T9_mT8_P12ihipStream_tbDpT10_ENKUlT_T0_E_clISt17integral_constantIbLb0EES1B_IbLb1EEEEDaS17_S18_EUlS17_E_NS1_11comp_targetILNS1_3genE5ELNS1_11target_archE942ELNS1_3gpuE9ELNS1_3repE0EEENS1_30default_config_static_selectorELNS0_4arch9wavefront6targetE0EEEvT1_,"axG",@progbits,_ZN7rocprim17ROCPRIM_400000_NS6detail17trampoline_kernelINS0_14default_configENS1_25partition_config_selectorILNS1_17partition_subalgoE8ElNS0_10empty_typeEbEEZZNS1_14partition_implILS5_8ELb0ES3_jPlPS6_PKS6_NS0_5tupleIJS9_S6_EEENSD_IJSA_SA_EEENS0_18inequality_wrapperIZN2at6native12_GLOBAL__N_124unique_dim_cuda_templateIfEESt5tupleIJNSH_6TensorESM_SM_EERKSM_lbbbEUlllE0_EEPmJS6_EEE10hipError_tPvRmT3_T4_T5_T6_T7_T9_mT8_P12ihipStream_tbDpT10_ENKUlT_T0_E_clISt17integral_constantIbLb0EES1B_IbLb1EEEEDaS17_S18_EUlS17_E_NS1_11comp_targetILNS1_3genE5ELNS1_11target_archE942ELNS1_3gpuE9ELNS1_3repE0EEENS1_30default_config_static_selectorELNS0_4arch9wavefront6targetE0EEEvT1_,comdat
.Lfunc_end954:
	.size	_ZN7rocprim17ROCPRIM_400000_NS6detail17trampoline_kernelINS0_14default_configENS1_25partition_config_selectorILNS1_17partition_subalgoE8ElNS0_10empty_typeEbEEZZNS1_14partition_implILS5_8ELb0ES3_jPlPS6_PKS6_NS0_5tupleIJS9_S6_EEENSD_IJSA_SA_EEENS0_18inequality_wrapperIZN2at6native12_GLOBAL__N_124unique_dim_cuda_templateIfEESt5tupleIJNSH_6TensorESM_SM_EERKSM_lbbbEUlllE0_EEPmJS6_EEE10hipError_tPvRmT3_T4_T5_T6_T7_T9_mT8_P12ihipStream_tbDpT10_ENKUlT_T0_E_clISt17integral_constantIbLb0EES1B_IbLb1EEEEDaS17_S18_EUlS17_E_NS1_11comp_targetILNS1_3genE5ELNS1_11target_archE942ELNS1_3gpuE9ELNS1_3repE0EEENS1_30default_config_static_selectorELNS0_4arch9wavefront6targetE0EEEvT1_, .Lfunc_end954-_ZN7rocprim17ROCPRIM_400000_NS6detail17trampoline_kernelINS0_14default_configENS1_25partition_config_selectorILNS1_17partition_subalgoE8ElNS0_10empty_typeEbEEZZNS1_14partition_implILS5_8ELb0ES3_jPlPS6_PKS6_NS0_5tupleIJS9_S6_EEENSD_IJSA_SA_EEENS0_18inequality_wrapperIZN2at6native12_GLOBAL__N_124unique_dim_cuda_templateIfEESt5tupleIJNSH_6TensorESM_SM_EERKSM_lbbbEUlllE0_EEPmJS6_EEE10hipError_tPvRmT3_T4_T5_T6_T7_T9_mT8_P12ihipStream_tbDpT10_ENKUlT_T0_E_clISt17integral_constantIbLb0EES1B_IbLb1EEEEDaS17_S18_EUlS17_E_NS1_11comp_targetILNS1_3genE5ELNS1_11target_archE942ELNS1_3gpuE9ELNS1_3repE0EEENS1_30default_config_static_selectorELNS0_4arch9wavefront6targetE0EEEvT1_
                                        ; -- End function
	.section	.AMDGPU.csdata,"",@progbits
; Kernel info:
; codeLenInByte = 0
; NumSgprs: 0
; NumVgprs: 0
; ScratchSize: 0
; MemoryBound: 0
; FloatMode: 240
; IeeeMode: 1
; LDSByteSize: 0 bytes/workgroup (compile time only)
; SGPRBlocks: 0
; VGPRBlocks: 0
; NumSGPRsForWavesPerEU: 1
; NumVGPRsForWavesPerEU: 1
; Occupancy: 16
; WaveLimiterHint : 0
; COMPUTE_PGM_RSRC2:SCRATCH_EN: 0
; COMPUTE_PGM_RSRC2:USER_SGPR: 15
; COMPUTE_PGM_RSRC2:TRAP_HANDLER: 0
; COMPUTE_PGM_RSRC2:TGID_X_EN: 1
; COMPUTE_PGM_RSRC2:TGID_Y_EN: 0
; COMPUTE_PGM_RSRC2:TGID_Z_EN: 0
; COMPUTE_PGM_RSRC2:TIDIG_COMP_CNT: 0
	.section	.text._ZN7rocprim17ROCPRIM_400000_NS6detail17trampoline_kernelINS0_14default_configENS1_25partition_config_selectorILNS1_17partition_subalgoE8ElNS0_10empty_typeEbEEZZNS1_14partition_implILS5_8ELb0ES3_jPlPS6_PKS6_NS0_5tupleIJS9_S6_EEENSD_IJSA_SA_EEENS0_18inequality_wrapperIZN2at6native12_GLOBAL__N_124unique_dim_cuda_templateIfEESt5tupleIJNSH_6TensorESM_SM_EERKSM_lbbbEUlllE0_EEPmJS6_EEE10hipError_tPvRmT3_T4_T5_T6_T7_T9_mT8_P12ihipStream_tbDpT10_ENKUlT_T0_E_clISt17integral_constantIbLb0EES1B_IbLb1EEEEDaS17_S18_EUlS17_E_NS1_11comp_targetILNS1_3genE4ELNS1_11target_archE910ELNS1_3gpuE8ELNS1_3repE0EEENS1_30default_config_static_selectorELNS0_4arch9wavefront6targetE0EEEvT1_,"axG",@progbits,_ZN7rocprim17ROCPRIM_400000_NS6detail17trampoline_kernelINS0_14default_configENS1_25partition_config_selectorILNS1_17partition_subalgoE8ElNS0_10empty_typeEbEEZZNS1_14partition_implILS5_8ELb0ES3_jPlPS6_PKS6_NS0_5tupleIJS9_S6_EEENSD_IJSA_SA_EEENS0_18inequality_wrapperIZN2at6native12_GLOBAL__N_124unique_dim_cuda_templateIfEESt5tupleIJNSH_6TensorESM_SM_EERKSM_lbbbEUlllE0_EEPmJS6_EEE10hipError_tPvRmT3_T4_T5_T6_T7_T9_mT8_P12ihipStream_tbDpT10_ENKUlT_T0_E_clISt17integral_constantIbLb0EES1B_IbLb1EEEEDaS17_S18_EUlS17_E_NS1_11comp_targetILNS1_3genE4ELNS1_11target_archE910ELNS1_3gpuE8ELNS1_3repE0EEENS1_30default_config_static_selectorELNS0_4arch9wavefront6targetE0EEEvT1_,comdat
	.globl	_ZN7rocprim17ROCPRIM_400000_NS6detail17trampoline_kernelINS0_14default_configENS1_25partition_config_selectorILNS1_17partition_subalgoE8ElNS0_10empty_typeEbEEZZNS1_14partition_implILS5_8ELb0ES3_jPlPS6_PKS6_NS0_5tupleIJS9_S6_EEENSD_IJSA_SA_EEENS0_18inequality_wrapperIZN2at6native12_GLOBAL__N_124unique_dim_cuda_templateIfEESt5tupleIJNSH_6TensorESM_SM_EERKSM_lbbbEUlllE0_EEPmJS6_EEE10hipError_tPvRmT3_T4_T5_T6_T7_T9_mT8_P12ihipStream_tbDpT10_ENKUlT_T0_E_clISt17integral_constantIbLb0EES1B_IbLb1EEEEDaS17_S18_EUlS17_E_NS1_11comp_targetILNS1_3genE4ELNS1_11target_archE910ELNS1_3gpuE8ELNS1_3repE0EEENS1_30default_config_static_selectorELNS0_4arch9wavefront6targetE0EEEvT1_ ; -- Begin function _ZN7rocprim17ROCPRIM_400000_NS6detail17trampoline_kernelINS0_14default_configENS1_25partition_config_selectorILNS1_17partition_subalgoE8ElNS0_10empty_typeEbEEZZNS1_14partition_implILS5_8ELb0ES3_jPlPS6_PKS6_NS0_5tupleIJS9_S6_EEENSD_IJSA_SA_EEENS0_18inequality_wrapperIZN2at6native12_GLOBAL__N_124unique_dim_cuda_templateIfEESt5tupleIJNSH_6TensorESM_SM_EERKSM_lbbbEUlllE0_EEPmJS6_EEE10hipError_tPvRmT3_T4_T5_T6_T7_T9_mT8_P12ihipStream_tbDpT10_ENKUlT_T0_E_clISt17integral_constantIbLb0EES1B_IbLb1EEEEDaS17_S18_EUlS17_E_NS1_11comp_targetILNS1_3genE4ELNS1_11target_archE910ELNS1_3gpuE8ELNS1_3repE0EEENS1_30default_config_static_selectorELNS0_4arch9wavefront6targetE0EEEvT1_
	.p2align	8
	.type	_ZN7rocprim17ROCPRIM_400000_NS6detail17trampoline_kernelINS0_14default_configENS1_25partition_config_selectorILNS1_17partition_subalgoE8ElNS0_10empty_typeEbEEZZNS1_14partition_implILS5_8ELb0ES3_jPlPS6_PKS6_NS0_5tupleIJS9_S6_EEENSD_IJSA_SA_EEENS0_18inequality_wrapperIZN2at6native12_GLOBAL__N_124unique_dim_cuda_templateIfEESt5tupleIJNSH_6TensorESM_SM_EERKSM_lbbbEUlllE0_EEPmJS6_EEE10hipError_tPvRmT3_T4_T5_T6_T7_T9_mT8_P12ihipStream_tbDpT10_ENKUlT_T0_E_clISt17integral_constantIbLb0EES1B_IbLb1EEEEDaS17_S18_EUlS17_E_NS1_11comp_targetILNS1_3genE4ELNS1_11target_archE910ELNS1_3gpuE8ELNS1_3repE0EEENS1_30default_config_static_selectorELNS0_4arch9wavefront6targetE0EEEvT1_,@function
_ZN7rocprim17ROCPRIM_400000_NS6detail17trampoline_kernelINS0_14default_configENS1_25partition_config_selectorILNS1_17partition_subalgoE8ElNS0_10empty_typeEbEEZZNS1_14partition_implILS5_8ELb0ES3_jPlPS6_PKS6_NS0_5tupleIJS9_S6_EEENSD_IJSA_SA_EEENS0_18inequality_wrapperIZN2at6native12_GLOBAL__N_124unique_dim_cuda_templateIfEESt5tupleIJNSH_6TensorESM_SM_EERKSM_lbbbEUlllE0_EEPmJS6_EEE10hipError_tPvRmT3_T4_T5_T6_T7_T9_mT8_P12ihipStream_tbDpT10_ENKUlT_T0_E_clISt17integral_constantIbLb0EES1B_IbLb1EEEEDaS17_S18_EUlS17_E_NS1_11comp_targetILNS1_3genE4ELNS1_11target_archE910ELNS1_3gpuE8ELNS1_3repE0EEENS1_30default_config_static_selectorELNS0_4arch9wavefront6targetE0EEEvT1_: ; @_ZN7rocprim17ROCPRIM_400000_NS6detail17trampoline_kernelINS0_14default_configENS1_25partition_config_selectorILNS1_17partition_subalgoE8ElNS0_10empty_typeEbEEZZNS1_14partition_implILS5_8ELb0ES3_jPlPS6_PKS6_NS0_5tupleIJS9_S6_EEENSD_IJSA_SA_EEENS0_18inequality_wrapperIZN2at6native12_GLOBAL__N_124unique_dim_cuda_templateIfEESt5tupleIJNSH_6TensorESM_SM_EERKSM_lbbbEUlllE0_EEPmJS6_EEE10hipError_tPvRmT3_T4_T5_T6_T7_T9_mT8_P12ihipStream_tbDpT10_ENKUlT_T0_E_clISt17integral_constantIbLb0EES1B_IbLb1EEEEDaS17_S18_EUlS17_E_NS1_11comp_targetILNS1_3genE4ELNS1_11target_archE910ELNS1_3gpuE8ELNS1_3repE0EEENS1_30default_config_static_selectorELNS0_4arch9wavefront6targetE0EEEvT1_
; %bb.0:
	.section	.rodata,"a",@progbits
	.p2align	6, 0x0
	.amdhsa_kernel _ZN7rocprim17ROCPRIM_400000_NS6detail17trampoline_kernelINS0_14default_configENS1_25partition_config_selectorILNS1_17partition_subalgoE8ElNS0_10empty_typeEbEEZZNS1_14partition_implILS5_8ELb0ES3_jPlPS6_PKS6_NS0_5tupleIJS9_S6_EEENSD_IJSA_SA_EEENS0_18inequality_wrapperIZN2at6native12_GLOBAL__N_124unique_dim_cuda_templateIfEESt5tupleIJNSH_6TensorESM_SM_EERKSM_lbbbEUlllE0_EEPmJS6_EEE10hipError_tPvRmT3_T4_T5_T6_T7_T9_mT8_P12ihipStream_tbDpT10_ENKUlT_T0_E_clISt17integral_constantIbLb0EES1B_IbLb1EEEEDaS17_S18_EUlS17_E_NS1_11comp_targetILNS1_3genE4ELNS1_11target_archE910ELNS1_3gpuE8ELNS1_3repE0EEENS1_30default_config_static_selectorELNS0_4arch9wavefront6targetE0EEEvT1_
		.amdhsa_group_segment_fixed_size 0
		.amdhsa_private_segment_fixed_size 0
		.amdhsa_kernarg_size 136
		.amdhsa_user_sgpr_count 15
		.amdhsa_user_sgpr_dispatch_ptr 0
		.amdhsa_user_sgpr_queue_ptr 0
		.amdhsa_user_sgpr_kernarg_segment_ptr 1
		.amdhsa_user_sgpr_dispatch_id 0
		.amdhsa_user_sgpr_private_segment_size 0
		.amdhsa_wavefront_size32 1
		.amdhsa_uses_dynamic_stack 0
		.amdhsa_enable_private_segment 0
		.amdhsa_system_sgpr_workgroup_id_x 1
		.amdhsa_system_sgpr_workgroup_id_y 0
		.amdhsa_system_sgpr_workgroup_id_z 0
		.amdhsa_system_sgpr_workgroup_info 0
		.amdhsa_system_vgpr_workitem_id 0
		.amdhsa_next_free_vgpr 1
		.amdhsa_next_free_sgpr 1
		.amdhsa_reserve_vcc 0
		.amdhsa_float_round_mode_32 0
		.amdhsa_float_round_mode_16_64 0
		.amdhsa_float_denorm_mode_32 3
		.amdhsa_float_denorm_mode_16_64 3
		.amdhsa_dx10_clamp 1
		.amdhsa_ieee_mode 1
		.amdhsa_fp16_overflow 0
		.amdhsa_workgroup_processor_mode 1
		.amdhsa_memory_ordered 1
		.amdhsa_forward_progress 0
		.amdhsa_shared_vgpr_count 0
		.amdhsa_exception_fp_ieee_invalid_op 0
		.amdhsa_exception_fp_denorm_src 0
		.amdhsa_exception_fp_ieee_div_zero 0
		.amdhsa_exception_fp_ieee_overflow 0
		.amdhsa_exception_fp_ieee_underflow 0
		.amdhsa_exception_fp_ieee_inexact 0
		.amdhsa_exception_int_div_zero 0
	.end_amdhsa_kernel
	.section	.text._ZN7rocprim17ROCPRIM_400000_NS6detail17trampoline_kernelINS0_14default_configENS1_25partition_config_selectorILNS1_17partition_subalgoE8ElNS0_10empty_typeEbEEZZNS1_14partition_implILS5_8ELb0ES3_jPlPS6_PKS6_NS0_5tupleIJS9_S6_EEENSD_IJSA_SA_EEENS0_18inequality_wrapperIZN2at6native12_GLOBAL__N_124unique_dim_cuda_templateIfEESt5tupleIJNSH_6TensorESM_SM_EERKSM_lbbbEUlllE0_EEPmJS6_EEE10hipError_tPvRmT3_T4_T5_T6_T7_T9_mT8_P12ihipStream_tbDpT10_ENKUlT_T0_E_clISt17integral_constantIbLb0EES1B_IbLb1EEEEDaS17_S18_EUlS17_E_NS1_11comp_targetILNS1_3genE4ELNS1_11target_archE910ELNS1_3gpuE8ELNS1_3repE0EEENS1_30default_config_static_selectorELNS0_4arch9wavefront6targetE0EEEvT1_,"axG",@progbits,_ZN7rocprim17ROCPRIM_400000_NS6detail17trampoline_kernelINS0_14default_configENS1_25partition_config_selectorILNS1_17partition_subalgoE8ElNS0_10empty_typeEbEEZZNS1_14partition_implILS5_8ELb0ES3_jPlPS6_PKS6_NS0_5tupleIJS9_S6_EEENSD_IJSA_SA_EEENS0_18inequality_wrapperIZN2at6native12_GLOBAL__N_124unique_dim_cuda_templateIfEESt5tupleIJNSH_6TensorESM_SM_EERKSM_lbbbEUlllE0_EEPmJS6_EEE10hipError_tPvRmT3_T4_T5_T6_T7_T9_mT8_P12ihipStream_tbDpT10_ENKUlT_T0_E_clISt17integral_constantIbLb0EES1B_IbLb1EEEEDaS17_S18_EUlS17_E_NS1_11comp_targetILNS1_3genE4ELNS1_11target_archE910ELNS1_3gpuE8ELNS1_3repE0EEENS1_30default_config_static_selectorELNS0_4arch9wavefront6targetE0EEEvT1_,comdat
.Lfunc_end955:
	.size	_ZN7rocprim17ROCPRIM_400000_NS6detail17trampoline_kernelINS0_14default_configENS1_25partition_config_selectorILNS1_17partition_subalgoE8ElNS0_10empty_typeEbEEZZNS1_14partition_implILS5_8ELb0ES3_jPlPS6_PKS6_NS0_5tupleIJS9_S6_EEENSD_IJSA_SA_EEENS0_18inequality_wrapperIZN2at6native12_GLOBAL__N_124unique_dim_cuda_templateIfEESt5tupleIJNSH_6TensorESM_SM_EERKSM_lbbbEUlllE0_EEPmJS6_EEE10hipError_tPvRmT3_T4_T5_T6_T7_T9_mT8_P12ihipStream_tbDpT10_ENKUlT_T0_E_clISt17integral_constantIbLb0EES1B_IbLb1EEEEDaS17_S18_EUlS17_E_NS1_11comp_targetILNS1_3genE4ELNS1_11target_archE910ELNS1_3gpuE8ELNS1_3repE0EEENS1_30default_config_static_selectorELNS0_4arch9wavefront6targetE0EEEvT1_, .Lfunc_end955-_ZN7rocprim17ROCPRIM_400000_NS6detail17trampoline_kernelINS0_14default_configENS1_25partition_config_selectorILNS1_17partition_subalgoE8ElNS0_10empty_typeEbEEZZNS1_14partition_implILS5_8ELb0ES3_jPlPS6_PKS6_NS0_5tupleIJS9_S6_EEENSD_IJSA_SA_EEENS0_18inequality_wrapperIZN2at6native12_GLOBAL__N_124unique_dim_cuda_templateIfEESt5tupleIJNSH_6TensorESM_SM_EERKSM_lbbbEUlllE0_EEPmJS6_EEE10hipError_tPvRmT3_T4_T5_T6_T7_T9_mT8_P12ihipStream_tbDpT10_ENKUlT_T0_E_clISt17integral_constantIbLb0EES1B_IbLb1EEEEDaS17_S18_EUlS17_E_NS1_11comp_targetILNS1_3genE4ELNS1_11target_archE910ELNS1_3gpuE8ELNS1_3repE0EEENS1_30default_config_static_selectorELNS0_4arch9wavefront6targetE0EEEvT1_
                                        ; -- End function
	.section	.AMDGPU.csdata,"",@progbits
; Kernel info:
; codeLenInByte = 0
; NumSgprs: 0
; NumVgprs: 0
; ScratchSize: 0
; MemoryBound: 0
; FloatMode: 240
; IeeeMode: 1
; LDSByteSize: 0 bytes/workgroup (compile time only)
; SGPRBlocks: 0
; VGPRBlocks: 0
; NumSGPRsForWavesPerEU: 1
; NumVGPRsForWavesPerEU: 1
; Occupancy: 16
; WaveLimiterHint : 0
; COMPUTE_PGM_RSRC2:SCRATCH_EN: 0
; COMPUTE_PGM_RSRC2:USER_SGPR: 15
; COMPUTE_PGM_RSRC2:TRAP_HANDLER: 0
; COMPUTE_PGM_RSRC2:TGID_X_EN: 1
; COMPUTE_PGM_RSRC2:TGID_Y_EN: 0
; COMPUTE_PGM_RSRC2:TGID_Z_EN: 0
; COMPUTE_PGM_RSRC2:TIDIG_COMP_CNT: 0
	.section	.text._ZN7rocprim17ROCPRIM_400000_NS6detail17trampoline_kernelINS0_14default_configENS1_25partition_config_selectorILNS1_17partition_subalgoE8ElNS0_10empty_typeEbEEZZNS1_14partition_implILS5_8ELb0ES3_jPlPS6_PKS6_NS0_5tupleIJS9_S6_EEENSD_IJSA_SA_EEENS0_18inequality_wrapperIZN2at6native12_GLOBAL__N_124unique_dim_cuda_templateIfEESt5tupleIJNSH_6TensorESM_SM_EERKSM_lbbbEUlllE0_EEPmJS6_EEE10hipError_tPvRmT3_T4_T5_T6_T7_T9_mT8_P12ihipStream_tbDpT10_ENKUlT_T0_E_clISt17integral_constantIbLb0EES1B_IbLb1EEEEDaS17_S18_EUlS17_E_NS1_11comp_targetILNS1_3genE3ELNS1_11target_archE908ELNS1_3gpuE7ELNS1_3repE0EEENS1_30default_config_static_selectorELNS0_4arch9wavefront6targetE0EEEvT1_,"axG",@progbits,_ZN7rocprim17ROCPRIM_400000_NS6detail17trampoline_kernelINS0_14default_configENS1_25partition_config_selectorILNS1_17partition_subalgoE8ElNS0_10empty_typeEbEEZZNS1_14partition_implILS5_8ELb0ES3_jPlPS6_PKS6_NS0_5tupleIJS9_S6_EEENSD_IJSA_SA_EEENS0_18inequality_wrapperIZN2at6native12_GLOBAL__N_124unique_dim_cuda_templateIfEESt5tupleIJNSH_6TensorESM_SM_EERKSM_lbbbEUlllE0_EEPmJS6_EEE10hipError_tPvRmT3_T4_T5_T6_T7_T9_mT8_P12ihipStream_tbDpT10_ENKUlT_T0_E_clISt17integral_constantIbLb0EES1B_IbLb1EEEEDaS17_S18_EUlS17_E_NS1_11comp_targetILNS1_3genE3ELNS1_11target_archE908ELNS1_3gpuE7ELNS1_3repE0EEENS1_30default_config_static_selectorELNS0_4arch9wavefront6targetE0EEEvT1_,comdat
	.globl	_ZN7rocprim17ROCPRIM_400000_NS6detail17trampoline_kernelINS0_14default_configENS1_25partition_config_selectorILNS1_17partition_subalgoE8ElNS0_10empty_typeEbEEZZNS1_14partition_implILS5_8ELb0ES3_jPlPS6_PKS6_NS0_5tupleIJS9_S6_EEENSD_IJSA_SA_EEENS0_18inequality_wrapperIZN2at6native12_GLOBAL__N_124unique_dim_cuda_templateIfEESt5tupleIJNSH_6TensorESM_SM_EERKSM_lbbbEUlllE0_EEPmJS6_EEE10hipError_tPvRmT3_T4_T5_T6_T7_T9_mT8_P12ihipStream_tbDpT10_ENKUlT_T0_E_clISt17integral_constantIbLb0EES1B_IbLb1EEEEDaS17_S18_EUlS17_E_NS1_11comp_targetILNS1_3genE3ELNS1_11target_archE908ELNS1_3gpuE7ELNS1_3repE0EEENS1_30default_config_static_selectorELNS0_4arch9wavefront6targetE0EEEvT1_ ; -- Begin function _ZN7rocprim17ROCPRIM_400000_NS6detail17trampoline_kernelINS0_14default_configENS1_25partition_config_selectorILNS1_17partition_subalgoE8ElNS0_10empty_typeEbEEZZNS1_14partition_implILS5_8ELb0ES3_jPlPS6_PKS6_NS0_5tupleIJS9_S6_EEENSD_IJSA_SA_EEENS0_18inequality_wrapperIZN2at6native12_GLOBAL__N_124unique_dim_cuda_templateIfEESt5tupleIJNSH_6TensorESM_SM_EERKSM_lbbbEUlllE0_EEPmJS6_EEE10hipError_tPvRmT3_T4_T5_T6_T7_T9_mT8_P12ihipStream_tbDpT10_ENKUlT_T0_E_clISt17integral_constantIbLb0EES1B_IbLb1EEEEDaS17_S18_EUlS17_E_NS1_11comp_targetILNS1_3genE3ELNS1_11target_archE908ELNS1_3gpuE7ELNS1_3repE0EEENS1_30default_config_static_selectorELNS0_4arch9wavefront6targetE0EEEvT1_
	.p2align	8
	.type	_ZN7rocprim17ROCPRIM_400000_NS6detail17trampoline_kernelINS0_14default_configENS1_25partition_config_selectorILNS1_17partition_subalgoE8ElNS0_10empty_typeEbEEZZNS1_14partition_implILS5_8ELb0ES3_jPlPS6_PKS6_NS0_5tupleIJS9_S6_EEENSD_IJSA_SA_EEENS0_18inequality_wrapperIZN2at6native12_GLOBAL__N_124unique_dim_cuda_templateIfEESt5tupleIJNSH_6TensorESM_SM_EERKSM_lbbbEUlllE0_EEPmJS6_EEE10hipError_tPvRmT3_T4_T5_T6_T7_T9_mT8_P12ihipStream_tbDpT10_ENKUlT_T0_E_clISt17integral_constantIbLb0EES1B_IbLb1EEEEDaS17_S18_EUlS17_E_NS1_11comp_targetILNS1_3genE3ELNS1_11target_archE908ELNS1_3gpuE7ELNS1_3repE0EEENS1_30default_config_static_selectorELNS0_4arch9wavefront6targetE0EEEvT1_,@function
_ZN7rocprim17ROCPRIM_400000_NS6detail17trampoline_kernelINS0_14default_configENS1_25partition_config_selectorILNS1_17partition_subalgoE8ElNS0_10empty_typeEbEEZZNS1_14partition_implILS5_8ELb0ES3_jPlPS6_PKS6_NS0_5tupleIJS9_S6_EEENSD_IJSA_SA_EEENS0_18inequality_wrapperIZN2at6native12_GLOBAL__N_124unique_dim_cuda_templateIfEESt5tupleIJNSH_6TensorESM_SM_EERKSM_lbbbEUlllE0_EEPmJS6_EEE10hipError_tPvRmT3_T4_T5_T6_T7_T9_mT8_P12ihipStream_tbDpT10_ENKUlT_T0_E_clISt17integral_constantIbLb0EES1B_IbLb1EEEEDaS17_S18_EUlS17_E_NS1_11comp_targetILNS1_3genE3ELNS1_11target_archE908ELNS1_3gpuE7ELNS1_3repE0EEENS1_30default_config_static_selectorELNS0_4arch9wavefront6targetE0EEEvT1_: ; @_ZN7rocprim17ROCPRIM_400000_NS6detail17trampoline_kernelINS0_14default_configENS1_25partition_config_selectorILNS1_17partition_subalgoE8ElNS0_10empty_typeEbEEZZNS1_14partition_implILS5_8ELb0ES3_jPlPS6_PKS6_NS0_5tupleIJS9_S6_EEENSD_IJSA_SA_EEENS0_18inequality_wrapperIZN2at6native12_GLOBAL__N_124unique_dim_cuda_templateIfEESt5tupleIJNSH_6TensorESM_SM_EERKSM_lbbbEUlllE0_EEPmJS6_EEE10hipError_tPvRmT3_T4_T5_T6_T7_T9_mT8_P12ihipStream_tbDpT10_ENKUlT_T0_E_clISt17integral_constantIbLb0EES1B_IbLb1EEEEDaS17_S18_EUlS17_E_NS1_11comp_targetILNS1_3genE3ELNS1_11target_archE908ELNS1_3gpuE7ELNS1_3repE0EEENS1_30default_config_static_selectorELNS0_4arch9wavefront6targetE0EEEvT1_
; %bb.0:
	.section	.rodata,"a",@progbits
	.p2align	6, 0x0
	.amdhsa_kernel _ZN7rocprim17ROCPRIM_400000_NS6detail17trampoline_kernelINS0_14default_configENS1_25partition_config_selectorILNS1_17partition_subalgoE8ElNS0_10empty_typeEbEEZZNS1_14partition_implILS5_8ELb0ES3_jPlPS6_PKS6_NS0_5tupleIJS9_S6_EEENSD_IJSA_SA_EEENS0_18inequality_wrapperIZN2at6native12_GLOBAL__N_124unique_dim_cuda_templateIfEESt5tupleIJNSH_6TensorESM_SM_EERKSM_lbbbEUlllE0_EEPmJS6_EEE10hipError_tPvRmT3_T4_T5_T6_T7_T9_mT8_P12ihipStream_tbDpT10_ENKUlT_T0_E_clISt17integral_constantIbLb0EES1B_IbLb1EEEEDaS17_S18_EUlS17_E_NS1_11comp_targetILNS1_3genE3ELNS1_11target_archE908ELNS1_3gpuE7ELNS1_3repE0EEENS1_30default_config_static_selectorELNS0_4arch9wavefront6targetE0EEEvT1_
		.amdhsa_group_segment_fixed_size 0
		.amdhsa_private_segment_fixed_size 0
		.amdhsa_kernarg_size 136
		.amdhsa_user_sgpr_count 15
		.amdhsa_user_sgpr_dispatch_ptr 0
		.amdhsa_user_sgpr_queue_ptr 0
		.amdhsa_user_sgpr_kernarg_segment_ptr 1
		.amdhsa_user_sgpr_dispatch_id 0
		.amdhsa_user_sgpr_private_segment_size 0
		.amdhsa_wavefront_size32 1
		.amdhsa_uses_dynamic_stack 0
		.amdhsa_enable_private_segment 0
		.amdhsa_system_sgpr_workgroup_id_x 1
		.amdhsa_system_sgpr_workgroup_id_y 0
		.amdhsa_system_sgpr_workgroup_id_z 0
		.amdhsa_system_sgpr_workgroup_info 0
		.amdhsa_system_vgpr_workitem_id 0
		.amdhsa_next_free_vgpr 1
		.amdhsa_next_free_sgpr 1
		.amdhsa_reserve_vcc 0
		.amdhsa_float_round_mode_32 0
		.amdhsa_float_round_mode_16_64 0
		.amdhsa_float_denorm_mode_32 3
		.amdhsa_float_denorm_mode_16_64 3
		.amdhsa_dx10_clamp 1
		.amdhsa_ieee_mode 1
		.amdhsa_fp16_overflow 0
		.amdhsa_workgroup_processor_mode 1
		.amdhsa_memory_ordered 1
		.amdhsa_forward_progress 0
		.amdhsa_shared_vgpr_count 0
		.amdhsa_exception_fp_ieee_invalid_op 0
		.amdhsa_exception_fp_denorm_src 0
		.amdhsa_exception_fp_ieee_div_zero 0
		.amdhsa_exception_fp_ieee_overflow 0
		.amdhsa_exception_fp_ieee_underflow 0
		.amdhsa_exception_fp_ieee_inexact 0
		.amdhsa_exception_int_div_zero 0
	.end_amdhsa_kernel
	.section	.text._ZN7rocprim17ROCPRIM_400000_NS6detail17trampoline_kernelINS0_14default_configENS1_25partition_config_selectorILNS1_17partition_subalgoE8ElNS0_10empty_typeEbEEZZNS1_14partition_implILS5_8ELb0ES3_jPlPS6_PKS6_NS0_5tupleIJS9_S6_EEENSD_IJSA_SA_EEENS0_18inequality_wrapperIZN2at6native12_GLOBAL__N_124unique_dim_cuda_templateIfEESt5tupleIJNSH_6TensorESM_SM_EERKSM_lbbbEUlllE0_EEPmJS6_EEE10hipError_tPvRmT3_T4_T5_T6_T7_T9_mT8_P12ihipStream_tbDpT10_ENKUlT_T0_E_clISt17integral_constantIbLb0EES1B_IbLb1EEEEDaS17_S18_EUlS17_E_NS1_11comp_targetILNS1_3genE3ELNS1_11target_archE908ELNS1_3gpuE7ELNS1_3repE0EEENS1_30default_config_static_selectorELNS0_4arch9wavefront6targetE0EEEvT1_,"axG",@progbits,_ZN7rocprim17ROCPRIM_400000_NS6detail17trampoline_kernelINS0_14default_configENS1_25partition_config_selectorILNS1_17partition_subalgoE8ElNS0_10empty_typeEbEEZZNS1_14partition_implILS5_8ELb0ES3_jPlPS6_PKS6_NS0_5tupleIJS9_S6_EEENSD_IJSA_SA_EEENS0_18inequality_wrapperIZN2at6native12_GLOBAL__N_124unique_dim_cuda_templateIfEESt5tupleIJNSH_6TensorESM_SM_EERKSM_lbbbEUlllE0_EEPmJS6_EEE10hipError_tPvRmT3_T4_T5_T6_T7_T9_mT8_P12ihipStream_tbDpT10_ENKUlT_T0_E_clISt17integral_constantIbLb0EES1B_IbLb1EEEEDaS17_S18_EUlS17_E_NS1_11comp_targetILNS1_3genE3ELNS1_11target_archE908ELNS1_3gpuE7ELNS1_3repE0EEENS1_30default_config_static_selectorELNS0_4arch9wavefront6targetE0EEEvT1_,comdat
.Lfunc_end956:
	.size	_ZN7rocprim17ROCPRIM_400000_NS6detail17trampoline_kernelINS0_14default_configENS1_25partition_config_selectorILNS1_17partition_subalgoE8ElNS0_10empty_typeEbEEZZNS1_14partition_implILS5_8ELb0ES3_jPlPS6_PKS6_NS0_5tupleIJS9_S6_EEENSD_IJSA_SA_EEENS0_18inequality_wrapperIZN2at6native12_GLOBAL__N_124unique_dim_cuda_templateIfEESt5tupleIJNSH_6TensorESM_SM_EERKSM_lbbbEUlllE0_EEPmJS6_EEE10hipError_tPvRmT3_T4_T5_T6_T7_T9_mT8_P12ihipStream_tbDpT10_ENKUlT_T0_E_clISt17integral_constantIbLb0EES1B_IbLb1EEEEDaS17_S18_EUlS17_E_NS1_11comp_targetILNS1_3genE3ELNS1_11target_archE908ELNS1_3gpuE7ELNS1_3repE0EEENS1_30default_config_static_selectorELNS0_4arch9wavefront6targetE0EEEvT1_, .Lfunc_end956-_ZN7rocprim17ROCPRIM_400000_NS6detail17trampoline_kernelINS0_14default_configENS1_25partition_config_selectorILNS1_17partition_subalgoE8ElNS0_10empty_typeEbEEZZNS1_14partition_implILS5_8ELb0ES3_jPlPS6_PKS6_NS0_5tupleIJS9_S6_EEENSD_IJSA_SA_EEENS0_18inequality_wrapperIZN2at6native12_GLOBAL__N_124unique_dim_cuda_templateIfEESt5tupleIJNSH_6TensorESM_SM_EERKSM_lbbbEUlllE0_EEPmJS6_EEE10hipError_tPvRmT3_T4_T5_T6_T7_T9_mT8_P12ihipStream_tbDpT10_ENKUlT_T0_E_clISt17integral_constantIbLb0EES1B_IbLb1EEEEDaS17_S18_EUlS17_E_NS1_11comp_targetILNS1_3genE3ELNS1_11target_archE908ELNS1_3gpuE7ELNS1_3repE0EEENS1_30default_config_static_selectorELNS0_4arch9wavefront6targetE0EEEvT1_
                                        ; -- End function
	.section	.AMDGPU.csdata,"",@progbits
; Kernel info:
; codeLenInByte = 0
; NumSgprs: 0
; NumVgprs: 0
; ScratchSize: 0
; MemoryBound: 0
; FloatMode: 240
; IeeeMode: 1
; LDSByteSize: 0 bytes/workgroup (compile time only)
; SGPRBlocks: 0
; VGPRBlocks: 0
; NumSGPRsForWavesPerEU: 1
; NumVGPRsForWavesPerEU: 1
; Occupancy: 16
; WaveLimiterHint : 0
; COMPUTE_PGM_RSRC2:SCRATCH_EN: 0
; COMPUTE_PGM_RSRC2:USER_SGPR: 15
; COMPUTE_PGM_RSRC2:TRAP_HANDLER: 0
; COMPUTE_PGM_RSRC2:TGID_X_EN: 1
; COMPUTE_PGM_RSRC2:TGID_Y_EN: 0
; COMPUTE_PGM_RSRC2:TGID_Z_EN: 0
; COMPUTE_PGM_RSRC2:TIDIG_COMP_CNT: 0
	.section	.text._ZN7rocprim17ROCPRIM_400000_NS6detail17trampoline_kernelINS0_14default_configENS1_25partition_config_selectorILNS1_17partition_subalgoE8ElNS0_10empty_typeEbEEZZNS1_14partition_implILS5_8ELb0ES3_jPlPS6_PKS6_NS0_5tupleIJS9_S6_EEENSD_IJSA_SA_EEENS0_18inequality_wrapperIZN2at6native12_GLOBAL__N_124unique_dim_cuda_templateIfEESt5tupleIJNSH_6TensorESM_SM_EERKSM_lbbbEUlllE0_EEPmJS6_EEE10hipError_tPvRmT3_T4_T5_T6_T7_T9_mT8_P12ihipStream_tbDpT10_ENKUlT_T0_E_clISt17integral_constantIbLb0EES1B_IbLb1EEEEDaS17_S18_EUlS17_E_NS1_11comp_targetILNS1_3genE2ELNS1_11target_archE906ELNS1_3gpuE6ELNS1_3repE0EEENS1_30default_config_static_selectorELNS0_4arch9wavefront6targetE0EEEvT1_,"axG",@progbits,_ZN7rocprim17ROCPRIM_400000_NS6detail17trampoline_kernelINS0_14default_configENS1_25partition_config_selectorILNS1_17partition_subalgoE8ElNS0_10empty_typeEbEEZZNS1_14partition_implILS5_8ELb0ES3_jPlPS6_PKS6_NS0_5tupleIJS9_S6_EEENSD_IJSA_SA_EEENS0_18inequality_wrapperIZN2at6native12_GLOBAL__N_124unique_dim_cuda_templateIfEESt5tupleIJNSH_6TensorESM_SM_EERKSM_lbbbEUlllE0_EEPmJS6_EEE10hipError_tPvRmT3_T4_T5_T6_T7_T9_mT8_P12ihipStream_tbDpT10_ENKUlT_T0_E_clISt17integral_constantIbLb0EES1B_IbLb1EEEEDaS17_S18_EUlS17_E_NS1_11comp_targetILNS1_3genE2ELNS1_11target_archE906ELNS1_3gpuE6ELNS1_3repE0EEENS1_30default_config_static_selectorELNS0_4arch9wavefront6targetE0EEEvT1_,comdat
	.globl	_ZN7rocprim17ROCPRIM_400000_NS6detail17trampoline_kernelINS0_14default_configENS1_25partition_config_selectorILNS1_17partition_subalgoE8ElNS0_10empty_typeEbEEZZNS1_14partition_implILS5_8ELb0ES3_jPlPS6_PKS6_NS0_5tupleIJS9_S6_EEENSD_IJSA_SA_EEENS0_18inequality_wrapperIZN2at6native12_GLOBAL__N_124unique_dim_cuda_templateIfEESt5tupleIJNSH_6TensorESM_SM_EERKSM_lbbbEUlllE0_EEPmJS6_EEE10hipError_tPvRmT3_T4_T5_T6_T7_T9_mT8_P12ihipStream_tbDpT10_ENKUlT_T0_E_clISt17integral_constantIbLb0EES1B_IbLb1EEEEDaS17_S18_EUlS17_E_NS1_11comp_targetILNS1_3genE2ELNS1_11target_archE906ELNS1_3gpuE6ELNS1_3repE0EEENS1_30default_config_static_selectorELNS0_4arch9wavefront6targetE0EEEvT1_ ; -- Begin function _ZN7rocprim17ROCPRIM_400000_NS6detail17trampoline_kernelINS0_14default_configENS1_25partition_config_selectorILNS1_17partition_subalgoE8ElNS0_10empty_typeEbEEZZNS1_14partition_implILS5_8ELb0ES3_jPlPS6_PKS6_NS0_5tupleIJS9_S6_EEENSD_IJSA_SA_EEENS0_18inequality_wrapperIZN2at6native12_GLOBAL__N_124unique_dim_cuda_templateIfEESt5tupleIJNSH_6TensorESM_SM_EERKSM_lbbbEUlllE0_EEPmJS6_EEE10hipError_tPvRmT3_T4_T5_T6_T7_T9_mT8_P12ihipStream_tbDpT10_ENKUlT_T0_E_clISt17integral_constantIbLb0EES1B_IbLb1EEEEDaS17_S18_EUlS17_E_NS1_11comp_targetILNS1_3genE2ELNS1_11target_archE906ELNS1_3gpuE6ELNS1_3repE0EEENS1_30default_config_static_selectorELNS0_4arch9wavefront6targetE0EEEvT1_
	.p2align	8
	.type	_ZN7rocprim17ROCPRIM_400000_NS6detail17trampoline_kernelINS0_14default_configENS1_25partition_config_selectorILNS1_17partition_subalgoE8ElNS0_10empty_typeEbEEZZNS1_14partition_implILS5_8ELb0ES3_jPlPS6_PKS6_NS0_5tupleIJS9_S6_EEENSD_IJSA_SA_EEENS0_18inequality_wrapperIZN2at6native12_GLOBAL__N_124unique_dim_cuda_templateIfEESt5tupleIJNSH_6TensorESM_SM_EERKSM_lbbbEUlllE0_EEPmJS6_EEE10hipError_tPvRmT3_T4_T5_T6_T7_T9_mT8_P12ihipStream_tbDpT10_ENKUlT_T0_E_clISt17integral_constantIbLb0EES1B_IbLb1EEEEDaS17_S18_EUlS17_E_NS1_11comp_targetILNS1_3genE2ELNS1_11target_archE906ELNS1_3gpuE6ELNS1_3repE0EEENS1_30default_config_static_selectorELNS0_4arch9wavefront6targetE0EEEvT1_,@function
_ZN7rocprim17ROCPRIM_400000_NS6detail17trampoline_kernelINS0_14default_configENS1_25partition_config_selectorILNS1_17partition_subalgoE8ElNS0_10empty_typeEbEEZZNS1_14partition_implILS5_8ELb0ES3_jPlPS6_PKS6_NS0_5tupleIJS9_S6_EEENSD_IJSA_SA_EEENS0_18inequality_wrapperIZN2at6native12_GLOBAL__N_124unique_dim_cuda_templateIfEESt5tupleIJNSH_6TensorESM_SM_EERKSM_lbbbEUlllE0_EEPmJS6_EEE10hipError_tPvRmT3_T4_T5_T6_T7_T9_mT8_P12ihipStream_tbDpT10_ENKUlT_T0_E_clISt17integral_constantIbLb0EES1B_IbLb1EEEEDaS17_S18_EUlS17_E_NS1_11comp_targetILNS1_3genE2ELNS1_11target_archE906ELNS1_3gpuE6ELNS1_3repE0EEENS1_30default_config_static_selectorELNS0_4arch9wavefront6targetE0EEEvT1_: ; @_ZN7rocprim17ROCPRIM_400000_NS6detail17trampoline_kernelINS0_14default_configENS1_25partition_config_selectorILNS1_17partition_subalgoE8ElNS0_10empty_typeEbEEZZNS1_14partition_implILS5_8ELb0ES3_jPlPS6_PKS6_NS0_5tupleIJS9_S6_EEENSD_IJSA_SA_EEENS0_18inequality_wrapperIZN2at6native12_GLOBAL__N_124unique_dim_cuda_templateIfEESt5tupleIJNSH_6TensorESM_SM_EERKSM_lbbbEUlllE0_EEPmJS6_EEE10hipError_tPvRmT3_T4_T5_T6_T7_T9_mT8_P12ihipStream_tbDpT10_ENKUlT_T0_E_clISt17integral_constantIbLb0EES1B_IbLb1EEEEDaS17_S18_EUlS17_E_NS1_11comp_targetILNS1_3genE2ELNS1_11target_archE906ELNS1_3gpuE6ELNS1_3repE0EEENS1_30default_config_static_selectorELNS0_4arch9wavefront6targetE0EEEvT1_
; %bb.0:
	.section	.rodata,"a",@progbits
	.p2align	6, 0x0
	.amdhsa_kernel _ZN7rocprim17ROCPRIM_400000_NS6detail17trampoline_kernelINS0_14default_configENS1_25partition_config_selectorILNS1_17partition_subalgoE8ElNS0_10empty_typeEbEEZZNS1_14partition_implILS5_8ELb0ES3_jPlPS6_PKS6_NS0_5tupleIJS9_S6_EEENSD_IJSA_SA_EEENS0_18inequality_wrapperIZN2at6native12_GLOBAL__N_124unique_dim_cuda_templateIfEESt5tupleIJNSH_6TensorESM_SM_EERKSM_lbbbEUlllE0_EEPmJS6_EEE10hipError_tPvRmT3_T4_T5_T6_T7_T9_mT8_P12ihipStream_tbDpT10_ENKUlT_T0_E_clISt17integral_constantIbLb0EES1B_IbLb1EEEEDaS17_S18_EUlS17_E_NS1_11comp_targetILNS1_3genE2ELNS1_11target_archE906ELNS1_3gpuE6ELNS1_3repE0EEENS1_30default_config_static_selectorELNS0_4arch9wavefront6targetE0EEEvT1_
		.amdhsa_group_segment_fixed_size 0
		.amdhsa_private_segment_fixed_size 0
		.amdhsa_kernarg_size 136
		.amdhsa_user_sgpr_count 15
		.amdhsa_user_sgpr_dispatch_ptr 0
		.amdhsa_user_sgpr_queue_ptr 0
		.amdhsa_user_sgpr_kernarg_segment_ptr 1
		.amdhsa_user_sgpr_dispatch_id 0
		.amdhsa_user_sgpr_private_segment_size 0
		.amdhsa_wavefront_size32 1
		.amdhsa_uses_dynamic_stack 0
		.amdhsa_enable_private_segment 0
		.amdhsa_system_sgpr_workgroup_id_x 1
		.amdhsa_system_sgpr_workgroup_id_y 0
		.amdhsa_system_sgpr_workgroup_id_z 0
		.amdhsa_system_sgpr_workgroup_info 0
		.amdhsa_system_vgpr_workitem_id 0
		.amdhsa_next_free_vgpr 1
		.amdhsa_next_free_sgpr 1
		.amdhsa_reserve_vcc 0
		.amdhsa_float_round_mode_32 0
		.amdhsa_float_round_mode_16_64 0
		.amdhsa_float_denorm_mode_32 3
		.amdhsa_float_denorm_mode_16_64 3
		.amdhsa_dx10_clamp 1
		.amdhsa_ieee_mode 1
		.amdhsa_fp16_overflow 0
		.amdhsa_workgroup_processor_mode 1
		.amdhsa_memory_ordered 1
		.amdhsa_forward_progress 0
		.amdhsa_shared_vgpr_count 0
		.amdhsa_exception_fp_ieee_invalid_op 0
		.amdhsa_exception_fp_denorm_src 0
		.amdhsa_exception_fp_ieee_div_zero 0
		.amdhsa_exception_fp_ieee_overflow 0
		.amdhsa_exception_fp_ieee_underflow 0
		.amdhsa_exception_fp_ieee_inexact 0
		.amdhsa_exception_int_div_zero 0
	.end_amdhsa_kernel
	.section	.text._ZN7rocprim17ROCPRIM_400000_NS6detail17trampoline_kernelINS0_14default_configENS1_25partition_config_selectorILNS1_17partition_subalgoE8ElNS0_10empty_typeEbEEZZNS1_14partition_implILS5_8ELb0ES3_jPlPS6_PKS6_NS0_5tupleIJS9_S6_EEENSD_IJSA_SA_EEENS0_18inequality_wrapperIZN2at6native12_GLOBAL__N_124unique_dim_cuda_templateIfEESt5tupleIJNSH_6TensorESM_SM_EERKSM_lbbbEUlllE0_EEPmJS6_EEE10hipError_tPvRmT3_T4_T5_T6_T7_T9_mT8_P12ihipStream_tbDpT10_ENKUlT_T0_E_clISt17integral_constantIbLb0EES1B_IbLb1EEEEDaS17_S18_EUlS17_E_NS1_11comp_targetILNS1_3genE2ELNS1_11target_archE906ELNS1_3gpuE6ELNS1_3repE0EEENS1_30default_config_static_selectorELNS0_4arch9wavefront6targetE0EEEvT1_,"axG",@progbits,_ZN7rocprim17ROCPRIM_400000_NS6detail17trampoline_kernelINS0_14default_configENS1_25partition_config_selectorILNS1_17partition_subalgoE8ElNS0_10empty_typeEbEEZZNS1_14partition_implILS5_8ELb0ES3_jPlPS6_PKS6_NS0_5tupleIJS9_S6_EEENSD_IJSA_SA_EEENS0_18inequality_wrapperIZN2at6native12_GLOBAL__N_124unique_dim_cuda_templateIfEESt5tupleIJNSH_6TensorESM_SM_EERKSM_lbbbEUlllE0_EEPmJS6_EEE10hipError_tPvRmT3_T4_T5_T6_T7_T9_mT8_P12ihipStream_tbDpT10_ENKUlT_T0_E_clISt17integral_constantIbLb0EES1B_IbLb1EEEEDaS17_S18_EUlS17_E_NS1_11comp_targetILNS1_3genE2ELNS1_11target_archE906ELNS1_3gpuE6ELNS1_3repE0EEENS1_30default_config_static_selectorELNS0_4arch9wavefront6targetE0EEEvT1_,comdat
.Lfunc_end957:
	.size	_ZN7rocprim17ROCPRIM_400000_NS6detail17trampoline_kernelINS0_14default_configENS1_25partition_config_selectorILNS1_17partition_subalgoE8ElNS0_10empty_typeEbEEZZNS1_14partition_implILS5_8ELb0ES3_jPlPS6_PKS6_NS0_5tupleIJS9_S6_EEENSD_IJSA_SA_EEENS0_18inequality_wrapperIZN2at6native12_GLOBAL__N_124unique_dim_cuda_templateIfEESt5tupleIJNSH_6TensorESM_SM_EERKSM_lbbbEUlllE0_EEPmJS6_EEE10hipError_tPvRmT3_T4_T5_T6_T7_T9_mT8_P12ihipStream_tbDpT10_ENKUlT_T0_E_clISt17integral_constantIbLb0EES1B_IbLb1EEEEDaS17_S18_EUlS17_E_NS1_11comp_targetILNS1_3genE2ELNS1_11target_archE906ELNS1_3gpuE6ELNS1_3repE0EEENS1_30default_config_static_selectorELNS0_4arch9wavefront6targetE0EEEvT1_, .Lfunc_end957-_ZN7rocprim17ROCPRIM_400000_NS6detail17trampoline_kernelINS0_14default_configENS1_25partition_config_selectorILNS1_17partition_subalgoE8ElNS0_10empty_typeEbEEZZNS1_14partition_implILS5_8ELb0ES3_jPlPS6_PKS6_NS0_5tupleIJS9_S6_EEENSD_IJSA_SA_EEENS0_18inequality_wrapperIZN2at6native12_GLOBAL__N_124unique_dim_cuda_templateIfEESt5tupleIJNSH_6TensorESM_SM_EERKSM_lbbbEUlllE0_EEPmJS6_EEE10hipError_tPvRmT3_T4_T5_T6_T7_T9_mT8_P12ihipStream_tbDpT10_ENKUlT_T0_E_clISt17integral_constantIbLb0EES1B_IbLb1EEEEDaS17_S18_EUlS17_E_NS1_11comp_targetILNS1_3genE2ELNS1_11target_archE906ELNS1_3gpuE6ELNS1_3repE0EEENS1_30default_config_static_selectorELNS0_4arch9wavefront6targetE0EEEvT1_
                                        ; -- End function
	.section	.AMDGPU.csdata,"",@progbits
; Kernel info:
; codeLenInByte = 0
; NumSgprs: 0
; NumVgprs: 0
; ScratchSize: 0
; MemoryBound: 0
; FloatMode: 240
; IeeeMode: 1
; LDSByteSize: 0 bytes/workgroup (compile time only)
; SGPRBlocks: 0
; VGPRBlocks: 0
; NumSGPRsForWavesPerEU: 1
; NumVGPRsForWavesPerEU: 1
; Occupancy: 16
; WaveLimiterHint : 0
; COMPUTE_PGM_RSRC2:SCRATCH_EN: 0
; COMPUTE_PGM_RSRC2:USER_SGPR: 15
; COMPUTE_PGM_RSRC2:TRAP_HANDLER: 0
; COMPUTE_PGM_RSRC2:TGID_X_EN: 1
; COMPUTE_PGM_RSRC2:TGID_Y_EN: 0
; COMPUTE_PGM_RSRC2:TGID_Z_EN: 0
; COMPUTE_PGM_RSRC2:TIDIG_COMP_CNT: 0
	.section	.text._ZN7rocprim17ROCPRIM_400000_NS6detail17trampoline_kernelINS0_14default_configENS1_25partition_config_selectorILNS1_17partition_subalgoE8ElNS0_10empty_typeEbEEZZNS1_14partition_implILS5_8ELb0ES3_jPlPS6_PKS6_NS0_5tupleIJS9_S6_EEENSD_IJSA_SA_EEENS0_18inequality_wrapperIZN2at6native12_GLOBAL__N_124unique_dim_cuda_templateIfEESt5tupleIJNSH_6TensorESM_SM_EERKSM_lbbbEUlllE0_EEPmJS6_EEE10hipError_tPvRmT3_T4_T5_T6_T7_T9_mT8_P12ihipStream_tbDpT10_ENKUlT_T0_E_clISt17integral_constantIbLb0EES1B_IbLb1EEEEDaS17_S18_EUlS17_E_NS1_11comp_targetILNS1_3genE10ELNS1_11target_archE1200ELNS1_3gpuE4ELNS1_3repE0EEENS1_30default_config_static_selectorELNS0_4arch9wavefront6targetE0EEEvT1_,"axG",@progbits,_ZN7rocprim17ROCPRIM_400000_NS6detail17trampoline_kernelINS0_14default_configENS1_25partition_config_selectorILNS1_17partition_subalgoE8ElNS0_10empty_typeEbEEZZNS1_14partition_implILS5_8ELb0ES3_jPlPS6_PKS6_NS0_5tupleIJS9_S6_EEENSD_IJSA_SA_EEENS0_18inequality_wrapperIZN2at6native12_GLOBAL__N_124unique_dim_cuda_templateIfEESt5tupleIJNSH_6TensorESM_SM_EERKSM_lbbbEUlllE0_EEPmJS6_EEE10hipError_tPvRmT3_T4_T5_T6_T7_T9_mT8_P12ihipStream_tbDpT10_ENKUlT_T0_E_clISt17integral_constantIbLb0EES1B_IbLb1EEEEDaS17_S18_EUlS17_E_NS1_11comp_targetILNS1_3genE10ELNS1_11target_archE1200ELNS1_3gpuE4ELNS1_3repE0EEENS1_30default_config_static_selectorELNS0_4arch9wavefront6targetE0EEEvT1_,comdat
	.globl	_ZN7rocprim17ROCPRIM_400000_NS6detail17trampoline_kernelINS0_14default_configENS1_25partition_config_selectorILNS1_17partition_subalgoE8ElNS0_10empty_typeEbEEZZNS1_14partition_implILS5_8ELb0ES3_jPlPS6_PKS6_NS0_5tupleIJS9_S6_EEENSD_IJSA_SA_EEENS0_18inequality_wrapperIZN2at6native12_GLOBAL__N_124unique_dim_cuda_templateIfEESt5tupleIJNSH_6TensorESM_SM_EERKSM_lbbbEUlllE0_EEPmJS6_EEE10hipError_tPvRmT3_T4_T5_T6_T7_T9_mT8_P12ihipStream_tbDpT10_ENKUlT_T0_E_clISt17integral_constantIbLb0EES1B_IbLb1EEEEDaS17_S18_EUlS17_E_NS1_11comp_targetILNS1_3genE10ELNS1_11target_archE1200ELNS1_3gpuE4ELNS1_3repE0EEENS1_30default_config_static_selectorELNS0_4arch9wavefront6targetE0EEEvT1_ ; -- Begin function _ZN7rocprim17ROCPRIM_400000_NS6detail17trampoline_kernelINS0_14default_configENS1_25partition_config_selectorILNS1_17partition_subalgoE8ElNS0_10empty_typeEbEEZZNS1_14partition_implILS5_8ELb0ES3_jPlPS6_PKS6_NS0_5tupleIJS9_S6_EEENSD_IJSA_SA_EEENS0_18inequality_wrapperIZN2at6native12_GLOBAL__N_124unique_dim_cuda_templateIfEESt5tupleIJNSH_6TensorESM_SM_EERKSM_lbbbEUlllE0_EEPmJS6_EEE10hipError_tPvRmT3_T4_T5_T6_T7_T9_mT8_P12ihipStream_tbDpT10_ENKUlT_T0_E_clISt17integral_constantIbLb0EES1B_IbLb1EEEEDaS17_S18_EUlS17_E_NS1_11comp_targetILNS1_3genE10ELNS1_11target_archE1200ELNS1_3gpuE4ELNS1_3repE0EEENS1_30default_config_static_selectorELNS0_4arch9wavefront6targetE0EEEvT1_
	.p2align	8
	.type	_ZN7rocprim17ROCPRIM_400000_NS6detail17trampoline_kernelINS0_14default_configENS1_25partition_config_selectorILNS1_17partition_subalgoE8ElNS0_10empty_typeEbEEZZNS1_14partition_implILS5_8ELb0ES3_jPlPS6_PKS6_NS0_5tupleIJS9_S6_EEENSD_IJSA_SA_EEENS0_18inequality_wrapperIZN2at6native12_GLOBAL__N_124unique_dim_cuda_templateIfEESt5tupleIJNSH_6TensorESM_SM_EERKSM_lbbbEUlllE0_EEPmJS6_EEE10hipError_tPvRmT3_T4_T5_T6_T7_T9_mT8_P12ihipStream_tbDpT10_ENKUlT_T0_E_clISt17integral_constantIbLb0EES1B_IbLb1EEEEDaS17_S18_EUlS17_E_NS1_11comp_targetILNS1_3genE10ELNS1_11target_archE1200ELNS1_3gpuE4ELNS1_3repE0EEENS1_30default_config_static_selectorELNS0_4arch9wavefront6targetE0EEEvT1_,@function
_ZN7rocprim17ROCPRIM_400000_NS6detail17trampoline_kernelINS0_14default_configENS1_25partition_config_selectorILNS1_17partition_subalgoE8ElNS0_10empty_typeEbEEZZNS1_14partition_implILS5_8ELb0ES3_jPlPS6_PKS6_NS0_5tupleIJS9_S6_EEENSD_IJSA_SA_EEENS0_18inequality_wrapperIZN2at6native12_GLOBAL__N_124unique_dim_cuda_templateIfEESt5tupleIJNSH_6TensorESM_SM_EERKSM_lbbbEUlllE0_EEPmJS6_EEE10hipError_tPvRmT3_T4_T5_T6_T7_T9_mT8_P12ihipStream_tbDpT10_ENKUlT_T0_E_clISt17integral_constantIbLb0EES1B_IbLb1EEEEDaS17_S18_EUlS17_E_NS1_11comp_targetILNS1_3genE10ELNS1_11target_archE1200ELNS1_3gpuE4ELNS1_3repE0EEENS1_30default_config_static_selectorELNS0_4arch9wavefront6targetE0EEEvT1_: ; @_ZN7rocprim17ROCPRIM_400000_NS6detail17trampoline_kernelINS0_14default_configENS1_25partition_config_selectorILNS1_17partition_subalgoE8ElNS0_10empty_typeEbEEZZNS1_14partition_implILS5_8ELb0ES3_jPlPS6_PKS6_NS0_5tupleIJS9_S6_EEENSD_IJSA_SA_EEENS0_18inequality_wrapperIZN2at6native12_GLOBAL__N_124unique_dim_cuda_templateIfEESt5tupleIJNSH_6TensorESM_SM_EERKSM_lbbbEUlllE0_EEPmJS6_EEE10hipError_tPvRmT3_T4_T5_T6_T7_T9_mT8_P12ihipStream_tbDpT10_ENKUlT_T0_E_clISt17integral_constantIbLb0EES1B_IbLb1EEEEDaS17_S18_EUlS17_E_NS1_11comp_targetILNS1_3genE10ELNS1_11target_archE1200ELNS1_3gpuE4ELNS1_3repE0EEENS1_30default_config_static_selectorELNS0_4arch9wavefront6targetE0EEEvT1_
; %bb.0:
	.section	.rodata,"a",@progbits
	.p2align	6, 0x0
	.amdhsa_kernel _ZN7rocprim17ROCPRIM_400000_NS6detail17trampoline_kernelINS0_14default_configENS1_25partition_config_selectorILNS1_17partition_subalgoE8ElNS0_10empty_typeEbEEZZNS1_14partition_implILS5_8ELb0ES3_jPlPS6_PKS6_NS0_5tupleIJS9_S6_EEENSD_IJSA_SA_EEENS0_18inequality_wrapperIZN2at6native12_GLOBAL__N_124unique_dim_cuda_templateIfEESt5tupleIJNSH_6TensorESM_SM_EERKSM_lbbbEUlllE0_EEPmJS6_EEE10hipError_tPvRmT3_T4_T5_T6_T7_T9_mT8_P12ihipStream_tbDpT10_ENKUlT_T0_E_clISt17integral_constantIbLb0EES1B_IbLb1EEEEDaS17_S18_EUlS17_E_NS1_11comp_targetILNS1_3genE10ELNS1_11target_archE1200ELNS1_3gpuE4ELNS1_3repE0EEENS1_30default_config_static_selectorELNS0_4arch9wavefront6targetE0EEEvT1_
		.amdhsa_group_segment_fixed_size 0
		.amdhsa_private_segment_fixed_size 0
		.amdhsa_kernarg_size 136
		.amdhsa_user_sgpr_count 15
		.amdhsa_user_sgpr_dispatch_ptr 0
		.amdhsa_user_sgpr_queue_ptr 0
		.amdhsa_user_sgpr_kernarg_segment_ptr 1
		.amdhsa_user_sgpr_dispatch_id 0
		.amdhsa_user_sgpr_private_segment_size 0
		.amdhsa_wavefront_size32 1
		.amdhsa_uses_dynamic_stack 0
		.amdhsa_enable_private_segment 0
		.amdhsa_system_sgpr_workgroup_id_x 1
		.amdhsa_system_sgpr_workgroup_id_y 0
		.amdhsa_system_sgpr_workgroup_id_z 0
		.amdhsa_system_sgpr_workgroup_info 0
		.amdhsa_system_vgpr_workitem_id 0
		.amdhsa_next_free_vgpr 1
		.amdhsa_next_free_sgpr 1
		.amdhsa_reserve_vcc 0
		.amdhsa_float_round_mode_32 0
		.amdhsa_float_round_mode_16_64 0
		.amdhsa_float_denorm_mode_32 3
		.amdhsa_float_denorm_mode_16_64 3
		.amdhsa_dx10_clamp 1
		.amdhsa_ieee_mode 1
		.amdhsa_fp16_overflow 0
		.amdhsa_workgroup_processor_mode 1
		.amdhsa_memory_ordered 1
		.amdhsa_forward_progress 0
		.amdhsa_shared_vgpr_count 0
		.amdhsa_exception_fp_ieee_invalid_op 0
		.amdhsa_exception_fp_denorm_src 0
		.amdhsa_exception_fp_ieee_div_zero 0
		.amdhsa_exception_fp_ieee_overflow 0
		.amdhsa_exception_fp_ieee_underflow 0
		.amdhsa_exception_fp_ieee_inexact 0
		.amdhsa_exception_int_div_zero 0
	.end_amdhsa_kernel
	.section	.text._ZN7rocprim17ROCPRIM_400000_NS6detail17trampoline_kernelINS0_14default_configENS1_25partition_config_selectorILNS1_17partition_subalgoE8ElNS0_10empty_typeEbEEZZNS1_14partition_implILS5_8ELb0ES3_jPlPS6_PKS6_NS0_5tupleIJS9_S6_EEENSD_IJSA_SA_EEENS0_18inequality_wrapperIZN2at6native12_GLOBAL__N_124unique_dim_cuda_templateIfEESt5tupleIJNSH_6TensorESM_SM_EERKSM_lbbbEUlllE0_EEPmJS6_EEE10hipError_tPvRmT3_T4_T5_T6_T7_T9_mT8_P12ihipStream_tbDpT10_ENKUlT_T0_E_clISt17integral_constantIbLb0EES1B_IbLb1EEEEDaS17_S18_EUlS17_E_NS1_11comp_targetILNS1_3genE10ELNS1_11target_archE1200ELNS1_3gpuE4ELNS1_3repE0EEENS1_30default_config_static_selectorELNS0_4arch9wavefront6targetE0EEEvT1_,"axG",@progbits,_ZN7rocprim17ROCPRIM_400000_NS6detail17trampoline_kernelINS0_14default_configENS1_25partition_config_selectorILNS1_17partition_subalgoE8ElNS0_10empty_typeEbEEZZNS1_14partition_implILS5_8ELb0ES3_jPlPS6_PKS6_NS0_5tupleIJS9_S6_EEENSD_IJSA_SA_EEENS0_18inequality_wrapperIZN2at6native12_GLOBAL__N_124unique_dim_cuda_templateIfEESt5tupleIJNSH_6TensorESM_SM_EERKSM_lbbbEUlllE0_EEPmJS6_EEE10hipError_tPvRmT3_T4_T5_T6_T7_T9_mT8_P12ihipStream_tbDpT10_ENKUlT_T0_E_clISt17integral_constantIbLb0EES1B_IbLb1EEEEDaS17_S18_EUlS17_E_NS1_11comp_targetILNS1_3genE10ELNS1_11target_archE1200ELNS1_3gpuE4ELNS1_3repE0EEENS1_30default_config_static_selectorELNS0_4arch9wavefront6targetE0EEEvT1_,comdat
.Lfunc_end958:
	.size	_ZN7rocprim17ROCPRIM_400000_NS6detail17trampoline_kernelINS0_14default_configENS1_25partition_config_selectorILNS1_17partition_subalgoE8ElNS0_10empty_typeEbEEZZNS1_14partition_implILS5_8ELb0ES3_jPlPS6_PKS6_NS0_5tupleIJS9_S6_EEENSD_IJSA_SA_EEENS0_18inequality_wrapperIZN2at6native12_GLOBAL__N_124unique_dim_cuda_templateIfEESt5tupleIJNSH_6TensorESM_SM_EERKSM_lbbbEUlllE0_EEPmJS6_EEE10hipError_tPvRmT3_T4_T5_T6_T7_T9_mT8_P12ihipStream_tbDpT10_ENKUlT_T0_E_clISt17integral_constantIbLb0EES1B_IbLb1EEEEDaS17_S18_EUlS17_E_NS1_11comp_targetILNS1_3genE10ELNS1_11target_archE1200ELNS1_3gpuE4ELNS1_3repE0EEENS1_30default_config_static_selectorELNS0_4arch9wavefront6targetE0EEEvT1_, .Lfunc_end958-_ZN7rocprim17ROCPRIM_400000_NS6detail17trampoline_kernelINS0_14default_configENS1_25partition_config_selectorILNS1_17partition_subalgoE8ElNS0_10empty_typeEbEEZZNS1_14partition_implILS5_8ELb0ES3_jPlPS6_PKS6_NS0_5tupleIJS9_S6_EEENSD_IJSA_SA_EEENS0_18inequality_wrapperIZN2at6native12_GLOBAL__N_124unique_dim_cuda_templateIfEESt5tupleIJNSH_6TensorESM_SM_EERKSM_lbbbEUlllE0_EEPmJS6_EEE10hipError_tPvRmT3_T4_T5_T6_T7_T9_mT8_P12ihipStream_tbDpT10_ENKUlT_T0_E_clISt17integral_constantIbLb0EES1B_IbLb1EEEEDaS17_S18_EUlS17_E_NS1_11comp_targetILNS1_3genE10ELNS1_11target_archE1200ELNS1_3gpuE4ELNS1_3repE0EEENS1_30default_config_static_selectorELNS0_4arch9wavefront6targetE0EEEvT1_
                                        ; -- End function
	.section	.AMDGPU.csdata,"",@progbits
; Kernel info:
; codeLenInByte = 0
; NumSgprs: 0
; NumVgprs: 0
; ScratchSize: 0
; MemoryBound: 0
; FloatMode: 240
; IeeeMode: 1
; LDSByteSize: 0 bytes/workgroup (compile time only)
; SGPRBlocks: 0
; VGPRBlocks: 0
; NumSGPRsForWavesPerEU: 1
; NumVGPRsForWavesPerEU: 1
; Occupancy: 15
; WaveLimiterHint : 0
; COMPUTE_PGM_RSRC2:SCRATCH_EN: 0
; COMPUTE_PGM_RSRC2:USER_SGPR: 15
; COMPUTE_PGM_RSRC2:TRAP_HANDLER: 0
; COMPUTE_PGM_RSRC2:TGID_X_EN: 1
; COMPUTE_PGM_RSRC2:TGID_Y_EN: 0
; COMPUTE_PGM_RSRC2:TGID_Z_EN: 0
; COMPUTE_PGM_RSRC2:TIDIG_COMP_CNT: 0
	.section	.text._ZN7rocprim17ROCPRIM_400000_NS6detail17trampoline_kernelINS0_14default_configENS1_25partition_config_selectorILNS1_17partition_subalgoE8ElNS0_10empty_typeEbEEZZNS1_14partition_implILS5_8ELb0ES3_jPlPS6_PKS6_NS0_5tupleIJS9_S6_EEENSD_IJSA_SA_EEENS0_18inequality_wrapperIZN2at6native12_GLOBAL__N_124unique_dim_cuda_templateIfEESt5tupleIJNSH_6TensorESM_SM_EERKSM_lbbbEUlllE0_EEPmJS6_EEE10hipError_tPvRmT3_T4_T5_T6_T7_T9_mT8_P12ihipStream_tbDpT10_ENKUlT_T0_E_clISt17integral_constantIbLb0EES1B_IbLb1EEEEDaS17_S18_EUlS17_E_NS1_11comp_targetILNS1_3genE9ELNS1_11target_archE1100ELNS1_3gpuE3ELNS1_3repE0EEENS1_30default_config_static_selectorELNS0_4arch9wavefront6targetE0EEEvT1_,"axG",@progbits,_ZN7rocprim17ROCPRIM_400000_NS6detail17trampoline_kernelINS0_14default_configENS1_25partition_config_selectorILNS1_17partition_subalgoE8ElNS0_10empty_typeEbEEZZNS1_14partition_implILS5_8ELb0ES3_jPlPS6_PKS6_NS0_5tupleIJS9_S6_EEENSD_IJSA_SA_EEENS0_18inequality_wrapperIZN2at6native12_GLOBAL__N_124unique_dim_cuda_templateIfEESt5tupleIJNSH_6TensorESM_SM_EERKSM_lbbbEUlllE0_EEPmJS6_EEE10hipError_tPvRmT3_T4_T5_T6_T7_T9_mT8_P12ihipStream_tbDpT10_ENKUlT_T0_E_clISt17integral_constantIbLb0EES1B_IbLb1EEEEDaS17_S18_EUlS17_E_NS1_11comp_targetILNS1_3genE9ELNS1_11target_archE1100ELNS1_3gpuE3ELNS1_3repE0EEENS1_30default_config_static_selectorELNS0_4arch9wavefront6targetE0EEEvT1_,comdat
	.globl	_ZN7rocprim17ROCPRIM_400000_NS6detail17trampoline_kernelINS0_14default_configENS1_25partition_config_selectorILNS1_17partition_subalgoE8ElNS0_10empty_typeEbEEZZNS1_14partition_implILS5_8ELb0ES3_jPlPS6_PKS6_NS0_5tupleIJS9_S6_EEENSD_IJSA_SA_EEENS0_18inequality_wrapperIZN2at6native12_GLOBAL__N_124unique_dim_cuda_templateIfEESt5tupleIJNSH_6TensorESM_SM_EERKSM_lbbbEUlllE0_EEPmJS6_EEE10hipError_tPvRmT3_T4_T5_T6_T7_T9_mT8_P12ihipStream_tbDpT10_ENKUlT_T0_E_clISt17integral_constantIbLb0EES1B_IbLb1EEEEDaS17_S18_EUlS17_E_NS1_11comp_targetILNS1_3genE9ELNS1_11target_archE1100ELNS1_3gpuE3ELNS1_3repE0EEENS1_30default_config_static_selectorELNS0_4arch9wavefront6targetE0EEEvT1_ ; -- Begin function _ZN7rocprim17ROCPRIM_400000_NS6detail17trampoline_kernelINS0_14default_configENS1_25partition_config_selectorILNS1_17partition_subalgoE8ElNS0_10empty_typeEbEEZZNS1_14partition_implILS5_8ELb0ES3_jPlPS6_PKS6_NS0_5tupleIJS9_S6_EEENSD_IJSA_SA_EEENS0_18inequality_wrapperIZN2at6native12_GLOBAL__N_124unique_dim_cuda_templateIfEESt5tupleIJNSH_6TensorESM_SM_EERKSM_lbbbEUlllE0_EEPmJS6_EEE10hipError_tPvRmT3_T4_T5_T6_T7_T9_mT8_P12ihipStream_tbDpT10_ENKUlT_T0_E_clISt17integral_constantIbLb0EES1B_IbLb1EEEEDaS17_S18_EUlS17_E_NS1_11comp_targetILNS1_3genE9ELNS1_11target_archE1100ELNS1_3gpuE3ELNS1_3repE0EEENS1_30default_config_static_selectorELNS0_4arch9wavefront6targetE0EEEvT1_
	.p2align	8
	.type	_ZN7rocprim17ROCPRIM_400000_NS6detail17trampoline_kernelINS0_14default_configENS1_25partition_config_selectorILNS1_17partition_subalgoE8ElNS0_10empty_typeEbEEZZNS1_14partition_implILS5_8ELb0ES3_jPlPS6_PKS6_NS0_5tupleIJS9_S6_EEENSD_IJSA_SA_EEENS0_18inequality_wrapperIZN2at6native12_GLOBAL__N_124unique_dim_cuda_templateIfEESt5tupleIJNSH_6TensorESM_SM_EERKSM_lbbbEUlllE0_EEPmJS6_EEE10hipError_tPvRmT3_T4_T5_T6_T7_T9_mT8_P12ihipStream_tbDpT10_ENKUlT_T0_E_clISt17integral_constantIbLb0EES1B_IbLb1EEEEDaS17_S18_EUlS17_E_NS1_11comp_targetILNS1_3genE9ELNS1_11target_archE1100ELNS1_3gpuE3ELNS1_3repE0EEENS1_30default_config_static_selectorELNS0_4arch9wavefront6targetE0EEEvT1_,@function
_ZN7rocprim17ROCPRIM_400000_NS6detail17trampoline_kernelINS0_14default_configENS1_25partition_config_selectorILNS1_17partition_subalgoE8ElNS0_10empty_typeEbEEZZNS1_14partition_implILS5_8ELb0ES3_jPlPS6_PKS6_NS0_5tupleIJS9_S6_EEENSD_IJSA_SA_EEENS0_18inequality_wrapperIZN2at6native12_GLOBAL__N_124unique_dim_cuda_templateIfEESt5tupleIJNSH_6TensorESM_SM_EERKSM_lbbbEUlllE0_EEPmJS6_EEE10hipError_tPvRmT3_T4_T5_T6_T7_T9_mT8_P12ihipStream_tbDpT10_ENKUlT_T0_E_clISt17integral_constantIbLb0EES1B_IbLb1EEEEDaS17_S18_EUlS17_E_NS1_11comp_targetILNS1_3genE9ELNS1_11target_archE1100ELNS1_3gpuE3ELNS1_3repE0EEENS1_30default_config_static_selectorELNS0_4arch9wavefront6targetE0EEEvT1_: ; @_ZN7rocprim17ROCPRIM_400000_NS6detail17trampoline_kernelINS0_14default_configENS1_25partition_config_selectorILNS1_17partition_subalgoE8ElNS0_10empty_typeEbEEZZNS1_14partition_implILS5_8ELb0ES3_jPlPS6_PKS6_NS0_5tupleIJS9_S6_EEENSD_IJSA_SA_EEENS0_18inequality_wrapperIZN2at6native12_GLOBAL__N_124unique_dim_cuda_templateIfEESt5tupleIJNSH_6TensorESM_SM_EERKSM_lbbbEUlllE0_EEPmJS6_EEE10hipError_tPvRmT3_T4_T5_T6_T7_T9_mT8_P12ihipStream_tbDpT10_ENKUlT_T0_E_clISt17integral_constantIbLb0EES1B_IbLb1EEEEDaS17_S18_EUlS17_E_NS1_11comp_targetILNS1_3genE9ELNS1_11target_archE1100ELNS1_3gpuE3ELNS1_3repE0EEENS1_30default_config_static_selectorELNS0_4arch9wavefront6targetE0EEEvT1_
; %bb.0:
	s_clause 0x2
	s_load_b64 s[20:21], s[0:1], 0x28
	s_load_b256 s[8:15], s[0:1], 0x40
	s_load_b128 s[16:19], s[0:1], 0x60
	v_cmp_ne_u32_e64 s3, 0, v0
	v_cmp_eq_u32_e64 s2, 0, v0
	s_delay_alu instid0(VALU_DEP_1)
	s_and_saveexec_b32 s4, s2
	s_cbranch_execz .LBB959_4
; %bb.1:
	s_mov_b32 s6, exec_lo
	s_mov_b32 s5, exec_lo
	v_mbcnt_lo_u32_b32 v1, s6, 0
                                        ; implicit-def: $vgpr2
	s_delay_alu instid0(VALU_DEP_1)
	v_cmpx_eq_u32_e32 0, v1
	s_cbranch_execz .LBB959_3
; %bb.2:
	s_load_b64 s[22:23], s[0:1], 0x78
	s_bcnt1_i32_b32 s6, s6
	s_delay_alu instid0(SALU_CYCLE_1)
	v_dual_mov_b32 v2, 0 :: v_dual_mov_b32 v3, s6
	s_waitcnt lgkmcnt(0)
	global_atomic_add_u32 v2, v2, v3, s[22:23] glc
.LBB959_3:
	s_or_b32 exec_lo, exec_lo, s5
	s_waitcnt vmcnt(0)
	v_readfirstlane_b32 s5, v2
	s_delay_alu instid0(VALU_DEP_1)
	v_dual_mov_b32 v2, 0 :: v_dual_add_nc_u32 v1, s5, v1
	ds_store_b32 v2, v1
.LBB959_4:
	s_or_b32 exec_lo, exec_lo, s4
	v_dual_mov_b32 v2, 0 :: v_dual_lshlrev_b32 v39, 3, v0
	s_clause 0x1
	s_load_b128 s[4:7], s[0:1], 0x8
	s_load_b32 s0, s[0:1], 0x70
	s_waitcnt lgkmcnt(0)
	s_barrier
	buffer_gl0_inv
	ds_load_b32 v1, v2
	s_waitcnt lgkmcnt(0)
	s_barrier
	buffer_gl0_inv
	global_load_b64 v[3:4], v2, s[10:11]
	v_lshrrev_b32_e32 v19, 2, v0
	v_or_b32_e32 v26, 0x200, v0
	v_or_b32_e32 v25, 0x400, v0
	;; [unrolled: 1-line block ×7, first 2 shown]
	s_lshl_b64 s[10:11], s[6:7], 3
	s_delay_alu instid0(SALU_CYCLE_1)
	s_add_u32 s10, s4, s10
	s_addc_u32 s11, s5, s11
	s_add_i32 s1, s0, -1
	v_readfirstlane_b32 s23, v1
	s_lshl_b32 s4, s1, 12
	v_lshlrev_b32_e32 v1, 12, v1
	s_lshl_b32 s5, s0, 12
	s_add_i32 s0, s6, s4
	s_add_u32 s4, s6, s5
	s_addc_u32 s5, s7, 0
	v_lshlrev_b64 v[1:2], 3, v[1:2]
	v_cmp_ge_u64_e64 s4, s[4:5], s[12:13]
	s_cmp_eq_u32 s23, s1
	s_cselect_b32 s13, -1, 0
	s_delay_alu instid0(VALU_DEP_2) | instskip(NEXT) | instid1(VALU_DEP_2)
	v_add_co_u32 v17, vcc_lo, s10, v1
	s_and_b32 s1, s4, s13
	v_add_co_ci_u32_e32 v18, vcc_lo, s11, v2, vcc_lo
	s_xor_b32 s22, s1, -1
	s_mov_b32 s4, -1
	s_and_b32 vcc_lo, exec_lo, s22
	s_waitcnt vmcnt(0)
	v_readfirstlane_b32 s10, v3
	v_readfirstlane_b32 s11, v4
	s_cbranch_vccz .LBB959_6
; %bb.5:
	v_add_co_u32 v9, vcc_lo, v17, v39
	v_add_co_ci_u32_e32 v10, vcc_lo, 0, v18, vcc_lo
	v_readfirstlane_b32 s4, v17
	s_delay_alu instid0(VALU_DEP_3) | instskip(NEXT) | instid1(VALU_DEP_3)
	v_add_co_u32 v3, vcc_lo, v9, 0x2000
	v_add_co_ci_u32_e32 v4, vcc_lo, 0, v10, vcc_lo
	v_add_co_u32 v5, vcc_lo, v9, 0x4000
	v_add_co_ci_u32_e32 v6, vcc_lo, 0, v10, vcc_lo
	v_add_co_u32 v7, vcc_lo, v9, 0x6000
	v_readfirstlane_b32 s5, v18
	v_add_co_ci_u32_e32 v8, vcc_lo, 0, v10, vcc_lo
	v_add_co_u32 v9, vcc_lo, 0x7000, v9
	v_add_co_ci_u32_e32 v10, vcc_lo, 0, v10, vcc_lo
	s_clause 0x7
	global_load_b64 v[1:2], v39, s[4:5]
	global_load_b64 v[11:12], v[3:4], off offset:-4096
	global_load_b64 v[3:4], v[3:4], off
	global_load_b64 v[13:14], v[5:6], off offset:-4096
	global_load_b64 v[5:6], v[5:6], off
	;; [unrolled: 2-line block ×3, first 2 shown]
	global_load_b64 v[9:10], v[9:10], off
	v_lshrrev_b32_e32 v28, 2, v26
	v_lshrrev_b32_e32 v29, 2, v25
	;; [unrolled: 1-line block ×4, first 2 shown]
	v_and_b32_e32 v27, 0x78, v19
	v_lshrrev_b32_e32 v32, 2, v22
	v_lshrrev_b32_e32 v33, 2, v21
	;; [unrolled: 1-line block ×3, first 2 shown]
	v_and_b32_e32 v28, 0xf8, v28
	v_and_b32_e32 v29, 0x178, v29
	;; [unrolled: 1-line block ×4, first 2 shown]
	v_add_nc_u32_e32 v27, v27, v39
	v_and_b32_e32 v32, 0x2f8, v32
	v_and_b32_e32 v33, 0x378, v33
	;; [unrolled: 1-line block ×3, first 2 shown]
	v_add_nc_u32_e32 v28, v28, v39
	v_add_nc_u32_e32 v29, v29, v39
	;; [unrolled: 1-line block ×4, first 2 shown]
	s_mov_b32 s4, 0
	v_add_nc_u32_e32 v32, v32, v39
	v_add_nc_u32_e32 v33, v33, v39
	;; [unrolled: 1-line block ×3, first 2 shown]
	s_waitcnt vmcnt(7)
	ds_store_b64 v27, v[1:2]
	s_waitcnt vmcnt(6)
	ds_store_b64 v28, v[11:12] offset:4096
	s_waitcnt vmcnt(5)
	ds_store_b64 v29, v[3:4] offset:8192
	;; [unrolled: 2-line block ×7, first 2 shown]
	s_waitcnt lgkmcnt(0)
	s_barrier
.LBB959_6:
	s_and_not1_b32 vcc_lo, exec_lo, s4
	s_sub_i32 s12, s12, s0
	s_cbranch_vccnz .LBB959_17
; %bb.7:
	s_mov_b32 s0, exec_lo
                                        ; implicit-def: $vgpr1_vgpr2_vgpr3_vgpr4_vgpr5_vgpr6_vgpr7_vgpr8_vgpr9_vgpr10_vgpr11_vgpr12_vgpr13_vgpr14_vgpr15_vgpr16
	v_cmpx_gt_u32_e64 s12, v0
	s_cbranch_execnz .LBB959_27
; %bb.8:
	s_or_b32 exec_lo, exec_lo, s0
	s_delay_alu instid0(SALU_CYCLE_1)
	s_mov_b32 s0, exec_lo
	v_cmpx_gt_u32_e64 s12, v26
	s_cbranch_execnz .LBB959_28
.LBB959_9:
	s_or_b32 exec_lo, exec_lo, s0
	s_delay_alu instid0(SALU_CYCLE_1)
	s_mov_b32 s0, exec_lo
	v_cmpx_gt_u32_e64 s12, v25
	s_cbranch_execnz .LBB959_29
.LBB959_10:
	s_or_b32 exec_lo, exec_lo, s0
	s_delay_alu instid0(SALU_CYCLE_1)
	s_mov_b32 s0, exec_lo
	v_cmpx_gt_u32_e64 s12, v24
	s_cbranch_execnz .LBB959_30
.LBB959_11:
	s_or_b32 exec_lo, exec_lo, s0
	s_delay_alu instid0(SALU_CYCLE_1)
	s_mov_b32 s0, exec_lo
	v_cmpx_gt_u32_e64 s12, v23
	s_cbranch_execnz .LBB959_31
.LBB959_12:
	s_or_b32 exec_lo, exec_lo, s0
	s_delay_alu instid0(SALU_CYCLE_1)
	s_mov_b32 s0, exec_lo
	v_cmpx_gt_u32_e64 s12, v22
	s_cbranch_execnz .LBB959_32
.LBB959_13:
	s_or_b32 exec_lo, exec_lo, s0
	s_delay_alu instid0(SALU_CYCLE_1)
	s_mov_b32 s0, exec_lo
	v_cmpx_gt_u32_e64 s12, v21
	s_cbranch_execnz .LBB959_33
.LBB959_14:
	s_or_b32 exec_lo, exec_lo, s0
	s_delay_alu instid0(SALU_CYCLE_1)
	s_mov_b32 s0, exec_lo
	v_cmpx_gt_u32_e64 s12, v20
	s_cbranch_execz .LBB959_16
.LBB959_15:
	v_lshlrev_b32_e32 v15, 3, v20
	v_readfirstlane_b32 s4, v17
	v_readfirstlane_b32 s5, v18
	global_load_b64 v[15:16], v15, s[4:5]
.LBB959_16:
	s_or_b32 exec_lo, exec_lo, s0
	v_lshrrev_b32_e32 v26, 2, v26
	v_lshrrev_b32_e32 v25, 2, v25
	;; [unrolled: 1-line block ×4, first 2 shown]
	v_and_b32_e32 v27, 0x78, v19
	v_lshrrev_b32_e32 v22, 2, v22
	v_lshrrev_b32_e32 v21, 2, v21
	;; [unrolled: 1-line block ×3, first 2 shown]
	v_and_b32_e32 v26, 0xf8, v26
	v_and_b32_e32 v25, 0x1f8, v25
	;; [unrolled: 1-line block ×4, first 2 shown]
	v_add_nc_u32_e32 v27, v27, v39
	v_and_b32_e32 v22, 0x3f8, v22
	v_and_b32_e32 v21, 0x3f8, v21
	;; [unrolled: 1-line block ×3, first 2 shown]
	v_add_nc_u32_e32 v26, v26, v39
	v_add_nc_u32_e32 v25, v25, v39
	;; [unrolled: 1-line block ×7, first 2 shown]
	s_waitcnt vmcnt(0)
	ds_store_b64 v27, v[1:2]
	ds_store_b64 v26, v[3:4] offset:4096
	ds_store_b64 v25, v[5:6] offset:8192
	;; [unrolled: 1-line block ×7, first 2 shown]
	s_waitcnt lgkmcnt(0)
	s_barrier
.LBB959_17:
	v_add_lshl_u32 v1, v19, v39, 3
	buffer_gl0_inv
	s_cmp_lg_u32 s23, 0
	v_cmp_gt_i64_e64 s26, s[14:15], 0
	s_cselect_b32 s24, -1, 0
	ds_load_2addr_b64 v[13:16], v1 offset1:1
	ds_load_2addr_b64 v[9:12], v1 offset0:2 offset1:3
	ds_load_2addr_b64 v[5:8], v1 offset0:4 offset1:5
	;; [unrolled: 1-line block ×3, first 2 shown]
	s_cmp_lg_u64 s[6:7], 0
	s_mov_b32 s25, 0
	s_cselect_b32 s0, -1, 0
	s_waitcnt lgkmcnt(0)
	s_or_b32 s0, s0, s24
	s_barrier
	s_and_b32 vcc_lo, exec_lo, s0
	buffer_gl0_inv
	s_cbranch_vccz .LBB959_26
; %bb.18:
	global_load_b64 v[17:18], v[17:18], off offset:-8
	v_cndmask_b32_e64 v27, 0, 1, s26
	s_and_b32 vcc_lo, exec_lo, s22
	ds_store_b64 v39, v[3:4]
	v_cmp_ne_u32_e64 s0, 1, v27
	s_cbranch_vccz .LBB959_34
; %bb.19:
	v_mul_lo_u32 v21, v2, s14
	v_mul_lo_u32 v22, v1, s15
	v_mad_u64_u32 v[19:20], null, v1, s14, 0
	s_and_b32 vcc_lo, exec_lo, s0
	s_mov_b32 s27, 0
	s_delay_alu instid0(VALU_DEP_1) | instskip(NEXT) | instid1(VALU_DEP_1)
	v_add3_u32 v20, v20, v22, v21
	v_lshlrev_b64 v[19:20], 2, v[19:20]
	s_cbranch_vccnz .LBB959_37
; %bb.20:
	v_mul_lo_u32 v23, v4, s14
	v_mul_lo_u32 v24, v3, s15
	v_mad_u64_u32 v[21:22], null, v3, s14, 0
	s_mov_b32 s27, -1
	s_mov_b32 s28, exec_lo
	s_delay_alu instid0(VALU_DEP_1) | instskip(SKIP_2) | instid1(VALU_DEP_3)
	v_add3_u32 v22, v22, v24, v23
	v_add_co_u32 v23, vcc_lo, s16, v19
	v_add_co_ci_u32_e32 v24, vcc_lo, s17, v20, vcc_lo
	v_lshlrev_b64 v[21:22], 2, v[21:22]
	s_delay_alu instid0(VALU_DEP_1) | instskip(NEXT) | instid1(VALU_DEP_2)
	v_add_co_u32 v21, vcc_lo, s16, v21
	v_add_co_ci_u32_e32 v22, vcc_lo, s17, v22, vcc_lo
	s_clause 0x1
	global_load_b32 v25, v[23:24], off
	global_load_b32 v26, v[21:22], off
	s_waitcnt vmcnt(0)
	v_cmpx_eq_f32_e32 v25, v26
	s_cbranch_execz .LBB959_36
; %bb.21:
	v_add_co_u32 v21, vcc_lo, v21, 4
	v_add_co_ci_u32_e32 v22, vcc_lo, 0, v22, vcc_lo
	v_add_co_u32 v23, vcc_lo, v23, 4
	v_add_co_ci_u32_e32 v24, vcc_lo, 0, v24, vcc_lo
	s_add_u32 s4, s14, -1
	s_addc_u32 s5, s15, -1
	s_mov_b64 s[6:7], 0
	s_mov_b32 s27, 0
                                        ; implicit-def: $sgpr29
	s_set_inst_prefetch_distance 0x1
	s_branch .LBB959_24
	.p2align	6
.LBB959_22:                             ;   in Loop: Header=BB959_24 Depth=1
	global_load_b32 v25, v[23:24], off
	global_load_b32 v26, v[21:22], off
	v_add_co_u32 v21, vcc_lo, v21, 4
	v_add_co_ci_u32_e32 v22, vcc_lo, 0, v22, vcc_lo
	v_add_co_u32 v23, s0, v23, 4
	s_delay_alu instid0(VALU_DEP_1)
	v_add_co_ci_u32_e64 v24, s0, 0, v24, s0
	s_add_u32 s6, s6, 1
	s_addc_u32 s7, s7, 0
	s_and_not1_b32 s0, s29, exec_lo
	s_waitcnt vmcnt(0)
	v_cmp_neq_f32_e32 vcc_lo, v25, v26
	s_and_b32 s29, vcc_lo, exec_lo
	s_delay_alu instid0(SALU_CYCLE_1)
	s_or_b32 s29, s0, s29
.LBB959_23:                             ;   in Loop: Header=BB959_24 Depth=1
	v_dual_mov_b32 v26, s7 :: v_dual_mov_b32 v25, s6
	s_and_b32 s0, exec_lo, s29
	s_delay_alu instid0(SALU_CYCLE_1) | instskip(NEXT) | instid1(SALU_CYCLE_1)
	s_or_b32 s27, s0, s27
	s_and_not1_b32 exec_lo, exec_lo, s27
	s_cbranch_execz .LBB959_35
.LBB959_24:                             ; =>This Inner Loop Header: Depth=1
	s_or_b32 s29, s29, exec_lo
	s_cmp_eq_u64 s[4:5], s[6:7]
	s_cbranch_scc0 .LBB959_22
; %bb.25:                               ;   in Loop: Header=BB959_24 Depth=1
	s_mov_b64 s[6:7], s[14:15]
                                        ; implicit-def: $vgpr21_vgpr22
                                        ; implicit-def: $vgpr23_vgpr24
	s_branch .LBB959_23
.LBB959_26:
                                        ; implicit-def: $sgpr0
                                        ; implicit-def: $vgpr20
	s_branch .LBB959_195
.LBB959_27:
	v_readfirstlane_b32 s4, v17
	v_readfirstlane_b32 s5, v18
	global_load_b64 v[1:2], v39, s[4:5]
	s_or_b32 exec_lo, exec_lo, s0
	s_delay_alu instid0(SALU_CYCLE_1)
	s_mov_b32 s0, exec_lo
	v_cmpx_gt_u32_e64 s12, v26
	s_cbranch_execz .LBB959_9
.LBB959_28:
	v_lshlrev_b32_e32 v3, 3, v26
	v_readfirstlane_b32 s4, v17
	v_readfirstlane_b32 s5, v18
	global_load_b64 v[3:4], v3, s[4:5]
	s_or_b32 exec_lo, exec_lo, s0
	s_delay_alu instid0(SALU_CYCLE_1)
	s_mov_b32 s0, exec_lo
	v_cmpx_gt_u32_e64 s12, v25
	s_cbranch_execz .LBB959_10
.LBB959_29:
	v_lshlrev_b32_e32 v5, 3, v25
	v_readfirstlane_b32 s4, v17
	v_readfirstlane_b32 s5, v18
	global_load_b64 v[5:6], v5, s[4:5]
	s_or_b32 exec_lo, exec_lo, s0
	s_delay_alu instid0(SALU_CYCLE_1)
	s_mov_b32 s0, exec_lo
	v_cmpx_gt_u32_e64 s12, v24
	s_cbranch_execz .LBB959_11
.LBB959_30:
	v_lshlrev_b32_e32 v7, 3, v24
	v_readfirstlane_b32 s4, v17
	v_readfirstlane_b32 s5, v18
	global_load_b64 v[7:8], v7, s[4:5]
	s_or_b32 exec_lo, exec_lo, s0
	s_delay_alu instid0(SALU_CYCLE_1)
	s_mov_b32 s0, exec_lo
	v_cmpx_gt_u32_e64 s12, v23
	s_cbranch_execz .LBB959_12
.LBB959_31:
	v_lshlrev_b32_e32 v9, 3, v23
	v_readfirstlane_b32 s4, v17
	v_readfirstlane_b32 s5, v18
	global_load_b64 v[9:10], v9, s[4:5]
	s_or_b32 exec_lo, exec_lo, s0
	s_delay_alu instid0(SALU_CYCLE_1)
	s_mov_b32 s0, exec_lo
	v_cmpx_gt_u32_e64 s12, v22
	s_cbranch_execz .LBB959_13
.LBB959_32:
	v_lshlrev_b32_e32 v11, 3, v22
	v_readfirstlane_b32 s4, v17
	v_readfirstlane_b32 s5, v18
	global_load_b64 v[11:12], v11, s[4:5]
	s_or_b32 exec_lo, exec_lo, s0
	s_delay_alu instid0(SALU_CYCLE_1)
	s_mov_b32 s0, exec_lo
	v_cmpx_gt_u32_e64 s12, v21
	s_cbranch_execz .LBB959_14
.LBB959_33:
	v_lshlrev_b32_e32 v13, 3, v21
	v_readfirstlane_b32 s4, v17
	v_readfirstlane_b32 s5, v18
	global_load_b64 v[13:14], v13, s[4:5]
	s_or_b32 exec_lo, exec_lo, s0
	s_delay_alu instid0(SALU_CYCLE_1)
	s_mov_b32 s0, exec_lo
	v_cmpx_gt_u32_e64 s12, v20
	s_cbranch_execnz .LBB959_15
	s_branch .LBB959_16
.LBB959_34:
                                        ; implicit-def: $sgpr0
                                        ; implicit-def: $vgpr20
	s_cbranch_execnz .LBB959_103
	s_branch .LBB959_194
.LBB959_35:
	s_set_inst_prefetch_distance 0x2
	s_or_b32 exec_lo, exec_lo, s27
	v_cmp_gt_i64_e32 vcc_lo, s[14:15], v[25:26]
	s_or_not1_b32 s27, vcc_lo, exec_lo
.LBB959_36:
	s_or_b32 exec_lo, exec_lo, s28
.LBB959_37:
	v_mul_lo_u32 v23, v8, s14
	v_mul_lo_u32 v24, v7, s15
	v_mad_u64_u32 v[21:22], null, v7, s14, 0
	s_and_not1_b32 vcc_lo, exec_lo, s26
	s_delay_alu instid0(VALU_DEP_1) | instskip(NEXT) | instid1(VALU_DEP_1)
	v_add3_u32 v22, v22, v24, v23
	v_lshlrev_b64 v[21:22], 2, v[21:22]
	s_cbranch_vccnz .LBB959_46
; %bb.38:
	s_delay_alu instid0(VALU_DEP_1) | instskip(NEXT) | instid1(VALU_DEP_2)
	v_add_co_u32 v23, vcc_lo, s16, v21
	v_add_co_ci_u32_e32 v24, vcc_lo, s17, v22, vcc_lo
	v_add_co_u32 v19, vcc_lo, s16, v19
	v_add_co_ci_u32_e32 v20, vcc_lo, s17, v20, vcc_lo
	s_mov_b32 s25, -1
	s_clause 0x1
	global_load_b32 v25, v[23:24], off
	global_load_b32 v26, v[19:20], off
	s_mov_b32 s28, exec_lo
	s_waitcnt vmcnt(0)
	v_cmpx_eq_f32_e32 v25, v26
	s_cbranch_execz .LBB959_45
; %bb.39:
	v_add_co_u32 v19, vcc_lo, v19, 4
	v_add_co_ci_u32_e32 v20, vcc_lo, 0, v20, vcc_lo
	v_add_co_u32 v23, vcc_lo, v23, 4
	v_add_co_ci_u32_e32 v24, vcc_lo, 0, v24, vcc_lo
	s_add_u32 s4, s14, -1
	s_addc_u32 s5, s15, -1
	s_mov_b64 s[6:7], 0
	s_mov_b32 s25, 0
                                        ; implicit-def: $sgpr29
	s_set_inst_prefetch_distance 0x1
	s_branch .LBB959_42
	.p2align	6
.LBB959_40:                             ;   in Loop: Header=BB959_42 Depth=1
	global_load_b32 v25, v[23:24], off
	global_load_b32 v26, v[19:20], off
	v_add_co_u32 v19, vcc_lo, v19, 4
	v_add_co_ci_u32_e32 v20, vcc_lo, 0, v20, vcc_lo
	v_add_co_u32 v23, s0, v23, 4
	s_delay_alu instid0(VALU_DEP_1)
	v_add_co_ci_u32_e64 v24, s0, 0, v24, s0
	s_add_u32 s6, s6, 1
	s_addc_u32 s7, s7, 0
	s_and_not1_b32 s0, s29, exec_lo
	s_waitcnt vmcnt(0)
	v_cmp_neq_f32_e32 vcc_lo, v25, v26
	s_and_b32 s29, vcc_lo, exec_lo
	s_delay_alu instid0(SALU_CYCLE_1)
	s_or_b32 s29, s0, s29
.LBB959_41:                             ;   in Loop: Header=BB959_42 Depth=1
	v_dual_mov_b32 v26, s7 :: v_dual_mov_b32 v25, s6
	s_and_b32 s0, exec_lo, s29
	s_delay_alu instid0(SALU_CYCLE_1) | instskip(NEXT) | instid1(SALU_CYCLE_1)
	s_or_b32 s25, s0, s25
	s_and_not1_b32 exec_lo, exec_lo, s25
	s_cbranch_execz .LBB959_44
.LBB959_42:                             ; =>This Inner Loop Header: Depth=1
	s_or_b32 s29, s29, exec_lo
	s_cmp_eq_u64 s[4:5], s[6:7]
	s_cbranch_scc0 .LBB959_40
; %bb.43:                               ;   in Loop: Header=BB959_42 Depth=1
	s_mov_b64 s[6:7], s[14:15]
                                        ; implicit-def: $vgpr19_vgpr20
                                        ; implicit-def: $vgpr23_vgpr24
	s_branch .LBB959_41
.LBB959_44:
	s_set_inst_prefetch_distance 0x2
	s_or_b32 exec_lo, exec_lo, s25
	v_cmp_gt_i64_e32 vcc_lo, s[14:15], v[25:26]
	s_or_not1_b32 s25, vcc_lo, exec_lo
.LBB959_45:
	s_or_b32 exec_lo, exec_lo, s28
.LBB959_46:
	v_mul_lo_u32 v23, v6, s14
	v_mul_lo_u32 v24, v5, s15
	v_mad_u64_u32 v[19:20], null, v5, s14, 0
	s_mov_b32 s28, 0
	s_and_not1_b32 vcc_lo, exec_lo, s26
	s_mov_b32 s29, 0
	s_delay_alu instid0(VALU_DEP_1) | instskip(NEXT) | instid1(VALU_DEP_1)
	v_add3_u32 v20, v20, v24, v23
	v_lshlrev_b64 v[23:24], 2, v[19:20]
	s_cbranch_vccnz .LBB959_55
; %bb.47:
	s_delay_alu instid0(VALU_DEP_1) | instskip(NEXT) | instid1(VALU_DEP_2)
	v_add_co_u32 v25, vcc_lo, s16, v23
	v_add_co_ci_u32_e32 v26, vcc_lo, s17, v24, vcc_lo
	v_add_co_u32 v19, vcc_lo, s16, v21
	v_add_co_ci_u32_e32 v20, vcc_lo, s17, v22, vcc_lo
	s_mov_b32 s29, -1
	s_clause 0x1
	global_load_b32 v21, v[25:26], off
	global_load_b32 v22, v[19:20], off
	s_mov_b32 s30, exec_lo
	s_waitcnt vmcnt(0)
	v_cmpx_eq_f32_e32 v21, v22
	s_cbranch_execz .LBB959_54
; %bb.48:
	v_add_co_u32 v19, vcc_lo, v19, 4
	v_add_co_ci_u32_e32 v20, vcc_lo, 0, v20, vcc_lo
	v_add_co_u32 v21, vcc_lo, v25, 4
	v_add_co_ci_u32_e32 v22, vcc_lo, 0, v26, vcc_lo
	s_add_u32 s4, s14, -1
	s_addc_u32 s5, s15, -1
	s_mov_b64 s[6:7], 0
	s_mov_b32 s29, 0
                                        ; implicit-def: $sgpr31
	s_set_inst_prefetch_distance 0x1
	s_branch .LBB959_51
	.p2align	6
.LBB959_49:                             ;   in Loop: Header=BB959_51 Depth=1
	global_load_b32 v25, v[21:22], off
	global_load_b32 v26, v[19:20], off
	v_add_co_u32 v19, vcc_lo, v19, 4
	v_add_co_ci_u32_e32 v20, vcc_lo, 0, v20, vcc_lo
	v_add_co_u32 v21, s0, v21, 4
	s_delay_alu instid0(VALU_DEP_1)
	v_add_co_ci_u32_e64 v22, s0, 0, v22, s0
	s_add_u32 s6, s6, 1
	s_addc_u32 s7, s7, 0
	s_and_not1_b32 s0, s31, exec_lo
	s_waitcnt vmcnt(0)
	v_cmp_neq_f32_e32 vcc_lo, v25, v26
	s_and_b32 s31, vcc_lo, exec_lo
	s_delay_alu instid0(SALU_CYCLE_1)
	s_or_b32 s31, s0, s31
.LBB959_50:                             ;   in Loop: Header=BB959_51 Depth=1
	v_dual_mov_b32 v26, s7 :: v_dual_mov_b32 v25, s6
	s_and_b32 s0, exec_lo, s31
	s_delay_alu instid0(SALU_CYCLE_1) | instskip(NEXT) | instid1(SALU_CYCLE_1)
	s_or_b32 s29, s0, s29
	s_and_not1_b32 exec_lo, exec_lo, s29
	s_cbranch_execz .LBB959_53
.LBB959_51:                             ; =>This Inner Loop Header: Depth=1
	s_or_b32 s31, s31, exec_lo
	s_cmp_eq_u64 s[4:5], s[6:7]
	s_cbranch_scc0 .LBB959_49
; %bb.52:                               ;   in Loop: Header=BB959_51 Depth=1
	s_mov_b64 s[6:7], s[14:15]
                                        ; implicit-def: $vgpr19_vgpr20
                                        ; implicit-def: $vgpr21_vgpr22
	s_branch .LBB959_50
.LBB959_53:
	s_set_inst_prefetch_distance 0x2
	s_or_b32 exec_lo, exec_lo, s29
	v_cmp_gt_i64_e32 vcc_lo, s[14:15], v[25:26]
	s_or_not1_b32 s29, vcc_lo, exec_lo
.LBB959_54:
	s_or_b32 exec_lo, exec_lo, s30
.LBB959_55:
	v_mul_lo_u32 v21, v12, s14
	v_mul_lo_u32 v22, v11, s15
	v_mad_u64_u32 v[19:20], null, v11, s14, 0
	s_and_not1_b32 vcc_lo, exec_lo, s26
	s_delay_alu instid0(VALU_DEP_1) | instskip(NEXT) | instid1(VALU_DEP_1)
	v_add3_u32 v20, v20, v22, v21
	v_lshlrev_b64 v[19:20], 2, v[19:20]
	s_cbranch_vccnz .LBB959_64
; %bb.56:
	s_delay_alu instid0(VALU_DEP_1) | instskip(NEXT) | instid1(VALU_DEP_2)
	v_add_co_u32 v25, vcc_lo, s16, v19
	v_add_co_ci_u32_e32 v26, vcc_lo, s17, v20, vcc_lo
	v_add_co_u32 v21, vcc_lo, s16, v23
	v_add_co_ci_u32_e32 v22, vcc_lo, s17, v24, vcc_lo
	s_mov_b32 s28, -1
	s_clause 0x1
	global_load_b32 v23, v[25:26], off
	global_load_b32 v24, v[21:22], off
	s_mov_b32 s30, exec_lo
	s_waitcnt vmcnt(0)
	v_cmpx_eq_f32_e32 v23, v24
	s_cbranch_execz .LBB959_63
; %bb.57:
	v_add_co_u32 v21, vcc_lo, v21, 4
	v_add_co_ci_u32_e32 v22, vcc_lo, 0, v22, vcc_lo
	v_add_co_u32 v23, vcc_lo, v25, 4
	v_add_co_ci_u32_e32 v24, vcc_lo, 0, v26, vcc_lo
	s_add_u32 s4, s14, -1
	s_addc_u32 s5, s15, -1
	s_mov_b64 s[6:7], 0
	s_mov_b32 s28, 0
                                        ; implicit-def: $sgpr31
	s_set_inst_prefetch_distance 0x1
	s_branch .LBB959_60
	.p2align	6
.LBB959_58:                             ;   in Loop: Header=BB959_60 Depth=1
	global_load_b32 v25, v[23:24], off
	global_load_b32 v26, v[21:22], off
	v_add_co_u32 v21, vcc_lo, v21, 4
	v_add_co_ci_u32_e32 v22, vcc_lo, 0, v22, vcc_lo
	v_add_co_u32 v23, s0, v23, 4
	s_delay_alu instid0(VALU_DEP_1)
	v_add_co_ci_u32_e64 v24, s0, 0, v24, s0
	s_add_u32 s6, s6, 1
	s_addc_u32 s7, s7, 0
	s_and_not1_b32 s0, s31, exec_lo
	s_waitcnt vmcnt(0)
	v_cmp_neq_f32_e32 vcc_lo, v25, v26
	s_and_b32 s31, vcc_lo, exec_lo
	s_delay_alu instid0(SALU_CYCLE_1)
	s_or_b32 s31, s0, s31
.LBB959_59:                             ;   in Loop: Header=BB959_60 Depth=1
	v_dual_mov_b32 v26, s7 :: v_dual_mov_b32 v25, s6
	s_and_b32 s0, exec_lo, s31
	s_delay_alu instid0(SALU_CYCLE_1) | instskip(NEXT) | instid1(SALU_CYCLE_1)
	s_or_b32 s28, s0, s28
	s_and_not1_b32 exec_lo, exec_lo, s28
	s_cbranch_execz .LBB959_62
.LBB959_60:                             ; =>This Inner Loop Header: Depth=1
	s_or_b32 s31, s31, exec_lo
	s_cmp_eq_u64 s[4:5], s[6:7]
	s_cbranch_scc0 .LBB959_58
; %bb.61:                               ;   in Loop: Header=BB959_60 Depth=1
	s_mov_b64 s[6:7], s[14:15]
                                        ; implicit-def: $vgpr21_vgpr22
                                        ; implicit-def: $vgpr23_vgpr24
	s_branch .LBB959_59
.LBB959_62:
	s_set_inst_prefetch_distance 0x2
	s_or_b32 exec_lo, exec_lo, s28
	v_cmp_gt_i64_e32 vcc_lo, s[14:15], v[25:26]
	s_or_not1_b32 s28, vcc_lo, exec_lo
.LBB959_63:
	s_or_b32 exec_lo, exec_lo, s30
.LBB959_64:
	v_mul_lo_u32 v23, v10, s14
	v_mul_lo_u32 v24, v9, s15
	v_mad_u64_u32 v[21:22], null, v9, s14, 0
	s_mov_b32 s30, 0
	s_and_not1_b32 vcc_lo, exec_lo, s26
	s_mov_b32 s31, 0
	s_delay_alu instid0(VALU_DEP_1) | instskip(NEXT) | instid1(VALU_DEP_1)
	v_add3_u32 v22, v22, v24, v23
	v_lshlrev_b64 v[23:24], 2, v[21:22]
	s_cbranch_vccnz .LBB959_73
; %bb.65:
	s_delay_alu instid0(VALU_DEP_1) | instskip(NEXT) | instid1(VALU_DEP_2)
	v_add_co_u32 v21, vcc_lo, s16, v23
	v_add_co_ci_u32_e32 v22, vcc_lo, s17, v24, vcc_lo
	v_add_co_u32 v19, vcc_lo, s16, v19
	v_add_co_ci_u32_e32 v20, vcc_lo, s17, v20, vcc_lo
	s_mov_b32 s31, -1
	s_clause 0x1
	global_load_b32 v25, v[21:22], off
	global_load_b32 v26, v[19:20], off
	s_mov_b32 s33, exec_lo
	s_waitcnt vmcnt(0)
	v_cmpx_eq_f32_e32 v25, v26
	s_cbranch_execz .LBB959_72
; %bb.66:
	v_add_co_u32 v19, vcc_lo, v19, 4
	v_add_co_ci_u32_e32 v20, vcc_lo, 0, v20, vcc_lo
	v_add_co_u32 v21, vcc_lo, v21, 4
	v_add_co_ci_u32_e32 v22, vcc_lo, 0, v22, vcc_lo
	s_add_u32 s4, s14, -1
	s_addc_u32 s5, s15, -1
	s_mov_b64 s[6:7], 0
	s_mov_b32 s31, 0
                                        ; implicit-def: $sgpr34
	s_set_inst_prefetch_distance 0x1
	s_branch .LBB959_69
	.p2align	6
.LBB959_67:                             ;   in Loop: Header=BB959_69 Depth=1
	global_load_b32 v25, v[21:22], off
	global_load_b32 v26, v[19:20], off
	v_add_co_u32 v19, vcc_lo, v19, 4
	v_add_co_ci_u32_e32 v20, vcc_lo, 0, v20, vcc_lo
	v_add_co_u32 v21, s0, v21, 4
	s_delay_alu instid0(VALU_DEP_1)
	v_add_co_ci_u32_e64 v22, s0, 0, v22, s0
	s_add_u32 s6, s6, 1
	s_addc_u32 s7, s7, 0
	s_and_not1_b32 s0, s34, exec_lo
	s_waitcnt vmcnt(0)
	v_cmp_neq_f32_e32 vcc_lo, v25, v26
	s_and_b32 s34, vcc_lo, exec_lo
	s_delay_alu instid0(SALU_CYCLE_1)
	s_or_b32 s34, s0, s34
.LBB959_68:                             ;   in Loop: Header=BB959_69 Depth=1
	v_dual_mov_b32 v26, s7 :: v_dual_mov_b32 v25, s6
	s_and_b32 s0, exec_lo, s34
	s_delay_alu instid0(SALU_CYCLE_1) | instskip(NEXT) | instid1(SALU_CYCLE_1)
	s_or_b32 s31, s0, s31
	s_and_not1_b32 exec_lo, exec_lo, s31
	s_cbranch_execz .LBB959_71
.LBB959_69:                             ; =>This Inner Loop Header: Depth=1
	s_or_b32 s34, s34, exec_lo
	s_cmp_eq_u64 s[4:5], s[6:7]
	s_cbranch_scc0 .LBB959_67
; %bb.70:                               ;   in Loop: Header=BB959_69 Depth=1
	s_mov_b64 s[6:7], s[14:15]
                                        ; implicit-def: $vgpr19_vgpr20
                                        ; implicit-def: $vgpr21_vgpr22
	s_branch .LBB959_68
.LBB959_71:
	s_set_inst_prefetch_distance 0x2
	s_or_b32 exec_lo, exec_lo, s31
	v_cmp_gt_i64_e32 vcc_lo, s[14:15], v[25:26]
	s_or_not1_b32 s31, vcc_lo, exec_lo
.LBB959_72:
	s_or_b32 exec_lo, exec_lo, s33
.LBB959_73:
	v_mul_lo_u32 v21, v16, s14
	v_mul_lo_u32 v22, v15, s15
	v_mad_u64_u32 v[19:20], null, v15, s14, 0
	s_and_not1_b32 vcc_lo, exec_lo, s26
	s_delay_alu instid0(VALU_DEP_1) | instskip(NEXT) | instid1(VALU_DEP_1)
	v_add3_u32 v20, v20, v22, v21
	v_lshlrev_b64 v[21:22], 2, v[19:20]
	s_cbranch_vccnz .LBB959_82
; %bb.74:
	s_delay_alu instid0(VALU_DEP_1) | instskip(NEXT) | instid1(VALU_DEP_2)
	v_add_co_u32 v25, vcc_lo, s16, v21
	v_add_co_ci_u32_e32 v26, vcc_lo, s17, v22, vcc_lo
	v_add_co_u32 v19, vcc_lo, s16, v23
	v_add_co_ci_u32_e32 v20, vcc_lo, s17, v24, vcc_lo
	s_mov_b32 s30, -1
	s_clause 0x1
	global_load_b32 v23, v[25:26], off
	global_load_b32 v24, v[19:20], off
	s_mov_b32 s33, exec_lo
	s_waitcnt vmcnt(0)
	v_cmpx_eq_f32_e32 v23, v24
	s_cbranch_execz .LBB959_81
; %bb.75:
	v_add_co_u32 v19, vcc_lo, v19, 4
	v_add_co_ci_u32_e32 v20, vcc_lo, 0, v20, vcc_lo
	v_add_co_u32 v23, vcc_lo, v25, 4
	v_add_co_ci_u32_e32 v24, vcc_lo, 0, v26, vcc_lo
	s_add_u32 s4, s14, -1
	s_addc_u32 s5, s15, -1
	s_mov_b64 s[6:7], 0
	s_mov_b32 s30, 0
                                        ; implicit-def: $sgpr34
	s_set_inst_prefetch_distance 0x1
	s_branch .LBB959_78
	.p2align	6
.LBB959_76:                             ;   in Loop: Header=BB959_78 Depth=1
	global_load_b32 v25, v[23:24], off
	global_load_b32 v26, v[19:20], off
	v_add_co_u32 v19, vcc_lo, v19, 4
	v_add_co_ci_u32_e32 v20, vcc_lo, 0, v20, vcc_lo
	v_add_co_u32 v23, s0, v23, 4
	s_delay_alu instid0(VALU_DEP_1)
	v_add_co_ci_u32_e64 v24, s0, 0, v24, s0
	s_add_u32 s6, s6, 1
	s_addc_u32 s7, s7, 0
	s_and_not1_b32 s0, s34, exec_lo
	s_waitcnt vmcnt(0)
	v_cmp_neq_f32_e32 vcc_lo, v25, v26
	s_and_b32 s34, vcc_lo, exec_lo
	s_delay_alu instid0(SALU_CYCLE_1)
	s_or_b32 s34, s0, s34
.LBB959_77:                             ;   in Loop: Header=BB959_78 Depth=1
	v_dual_mov_b32 v26, s7 :: v_dual_mov_b32 v25, s6
	s_and_b32 s0, exec_lo, s34
	s_delay_alu instid0(SALU_CYCLE_1) | instskip(NEXT) | instid1(SALU_CYCLE_1)
	s_or_b32 s30, s0, s30
	s_and_not1_b32 exec_lo, exec_lo, s30
	s_cbranch_execz .LBB959_80
.LBB959_78:                             ; =>This Inner Loop Header: Depth=1
	s_or_b32 s34, s34, exec_lo
	s_cmp_eq_u64 s[4:5], s[6:7]
	s_cbranch_scc0 .LBB959_76
; %bb.79:                               ;   in Loop: Header=BB959_78 Depth=1
	s_mov_b64 s[6:7], s[14:15]
                                        ; implicit-def: $vgpr19_vgpr20
                                        ; implicit-def: $vgpr23_vgpr24
	s_branch .LBB959_77
.LBB959_80:
	s_set_inst_prefetch_distance 0x2
	s_or_b32 exec_lo, exec_lo, s30
	v_cmp_gt_i64_e32 vcc_lo, s[14:15], v[25:26]
	s_or_not1_b32 s30, vcc_lo, exec_lo
.LBB959_81:
	s_or_b32 exec_lo, exec_lo, s33
.LBB959_82:
	v_mul_lo_u32 v23, v14, s14
	v_mul_lo_u32 v24, v13, s15
	v_mad_u64_u32 v[19:20], null, v13, s14, 0
	s_and_not1_b32 vcc_lo, exec_lo, s26
	s_mov_b32 s0, 0
	s_delay_alu instid0(VALU_DEP_1) | instskip(NEXT) | instid1(VALU_DEP_1)
	v_add3_u32 v20, v20, v24, v23
	v_lshlrev_b64 v[19:20], 2, v[19:20]
	s_cbranch_vccnz .LBB959_91
; %bb.83:
	s_delay_alu instid0(VALU_DEP_1) | instskip(NEXT) | instid1(VALU_DEP_2)
	v_add_co_u32 v23, vcc_lo, s16, v19
	v_add_co_ci_u32_e32 v24, vcc_lo, s17, v20, vcc_lo
	v_add_co_u32 v21, vcc_lo, s16, v21
	v_add_co_ci_u32_e32 v22, vcc_lo, s17, v22, vcc_lo
	s_mov_b32 s0, -1
	s_clause 0x1
	global_load_b32 v25, v[23:24], off
	global_load_b32 v26, v[21:22], off
	s_mov_b32 s33, exec_lo
	s_waitcnt vmcnt(0)
	v_cmpx_eq_f32_e32 v25, v26
	s_cbranch_execz .LBB959_90
; %bb.84:
	v_add_co_u32 v21, vcc_lo, v21, 4
	v_add_co_ci_u32_e32 v22, vcc_lo, 0, v22, vcc_lo
	v_add_co_u32 v23, vcc_lo, v23, 4
	v_add_co_ci_u32_e32 v24, vcc_lo, 0, v24, vcc_lo
	s_add_u32 s4, s14, -1
	s_addc_u32 s5, s15, -1
	s_mov_b64 s[6:7], 0
	s_mov_b32 s34, 0
                                        ; implicit-def: $sgpr35
	s_set_inst_prefetch_distance 0x1
	s_branch .LBB959_87
	.p2align	6
.LBB959_85:                             ;   in Loop: Header=BB959_87 Depth=1
	global_load_b32 v25, v[23:24], off
	global_load_b32 v26, v[21:22], off
	v_add_co_u32 v21, vcc_lo, v21, 4
	v_add_co_ci_u32_e32 v22, vcc_lo, 0, v22, vcc_lo
	v_add_co_u32 v23, s0, v23, 4
	s_delay_alu instid0(VALU_DEP_1)
	v_add_co_ci_u32_e64 v24, s0, 0, v24, s0
	s_add_u32 s6, s6, 1
	s_addc_u32 s7, s7, 0
	s_and_not1_b32 s0, s35, exec_lo
	s_waitcnt vmcnt(0)
	v_cmp_neq_f32_e32 vcc_lo, v25, v26
	s_and_b32 s35, vcc_lo, exec_lo
	s_delay_alu instid0(SALU_CYCLE_1)
	s_or_b32 s35, s0, s35
.LBB959_86:                             ;   in Loop: Header=BB959_87 Depth=1
	v_dual_mov_b32 v26, s7 :: v_dual_mov_b32 v25, s6
	s_and_b32 s0, exec_lo, s35
	s_delay_alu instid0(SALU_CYCLE_1) | instskip(NEXT) | instid1(SALU_CYCLE_1)
	s_or_b32 s34, s0, s34
	s_and_not1_b32 exec_lo, exec_lo, s34
	s_cbranch_execz .LBB959_89
.LBB959_87:                             ; =>This Inner Loop Header: Depth=1
	s_or_b32 s35, s35, exec_lo
	s_cmp_eq_u64 s[4:5], s[6:7]
	s_cbranch_scc0 .LBB959_85
; %bb.88:                               ;   in Loop: Header=BB959_87 Depth=1
	s_mov_b64 s[6:7], s[14:15]
                                        ; implicit-def: $vgpr21_vgpr22
                                        ; implicit-def: $vgpr23_vgpr24
	s_branch .LBB959_86
.LBB959_89:
	s_set_inst_prefetch_distance 0x2
	s_or_b32 exec_lo, exec_lo, s34
	v_cmp_gt_i64_e32 vcc_lo, s[14:15], v[25:26]
	s_or_not1_b32 s0, vcc_lo, exec_lo
.LBB959_90:
	s_or_b32 exec_lo, exec_lo, s33
.LBB959_91:
	s_waitcnt vmcnt(0)
	v_dual_mov_b32 v22, v18 :: v_dual_mov_b32 v21, v17
	s_waitcnt lgkmcnt(0)
	s_barrier
	buffer_gl0_inv
	s_and_saveexec_b32 s4, s3
	s_cbranch_execz .LBB959_93
; %bb.92:
	v_add_nc_u32_e32 v21, -8, v39
	ds_load_b64 v[21:22], v21
.LBB959_93:
	s_or_b32 exec_lo, exec_lo, s4
	v_cndmask_b32_e64 v24, 0, 1, s31
	v_cndmask_b32_e64 v26, 0, 1, s29
	;; [unrolled: 1-line block ×7, first 2 shown]
	v_lshlrev_b16 v24, 8, v24
	v_lshlrev_b16 v26, 8, v26
	;; [unrolled: 1-line block ×4, first 2 shown]
	s_mov_b32 s25, 0
	v_or_b32_e32 v23, v23, v24
	v_or_b32_e32 v24, v25, v26
	;; [unrolled: 1-line block ×3, first 2 shown]
	v_and_b32_e32 v25, 0xffff, v29
	s_and_not1_b32 vcc_lo, exec_lo, s26
	v_lshlrev_b32_e32 v26, 16, v23
	v_and_b32_e32 v28, 0xffff, v24
	v_lshlrev_b32_e32 v29, 16, v30
	s_mov_b32 s0, 0
	s_cbranch_vccnz .LBB959_102
; %bb.94:
	s_waitcnt lgkmcnt(0)
	v_mul_lo_u32 v24, v22, s14
	v_mul_lo_u32 v30, v21, s15
	v_mad_u64_u32 v[22:23], null, v21, s14, 0
	s_mov_b32 s0, -1
	s_mov_b32 s27, exec_lo
	s_delay_alu instid0(VALU_DEP_1) | instskip(NEXT) | instid1(VALU_DEP_1)
	v_add3_u32 v23, v23, v30, v24
	v_lshlrev_b64 v[21:22], 2, v[22:23]
	s_delay_alu instid0(VALU_DEP_1) | instskip(NEXT) | instid1(VALU_DEP_2)
	v_add_co_u32 v21, vcc_lo, s16, v21
	v_add_co_ci_u32_e32 v22, vcc_lo, s17, v22, vcc_lo
	v_add_co_u32 v19, vcc_lo, s16, v19
	v_add_co_ci_u32_e32 v20, vcc_lo, s17, v20, vcc_lo
	s_clause 0x1
	global_load_b32 v23, v[21:22], off
	global_load_b32 v24, v[19:20], off
	s_waitcnt vmcnt(0)
	v_cmpx_eq_f32_e32 v23, v24
	s_cbranch_execz .LBB959_101
; %bb.95:
	v_add_co_u32 v19, vcc_lo, v19, 4
	v_add_co_ci_u32_e32 v20, vcc_lo, 0, v20, vcc_lo
	v_add_co_u32 v21, vcc_lo, v21, 4
	v_add_co_ci_u32_e32 v22, vcc_lo, 0, v22, vcc_lo
	s_add_u32 s4, s14, -1
	s_addc_u32 s5, s15, -1
	s_mov_b64 s[6:7], 0
	s_mov_b32 s28, 0
                                        ; implicit-def: $sgpr29
	s_set_inst_prefetch_distance 0x1
	s_branch .LBB959_98
	.p2align	6
.LBB959_96:                             ;   in Loop: Header=BB959_98 Depth=1
	global_load_b32 v23, v[21:22], off
	global_load_b32 v24, v[19:20], off
	v_add_co_u32 v19, vcc_lo, v19, 4
	v_add_co_ci_u32_e32 v20, vcc_lo, 0, v20, vcc_lo
	v_add_co_u32 v21, s0, v21, 4
	s_delay_alu instid0(VALU_DEP_1)
	v_add_co_ci_u32_e64 v22, s0, 0, v22, s0
	s_add_u32 s6, s6, 1
	s_addc_u32 s7, s7, 0
	s_and_not1_b32 s0, s29, exec_lo
	s_waitcnt vmcnt(0)
	v_cmp_neq_f32_e32 vcc_lo, v23, v24
	s_and_b32 s29, vcc_lo, exec_lo
	s_delay_alu instid0(SALU_CYCLE_1)
	s_or_b32 s29, s0, s29
.LBB959_97:                             ;   in Loop: Header=BB959_98 Depth=1
	v_dual_mov_b32 v24, s7 :: v_dual_mov_b32 v23, s6
	s_and_b32 s0, exec_lo, s29
	s_delay_alu instid0(SALU_CYCLE_1) | instskip(NEXT) | instid1(SALU_CYCLE_1)
	s_or_b32 s28, s0, s28
	s_and_not1_b32 exec_lo, exec_lo, s28
	s_cbranch_execz .LBB959_100
.LBB959_98:                             ; =>This Inner Loop Header: Depth=1
	s_or_b32 s29, s29, exec_lo
	s_cmp_eq_u64 s[4:5], s[6:7]
	s_cbranch_scc0 .LBB959_96
; %bb.99:                               ;   in Loop: Header=BB959_98 Depth=1
	s_mov_b64 s[6:7], s[14:15]
                                        ; implicit-def: $vgpr19_vgpr20
                                        ; implicit-def: $vgpr21_vgpr22
	s_branch .LBB959_97
.LBB959_100:
	s_set_inst_prefetch_distance 0x2
	s_or_b32 exec_lo, exec_lo, s28
	v_cmp_gt_i64_e32 vcc_lo, s[14:15], v[23:24]
	s_or_not1_b32 s0, vcc_lo, exec_lo
.LBB959_101:
	s_or_b32 exec_lo, exec_lo, s27
.LBB959_102:
	v_or_b32_e32 v19, v25, v26
	s_delay_alu instid0(VALU_DEP_2)
	v_or_b32_e32 v20, v28, v29
	s_and_b32 vcc_lo, exec_lo, s25
	s_cbranch_vccz .LBB959_194
.LBB959_103:
	v_or_b32_e32 v19, 7, v39
	s_mov_b32 s25, 0
	s_mov_b32 s27, 0
	s_mov_b32 s28, exec_lo
	s_delay_alu instid0(VALU_DEP_1)
	v_cmpx_gt_u32_e64 s12, v19
	s_cbranch_execz .LBB959_114
; %bb.104:
	s_and_not1_b32 vcc_lo, exec_lo, s26
	s_mov_b32 s0, 0
	s_cbranch_vccnz .LBB959_113
; %bb.105:
	v_mul_lo_u32 v23, v2, s14
	v_mul_lo_u32 v24, v1, s15
	v_mad_u64_u32 v[19:20], null, v1, s14, 0
	v_mul_lo_u32 v25, v4, s14
	v_mul_lo_u32 v26, v3, s15
	s_waitcnt lgkmcnt(0)
	v_mad_u64_u32 v[21:22], null, v3, s14, 0
	s_mov_b32 s0, -1
	s_mov_b32 s26, exec_lo
	s_delay_alu instid0(VALU_DEP_4) | instskip(NEXT) | instid1(VALU_DEP_2)
	v_add3_u32 v20, v20, v24, v23
	v_add3_u32 v22, v22, v26, v25
	s_delay_alu instid0(VALU_DEP_2) | instskip(NEXT) | instid1(VALU_DEP_2)
	v_lshlrev_b64 v[19:20], 2, v[19:20]
	v_lshlrev_b64 v[23:24], 2, v[21:22]
	s_delay_alu instid0(VALU_DEP_2) | instskip(NEXT) | instid1(VALU_DEP_3)
	v_add_co_u32 v21, vcc_lo, s16, v19
	v_add_co_ci_u32_e32 v22, vcc_lo, s17, v20, vcc_lo
	s_delay_alu instid0(VALU_DEP_3) | instskip(NEXT) | instid1(VALU_DEP_4)
	v_add_co_u32 v19, vcc_lo, s16, v23
	v_add_co_ci_u32_e32 v20, vcc_lo, s17, v24, vcc_lo
	s_clause 0x1
	global_load_b32 v23, v[21:22], off
	global_load_b32 v24, v[19:20], off
	s_waitcnt vmcnt(0)
	v_cmpx_eq_f32_e32 v23, v24
	s_cbranch_execz .LBB959_112
; %bb.106:
	v_add_co_u32 v19, vcc_lo, v19, 4
	v_add_co_ci_u32_e32 v20, vcc_lo, 0, v20, vcc_lo
	v_add_co_u32 v21, vcc_lo, v21, 4
	v_add_co_ci_u32_e32 v22, vcc_lo, 0, v22, vcc_lo
	s_add_u32 s4, s14, -1
	s_addc_u32 s5, s15, -1
	s_mov_b64 s[6:7], 0
                                        ; implicit-def: $sgpr29
	s_set_inst_prefetch_distance 0x1
	s_branch .LBB959_109
	.p2align	6
.LBB959_107:                            ;   in Loop: Header=BB959_109 Depth=1
	global_load_b32 v23, v[21:22], off
	global_load_b32 v24, v[19:20], off
	v_add_co_u32 v19, vcc_lo, v19, 4
	v_add_co_ci_u32_e32 v20, vcc_lo, 0, v20, vcc_lo
	v_add_co_u32 v21, s0, v21, 4
	s_delay_alu instid0(VALU_DEP_1)
	v_add_co_ci_u32_e64 v22, s0, 0, v22, s0
	s_add_u32 s6, s6, 1
	s_addc_u32 s7, s7, 0
	s_and_not1_b32 s0, s29, exec_lo
	s_waitcnt vmcnt(0)
	v_cmp_neq_f32_e32 vcc_lo, v23, v24
	s_and_b32 s29, vcc_lo, exec_lo
	s_delay_alu instid0(SALU_CYCLE_1)
	s_or_b32 s29, s0, s29
.LBB959_108:                            ;   in Loop: Header=BB959_109 Depth=1
	v_dual_mov_b32 v24, s7 :: v_dual_mov_b32 v23, s6
	s_and_b32 s0, exec_lo, s29
	s_delay_alu instid0(SALU_CYCLE_1) | instskip(NEXT) | instid1(SALU_CYCLE_1)
	s_or_b32 s27, s0, s27
	s_and_not1_b32 exec_lo, exec_lo, s27
	s_cbranch_execz .LBB959_111
.LBB959_109:                            ; =>This Inner Loop Header: Depth=1
	s_or_b32 s29, s29, exec_lo
	s_cmp_eq_u64 s[4:5], s[6:7]
	s_cbranch_scc0 .LBB959_107
; %bb.110:                              ;   in Loop: Header=BB959_109 Depth=1
	s_mov_b64 s[6:7], s[14:15]
                                        ; implicit-def: $vgpr19_vgpr20
                                        ; implicit-def: $vgpr21_vgpr22
	s_branch .LBB959_108
.LBB959_111:
	s_set_inst_prefetch_distance 0x2
	s_or_b32 exec_lo, exec_lo, s27
	v_cmp_gt_i64_e32 vcc_lo, s[14:15], v[23:24]
	s_or_not1_b32 s0, vcc_lo, exec_lo
.LBB959_112:
	s_or_b32 exec_lo, exec_lo, s26
.LBB959_113:
	s_delay_alu instid0(SALU_CYCLE_1)
	s_and_b32 s27, s0, exec_lo
.LBB959_114:
	s_or_b32 exec_lo, exec_lo, s28
	v_or_b32_e32 v19, 6, v39
	s_mov_b32 s26, exec_lo
	s_delay_alu instid0(VALU_DEP_1)
	v_cmpx_gt_u32_e64 s12, v19
	s_cbranch_execz .LBB959_125
; %bb.115:
	v_cmp_ne_u32_e32 vcc_lo, 1, v27
	s_mov_b32 s0, 0
	s_cbranch_vccnz .LBB959_124
; %bb.116:
	v_mul_lo_u32 v23, v8, s14
	v_mul_lo_u32 v24, v7, s15
	v_mad_u64_u32 v[19:20], null, v7, s14, 0
	v_mul_lo_u32 v25, v2, s14
	v_mul_lo_u32 v26, v1, s15
	s_waitcnt lgkmcnt(0)
	v_mad_u64_u32 v[21:22], null, v1, s14, 0
	s_mov_b32 s0, -1
	s_mov_b32 s25, exec_lo
	s_delay_alu instid0(VALU_DEP_4) | instskip(NEXT) | instid1(VALU_DEP_2)
	v_add3_u32 v20, v20, v24, v23
	v_add3_u32 v22, v22, v26, v25
	s_delay_alu instid0(VALU_DEP_2) | instskip(NEXT) | instid1(VALU_DEP_2)
	v_lshlrev_b64 v[19:20], 2, v[19:20]
	v_lshlrev_b64 v[23:24], 2, v[21:22]
	s_delay_alu instid0(VALU_DEP_2) | instskip(NEXT) | instid1(VALU_DEP_3)
	v_add_co_u32 v21, vcc_lo, s16, v19
	v_add_co_ci_u32_e32 v22, vcc_lo, s17, v20, vcc_lo
	s_delay_alu instid0(VALU_DEP_3) | instskip(NEXT) | instid1(VALU_DEP_4)
	v_add_co_u32 v19, vcc_lo, s16, v23
	v_add_co_ci_u32_e32 v20, vcc_lo, s17, v24, vcc_lo
	s_clause 0x1
	global_load_b32 v23, v[21:22], off
	global_load_b32 v24, v[19:20], off
	s_waitcnt vmcnt(0)
	v_cmpx_eq_f32_e32 v23, v24
	s_cbranch_execz .LBB959_123
; %bb.117:
	v_add_co_u32 v19, vcc_lo, v19, 4
	v_add_co_ci_u32_e32 v20, vcc_lo, 0, v20, vcc_lo
	v_add_co_u32 v21, vcc_lo, v21, 4
	v_add_co_ci_u32_e32 v22, vcc_lo, 0, v22, vcc_lo
	s_add_u32 s4, s14, -1
	s_addc_u32 s5, s15, -1
	s_mov_b64 s[6:7], 0
	s_mov_b32 s28, 0
                                        ; implicit-def: $sgpr29
	s_set_inst_prefetch_distance 0x1
	s_branch .LBB959_120
	.p2align	6
.LBB959_118:                            ;   in Loop: Header=BB959_120 Depth=1
	global_load_b32 v23, v[21:22], off
	global_load_b32 v24, v[19:20], off
	v_add_co_u32 v19, vcc_lo, v19, 4
	v_add_co_ci_u32_e32 v20, vcc_lo, 0, v20, vcc_lo
	v_add_co_u32 v21, s0, v21, 4
	s_delay_alu instid0(VALU_DEP_1)
	v_add_co_ci_u32_e64 v22, s0, 0, v22, s0
	s_add_u32 s6, s6, 1
	s_addc_u32 s7, s7, 0
	s_and_not1_b32 s0, s29, exec_lo
	s_waitcnt vmcnt(0)
	v_cmp_neq_f32_e32 vcc_lo, v23, v24
	s_and_b32 s29, vcc_lo, exec_lo
	s_delay_alu instid0(SALU_CYCLE_1)
	s_or_b32 s29, s0, s29
.LBB959_119:                            ;   in Loop: Header=BB959_120 Depth=1
	v_dual_mov_b32 v24, s7 :: v_dual_mov_b32 v23, s6
	s_and_b32 s0, exec_lo, s29
	s_delay_alu instid0(SALU_CYCLE_1) | instskip(NEXT) | instid1(SALU_CYCLE_1)
	s_or_b32 s28, s0, s28
	s_and_not1_b32 exec_lo, exec_lo, s28
	s_cbranch_execz .LBB959_122
.LBB959_120:                            ; =>This Inner Loop Header: Depth=1
	s_or_b32 s29, s29, exec_lo
	s_cmp_eq_u64 s[4:5], s[6:7]
	s_cbranch_scc0 .LBB959_118
; %bb.121:                              ;   in Loop: Header=BB959_120 Depth=1
	s_mov_b64 s[6:7], s[14:15]
                                        ; implicit-def: $vgpr19_vgpr20
                                        ; implicit-def: $vgpr21_vgpr22
	s_branch .LBB959_119
.LBB959_122:
	s_set_inst_prefetch_distance 0x2
	s_or_b32 exec_lo, exec_lo, s28
	v_cmp_gt_i64_e32 vcc_lo, s[14:15], v[23:24]
	s_or_not1_b32 s0, vcc_lo, exec_lo
.LBB959_123:
	s_or_b32 exec_lo, exec_lo, s25
.LBB959_124:
	s_delay_alu instid0(SALU_CYCLE_1)
	s_and_b32 s25, s0, exec_lo
.LBB959_125:
	s_or_b32 exec_lo, exec_lo, s26
	v_or_b32_e32 v19, 5, v39
	s_mov_b32 s28, 0
	s_mov_b32 s26, 0
	s_mov_b32 s29, exec_lo
	s_delay_alu instid0(VALU_DEP_1)
	v_cmpx_gt_u32_e64 s12, v19
	s_cbranch_execz .LBB959_136
; %bb.126:
	v_cmp_ne_u32_e32 vcc_lo, 1, v27
	s_mov_b32 s0, 0
	s_cbranch_vccnz .LBB959_135
; %bb.127:
	v_mul_lo_u32 v23, v6, s14
	v_mul_lo_u32 v24, v5, s15
	v_mad_u64_u32 v[19:20], null, v5, s14, 0
	v_mul_lo_u32 v25, v8, s14
	v_mul_lo_u32 v26, v7, s15
	s_waitcnt lgkmcnt(0)
	v_mad_u64_u32 v[21:22], null, v7, s14, 0
	s_mov_b32 s0, -1
	s_mov_b32 s26, exec_lo
	s_delay_alu instid0(VALU_DEP_4) | instskip(NEXT) | instid1(VALU_DEP_2)
	v_add3_u32 v20, v20, v24, v23
	v_add3_u32 v22, v22, v26, v25
	s_delay_alu instid0(VALU_DEP_2) | instskip(NEXT) | instid1(VALU_DEP_2)
	v_lshlrev_b64 v[19:20], 2, v[19:20]
	v_lshlrev_b64 v[23:24], 2, v[21:22]
	s_delay_alu instid0(VALU_DEP_2) | instskip(NEXT) | instid1(VALU_DEP_3)
	v_add_co_u32 v21, vcc_lo, s16, v19
	v_add_co_ci_u32_e32 v22, vcc_lo, s17, v20, vcc_lo
	s_delay_alu instid0(VALU_DEP_3) | instskip(NEXT) | instid1(VALU_DEP_4)
	v_add_co_u32 v19, vcc_lo, s16, v23
	v_add_co_ci_u32_e32 v20, vcc_lo, s17, v24, vcc_lo
	s_clause 0x1
	global_load_b32 v23, v[21:22], off
	global_load_b32 v24, v[19:20], off
	s_waitcnt vmcnt(0)
	v_cmpx_eq_f32_e32 v23, v24
	s_cbranch_execz .LBB959_134
; %bb.128:
	v_add_co_u32 v19, vcc_lo, v19, 4
	v_add_co_ci_u32_e32 v20, vcc_lo, 0, v20, vcc_lo
	v_add_co_u32 v21, vcc_lo, v21, 4
	v_add_co_ci_u32_e32 v22, vcc_lo, 0, v22, vcc_lo
	s_add_u32 s4, s14, -1
	s_addc_u32 s5, s15, -1
	s_mov_b64 s[6:7], 0
	s_mov_b32 s30, 0
                                        ; implicit-def: $sgpr31
	s_set_inst_prefetch_distance 0x1
	s_branch .LBB959_131
	.p2align	6
.LBB959_129:                            ;   in Loop: Header=BB959_131 Depth=1
	global_load_b32 v23, v[21:22], off
	global_load_b32 v24, v[19:20], off
	v_add_co_u32 v19, vcc_lo, v19, 4
	v_add_co_ci_u32_e32 v20, vcc_lo, 0, v20, vcc_lo
	v_add_co_u32 v21, s0, v21, 4
	s_delay_alu instid0(VALU_DEP_1)
	v_add_co_ci_u32_e64 v22, s0, 0, v22, s0
	s_add_u32 s6, s6, 1
	s_addc_u32 s7, s7, 0
	s_and_not1_b32 s0, s31, exec_lo
	s_waitcnt vmcnt(0)
	v_cmp_neq_f32_e32 vcc_lo, v23, v24
	s_and_b32 s31, vcc_lo, exec_lo
	s_delay_alu instid0(SALU_CYCLE_1)
	s_or_b32 s31, s0, s31
.LBB959_130:                            ;   in Loop: Header=BB959_131 Depth=1
	v_dual_mov_b32 v24, s7 :: v_dual_mov_b32 v23, s6
	s_and_b32 s0, exec_lo, s31
	s_delay_alu instid0(SALU_CYCLE_1) | instskip(NEXT) | instid1(SALU_CYCLE_1)
	s_or_b32 s30, s0, s30
	s_and_not1_b32 exec_lo, exec_lo, s30
	s_cbranch_execz .LBB959_133
.LBB959_131:                            ; =>This Inner Loop Header: Depth=1
	s_or_b32 s31, s31, exec_lo
	s_cmp_eq_u64 s[4:5], s[6:7]
	s_cbranch_scc0 .LBB959_129
; %bb.132:                              ;   in Loop: Header=BB959_131 Depth=1
	s_mov_b64 s[6:7], s[14:15]
                                        ; implicit-def: $vgpr19_vgpr20
                                        ; implicit-def: $vgpr21_vgpr22
	s_branch .LBB959_130
.LBB959_133:
	s_set_inst_prefetch_distance 0x2
	s_or_b32 exec_lo, exec_lo, s30
	v_cmp_gt_i64_e32 vcc_lo, s[14:15], v[23:24]
	s_or_not1_b32 s0, vcc_lo, exec_lo
.LBB959_134:
	s_or_b32 exec_lo, exec_lo, s26
.LBB959_135:
	s_delay_alu instid0(SALU_CYCLE_1)
	s_and_b32 s26, s0, exec_lo
.LBB959_136:
	s_or_b32 exec_lo, exec_lo, s29
	v_or_b32_e32 v19, 4, v39
	s_mov_b32 s29, exec_lo
	s_delay_alu instid0(VALU_DEP_1)
	v_cmpx_gt_u32_e64 s12, v19
	s_cbranch_execz .LBB959_147
; %bb.137:
	v_cmp_ne_u32_e32 vcc_lo, 1, v27
	s_mov_b32 s0, 0
	s_cbranch_vccnz .LBB959_146
; %bb.138:
	v_mul_lo_u32 v23, v12, s14
	v_mul_lo_u32 v24, v11, s15
	v_mad_u64_u32 v[19:20], null, v11, s14, 0
	v_mul_lo_u32 v25, v6, s14
	v_mul_lo_u32 v26, v5, s15
	s_waitcnt lgkmcnt(0)
	v_mad_u64_u32 v[21:22], null, v5, s14, 0
	s_mov_b32 s0, -1
	s_mov_b32 s28, exec_lo
	s_delay_alu instid0(VALU_DEP_4) | instskip(NEXT) | instid1(VALU_DEP_2)
	v_add3_u32 v20, v20, v24, v23
	v_add3_u32 v22, v22, v26, v25
	s_delay_alu instid0(VALU_DEP_2) | instskip(NEXT) | instid1(VALU_DEP_2)
	v_lshlrev_b64 v[19:20], 2, v[19:20]
	v_lshlrev_b64 v[23:24], 2, v[21:22]
	s_delay_alu instid0(VALU_DEP_2) | instskip(NEXT) | instid1(VALU_DEP_3)
	v_add_co_u32 v21, vcc_lo, s16, v19
	v_add_co_ci_u32_e32 v22, vcc_lo, s17, v20, vcc_lo
	s_delay_alu instid0(VALU_DEP_3) | instskip(NEXT) | instid1(VALU_DEP_4)
	v_add_co_u32 v19, vcc_lo, s16, v23
	v_add_co_ci_u32_e32 v20, vcc_lo, s17, v24, vcc_lo
	s_clause 0x1
	global_load_b32 v23, v[21:22], off
	global_load_b32 v24, v[19:20], off
	s_waitcnt vmcnt(0)
	v_cmpx_eq_f32_e32 v23, v24
	s_cbranch_execz .LBB959_145
; %bb.139:
	v_add_co_u32 v19, vcc_lo, v19, 4
	v_add_co_ci_u32_e32 v20, vcc_lo, 0, v20, vcc_lo
	v_add_co_u32 v21, vcc_lo, v21, 4
	v_add_co_ci_u32_e32 v22, vcc_lo, 0, v22, vcc_lo
	s_add_u32 s4, s14, -1
	s_addc_u32 s5, s15, -1
	s_mov_b64 s[6:7], 0
	s_mov_b32 s30, 0
                                        ; implicit-def: $sgpr31
	s_set_inst_prefetch_distance 0x1
	s_branch .LBB959_142
	.p2align	6
.LBB959_140:                            ;   in Loop: Header=BB959_142 Depth=1
	global_load_b32 v23, v[21:22], off
	global_load_b32 v24, v[19:20], off
	v_add_co_u32 v19, vcc_lo, v19, 4
	v_add_co_ci_u32_e32 v20, vcc_lo, 0, v20, vcc_lo
	v_add_co_u32 v21, s0, v21, 4
	s_delay_alu instid0(VALU_DEP_1)
	v_add_co_ci_u32_e64 v22, s0, 0, v22, s0
	s_add_u32 s6, s6, 1
	s_addc_u32 s7, s7, 0
	s_and_not1_b32 s0, s31, exec_lo
	s_waitcnt vmcnt(0)
	v_cmp_neq_f32_e32 vcc_lo, v23, v24
	s_and_b32 s31, vcc_lo, exec_lo
	s_delay_alu instid0(SALU_CYCLE_1)
	s_or_b32 s31, s0, s31
.LBB959_141:                            ;   in Loop: Header=BB959_142 Depth=1
	v_dual_mov_b32 v24, s7 :: v_dual_mov_b32 v23, s6
	s_and_b32 s0, exec_lo, s31
	s_delay_alu instid0(SALU_CYCLE_1) | instskip(NEXT) | instid1(SALU_CYCLE_1)
	s_or_b32 s30, s0, s30
	s_and_not1_b32 exec_lo, exec_lo, s30
	s_cbranch_execz .LBB959_144
.LBB959_142:                            ; =>This Inner Loop Header: Depth=1
	s_or_b32 s31, s31, exec_lo
	s_cmp_eq_u64 s[4:5], s[6:7]
	s_cbranch_scc0 .LBB959_140
; %bb.143:                              ;   in Loop: Header=BB959_142 Depth=1
	s_mov_b64 s[6:7], s[14:15]
                                        ; implicit-def: $vgpr19_vgpr20
                                        ; implicit-def: $vgpr21_vgpr22
	s_branch .LBB959_141
.LBB959_144:
	s_set_inst_prefetch_distance 0x2
	s_or_b32 exec_lo, exec_lo, s30
	v_cmp_gt_i64_e32 vcc_lo, s[14:15], v[23:24]
	s_or_not1_b32 s0, vcc_lo, exec_lo
.LBB959_145:
	s_or_b32 exec_lo, exec_lo, s28
.LBB959_146:
	s_delay_alu instid0(SALU_CYCLE_1)
	s_and_b32 s28, s0, exec_lo
.LBB959_147:
	s_or_b32 exec_lo, exec_lo, s29
	v_or_b32_e32 v19, 3, v39
	s_mov_b32 s30, 0
	s_mov_b32 s29, 0
	s_mov_b32 s31, exec_lo
	s_delay_alu instid0(VALU_DEP_1)
	v_cmpx_gt_u32_e64 s12, v19
	s_cbranch_execz .LBB959_158
; %bb.148:
	v_cmp_ne_u32_e32 vcc_lo, 1, v27
	s_mov_b32 s0, 0
	s_cbranch_vccnz .LBB959_157
; %bb.149:
	v_mul_lo_u32 v23, v10, s14
	v_mul_lo_u32 v24, v9, s15
	v_mad_u64_u32 v[19:20], null, v9, s14, 0
	v_mul_lo_u32 v25, v12, s14
	v_mul_lo_u32 v26, v11, s15
	s_waitcnt lgkmcnt(0)
	v_mad_u64_u32 v[21:22], null, v11, s14, 0
	s_mov_b32 s0, -1
	s_mov_b32 s29, exec_lo
	s_delay_alu instid0(VALU_DEP_4) | instskip(NEXT) | instid1(VALU_DEP_2)
	v_add3_u32 v20, v20, v24, v23
	v_add3_u32 v22, v22, v26, v25
	s_delay_alu instid0(VALU_DEP_2) | instskip(NEXT) | instid1(VALU_DEP_2)
	v_lshlrev_b64 v[19:20], 2, v[19:20]
	v_lshlrev_b64 v[23:24], 2, v[21:22]
	s_delay_alu instid0(VALU_DEP_2) | instskip(NEXT) | instid1(VALU_DEP_3)
	v_add_co_u32 v21, vcc_lo, s16, v19
	v_add_co_ci_u32_e32 v22, vcc_lo, s17, v20, vcc_lo
	s_delay_alu instid0(VALU_DEP_3) | instskip(NEXT) | instid1(VALU_DEP_4)
	v_add_co_u32 v19, vcc_lo, s16, v23
	v_add_co_ci_u32_e32 v20, vcc_lo, s17, v24, vcc_lo
	s_clause 0x1
	global_load_b32 v23, v[21:22], off
	global_load_b32 v24, v[19:20], off
	s_waitcnt vmcnt(0)
	v_cmpx_eq_f32_e32 v23, v24
	s_cbranch_execz .LBB959_156
; %bb.150:
	v_add_co_u32 v19, vcc_lo, v19, 4
	v_add_co_ci_u32_e32 v20, vcc_lo, 0, v20, vcc_lo
	v_add_co_u32 v21, vcc_lo, v21, 4
	v_add_co_ci_u32_e32 v22, vcc_lo, 0, v22, vcc_lo
	s_add_u32 s4, s14, -1
	s_addc_u32 s5, s15, -1
	s_mov_b64 s[6:7], 0
	s_mov_b32 s33, 0
                                        ; implicit-def: $sgpr34
	s_set_inst_prefetch_distance 0x1
	s_branch .LBB959_153
	.p2align	6
.LBB959_151:                            ;   in Loop: Header=BB959_153 Depth=1
	global_load_b32 v23, v[21:22], off
	global_load_b32 v24, v[19:20], off
	v_add_co_u32 v19, vcc_lo, v19, 4
	v_add_co_ci_u32_e32 v20, vcc_lo, 0, v20, vcc_lo
	v_add_co_u32 v21, s0, v21, 4
	s_delay_alu instid0(VALU_DEP_1)
	v_add_co_ci_u32_e64 v22, s0, 0, v22, s0
	s_add_u32 s6, s6, 1
	s_addc_u32 s7, s7, 0
	s_and_not1_b32 s0, s34, exec_lo
	s_waitcnt vmcnt(0)
	v_cmp_neq_f32_e32 vcc_lo, v23, v24
	s_and_b32 s34, vcc_lo, exec_lo
	s_delay_alu instid0(SALU_CYCLE_1)
	s_or_b32 s34, s0, s34
.LBB959_152:                            ;   in Loop: Header=BB959_153 Depth=1
	v_dual_mov_b32 v24, s7 :: v_dual_mov_b32 v23, s6
	s_and_b32 s0, exec_lo, s34
	s_delay_alu instid0(SALU_CYCLE_1) | instskip(NEXT) | instid1(SALU_CYCLE_1)
	s_or_b32 s33, s0, s33
	s_and_not1_b32 exec_lo, exec_lo, s33
	s_cbranch_execz .LBB959_155
.LBB959_153:                            ; =>This Inner Loop Header: Depth=1
	s_or_b32 s34, s34, exec_lo
	s_cmp_eq_u64 s[4:5], s[6:7]
	s_cbranch_scc0 .LBB959_151
; %bb.154:                              ;   in Loop: Header=BB959_153 Depth=1
	s_mov_b64 s[6:7], s[14:15]
                                        ; implicit-def: $vgpr19_vgpr20
                                        ; implicit-def: $vgpr21_vgpr22
	s_branch .LBB959_152
.LBB959_155:
	s_set_inst_prefetch_distance 0x2
	s_or_b32 exec_lo, exec_lo, s33
	v_cmp_gt_i64_e32 vcc_lo, s[14:15], v[23:24]
	s_or_not1_b32 s0, vcc_lo, exec_lo
.LBB959_156:
	s_or_b32 exec_lo, exec_lo, s29
.LBB959_157:
	s_delay_alu instid0(SALU_CYCLE_1)
	s_and_b32 s29, s0, exec_lo
.LBB959_158:
	s_or_b32 exec_lo, exec_lo, s31
	v_or_b32_e32 v19, 2, v39
	s_mov_b32 s31, exec_lo
	s_delay_alu instid0(VALU_DEP_1)
	v_cmpx_gt_u32_e64 s12, v19
	s_cbranch_execz .LBB959_169
; %bb.159:
	v_cmp_ne_u32_e32 vcc_lo, 1, v27
	s_mov_b32 s0, 0
	s_cbranch_vccnz .LBB959_168
; %bb.160:
	v_mul_lo_u32 v23, v16, s14
	v_mul_lo_u32 v24, v15, s15
	v_mad_u64_u32 v[19:20], null, v15, s14, 0
	v_mul_lo_u32 v25, v10, s14
	v_mul_lo_u32 v26, v9, s15
	s_waitcnt lgkmcnt(0)
	v_mad_u64_u32 v[21:22], null, v9, s14, 0
	s_mov_b32 s0, -1
	s_mov_b32 s30, exec_lo
	s_delay_alu instid0(VALU_DEP_4) | instskip(NEXT) | instid1(VALU_DEP_2)
	v_add3_u32 v20, v20, v24, v23
	v_add3_u32 v22, v22, v26, v25
	s_delay_alu instid0(VALU_DEP_2) | instskip(NEXT) | instid1(VALU_DEP_2)
	v_lshlrev_b64 v[19:20], 2, v[19:20]
	v_lshlrev_b64 v[23:24], 2, v[21:22]
	s_delay_alu instid0(VALU_DEP_2) | instskip(NEXT) | instid1(VALU_DEP_3)
	v_add_co_u32 v21, vcc_lo, s16, v19
	v_add_co_ci_u32_e32 v22, vcc_lo, s17, v20, vcc_lo
	s_delay_alu instid0(VALU_DEP_3) | instskip(NEXT) | instid1(VALU_DEP_4)
	v_add_co_u32 v19, vcc_lo, s16, v23
	v_add_co_ci_u32_e32 v20, vcc_lo, s17, v24, vcc_lo
	s_clause 0x1
	global_load_b32 v23, v[21:22], off
	global_load_b32 v24, v[19:20], off
	s_waitcnt vmcnt(0)
	v_cmpx_eq_f32_e32 v23, v24
	s_cbranch_execz .LBB959_167
; %bb.161:
	v_add_co_u32 v19, vcc_lo, v19, 4
	v_add_co_ci_u32_e32 v20, vcc_lo, 0, v20, vcc_lo
	v_add_co_u32 v21, vcc_lo, v21, 4
	v_add_co_ci_u32_e32 v22, vcc_lo, 0, v22, vcc_lo
	s_add_u32 s4, s14, -1
	s_addc_u32 s5, s15, -1
	s_mov_b64 s[6:7], 0
	s_mov_b32 s33, 0
                                        ; implicit-def: $sgpr34
	s_set_inst_prefetch_distance 0x1
	s_branch .LBB959_164
	.p2align	6
.LBB959_162:                            ;   in Loop: Header=BB959_164 Depth=1
	global_load_b32 v23, v[21:22], off
	global_load_b32 v24, v[19:20], off
	v_add_co_u32 v19, vcc_lo, v19, 4
	v_add_co_ci_u32_e32 v20, vcc_lo, 0, v20, vcc_lo
	v_add_co_u32 v21, s0, v21, 4
	s_delay_alu instid0(VALU_DEP_1)
	v_add_co_ci_u32_e64 v22, s0, 0, v22, s0
	s_add_u32 s6, s6, 1
	s_addc_u32 s7, s7, 0
	s_and_not1_b32 s0, s34, exec_lo
	s_waitcnt vmcnt(0)
	v_cmp_neq_f32_e32 vcc_lo, v23, v24
	s_and_b32 s34, vcc_lo, exec_lo
	s_delay_alu instid0(SALU_CYCLE_1)
	s_or_b32 s34, s0, s34
.LBB959_163:                            ;   in Loop: Header=BB959_164 Depth=1
	v_dual_mov_b32 v24, s7 :: v_dual_mov_b32 v23, s6
	s_and_b32 s0, exec_lo, s34
	s_delay_alu instid0(SALU_CYCLE_1) | instskip(NEXT) | instid1(SALU_CYCLE_1)
	s_or_b32 s33, s0, s33
	s_and_not1_b32 exec_lo, exec_lo, s33
	s_cbranch_execz .LBB959_166
.LBB959_164:                            ; =>This Inner Loop Header: Depth=1
	s_or_b32 s34, s34, exec_lo
	s_cmp_eq_u64 s[4:5], s[6:7]
	s_cbranch_scc0 .LBB959_162
; %bb.165:                              ;   in Loop: Header=BB959_164 Depth=1
	s_mov_b64 s[6:7], s[14:15]
                                        ; implicit-def: $vgpr19_vgpr20
                                        ; implicit-def: $vgpr21_vgpr22
	s_branch .LBB959_163
.LBB959_166:
	s_set_inst_prefetch_distance 0x2
	s_or_b32 exec_lo, exec_lo, s33
	v_cmp_gt_i64_e32 vcc_lo, s[14:15], v[23:24]
	s_or_not1_b32 s0, vcc_lo, exec_lo
.LBB959_167:
	s_or_b32 exec_lo, exec_lo, s30
.LBB959_168:
	s_delay_alu instid0(SALU_CYCLE_1)
	s_and_b32 s30, s0, exec_lo
.LBB959_169:
	s_or_b32 exec_lo, exec_lo, s31
	v_or_b32_e32 v19, 1, v39
	s_mov_b32 s0, 0
	s_mov_b32 s31, exec_lo
	s_delay_alu instid0(VALU_DEP_1)
	v_cmpx_gt_u32_e64 s12, v19
	s_cbranch_execz .LBB959_180
; %bb.170:
	v_cmp_ne_u32_e32 vcc_lo, 1, v27
	s_cbranch_vccnz .LBB959_179
; %bb.171:
	v_mul_lo_u32 v23, v14, s14
	v_mul_lo_u32 v24, v13, s15
	v_mad_u64_u32 v[19:20], null, v13, s14, 0
	v_mul_lo_u32 v25, v16, s14
	v_mul_lo_u32 v26, v15, s15
	s_waitcnt lgkmcnt(0)
	v_mad_u64_u32 v[21:22], null, v15, s14, 0
	s_mov_b32 s0, -1
	s_mov_b32 s33, exec_lo
	s_delay_alu instid0(VALU_DEP_4) | instskip(NEXT) | instid1(VALU_DEP_2)
	v_add3_u32 v20, v20, v24, v23
	v_add3_u32 v22, v22, v26, v25
	s_delay_alu instid0(VALU_DEP_2) | instskip(NEXT) | instid1(VALU_DEP_2)
	v_lshlrev_b64 v[19:20], 2, v[19:20]
	v_lshlrev_b64 v[23:24], 2, v[21:22]
	s_delay_alu instid0(VALU_DEP_2) | instskip(NEXT) | instid1(VALU_DEP_3)
	v_add_co_u32 v21, vcc_lo, s16, v19
	v_add_co_ci_u32_e32 v22, vcc_lo, s17, v20, vcc_lo
	s_delay_alu instid0(VALU_DEP_3) | instskip(NEXT) | instid1(VALU_DEP_4)
	v_add_co_u32 v19, vcc_lo, s16, v23
	v_add_co_ci_u32_e32 v20, vcc_lo, s17, v24, vcc_lo
	s_clause 0x1
	global_load_b32 v23, v[21:22], off
	global_load_b32 v24, v[19:20], off
	s_waitcnt vmcnt(0)
	v_cmpx_eq_f32_e32 v23, v24
	s_cbranch_execz .LBB959_178
; %bb.172:
	v_add_co_u32 v19, vcc_lo, v19, 4
	v_add_co_ci_u32_e32 v20, vcc_lo, 0, v20, vcc_lo
	v_add_co_u32 v21, vcc_lo, v21, 4
	v_add_co_ci_u32_e32 v22, vcc_lo, 0, v22, vcc_lo
	s_add_u32 s4, s14, -1
	s_addc_u32 s5, s15, -1
	s_mov_b64 s[6:7], 0
	s_mov_b32 s34, 0
                                        ; implicit-def: $sgpr35
	s_set_inst_prefetch_distance 0x1
	s_branch .LBB959_175
	.p2align	6
.LBB959_173:                            ;   in Loop: Header=BB959_175 Depth=1
	global_load_b32 v23, v[21:22], off
	global_load_b32 v24, v[19:20], off
	v_add_co_u32 v19, vcc_lo, v19, 4
	v_add_co_ci_u32_e32 v20, vcc_lo, 0, v20, vcc_lo
	v_add_co_u32 v21, s0, v21, 4
	s_delay_alu instid0(VALU_DEP_1)
	v_add_co_ci_u32_e64 v22, s0, 0, v22, s0
	s_add_u32 s6, s6, 1
	s_addc_u32 s7, s7, 0
	s_and_not1_b32 s0, s35, exec_lo
	s_waitcnt vmcnt(0)
	v_cmp_neq_f32_e32 vcc_lo, v23, v24
	s_and_b32 s35, vcc_lo, exec_lo
	s_delay_alu instid0(SALU_CYCLE_1)
	s_or_b32 s35, s0, s35
.LBB959_174:                            ;   in Loop: Header=BB959_175 Depth=1
	v_dual_mov_b32 v24, s7 :: v_dual_mov_b32 v23, s6
	s_and_b32 s0, exec_lo, s35
	s_delay_alu instid0(SALU_CYCLE_1) | instskip(NEXT) | instid1(SALU_CYCLE_1)
	s_or_b32 s34, s0, s34
	s_and_not1_b32 exec_lo, exec_lo, s34
	s_cbranch_execz .LBB959_177
.LBB959_175:                            ; =>This Inner Loop Header: Depth=1
	s_or_b32 s35, s35, exec_lo
	s_cmp_eq_u64 s[4:5], s[6:7]
	s_cbranch_scc0 .LBB959_173
; %bb.176:                              ;   in Loop: Header=BB959_175 Depth=1
	s_mov_b64 s[6:7], s[14:15]
                                        ; implicit-def: $vgpr19_vgpr20
                                        ; implicit-def: $vgpr21_vgpr22
	s_branch .LBB959_174
.LBB959_177:
	s_set_inst_prefetch_distance 0x2
	s_or_b32 exec_lo, exec_lo, s34
	v_cmp_gt_i64_e32 vcc_lo, s[14:15], v[23:24]
	s_or_not1_b32 s0, vcc_lo, exec_lo
.LBB959_178:
	s_or_b32 exec_lo, exec_lo, s33
.LBB959_179:
	s_delay_alu instid0(SALU_CYCLE_1)
	s_and_b32 s0, s0, exec_lo
.LBB959_180:
	s_or_b32 exec_lo, exec_lo, s31
	s_waitcnt vmcnt(0) lgkmcnt(0)
	s_barrier
	buffer_gl0_inv
	s_and_saveexec_b32 s4, s3
	s_cbranch_execz .LBB959_182
; %bb.181:
	v_add_nc_u32_e32 v17, -8, v39
	ds_load_b64 v[17:18], v17
.LBB959_182:
	s_or_b32 exec_lo, exec_lo, s4
	v_cndmask_b32_e64 v20, 0, 1, s29
	v_cndmask_b32_e64 v22, 0, 1, s26
	;; [unrolled: 1-line block ×7, first 2 shown]
	v_lshlrev_b16 v20, 8, v20
	v_lshlrev_b16 v22, 8, v22
	;; [unrolled: 1-line block ×3, first 2 shown]
	s_mov_b32 s0, 0
	v_lshlrev_b16 v25, 8, v25
	v_or_b32_e32 v19, v19, v20
	v_or_b32_e32 v20, v21, v22
	;; [unrolled: 1-line block ×3, first 2 shown]
	s_mov_b32 s25, exec_lo
	v_and_b32_e32 v23, 0xffff, v25
	v_lshlrev_b32_e32 v24, 16, v19
	v_and_b32_e32 v25, 0xffff, v20
	v_lshlrev_b32_e32 v26, 16, v21
	v_cmpx_gt_u32_e64 s12, v39
	s_cbranch_execz .LBB959_193
; %bb.183:
	v_cmp_ne_u32_e32 vcc_lo, 1, v27
	s_cbranch_vccnz .LBB959_192
; %bb.184:
	s_waitcnt lgkmcnt(0)
	v_mul_lo_u32 v22, v18, s14
	v_mul_lo_u32 v27, v17, s15
	v_mad_u64_u32 v[18:19], null, v17, s14, 0
	v_mul_lo_u32 v17, v14, s14
	v_mul_lo_u32 v28, v13, s15
	v_mad_u64_u32 v[20:21], null, v13, s14, 0
	s_mov_b32 s0, -1
	s_mov_b32 s26, exec_lo
	s_delay_alu instid0(VALU_DEP_4) | instskip(NEXT) | instid1(VALU_DEP_2)
	v_add3_u32 v19, v19, v27, v22
	v_add3_u32 v21, v21, v28, v17
	s_delay_alu instid0(VALU_DEP_2) | instskip(NEXT) | instid1(VALU_DEP_2)
	v_lshlrev_b64 v[17:18], 2, v[18:19]
	v_lshlrev_b64 v[21:22], 2, v[20:21]
	s_delay_alu instid0(VALU_DEP_2) | instskip(NEXT) | instid1(VALU_DEP_3)
	v_add_co_u32 v19, vcc_lo, s16, v17
	v_add_co_ci_u32_e32 v20, vcc_lo, s17, v18, vcc_lo
	s_delay_alu instid0(VALU_DEP_3) | instskip(NEXT) | instid1(VALU_DEP_4)
	v_add_co_u32 v17, vcc_lo, s16, v21
	v_add_co_ci_u32_e32 v18, vcc_lo, s17, v22, vcc_lo
	s_clause 0x1
	global_load_b32 v21, v[19:20], off
	global_load_b32 v22, v[17:18], off
	s_waitcnt vmcnt(0)
	v_cmpx_eq_f32_e32 v21, v22
	s_cbranch_execz .LBB959_191
; %bb.185:
	v_add_co_u32 v17, vcc_lo, v17, 4
	v_add_co_ci_u32_e32 v18, vcc_lo, 0, v18, vcc_lo
	v_add_co_u32 v19, vcc_lo, v19, 4
	v_add_co_ci_u32_e32 v20, vcc_lo, 0, v20, vcc_lo
	s_add_u32 s4, s14, -1
	s_addc_u32 s5, s15, -1
	s_mov_b64 s[6:7], 0
	s_mov_b32 s27, 0
                                        ; implicit-def: $sgpr28
	s_set_inst_prefetch_distance 0x1
	s_branch .LBB959_188
	.p2align	6
.LBB959_186:                            ;   in Loop: Header=BB959_188 Depth=1
	global_load_b32 v21, v[19:20], off
	global_load_b32 v22, v[17:18], off
	v_add_co_u32 v17, vcc_lo, v17, 4
	v_add_co_ci_u32_e32 v18, vcc_lo, 0, v18, vcc_lo
	v_add_co_u32 v19, s0, v19, 4
	s_delay_alu instid0(VALU_DEP_1)
	v_add_co_ci_u32_e64 v20, s0, 0, v20, s0
	s_add_u32 s6, s6, 1
	s_addc_u32 s7, s7, 0
	s_and_not1_b32 s0, s28, exec_lo
	s_waitcnt vmcnt(0)
	v_cmp_neq_f32_e32 vcc_lo, v21, v22
	s_and_b32 s28, vcc_lo, exec_lo
	s_delay_alu instid0(SALU_CYCLE_1)
	s_or_b32 s28, s0, s28
.LBB959_187:                            ;   in Loop: Header=BB959_188 Depth=1
	v_dual_mov_b32 v22, s7 :: v_dual_mov_b32 v21, s6
	s_and_b32 s0, exec_lo, s28
	s_delay_alu instid0(SALU_CYCLE_1) | instskip(NEXT) | instid1(SALU_CYCLE_1)
	s_or_b32 s27, s0, s27
	s_and_not1_b32 exec_lo, exec_lo, s27
	s_cbranch_execz .LBB959_190
.LBB959_188:                            ; =>This Inner Loop Header: Depth=1
	s_or_b32 s28, s28, exec_lo
	s_cmp_eq_u64 s[4:5], s[6:7]
	s_cbranch_scc0 .LBB959_186
; %bb.189:                              ;   in Loop: Header=BB959_188 Depth=1
	s_mov_b64 s[6:7], s[14:15]
                                        ; implicit-def: $vgpr17_vgpr18
                                        ; implicit-def: $vgpr19_vgpr20
	s_branch .LBB959_187
.LBB959_190:
	s_set_inst_prefetch_distance 0x2
	s_or_b32 exec_lo, exec_lo, s27
	v_cmp_gt_i64_e32 vcc_lo, s[14:15], v[21:22]
	s_or_not1_b32 s0, vcc_lo, exec_lo
.LBB959_191:
	s_or_b32 exec_lo, exec_lo, s26
.LBB959_192:
	s_delay_alu instid0(SALU_CYCLE_1)
	s_and_b32 s0, s0, exec_lo
.LBB959_193:
	s_or_b32 exec_lo, exec_lo, s25
	v_or_b32_e32 v19, v23, v24
	v_or_b32_e32 v20, v25, v26
.LBB959_194:
	s_mov_b32 s25, -1
	s_cbranch_execnz .LBB959_363
.LBB959_195:
	v_cmp_gt_i64_e64 s26, s[14:15], 0
	s_and_b32 vcc_lo, exec_lo, s22
	ds_store_b64 v39, v[3:4]
	s_cbranch_vccz .LBB959_203
; %bb.196:
	v_mul_lo_u32 v19, v2, s14
	v_mul_lo_u32 v20, v1, s15
	s_waitcnt vmcnt(0) lgkmcnt(1)
	v_mad_u64_u32 v[17:18], null, v1, s14, 0
	s_mov_b32 s27, 0
	s_and_not1_b32 vcc_lo, exec_lo, s26
	s_mov_b32 s28, 0
	s_delay_alu instid0(VALU_DEP_1) | instskip(NEXT) | instid1(VALU_DEP_1)
	v_add3_u32 v18, v18, v20, v19
	v_lshlrev_b64 v[17:18], 2, v[17:18]
	s_cbranch_vccnz .LBB959_206
; %bb.197:
	v_mul_lo_u32 v21, v4, s14
	v_mul_lo_u32 v22, v3, s15
	v_mad_u64_u32 v[19:20], null, v3, s14, 0
	s_mov_b32 s28, -1
	s_mov_b32 s29, exec_lo
	s_delay_alu instid0(VALU_DEP_1) | instskip(SKIP_2) | instid1(VALU_DEP_3)
	v_add3_u32 v20, v20, v22, v21
	v_add_co_u32 v21, vcc_lo, s16, v17
	v_add_co_ci_u32_e32 v22, vcc_lo, s17, v18, vcc_lo
	v_lshlrev_b64 v[19:20], 2, v[19:20]
	s_delay_alu instid0(VALU_DEP_1) | instskip(NEXT) | instid1(VALU_DEP_2)
	v_add_co_u32 v19, vcc_lo, s16, v19
	v_add_co_ci_u32_e32 v20, vcc_lo, s17, v20, vcc_lo
	s_clause 0x1
	global_load_b32 v23, v[21:22], off
	global_load_b32 v24, v[19:20], off
	s_waitcnt vmcnt(0)
	v_cmpx_eq_f32_e32 v23, v24
	s_cbranch_execz .LBB959_205
; %bb.198:
	v_add_co_u32 v19, vcc_lo, v19, 4
	v_add_co_ci_u32_e32 v20, vcc_lo, 0, v20, vcc_lo
	v_add_co_u32 v21, vcc_lo, v21, 4
	v_add_co_ci_u32_e32 v22, vcc_lo, 0, v22, vcc_lo
	s_add_u32 s4, s14, -1
	s_addc_u32 s5, s15, -1
	s_mov_b64 s[6:7], 0
	s_mov_b32 s28, 0
                                        ; implicit-def: $sgpr30
	s_set_inst_prefetch_distance 0x1
	s_branch .LBB959_201
	.p2align	6
.LBB959_199:                            ;   in Loop: Header=BB959_201 Depth=1
	global_load_b32 v23, v[21:22], off
	global_load_b32 v24, v[19:20], off
	v_add_co_u32 v19, vcc_lo, v19, 4
	v_add_co_ci_u32_e32 v20, vcc_lo, 0, v20, vcc_lo
	v_add_co_u32 v21, s0, v21, 4
	s_delay_alu instid0(VALU_DEP_1)
	v_add_co_ci_u32_e64 v22, s0, 0, v22, s0
	s_add_u32 s6, s6, 1
	s_addc_u32 s7, s7, 0
	s_and_not1_b32 s0, s30, exec_lo
	s_waitcnt vmcnt(0)
	v_cmp_neq_f32_e32 vcc_lo, v23, v24
	s_and_b32 s30, vcc_lo, exec_lo
	s_delay_alu instid0(SALU_CYCLE_1)
	s_or_b32 s30, s0, s30
.LBB959_200:                            ;   in Loop: Header=BB959_201 Depth=1
	v_dual_mov_b32 v24, s7 :: v_dual_mov_b32 v23, s6
	s_and_b32 s0, exec_lo, s30
	s_delay_alu instid0(SALU_CYCLE_1) | instskip(NEXT) | instid1(SALU_CYCLE_1)
	s_or_b32 s28, s0, s28
	s_and_not1_b32 exec_lo, exec_lo, s28
	s_cbranch_execz .LBB959_204
.LBB959_201:                            ; =>This Inner Loop Header: Depth=1
	s_or_b32 s30, s30, exec_lo
	s_cmp_eq_u64 s[4:5], s[6:7]
	s_cbranch_scc0 .LBB959_199
; %bb.202:                              ;   in Loop: Header=BB959_201 Depth=1
	s_mov_b64 s[6:7], s[14:15]
                                        ; implicit-def: $vgpr19_vgpr20
                                        ; implicit-def: $vgpr21_vgpr22
	s_branch .LBB959_200
.LBB959_203:
                                        ; implicit-def: $sgpr0
                                        ; implicit-def: $vgpr20
	s_cbranch_execnz .LBB959_272
	s_branch .LBB959_363
.LBB959_204:
	s_set_inst_prefetch_distance 0x2
	s_or_b32 exec_lo, exec_lo, s28
	v_cmp_gt_i64_e32 vcc_lo, s[14:15], v[23:24]
	s_or_not1_b32 s28, vcc_lo, exec_lo
.LBB959_205:
	s_or_b32 exec_lo, exec_lo, s29
.LBB959_206:
	v_mul_lo_u32 v21, v8, s14
	v_mul_lo_u32 v22, v7, s15
	v_mad_u64_u32 v[19:20], null, v7, s14, 0
	s_and_not1_b32 vcc_lo, exec_lo, s26
	s_delay_alu instid0(VALU_DEP_1) | instskip(NEXT) | instid1(VALU_DEP_1)
	v_add3_u32 v20, v20, v22, v21
	v_lshlrev_b64 v[19:20], 2, v[19:20]
	s_cbranch_vccnz .LBB959_215
; %bb.207:
	s_delay_alu instid0(VALU_DEP_1) | instskip(NEXT) | instid1(VALU_DEP_2)
	v_add_co_u32 v21, vcc_lo, s16, v19
	v_add_co_ci_u32_e32 v22, vcc_lo, s17, v20, vcc_lo
	v_add_co_u32 v17, vcc_lo, s16, v17
	v_add_co_ci_u32_e32 v18, vcc_lo, s17, v18, vcc_lo
	s_mov_b32 s27, -1
	s_clause 0x1
	global_load_b32 v23, v[21:22], off
	global_load_b32 v24, v[17:18], off
	s_mov_b32 s29, exec_lo
	s_waitcnt vmcnt(0)
	v_cmpx_eq_f32_e32 v23, v24
	s_cbranch_execz .LBB959_214
; %bb.208:
	v_add_co_u32 v17, vcc_lo, v17, 4
	v_add_co_ci_u32_e32 v18, vcc_lo, 0, v18, vcc_lo
	v_add_co_u32 v21, vcc_lo, v21, 4
	v_add_co_ci_u32_e32 v22, vcc_lo, 0, v22, vcc_lo
	s_add_u32 s4, s14, -1
	s_addc_u32 s5, s15, -1
	s_mov_b64 s[6:7], 0
	s_mov_b32 s27, 0
                                        ; implicit-def: $sgpr30
	s_set_inst_prefetch_distance 0x1
	s_branch .LBB959_211
	.p2align	6
.LBB959_209:                            ;   in Loop: Header=BB959_211 Depth=1
	global_load_b32 v23, v[21:22], off
	global_load_b32 v24, v[17:18], off
	v_add_co_u32 v17, vcc_lo, v17, 4
	v_add_co_ci_u32_e32 v18, vcc_lo, 0, v18, vcc_lo
	v_add_co_u32 v21, s0, v21, 4
	s_delay_alu instid0(VALU_DEP_1)
	v_add_co_ci_u32_e64 v22, s0, 0, v22, s0
	s_add_u32 s6, s6, 1
	s_addc_u32 s7, s7, 0
	s_and_not1_b32 s0, s30, exec_lo
	s_waitcnt vmcnt(0)
	v_cmp_neq_f32_e32 vcc_lo, v23, v24
	s_and_b32 s30, vcc_lo, exec_lo
	s_delay_alu instid0(SALU_CYCLE_1)
	s_or_b32 s30, s0, s30
.LBB959_210:                            ;   in Loop: Header=BB959_211 Depth=1
	v_dual_mov_b32 v24, s7 :: v_dual_mov_b32 v23, s6
	s_and_b32 s0, exec_lo, s30
	s_delay_alu instid0(SALU_CYCLE_1) | instskip(NEXT) | instid1(SALU_CYCLE_1)
	s_or_b32 s27, s0, s27
	s_and_not1_b32 exec_lo, exec_lo, s27
	s_cbranch_execz .LBB959_213
.LBB959_211:                            ; =>This Inner Loop Header: Depth=1
	s_or_b32 s30, s30, exec_lo
	s_cmp_eq_u64 s[4:5], s[6:7]
	s_cbranch_scc0 .LBB959_209
; %bb.212:                              ;   in Loop: Header=BB959_211 Depth=1
	s_mov_b64 s[6:7], s[14:15]
                                        ; implicit-def: $vgpr17_vgpr18
                                        ; implicit-def: $vgpr21_vgpr22
	s_branch .LBB959_210
.LBB959_213:
	s_set_inst_prefetch_distance 0x2
	s_or_b32 exec_lo, exec_lo, s27
	v_cmp_gt_i64_e32 vcc_lo, s[14:15], v[23:24]
	s_or_not1_b32 s27, vcc_lo, exec_lo
.LBB959_214:
	s_or_b32 exec_lo, exec_lo, s29
.LBB959_215:
	v_mul_lo_u32 v21, v6, s14
	v_mul_lo_u32 v22, v5, s15
	v_mad_u64_u32 v[17:18], null, v5, s14, 0
	s_mov_b32 s29, 0
	s_and_not1_b32 vcc_lo, exec_lo, s26
	s_mov_b32 s30, 0
	s_delay_alu instid0(VALU_DEP_1) | instskip(NEXT) | instid1(VALU_DEP_1)
	v_add3_u32 v18, v18, v22, v21
	v_lshlrev_b64 v[21:22], 2, v[17:18]
	s_cbranch_vccnz .LBB959_224
; %bb.216:
	s_delay_alu instid0(VALU_DEP_1) | instskip(NEXT) | instid1(VALU_DEP_2)
	v_add_co_u32 v23, vcc_lo, s16, v21
	v_add_co_ci_u32_e32 v24, vcc_lo, s17, v22, vcc_lo
	v_add_co_u32 v17, vcc_lo, s16, v19
	v_add_co_ci_u32_e32 v18, vcc_lo, s17, v20, vcc_lo
	s_mov_b32 s30, -1
	s_clause 0x1
	global_load_b32 v19, v[23:24], off
	global_load_b32 v20, v[17:18], off
	s_mov_b32 s31, exec_lo
	s_waitcnt vmcnt(0)
	v_cmpx_eq_f32_e32 v19, v20
	s_cbranch_execz .LBB959_223
; %bb.217:
	v_add_co_u32 v17, vcc_lo, v17, 4
	v_add_co_ci_u32_e32 v18, vcc_lo, 0, v18, vcc_lo
	v_add_co_u32 v19, vcc_lo, v23, 4
	v_add_co_ci_u32_e32 v20, vcc_lo, 0, v24, vcc_lo
	s_add_u32 s4, s14, -1
	s_addc_u32 s5, s15, -1
	s_mov_b64 s[6:7], 0
	s_mov_b32 s30, 0
                                        ; implicit-def: $sgpr33
	s_set_inst_prefetch_distance 0x1
	s_branch .LBB959_220
	.p2align	6
.LBB959_218:                            ;   in Loop: Header=BB959_220 Depth=1
	global_load_b32 v23, v[19:20], off
	global_load_b32 v24, v[17:18], off
	v_add_co_u32 v17, vcc_lo, v17, 4
	v_add_co_ci_u32_e32 v18, vcc_lo, 0, v18, vcc_lo
	v_add_co_u32 v19, s0, v19, 4
	s_delay_alu instid0(VALU_DEP_1)
	v_add_co_ci_u32_e64 v20, s0, 0, v20, s0
	s_add_u32 s6, s6, 1
	s_addc_u32 s7, s7, 0
	s_and_not1_b32 s0, s33, exec_lo
	s_waitcnt vmcnt(0)
	v_cmp_neq_f32_e32 vcc_lo, v23, v24
	s_and_b32 s33, vcc_lo, exec_lo
	s_delay_alu instid0(SALU_CYCLE_1)
	s_or_b32 s33, s0, s33
.LBB959_219:                            ;   in Loop: Header=BB959_220 Depth=1
	v_dual_mov_b32 v24, s7 :: v_dual_mov_b32 v23, s6
	s_and_b32 s0, exec_lo, s33
	s_delay_alu instid0(SALU_CYCLE_1) | instskip(NEXT) | instid1(SALU_CYCLE_1)
	s_or_b32 s30, s0, s30
	s_and_not1_b32 exec_lo, exec_lo, s30
	s_cbranch_execz .LBB959_222
.LBB959_220:                            ; =>This Inner Loop Header: Depth=1
	s_or_b32 s33, s33, exec_lo
	s_cmp_eq_u64 s[4:5], s[6:7]
	s_cbranch_scc0 .LBB959_218
; %bb.221:                              ;   in Loop: Header=BB959_220 Depth=1
	s_mov_b64 s[6:7], s[14:15]
                                        ; implicit-def: $vgpr17_vgpr18
                                        ; implicit-def: $vgpr19_vgpr20
	s_branch .LBB959_219
.LBB959_222:
	s_set_inst_prefetch_distance 0x2
	s_or_b32 exec_lo, exec_lo, s30
	v_cmp_gt_i64_e32 vcc_lo, s[14:15], v[23:24]
	s_or_not1_b32 s30, vcc_lo, exec_lo
.LBB959_223:
	s_or_b32 exec_lo, exec_lo, s31
.LBB959_224:
	v_mul_lo_u32 v19, v12, s14
	v_mul_lo_u32 v20, v11, s15
	v_mad_u64_u32 v[17:18], null, v11, s14, 0
	s_and_not1_b32 vcc_lo, exec_lo, s26
	s_delay_alu instid0(VALU_DEP_1) | instskip(NEXT) | instid1(VALU_DEP_1)
	v_add3_u32 v18, v18, v20, v19
	v_lshlrev_b64 v[17:18], 2, v[17:18]
	s_cbranch_vccnz .LBB959_233
; %bb.225:
	s_delay_alu instid0(VALU_DEP_1) | instskip(NEXT) | instid1(VALU_DEP_2)
	v_add_co_u32 v23, vcc_lo, s16, v17
	v_add_co_ci_u32_e32 v24, vcc_lo, s17, v18, vcc_lo
	v_add_co_u32 v19, vcc_lo, s16, v21
	v_add_co_ci_u32_e32 v20, vcc_lo, s17, v22, vcc_lo
	s_mov_b32 s29, -1
	s_clause 0x1
	global_load_b32 v21, v[23:24], off
	global_load_b32 v22, v[19:20], off
	s_mov_b32 s31, exec_lo
	s_waitcnt vmcnt(0)
	v_cmpx_eq_f32_e32 v21, v22
	s_cbranch_execz .LBB959_232
; %bb.226:
	v_add_co_u32 v19, vcc_lo, v19, 4
	v_add_co_ci_u32_e32 v20, vcc_lo, 0, v20, vcc_lo
	v_add_co_u32 v21, vcc_lo, v23, 4
	v_add_co_ci_u32_e32 v22, vcc_lo, 0, v24, vcc_lo
	s_add_u32 s4, s14, -1
	s_addc_u32 s5, s15, -1
	s_mov_b64 s[6:7], 0
	s_mov_b32 s29, 0
                                        ; implicit-def: $sgpr33
	s_set_inst_prefetch_distance 0x1
	s_branch .LBB959_229
	.p2align	6
.LBB959_227:                            ;   in Loop: Header=BB959_229 Depth=1
	global_load_b32 v23, v[21:22], off
	global_load_b32 v24, v[19:20], off
	v_add_co_u32 v19, vcc_lo, v19, 4
	v_add_co_ci_u32_e32 v20, vcc_lo, 0, v20, vcc_lo
	v_add_co_u32 v21, s0, v21, 4
	s_delay_alu instid0(VALU_DEP_1)
	v_add_co_ci_u32_e64 v22, s0, 0, v22, s0
	s_add_u32 s6, s6, 1
	s_addc_u32 s7, s7, 0
	s_and_not1_b32 s0, s33, exec_lo
	s_waitcnt vmcnt(0)
	v_cmp_neq_f32_e32 vcc_lo, v23, v24
	s_and_b32 s33, vcc_lo, exec_lo
	s_delay_alu instid0(SALU_CYCLE_1)
	s_or_b32 s33, s0, s33
.LBB959_228:                            ;   in Loop: Header=BB959_229 Depth=1
	v_dual_mov_b32 v24, s7 :: v_dual_mov_b32 v23, s6
	s_and_b32 s0, exec_lo, s33
	s_delay_alu instid0(SALU_CYCLE_1) | instskip(NEXT) | instid1(SALU_CYCLE_1)
	s_or_b32 s29, s0, s29
	s_and_not1_b32 exec_lo, exec_lo, s29
	s_cbranch_execz .LBB959_231
.LBB959_229:                            ; =>This Inner Loop Header: Depth=1
	s_or_b32 s33, s33, exec_lo
	s_cmp_eq_u64 s[4:5], s[6:7]
	s_cbranch_scc0 .LBB959_227
; %bb.230:                              ;   in Loop: Header=BB959_229 Depth=1
	s_mov_b64 s[6:7], s[14:15]
                                        ; implicit-def: $vgpr19_vgpr20
                                        ; implicit-def: $vgpr21_vgpr22
	s_branch .LBB959_228
.LBB959_231:
	s_set_inst_prefetch_distance 0x2
	s_or_b32 exec_lo, exec_lo, s29
	v_cmp_gt_i64_e32 vcc_lo, s[14:15], v[23:24]
	s_or_not1_b32 s29, vcc_lo, exec_lo
.LBB959_232:
	s_or_b32 exec_lo, exec_lo, s31
.LBB959_233:
	v_mul_lo_u32 v21, v10, s14
	v_mul_lo_u32 v22, v9, s15
	v_mad_u64_u32 v[19:20], null, v9, s14, 0
	s_mov_b32 s31, 0
	s_and_not1_b32 vcc_lo, exec_lo, s26
	s_mov_b32 s33, 0
	s_delay_alu instid0(VALU_DEP_1) | instskip(NEXT) | instid1(VALU_DEP_1)
	v_add3_u32 v20, v20, v22, v21
	v_lshlrev_b64 v[21:22], 2, v[19:20]
	s_cbranch_vccnz .LBB959_242
; %bb.234:
	s_delay_alu instid0(VALU_DEP_1) | instskip(NEXT) | instid1(VALU_DEP_2)
	v_add_co_u32 v19, vcc_lo, s16, v21
	v_add_co_ci_u32_e32 v20, vcc_lo, s17, v22, vcc_lo
	v_add_co_u32 v17, vcc_lo, s16, v17
	v_add_co_ci_u32_e32 v18, vcc_lo, s17, v18, vcc_lo
	s_mov_b32 s33, -1
	s_clause 0x1
	global_load_b32 v23, v[19:20], off
	global_load_b32 v24, v[17:18], off
	s_mov_b32 s34, exec_lo
	s_waitcnt vmcnt(0)
	v_cmpx_eq_f32_e32 v23, v24
	s_cbranch_execz .LBB959_241
; %bb.235:
	v_add_co_u32 v17, vcc_lo, v17, 4
	v_add_co_ci_u32_e32 v18, vcc_lo, 0, v18, vcc_lo
	v_add_co_u32 v19, vcc_lo, v19, 4
	v_add_co_ci_u32_e32 v20, vcc_lo, 0, v20, vcc_lo
	s_add_u32 s4, s14, -1
	s_addc_u32 s5, s15, -1
	s_mov_b64 s[6:7], 0
	s_mov_b32 s33, 0
                                        ; implicit-def: $sgpr35
	s_set_inst_prefetch_distance 0x1
	s_branch .LBB959_238
	.p2align	6
.LBB959_236:                            ;   in Loop: Header=BB959_238 Depth=1
	global_load_b32 v23, v[19:20], off
	global_load_b32 v24, v[17:18], off
	v_add_co_u32 v17, vcc_lo, v17, 4
	v_add_co_ci_u32_e32 v18, vcc_lo, 0, v18, vcc_lo
	v_add_co_u32 v19, s0, v19, 4
	s_delay_alu instid0(VALU_DEP_1)
	v_add_co_ci_u32_e64 v20, s0, 0, v20, s0
	s_add_u32 s6, s6, 1
	s_addc_u32 s7, s7, 0
	s_and_not1_b32 s0, s35, exec_lo
	s_waitcnt vmcnt(0)
	v_cmp_neq_f32_e32 vcc_lo, v23, v24
	s_and_b32 s35, vcc_lo, exec_lo
	s_delay_alu instid0(SALU_CYCLE_1)
	s_or_b32 s35, s0, s35
.LBB959_237:                            ;   in Loop: Header=BB959_238 Depth=1
	v_dual_mov_b32 v24, s7 :: v_dual_mov_b32 v23, s6
	s_and_b32 s0, exec_lo, s35
	s_delay_alu instid0(SALU_CYCLE_1) | instskip(NEXT) | instid1(SALU_CYCLE_1)
	s_or_b32 s33, s0, s33
	s_and_not1_b32 exec_lo, exec_lo, s33
	s_cbranch_execz .LBB959_240
.LBB959_238:                            ; =>This Inner Loop Header: Depth=1
	s_or_b32 s35, s35, exec_lo
	s_cmp_eq_u64 s[4:5], s[6:7]
	s_cbranch_scc0 .LBB959_236
; %bb.239:                              ;   in Loop: Header=BB959_238 Depth=1
	s_mov_b64 s[6:7], s[14:15]
                                        ; implicit-def: $vgpr17_vgpr18
                                        ; implicit-def: $vgpr19_vgpr20
	s_branch .LBB959_237
.LBB959_240:
	s_set_inst_prefetch_distance 0x2
	s_or_b32 exec_lo, exec_lo, s33
	v_cmp_gt_i64_e32 vcc_lo, s[14:15], v[23:24]
	s_or_not1_b32 s33, vcc_lo, exec_lo
.LBB959_241:
	s_or_b32 exec_lo, exec_lo, s34
.LBB959_242:
	v_mul_lo_u32 v19, v16, s14
	v_mul_lo_u32 v20, v15, s15
	v_mad_u64_u32 v[17:18], null, v15, s14, 0
	s_and_not1_b32 vcc_lo, exec_lo, s26
	s_delay_alu instid0(VALU_DEP_1) | instskip(NEXT) | instid1(VALU_DEP_1)
	v_add3_u32 v18, v18, v20, v19
	v_lshlrev_b64 v[19:20], 2, v[17:18]
	s_cbranch_vccnz .LBB959_251
; %bb.243:
	s_delay_alu instid0(VALU_DEP_1) | instskip(NEXT) | instid1(VALU_DEP_2)
	v_add_co_u32 v23, vcc_lo, s16, v19
	v_add_co_ci_u32_e32 v24, vcc_lo, s17, v20, vcc_lo
	v_add_co_u32 v17, vcc_lo, s16, v21
	v_add_co_ci_u32_e32 v18, vcc_lo, s17, v22, vcc_lo
	s_mov_b32 s31, -1
	s_clause 0x1
	global_load_b32 v21, v[23:24], off
	global_load_b32 v22, v[17:18], off
	s_mov_b32 s34, exec_lo
	s_waitcnt vmcnt(0)
	v_cmpx_eq_f32_e32 v21, v22
	s_cbranch_execz .LBB959_250
; %bb.244:
	v_add_co_u32 v17, vcc_lo, v17, 4
	v_add_co_ci_u32_e32 v18, vcc_lo, 0, v18, vcc_lo
	v_add_co_u32 v21, vcc_lo, v23, 4
	v_add_co_ci_u32_e32 v22, vcc_lo, 0, v24, vcc_lo
	s_add_u32 s4, s14, -1
	s_addc_u32 s5, s15, -1
	s_mov_b64 s[6:7], 0
	s_mov_b32 s31, 0
                                        ; implicit-def: $sgpr35
	s_set_inst_prefetch_distance 0x1
	s_branch .LBB959_247
	.p2align	6
.LBB959_245:                            ;   in Loop: Header=BB959_247 Depth=1
	global_load_b32 v23, v[21:22], off
	global_load_b32 v24, v[17:18], off
	v_add_co_u32 v17, vcc_lo, v17, 4
	v_add_co_ci_u32_e32 v18, vcc_lo, 0, v18, vcc_lo
	v_add_co_u32 v21, s0, v21, 4
	s_delay_alu instid0(VALU_DEP_1)
	v_add_co_ci_u32_e64 v22, s0, 0, v22, s0
	s_add_u32 s6, s6, 1
	s_addc_u32 s7, s7, 0
	s_and_not1_b32 s0, s35, exec_lo
	s_waitcnt vmcnt(0)
	v_cmp_neq_f32_e32 vcc_lo, v23, v24
	s_and_b32 s35, vcc_lo, exec_lo
	s_delay_alu instid0(SALU_CYCLE_1)
	s_or_b32 s35, s0, s35
.LBB959_246:                            ;   in Loop: Header=BB959_247 Depth=1
	v_dual_mov_b32 v24, s7 :: v_dual_mov_b32 v23, s6
	s_and_b32 s0, exec_lo, s35
	s_delay_alu instid0(SALU_CYCLE_1) | instskip(NEXT) | instid1(SALU_CYCLE_1)
	s_or_b32 s31, s0, s31
	s_and_not1_b32 exec_lo, exec_lo, s31
	s_cbranch_execz .LBB959_249
.LBB959_247:                            ; =>This Inner Loop Header: Depth=1
	s_or_b32 s35, s35, exec_lo
	s_cmp_eq_u64 s[4:5], s[6:7]
	s_cbranch_scc0 .LBB959_245
; %bb.248:                              ;   in Loop: Header=BB959_247 Depth=1
	s_mov_b64 s[6:7], s[14:15]
                                        ; implicit-def: $vgpr17_vgpr18
                                        ; implicit-def: $vgpr21_vgpr22
	s_branch .LBB959_246
.LBB959_249:
	s_set_inst_prefetch_distance 0x2
	s_or_b32 exec_lo, exec_lo, s31
	v_cmp_gt_i64_e32 vcc_lo, s[14:15], v[23:24]
	s_or_not1_b32 s31, vcc_lo, exec_lo
.LBB959_250:
	s_or_b32 exec_lo, exec_lo, s34
.LBB959_251:
	v_mul_lo_u32 v21, v14, s14
	v_mul_lo_u32 v22, v13, s15
	v_mad_u64_u32 v[17:18], null, v13, s14, 0
	s_and_not1_b32 vcc_lo, exec_lo, s26
	s_mov_b32 s0, 0
	s_delay_alu instid0(VALU_DEP_1)
	v_add3_u32 v18, v18, v22, v21
	s_cbranch_vccnz .LBB959_260
; %bb.252:
	s_delay_alu instid0(VALU_DEP_1) | instskip(SKIP_2) | instid1(VALU_DEP_1)
	v_lshlrev_b64 v[21:22], 2, v[17:18]
	s_mov_b32 s0, -1
	s_mov_b32 s34, exec_lo
	v_add_co_u32 v21, vcc_lo, s16, v21
	s_delay_alu instid0(VALU_DEP_2)
	v_add_co_ci_u32_e32 v22, vcc_lo, s17, v22, vcc_lo
	v_add_co_u32 v19, vcc_lo, s16, v19
	v_add_co_ci_u32_e32 v20, vcc_lo, s17, v20, vcc_lo
	s_clause 0x1
	global_load_b32 v23, v[21:22], off
	global_load_b32 v24, v[19:20], off
	s_waitcnt vmcnt(0)
	v_cmpx_eq_f32_e32 v23, v24
	s_cbranch_execz .LBB959_259
; %bb.253:
	v_add_co_u32 v19, vcc_lo, v19, 4
	v_add_co_ci_u32_e32 v20, vcc_lo, 0, v20, vcc_lo
	v_add_co_u32 v21, vcc_lo, v21, 4
	v_add_co_ci_u32_e32 v22, vcc_lo, 0, v22, vcc_lo
	s_add_u32 s4, s14, -1
	s_addc_u32 s5, s15, -1
	s_mov_b64 s[6:7], 0
	s_mov_b32 s35, 0
                                        ; implicit-def: $sgpr36
	s_set_inst_prefetch_distance 0x1
	s_branch .LBB959_256
	.p2align	6
.LBB959_254:                            ;   in Loop: Header=BB959_256 Depth=1
	global_load_b32 v23, v[21:22], off
	global_load_b32 v24, v[19:20], off
	v_add_co_u32 v19, vcc_lo, v19, 4
	v_add_co_ci_u32_e32 v20, vcc_lo, 0, v20, vcc_lo
	v_add_co_u32 v21, s0, v21, 4
	s_delay_alu instid0(VALU_DEP_1)
	v_add_co_ci_u32_e64 v22, s0, 0, v22, s0
	s_add_u32 s6, s6, 1
	s_addc_u32 s7, s7, 0
	s_and_not1_b32 s0, s36, exec_lo
	s_waitcnt vmcnt(0)
	v_cmp_neq_f32_e32 vcc_lo, v23, v24
	s_and_b32 s36, vcc_lo, exec_lo
	s_delay_alu instid0(SALU_CYCLE_1)
	s_or_b32 s36, s0, s36
.LBB959_255:                            ;   in Loop: Header=BB959_256 Depth=1
	v_dual_mov_b32 v24, s7 :: v_dual_mov_b32 v23, s6
	s_and_b32 s0, exec_lo, s36
	s_delay_alu instid0(SALU_CYCLE_1) | instskip(NEXT) | instid1(SALU_CYCLE_1)
	s_or_b32 s35, s0, s35
	s_and_not1_b32 exec_lo, exec_lo, s35
	s_cbranch_execz .LBB959_258
.LBB959_256:                            ; =>This Inner Loop Header: Depth=1
	s_or_b32 s36, s36, exec_lo
	s_cmp_eq_u64 s[4:5], s[6:7]
	s_cbranch_scc0 .LBB959_254
; %bb.257:                              ;   in Loop: Header=BB959_256 Depth=1
	s_mov_b64 s[6:7], s[14:15]
                                        ; implicit-def: $vgpr19_vgpr20
                                        ; implicit-def: $vgpr21_vgpr22
	s_branch .LBB959_255
.LBB959_258:
	s_set_inst_prefetch_distance 0x2
	s_or_b32 exec_lo, exec_lo, s35
	v_cmp_gt_i64_e32 vcc_lo, s[14:15], v[23:24]
	s_or_not1_b32 s0, vcc_lo, exec_lo
.LBB959_259:
	s_or_b32 exec_lo, exec_lo, s34
.LBB959_260:
	v_cndmask_b32_e64 v20, 0, 1, s33
	v_cndmask_b32_e64 v21, 0, 1, s30
	;; [unrolled: 1-line block ×7, first 2 shown]
	v_lshlrev_b16 v21, 8, v21
	v_lshlrev_b16 v22, 8, v22
	;; [unrolled: 1-line block ×4, first 2 shown]
	s_waitcnt lgkmcnt(0)
	v_or_b32_e32 v21, v24, v21
	v_or_b32_e32 v22, v25, v22
	;; [unrolled: 1-line block ×4, first 2 shown]
	s_barrier
	v_and_b32_e32 v20, 0xffff, v21
	v_lshlrev_b32_e32 v21, 16, v22
	v_and_b32_e32 v22, 0xffff, v23
	v_lshlrev_b32_e32 v19, 16, v19
	buffer_gl0_inv
                                        ; implicit-def: $sgpr0
	v_or_b32_e32 v20, v20, v21
	v_or_b32_e32 v19, v22, v19
	s_and_saveexec_b32 s4, s3
	s_delay_alu instid0(SALU_CYCLE_1)
	s_xor_b32 s27, exec_lo, s4
	s_cbranch_execz .LBB959_271
; %bb.261:
	s_and_not1_b32 vcc_lo, exec_lo, s26
	s_mov_b32 s0, 0
	s_cbranch_vccnz .LBB959_270
; %bb.262:
	v_add_nc_u32_e32 v21, -8, v39
	v_lshlrev_b64 v[17:18], 2, v[17:18]
	s_mov_b32 s0, -1
	s_mov_b32 s28, exec_lo
	ds_load_b64 v[21:22], v21
	s_waitcnt lgkmcnt(0)
	v_mul_lo_u32 v24, v22, s14
	v_mul_lo_u32 v25, v21, s15
	v_mad_u64_u32 v[22:23], null, v21, s14, 0
	s_delay_alu instid0(VALU_DEP_1) | instskip(NEXT) | instid1(VALU_DEP_1)
	v_add3_u32 v23, v23, v25, v24
	v_lshlrev_b64 v[21:22], 2, v[22:23]
	s_delay_alu instid0(VALU_DEP_1) | instskip(NEXT) | instid1(VALU_DEP_2)
	v_add_co_u32 v21, vcc_lo, s16, v21
	v_add_co_ci_u32_e32 v22, vcc_lo, s17, v22, vcc_lo
	v_add_co_u32 v17, vcc_lo, s16, v17
	v_add_co_ci_u32_e32 v18, vcc_lo, s17, v18, vcc_lo
	s_clause 0x1
	global_load_b32 v23, v[21:22], off
	global_load_b32 v24, v[17:18], off
	s_waitcnt vmcnt(0)
	v_cmpx_eq_f32_e32 v23, v24
	s_cbranch_execz .LBB959_269
; %bb.263:
	v_add_co_u32 v17, vcc_lo, v17, 4
	v_add_co_ci_u32_e32 v18, vcc_lo, 0, v18, vcc_lo
	v_add_co_u32 v21, vcc_lo, v21, 4
	v_add_co_ci_u32_e32 v22, vcc_lo, 0, v22, vcc_lo
	s_add_u32 s4, s14, -1
	s_addc_u32 s5, s15, -1
	s_mov_b64 s[6:7], 0
	s_mov_b32 s29, 0
                                        ; implicit-def: $sgpr30
	s_set_inst_prefetch_distance 0x1
	s_branch .LBB959_266
	.p2align	6
.LBB959_264:                            ;   in Loop: Header=BB959_266 Depth=1
	global_load_b32 v23, v[21:22], off
	global_load_b32 v24, v[17:18], off
	v_add_co_u32 v17, vcc_lo, v17, 4
	v_add_co_ci_u32_e32 v18, vcc_lo, 0, v18, vcc_lo
	v_add_co_u32 v21, s0, v21, 4
	s_delay_alu instid0(VALU_DEP_1)
	v_add_co_ci_u32_e64 v22, s0, 0, v22, s0
	s_add_u32 s6, s6, 1
	s_addc_u32 s7, s7, 0
	s_and_not1_b32 s0, s30, exec_lo
	s_waitcnt vmcnt(0)
	v_cmp_neq_f32_e32 vcc_lo, v23, v24
	s_and_b32 s30, vcc_lo, exec_lo
	s_delay_alu instid0(SALU_CYCLE_1)
	s_or_b32 s30, s0, s30
.LBB959_265:                            ;   in Loop: Header=BB959_266 Depth=1
	v_dual_mov_b32 v24, s7 :: v_dual_mov_b32 v23, s6
	s_and_b32 s0, exec_lo, s30
	s_delay_alu instid0(SALU_CYCLE_1) | instskip(NEXT) | instid1(SALU_CYCLE_1)
	s_or_b32 s29, s0, s29
	s_and_not1_b32 exec_lo, exec_lo, s29
	s_cbranch_execz .LBB959_268
.LBB959_266:                            ; =>This Inner Loop Header: Depth=1
	s_or_b32 s30, s30, exec_lo
	s_cmp_eq_u64 s[4:5], s[6:7]
	s_cbranch_scc0 .LBB959_264
; %bb.267:                              ;   in Loop: Header=BB959_266 Depth=1
	s_mov_b64 s[6:7], s[14:15]
                                        ; implicit-def: $vgpr17_vgpr18
                                        ; implicit-def: $vgpr21_vgpr22
	s_branch .LBB959_265
.LBB959_268:
	s_set_inst_prefetch_distance 0x2
	s_or_b32 exec_lo, exec_lo, s29
	v_cmp_gt_i64_e32 vcc_lo, s[14:15], v[23:24]
	s_or_not1_b32 s0, vcc_lo, exec_lo
.LBB959_269:
	s_or_b32 exec_lo, exec_lo, s28
.LBB959_270:
	s_delay_alu instid0(SALU_CYCLE_1)
	s_and_b32 s0, s0, exec_lo
	s_or_b32 s25, s25, exec_lo
.LBB959_271:
	s_or_b32 exec_lo, exec_lo, s27
	s_branch .LBB959_363
.LBB959_272:
	s_waitcnt vmcnt(0) lgkmcnt(1)
	v_or_b32_e32 v17, 7, v39
	s_mov_b32 s27, 0
	s_mov_b32 s28, 0
	s_mov_b32 s29, exec_lo
	s_delay_alu instid0(VALU_DEP_1)
	v_cmpx_gt_u32_e64 s12, v17
	s_cbranch_execz .LBB959_283
; %bb.273:
	s_and_not1_b32 vcc_lo, exec_lo, s26
	s_mov_b32 s0, 0
	s_cbranch_vccnz .LBB959_282
; %bb.274:
	v_mul_lo_u32 v21, v2, s14
	v_mul_lo_u32 v22, v1, s15
	v_mad_u64_u32 v[17:18], null, v1, s14, 0
	v_mul_lo_u32 v23, v4, s14
	v_mul_lo_u32 v24, v3, s15
	v_mad_u64_u32 v[19:20], null, v3, s14, 0
	s_mov_b32 s0, -1
	s_mov_b32 s28, exec_lo
	s_delay_alu instid0(VALU_DEP_4) | instskip(NEXT) | instid1(VALU_DEP_2)
	v_add3_u32 v18, v18, v22, v21
	v_add3_u32 v20, v20, v24, v23
	s_delay_alu instid0(VALU_DEP_2) | instskip(NEXT) | instid1(VALU_DEP_2)
	v_lshlrev_b64 v[17:18], 2, v[17:18]
	v_lshlrev_b64 v[21:22], 2, v[19:20]
	s_delay_alu instid0(VALU_DEP_2) | instskip(NEXT) | instid1(VALU_DEP_3)
	v_add_co_u32 v19, vcc_lo, s16, v17
	v_add_co_ci_u32_e32 v20, vcc_lo, s17, v18, vcc_lo
	s_delay_alu instid0(VALU_DEP_3) | instskip(NEXT) | instid1(VALU_DEP_4)
	v_add_co_u32 v17, vcc_lo, s16, v21
	v_add_co_ci_u32_e32 v18, vcc_lo, s17, v22, vcc_lo
	s_clause 0x1
	global_load_b32 v21, v[19:20], off
	global_load_b32 v22, v[17:18], off
	s_waitcnt vmcnt(0)
	v_cmpx_eq_f32_e32 v21, v22
	s_cbranch_execz .LBB959_281
; %bb.275:
	v_add_co_u32 v17, vcc_lo, v17, 4
	v_add_co_ci_u32_e32 v18, vcc_lo, 0, v18, vcc_lo
	v_add_co_u32 v19, vcc_lo, v19, 4
	v_add_co_ci_u32_e32 v20, vcc_lo, 0, v20, vcc_lo
	s_add_u32 s4, s14, -1
	s_addc_u32 s5, s15, -1
	s_mov_b64 s[6:7], 0
	s_mov_b32 s30, 0
                                        ; implicit-def: $sgpr31
	s_set_inst_prefetch_distance 0x1
	s_branch .LBB959_278
	.p2align	6
.LBB959_276:                            ;   in Loop: Header=BB959_278 Depth=1
	global_load_b32 v21, v[19:20], off
	global_load_b32 v22, v[17:18], off
	v_add_co_u32 v17, vcc_lo, v17, 4
	v_add_co_ci_u32_e32 v18, vcc_lo, 0, v18, vcc_lo
	v_add_co_u32 v19, s0, v19, 4
	s_delay_alu instid0(VALU_DEP_1)
	v_add_co_ci_u32_e64 v20, s0, 0, v20, s0
	s_add_u32 s6, s6, 1
	s_addc_u32 s7, s7, 0
	s_and_not1_b32 s0, s31, exec_lo
	s_waitcnt vmcnt(0)
	v_cmp_neq_f32_e32 vcc_lo, v21, v22
	s_and_b32 s31, vcc_lo, exec_lo
	s_delay_alu instid0(SALU_CYCLE_1)
	s_or_b32 s31, s0, s31
.LBB959_277:                            ;   in Loop: Header=BB959_278 Depth=1
	v_dual_mov_b32 v22, s7 :: v_dual_mov_b32 v21, s6
	s_and_b32 s0, exec_lo, s31
	s_delay_alu instid0(SALU_CYCLE_1) | instskip(NEXT) | instid1(SALU_CYCLE_1)
	s_or_b32 s30, s0, s30
	s_and_not1_b32 exec_lo, exec_lo, s30
	s_cbranch_execz .LBB959_280
.LBB959_278:                            ; =>This Inner Loop Header: Depth=1
	s_or_b32 s31, s31, exec_lo
	s_cmp_eq_u64 s[4:5], s[6:7]
	s_cbranch_scc0 .LBB959_276
; %bb.279:                              ;   in Loop: Header=BB959_278 Depth=1
	s_mov_b64 s[6:7], s[14:15]
                                        ; implicit-def: $vgpr17_vgpr18
                                        ; implicit-def: $vgpr19_vgpr20
	s_branch .LBB959_277
.LBB959_280:
	s_set_inst_prefetch_distance 0x2
	s_or_b32 exec_lo, exec_lo, s30
	v_cmp_gt_i64_e32 vcc_lo, s[14:15], v[21:22]
	s_or_not1_b32 s0, vcc_lo, exec_lo
.LBB959_281:
	s_or_b32 exec_lo, exec_lo, s28
.LBB959_282:
	s_delay_alu instid0(SALU_CYCLE_1)
	s_and_b32 s28, s0, exec_lo
.LBB959_283:
	s_or_b32 exec_lo, exec_lo, s29
	v_or_b32_e32 v17, 6, v39
	s_mov_b32 s29, exec_lo
	s_delay_alu instid0(VALU_DEP_1)
	v_cmpx_gt_u32_e64 s12, v17
	s_cbranch_execz .LBB959_294
; %bb.284:
	s_and_not1_b32 vcc_lo, exec_lo, s26
	s_mov_b32 s0, 0
	s_cbranch_vccnz .LBB959_293
; %bb.285:
	v_mul_lo_u32 v21, v8, s14
	v_mul_lo_u32 v22, v7, s15
	v_mad_u64_u32 v[17:18], null, v7, s14, 0
	v_mul_lo_u32 v23, v2, s14
	v_mul_lo_u32 v24, v1, s15
	v_mad_u64_u32 v[19:20], null, v1, s14, 0
	s_mov_b32 s0, -1
	s_mov_b32 s27, exec_lo
	s_delay_alu instid0(VALU_DEP_4) | instskip(NEXT) | instid1(VALU_DEP_2)
	v_add3_u32 v18, v18, v22, v21
	v_add3_u32 v20, v20, v24, v23
	s_delay_alu instid0(VALU_DEP_2) | instskip(NEXT) | instid1(VALU_DEP_2)
	v_lshlrev_b64 v[17:18], 2, v[17:18]
	v_lshlrev_b64 v[21:22], 2, v[19:20]
	s_delay_alu instid0(VALU_DEP_2) | instskip(NEXT) | instid1(VALU_DEP_3)
	v_add_co_u32 v19, vcc_lo, s16, v17
	v_add_co_ci_u32_e32 v20, vcc_lo, s17, v18, vcc_lo
	s_delay_alu instid0(VALU_DEP_3) | instskip(NEXT) | instid1(VALU_DEP_4)
	v_add_co_u32 v17, vcc_lo, s16, v21
	v_add_co_ci_u32_e32 v18, vcc_lo, s17, v22, vcc_lo
	s_clause 0x1
	global_load_b32 v21, v[19:20], off
	global_load_b32 v22, v[17:18], off
	s_waitcnt vmcnt(0)
	v_cmpx_eq_f32_e32 v21, v22
	s_cbranch_execz .LBB959_292
; %bb.286:
	v_add_co_u32 v17, vcc_lo, v17, 4
	v_add_co_ci_u32_e32 v18, vcc_lo, 0, v18, vcc_lo
	v_add_co_u32 v19, vcc_lo, v19, 4
	v_add_co_ci_u32_e32 v20, vcc_lo, 0, v20, vcc_lo
	s_add_u32 s4, s14, -1
	s_addc_u32 s5, s15, -1
	s_mov_b64 s[6:7], 0
	s_mov_b32 s30, 0
                                        ; implicit-def: $sgpr31
	s_set_inst_prefetch_distance 0x1
	s_branch .LBB959_289
	.p2align	6
.LBB959_287:                            ;   in Loop: Header=BB959_289 Depth=1
	global_load_b32 v21, v[19:20], off
	global_load_b32 v22, v[17:18], off
	v_add_co_u32 v17, vcc_lo, v17, 4
	v_add_co_ci_u32_e32 v18, vcc_lo, 0, v18, vcc_lo
	v_add_co_u32 v19, s0, v19, 4
	s_delay_alu instid0(VALU_DEP_1)
	v_add_co_ci_u32_e64 v20, s0, 0, v20, s0
	s_add_u32 s6, s6, 1
	s_addc_u32 s7, s7, 0
	s_and_not1_b32 s0, s31, exec_lo
	s_waitcnt vmcnt(0)
	v_cmp_neq_f32_e32 vcc_lo, v21, v22
	s_and_b32 s31, vcc_lo, exec_lo
	s_delay_alu instid0(SALU_CYCLE_1)
	s_or_b32 s31, s0, s31
.LBB959_288:                            ;   in Loop: Header=BB959_289 Depth=1
	v_dual_mov_b32 v22, s7 :: v_dual_mov_b32 v21, s6
	s_and_b32 s0, exec_lo, s31
	s_delay_alu instid0(SALU_CYCLE_1) | instskip(NEXT) | instid1(SALU_CYCLE_1)
	s_or_b32 s30, s0, s30
	s_and_not1_b32 exec_lo, exec_lo, s30
	s_cbranch_execz .LBB959_291
.LBB959_289:                            ; =>This Inner Loop Header: Depth=1
	s_or_b32 s31, s31, exec_lo
	s_cmp_eq_u64 s[4:5], s[6:7]
	s_cbranch_scc0 .LBB959_287
; %bb.290:                              ;   in Loop: Header=BB959_289 Depth=1
	s_mov_b64 s[6:7], s[14:15]
                                        ; implicit-def: $vgpr17_vgpr18
                                        ; implicit-def: $vgpr19_vgpr20
	s_branch .LBB959_288
.LBB959_291:
	s_set_inst_prefetch_distance 0x2
	s_or_b32 exec_lo, exec_lo, s30
	v_cmp_gt_i64_e32 vcc_lo, s[14:15], v[21:22]
	s_or_not1_b32 s0, vcc_lo, exec_lo
.LBB959_292:
	s_or_b32 exec_lo, exec_lo, s27
.LBB959_293:
	s_delay_alu instid0(SALU_CYCLE_1)
	s_and_b32 s27, s0, exec_lo
.LBB959_294:
	s_or_b32 exec_lo, exec_lo, s29
	v_or_b32_e32 v17, 5, v39
	s_mov_b32 s29, 0
	s_mov_b32 s30, 0
	s_mov_b32 s31, exec_lo
	s_delay_alu instid0(VALU_DEP_1)
	v_cmpx_gt_u32_e64 s12, v17
	s_cbranch_execz .LBB959_305
; %bb.295:
	s_and_not1_b32 vcc_lo, exec_lo, s26
	s_mov_b32 s0, 0
	s_cbranch_vccnz .LBB959_304
; %bb.296:
	v_mul_lo_u32 v21, v6, s14
	v_mul_lo_u32 v22, v5, s15
	v_mad_u64_u32 v[17:18], null, v5, s14, 0
	v_mul_lo_u32 v23, v8, s14
	v_mul_lo_u32 v24, v7, s15
	v_mad_u64_u32 v[19:20], null, v7, s14, 0
	s_mov_b32 s0, -1
	s_mov_b32 s30, exec_lo
	s_delay_alu instid0(VALU_DEP_4) | instskip(NEXT) | instid1(VALU_DEP_2)
	v_add3_u32 v18, v18, v22, v21
	v_add3_u32 v20, v20, v24, v23
	s_delay_alu instid0(VALU_DEP_2) | instskip(NEXT) | instid1(VALU_DEP_2)
	v_lshlrev_b64 v[17:18], 2, v[17:18]
	v_lshlrev_b64 v[21:22], 2, v[19:20]
	s_delay_alu instid0(VALU_DEP_2) | instskip(NEXT) | instid1(VALU_DEP_3)
	v_add_co_u32 v19, vcc_lo, s16, v17
	v_add_co_ci_u32_e32 v20, vcc_lo, s17, v18, vcc_lo
	s_delay_alu instid0(VALU_DEP_3) | instskip(NEXT) | instid1(VALU_DEP_4)
	v_add_co_u32 v17, vcc_lo, s16, v21
	v_add_co_ci_u32_e32 v18, vcc_lo, s17, v22, vcc_lo
	s_clause 0x1
	global_load_b32 v21, v[19:20], off
	global_load_b32 v22, v[17:18], off
	s_waitcnt vmcnt(0)
	v_cmpx_eq_f32_e32 v21, v22
	s_cbranch_execz .LBB959_303
; %bb.297:
	v_add_co_u32 v17, vcc_lo, v17, 4
	v_add_co_ci_u32_e32 v18, vcc_lo, 0, v18, vcc_lo
	v_add_co_u32 v19, vcc_lo, v19, 4
	v_add_co_ci_u32_e32 v20, vcc_lo, 0, v20, vcc_lo
	s_add_u32 s4, s14, -1
	s_addc_u32 s5, s15, -1
	s_mov_b64 s[6:7], 0
	s_mov_b32 s33, 0
                                        ; implicit-def: $sgpr34
	s_set_inst_prefetch_distance 0x1
	s_branch .LBB959_300
	.p2align	6
.LBB959_298:                            ;   in Loop: Header=BB959_300 Depth=1
	global_load_b32 v21, v[19:20], off
	global_load_b32 v22, v[17:18], off
	v_add_co_u32 v17, vcc_lo, v17, 4
	v_add_co_ci_u32_e32 v18, vcc_lo, 0, v18, vcc_lo
	v_add_co_u32 v19, s0, v19, 4
	s_delay_alu instid0(VALU_DEP_1)
	v_add_co_ci_u32_e64 v20, s0, 0, v20, s0
	s_add_u32 s6, s6, 1
	s_addc_u32 s7, s7, 0
	s_and_not1_b32 s0, s34, exec_lo
	s_waitcnt vmcnt(0)
	v_cmp_neq_f32_e32 vcc_lo, v21, v22
	s_and_b32 s34, vcc_lo, exec_lo
	s_delay_alu instid0(SALU_CYCLE_1)
	s_or_b32 s34, s0, s34
.LBB959_299:                            ;   in Loop: Header=BB959_300 Depth=1
	v_dual_mov_b32 v22, s7 :: v_dual_mov_b32 v21, s6
	s_and_b32 s0, exec_lo, s34
	s_delay_alu instid0(SALU_CYCLE_1) | instskip(NEXT) | instid1(SALU_CYCLE_1)
	s_or_b32 s33, s0, s33
	s_and_not1_b32 exec_lo, exec_lo, s33
	s_cbranch_execz .LBB959_302
.LBB959_300:                            ; =>This Inner Loop Header: Depth=1
	s_or_b32 s34, s34, exec_lo
	s_cmp_eq_u64 s[4:5], s[6:7]
	s_cbranch_scc0 .LBB959_298
; %bb.301:                              ;   in Loop: Header=BB959_300 Depth=1
	s_mov_b64 s[6:7], s[14:15]
                                        ; implicit-def: $vgpr17_vgpr18
                                        ; implicit-def: $vgpr19_vgpr20
	s_branch .LBB959_299
.LBB959_302:
	s_set_inst_prefetch_distance 0x2
	s_or_b32 exec_lo, exec_lo, s33
	v_cmp_gt_i64_e32 vcc_lo, s[14:15], v[21:22]
	s_or_not1_b32 s0, vcc_lo, exec_lo
.LBB959_303:
	s_or_b32 exec_lo, exec_lo, s30
.LBB959_304:
	s_delay_alu instid0(SALU_CYCLE_1)
	s_and_b32 s30, s0, exec_lo
.LBB959_305:
	s_or_b32 exec_lo, exec_lo, s31
	v_or_b32_e32 v17, 4, v39
	s_mov_b32 s31, exec_lo
	s_delay_alu instid0(VALU_DEP_1)
	v_cmpx_gt_u32_e64 s12, v17
	s_cbranch_execz .LBB959_316
; %bb.306:
	s_and_not1_b32 vcc_lo, exec_lo, s26
	s_mov_b32 s0, 0
	s_cbranch_vccnz .LBB959_315
; %bb.307:
	v_mul_lo_u32 v21, v12, s14
	v_mul_lo_u32 v22, v11, s15
	v_mad_u64_u32 v[17:18], null, v11, s14, 0
	v_mul_lo_u32 v23, v6, s14
	v_mul_lo_u32 v24, v5, s15
	v_mad_u64_u32 v[19:20], null, v5, s14, 0
	s_mov_b32 s0, -1
	s_mov_b32 s29, exec_lo
	s_delay_alu instid0(VALU_DEP_4) | instskip(NEXT) | instid1(VALU_DEP_2)
	v_add3_u32 v18, v18, v22, v21
	v_add3_u32 v20, v20, v24, v23
	s_delay_alu instid0(VALU_DEP_2) | instskip(NEXT) | instid1(VALU_DEP_2)
	v_lshlrev_b64 v[17:18], 2, v[17:18]
	v_lshlrev_b64 v[21:22], 2, v[19:20]
	s_delay_alu instid0(VALU_DEP_2) | instskip(NEXT) | instid1(VALU_DEP_3)
	v_add_co_u32 v19, vcc_lo, s16, v17
	v_add_co_ci_u32_e32 v20, vcc_lo, s17, v18, vcc_lo
	s_delay_alu instid0(VALU_DEP_3) | instskip(NEXT) | instid1(VALU_DEP_4)
	v_add_co_u32 v17, vcc_lo, s16, v21
	v_add_co_ci_u32_e32 v18, vcc_lo, s17, v22, vcc_lo
	s_clause 0x1
	global_load_b32 v21, v[19:20], off
	global_load_b32 v22, v[17:18], off
	s_waitcnt vmcnt(0)
	v_cmpx_eq_f32_e32 v21, v22
	s_cbranch_execz .LBB959_314
; %bb.308:
	v_add_co_u32 v17, vcc_lo, v17, 4
	v_add_co_ci_u32_e32 v18, vcc_lo, 0, v18, vcc_lo
	v_add_co_u32 v19, vcc_lo, v19, 4
	v_add_co_ci_u32_e32 v20, vcc_lo, 0, v20, vcc_lo
	s_add_u32 s4, s14, -1
	s_addc_u32 s5, s15, -1
	s_mov_b64 s[6:7], 0
	s_mov_b32 s33, 0
                                        ; implicit-def: $sgpr34
	s_set_inst_prefetch_distance 0x1
	s_branch .LBB959_311
	.p2align	6
.LBB959_309:                            ;   in Loop: Header=BB959_311 Depth=1
	global_load_b32 v21, v[19:20], off
	global_load_b32 v22, v[17:18], off
	v_add_co_u32 v17, vcc_lo, v17, 4
	v_add_co_ci_u32_e32 v18, vcc_lo, 0, v18, vcc_lo
	v_add_co_u32 v19, s0, v19, 4
	s_delay_alu instid0(VALU_DEP_1)
	v_add_co_ci_u32_e64 v20, s0, 0, v20, s0
	s_add_u32 s6, s6, 1
	s_addc_u32 s7, s7, 0
	s_and_not1_b32 s0, s34, exec_lo
	s_waitcnt vmcnt(0)
	v_cmp_neq_f32_e32 vcc_lo, v21, v22
	s_and_b32 s34, vcc_lo, exec_lo
	s_delay_alu instid0(SALU_CYCLE_1)
	s_or_b32 s34, s0, s34
.LBB959_310:                            ;   in Loop: Header=BB959_311 Depth=1
	v_dual_mov_b32 v22, s7 :: v_dual_mov_b32 v21, s6
	s_and_b32 s0, exec_lo, s34
	s_delay_alu instid0(SALU_CYCLE_1) | instskip(NEXT) | instid1(SALU_CYCLE_1)
	s_or_b32 s33, s0, s33
	s_and_not1_b32 exec_lo, exec_lo, s33
	s_cbranch_execz .LBB959_313
.LBB959_311:                            ; =>This Inner Loop Header: Depth=1
	s_or_b32 s34, s34, exec_lo
	s_cmp_eq_u64 s[4:5], s[6:7]
	s_cbranch_scc0 .LBB959_309
; %bb.312:                              ;   in Loop: Header=BB959_311 Depth=1
	s_mov_b64 s[6:7], s[14:15]
                                        ; implicit-def: $vgpr17_vgpr18
                                        ; implicit-def: $vgpr19_vgpr20
	s_branch .LBB959_310
.LBB959_313:
	s_set_inst_prefetch_distance 0x2
	s_or_b32 exec_lo, exec_lo, s33
	v_cmp_gt_i64_e32 vcc_lo, s[14:15], v[21:22]
	s_or_not1_b32 s0, vcc_lo, exec_lo
.LBB959_314:
	s_or_b32 exec_lo, exec_lo, s29
.LBB959_315:
	s_delay_alu instid0(SALU_CYCLE_1)
	s_and_b32 s29, s0, exec_lo
.LBB959_316:
	s_or_b32 exec_lo, exec_lo, s31
	v_or_b32_e32 v17, 3, v39
	s_mov_b32 s33, 0
	s_mov_b32 s31, 0
	s_mov_b32 s34, exec_lo
	s_delay_alu instid0(VALU_DEP_1)
	v_cmpx_gt_u32_e64 s12, v17
	s_cbranch_execz .LBB959_327
; %bb.317:
	s_and_not1_b32 vcc_lo, exec_lo, s26
	s_mov_b32 s0, 0
	s_cbranch_vccnz .LBB959_326
; %bb.318:
	v_mul_lo_u32 v21, v10, s14
	v_mul_lo_u32 v22, v9, s15
	v_mad_u64_u32 v[17:18], null, v9, s14, 0
	v_mul_lo_u32 v23, v12, s14
	v_mul_lo_u32 v24, v11, s15
	v_mad_u64_u32 v[19:20], null, v11, s14, 0
	s_mov_b32 s0, -1
	s_mov_b32 s31, exec_lo
	s_delay_alu instid0(VALU_DEP_4) | instskip(NEXT) | instid1(VALU_DEP_2)
	v_add3_u32 v18, v18, v22, v21
	v_add3_u32 v20, v20, v24, v23
	s_delay_alu instid0(VALU_DEP_2) | instskip(NEXT) | instid1(VALU_DEP_2)
	v_lshlrev_b64 v[17:18], 2, v[17:18]
	v_lshlrev_b64 v[21:22], 2, v[19:20]
	s_delay_alu instid0(VALU_DEP_2) | instskip(NEXT) | instid1(VALU_DEP_3)
	v_add_co_u32 v19, vcc_lo, s16, v17
	v_add_co_ci_u32_e32 v20, vcc_lo, s17, v18, vcc_lo
	s_delay_alu instid0(VALU_DEP_3) | instskip(NEXT) | instid1(VALU_DEP_4)
	v_add_co_u32 v17, vcc_lo, s16, v21
	v_add_co_ci_u32_e32 v18, vcc_lo, s17, v22, vcc_lo
	s_clause 0x1
	global_load_b32 v21, v[19:20], off
	global_load_b32 v22, v[17:18], off
	s_waitcnt vmcnt(0)
	v_cmpx_eq_f32_e32 v21, v22
	s_cbranch_execz .LBB959_325
; %bb.319:
	v_add_co_u32 v17, vcc_lo, v17, 4
	v_add_co_ci_u32_e32 v18, vcc_lo, 0, v18, vcc_lo
	v_add_co_u32 v19, vcc_lo, v19, 4
	v_add_co_ci_u32_e32 v20, vcc_lo, 0, v20, vcc_lo
	s_add_u32 s4, s14, -1
	s_addc_u32 s5, s15, -1
	s_mov_b64 s[6:7], 0
	s_mov_b32 s35, 0
                                        ; implicit-def: $sgpr36
	s_set_inst_prefetch_distance 0x1
	s_branch .LBB959_322
	.p2align	6
.LBB959_320:                            ;   in Loop: Header=BB959_322 Depth=1
	global_load_b32 v21, v[19:20], off
	global_load_b32 v22, v[17:18], off
	v_add_co_u32 v17, vcc_lo, v17, 4
	v_add_co_ci_u32_e32 v18, vcc_lo, 0, v18, vcc_lo
	v_add_co_u32 v19, s0, v19, 4
	s_delay_alu instid0(VALU_DEP_1)
	v_add_co_ci_u32_e64 v20, s0, 0, v20, s0
	s_add_u32 s6, s6, 1
	s_addc_u32 s7, s7, 0
	s_and_not1_b32 s0, s36, exec_lo
	s_waitcnt vmcnt(0)
	v_cmp_neq_f32_e32 vcc_lo, v21, v22
	s_and_b32 s36, vcc_lo, exec_lo
	s_delay_alu instid0(SALU_CYCLE_1)
	s_or_b32 s36, s0, s36
.LBB959_321:                            ;   in Loop: Header=BB959_322 Depth=1
	v_dual_mov_b32 v22, s7 :: v_dual_mov_b32 v21, s6
	s_and_b32 s0, exec_lo, s36
	s_delay_alu instid0(SALU_CYCLE_1) | instskip(NEXT) | instid1(SALU_CYCLE_1)
	s_or_b32 s35, s0, s35
	s_and_not1_b32 exec_lo, exec_lo, s35
	s_cbranch_execz .LBB959_324
.LBB959_322:                            ; =>This Inner Loop Header: Depth=1
	s_or_b32 s36, s36, exec_lo
	s_cmp_eq_u64 s[4:5], s[6:7]
	s_cbranch_scc0 .LBB959_320
; %bb.323:                              ;   in Loop: Header=BB959_322 Depth=1
	s_mov_b64 s[6:7], s[14:15]
                                        ; implicit-def: $vgpr17_vgpr18
                                        ; implicit-def: $vgpr19_vgpr20
	s_branch .LBB959_321
.LBB959_324:
	s_set_inst_prefetch_distance 0x2
	s_or_b32 exec_lo, exec_lo, s35
	v_cmp_gt_i64_e32 vcc_lo, s[14:15], v[21:22]
	s_or_not1_b32 s0, vcc_lo, exec_lo
.LBB959_325:
	s_or_b32 exec_lo, exec_lo, s31
.LBB959_326:
	s_delay_alu instid0(SALU_CYCLE_1)
	s_and_b32 s31, s0, exec_lo
.LBB959_327:
	s_or_b32 exec_lo, exec_lo, s34
	v_or_b32_e32 v17, 2, v39
	s_mov_b32 s34, exec_lo
	s_delay_alu instid0(VALU_DEP_1)
	v_cmpx_gt_u32_e64 s12, v17
	s_cbranch_execz .LBB959_338
; %bb.328:
	s_and_not1_b32 vcc_lo, exec_lo, s26
	s_mov_b32 s0, 0
	s_cbranch_vccnz .LBB959_337
; %bb.329:
	v_mul_lo_u32 v21, v16, s14
	v_mul_lo_u32 v22, v15, s15
	v_mad_u64_u32 v[17:18], null, v15, s14, 0
	v_mul_lo_u32 v23, v10, s14
	v_mul_lo_u32 v24, v9, s15
	v_mad_u64_u32 v[19:20], null, v9, s14, 0
	s_mov_b32 s0, -1
	s_mov_b32 s33, exec_lo
	s_delay_alu instid0(VALU_DEP_4) | instskip(NEXT) | instid1(VALU_DEP_2)
	v_add3_u32 v18, v18, v22, v21
	v_add3_u32 v20, v20, v24, v23
	s_delay_alu instid0(VALU_DEP_2) | instskip(NEXT) | instid1(VALU_DEP_2)
	v_lshlrev_b64 v[17:18], 2, v[17:18]
	v_lshlrev_b64 v[21:22], 2, v[19:20]
	s_delay_alu instid0(VALU_DEP_2) | instskip(NEXT) | instid1(VALU_DEP_3)
	v_add_co_u32 v19, vcc_lo, s16, v17
	v_add_co_ci_u32_e32 v20, vcc_lo, s17, v18, vcc_lo
	s_delay_alu instid0(VALU_DEP_3) | instskip(NEXT) | instid1(VALU_DEP_4)
	v_add_co_u32 v17, vcc_lo, s16, v21
	v_add_co_ci_u32_e32 v18, vcc_lo, s17, v22, vcc_lo
	s_clause 0x1
	global_load_b32 v21, v[19:20], off
	global_load_b32 v22, v[17:18], off
	s_waitcnt vmcnt(0)
	v_cmpx_eq_f32_e32 v21, v22
	s_cbranch_execz .LBB959_336
; %bb.330:
	v_add_co_u32 v17, vcc_lo, v17, 4
	v_add_co_ci_u32_e32 v18, vcc_lo, 0, v18, vcc_lo
	v_add_co_u32 v19, vcc_lo, v19, 4
	v_add_co_ci_u32_e32 v20, vcc_lo, 0, v20, vcc_lo
	s_add_u32 s4, s14, -1
	s_addc_u32 s5, s15, -1
	s_mov_b64 s[6:7], 0
	s_mov_b32 s35, 0
                                        ; implicit-def: $sgpr36
	s_set_inst_prefetch_distance 0x1
	s_branch .LBB959_333
	.p2align	6
.LBB959_331:                            ;   in Loop: Header=BB959_333 Depth=1
	global_load_b32 v21, v[19:20], off
	global_load_b32 v22, v[17:18], off
	v_add_co_u32 v17, vcc_lo, v17, 4
	v_add_co_ci_u32_e32 v18, vcc_lo, 0, v18, vcc_lo
	v_add_co_u32 v19, s0, v19, 4
	s_delay_alu instid0(VALU_DEP_1)
	v_add_co_ci_u32_e64 v20, s0, 0, v20, s0
	s_add_u32 s6, s6, 1
	s_addc_u32 s7, s7, 0
	s_and_not1_b32 s0, s36, exec_lo
	s_waitcnt vmcnt(0)
	v_cmp_neq_f32_e32 vcc_lo, v21, v22
	s_and_b32 s36, vcc_lo, exec_lo
	s_delay_alu instid0(SALU_CYCLE_1)
	s_or_b32 s36, s0, s36
.LBB959_332:                            ;   in Loop: Header=BB959_333 Depth=1
	v_dual_mov_b32 v22, s7 :: v_dual_mov_b32 v21, s6
	s_and_b32 s0, exec_lo, s36
	s_delay_alu instid0(SALU_CYCLE_1) | instskip(NEXT) | instid1(SALU_CYCLE_1)
	s_or_b32 s35, s0, s35
	s_and_not1_b32 exec_lo, exec_lo, s35
	s_cbranch_execz .LBB959_335
.LBB959_333:                            ; =>This Inner Loop Header: Depth=1
	s_or_b32 s36, s36, exec_lo
	s_cmp_eq_u64 s[4:5], s[6:7]
	s_cbranch_scc0 .LBB959_331
; %bb.334:                              ;   in Loop: Header=BB959_333 Depth=1
	s_mov_b64 s[6:7], s[14:15]
                                        ; implicit-def: $vgpr17_vgpr18
                                        ; implicit-def: $vgpr19_vgpr20
	s_branch .LBB959_332
.LBB959_335:
	s_set_inst_prefetch_distance 0x2
	s_or_b32 exec_lo, exec_lo, s35
	v_cmp_gt_i64_e32 vcc_lo, s[14:15], v[21:22]
	s_or_not1_b32 s0, vcc_lo, exec_lo
.LBB959_336:
	s_or_b32 exec_lo, exec_lo, s33
.LBB959_337:
	s_delay_alu instid0(SALU_CYCLE_1)
	s_and_b32 s33, s0, exec_lo
.LBB959_338:
	s_or_b32 exec_lo, exec_lo, s34
	v_or_b32_e32 v17, 1, v39
	s_mov_b32 s0, 0
	s_mov_b32 s34, exec_lo
	s_delay_alu instid0(VALU_DEP_1)
	v_cmpx_gt_u32_e64 s12, v17
	s_cbranch_execz .LBB959_349
; %bb.339:
	s_and_not1_b32 vcc_lo, exec_lo, s26
	s_cbranch_vccnz .LBB959_348
; %bb.340:
	v_mul_lo_u32 v21, v14, s14
	v_mul_lo_u32 v22, v13, s15
	v_mad_u64_u32 v[17:18], null, v13, s14, 0
	v_mul_lo_u32 v23, v16, s14
	v_mul_lo_u32 v24, v15, s15
	v_mad_u64_u32 v[19:20], null, v15, s14, 0
	s_mov_b32 s0, -1
	s_mov_b32 s35, exec_lo
	s_delay_alu instid0(VALU_DEP_4) | instskip(NEXT) | instid1(VALU_DEP_2)
	v_add3_u32 v18, v18, v22, v21
	v_add3_u32 v20, v20, v24, v23
	s_delay_alu instid0(VALU_DEP_2) | instskip(NEXT) | instid1(VALU_DEP_2)
	v_lshlrev_b64 v[17:18], 2, v[17:18]
	v_lshlrev_b64 v[21:22], 2, v[19:20]
	s_delay_alu instid0(VALU_DEP_2) | instskip(NEXT) | instid1(VALU_DEP_3)
	v_add_co_u32 v19, vcc_lo, s16, v17
	v_add_co_ci_u32_e32 v20, vcc_lo, s17, v18, vcc_lo
	s_delay_alu instid0(VALU_DEP_3) | instskip(NEXT) | instid1(VALU_DEP_4)
	v_add_co_u32 v17, vcc_lo, s16, v21
	v_add_co_ci_u32_e32 v18, vcc_lo, s17, v22, vcc_lo
	s_clause 0x1
	global_load_b32 v21, v[19:20], off
	global_load_b32 v22, v[17:18], off
	s_waitcnt vmcnt(0)
	v_cmpx_eq_f32_e32 v21, v22
	s_cbranch_execz .LBB959_347
; %bb.341:
	v_add_co_u32 v17, vcc_lo, v17, 4
	v_add_co_ci_u32_e32 v18, vcc_lo, 0, v18, vcc_lo
	v_add_co_u32 v19, vcc_lo, v19, 4
	v_add_co_ci_u32_e32 v20, vcc_lo, 0, v20, vcc_lo
	s_add_u32 s4, s14, -1
	s_addc_u32 s5, s15, -1
	s_mov_b64 s[6:7], 0
	s_mov_b32 s36, 0
                                        ; implicit-def: $sgpr37
	s_set_inst_prefetch_distance 0x1
	s_branch .LBB959_344
	.p2align	6
.LBB959_342:                            ;   in Loop: Header=BB959_344 Depth=1
	global_load_b32 v21, v[19:20], off
	global_load_b32 v22, v[17:18], off
	v_add_co_u32 v17, vcc_lo, v17, 4
	v_add_co_ci_u32_e32 v18, vcc_lo, 0, v18, vcc_lo
	v_add_co_u32 v19, s0, v19, 4
	s_delay_alu instid0(VALU_DEP_1)
	v_add_co_ci_u32_e64 v20, s0, 0, v20, s0
	s_add_u32 s6, s6, 1
	s_addc_u32 s7, s7, 0
	s_and_not1_b32 s0, s37, exec_lo
	s_waitcnt vmcnt(0)
	v_cmp_neq_f32_e32 vcc_lo, v21, v22
	s_and_b32 s37, vcc_lo, exec_lo
	s_delay_alu instid0(SALU_CYCLE_1)
	s_or_b32 s37, s0, s37
.LBB959_343:                            ;   in Loop: Header=BB959_344 Depth=1
	v_dual_mov_b32 v22, s7 :: v_dual_mov_b32 v21, s6
	s_and_b32 s0, exec_lo, s37
	s_delay_alu instid0(SALU_CYCLE_1) | instskip(NEXT) | instid1(SALU_CYCLE_1)
	s_or_b32 s36, s0, s36
	s_and_not1_b32 exec_lo, exec_lo, s36
	s_cbranch_execz .LBB959_346
.LBB959_344:                            ; =>This Inner Loop Header: Depth=1
	s_or_b32 s37, s37, exec_lo
	s_cmp_eq_u64 s[4:5], s[6:7]
	s_cbranch_scc0 .LBB959_342
; %bb.345:                              ;   in Loop: Header=BB959_344 Depth=1
	s_mov_b64 s[6:7], s[14:15]
                                        ; implicit-def: $vgpr17_vgpr18
                                        ; implicit-def: $vgpr19_vgpr20
	s_branch .LBB959_343
.LBB959_346:
	s_set_inst_prefetch_distance 0x2
	s_or_b32 exec_lo, exec_lo, s36
	v_cmp_gt_i64_e32 vcc_lo, s[14:15], v[21:22]
	s_or_not1_b32 s0, vcc_lo, exec_lo
.LBB959_347:
	s_or_b32 exec_lo, exec_lo, s35
.LBB959_348:
	s_delay_alu instid0(SALU_CYCLE_1)
	s_and_b32 s0, s0, exec_lo
.LBB959_349:
	s_or_b32 exec_lo, exec_lo, s34
	v_cndmask_b32_e64 v18, 0, 1, s31
	v_cndmask_b32_e64 v19, 0, 1, s30
	;; [unrolled: 1-line block ×7, first 2 shown]
	v_lshlrev_b16 v19, 8, v19
	v_lshlrev_b16 v20, 8, v20
	;; [unrolled: 1-line block ×4, first 2 shown]
	s_waitcnt lgkmcnt(0)
	v_or_b32_e32 v19, v22, v19
	v_or_b32_e32 v20, v23, v20
	;; [unrolled: 1-line block ×4, first 2 shown]
	s_barrier
	v_and_b32_e32 v18, 0xffff, v19
	v_lshlrev_b32_e32 v19, 16, v20
	v_and_b32_e32 v21, 0xffff, v21
	v_lshlrev_b32_e32 v17, 16, v17
	buffer_gl0_inv
                                        ; implicit-def: $sgpr0
	v_or_b32_e32 v20, v18, v19
	v_or_b32_e32 v19, v21, v17
	s_and_saveexec_b32 s27, s3
	s_cbranch_execz .LBB959_362
; %bb.350:
	s_mov_b32 s0, 0
	s_mov_b32 s3, exec_lo
	v_cmpx_gt_u32_e64 s12, v39
	s_cbranch_execz .LBB959_361
; %bb.351:
	s_and_not1_b32 vcc_lo, exec_lo, s26
	s_cbranch_vccnz .LBB959_360
; %bb.352:
	v_add_nc_u32_e32 v17, -8, v39
	v_mul_lo_u32 v25, v14, s14
	v_mul_lo_u32 v26, v13, s15
	s_mov_b32 s0, -1
	ds_load_b64 v[17:18], v17
	s_waitcnt lgkmcnt(0)
	v_mul_lo_u32 v23, v18, s14
	v_mul_lo_u32 v24, v17, s15
	v_mad_u64_u32 v[21:22], null, v17, s14, 0
	v_mad_u64_u32 v[17:18], null, v13, s14, 0
	s_delay_alu instid0(VALU_DEP_2) | instskip(NEXT) | instid1(VALU_DEP_2)
	v_add3_u32 v22, v22, v24, v23
	v_add3_u32 v18, v18, v26, v25
	s_delay_alu instid0(VALU_DEP_2) | instskip(NEXT) | instid1(VALU_DEP_2)
	v_lshlrev_b64 v[21:22], 2, v[21:22]
	v_lshlrev_b64 v[17:18], 2, v[17:18]
	s_delay_alu instid0(VALU_DEP_2) | instskip(NEXT) | instid1(VALU_DEP_3)
	v_add_co_u32 v21, vcc_lo, s16, v21
	v_add_co_ci_u32_e32 v22, vcc_lo, s17, v22, vcc_lo
	s_delay_alu instid0(VALU_DEP_3) | instskip(NEXT) | instid1(VALU_DEP_4)
	v_add_co_u32 v17, vcc_lo, s16, v17
	v_add_co_ci_u32_e32 v18, vcc_lo, s17, v18, vcc_lo
	s_clause 0x1
	global_load_b32 v23, v[21:22], off
	global_load_b32 v24, v[17:18], off
	s_mov_b32 s16, exec_lo
	s_waitcnt vmcnt(0)
	v_cmpx_eq_f32_e32 v23, v24
	s_cbranch_execz .LBB959_359
; %bb.353:
	v_add_co_u32 v17, vcc_lo, v17, 4
	v_add_co_ci_u32_e32 v18, vcc_lo, 0, v18, vcc_lo
	v_add_co_u32 v21, vcc_lo, v21, 4
	v_add_co_ci_u32_e32 v22, vcc_lo, 0, v22, vcc_lo
	s_add_u32 s4, s14, -1
	s_addc_u32 s5, s15, -1
	s_mov_b64 s[6:7], 0
	s_mov_b32 s17, 0
                                        ; implicit-def: $sgpr26
	s_set_inst_prefetch_distance 0x1
	s_branch .LBB959_356
	.p2align	6
.LBB959_354:                            ;   in Loop: Header=BB959_356 Depth=1
	global_load_b32 v23, v[21:22], off
	global_load_b32 v24, v[17:18], off
	v_add_co_u32 v17, vcc_lo, v17, 4
	v_add_co_ci_u32_e32 v18, vcc_lo, 0, v18, vcc_lo
	v_add_co_u32 v21, s0, v21, 4
	s_delay_alu instid0(VALU_DEP_1)
	v_add_co_ci_u32_e64 v22, s0, 0, v22, s0
	s_add_u32 s6, s6, 1
	s_addc_u32 s7, s7, 0
	s_and_not1_b32 s0, s26, exec_lo
	s_waitcnt vmcnt(0)
	v_cmp_neq_f32_e32 vcc_lo, v23, v24
	s_and_b32 s26, vcc_lo, exec_lo
	s_delay_alu instid0(SALU_CYCLE_1)
	s_or_b32 s26, s0, s26
.LBB959_355:                            ;   in Loop: Header=BB959_356 Depth=1
	v_dual_mov_b32 v24, s7 :: v_dual_mov_b32 v23, s6
	s_and_b32 s0, exec_lo, s26
	s_delay_alu instid0(SALU_CYCLE_1) | instskip(NEXT) | instid1(SALU_CYCLE_1)
	s_or_b32 s17, s0, s17
	s_and_not1_b32 exec_lo, exec_lo, s17
	s_cbranch_execz .LBB959_358
.LBB959_356:                            ; =>This Inner Loop Header: Depth=1
	s_or_b32 s26, s26, exec_lo
	s_cmp_eq_u64 s[4:5], s[6:7]
	s_cbranch_scc0 .LBB959_354
; %bb.357:                              ;   in Loop: Header=BB959_356 Depth=1
	s_mov_b64 s[6:7], s[14:15]
                                        ; implicit-def: $vgpr17_vgpr18
                                        ; implicit-def: $vgpr21_vgpr22
	s_branch .LBB959_355
.LBB959_358:
	s_set_inst_prefetch_distance 0x2
	s_or_b32 exec_lo, exec_lo, s17
	v_cmp_gt_i64_e32 vcc_lo, s[14:15], v[23:24]
	s_or_not1_b32 s0, vcc_lo, exec_lo
.LBB959_359:
	s_or_b32 exec_lo, exec_lo, s16
.LBB959_360:
	s_delay_alu instid0(SALU_CYCLE_1)
	s_and_b32 s0, s0, exec_lo
.LBB959_361:
	s_or_b32 exec_lo, exec_lo, s3
	s_delay_alu instid0(SALU_CYCLE_1)
	s_and_b32 s0, s0, exec_lo
	s_or_b32 s25, s25, exec_lo
.LBB959_362:
	s_or_b32 exec_lo, exec_lo, s27
.LBB959_363:
	s_and_saveexec_b32 s3, s25
	s_cbranch_execz .LBB959_365
; %bb.364:
	s_waitcnt vmcnt(0) lgkmcnt(0)
	v_and_b32_e32 v17, 0xffffff00, v19
	v_cndmask_b32_e64 v18, 0, 1, s0
	s_delay_alu instid0(VALU_DEP_1) | instskip(NEXT) | instid1(VALU_DEP_1)
	v_or_b32_e32 v17, v18, v17
	v_and_b32_e32 v17, 0xffff, v17
	s_delay_alu instid0(VALU_DEP_1)
	v_and_or_b32 v19, 0xffff0000, v19, v17
.LBB959_365:
	s_or_b32 exec_lo, exec_lo, s3
	s_delay_alu instid0(SALU_CYCLE_1)
	s_and_not1_b32 vcc_lo, exec_lo, s1
	s_cbranch_vccnz .LBB959_367
; %bb.366:
	v_cmp_gt_u32_e32 vcc_lo, s12, v39
	s_waitcnt vmcnt(0) lgkmcnt(0)
	v_or_b32_e32 v18, 1, v39
	v_and_b32_e32 v21, 0xffffff00, v20
	v_or_b32_e32 v22, 2, v39
	v_cndmask_b32_e32 v17, 0, v19, vcc_lo
	s_delay_alu instid0(VALU_DEP_4) | instskip(SKIP_1) | instid1(VALU_DEP_4)
	v_cmp_gt_u32_e32 vcc_lo, s12, v18
	v_or_b32_e32 v18, 4, v39
	v_cmp_gt_u32_e64 s0, s12, v22
	v_or_b32_e32 v22, 3, v39
	v_and_b32_e32 v17, 0xff, v17
	s_delay_alu instid0(VALU_DEP_2) | instskip(NEXT) | instid1(VALU_DEP_2)
	v_cmp_gt_u32_e64 s1, s12, v22
	v_cndmask_b32_e32 v17, v17, v19, vcc_lo
	v_cmp_gt_u32_e32 vcc_lo, s12, v18
	v_cndmask_b32_e32 v18, v21, v20, vcc_lo
	v_or_b32_e32 v21, 5, v39
	s_delay_alu instid0(VALU_DEP_2) | instskip(SKIP_1) | instid1(VALU_DEP_1)
	v_and_b32_e32 v18, 0xffff00ff, v18
	v_and_b32_e32 v17, 0xffff, v17
	v_cndmask_b32_e64 v17, v17, v19, s0
	s_delay_alu instid0(VALU_DEP_4) | instskip(SKIP_1) | instid1(VALU_DEP_3)
	v_cmp_gt_u32_e64 s0, s12, v21
	v_or_b32_e32 v21, 6, v39
	v_and_b32_e32 v17, 0xffffff, v17
	s_delay_alu instid0(VALU_DEP_3) | instskip(NEXT) | instid1(VALU_DEP_2)
	v_cndmask_b32_e64 v18, v18, v20, s0
	v_cndmask_b32_e64 v17, v17, v19, s1
	s_delay_alu instid0(VALU_DEP_1) | instskip(SKIP_2) | instid1(VALU_DEP_3)
	v_dual_cndmask_b32 v17, v17, v19 :: v_dual_and_b32 v18, 0xff00ffff, v18
	v_cmp_gt_u32_e32 vcc_lo, s12, v21
	v_or_b32_e32 v21, 7, v39
	v_cndmask_b32_e64 v17, v17, v19, s0
	s_delay_alu instid0(VALU_DEP_1) | instskip(NEXT) | instid1(VALU_DEP_1)
	v_dual_cndmask_b32 v18, v18, v20 :: v_dual_cndmask_b32 v17, v17, v19
	v_and_b32_e32 v18, 0xffffff, v18
	s_delay_alu instid0(VALU_DEP_4) | instskip(NEXT) | instid1(VALU_DEP_2)
	v_cmp_gt_u32_e32 vcc_lo, s12, v21
	v_dual_cndmask_b32 v20, v18, v20 :: v_dual_cndmask_b32 v19, v17, v19
.LBB959_367:
	s_delay_alu instid0(VALU_DEP_1) | instskip(SKIP_1) | instid1(VALU_DEP_2)
	v_and_b32_e32 v28, 0xff, v19
	s_waitcnt vmcnt(0) lgkmcnt(0)
	v_alignbit_b32 v17, v20, v19, 24
	v_bfe_u32 v30, v19, 8, 8
	v_bfe_u32 v32, v19, 16, 8
	v_and_b32_e32 v36, 0xff, v20
	v_bfe_u32 v38, v20, 8, 8
	v_and_b32_e32 v34, 0xff, v17
	v_add_nc_u32_e32 v17, v30, v28
	v_mbcnt_lo_u32_b32 v42, -1, 0
	v_bfe_u32 v41, v20, 16, 8
	v_lshrrev_b32_e32 v40, 24, v20
	v_lshrrev_b32_e32 v43, 5, v0
	v_add3_u32 v17, v17, v32, v34
	v_and_b32_e32 v18, 15, v42
	v_and_b32_e32 v21, 16, v42
	s_and_b32 vcc_lo, exec_lo, s24
	s_mov_b32 s7, -1
	v_add3_u32 v17, v17, v36, v38
	v_cmp_eq_u32_e64 s3, 0, v18
	v_cmp_lt_u32_e64 s0, 1, v18
	v_cmp_lt_u32_e64 s4, 3, v18
	;; [unrolled: 1-line block ×3, first 2 shown]
	v_add3_u32 v44, v17, v41, v40
	v_or_b32_e32 v17, 31, v0
	v_cmp_eq_u32_e64 s6, 0, v21
	s_barrier
	buffer_gl0_inv
	v_cmp_eq_u32_e64 s5, v17, v0
	s_cbranch_vccz .LBB959_393
; %bb.368:
	v_mov_b32_dpp v17, v44 row_shr:1 row_mask:0xf bank_mask:0xf
	s_delay_alu instid0(VALU_DEP_1) | instskip(NEXT) | instid1(VALU_DEP_1)
	v_cndmask_b32_e64 v17, v17, 0, s3
	v_add_nc_u32_e32 v17, v17, v44
	s_delay_alu instid0(VALU_DEP_1) | instskip(NEXT) | instid1(VALU_DEP_1)
	v_mov_b32_dpp v18, v17 row_shr:2 row_mask:0xf bank_mask:0xf
	v_cndmask_b32_e64 v18, 0, v18, s0
	s_delay_alu instid0(VALU_DEP_1) | instskip(NEXT) | instid1(VALU_DEP_1)
	v_add_nc_u32_e32 v17, v17, v18
	v_mov_b32_dpp v18, v17 row_shr:4 row_mask:0xf bank_mask:0xf
	s_delay_alu instid0(VALU_DEP_1) | instskip(NEXT) | instid1(VALU_DEP_1)
	v_cndmask_b32_e64 v18, 0, v18, s4
	v_add_nc_u32_e32 v17, v17, v18
	s_delay_alu instid0(VALU_DEP_1) | instskip(NEXT) | instid1(VALU_DEP_1)
	v_mov_b32_dpp v18, v17 row_shr:8 row_mask:0xf bank_mask:0xf
	v_cndmask_b32_e64 v18, 0, v18, s1
	s_delay_alu instid0(VALU_DEP_1) | instskip(SKIP_3) | instid1(VALU_DEP_1)
	v_add_nc_u32_e32 v17, v17, v18
	ds_swizzle_b32 v18, v17 offset:swizzle(BROADCAST,32,15)
	s_waitcnt lgkmcnt(0)
	v_cndmask_b32_e64 v18, v18, 0, s6
	v_add_nc_u32_e32 v17, v17, v18
	s_and_saveexec_b32 s7, s5
	s_cbranch_execz .LBB959_370
; %bb.369:
	v_lshlrev_b32_e32 v18, 2, v43
	ds_store_b32 v18, v17
.LBB959_370:
	s_or_b32 exec_lo, exec_lo, s7
	s_delay_alu instid0(SALU_CYCLE_1)
	s_mov_b32 s7, exec_lo
	s_waitcnt lgkmcnt(0)
	s_barrier
	buffer_gl0_inv
	v_cmpx_gt_u32_e32 16, v0
	s_cbranch_execz .LBB959_372
; %bb.371:
	v_lshlrev_b32_e32 v18, 2, v0
	ds_load_b32 v21, v18
	s_waitcnt lgkmcnt(0)
	v_mov_b32_dpp v22, v21 row_shr:1 row_mask:0xf bank_mask:0xf
	s_delay_alu instid0(VALU_DEP_1) | instskip(NEXT) | instid1(VALU_DEP_1)
	v_cndmask_b32_e64 v22, v22, 0, s3
	v_add_nc_u32_e32 v21, v22, v21
	s_delay_alu instid0(VALU_DEP_1) | instskip(NEXT) | instid1(VALU_DEP_1)
	v_mov_b32_dpp v22, v21 row_shr:2 row_mask:0xf bank_mask:0xf
	v_cndmask_b32_e64 v22, 0, v22, s0
	s_delay_alu instid0(VALU_DEP_1) | instskip(NEXT) | instid1(VALU_DEP_1)
	v_add_nc_u32_e32 v21, v21, v22
	v_mov_b32_dpp v22, v21 row_shr:4 row_mask:0xf bank_mask:0xf
	s_delay_alu instid0(VALU_DEP_1) | instskip(NEXT) | instid1(VALU_DEP_1)
	v_cndmask_b32_e64 v22, 0, v22, s4
	v_add_nc_u32_e32 v21, v21, v22
	s_delay_alu instid0(VALU_DEP_1) | instskip(NEXT) | instid1(VALU_DEP_1)
	v_mov_b32_dpp v22, v21 row_shr:8 row_mask:0xf bank_mask:0xf
	v_cndmask_b32_e64 v22, 0, v22, s1
	s_delay_alu instid0(VALU_DEP_1)
	v_add_nc_u32_e32 v21, v21, v22
	ds_store_b32 v18, v21
.LBB959_372:
	s_or_b32 exec_lo, exec_lo, s7
	v_cmp_gt_u32_e32 vcc_lo, 32, v0
	s_mov_b32 s12, exec_lo
	s_waitcnt lgkmcnt(0)
	s_barrier
	buffer_gl0_inv
                                        ; implicit-def: $vgpr27
	v_cmpx_lt_u32_e32 31, v0
	s_cbranch_execz .LBB959_374
; %bb.373:
	v_lshl_add_u32 v18, v43, 2, -4
	ds_load_b32 v27, v18
	s_waitcnt lgkmcnt(0)
	v_add_nc_u32_e32 v17, v27, v17
.LBB959_374:
	s_or_b32 exec_lo, exec_lo, s12
	v_add_nc_u32_e32 v18, -1, v42
	s_delay_alu instid0(VALU_DEP_1) | instskip(NEXT) | instid1(VALU_DEP_1)
	v_cmp_gt_i32_e64 s7, 0, v18
	v_cndmask_b32_e64 v18, v18, v42, s7
	v_cmp_eq_u32_e64 s7, 0, v42
	s_delay_alu instid0(VALU_DEP_2)
	v_lshlrev_b32_e32 v18, 2, v18
	ds_bpermute_b32 v29, v18, v17
	s_and_saveexec_b32 s12, vcc_lo
	s_cbranch_execz .LBB959_392
; %bb.375:
	v_mov_b32_e32 v23, 0
	ds_load_b32 v17, v23 offset:60
	s_and_saveexec_b32 s14, s7
	s_cbranch_execz .LBB959_377
; %bb.376:
	s_add_i32 s16, s23, 32
	s_mov_b32 s17, 0
	v_mov_b32_e32 v18, 1
	s_lshl_b64 s[16:17], s[16:17], 3
	s_delay_alu instid0(SALU_CYCLE_1)
	s_add_u32 s16, s18, s16
	s_addc_u32 s17, s19, s17
	s_waitcnt lgkmcnt(0)
	global_store_b64 v23, v[17:18], s[16:17]
.LBB959_377:
	s_or_b32 exec_lo, exec_lo, s14
	v_xad_u32 v21, v42, -1, s23
	s_mov_b32 s15, 0
	s_mov_b32 s14, exec_lo
	s_delay_alu instid0(VALU_DEP_1) | instskip(NEXT) | instid1(VALU_DEP_1)
	v_add_nc_u32_e32 v22, 32, v21
	v_lshlrev_b64 v[22:23], 3, v[22:23]
	s_delay_alu instid0(VALU_DEP_1) | instskip(NEXT) | instid1(VALU_DEP_2)
	v_add_co_u32 v25, vcc_lo, s18, v22
	v_add_co_ci_u32_e32 v26, vcc_lo, s19, v23, vcc_lo
	global_load_b64 v[23:24], v[25:26], off glc
	s_waitcnt vmcnt(0)
	v_and_b32_e32 v18, 0xff, v24
	s_delay_alu instid0(VALU_DEP_1)
	v_cmpx_eq_u16_e32 0, v18
	s_cbranch_execz .LBB959_380
.LBB959_378:                            ; =>This Inner Loop Header: Depth=1
	global_load_b64 v[23:24], v[25:26], off glc
	s_waitcnt vmcnt(0)
	v_and_b32_e32 v18, 0xff, v24
	s_delay_alu instid0(VALU_DEP_1) | instskip(SKIP_1) | instid1(SALU_CYCLE_1)
	v_cmp_ne_u16_e32 vcc_lo, 0, v18
	s_or_b32 s15, vcc_lo, s15
	s_and_not1_b32 exec_lo, exec_lo, s15
	s_cbranch_execnz .LBB959_378
; %bb.379:
	s_or_b32 exec_lo, exec_lo, s15
.LBB959_380:
	s_delay_alu instid0(SALU_CYCLE_1)
	s_or_b32 exec_lo, exec_lo, s14
	v_cmp_ne_u32_e32 vcc_lo, 31, v42
	v_and_b32_e32 v22, 0xff, v24
	v_lshlrev_b32_e64 v31, v42, -1
	v_add_nc_u32_e32 v35, 2, v42
	v_add_nc_u32_e32 v45, 4, v42
	v_add_co_ci_u32_e32 v18, vcc_lo, 0, v42, vcc_lo
	v_cmp_eq_u16_e32 vcc_lo, 2, v22
	v_add_nc_u32_e32 v48, 8, v42
	v_add_nc_u32_e32 v50, 16, v42
	v_and_or_b32 v22, vcc_lo, v31, 0x80000000
	v_cmp_gt_u32_e32 vcc_lo, 30, v42
	s_delay_alu instid0(VALU_DEP_2) | instskip(SKIP_1) | instid1(VALU_DEP_2)
	v_ctz_i32_b32_e32 v22, v22
	v_cndmask_b32_e64 v26, 0, 1, vcc_lo
	v_cmp_lt_u32_e32 vcc_lo, v42, v22
	v_lshlrev_b32_e32 v18, 2, v18
	s_delay_alu instid0(VALU_DEP_3)
	v_lshlrev_b32_e32 v26, 1, v26
	ds_bpermute_b32 v25, v18, v23
	v_add_lshl_u32 v33, v26, v42, 2
	s_waitcnt lgkmcnt(0)
	v_cndmask_b32_e32 v25, 0, v25, vcc_lo
	v_cmp_gt_u32_e32 vcc_lo, 28, v42
	s_delay_alu instid0(VALU_DEP_2) | instskip(SKIP_4) | instid1(VALU_DEP_1)
	v_add_nc_u32_e32 v23, v25, v23
	v_cndmask_b32_e64 v26, 0, 1, vcc_lo
	v_cmp_le_u32_e32 vcc_lo, v35, v22
	ds_bpermute_b32 v25, v33, v23
	v_lshlrev_b32_e32 v26, 2, v26
	v_add_lshl_u32 v37, v26, v42, 2
	s_waitcnt lgkmcnt(0)
	v_cndmask_b32_e32 v25, 0, v25, vcc_lo
	v_cmp_gt_u32_e32 vcc_lo, 24, v42
	s_delay_alu instid0(VALU_DEP_2) | instskip(SKIP_4) | instid1(VALU_DEP_1)
	v_add_nc_u32_e32 v23, v23, v25
	v_cndmask_b32_e64 v26, 0, 1, vcc_lo
	v_cmp_le_u32_e32 vcc_lo, v45, v22
	ds_bpermute_b32 v25, v37, v23
	v_lshlrev_b32_e32 v26, 3, v26
	;; [unrolled: 10-line block ×3, first 2 shown]
	v_add_lshl_u32 v49, v26, v42, 2
	s_waitcnt lgkmcnt(0)
	v_cndmask_b32_e32 v25, 0, v25, vcc_lo
	v_cmp_le_u32_e32 vcc_lo, v50, v22
	s_delay_alu instid0(VALU_DEP_2) | instskip(SKIP_3) | instid1(VALU_DEP_1)
	v_add_nc_u32_e32 v23, v23, v25
	ds_bpermute_b32 v25, v49, v23
	s_waitcnt lgkmcnt(0)
	v_cndmask_b32_e32 v22, 0, v25, vcc_lo
	v_dual_mov_b32 v22, 0 :: v_dual_add_nc_u32 v23, v23, v22
	s_branch .LBB959_382
.LBB959_381:                            ;   in Loop: Header=BB959_382 Depth=1
	s_or_b32 exec_lo, exec_lo, s14
	ds_bpermute_b32 v26, v18, v23
	v_and_b32_e32 v25, 0xff, v24
	v_subrev_nc_u32_e32 v21, 32, v21
	s_delay_alu instid0(VALU_DEP_2) | instskip(SKIP_1) | instid1(VALU_DEP_1)
	v_cmp_eq_u16_e32 vcc_lo, 2, v25
	v_and_or_b32 v25, vcc_lo, v31, 0x80000000
	v_ctz_i32_b32_e32 v25, v25
	s_delay_alu instid0(VALU_DEP_1) | instskip(SKIP_3) | instid1(VALU_DEP_2)
	v_cmp_lt_u32_e32 vcc_lo, v42, v25
	s_waitcnt lgkmcnt(0)
	v_cndmask_b32_e32 v26, 0, v26, vcc_lo
	v_cmp_le_u32_e32 vcc_lo, v35, v25
	v_add_nc_u32_e32 v23, v26, v23
	ds_bpermute_b32 v26, v33, v23
	s_waitcnt lgkmcnt(0)
	v_cndmask_b32_e32 v26, 0, v26, vcc_lo
	v_cmp_le_u32_e32 vcc_lo, v45, v25
	s_delay_alu instid0(VALU_DEP_2) | instskip(SKIP_4) | instid1(VALU_DEP_2)
	v_add_nc_u32_e32 v23, v23, v26
	ds_bpermute_b32 v26, v37, v23
	s_waitcnt lgkmcnt(0)
	v_cndmask_b32_e32 v26, 0, v26, vcc_lo
	v_cmp_le_u32_e32 vcc_lo, v48, v25
	v_add_nc_u32_e32 v23, v23, v26
	ds_bpermute_b32 v26, v47, v23
	s_waitcnt lgkmcnt(0)
	v_cndmask_b32_e32 v26, 0, v26, vcc_lo
	v_cmp_le_u32_e32 vcc_lo, v50, v25
	s_delay_alu instid0(VALU_DEP_2) | instskip(SKIP_3) | instid1(VALU_DEP_1)
	v_add_nc_u32_e32 v23, v23, v26
	ds_bpermute_b32 v26, v49, v23
	s_waitcnt lgkmcnt(0)
	v_cndmask_b32_e32 v25, 0, v26, vcc_lo
	v_add3_u32 v23, v25, v46, v23
.LBB959_382:                            ; =>This Loop Header: Depth=1
                                        ;     Child Loop BB959_385 Depth 2
	v_and_b32_e32 v24, 0xff, v24
	s_delay_alu instid0(VALU_DEP_2) | instskip(NEXT) | instid1(VALU_DEP_2)
	v_mov_b32_e32 v46, v23
	v_cmp_ne_u16_e32 vcc_lo, 2, v24
	v_cndmask_b32_e64 v24, 0, 1, vcc_lo
	;;#ASMSTART
	;;#ASMEND
	s_delay_alu instid0(VALU_DEP_1)
	v_cmp_ne_u32_e32 vcc_lo, 0, v24
	s_cmp_lg_u32 vcc_lo, exec_lo
	s_cbranch_scc1 .LBB959_387
; %bb.383:                              ;   in Loop: Header=BB959_382 Depth=1
	v_lshlrev_b64 v[23:24], 3, v[21:22]
	s_mov_b32 s14, exec_lo
	s_delay_alu instid0(VALU_DEP_1) | instskip(NEXT) | instid1(VALU_DEP_2)
	v_add_co_u32 v25, vcc_lo, s18, v23
	v_add_co_ci_u32_e32 v26, vcc_lo, s19, v24, vcc_lo
	global_load_b64 v[23:24], v[25:26], off glc
	s_waitcnt vmcnt(0)
	v_and_b32_e32 v51, 0xff, v24
	s_delay_alu instid0(VALU_DEP_1)
	v_cmpx_eq_u16_e32 0, v51
	s_cbranch_execz .LBB959_381
; %bb.384:                              ;   in Loop: Header=BB959_382 Depth=1
	s_mov_b32 s15, 0
.LBB959_385:                            ;   Parent Loop BB959_382 Depth=1
                                        ; =>  This Inner Loop Header: Depth=2
	global_load_b64 v[23:24], v[25:26], off glc
	s_waitcnt vmcnt(0)
	v_and_b32_e32 v51, 0xff, v24
	s_delay_alu instid0(VALU_DEP_1) | instskip(SKIP_1) | instid1(SALU_CYCLE_1)
	v_cmp_ne_u16_e32 vcc_lo, 0, v51
	s_or_b32 s15, vcc_lo, s15
	s_and_not1_b32 exec_lo, exec_lo, s15
	s_cbranch_execnz .LBB959_385
; %bb.386:                              ;   in Loop: Header=BB959_382 Depth=1
	s_or_b32 exec_lo, exec_lo, s15
	s_branch .LBB959_381
.LBB959_387:                            ;   in Loop: Header=BB959_382 Depth=1
                                        ; implicit-def: $vgpr23
                                        ; implicit-def: $vgpr24
	s_cbranch_execz .LBB959_382
; %bb.388:
	s_and_saveexec_b32 s14, s7
	s_cbranch_execz .LBB959_390
; %bb.389:
	s_add_i32 s16, s23, 32
	s_mov_b32 s17, 0
	v_dual_mov_b32 v22, 2 :: v_dual_add_nc_u32 v21, v46, v17
	s_lshl_b64 s[16:17], s[16:17], 3
	v_mov_b32_e32 v18, 0
	v_add_nc_u32_e64 v23, 0x8400, 0
	s_add_u32 s16, s18, s16
	s_addc_u32 s17, s19, s17
	global_store_b64 v18, v[21:22], s[16:17]
	ds_store_2addr_b32 v23, v17, v46 offset1:2
.LBB959_390:
	s_or_b32 exec_lo, exec_lo, s14
	s_delay_alu instid0(SALU_CYCLE_1)
	s_and_b32 exec_lo, exec_lo, s2
	s_cbranch_execz .LBB959_392
; %bb.391:
	v_mov_b32_e32 v17, 0
	ds_store_b32 v17, v46 offset:60
.LBB959_392:
	s_or_b32 exec_lo, exec_lo, s12
	v_mov_b32_e32 v17, 0
	s_waitcnt lgkmcnt(0)
	s_waitcnt_vscnt null, 0x0
	s_barrier
	buffer_gl0_inv
	v_cndmask_b32_e64 v18, v29, v27, s7
	ds_load_b32 v17, v17 offset:60
	s_waitcnt lgkmcnt(0)
	s_barrier
	buffer_gl0_inv
	v_cndmask_b32_e64 v18, v18, 0, s2
	s_delay_alu instid0(VALU_DEP_1) | instskip(SKIP_1) | instid1(VALU_DEP_2)
	v_add_nc_u32_e32 v37, v17, v18
	v_add_nc_u32_e64 v17, 0x8400, 0
	v_add_nc_u32_e32 v35, v37, v28
	ds_load_2addr_b32 v[17:18], v17 offset1:2
	v_add_nc_u32_e32 v33, v35, v30
	s_delay_alu instid0(VALU_DEP_1) | instskip(NEXT) | instid1(VALU_DEP_1)
	v_add_nc_u32_e32 v31, v33, v32
	v_add_nc_u32_e32 v29, v31, v34
	s_delay_alu instid0(VALU_DEP_1) | instskip(NEXT) | instid1(VALU_DEP_1)
	v_add_nc_u32_e32 v27, v29, v36
	v_add_nc_u32_e32 v25, v27, v38
	s_delay_alu instid0(VALU_DEP_1)
	v_add_nc_u32_e32 v23, v25, v41
	v_lshrrev_b64 v[21:22], 24, v[19:20]
	s_branch .LBB959_403
.LBB959_393:
                                        ; implicit-def: $vgpr23
                                        ; implicit-def: $vgpr25
                                        ; implicit-def: $vgpr27
                                        ; implicit-def: $vgpr29
                                        ; implicit-def: $vgpr31
                                        ; implicit-def: $vgpr33
                                        ; implicit-def: $vgpr35
                                        ; implicit-def: $vgpr37
                                        ; implicit-def: $vgpr18
	v_lshrrev_b64 v[21:22], 24, v[19:20]
	s_and_b32 vcc_lo, exec_lo, s7
	s_cbranch_vccz .LBB959_403
; %bb.394:
	s_waitcnt lgkmcnt(0)
	v_mov_b32_dpp v17, v44 row_shr:1 row_mask:0xf bank_mask:0xf
	s_delay_alu instid0(VALU_DEP_1) | instskip(NEXT) | instid1(VALU_DEP_1)
	v_cndmask_b32_e64 v17, v17, 0, s3
	v_add_nc_u32_e32 v17, v17, v44
	s_delay_alu instid0(VALU_DEP_1) | instskip(NEXT) | instid1(VALU_DEP_1)
	v_mov_b32_dpp v18, v17 row_shr:2 row_mask:0xf bank_mask:0xf
	v_cndmask_b32_e64 v18, 0, v18, s0
	s_delay_alu instid0(VALU_DEP_1) | instskip(NEXT) | instid1(VALU_DEP_1)
	v_add_nc_u32_e32 v17, v17, v18
	v_mov_b32_dpp v18, v17 row_shr:4 row_mask:0xf bank_mask:0xf
	s_delay_alu instid0(VALU_DEP_1) | instskip(NEXT) | instid1(VALU_DEP_1)
	v_cndmask_b32_e64 v18, 0, v18, s4
	v_add_nc_u32_e32 v17, v17, v18
	s_delay_alu instid0(VALU_DEP_1) | instskip(NEXT) | instid1(VALU_DEP_1)
	v_mov_b32_dpp v18, v17 row_shr:8 row_mask:0xf bank_mask:0xf
	v_cndmask_b32_e64 v18, 0, v18, s1
	s_delay_alu instid0(VALU_DEP_1) | instskip(SKIP_3) | instid1(VALU_DEP_1)
	v_add_nc_u32_e32 v17, v17, v18
	ds_swizzle_b32 v18, v17 offset:swizzle(BROADCAST,32,15)
	s_waitcnt lgkmcnt(0)
	v_cndmask_b32_e64 v18, v18, 0, s6
	v_add_nc_u32_e32 v17, v17, v18
	s_and_saveexec_b32 s6, s5
	s_cbranch_execz .LBB959_396
; %bb.395:
	v_lshlrev_b32_e32 v18, 2, v43
	ds_store_b32 v18, v17
.LBB959_396:
	s_or_b32 exec_lo, exec_lo, s6
	s_delay_alu instid0(SALU_CYCLE_1)
	s_mov_b32 s5, exec_lo
	s_waitcnt lgkmcnt(0)
	s_barrier
	buffer_gl0_inv
	v_cmpx_gt_u32_e32 16, v0
	s_cbranch_execz .LBB959_398
; %bb.397:
	v_lshlrev_b32_e32 v18, 2, v0
	ds_load_b32 v22, v18
	s_waitcnt lgkmcnt(0)
	v_mov_b32_dpp v23, v22 row_shr:1 row_mask:0xf bank_mask:0xf
	s_delay_alu instid0(VALU_DEP_1) | instskip(NEXT) | instid1(VALU_DEP_1)
	v_cndmask_b32_e64 v23, v23, 0, s3
	v_add_nc_u32_e32 v22, v23, v22
	s_delay_alu instid0(VALU_DEP_1) | instskip(NEXT) | instid1(VALU_DEP_1)
	v_mov_b32_dpp v23, v22 row_shr:2 row_mask:0xf bank_mask:0xf
	v_cndmask_b32_e64 v23, 0, v23, s0
	s_delay_alu instid0(VALU_DEP_1) | instskip(NEXT) | instid1(VALU_DEP_1)
	v_add_nc_u32_e32 v22, v22, v23
	v_mov_b32_dpp v23, v22 row_shr:4 row_mask:0xf bank_mask:0xf
	s_delay_alu instid0(VALU_DEP_1) | instskip(NEXT) | instid1(VALU_DEP_1)
	v_cndmask_b32_e64 v23, 0, v23, s4
	v_add_nc_u32_e32 v22, v22, v23
	s_delay_alu instid0(VALU_DEP_1) | instskip(NEXT) | instid1(VALU_DEP_1)
	v_mov_b32_dpp v23, v22 row_shr:8 row_mask:0xf bank_mask:0xf
	v_cndmask_b32_e64 v23, 0, v23, s1
	s_delay_alu instid0(VALU_DEP_1)
	v_add_nc_u32_e32 v22, v22, v23
	ds_store_b32 v18, v22
.LBB959_398:
	s_or_b32 exec_lo, exec_lo, s5
	v_mov_b32_e32 v18, 0
	v_mov_b32_e32 v22, 0
	s_mov_b32 s0, exec_lo
	s_waitcnt lgkmcnt(0)
	s_barrier
	buffer_gl0_inv
	v_cmpx_lt_u32_e32 31, v0
	s_cbranch_execz .LBB959_400
; %bb.399:
	v_lshl_add_u32 v22, v43, 2, -4
	ds_load_b32 v22, v22
.LBB959_400:
	s_or_b32 exec_lo, exec_lo, s0
	v_add_nc_u32_e32 v23, -1, v42
	s_waitcnt lgkmcnt(0)
	v_add_nc_u32_e32 v17, v22, v17
	s_delay_alu instid0(VALU_DEP_2) | instskip(SKIP_1) | instid1(VALU_DEP_1)
	v_cmp_gt_i32_e32 vcc_lo, 0, v23
	v_cndmask_b32_e32 v23, v23, v42, vcc_lo
	v_lshlrev_b32_e32 v23, 2, v23
	ds_bpermute_b32 v23, v23, v17
	ds_load_b32 v17, v18 offset:60
	s_and_saveexec_b32 s0, s2
	s_cbranch_execz .LBB959_402
; %bb.401:
	v_mov_b32_e32 v24, 0
	v_mov_b32_e32 v18, 2
	s_waitcnt lgkmcnt(0)
	global_store_b64 v24, v[17:18], s[18:19] offset:256
.LBB959_402:
	s_or_b32 exec_lo, exec_lo, s0
	v_cmp_eq_u32_e32 vcc_lo, 0, v42
	s_waitcnt lgkmcnt(0)
	s_waitcnt_vscnt null, 0x0
	s_barrier
	buffer_gl0_inv
	v_cndmask_b32_e32 v18, v23, v22, vcc_lo
	s_delay_alu instid0(VALU_DEP_1) | instskip(NEXT) | instid1(VALU_DEP_1)
	v_cndmask_b32_e64 v37, v18, 0, s2
	v_dual_mov_b32 v18, 0 :: v_dual_add_nc_u32 v35, v37, v28
	s_delay_alu instid0(VALU_DEP_1) | instskip(NEXT) | instid1(VALU_DEP_1)
	v_add_nc_u32_e32 v33, v35, v30
	v_add_nc_u32_e32 v31, v33, v32
	s_delay_alu instid0(VALU_DEP_1) | instskip(NEXT) | instid1(VALU_DEP_1)
	v_add_nc_u32_e32 v29, v31, v34
	v_add_nc_u32_e32 v27, v29, v36
	;; [unrolled: 3-line block ×3, first 2 shown]
.LBB959_403:
	s_waitcnt lgkmcnt(0)
	v_cmp_gt_u32_e32 vcc_lo, 0x201, v17
	v_lshrrev_b32_e32 v43, 8, v19
	v_lshrrev_b32_e32 v42, 16, v19
	;; [unrolled: 1-line block ×4, first 2 shown]
	s_mov_b32 s0, -1
	s_cbranch_vccnz .LBB959_407
; %bb.404:
	s_and_b32 vcc_lo, exec_lo, s0
	s_cbranch_vccnz .LBB959_432
.LBB959_405:
	s_and_b32 s0, s2, s13
	s_delay_alu instid0(SALU_CYCLE_1)
	s_and_saveexec_b32 s1, s0
	s_cbranch_execnz .LBB959_452
.LBB959_406:
	s_nop 0
	s_sendmsg sendmsg(MSG_DEALLOC_VGPRS)
	s_endpgm
.LBB959_407:
	v_add_nc_u32_e32 v24, v18, v17
	s_delay_alu instid0(VALU_DEP_1) | instskip(SKIP_1) | instid1(SALU_CYCLE_1)
	v_cmp_lt_u32_e32 vcc_lo, v37, v24
	s_or_b32 s1, s22, vcc_lo
	s_and_saveexec_b32 s0, s1
	s_cbranch_execz .LBB959_410
; %bb.408:
	v_and_b32_e32 v26, 1, v19
	s_delay_alu instid0(VALU_DEP_1)
	v_cmp_eq_u32_e32 vcc_lo, 1, v26
	s_and_b32 exec_lo, exec_lo, vcc_lo
	s_cbranch_execz .LBB959_410
; %bb.409:
	v_mov_b32_e32 v38, 0
	s_lshl_b64 s[4:5], s[10:11], 3
	s_delay_alu instid0(SALU_CYCLE_1) | instskip(SKIP_1) | instid1(VALU_DEP_1)
	s_add_u32 s1, s20, s4
	s_addc_u32 s3, s21, s5
	v_lshlrev_b64 v[44:45], 3, v[37:38]
	s_delay_alu instid0(VALU_DEP_1) | instskip(NEXT) | instid1(VALU_DEP_2)
	v_add_co_u32 v44, vcc_lo, s1, v44
	v_add_co_ci_u32_e32 v45, vcc_lo, s3, v45, vcc_lo
	global_store_b64 v[44:45], v[13:14], off
.LBB959_410:
	s_or_b32 exec_lo, exec_lo, s0
	v_cmp_lt_u32_e32 vcc_lo, v35, v24
	s_or_b32 s1, s22, vcc_lo
	s_delay_alu instid0(SALU_CYCLE_1)
	s_and_saveexec_b32 s0, s1
	s_cbranch_execz .LBB959_413
; %bb.411:
	v_and_b32_e32 v26, 1, v43
	s_delay_alu instid0(VALU_DEP_1)
	v_cmp_eq_u32_e32 vcc_lo, 1, v26
	s_and_b32 exec_lo, exec_lo, vcc_lo
	s_cbranch_execz .LBB959_413
; %bb.412:
	v_mov_b32_e32 v36, 0
	s_lshl_b64 s[4:5], s[10:11], 3
	s_delay_alu instid0(SALU_CYCLE_1) | instskip(SKIP_1) | instid1(VALU_DEP_1)
	s_add_u32 s1, s20, s4
	s_addc_u32 s3, s21, s5
	v_lshlrev_b64 v[44:45], 3, v[35:36]
	s_delay_alu instid0(VALU_DEP_1) | instskip(NEXT) | instid1(VALU_DEP_2)
	v_add_co_u32 v44, vcc_lo, s1, v44
	v_add_co_ci_u32_e32 v45, vcc_lo, s3, v45, vcc_lo
	global_store_b64 v[44:45], v[15:16], off
.LBB959_413:
	s_or_b32 exec_lo, exec_lo, s0
	v_cmp_lt_u32_e32 vcc_lo, v33, v24
	s_or_b32 s1, s22, vcc_lo
	s_delay_alu instid0(SALU_CYCLE_1)
	;; [unrolled: 24-line block ×7, first 2 shown]
	s_and_saveexec_b32 s0, s1
	s_cbranch_execz .LBB959_431
; %bb.429:
	v_and_b32_e32 v24, 1, v40
	s_delay_alu instid0(VALU_DEP_1)
	v_cmp_eq_u32_e32 vcc_lo, 1, v24
	s_and_b32 exec_lo, exec_lo, vcc_lo
	s_cbranch_execz .LBB959_431
; %bb.430:
	v_mov_b32_e32 v24, 0
	s_lshl_b64 s[4:5], s[10:11], 3
	s_delay_alu instid0(SALU_CYCLE_1) | instskip(SKIP_1) | instid1(VALU_DEP_1)
	s_add_u32 s1, s20, s4
	s_addc_u32 s3, s21, s5
	v_lshlrev_b64 v[44:45], 3, v[23:24]
	s_delay_alu instid0(VALU_DEP_1) | instskip(NEXT) | instid1(VALU_DEP_2)
	v_add_co_u32 v44, vcc_lo, s1, v44
	v_add_co_ci_u32_e32 v45, vcc_lo, s3, v45, vcc_lo
	global_store_b64 v[44:45], v[3:4], off
.LBB959_431:
	s_or_b32 exec_lo, exec_lo, s0
	s_branch .LBB959_405
.LBB959_432:
	v_and_b32_e32 v19, 1, v19
	s_mov_b32 s0, exec_lo
	s_delay_alu instid0(VALU_DEP_1)
	v_cmpx_eq_u32_e32 1, v19
	s_cbranch_execz .LBB959_434
; %bb.433:
	v_sub_nc_u32_e32 v19, v37, v18
	s_delay_alu instid0(VALU_DEP_1)
	v_lshlrev_b32_e32 v19, 3, v19
	ds_store_b64 v19, v[13:14]
.LBB959_434:
	s_or_b32 exec_lo, exec_lo, s0
	v_and_b32_e32 v13, 1, v43
	s_mov_b32 s0, exec_lo
	s_delay_alu instid0(VALU_DEP_1)
	v_cmpx_eq_u32_e32 1, v13
	s_cbranch_execz .LBB959_436
; %bb.435:
	v_sub_nc_u32_e32 v13, v35, v18
	s_delay_alu instid0(VALU_DEP_1)
	v_lshlrev_b32_e32 v13, 3, v13
	ds_store_b64 v13, v[15:16]
.LBB959_436:
	s_or_b32 exec_lo, exec_lo, s0
	;; [unrolled: 12-line block ×8, first 2 shown]
	s_delay_alu instid0(SALU_CYCLE_1)
	s_mov_b32 s1, exec_lo
	s_waitcnt lgkmcnt(0)
	s_waitcnt_vscnt null, 0x0
	s_barrier
	buffer_gl0_inv
	v_cmpx_lt_u32_e64 v0, v17
	s_cbranch_execz .LBB959_451
; %bb.449:
	v_dual_mov_b32 v2, 0 :: v_dual_mov_b32 v1, v18
	s_lshl_b64 s[4:5], s[10:11], 3
	s_mov_b32 s3, 0
	s_delay_alu instid0(VALU_DEP_1) | instskip(NEXT) | instid1(VALU_DEP_1)
	v_lshlrev_b64 v[1:2], 3, v[1:2]
	v_add_co_u32 v1, vcc_lo, s4, v1
	s_delay_alu instid0(VALU_DEP_2) | instskip(NEXT) | instid1(VALU_DEP_2)
	v_add_co_ci_u32_e32 v2, vcc_lo, s5, v2, vcc_lo
	v_add_co_u32 v1, vcc_lo, s20, v1
	s_delay_alu instid0(VALU_DEP_2) | instskip(NEXT) | instid1(VALU_DEP_2)
	v_add_co_ci_u32_e32 v2, vcc_lo, s21, v2, vcc_lo
	v_add_co_u32 v1, vcc_lo, v1, v39
	s_delay_alu instid0(VALU_DEP_2)
	v_add_co_ci_u32_e32 v2, vcc_lo, 0, v2, vcc_lo
	.p2align	6
.LBB959_450:                            ; =>This Inner Loop Header: Depth=1
	ds_load_b64 v[3:4], v39
	v_add_nc_u32_e32 v0, 0x200, v0
	v_add_nc_u32_e32 v39, 0x1000, v39
	s_delay_alu instid0(VALU_DEP_2) | instskip(SKIP_4) | instid1(VALU_DEP_1)
	v_cmp_ge_u32_e32 vcc_lo, v0, v17
	s_or_b32 s3, vcc_lo, s3
	s_waitcnt lgkmcnt(0)
	global_store_b64 v[1:2], v[3:4], off
	v_add_co_u32 v1, s0, 0x1000, v1
	v_add_co_ci_u32_e64 v2, s0, 0, v2, s0
	s_and_not1_b32 exec_lo, exec_lo, s3
	s_cbranch_execnz .LBB959_450
.LBB959_451:
	s_or_b32 exec_lo, exec_lo, s1
	s_and_b32 s0, s2, s13
	s_delay_alu instid0(SALU_CYCLE_1)
	s_and_saveexec_b32 s1, s0
	s_cbranch_execz .LBB959_406
.LBB959_452:
	v_add_co_u32 v0, s0, s10, v17
	s_delay_alu instid0(VALU_DEP_1) | instskip(SKIP_1) | instid1(VALU_DEP_3)
	v_add_co_ci_u32_e64 v1, null, s11, 0, s0
	v_mov_b32_e32 v2, 0
	v_add_co_u32 v0, vcc_lo, v0, v18
	s_delay_alu instid0(VALU_DEP_3)
	v_add_co_ci_u32_e32 v1, vcc_lo, 0, v1, vcc_lo
	global_store_b64 v2, v[0:1], s[8:9]
	s_nop 0
	s_sendmsg sendmsg(MSG_DEALLOC_VGPRS)
	s_endpgm
	.section	.rodata,"a",@progbits
	.p2align	6, 0x0
	.amdhsa_kernel _ZN7rocprim17ROCPRIM_400000_NS6detail17trampoline_kernelINS0_14default_configENS1_25partition_config_selectorILNS1_17partition_subalgoE8ElNS0_10empty_typeEbEEZZNS1_14partition_implILS5_8ELb0ES3_jPlPS6_PKS6_NS0_5tupleIJS9_S6_EEENSD_IJSA_SA_EEENS0_18inequality_wrapperIZN2at6native12_GLOBAL__N_124unique_dim_cuda_templateIfEESt5tupleIJNSH_6TensorESM_SM_EERKSM_lbbbEUlllE0_EEPmJS6_EEE10hipError_tPvRmT3_T4_T5_T6_T7_T9_mT8_P12ihipStream_tbDpT10_ENKUlT_T0_E_clISt17integral_constantIbLb0EES1B_IbLb1EEEEDaS17_S18_EUlS17_E_NS1_11comp_targetILNS1_3genE9ELNS1_11target_archE1100ELNS1_3gpuE3ELNS1_3repE0EEENS1_30default_config_static_selectorELNS0_4arch9wavefront6targetE0EEEvT1_
		.amdhsa_group_segment_fixed_size 33804
		.amdhsa_private_segment_fixed_size 0
		.amdhsa_kernarg_size 136
		.amdhsa_user_sgpr_count 15
		.amdhsa_user_sgpr_dispatch_ptr 0
		.amdhsa_user_sgpr_queue_ptr 0
		.amdhsa_user_sgpr_kernarg_segment_ptr 1
		.amdhsa_user_sgpr_dispatch_id 0
		.amdhsa_user_sgpr_private_segment_size 0
		.amdhsa_wavefront_size32 1
		.amdhsa_uses_dynamic_stack 0
		.amdhsa_enable_private_segment 0
		.amdhsa_system_sgpr_workgroup_id_x 1
		.amdhsa_system_sgpr_workgroup_id_y 0
		.amdhsa_system_sgpr_workgroup_id_z 0
		.amdhsa_system_sgpr_workgroup_info 0
		.amdhsa_system_vgpr_workitem_id 0
		.amdhsa_next_free_vgpr 52
		.amdhsa_next_free_sgpr 38
		.amdhsa_reserve_vcc 1
		.amdhsa_float_round_mode_32 0
		.amdhsa_float_round_mode_16_64 0
		.amdhsa_float_denorm_mode_32 3
		.amdhsa_float_denorm_mode_16_64 3
		.amdhsa_dx10_clamp 1
		.amdhsa_ieee_mode 1
		.amdhsa_fp16_overflow 0
		.amdhsa_workgroup_processor_mode 1
		.amdhsa_memory_ordered 1
		.amdhsa_forward_progress 0
		.amdhsa_shared_vgpr_count 0
		.amdhsa_exception_fp_ieee_invalid_op 0
		.amdhsa_exception_fp_denorm_src 0
		.amdhsa_exception_fp_ieee_div_zero 0
		.amdhsa_exception_fp_ieee_overflow 0
		.amdhsa_exception_fp_ieee_underflow 0
		.amdhsa_exception_fp_ieee_inexact 0
		.amdhsa_exception_int_div_zero 0
	.end_amdhsa_kernel
	.section	.text._ZN7rocprim17ROCPRIM_400000_NS6detail17trampoline_kernelINS0_14default_configENS1_25partition_config_selectorILNS1_17partition_subalgoE8ElNS0_10empty_typeEbEEZZNS1_14partition_implILS5_8ELb0ES3_jPlPS6_PKS6_NS0_5tupleIJS9_S6_EEENSD_IJSA_SA_EEENS0_18inequality_wrapperIZN2at6native12_GLOBAL__N_124unique_dim_cuda_templateIfEESt5tupleIJNSH_6TensorESM_SM_EERKSM_lbbbEUlllE0_EEPmJS6_EEE10hipError_tPvRmT3_T4_T5_T6_T7_T9_mT8_P12ihipStream_tbDpT10_ENKUlT_T0_E_clISt17integral_constantIbLb0EES1B_IbLb1EEEEDaS17_S18_EUlS17_E_NS1_11comp_targetILNS1_3genE9ELNS1_11target_archE1100ELNS1_3gpuE3ELNS1_3repE0EEENS1_30default_config_static_selectorELNS0_4arch9wavefront6targetE0EEEvT1_,"axG",@progbits,_ZN7rocprim17ROCPRIM_400000_NS6detail17trampoline_kernelINS0_14default_configENS1_25partition_config_selectorILNS1_17partition_subalgoE8ElNS0_10empty_typeEbEEZZNS1_14partition_implILS5_8ELb0ES3_jPlPS6_PKS6_NS0_5tupleIJS9_S6_EEENSD_IJSA_SA_EEENS0_18inequality_wrapperIZN2at6native12_GLOBAL__N_124unique_dim_cuda_templateIfEESt5tupleIJNSH_6TensorESM_SM_EERKSM_lbbbEUlllE0_EEPmJS6_EEE10hipError_tPvRmT3_T4_T5_T6_T7_T9_mT8_P12ihipStream_tbDpT10_ENKUlT_T0_E_clISt17integral_constantIbLb0EES1B_IbLb1EEEEDaS17_S18_EUlS17_E_NS1_11comp_targetILNS1_3genE9ELNS1_11target_archE1100ELNS1_3gpuE3ELNS1_3repE0EEENS1_30default_config_static_selectorELNS0_4arch9wavefront6targetE0EEEvT1_,comdat
.Lfunc_end959:
	.size	_ZN7rocprim17ROCPRIM_400000_NS6detail17trampoline_kernelINS0_14default_configENS1_25partition_config_selectorILNS1_17partition_subalgoE8ElNS0_10empty_typeEbEEZZNS1_14partition_implILS5_8ELb0ES3_jPlPS6_PKS6_NS0_5tupleIJS9_S6_EEENSD_IJSA_SA_EEENS0_18inequality_wrapperIZN2at6native12_GLOBAL__N_124unique_dim_cuda_templateIfEESt5tupleIJNSH_6TensorESM_SM_EERKSM_lbbbEUlllE0_EEPmJS6_EEE10hipError_tPvRmT3_T4_T5_T6_T7_T9_mT8_P12ihipStream_tbDpT10_ENKUlT_T0_E_clISt17integral_constantIbLb0EES1B_IbLb1EEEEDaS17_S18_EUlS17_E_NS1_11comp_targetILNS1_3genE9ELNS1_11target_archE1100ELNS1_3gpuE3ELNS1_3repE0EEENS1_30default_config_static_selectorELNS0_4arch9wavefront6targetE0EEEvT1_, .Lfunc_end959-_ZN7rocprim17ROCPRIM_400000_NS6detail17trampoline_kernelINS0_14default_configENS1_25partition_config_selectorILNS1_17partition_subalgoE8ElNS0_10empty_typeEbEEZZNS1_14partition_implILS5_8ELb0ES3_jPlPS6_PKS6_NS0_5tupleIJS9_S6_EEENSD_IJSA_SA_EEENS0_18inequality_wrapperIZN2at6native12_GLOBAL__N_124unique_dim_cuda_templateIfEESt5tupleIJNSH_6TensorESM_SM_EERKSM_lbbbEUlllE0_EEPmJS6_EEE10hipError_tPvRmT3_T4_T5_T6_T7_T9_mT8_P12ihipStream_tbDpT10_ENKUlT_T0_E_clISt17integral_constantIbLb0EES1B_IbLb1EEEEDaS17_S18_EUlS17_E_NS1_11comp_targetILNS1_3genE9ELNS1_11target_archE1100ELNS1_3gpuE3ELNS1_3repE0EEENS1_30default_config_static_selectorELNS0_4arch9wavefront6targetE0EEEvT1_
                                        ; -- End function
	.section	.AMDGPU.csdata,"",@progbits
; Kernel info:
; codeLenInByte = 18292
; NumSgprs: 40
; NumVgprs: 52
; ScratchSize: 0
; MemoryBound: 0
; FloatMode: 240
; IeeeMode: 1
; LDSByteSize: 33804 bytes/workgroup (compile time only)
; SGPRBlocks: 4
; VGPRBlocks: 6
; NumSGPRsForWavesPerEU: 40
; NumVGPRsForWavesPerEU: 52
; Occupancy: 12
; WaveLimiterHint : 1
; COMPUTE_PGM_RSRC2:SCRATCH_EN: 0
; COMPUTE_PGM_RSRC2:USER_SGPR: 15
; COMPUTE_PGM_RSRC2:TRAP_HANDLER: 0
; COMPUTE_PGM_RSRC2:TGID_X_EN: 1
; COMPUTE_PGM_RSRC2:TGID_Y_EN: 0
; COMPUTE_PGM_RSRC2:TGID_Z_EN: 0
; COMPUTE_PGM_RSRC2:TIDIG_COMP_CNT: 0
	.section	.text._ZN7rocprim17ROCPRIM_400000_NS6detail17trampoline_kernelINS0_14default_configENS1_25partition_config_selectorILNS1_17partition_subalgoE8ElNS0_10empty_typeEbEEZZNS1_14partition_implILS5_8ELb0ES3_jPlPS6_PKS6_NS0_5tupleIJS9_S6_EEENSD_IJSA_SA_EEENS0_18inequality_wrapperIZN2at6native12_GLOBAL__N_124unique_dim_cuda_templateIfEESt5tupleIJNSH_6TensorESM_SM_EERKSM_lbbbEUlllE0_EEPmJS6_EEE10hipError_tPvRmT3_T4_T5_T6_T7_T9_mT8_P12ihipStream_tbDpT10_ENKUlT_T0_E_clISt17integral_constantIbLb0EES1B_IbLb1EEEEDaS17_S18_EUlS17_E_NS1_11comp_targetILNS1_3genE8ELNS1_11target_archE1030ELNS1_3gpuE2ELNS1_3repE0EEENS1_30default_config_static_selectorELNS0_4arch9wavefront6targetE0EEEvT1_,"axG",@progbits,_ZN7rocprim17ROCPRIM_400000_NS6detail17trampoline_kernelINS0_14default_configENS1_25partition_config_selectorILNS1_17partition_subalgoE8ElNS0_10empty_typeEbEEZZNS1_14partition_implILS5_8ELb0ES3_jPlPS6_PKS6_NS0_5tupleIJS9_S6_EEENSD_IJSA_SA_EEENS0_18inequality_wrapperIZN2at6native12_GLOBAL__N_124unique_dim_cuda_templateIfEESt5tupleIJNSH_6TensorESM_SM_EERKSM_lbbbEUlllE0_EEPmJS6_EEE10hipError_tPvRmT3_T4_T5_T6_T7_T9_mT8_P12ihipStream_tbDpT10_ENKUlT_T0_E_clISt17integral_constantIbLb0EES1B_IbLb1EEEEDaS17_S18_EUlS17_E_NS1_11comp_targetILNS1_3genE8ELNS1_11target_archE1030ELNS1_3gpuE2ELNS1_3repE0EEENS1_30default_config_static_selectorELNS0_4arch9wavefront6targetE0EEEvT1_,comdat
	.globl	_ZN7rocprim17ROCPRIM_400000_NS6detail17trampoline_kernelINS0_14default_configENS1_25partition_config_selectorILNS1_17partition_subalgoE8ElNS0_10empty_typeEbEEZZNS1_14partition_implILS5_8ELb0ES3_jPlPS6_PKS6_NS0_5tupleIJS9_S6_EEENSD_IJSA_SA_EEENS0_18inequality_wrapperIZN2at6native12_GLOBAL__N_124unique_dim_cuda_templateIfEESt5tupleIJNSH_6TensorESM_SM_EERKSM_lbbbEUlllE0_EEPmJS6_EEE10hipError_tPvRmT3_T4_T5_T6_T7_T9_mT8_P12ihipStream_tbDpT10_ENKUlT_T0_E_clISt17integral_constantIbLb0EES1B_IbLb1EEEEDaS17_S18_EUlS17_E_NS1_11comp_targetILNS1_3genE8ELNS1_11target_archE1030ELNS1_3gpuE2ELNS1_3repE0EEENS1_30default_config_static_selectorELNS0_4arch9wavefront6targetE0EEEvT1_ ; -- Begin function _ZN7rocprim17ROCPRIM_400000_NS6detail17trampoline_kernelINS0_14default_configENS1_25partition_config_selectorILNS1_17partition_subalgoE8ElNS0_10empty_typeEbEEZZNS1_14partition_implILS5_8ELb0ES3_jPlPS6_PKS6_NS0_5tupleIJS9_S6_EEENSD_IJSA_SA_EEENS0_18inequality_wrapperIZN2at6native12_GLOBAL__N_124unique_dim_cuda_templateIfEESt5tupleIJNSH_6TensorESM_SM_EERKSM_lbbbEUlllE0_EEPmJS6_EEE10hipError_tPvRmT3_T4_T5_T6_T7_T9_mT8_P12ihipStream_tbDpT10_ENKUlT_T0_E_clISt17integral_constantIbLb0EES1B_IbLb1EEEEDaS17_S18_EUlS17_E_NS1_11comp_targetILNS1_3genE8ELNS1_11target_archE1030ELNS1_3gpuE2ELNS1_3repE0EEENS1_30default_config_static_selectorELNS0_4arch9wavefront6targetE0EEEvT1_
	.p2align	8
	.type	_ZN7rocprim17ROCPRIM_400000_NS6detail17trampoline_kernelINS0_14default_configENS1_25partition_config_selectorILNS1_17partition_subalgoE8ElNS0_10empty_typeEbEEZZNS1_14partition_implILS5_8ELb0ES3_jPlPS6_PKS6_NS0_5tupleIJS9_S6_EEENSD_IJSA_SA_EEENS0_18inequality_wrapperIZN2at6native12_GLOBAL__N_124unique_dim_cuda_templateIfEESt5tupleIJNSH_6TensorESM_SM_EERKSM_lbbbEUlllE0_EEPmJS6_EEE10hipError_tPvRmT3_T4_T5_T6_T7_T9_mT8_P12ihipStream_tbDpT10_ENKUlT_T0_E_clISt17integral_constantIbLb0EES1B_IbLb1EEEEDaS17_S18_EUlS17_E_NS1_11comp_targetILNS1_3genE8ELNS1_11target_archE1030ELNS1_3gpuE2ELNS1_3repE0EEENS1_30default_config_static_selectorELNS0_4arch9wavefront6targetE0EEEvT1_,@function
_ZN7rocprim17ROCPRIM_400000_NS6detail17trampoline_kernelINS0_14default_configENS1_25partition_config_selectorILNS1_17partition_subalgoE8ElNS0_10empty_typeEbEEZZNS1_14partition_implILS5_8ELb0ES3_jPlPS6_PKS6_NS0_5tupleIJS9_S6_EEENSD_IJSA_SA_EEENS0_18inequality_wrapperIZN2at6native12_GLOBAL__N_124unique_dim_cuda_templateIfEESt5tupleIJNSH_6TensorESM_SM_EERKSM_lbbbEUlllE0_EEPmJS6_EEE10hipError_tPvRmT3_T4_T5_T6_T7_T9_mT8_P12ihipStream_tbDpT10_ENKUlT_T0_E_clISt17integral_constantIbLb0EES1B_IbLb1EEEEDaS17_S18_EUlS17_E_NS1_11comp_targetILNS1_3genE8ELNS1_11target_archE1030ELNS1_3gpuE2ELNS1_3repE0EEENS1_30default_config_static_selectorELNS0_4arch9wavefront6targetE0EEEvT1_: ; @_ZN7rocprim17ROCPRIM_400000_NS6detail17trampoline_kernelINS0_14default_configENS1_25partition_config_selectorILNS1_17partition_subalgoE8ElNS0_10empty_typeEbEEZZNS1_14partition_implILS5_8ELb0ES3_jPlPS6_PKS6_NS0_5tupleIJS9_S6_EEENSD_IJSA_SA_EEENS0_18inequality_wrapperIZN2at6native12_GLOBAL__N_124unique_dim_cuda_templateIfEESt5tupleIJNSH_6TensorESM_SM_EERKSM_lbbbEUlllE0_EEPmJS6_EEE10hipError_tPvRmT3_T4_T5_T6_T7_T9_mT8_P12ihipStream_tbDpT10_ENKUlT_T0_E_clISt17integral_constantIbLb0EES1B_IbLb1EEEEDaS17_S18_EUlS17_E_NS1_11comp_targetILNS1_3genE8ELNS1_11target_archE1030ELNS1_3gpuE2ELNS1_3repE0EEENS1_30default_config_static_selectorELNS0_4arch9wavefront6targetE0EEEvT1_
; %bb.0:
	.section	.rodata,"a",@progbits
	.p2align	6, 0x0
	.amdhsa_kernel _ZN7rocprim17ROCPRIM_400000_NS6detail17trampoline_kernelINS0_14default_configENS1_25partition_config_selectorILNS1_17partition_subalgoE8ElNS0_10empty_typeEbEEZZNS1_14partition_implILS5_8ELb0ES3_jPlPS6_PKS6_NS0_5tupleIJS9_S6_EEENSD_IJSA_SA_EEENS0_18inequality_wrapperIZN2at6native12_GLOBAL__N_124unique_dim_cuda_templateIfEESt5tupleIJNSH_6TensorESM_SM_EERKSM_lbbbEUlllE0_EEPmJS6_EEE10hipError_tPvRmT3_T4_T5_T6_T7_T9_mT8_P12ihipStream_tbDpT10_ENKUlT_T0_E_clISt17integral_constantIbLb0EES1B_IbLb1EEEEDaS17_S18_EUlS17_E_NS1_11comp_targetILNS1_3genE8ELNS1_11target_archE1030ELNS1_3gpuE2ELNS1_3repE0EEENS1_30default_config_static_selectorELNS0_4arch9wavefront6targetE0EEEvT1_
		.amdhsa_group_segment_fixed_size 0
		.amdhsa_private_segment_fixed_size 0
		.amdhsa_kernarg_size 136
		.amdhsa_user_sgpr_count 15
		.amdhsa_user_sgpr_dispatch_ptr 0
		.amdhsa_user_sgpr_queue_ptr 0
		.amdhsa_user_sgpr_kernarg_segment_ptr 1
		.amdhsa_user_sgpr_dispatch_id 0
		.amdhsa_user_sgpr_private_segment_size 0
		.amdhsa_wavefront_size32 1
		.amdhsa_uses_dynamic_stack 0
		.amdhsa_enable_private_segment 0
		.amdhsa_system_sgpr_workgroup_id_x 1
		.amdhsa_system_sgpr_workgroup_id_y 0
		.amdhsa_system_sgpr_workgroup_id_z 0
		.amdhsa_system_sgpr_workgroup_info 0
		.amdhsa_system_vgpr_workitem_id 0
		.amdhsa_next_free_vgpr 1
		.amdhsa_next_free_sgpr 1
		.amdhsa_reserve_vcc 0
		.amdhsa_float_round_mode_32 0
		.amdhsa_float_round_mode_16_64 0
		.amdhsa_float_denorm_mode_32 3
		.amdhsa_float_denorm_mode_16_64 3
		.amdhsa_dx10_clamp 1
		.amdhsa_ieee_mode 1
		.amdhsa_fp16_overflow 0
		.amdhsa_workgroup_processor_mode 1
		.amdhsa_memory_ordered 1
		.amdhsa_forward_progress 0
		.amdhsa_shared_vgpr_count 0
		.amdhsa_exception_fp_ieee_invalid_op 0
		.amdhsa_exception_fp_denorm_src 0
		.amdhsa_exception_fp_ieee_div_zero 0
		.amdhsa_exception_fp_ieee_overflow 0
		.amdhsa_exception_fp_ieee_underflow 0
		.amdhsa_exception_fp_ieee_inexact 0
		.amdhsa_exception_int_div_zero 0
	.end_amdhsa_kernel
	.section	.text._ZN7rocprim17ROCPRIM_400000_NS6detail17trampoline_kernelINS0_14default_configENS1_25partition_config_selectorILNS1_17partition_subalgoE8ElNS0_10empty_typeEbEEZZNS1_14partition_implILS5_8ELb0ES3_jPlPS6_PKS6_NS0_5tupleIJS9_S6_EEENSD_IJSA_SA_EEENS0_18inequality_wrapperIZN2at6native12_GLOBAL__N_124unique_dim_cuda_templateIfEESt5tupleIJNSH_6TensorESM_SM_EERKSM_lbbbEUlllE0_EEPmJS6_EEE10hipError_tPvRmT3_T4_T5_T6_T7_T9_mT8_P12ihipStream_tbDpT10_ENKUlT_T0_E_clISt17integral_constantIbLb0EES1B_IbLb1EEEEDaS17_S18_EUlS17_E_NS1_11comp_targetILNS1_3genE8ELNS1_11target_archE1030ELNS1_3gpuE2ELNS1_3repE0EEENS1_30default_config_static_selectorELNS0_4arch9wavefront6targetE0EEEvT1_,"axG",@progbits,_ZN7rocprim17ROCPRIM_400000_NS6detail17trampoline_kernelINS0_14default_configENS1_25partition_config_selectorILNS1_17partition_subalgoE8ElNS0_10empty_typeEbEEZZNS1_14partition_implILS5_8ELb0ES3_jPlPS6_PKS6_NS0_5tupleIJS9_S6_EEENSD_IJSA_SA_EEENS0_18inequality_wrapperIZN2at6native12_GLOBAL__N_124unique_dim_cuda_templateIfEESt5tupleIJNSH_6TensorESM_SM_EERKSM_lbbbEUlllE0_EEPmJS6_EEE10hipError_tPvRmT3_T4_T5_T6_T7_T9_mT8_P12ihipStream_tbDpT10_ENKUlT_T0_E_clISt17integral_constantIbLb0EES1B_IbLb1EEEEDaS17_S18_EUlS17_E_NS1_11comp_targetILNS1_3genE8ELNS1_11target_archE1030ELNS1_3gpuE2ELNS1_3repE0EEENS1_30default_config_static_selectorELNS0_4arch9wavefront6targetE0EEEvT1_,comdat
.Lfunc_end960:
	.size	_ZN7rocprim17ROCPRIM_400000_NS6detail17trampoline_kernelINS0_14default_configENS1_25partition_config_selectorILNS1_17partition_subalgoE8ElNS0_10empty_typeEbEEZZNS1_14partition_implILS5_8ELb0ES3_jPlPS6_PKS6_NS0_5tupleIJS9_S6_EEENSD_IJSA_SA_EEENS0_18inequality_wrapperIZN2at6native12_GLOBAL__N_124unique_dim_cuda_templateIfEESt5tupleIJNSH_6TensorESM_SM_EERKSM_lbbbEUlllE0_EEPmJS6_EEE10hipError_tPvRmT3_T4_T5_T6_T7_T9_mT8_P12ihipStream_tbDpT10_ENKUlT_T0_E_clISt17integral_constantIbLb0EES1B_IbLb1EEEEDaS17_S18_EUlS17_E_NS1_11comp_targetILNS1_3genE8ELNS1_11target_archE1030ELNS1_3gpuE2ELNS1_3repE0EEENS1_30default_config_static_selectorELNS0_4arch9wavefront6targetE0EEEvT1_, .Lfunc_end960-_ZN7rocprim17ROCPRIM_400000_NS6detail17trampoline_kernelINS0_14default_configENS1_25partition_config_selectorILNS1_17partition_subalgoE8ElNS0_10empty_typeEbEEZZNS1_14partition_implILS5_8ELb0ES3_jPlPS6_PKS6_NS0_5tupleIJS9_S6_EEENSD_IJSA_SA_EEENS0_18inequality_wrapperIZN2at6native12_GLOBAL__N_124unique_dim_cuda_templateIfEESt5tupleIJNSH_6TensorESM_SM_EERKSM_lbbbEUlllE0_EEPmJS6_EEE10hipError_tPvRmT3_T4_T5_T6_T7_T9_mT8_P12ihipStream_tbDpT10_ENKUlT_T0_E_clISt17integral_constantIbLb0EES1B_IbLb1EEEEDaS17_S18_EUlS17_E_NS1_11comp_targetILNS1_3genE8ELNS1_11target_archE1030ELNS1_3gpuE2ELNS1_3repE0EEENS1_30default_config_static_selectorELNS0_4arch9wavefront6targetE0EEEvT1_
                                        ; -- End function
	.section	.AMDGPU.csdata,"",@progbits
; Kernel info:
; codeLenInByte = 0
; NumSgprs: 0
; NumVgprs: 0
; ScratchSize: 0
; MemoryBound: 0
; FloatMode: 240
; IeeeMode: 1
; LDSByteSize: 0 bytes/workgroup (compile time only)
; SGPRBlocks: 0
; VGPRBlocks: 0
; NumSGPRsForWavesPerEU: 1
; NumVGPRsForWavesPerEU: 1
; Occupancy: 16
; WaveLimiterHint : 0
; COMPUTE_PGM_RSRC2:SCRATCH_EN: 0
; COMPUTE_PGM_RSRC2:USER_SGPR: 15
; COMPUTE_PGM_RSRC2:TRAP_HANDLER: 0
; COMPUTE_PGM_RSRC2:TGID_X_EN: 1
; COMPUTE_PGM_RSRC2:TGID_Y_EN: 0
; COMPUTE_PGM_RSRC2:TGID_Z_EN: 0
; COMPUTE_PGM_RSRC2:TIDIG_COMP_CNT: 0
	.section	.text._ZN7rocprim17ROCPRIM_400000_NS6detail17trampoline_kernelINS0_14default_configENS1_25partition_config_selectorILNS1_17partition_subalgoE9EllbEEZZNS1_14partition_implILS5_9ELb0ES3_jPlS8_PNS0_10empty_typeENS0_5tupleIJS8_S9_EEENSB_IJS8_SA_EEENS0_18inequality_wrapperIZN2at6native12_GLOBAL__N_124unique_dim_cuda_templateIfEESt5tupleIJNSF_6TensorESK_SK_EERKSK_lbbbEUlllE0_EEPmJS9_EEE10hipError_tPvRmT3_T4_T5_T6_T7_T9_mT8_P12ihipStream_tbDpT10_ENKUlT_T0_E_clISt17integral_constantIbLb0EES1A_EEDaS15_S16_EUlS15_E_NS1_11comp_targetILNS1_3genE0ELNS1_11target_archE4294967295ELNS1_3gpuE0ELNS1_3repE0EEENS1_30default_config_static_selectorELNS0_4arch9wavefront6targetE0EEEvT1_,"axG",@progbits,_ZN7rocprim17ROCPRIM_400000_NS6detail17trampoline_kernelINS0_14default_configENS1_25partition_config_selectorILNS1_17partition_subalgoE9EllbEEZZNS1_14partition_implILS5_9ELb0ES3_jPlS8_PNS0_10empty_typeENS0_5tupleIJS8_S9_EEENSB_IJS8_SA_EEENS0_18inequality_wrapperIZN2at6native12_GLOBAL__N_124unique_dim_cuda_templateIfEESt5tupleIJNSF_6TensorESK_SK_EERKSK_lbbbEUlllE0_EEPmJS9_EEE10hipError_tPvRmT3_T4_T5_T6_T7_T9_mT8_P12ihipStream_tbDpT10_ENKUlT_T0_E_clISt17integral_constantIbLb0EES1A_EEDaS15_S16_EUlS15_E_NS1_11comp_targetILNS1_3genE0ELNS1_11target_archE4294967295ELNS1_3gpuE0ELNS1_3repE0EEENS1_30default_config_static_selectorELNS0_4arch9wavefront6targetE0EEEvT1_,comdat
	.globl	_ZN7rocprim17ROCPRIM_400000_NS6detail17trampoline_kernelINS0_14default_configENS1_25partition_config_selectorILNS1_17partition_subalgoE9EllbEEZZNS1_14partition_implILS5_9ELb0ES3_jPlS8_PNS0_10empty_typeENS0_5tupleIJS8_S9_EEENSB_IJS8_SA_EEENS0_18inequality_wrapperIZN2at6native12_GLOBAL__N_124unique_dim_cuda_templateIfEESt5tupleIJNSF_6TensorESK_SK_EERKSK_lbbbEUlllE0_EEPmJS9_EEE10hipError_tPvRmT3_T4_T5_T6_T7_T9_mT8_P12ihipStream_tbDpT10_ENKUlT_T0_E_clISt17integral_constantIbLb0EES1A_EEDaS15_S16_EUlS15_E_NS1_11comp_targetILNS1_3genE0ELNS1_11target_archE4294967295ELNS1_3gpuE0ELNS1_3repE0EEENS1_30default_config_static_selectorELNS0_4arch9wavefront6targetE0EEEvT1_ ; -- Begin function _ZN7rocprim17ROCPRIM_400000_NS6detail17trampoline_kernelINS0_14default_configENS1_25partition_config_selectorILNS1_17partition_subalgoE9EllbEEZZNS1_14partition_implILS5_9ELb0ES3_jPlS8_PNS0_10empty_typeENS0_5tupleIJS8_S9_EEENSB_IJS8_SA_EEENS0_18inequality_wrapperIZN2at6native12_GLOBAL__N_124unique_dim_cuda_templateIfEESt5tupleIJNSF_6TensorESK_SK_EERKSK_lbbbEUlllE0_EEPmJS9_EEE10hipError_tPvRmT3_T4_T5_T6_T7_T9_mT8_P12ihipStream_tbDpT10_ENKUlT_T0_E_clISt17integral_constantIbLb0EES1A_EEDaS15_S16_EUlS15_E_NS1_11comp_targetILNS1_3genE0ELNS1_11target_archE4294967295ELNS1_3gpuE0ELNS1_3repE0EEENS1_30default_config_static_selectorELNS0_4arch9wavefront6targetE0EEEvT1_
	.p2align	8
	.type	_ZN7rocprim17ROCPRIM_400000_NS6detail17trampoline_kernelINS0_14default_configENS1_25partition_config_selectorILNS1_17partition_subalgoE9EllbEEZZNS1_14partition_implILS5_9ELb0ES3_jPlS8_PNS0_10empty_typeENS0_5tupleIJS8_S9_EEENSB_IJS8_SA_EEENS0_18inequality_wrapperIZN2at6native12_GLOBAL__N_124unique_dim_cuda_templateIfEESt5tupleIJNSF_6TensorESK_SK_EERKSK_lbbbEUlllE0_EEPmJS9_EEE10hipError_tPvRmT3_T4_T5_T6_T7_T9_mT8_P12ihipStream_tbDpT10_ENKUlT_T0_E_clISt17integral_constantIbLb0EES1A_EEDaS15_S16_EUlS15_E_NS1_11comp_targetILNS1_3genE0ELNS1_11target_archE4294967295ELNS1_3gpuE0ELNS1_3repE0EEENS1_30default_config_static_selectorELNS0_4arch9wavefront6targetE0EEEvT1_,@function
_ZN7rocprim17ROCPRIM_400000_NS6detail17trampoline_kernelINS0_14default_configENS1_25partition_config_selectorILNS1_17partition_subalgoE9EllbEEZZNS1_14partition_implILS5_9ELb0ES3_jPlS8_PNS0_10empty_typeENS0_5tupleIJS8_S9_EEENSB_IJS8_SA_EEENS0_18inequality_wrapperIZN2at6native12_GLOBAL__N_124unique_dim_cuda_templateIfEESt5tupleIJNSF_6TensorESK_SK_EERKSK_lbbbEUlllE0_EEPmJS9_EEE10hipError_tPvRmT3_T4_T5_T6_T7_T9_mT8_P12ihipStream_tbDpT10_ENKUlT_T0_E_clISt17integral_constantIbLb0EES1A_EEDaS15_S16_EUlS15_E_NS1_11comp_targetILNS1_3genE0ELNS1_11target_archE4294967295ELNS1_3gpuE0ELNS1_3repE0EEENS1_30default_config_static_selectorELNS0_4arch9wavefront6targetE0EEEvT1_: ; @_ZN7rocprim17ROCPRIM_400000_NS6detail17trampoline_kernelINS0_14default_configENS1_25partition_config_selectorILNS1_17partition_subalgoE9EllbEEZZNS1_14partition_implILS5_9ELb0ES3_jPlS8_PNS0_10empty_typeENS0_5tupleIJS8_S9_EEENSB_IJS8_SA_EEENS0_18inequality_wrapperIZN2at6native12_GLOBAL__N_124unique_dim_cuda_templateIfEESt5tupleIJNSF_6TensorESK_SK_EERKSK_lbbbEUlllE0_EEPmJS9_EEE10hipError_tPvRmT3_T4_T5_T6_T7_T9_mT8_P12ihipStream_tbDpT10_ENKUlT_T0_E_clISt17integral_constantIbLb0EES1A_EEDaS15_S16_EUlS15_E_NS1_11comp_targetILNS1_3genE0ELNS1_11target_archE4294967295ELNS1_3gpuE0ELNS1_3repE0EEENS1_30default_config_static_selectorELNS0_4arch9wavefront6targetE0EEEvT1_
; %bb.0:
	.section	.rodata,"a",@progbits
	.p2align	6, 0x0
	.amdhsa_kernel _ZN7rocprim17ROCPRIM_400000_NS6detail17trampoline_kernelINS0_14default_configENS1_25partition_config_selectorILNS1_17partition_subalgoE9EllbEEZZNS1_14partition_implILS5_9ELb0ES3_jPlS8_PNS0_10empty_typeENS0_5tupleIJS8_S9_EEENSB_IJS8_SA_EEENS0_18inequality_wrapperIZN2at6native12_GLOBAL__N_124unique_dim_cuda_templateIfEESt5tupleIJNSF_6TensorESK_SK_EERKSK_lbbbEUlllE0_EEPmJS9_EEE10hipError_tPvRmT3_T4_T5_T6_T7_T9_mT8_P12ihipStream_tbDpT10_ENKUlT_T0_E_clISt17integral_constantIbLb0EES1A_EEDaS15_S16_EUlS15_E_NS1_11comp_targetILNS1_3genE0ELNS1_11target_archE4294967295ELNS1_3gpuE0ELNS1_3repE0EEENS1_30default_config_static_selectorELNS0_4arch9wavefront6targetE0EEEvT1_
		.amdhsa_group_segment_fixed_size 0
		.amdhsa_private_segment_fixed_size 0
		.amdhsa_kernarg_size 120
		.amdhsa_user_sgpr_count 15
		.amdhsa_user_sgpr_dispatch_ptr 0
		.amdhsa_user_sgpr_queue_ptr 0
		.amdhsa_user_sgpr_kernarg_segment_ptr 1
		.amdhsa_user_sgpr_dispatch_id 0
		.amdhsa_user_sgpr_private_segment_size 0
		.amdhsa_wavefront_size32 1
		.amdhsa_uses_dynamic_stack 0
		.amdhsa_enable_private_segment 0
		.amdhsa_system_sgpr_workgroup_id_x 1
		.amdhsa_system_sgpr_workgroup_id_y 0
		.amdhsa_system_sgpr_workgroup_id_z 0
		.amdhsa_system_sgpr_workgroup_info 0
		.amdhsa_system_vgpr_workitem_id 0
		.amdhsa_next_free_vgpr 1
		.amdhsa_next_free_sgpr 1
		.amdhsa_reserve_vcc 0
		.amdhsa_float_round_mode_32 0
		.amdhsa_float_round_mode_16_64 0
		.amdhsa_float_denorm_mode_32 3
		.amdhsa_float_denorm_mode_16_64 3
		.amdhsa_dx10_clamp 1
		.amdhsa_ieee_mode 1
		.amdhsa_fp16_overflow 0
		.amdhsa_workgroup_processor_mode 1
		.amdhsa_memory_ordered 1
		.amdhsa_forward_progress 0
		.amdhsa_shared_vgpr_count 0
		.amdhsa_exception_fp_ieee_invalid_op 0
		.amdhsa_exception_fp_denorm_src 0
		.amdhsa_exception_fp_ieee_div_zero 0
		.amdhsa_exception_fp_ieee_overflow 0
		.amdhsa_exception_fp_ieee_underflow 0
		.amdhsa_exception_fp_ieee_inexact 0
		.amdhsa_exception_int_div_zero 0
	.end_amdhsa_kernel
	.section	.text._ZN7rocprim17ROCPRIM_400000_NS6detail17trampoline_kernelINS0_14default_configENS1_25partition_config_selectorILNS1_17partition_subalgoE9EllbEEZZNS1_14partition_implILS5_9ELb0ES3_jPlS8_PNS0_10empty_typeENS0_5tupleIJS8_S9_EEENSB_IJS8_SA_EEENS0_18inequality_wrapperIZN2at6native12_GLOBAL__N_124unique_dim_cuda_templateIfEESt5tupleIJNSF_6TensorESK_SK_EERKSK_lbbbEUlllE0_EEPmJS9_EEE10hipError_tPvRmT3_T4_T5_T6_T7_T9_mT8_P12ihipStream_tbDpT10_ENKUlT_T0_E_clISt17integral_constantIbLb0EES1A_EEDaS15_S16_EUlS15_E_NS1_11comp_targetILNS1_3genE0ELNS1_11target_archE4294967295ELNS1_3gpuE0ELNS1_3repE0EEENS1_30default_config_static_selectorELNS0_4arch9wavefront6targetE0EEEvT1_,"axG",@progbits,_ZN7rocprim17ROCPRIM_400000_NS6detail17trampoline_kernelINS0_14default_configENS1_25partition_config_selectorILNS1_17partition_subalgoE9EllbEEZZNS1_14partition_implILS5_9ELb0ES3_jPlS8_PNS0_10empty_typeENS0_5tupleIJS8_S9_EEENSB_IJS8_SA_EEENS0_18inequality_wrapperIZN2at6native12_GLOBAL__N_124unique_dim_cuda_templateIfEESt5tupleIJNSF_6TensorESK_SK_EERKSK_lbbbEUlllE0_EEPmJS9_EEE10hipError_tPvRmT3_T4_T5_T6_T7_T9_mT8_P12ihipStream_tbDpT10_ENKUlT_T0_E_clISt17integral_constantIbLb0EES1A_EEDaS15_S16_EUlS15_E_NS1_11comp_targetILNS1_3genE0ELNS1_11target_archE4294967295ELNS1_3gpuE0ELNS1_3repE0EEENS1_30default_config_static_selectorELNS0_4arch9wavefront6targetE0EEEvT1_,comdat
.Lfunc_end961:
	.size	_ZN7rocprim17ROCPRIM_400000_NS6detail17trampoline_kernelINS0_14default_configENS1_25partition_config_selectorILNS1_17partition_subalgoE9EllbEEZZNS1_14partition_implILS5_9ELb0ES3_jPlS8_PNS0_10empty_typeENS0_5tupleIJS8_S9_EEENSB_IJS8_SA_EEENS0_18inequality_wrapperIZN2at6native12_GLOBAL__N_124unique_dim_cuda_templateIfEESt5tupleIJNSF_6TensorESK_SK_EERKSK_lbbbEUlllE0_EEPmJS9_EEE10hipError_tPvRmT3_T4_T5_T6_T7_T9_mT8_P12ihipStream_tbDpT10_ENKUlT_T0_E_clISt17integral_constantIbLb0EES1A_EEDaS15_S16_EUlS15_E_NS1_11comp_targetILNS1_3genE0ELNS1_11target_archE4294967295ELNS1_3gpuE0ELNS1_3repE0EEENS1_30default_config_static_selectorELNS0_4arch9wavefront6targetE0EEEvT1_, .Lfunc_end961-_ZN7rocprim17ROCPRIM_400000_NS6detail17trampoline_kernelINS0_14default_configENS1_25partition_config_selectorILNS1_17partition_subalgoE9EllbEEZZNS1_14partition_implILS5_9ELb0ES3_jPlS8_PNS0_10empty_typeENS0_5tupleIJS8_S9_EEENSB_IJS8_SA_EEENS0_18inequality_wrapperIZN2at6native12_GLOBAL__N_124unique_dim_cuda_templateIfEESt5tupleIJNSF_6TensorESK_SK_EERKSK_lbbbEUlllE0_EEPmJS9_EEE10hipError_tPvRmT3_T4_T5_T6_T7_T9_mT8_P12ihipStream_tbDpT10_ENKUlT_T0_E_clISt17integral_constantIbLb0EES1A_EEDaS15_S16_EUlS15_E_NS1_11comp_targetILNS1_3genE0ELNS1_11target_archE4294967295ELNS1_3gpuE0ELNS1_3repE0EEENS1_30default_config_static_selectorELNS0_4arch9wavefront6targetE0EEEvT1_
                                        ; -- End function
	.section	.AMDGPU.csdata,"",@progbits
; Kernel info:
; codeLenInByte = 0
; NumSgprs: 0
; NumVgprs: 0
; ScratchSize: 0
; MemoryBound: 0
; FloatMode: 240
; IeeeMode: 1
; LDSByteSize: 0 bytes/workgroup (compile time only)
; SGPRBlocks: 0
; VGPRBlocks: 0
; NumSGPRsForWavesPerEU: 1
; NumVGPRsForWavesPerEU: 1
; Occupancy: 16
; WaveLimiterHint : 0
; COMPUTE_PGM_RSRC2:SCRATCH_EN: 0
; COMPUTE_PGM_RSRC2:USER_SGPR: 15
; COMPUTE_PGM_RSRC2:TRAP_HANDLER: 0
; COMPUTE_PGM_RSRC2:TGID_X_EN: 1
; COMPUTE_PGM_RSRC2:TGID_Y_EN: 0
; COMPUTE_PGM_RSRC2:TGID_Z_EN: 0
; COMPUTE_PGM_RSRC2:TIDIG_COMP_CNT: 0
	.section	.text._ZN7rocprim17ROCPRIM_400000_NS6detail17trampoline_kernelINS0_14default_configENS1_25partition_config_selectorILNS1_17partition_subalgoE9EllbEEZZNS1_14partition_implILS5_9ELb0ES3_jPlS8_PNS0_10empty_typeENS0_5tupleIJS8_S9_EEENSB_IJS8_SA_EEENS0_18inequality_wrapperIZN2at6native12_GLOBAL__N_124unique_dim_cuda_templateIfEESt5tupleIJNSF_6TensorESK_SK_EERKSK_lbbbEUlllE0_EEPmJS9_EEE10hipError_tPvRmT3_T4_T5_T6_T7_T9_mT8_P12ihipStream_tbDpT10_ENKUlT_T0_E_clISt17integral_constantIbLb0EES1A_EEDaS15_S16_EUlS15_E_NS1_11comp_targetILNS1_3genE5ELNS1_11target_archE942ELNS1_3gpuE9ELNS1_3repE0EEENS1_30default_config_static_selectorELNS0_4arch9wavefront6targetE0EEEvT1_,"axG",@progbits,_ZN7rocprim17ROCPRIM_400000_NS6detail17trampoline_kernelINS0_14default_configENS1_25partition_config_selectorILNS1_17partition_subalgoE9EllbEEZZNS1_14partition_implILS5_9ELb0ES3_jPlS8_PNS0_10empty_typeENS0_5tupleIJS8_S9_EEENSB_IJS8_SA_EEENS0_18inequality_wrapperIZN2at6native12_GLOBAL__N_124unique_dim_cuda_templateIfEESt5tupleIJNSF_6TensorESK_SK_EERKSK_lbbbEUlllE0_EEPmJS9_EEE10hipError_tPvRmT3_T4_T5_T6_T7_T9_mT8_P12ihipStream_tbDpT10_ENKUlT_T0_E_clISt17integral_constantIbLb0EES1A_EEDaS15_S16_EUlS15_E_NS1_11comp_targetILNS1_3genE5ELNS1_11target_archE942ELNS1_3gpuE9ELNS1_3repE0EEENS1_30default_config_static_selectorELNS0_4arch9wavefront6targetE0EEEvT1_,comdat
	.globl	_ZN7rocprim17ROCPRIM_400000_NS6detail17trampoline_kernelINS0_14default_configENS1_25partition_config_selectorILNS1_17partition_subalgoE9EllbEEZZNS1_14partition_implILS5_9ELb0ES3_jPlS8_PNS0_10empty_typeENS0_5tupleIJS8_S9_EEENSB_IJS8_SA_EEENS0_18inequality_wrapperIZN2at6native12_GLOBAL__N_124unique_dim_cuda_templateIfEESt5tupleIJNSF_6TensorESK_SK_EERKSK_lbbbEUlllE0_EEPmJS9_EEE10hipError_tPvRmT3_T4_T5_T6_T7_T9_mT8_P12ihipStream_tbDpT10_ENKUlT_T0_E_clISt17integral_constantIbLb0EES1A_EEDaS15_S16_EUlS15_E_NS1_11comp_targetILNS1_3genE5ELNS1_11target_archE942ELNS1_3gpuE9ELNS1_3repE0EEENS1_30default_config_static_selectorELNS0_4arch9wavefront6targetE0EEEvT1_ ; -- Begin function _ZN7rocprim17ROCPRIM_400000_NS6detail17trampoline_kernelINS0_14default_configENS1_25partition_config_selectorILNS1_17partition_subalgoE9EllbEEZZNS1_14partition_implILS5_9ELb0ES3_jPlS8_PNS0_10empty_typeENS0_5tupleIJS8_S9_EEENSB_IJS8_SA_EEENS0_18inequality_wrapperIZN2at6native12_GLOBAL__N_124unique_dim_cuda_templateIfEESt5tupleIJNSF_6TensorESK_SK_EERKSK_lbbbEUlllE0_EEPmJS9_EEE10hipError_tPvRmT3_T4_T5_T6_T7_T9_mT8_P12ihipStream_tbDpT10_ENKUlT_T0_E_clISt17integral_constantIbLb0EES1A_EEDaS15_S16_EUlS15_E_NS1_11comp_targetILNS1_3genE5ELNS1_11target_archE942ELNS1_3gpuE9ELNS1_3repE0EEENS1_30default_config_static_selectorELNS0_4arch9wavefront6targetE0EEEvT1_
	.p2align	8
	.type	_ZN7rocprim17ROCPRIM_400000_NS6detail17trampoline_kernelINS0_14default_configENS1_25partition_config_selectorILNS1_17partition_subalgoE9EllbEEZZNS1_14partition_implILS5_9ELb0ES3_jPlS8_PNS0_10empty_typeENS0_5tupleIJS8_S9_EEENSB_IJS8_SA_EEENS0_18inequality_wrapperIZN2at6native12_GLOBAL__N_124unique_dim_cuda_templateIfEESt5tupleIJNSF_6TensorESK_SK_EERKSK_lbbbEUlllE0_EEPmJS9_EEE10hipError_tPvRmT3_T4_T5_T6_T7_T9_mT8_P12ihipStream_tbDpT10_ENKUlT_T0_E_clISt17integral_constantIbLb0EES1A_EEDaS15_S16_EUlS15_E_NS1_11comp_targetILNS1_3genE5ELNS1_11target_archE942ELNS1_3gpuE9ELNS1_3repE0EEENS1_30default_config_static_selectorELNS0_4arch9wavefront6targetE0EEEvT1_,@function
_ZN7rocprim17ROCPRIM_400000_NS6detail17trampoline_kernelINS0_14default_configENS1_25partition_config_selectorILNS1_17partition_subalgoE9EllbEEZZNS1_14partition_implILS5_9ELb0ES3_jPlS8_PNS0_10empty_typeENS0_5tupleIJS8_S9_EEENSB_IJS8_SA_EEENS0_18inequality_wrapperIZN2at6native12_GLOBAL__N_124unique_dim_cuda_templateIfEESt5tupleIJNSF_6TensorESK_SK_EERKSK_lbbbEUlllE0_EEPmJS9_EEE10hipError_tPvRmT3_T4_T5_T6_T7_T9_mT8_P12ihipStream_tbDpT10_ENKUlT_T0_E_clISt17integral_constantIbLb0EES1A_EEDaS15_S16_EUlS15_E_NS1_11comp_targetILNS1_3genE5ELNS1_11target_archE942ELNS1_3gpuE9ELNS1_3repE0EEENS1_30default_config_static_selectorELNS0_4arch9wavefront6targetE0EEEvT1_: ; @_ZN7rocprim17ROCPRIM_400000_NS6detail17trampoline_kernelINS0_14default_configENS1_25partition_config_selectorILNS1_17partition_subalgoE9EllbEEZZNS1_14partition_implILS5_9ELb0ES3_jPlS8_PNS0_10empty_typeENS0_5tupleIJS8_S9_EEENSB_IJS8_SA_EEENS0_18inequality_wrapperIZN2at6native12_GLOBAL__N_124unique_dim_cuda_templateIfEESt5tupleIJNSF_6TensorESK_SK_EERKSK_lbbbEUlllE0_EEPmJS9_EEE10hipError_tPvRmT3_T4_T5_T6_T7_T9_mT8_P12ihipStream_tbDpT10_ENKUlT_T0_E_clISt17integral_constantIbLb0EES1A_EEDaS15_S16_EUlS15_E_NS1_11comp_targetILNS1_3genE5ELNS1_11target_archE942ELNS1_3gpuE9ELNS1_3repE0EEENS1_30default_config_static_selectorELNS0_4arch9wavefront6targetE0EEEvT1_
; %bb.0:
	.section	.rodata,"a",@progbits
	.p2align	6, 0x0
	.amdhsa_kernel _ZN7rocprim17ROCPRIM_400000_NS6detail17trampoline_kernelINS0_14default_configENS1_25partition_config_selectorILNS1_17partition_subalgoE9EllbEEZZNS1_14partition_implILS5_9ELb0ES3_jPlS8_PNS0_10empty_typeENS0_5tupleIJS8_S9_EEENSB_IJS8_SA_EEENS0_18inequality_wrapperIZN2at6native12_GLOBAL__N_124unique_dim_cuda_templateIfEESt5tupleIJNSF_6TensorESK_SK_EERKSK_lbbbEUlllE0_EEPmJS9_EEE10hipError_tPvRmT3_T4_T5_T6_T7_T9_mT8_P12ihipStream_tbDpT10_ENKUlT_T0_E_clISt17integral_constantIbLb0EES1A_EEDaS15_S16_EUlS15_E_NS1_11comp_targetILNS1_3genE5ELNS1_11target_archE942ELNS1_3gpuE9ELNS1_3repE0EEENS1_30default_config_static_selectorELNS0_4arch9wavefront6targetE0EEEvT1_
		.amdhsa_group_segment_fixed_size 0
		.amdhsa_private_segment_fixed_size 0
		.amdhsa_kernarg_size 120
		.amdhsa_user_sgpr_count 15
		.amdhsa_user_sgpr_dispatch_ptr 0
		.amdhsa_user_sgpr_queue_ptr 0
		.amdhsa_user_sgpr_kernarg_segment_ptr 1
		.amdhsa_user_sgpr_dispatch_id 0
		.amdhsa_user_sgpr_private_segment_size 0
		.amdhsa_wavefront_size32 1
		.amdhsa_uses_dynamic_stack 0
		.amdhsa_enable_private_segment 0
		.amdhsa_system_sgpr_workgroup_id_x 1
		.amdhsa_system_sgpr_workgroup_id_y 0
		.amdhsa_system_sgpr_workgroup_id_z 0
		.amdhsa_system_sgpr_workgroup_info 0
		.amdhsa_system_vgpr_workitem_id 0
		.amdhsa_next_free_vgpr 1
		.amdhsa_next_free_sgpr 1
		.amdhsa_reserve_vcc 0
		.amdhsa_float_round_mode_32 0
		.amdhsa_float_round_mode_16_64 0
		.amdhsa_float_denorm_mode_32 3
		.amdhsa_float_denorm_mode_16_64 3
		.amdhsa_dx10_clamp 1
		.amdhsa_ieee_mode 1
		.amdhsa_fp16_overflow 0
		.amdhsa_workgroup_processor_mode 1
		.amdhsa_memory_ordered 1
		.amdhsa_forward_progress 0
		.amdhsa_shared_vgpr_count 0
		.amdhsa_exception_fp_ieee_invalid_op 0
		.amdhsa_exception_fp_denorm_src 0
		.amdhsa_exception_fp_ieee_div_zero 0
		.amdhsa_exception_fp_ieee_overflow 0
		.amdhsa_exception_fp_ieee_underflow 0
		.amdhsa_exception_fp_ieee_inexact 0
		.amdhsa_exception_int_div_zero 0
	.end_amdhsa_kernel
	.section	.text._ZN7rocprim17ROCPRIM_400000_NS6detail17trampoline_kernelINS0_14default_configENS1_25partition_config_selectorILNS1_17partition_subalgoE9EllbEEZZNS1_14partition_implILS5_9ELb0ES3_jPlS8_PNS0_10empty_typeENS0_5tupleIJS8_S9_EEENSB_IJS8_SA_EEENS0_18inequality_wrapperIZN2at6native12_GLOBAL__N_124unique_dim_cuda_templateIfEESt5tupleIJNSF_6TensorESK_SK_EERKSK_lbbbEUlllE0_EEPmJS9_EEE10hipError_tPvRmT3_T4_T5_T6_T7_T9_mT8_P12ihipStream_tbDpT10_ENKUlT_T0_E_clISt17integral_constantIbLb0EES1A_EEDaS15_S16_EUlS15_E_NS1_11comp_targetILNS1_3genE5ELNS1_11target_archE942ELNS1_3gpuE9ELNS1_3repE0EEENS1_30default_config_static_selectorELNS0_4arch9wavefront6targetE0EEEvT1_,"axG",@progbits,_ZN7rocprim17ROCPRIM_400000_NS6detail17trampoline_kernelINS0_14default_configENS1_25partition_config_selectorILNS1_17partition_subalgoE9EllbEEZZNS1_14partition_implILS5_9ELb0ES3_jPlS8_PNS0_10empty_typeENS0_5tupleIJS8_S9_EEENSB_IJS8_SA_EEENS0_18inequality_wrapperIZN2at6native12_GLOBAL__N_124unique_dim_cuda_templateIfEESt5tupleIJNSF_6TensorESK_SK_EERKSK_lbbbEUlllE0_EEPmJS9_EEE10hipError_tPvRmT3_T4_T5_T6_T7_T9_mT8_P12ihipStream_tbDpT10_ENKUlT_T0_E_clISt17integral_constantIbLb0EES1A_EEDaS15_S16_EUlS15_E_NS1_11comp_targetILNS1_3genE5ELNS1_11target_archE942ELNS1_3gpuE9ELNS1_3repE0EEENS1_30default_config_static_selectorELNS0_4arch9wavefront6targetE0EEEvT1_,comdat
.Lfunc_end962:
	.size	_ZN7rocprim17ROCPRIM_400000_NS6detail17trampoline_kernelINS0_14default_configENS1_25partition_config_selectorILNS1_17partition_subalgoE9EllbEEZZNS1_14partition_implILS5_9ELb0ES3_jPlS8_PNS0_10empty_typeENS0_5tupleIJS8_S9_EEENSB_IJS8_SA_EEENS0_18inequality_wrapperIZN2at6native12_GLOBAL__N_124unique_dim_cuda_templateIfEESt5tupleIJNSF_6TensorESK_SK_EERKSK_lbbbEUlllE0_EEPmJS9_EEE10hipError_tPvRmT3_T4_T5_T6_T7_T9_mT8_P12ihipStream_tbDpT10_ENKUlT_T0_E_clISt17integral_constantIbLb0EES1A_EEDaS15_S16_EUlS15_E_NS1_11comp_targetILNS1_3genE5ELNS1_11target_archE942ELNS1_3gpuE9ELNS1_3repE0EEENS1_30default_config_static_selectorELNS0_4arch9wavefront6targetE0EEEvT1_, .Lfunc_end962-_ZN7rocprim17ROCPRIM_400000_NS6detail17trampoline_kernelINS0_14default_configENS1_25partition_config_selectorILNS1_17partition_subalgoE9EllbEEZZNS1_14partition_implILS5_9ELb0ES3_jPlS8_PNS0_10empty_typeENS0_5tupleIJS8_S9_EEENSB_IJS8_SA_EEENS0_18inequality_wrapperIZN2at6native12_GLOBAL__N_124unique_dim_cuda_templateIfEESt5tupleIJNSF_6TensorESK_SK_EERKSK_lbbbEUlllE0_EEPmJS9_EEE10hipError_tPvRmT3_T4_T5_T6_T7_T9_mT8_P12ihipStream_tbDpT10_ENKUlT_T0_E_clISt17integral_constantIbLb0EES1A_EEDaS15_S16_EUlS15_E_NS1_11comp_targetILNS1_3genE5ELNS1_11target_archE942ELNS1_3gpuE9ELNS1_3repE0EEENS1_30default_config_static_selectorELNS0_4arch9wavefront6targetE0EEEvT1_
                                        ; -- End function
	.section	.AMDGPU.csdata,"",@progbits
; Kernel info:
; codeLenInByte = 0
; NumSgprs: 0
; NumVgprs: 0
; ScratchSize: 0
; MemoryBound: 0
; FloatMode: 240
; IeeeMode: 1
; LDSByteSize: 0 bytes/workgroup (compile time only)
; SGPRBlocks: 0
; VGPRBlocks: 0
; NumSGPRsForWavesPerEU: 1
; NumVGPRsForWavesPerEU: 1
; Occupancy: 16
; WaveLimiterHint : 0
; COMPUTE_PGM_RSRC2:SCRATCH_EN: 0
; COMPUTE_PGM_RSRC2:USER_SGPR: 15
; COMPUTE_PGM_RSRC2:TRAP_HANDLER: 0
; COMPUTE_PGM_RSRC2:TGID_X_EN: 1
; COMPUTE_PGM_RSRC2:TGID_Y_EN: 0
; COMPUTE_PGM_RSRC2:TGID_Z_EN: 0
; COMPUTE_PGM_RSRC2:TIDIG_COMP_CNT: 0
	.section	.text._ZN7rocprim17ROCPRIM_400000_NS6detail17trampoline_kernelINS0_14default_configENS1_25partition_config_selectorILNS1_17partition_subalgoE9EllbEEZZNS1_14partition_implILS5_9ELb0ES3_jPlS8_PNS0_10empty_typeENS0_5tupleIJS8_S9_EEENSB_IJS8_SA_EEENS0_18inequality_wrapperIZN2at6native12_GLOBAL__N_124unique_dim_cuda_templateIfEESt5tupleIJNSF_6TensorESK_SK_EERKSK_lbbbEUlllE0_EEPmJS9_EEE10hipError_tPvRmT3_T4_T5_T6_T7_T9_mT8_P12ihipStream_tbDpT10_ENKUlT_T0_E_clISt17integral_constantIbLb0EES1A_EEDaS15_S16_EUlS15_E_NS1_11comp_targetILNS1_3genE4ELNS1_11target_archE910ELNS1_3gpuE8ELNS1_3repE0EEENS1_30default_config_static_selectorELNS0_4arch9wavefront6targetE0EEEvT1_,"axG",@progbits,_ZN7rocprim17ROCPRIM_400000_NS6detail17trampoline_kernelINS0_14default_configENS1_25partition_config_selectorILNS1_17partition_subalgoE9EllbEEZZNS1_14partition_implILS5_9ELb0ES3_jPlS8_PNS0_10empty_typeENS0_5tupleIJS8_S9_EEENSB_IJS8_SA_EEENS0_18inequality_wrapperIZN2at6native12_GLOBAL__N_124unique_dim_cuda_templateIfEESt5tupleIJNSF_6TensorESK_SK_EERKSK_lbbbEUlllE0_EEPmJS9_EEE10hipError_tPvRmT3_T4_T5_T6_T7_T9_mT8_P12ihipStream_tbDpT10_ENKUlT_T0_E_clISt17integral_constantIbLb0EES1A_EEDaS15_S16_EUlS15_E_NS1_11comp_targetILNS1_3genE4ELNS1_11target_archE910ELNS1_3gpuE8ELNS1_3repE0EEENS1_30default_config_static_selectorELNS0_4arch9wavefront6targetE0EEEvT1_,comdat
	.globl	_ZN7rocprim17ROCPRIM_400000_NS6detail17trampoline_kernelINS0_14default_configENS1_25partition_config_selectorILNS1_17partition_subalgoE9EllbEEZZNS1_14partition_implILS5_9ELb0ES3_jPlS8_PNS0_10empty_typeENS0_5tupleIJS8_S9_EEENSB_IJS8_SA_EEENS0_18inequality_wrapperIZN2at6native12_GLOBAL__N_124unique_dim_cuda_templateIfEESt5tupleIJNSF_6TensorESK_SK_EERKSK_lbbbEUlllE0_EEPmJS9_EEE10hipError_tPvRmT3_T4_T5_T6_T7_T9_mT8_P12ihipStream_tbDpT10_ENKUlT_T0_E_clISt17integral_constantIbLb0EES1A_EEDaS15_S16_EUlS15_E_NS1_11comp_targetILNS1_3genE4ELNS1_11target_archE910ELNS1_3gpuE8ELNS1_3repE0EEENS1_30default_config_static_selectorELNS0_4arch9wavefront6targetE0EEEvT1_ ; -- Begin function _ZN7rocprim17ROCPRIM_400000_NS6detail17trampoline_kernelINS0_14default_configENS1_25partition_config_selectorILNS1_17partition_subalgoE9EllbEEZZNS1_14partition_implILS5_9ELb0ES3_jPlS8_PNS0_10empty_typeENS0_5tupleIJS8_S9_EEENSB_IJS8_SA_EEENS0_18inequality_wrapperIZN2at6native12_GLOBAL__N_124unique_dim_cuda_templateIfEESt5tupleIJNSF_6TensorESK_SK_EERKSK_lbbbEUlllE0_EEPmJS9_EEE10hipError_tPvRmT3_T4_T5_T6_T7_T9_mT8_P12ihipStream_tbDpT10_ENKUlT_T0_E_clISt17integral_constantIbLb0EES1A_EEDaS15_S16_EUlS15_E_NS1_11comp_targetILNS1_3genE4ELNS1_11target_archE910ELNS1_3gpuE8ELNS1_3repE0EEENS1_30default_config_static_selectorELNS0_4arch9wavefront6targetE0EEEvT1_
	.p2align	8
	.type	_ZN7rocprim17ROCPRIM_400000_NS6detail17trampoline_kernelINS0_14default_configENS1_25partition_config_selectorILNS1_17partition_subalgoE9EllbEEZZNS1_14partition_implILS5_9ELb0ES3_jPlS8_PNS0_10empty_typeENS0_5tupleIJS8_S9_EEENSB_IJS8_SA_EEENS0_18inequality_wrapperIZN2at6native12_GLOBAL__N_124unique_dim_cuda_templateIfEESt5tupleIJNSF_6TensorESK_SK_EERKSK_lbbbEUlllE0_EEPmJS9_EEE10hipError_tPvRmT3_T4_T5_T6_T7_T9_mT8_P12ihipStream_tbDpT10_ENKUlT_T0_E_clISt17integral_constantIbLb0EES1A_EEDaS15_S16_EUlS15_E_NS1_11comp_targetILNS1_3genE4ELNS1_11target_archE910ELNS1_3gpuE8ELNS1_3repE0EEENS1_30default_config_static_selectorELNS0_4arch9wavefront6targetE0EEEvT1_,@function
_ZN7rocprim17ROCPRIM_400000_NS6detail17trampoline_kernelINS0_14default_configENS1_25partition_config_selectorILNS1_17partition_subalgoE9EllbEEZZNS1_14partition_implILS5_9ELb0ES3_jPlS8_PNS0_10empty_typeENS0_5tupleIJS8_S9_EEENSB_IJS8_SA_EEENS0_18inequality_wrapperIZN2at6native12_GLOBAL__N_124unique_dim_cuda_templateIfEESt5tupleIJNSF_6TensorESK_SK_EERKSK_lbbbEUlllE0_EEPmJS9_EEE10hipError_tPvRmT3_T4_T5_T6_T7_T9_mT8_P12ihipStream_tbDpT10_ENKUlT_T0_E_clISt17integral_constantIbLb0EES1A_EEDaS15_S16_EUlS15_E_NS1_11comp_targetILNS1_3genE4ELNS1_11target_archE910ELNS1_3gpuE8ELNS1_3repE0EEENS1_30default_config_static_selectorELNS0_4arch9wavefront6targetE0EEEvT1_: ; @_ZN7rocprim17ROCPRIM_400000_NS6detail17trampoline_kernelINS0_14default_configENS1_25partition_config_selectorILNS1_17partition_subalgoE9EllbEEZZNS1_14partition_implILS5_9ELb0ES3_jPlS8_PNS0_10empty_typeENS0_5tupleIJS8_S9_EEENSB_IJS8_SA_EEENS0_18inequality_wrapperIZN2at6native12_GLOBAL__N_124unique_dim_cuda_templateIfEESt5tupleIJNSF_6TensorESK_SK_EERKSK_lbbbEUlllE0_EEPmJS9_EEE10hipError_tPvRmT3_T4_T5_T6_T7_T9_mT8_P12ihipStream_tbDpT10_ENKUlT_T0_E_clISt17integral_constantIbLb0EES1A_EEDaS15_S16_EUlS15_E_NS1_11comp_targetILNS1_3genE4ELNS1_11target_archE910ELNS1_3gpuE8ELNS1_3repE0EEENS1_30default_config_static_selectorELNS0_4arch9wavefront6targetE0EEEvT1_
; %bb.0:
	.section	.rodata,"a",@progbits
	.p2align	6, 0x0
	.amdhsa_kernel _ZN7rocprim17ROCPRIM_400000_NS6detail17trampoline_kernelINS0_14default_configENS1_25partition_config_selectorILNS1_17partition_subalgoE9EllbEEZZNS1_14partition_implILS5_9ELb0ES3_jPlS8_PNS0_10empty_typeENS0_5tupleIJS8_S9_EEENSB_IJS8_SA_EEENS0_18inequality_wrapperIZN2at6native12_GLOBAL__N_124unique_dim_cuda_templateIfEESt5tupleIJNSF_6TensorESK_SK_EERKSK_lbbbEUlllE0_EEPmJS9_EEE10hipError_tPvRmT3_T4_T5_T6_T7_T9_mT8_P12ihipStream_tbDpT10_ENKUlT_T0_E_clISt17integral_constantIbLb0EES1A_EEDaS15_S16_EUlS15_E_NS1_11comp_targetILNS1_3genE4ELNS1_11target_archE910ELNS1_3gpuE8ELNS1_3repE0EEENS1_30default_config_static_selectorELNS0_4arch9wavefront6targetE0EEEvT1_
		.amdhsa_group_segment_fixed_size 0
		.amdhsa_private_segment_fixed_size 0
		.amdhsa_kernarg_size 120
		.amdhsa_user_sgpr_count 15
		.amdhsa_user_sgpr_dispatch_ptr 0
		.amdhsa_user_sgpr_queue_ptr 0
		.amdhsa_user_sgpr_kernarg_segment_ptr 1
		.amdhsa_user_sgpr_dispatch_id 0
		.amdhsa_user_sgpr_private_segment_size 0
		.amdhsa_wavefront_size32 1
		.amdhsa_uses_dynamic_stack 0
		.amdhsa_enable_private_segment 0
		.amdhsa_system_sgpr_workgroup_id_x 1
		.amdhsa_system_sgpr_workgroup_id_y 0
		.amdhsa_system_sgpr_workgroup_id_z 0
		.amdhsa_system_sgpr_workgroup_info 0
		.amdhsa_system_vgpr_workitem_id 0
		.amdhsa_next_free_vgpr 1
		.amdhsa_next_free_sgpr 1
		.amdhsa_reserve_vcc 0
		.amdhsa_float_round_mode_32 0
		.amdhsa_float_round_mode_16_64 0
		.amdhsa_float_denorm_mode_32 3
		.amdhsa_float_denorm_mode_16_64 3
		.amdhsa_dx10_clamp 1
		.amdhsa_ieee_mode 1
		.amdhsa_fp16_overflow 0
		.amdhsa_workgroup_processor_mode 1
		.amdhsa_memory_ordered 1
		.amdhsa_forward_progress 0
		.amdhsa_shared_vgpr_count 0
		.amdhsa_exception_fp_ieee_invalid_op 0
		.amdhsa_exception_fp_denorm_src 0
		.amdhsa_exception_fp_ieee_div_zero 0
		.amdhsa_exception_fp_ieee_overflow 0
		.amdhsa_exception_fp_ieee_underflow 0
		.amdhsa_exception_fp_ieee_inexact 0
		.amdhsa_exception_int_div_zero 0
	.end_amdhsa_kernel
	.section	.text._ZN7rocprim17ROCPRIM_400000_NS6detail17trampoline_kernelINS0_14default_configENS1_25partition_config_selectorILNS1_17partition_subalgoE9EllbEEZZNS1_14partition_implILS5_9ELb0ES3_jPlS8_PNS0_10empty_typeENS0_5tupleIJS8_S9_EEENSB_IJS8_SA_EEENS0_18inequality_wrapperIZN2at6native12_GLOBAL__N_124unique_dim_cuda_templateIfEESt5tupleIJNSF_6TensorESK_SK_EERKSK_lbbbEUlllE0_EEPmJS9_EEE10hipError_tPvRmT3_T4_T5_T6_T7_T9_mT8_P12ihipStream_tbDpT10_ENKUlT_T0_E_clISt17integral_constantIbLb0EES1A_EEDaS15_S16_EUlS15_E_NS1_11comp_targetILNS1_3genE4ELNS1_11target_archE910ELNS1_3gpuE8ELNS1_3repE0EEENS1_30default_config_static_selectorELNS0_4arch9wavefront6targetE0EEEvT1_,"axG",@progbits,_ZN7rocprim17ROCPRIM_400000_NS6detail17trampoline_kernelINS0_14default_configENS1_25partition_config_selectorILNS1_17partition_subalgoE9EllbEEZZNS1_14partition_implILS5_9ELb0ES3_jPlS8_PNS0_10empty_typeENS0_5tupleIJS8_S9_EEENSB_IJS8_SA_EEENS0_18inequality_wrapperIZN2at6native12_GLOBAL__N_124unique_dim_cuda_templateIfEESt5tupleIJNSF_6TensorESK_SK_EERKSK_lbbbEUlllE0_EEPmJS9_EEE10hipError_tPvRmT3_T4_T5_T6_T7_T9_mT8_P12ihipStream_tbDpT10_ENKUlT_T0_E_clISt17integral_constantIbLb0EES1A_EEDaS15_S16_EUlS15_E_NS1_11comp_targetILNS1_3genE4ELNS1_11target_archE910ELNS1_3gpuE8ELNS1_3repE0EEENS1_30default_config_static_selectorELNS0_4arch9wavefront6targetE0EEEvT1_,comdat
.Lfunc_end963:
	.size	_ZN7rocprim17ROCPRIM_400000_NS6detail17trampoline_kernelINS0_14default_configENS1_25partition_config_selectorILNS1_17partition_subalgoE9EllbEEZZNS1_14partition_implILS5_9ELb0ES3_jPlS8_PNS0_10empty_typeENS0_5tupleIJS8_S9_EEENSB_IJS8_SA_EEENS0_18inequality_wrapperIZN2at6native12_GLOBAL__N_124unique_dim_cuda_templateIfEESt5tupleIJNSF_6TensorESK_SK_EERKSK_lbbbEUlllE0_EEPmJS9_EEE10hipError_tPvRmT3_T4_T5_T6_T7_T9_mT8_P12ihipStream_tbDpT10_ENKUlT_T0_E_clISt17integral_constantIbLb0EES1A_EEDaS15_S16_EUlS15_E_NS1_11comp_targetILNS1_3genE4ELNS1_11target_archE910ELNS1_3gpuE8ELNS1_3repE0EEENS1_30default_config_static_selectorELNS0_4arch9wavefront6targetE0EEEvT1_, .Lfunc_end963-_ZN7rocprim17ROCPRIM_400000_NS6detail17trampoline_kernelINS0_14default_configENS1_25partition_config_selectorILNS1_17partition_subalgoE9EllbEEZZNS1_14partition_implILS5_9ELb0ES3_jPlS8_PNS0_10empty_typeENS0_5tupleIJS8_S9_EEENSB_IJS8_SA_EEENS0_18inequality_wrapperIZN2at6native12_GLOBAL__N_124unique_dim_cuda_templateIfEESt5tupleIJNSF_6TensorESK_SK_EERKSK_lbbbEUlllE0_EEPmJS9_EEE10hipError_tPvRmT3_T4_T5_T6_T7_T9_mT8_P12ihipStream_tbDpT10_ENKUlT_T0_E_clISt17integral_constantIbLb0EES1A_EEDaS15_S16_EUlS15_E_NS1_11comp_targetILNS1_3genE4ELNS1_11target_archE910ELNS1_3gpuE8ELNS1_3repE0EEENS1_30default_config_static_selectorELNS0_4arch9wavefront6targetE0EEEvT1_
                                        ; -- End function
	.section	.AMDGPU.csdata,"",@progbits
; Kernel info:
; codeLenInByte = 0
; NumSgprs: 0
; NumVgprs: 0
; ScratchSize: 0
; MemoryBound: 0
; FloatMode: 240
; IeeeMode: 1
; LDSByteSize: 0 bytes/workgroup (compile time only)
; SGPRBlocks: 0
; VGPRBlocks: 0
; NumSGPRsForWavesPerEU: 1
; NumVGPRsForWavesPerEU: 1
; Occupancy: 16
; WaveLimiterHint : 0
; COMPUTE_PGM_RSRC2:SCRATCH_EN: 0
; COMPUTE_PGM_RSRC2:USER_SGPR: 15
; COMPUTE_PGM_RSRC2:TRAP_HANDLER: 0
; COMPUTE_PGM_RSRC2:TGID_X_EN: 1
; COMPUTE_PGM_RSRC2:TGID_Y_EN: 0
; COMPUTE_PGM_RSRC2:TGID_Z_EN: 0
; COMPUTE_PGM_RSRC2:TIDIG_COMP_CNT: 0
	.section	.text._ZN7rocprim17ROCPRIM_400000_NS6detail17trampoline_kernelINS0_14default_configENS1_25partition_config_selectorILNS1_17partition_subalgoE9EllbEEZZNS1_14partition_implILS5_9ELb0ES3_jPlS8_PNS0_10empty_typeENS0_5tupleIJS8_S9_EEENSB_IJS8_SA_EEENS0_18inequality_wrapperIZN2at6native12_GLOBAL__N_124unique_dim_cuda_templateIfEESt5tupleIJNSF_6TensorESK_SK_EERKSK_lbbbEUlllE0_EEPmJS9_EEE10hipError_tPvRmT3_T4_T5_T6_T7_T9_mT8_P12ihipStream_tbDpT10_ENKUlT_T0_E_clISt17integral_constantIbLb0EES1A_EEDaS15_S16_EUlS15_E_NS1_11comp_targetILNS1_3genE3ELNS1_11target_archE908ELNS1_3gpuE7ELNS1_3repE0EEENS1_30default_config_static_selectorELNS0_4arch9wavefront6targetE0EEEvT1_,"axG",@progbits,_ZN7rocprim17ROCPRIM_400000_NS6detail17trampoline_kernelINS0_14default_configENS1_25partition_config_selectorILNS1_17partition_subalgoE9EllbEEZZNS1_14partition_implILS5_9ELb0ES3_jPlS8_PNS0_10empty_typeENS0_5tupleIJS8_S9_EEENSB_IJS8_SA_EEENS0_18inequality_wrapperIZN2at6native12_GLOBAL__N_124unique_dim_cuda_templateIfEESt5tupleIJNSF_6TensorESK_SK_EERKSK_lbbbEUlllE0_EEPmJS9_EEE10hipError_tPvRmT3_T4_T5_T6_T7_T9_mT8_P12ihipStream_tbDpT10_ENKUlT_T0_E_clISt17integral_constantIbLb0EES1A_EEDaS15_S16_EUlS15_E_NS1_11comp_targetILNS1_3genE3ELNS1_11target_archE908ELNS1_3gpuE7ELNS1_3repE0EEENS1_30default_config_static_selectorELNS0_4arch9wavefront6targetE0EEEvT1_,comdat
	.globl	_ZN7rocprim17ROCPRIM_400000_NS6detail17trampoline_kernelINS0_14default_configENS1_25partition_config_selectorILNS1_17partition_subalgoE9EllbEEZZNS1_14partition_implILS5_9ELb0ES3_jPlS8_PNS0_10empty_typeENS0_5tupleIJS8_S9_EEENSB_IJS8_SA_EEENS0_18inequality_wrapperIZN2at6native12_GLOBAL__N_124unique_dim_cuda_templateIfEESt5tupleIJNSF_6TensorESK_SK_EERKSK_lbbbEUlllE0_EEPmJS9_EEE10hipError_tPvRmT3_T4_T5_T6_T7_T9_mT8_P12ihipStream_tbDpT10_ENKUlT_T0_E_clISt17integral_constantIbLb0EES1A_EEDaS15_S16_EUlS15_E_NS1_11comp_targetILNS1_3genE3ELNS1_11target_archE908ELNS1_3gpuE7ELNS1_3repE0EEENS1_30default_config_static_selectorELNS0_4arch9wavefront6targetE0EEEvT1_ ; -- Begin function _ZN7rocprim17ROCPRIM_400000_NS6detail17trampoline_kernelINS0_14default_configENS1_25partition_config_selectorILNS1_17partition_subalgoE9EllbEEZZNS1_14partition_implILS5_9ELb0ES3_jPlS8_PNS0_10empty_typeENS0_5tupleIJS8_S9_EEENSB_IJS8_SA_EEENS0_18inequality_wrapperIZN2at6native12_GLOBAL__N_124unique_dim_cuda_templateIfEESt5tupleIJNSF_6TensorESK_SK_EERKSK_lbbbEUlllE0_EEPmJS9_EEE10hipError_tPvRmT3_T4_T5_T6_T7_T9_mT8_P12ihipStream_tbDpT10_ENKUlT_T0_E_clISt17integral_constantIbLb0EES1A_EEDaS15_S16_EUlS15_E_NS1_11comp_targetILNS1_3genE3ELNS1_11target_archE908ELNS1_3gpuE7ELNS1_3repE0EEENS1_30default_config_static_selectorELNS0_4arch9wavefront6targetE0EEEvT1_
	.p2align	8
	.type	_ZN7rocprim17ROCPRIM_400000_NS6detail17trampoline_kernelINS0_14default_configENS1_25partition_config_selectorILNS1_17partition_subalgoE9EllbEEZZNS1_14partition_implILS5_9ELb0ES3_jPlS8_PNS0_10empty_typeENS0_5tupleIJS8_S9_EEENSB_IJS8_SA_EEENS0_18inequality_wrapperIZN2at6native12_GLOBAL__N_124unique_dim_cuda_templateIfEESt5tupleIJNSF_6TensorESK_SK_EERKSK_lbbbEUlllE0_EEPmJS9_EEE10hipError_tPvRmT3_T4_T5_T6_T7_T9_mT8_P12ihipStream_tbDpT10_ENKUlT_T0_E_clISt17integral_constantIbLb0EES1A_EEDaS15_S16_EUlS15_E_NS1_11comp_targetILNS1_3genE3ELNS1_11target_archE908ELNS1_3gpuE7ELNS1_3repE0EEENS1_30default_config_static_selectorELNS0_4arch9wavefront6targetE0EEEvT1_,@function
_ZN7rocprim17ROCPRIM_400000_NS6detail17trampoline_kernelINS0_14default_configENS1_25partition_config_selectorILNS1_17partition_subalgoE9EllbEEZZNS1_14partition_implILS5_9ELb0ES3_jPlS8_PNS0_10empty_typeENS0_5tupleIJS8_S9_EEENSB_IJS8_SA_EEENS0_18inequality_wrapperIZN2at6native12_GLOBAL__N_124unique_dim_cuda_templateIfEESt5tupleIJNSF_6TensorESK_SK_EERKSK_lbbbEUlllE0_EEPmJS9_EEE10hipError_tPvRmT3_T4_T5_T6_T7_T9_mT8_P12ihipStream_tbDpT10_ENKUlT_T0_E_clISt17integral_constantIbLb0EES1A_EEDaS15_S16_EUlS15_E_NS1_11comp_targetILNS1_3genE3ELNS1_11target_archE908ELNS1_3gpuE7ELNS1_3repE0EEENS1_30default_config_static_selectorELNS0_4arch9wavefront6targetE0EEEvT1_: ; @_ZN7rocprim17ROCPRIM_400000_NS6detail17trampoline_kernelINS0_14default_configENS1_25partition_config_selectorILNS1_17partition_subalgoE9EllbEEZZNS1_14partition_implILS5_9ELb0ES3_jPlS8_PNS0_10empty_typeENS0_5tupleIJS8_S9_EEENSB_IJS8_SA_EEENS0_18inequality_wrapperIZN2at6native12_GLOBAL__N_124unique_dim_cuda_templateIfEESt5tupleIJNSF_6TensorESK_SK_EERKSK_lbbbEUlllE0_EEPmJS9_EEE10hipError_tPvRmT3_T4_T5_T6_T7_T9_mT8_P12ihipStream_tbDpT10_ENKUlT_T0_E_clISt17integral_constantIbLb0EES1A_EEDaS15_S16_EUlS15_E_NS1_11comp_targetILNS1_3genE3ELNS1_11target_archE908ELNS1_3gpuE7ELNS1_3repE0EEENS1_30default_config_static_selectorELNS0_4arch9wavefront6targetE0EEEvT1_
; %bb.0:
	.section	.rodata,"a",@progbits
	.p2align	6, 0x0
	.amdhsa_kernel _ZN7rocprim17ROCPRIM_400000_NS6detail17trampoline_kernelINS0_14default_configENS1_25partition_config_selectorILNS1_17partition_subalgoE9EllbEEZZNS1_14partition_implILS5_9ELb0ES3_jPlS8_PNS0_10empty_typeENS0_5tupleIJS8_S9_EEENSB_IJS8_SA_EEENS0_18inequality_wrapperIZN2at6native12_GLOBAL__N_124unique_dim_cuda_templateIfEESt5tupleIJNSF_6TensorESK_SK_EERKSK_lbbbEUlllE0_EEPmJS9_EEE10hipError_tPvRmT3_T4_T5_T6_T7_T9_mT8_P12ihipStream_tbDpT10_ENKUlT_T0_E_clISt17integral_constantIbLb0EES1A_EEDaS15_S16_EUlS15_E_NS1_11comp_targetILNS1_3genE3ELNS1_11target_archE908ELNS1_3gpuE7ELNS1_3repE0EEENS1_30default_config_static_selectorELNS0_4arch9wavefront6targetE0EEEvT1_
		.amdhsa_group_segment_fixed_size 0
		.amdhsa_private_segment_fixed_size 0
		.amdhsa_kernarg_size 120
		.amdhsa_user_sgpr_count 15
		.amdhsa_user_sgpr_dispatch_ptr 0
		.amdhsa_user_sgpr_queue_ptr 0
		.amdhsa_user_sgpr_kernarg_segment_ptr 1
		.amdhsa_user_sgpr_dispatch_id 0
		.amdhsa_user_sgpr_private_segment_size 0
		.amdhsa_wavefront_size32 1
		.amdhsa_uses_dynamic_stack 0
		.amdhsa_enable_private_segment 0
		.amdhsa_system_sgpr_workgroup_id_x 1
		.amdhsa_system_sgpr_workgroup_id_y 0
		.amdhsa_system_sgpr_workgroup_id_z 0
		.amdhsa_system_sgpr_workgroup_info 0
		.amdhsa_system_vgpr_workitem_id 0
		.amdhsa_next_free_vgpr 1
		.amdhsa_next_free_sgpr 1
		.amdhsa_reserve_vcc 0
		.amdhsa_float_round_mode_32 0
		.amdhsa_float_round_mode_16_64 0
		.amdhsa_float_denorm_mode_32 3
		.amdhsa_float_denorm_mode_16_64 3
		.amdhsa_dx10_clamp 1
		.amdhsa_ieee_mode 1
		.amdhsa_fp16_overflow 0
		.amdhsa_workgroup_processor_mode 1
		.amdhsa_memory_ordered 1
		.amdhsa_forward_progress 0
		.amdhsa_shared_vgpr_count 0
		.amdhsa_exception_fp_ieee_invalid_op 0
		.amdhsa_exception_fp_denorm_src 0
		.amdhsa_exception_fp_ieee_div_zero 0
		.amdhsa_exception_fp_ieee_overflow 0
		.amdhsa_exception_fp_ieee_underflow 0
		.amdhsa_exception_fp_ieee_inexact 0
		.amdhsa_exception_int_div_zero 0
	.end_amdhsa_kernel
	.section	.text._ZN7rocprim17ROCPRIM_400000_NS6detail17trampoline_kernelINS0_14default_configENS1_25partition_config_selectorILNS1_17partition_subalgoE9EllbEEZZNS1_14partition_implILS5_9ELb0ES3_jPlS8_PNS0_10empty_typeENS0_5tupleIJS8_S9_EEENSB_IJS8_SA_EEENS0_18inequality_wrapperIZN2at6native12_GLOBAL__N_124unique_dim_cuda_templateIfEESt5tupleIJNSF_6TensorESK_SK_EERKSK_lbbbEUlllE0_EEPmJS9_EEE10hipError_tPvRmT3_T4_T5_T6_T7_T9_mT8_P12ihipStream_tbDpT10_ENKUlT_T0_E_clISt17integral_constantIbLb0EES1A_EEDaS15_S16_EUlS15_E_NS1_11comp_targetILNS1_3genE3ELNS1_11target_archE908ELNS1_3gpuE7ELNS1_3repE0EEENS1_30default_config_static_selectorELNS0_4arch9wavefront6targetE0EEEvT1_,"axG",@progbits,_ZN7rocprim17ROCPRIM_400000_NS6detail17trampoline_kernelINS0_14default_configENS1_25partition_config_selectorILNS1_17partition_subalgoE9EllbEEZZNS1_14partition_implILS5_9ELb0ES3_jPlS8_PNS0_10empty_typeENS0_5tupleIJS8_S9_EEENSB_IJS8_SA_EEENS0_18inequality_wrapperIZN2at6native12_GLOBAL__N_124unique_dim_cuda_templateIfEESt5tupleIJNSF_6TensorESK_SK_EERKSK_lbbbEUlllE0_EEPmJS9_EEE10hipError_tPvRmT3_T4_T5_T6_T7_T9_mT8_P12ihipStream_tbDpT10_ENKUlT_T0_E_clISt17integral_constantIbLb0EES1A_EEDaS15_S16_EUlS15_E_NS1_11comp_targetILNS1_3genE3ELNS1_11target_archE908ELNS1_3gpuE7ELNS1_3repE0EEENS1_30default_config_static_selectorELNS0_4arch9wavefront6targetE0EEEvT1_,comdat
.Lfunc_end964:
	.size	_ZN7rocprim17ROCPRIM_400000_NS6detail17trampoline_kernelINS0_14default_configENS1_25partition_config_selectorILNS1_17partition_subalgoE9EllbEEZZNS1_14partition_implILS5_9ELb0ES3_jPlS8_PNS0_10empty_typeENS0_5tupleIJS8_S9_EEENSB_IJS8_SA_EEENS0_18inequality_wrapperIZN2at6native12_GLOBAL__N_124unique_dim_cuda_templateIfEESt5tupleIJNSF_6TensorESK_SK_EERKSK_lbbbEUlllE0_EEPmJS9_EEE10hipError_tPvRmT3_T4_T5_T6_T7_T9_mT8_P12ihipStream_tbDpT10_ENKUlT_T0_E_clISt17integral_constantIbLb0EES1A_EEDaS15_S16_EUlS15_E_NS1_11comp_targetILNS1_3genE3ELNS1_11target_archE908ELNS1_3gpuE7ELNS1_3repE0EEENS1_30default_config_static_selectorELNS0_4arch9wavefront6targetE0EEEvT1_, .Lfunc_end964-_ZN7rocprim17ROCPRIM_400000_NS6detail17trampoline_kernelINS0_14default_configENS1_25partition_config_selectorILNS1_17partition_subalgoE9EllbEEZZNS1_14partition_implILS5_9ELb0ES3_jPlS8_PNS0_10empty_typeENS0_5tupleIJS8_S9_EEENSB_IJS8_SA_EEENS0_18inequality_wrapperIZN2at6native12_GLOBAL__N_124unique_dim_cuda_templateIfEESt5tupleIJNSF_6TensorESK_SK_EERKSK_lbbbEUlllE0_EEPmJS9_EEE10hipError_tPvRmT3_T4_T5_T6_T7_T9_mT8_P12ihipStream_tbDpT10_ENKUlT_T0_E_clISt17integral_constantIbLb0EES1A_EEDaS15_S16_EUlS15_E_NS1_11comp_targetILNS1_3genE3ELNS1_11target_archE908ELNS1_3gpuE7ELNS1_3repE0EEENS1_30default_config_static_selectorELNS0_4arch9wavefront6targetE0EEEvT1_
                                        ; -- End function
	.section	.AMDGPU.csdata,"",@progbits
; Kernel info:
; codeLenInByte = 0
; NumSgprs: 0
; NumVgprs: 0
; ScratchSize: 0
; MemoryBound: 0
; FloatMode: 240
; IeeeMode: 1
; LDSByteSize: 0 bytes/workgroup (compile time only)
; SGPRBlocks: 0
; VGPRBlocks: 0
; NumSGPRsForWavesPerEU: 1
; NumVGPRsForWavesPerEU: 1
; Occupancy: 16
; WaveLimiterHint : 0
; COMPUTE_PGM_RSRC2:SCRATCH_EN: 0
; COMPUTE_PGM_RSRC2:USER_SGPR: 15
; COMPUTE_PGM_RSRC2:TRAP_HANDLER: 0
; COMPUTE_PGM_RSRC2:TGID_X_EN: 1
; COMPUTE_PGM_RSRC2:TGID_Y_EN: 0
; COMPUTE_PGM_RSRC2:TGID_Z_EN: 0
; COMPUTE_PGM_RSRC2:TIDIG_COMP_CNT: 0
	.section	.text._ZN7rocprim17ROCPRIM_400000_NS6detail17trampoline_kernelINS0_14default_configENS1_25partition_config_selectorILNS1_17partition_subalgoE9EllbEEZZNS1_14partition_implILS5_9ELb0ES3_jPlS8_PNS0_10empty_typeENS0_5tupleIJS8_S9_EEENSB_IJS8_SA_EEENS0_18inequality_wrapperIZN2at6native12_GLOBAL__N_124unique_dim_cuda_templateIfEESt5tupleIJNSF_6TensorESK_SK_EERKSK_lbbbEUlllE0_EEPmJS9_EEE10hipError_tPvRmT3_T4_T5_T6_T7_T9_mT8_P12ihipStream_tbDpT10_ENKUlT_T0_E_clISt17integral_constantIbLb0EES1A_EEDaS15_S16_EUlS15_E_NS1_11comp_targetILNS1_3genE2ELNS1_11target_archE906ELNS1_3gpuE6ELNS1_3repE0EEENS1_30default_config_static_selectorELNS0_4arch9wavefront6targetE0EEEvT1_,"axG",@progbits,_ZN7rocprim17ROCPRIM_400000_NS6detail17trampoline_kernelINS0_14default_configENS1_25partition_config_selectorILNS1_17partition_subalgoE9EllbEEZZNS1_14partition_implILS5_9ELb0ES3_jPlS8_PNS0_10empty_typeENS0_5tupleIJS8_S9_EEENSB_IJS8_SA_EEENS0_18inequality_wrapperIZN2at6native12_GLOBAL__N_124unique_dim_cuda_templateIfEESt5tupleIJNSF_6TensorESK_SK_EERKSK_lbbbEUlllE0_EEPmJS9_EEE10hipError_tPvRmT3_T4_T5_T6_T7_T9_mT8_P12ihipStream_tbDpT10_ENKUlT_T0_E_clISt17integral_constantIbLb0EES1A_EEDaS15_S16_EUlS15_E_NS1_11comp_targetILNS1_3genE2ELNS1_11target_archE906ELNS1_3gpuE6ELNS1_3repE0EEENS1_30default_config_static_selectorELNS0_4arch9wavefront6targetE0EEEvT1_,comdat
	.globl	_ZN7rocprim17ROCPRIM_400000_NS6detail17trampoline_kernelINS0_14default_configENS1_25partition_config_selectorILNS1_17partition_subalgoE9EllbEEZZNS1_14partition_implILS5_9ELb0ES3_jPlS8_PNS0_10empty_typeENS0_5tupleIJS8_S9_EEENSB_IJS8_SA_EEENS0_18inequality_wrapperIZN2at6native12_GLOBAL__N_124unique_dim_cuda_templateIfEESt5tupleIJNSF_6TensorESK_SK_EERKSK_lbbbEUlllE0_EEPmJS9_EEE10hipError_tPvRmT3_T4_T5_T6_T7_T9_mT8_P12ihipStream_tbDpT10_ENKUlT_T0_E_clISt17integral_constantIbLb0EES1A_EEDaS15_S16_EUlS15_E_NS1_11comp_targetILNS1_3genE2ELNS1_11target_archE906ELNS1_3gpuE6ELNS1_3repE0EEENS1_30default_config_static_selectorELNS0_4arch9wavefront6targetE0EEEvT1_ ; -- Begin function _ZN7rocprim17ROCPRIM_400000_NS6detail17trampoline_kernelINS0_14default_configENS1_25partition_config_selectorILNS1_17partition_subalgoE9EllbEEZZNS1_14partition_implILS5_9ELb0ES3_jPlS8_PNS0_10empty_typeENS0_5tupleIJS8_S9_EEENSB_IJS8_SA_EEENS0_18inequality_wrapperIZN2at6native12_GLOBAL__N_124unique_dim_cuda_templateIfEESt5tupleIJNSF_6TensorESK_SK_EERKSK_lbbbEUlllE0_EEPmJS9_EEE10hipError_tPvRmT3_T4_T5_T6_T7_T9_mT8_P12ihipStream_tbDpT10_ENKUlT_T0_E_clISt17integral_constantIbLb0EES1A_EEDaS15_S16_EUlS15_E_NS1_11comp_targetILNS1_3genE2ELNS1_11target_archE906ELNS1_3gpuE6ELNS1_3repE0EEENS1_30default_config_static_selectorELNS0_4arch9wavefront6targetE0EEEvT1_
	.p2align	8
	.type	_ZN7rocprim17ROCPRIM_400000_NS6detail17trampoline_kernelINS0_14default_configENS1_25partition_config_selectorILNS1_17partition_subalgoE9EllbEEZZNS1_14partition_implILS5_9ELb0ES3_jPlS8_PNS0_10empty_typeENS0_5tupleIJS8_S9_EEENSB_IJS8_SA_EEENS0_18inequality_wrapperIZN2at6native12_GLOBAL__N_124unique_dim_cuda_templateIfEESt5tupleIJNSF_6TensorESK_SK_EERKSK_lbbbEUlllE0_EEPmJS9_EEE10hipError_tPvRmT3_T4_T5_T6_T7_T9_mT8_P12ihipStream_tbDpT10_ENKUlT_T0_E_clISt17integral_constantIbLb0EES1A_EEDaS15_S16_EUlS15_E_NS1_11comp_targetILNS1_3genE2ELNS1_11target_archE906ELNS1_3gpuE6ELNS1_3repE0EEENS1_30default_config_static_selectorELNS0_4arch9wavefront6targetE0EEEvT1_,@function
_ZN7rocprim17ROCPRIM_400000_NS6detail17trampoline_kernelINS0_14default_configENS1_25partition_config_selectorILNS1_17partition_subalgoE9EllbEEZZNS1_14partition_implILS5_9ELb0ES3_jPlS8_PNS0_10empty_typeENS0_5tupleIJS8_S9_EEENSB_IJS8_SA_EEENS0_18inequality_wrapperIZN2at6native12_GLOBAL__N_124unique_dim_cuda_templateIfEESt5tupleIJNSF_6TensorESK_SK_EERKSK_lbbbEUlllE0_EEPmJS9_EEE10hipError_tPvRmT3_T4_T5_T6_T7_T9_mT8_P12ihipStream_tbDpT10_ENKUlT_T0_E_clISt17integral_constantIbLb0EES1A_EEDaS15_S16_EUlS15_E_NS1_11comp_targetILNS1_3genE2ELNS1_11target_archE906ELNS1_3gpuE6ELNS1_3repE0EEENS1_30default_config_static_selectorELNS0_4arch9wavefront6targetE0EEEvT1_: ; @_ZN7rocprim17ROCPRIM_400000_NS6detail17trampoline_kernelINS0_14default_configENS1_25partition_config_selectorILNS1_17partition_subalgoE9EllbEEZZNS1_14partition_implILS5_9ELb0ES3_jPlS8_PNS0_10empty_typeENS0_5tupleIJS8_S9_EEENSB_IJS8_SA_EEENS0_18inequality_wrapperIZN2at6native12_GLOBAL__N_124unique_dim_cuda_templateIfEESt5tupleIJNSF_6TensorESK_SK_EERKSK_lbbbEUlllE0_EEPmJS9_EEE10hipError_tPvRmT3_T4_T5_T6_T7_T9_mT8_P12ihipStream_tbDpT10_ENKUlT_T0_E_clISt17integral_constantIbLb0EES1A_EEDaS15_S16_EUlS15_E_NS1_11comp_targetILNS1_3genE2ELNS1_11target_archE906ELNS1_3gpuE6ELNS1_3repE0EEENS1_30default_config_static_selectorELNS0_4arch9wavefront6targetE0EEEvT1_
; %bb.0:
	.section	.rodata,"a",@progbits
	.p2align	6, 0x0
	.amdhsa_kernel _ZN7rocprim17ROCPRIM_400000_NS6detail17trampoline_kernelINS0_14default_configENS1_25partition_config_selectorILNS1_17partition_subalgoE9EllbEEZZNS1_14partition_implILS5_9ELb0ES3_jPlS8_PNS0_10empty_typeENS0_5tupleIJS8_S9_EEENSB_IJS8_SA_EEENS0_18inequality_wrapperIZN2at6native12_GLOBAL__N_124unique_dim_cuda_templateIfEESt5tupleIJNSF_6TensorESK_SK_EERKSK_lbbbEUlllE0_EEPmJS9_EEE10hipError_tPvRmT3_T4_T5_T6_T7_T9_mT8_P12ihipStream_tbDpT10_ENKUlT_T0_E_clISt17integral_constantIbLb0EES1A_EEDaS15_S16_EUlS15_E_NS1_11comp_targetILNS1_3genE2ELNS1_11target_archE906ELNS1_3gpuE6ELNS1_3repE0EEENS1_30default_config_static_selectorELNS0_4arch9wavefront6targetE0EEEvT1_
		.amdhsa_group_segment_fixed_size 0
		.amdhsa_private_segment_fixed_size 0
		.amdhsa_kernarg_size 120
		.amdhsa_user_sgpr_count 15
		.amdhsa_user_sgpr_dispatch_ptr 0
		.amdhsa_user_sgpr_queue_ptr 0
		.amdhsa_user_sgpr_kernarg_segment_ptr 1
		.amdhsa_user_sgpr_dispatch_id 0
		.amdhsa_user_sgpr_private_segment_size 0
		.amdhsa_wavefront_size32 1
		.amdhsa_uses_dynamic_stack 0
		.amdhsa_enable_private_segment 0
		.amdhsa_system_sgpr_workgroup_id_x 1
		.amdhsa_system_sgpr_workgroup_id_y 0
		.amdhsa_system_sgpr_workgroup_id_z 0
		.amdhsa_system_sgpr_workgroup_info 0
		.amdhsa_system_vgpr_workitem_id 0
		.amdhsa_next_free_vgpr 1
		.amdhsa_next_free_sgpr 1
		.amdhsa_reserve_vcc 0
		.amdhsa_float_round_mode_32 0
		.amdhsa_float_round_mode_16_64 0
		.amdhsa_float_denorm_mode_32 3
		.amdhsa_float_denorm_mode_16_64 3
		.amdhsa_dx10_clamp 1
		.amdhsa_ieee_mode 1
		.amdhsa_fp16_overflow 0
		.amdhsa_workgroup_processor_mode 1
		.amdhsa_memory_ordered 1
		.amdhsa_forward_progress 0
		.amdhsa_shared_vgpr_count 0
		.amdhsa_exception_fp_ieee_invalid_op 0
		.amdhsa_exception_fp_denorm_src 0
		.amdhsa_exception_fp_ieee_div_zero 0
		.amdhsa_exception_fp_ieee_overflow 0
		.amdhsa_exception_fp_ieee_underflow 0
		.amdhsa_exception_fp_ieee_inexact 0
		.amdhsa_exception_int_div_zero 0
	.end_amdhsa_kernel
	.section	.text._ZN7rocprim17ROCPRIM_400000_NS6detail17trampoline_kernelINS0_14default_configENS1_25partition_config_selectorILNS1_17partition_subalgoE9EllbEEZZNS1_14partition_implILS5_9ELb0ES3_jPlS8_PNS0_10empty_typeENS0_5tupleIJS8_S9_EEENSB_IJS8_SA_EEENS0_18inequality_wrapperIZN2at6native12_GLOBAL__N_124unique_dim_cuda_templateIfEESt5tupleIJNSF_6TensorESK_SK_EERKSK_lbbbEUlllE0_EEPmJS9_EEE10hipError_tPvRmT3_T4_T5_T6_T7_T9_mT8_P12ihipStream_tbDpT10_ENKUlT_T0_E_clISt17integral_constantIbLb0EES1A_EEDaS15_S16_EUlS15_E_NS1_11comp_targetILNS1_3genE2ELNS1_11target_archE906ELNS1_3gpuE6ELNS1_3repE0EEENS1_30default_config_static_selectorELNS0_4arch9wavefront6targetE0EEEvT1_,"axG",@progbits,_ZN7rocprim17ROCPRIM_400000_NS6detail17trampoline_kernelINS0_14default_configENS1_25partition_config_selectorILNS1_17partition_subalgoE9EllbEEZZNS1_14partition_implILS5_9ELb0ES3_jPlS8_PNS0_10empty_typeENS0_5tupleIJS8_S9_EEENSB_IJS8_SA_EEENS0_18inequality_wrapperIZN2at6native12_GLOBAL__N_124unique_dim_cuda_templateIfEESt5tupleIJNSF_6TensorESK_SK_EERKSK_lbbbEUlllE0_EEPmJS9_EEE10hipError_tPvRmT3_T4_T5_T6_T7_T9_mT8_P12ihipStream_tbDpT10_ENKUlT_T0_E_clISt17integral_constantIbLb0EES1A_EEDaS15_S16_EUlS15_E_NS1_11comp_targetILNS1_3genE2ELNS1_11target_archE906ELNS1_3gpuE6ELNS1_3repE0EEENS1_30default_config_static_selectorELNS0_4arch9wavefront6targetE0EEEvT1_,comdat
.Lfunc_end965:
	.size	_ZN7rocprim17ROCPRIM_400000_NS6detail17trampoline_kernelINS0_14default_configENS1_25partition_config_selectorILNS1_17partition_subalgoE9EllbEEZZNS1_14partition_implILS5_9ELb0ES3_jPlS8_PNS0_10empty_typeENS0_5tupleIJS8_S9_EEENSB_IJS8_SA_EEENS0_18inequality_wrapperIZN2at6native12_GLOBAL__N_124unique_dim_cuda_templateIfEESt5tupleIJNSF_6TensorESK_SK_EERKSK_lbbbEUlllE0_EEPmJS9_EEE10hipError_tPvRmT3_T4_T5_T6_T7_T9_mT8_P12ihipStream_tbDpT10_ENKUlT_T0_E_clISt17integral_constantIbLb0EES1A_EEDaS15_S16_EUlS15_E_NS1_11comp_targetILNS1_3genE2ELNS1_11target_archE906ELNS1_3gpuE6ELNS1_3repE0EEENS1_30default_config_static_selectorELNS0_4arch9wavefront6targetE0EEEvT1_, .Lfunc_end965-_ZN7rocprim17ROCPRIM_400000_NS6detail17trampoline_kernelINS0_14default_configENS1_25partition_config_selectorILNS1_17partition_subalgoE9EllbEEZZNS1_14partition_implILS5_9ELb0ES3_jPlS8_PNS0_10empty_typeENS0_5tupleIJS8_S9_EEENSB_IJS8_SA_EEENS0_18inequality_wrapperIZN2at6native12_GLOBAL__N_124unique_dim_cuda_templateIfEESt5tupleIJNSF_6TensorESK_SK_EERKSK_lbbbEUlllE0_EEPmJS9_EEE10hipError_tPvRmT3_T4_T5_T6_T7_T9_mT8_P12ihipStream_tbDpT10_ENKUlT_T0_E_clISt17integral_constantIbLb0EES1A_EEDaS15_S16_EUlS15_E_NS1_11comp_targetILNS1_3genE2ELNS1_11target_archE906ELNS1_3gpuE6ELNS1_3repE0EEENS1_30default_config_static_selectorELNS0_4arch9wavefront6targetE0EEEvT1_
                                        ; -- End function
	.section	.AMDGPU.csdata,"",@progbits
; Kernel info:
; codeLenInByte = 0
; NumSgprs: 0
; NumVgprs: 0
; ScratchSize: 0
; MemoryBound: 0
; FloatMode: 240
; IeeeMode: 1
; LDSByteSize: 0 bytes/workgroup (compile time only)
; SGPRBlocks: 0
; VGPRBlocks: 0
; NumSGPRsForWavesPerEU: 1
; NumVGPRsForWavesPerEU: 1
; Occupancy: 15
; WaveLimiterHint : 0
; COMPUTE_PGM_RSRC2:SCRATCH_EN: 0
; COMPUTE_PGM_RSRC2:USER_SGPR: 15
; COMPUTE_PGM_RSRC2:TRAP_HANDLER: 0
; COMPUTE_PGM_RSRC2:TGID_X_EN: 1
; COMPUTE_PGM_RSRC2:TGID_Y_EN: 0
; COMPUTE_PGM_RSRC2:TGID_Z_EN: 0
; COMPUTE_PGM_RSRC2:TIDIG_COMP_CNT: 0
	.section	.text._ZN7rocprim17ROCPRIM_400000_NS6detail17trampoline_kernelINS0_14default_configENS1_25partition_config_selectorILNS1_17partition_subalgoE9EllbEEZZNS1_14partition_implILS5_9ELb0ES3_jPlS8_PNS0_10empty_typeENS0_5tupleIJS8_S9_EEENSB_IJS8_SA_EEENS0_18inequality_wrapperIZN2at6native12_GLOBAL__N_124unique_dim_cuda_templateIfEESt5tupleIJNSF_6TensorESK_SK_EERKSK_lbbbEUlllE0_EEPmJS9_EEE10hipError_tPvRmT3_T4_T5_T6_T7_T9_mT8_P12ihipStream_tbDpT10_ENKUlT_T0_E_clISt17integral_constantIbLb0EES1A_EEDaS15_S16_EUlS15_E_NS1_11comp_targetILNS1_3genE10ELNS1_11target_archE1200ELNS1_3gpuE4ELNS1_3repE0EEENS1_30default_config_static_selectorELNS0_4arch9wavefront6targetE0EEEvT1_,"axG",@progbits,_ZN7rocprim17ROCPRIM_400000_NS6detail17trampoline_kernelINS0_14default_configENS1_25partition_config_selectorILNS1_17partition_subalgoE9EllbEEZZNS1_14partition_implILS5_9ELb0ES3_jPlS8_PNS0_10empty_typeENS0_5tupleIJS8_S9_EEENSB_IJS8_SA_EEENS0_18inequality_wrapperIZN2at6native12_GLOBAL__N_124unique_dim_cuda_templateIfEESt5tupleIJNSF_6TensorESK_SK_EERKSK_lbbbEUlllE0_EEPmJS9_EEE10hipError_tPvRmT3_T4_T5_T6_T7_T9_mT8_P12ihipStream_tbDpT10_ENKUlT_T0_E_clISt17integral_constantIbLb0EES1A_EEDaS15_S16_EUlS15_E_NS1_11comp_targetILNS1_3genE10ELNS1_11target_archE1200ELNS1_3gpuE4ELNS1_3repE0EEENS1_30default_config_static_selectorELNS0_4arch9wavefront6targetE0EEEvT1_,comdat
	.globl	_ZN7rocprim17ROCPRIM_400000_NS6detail17trampoline_kernelINS0_14default_configENS1_25partition_config_selectorILNS1_17partition_subalgoE9EllbEEZZNS1_14partition_implILS5_9ELb0ES3_jPlS8_PNS0_10empty_typeENS0_5tupleIJS8_S9_EEENSB_IJS8_SA_EEENS0_18inequality_wrapperIZN2at6native12_GLOBAL__N_124unique_dim_cuda_templateIfEESt5tupleIJNSF_6TensorESK_SK_EERKSK_lbbbEUlllE0_EEPmJS9_EEE10hipError_tPvRmT3_T4_T5_T6_T7_T9_mT8_P12ihipStream_tbDpT10_ENKUlT_T0_E_clISt17integral_constantIbLb0EES1A_EEDaS15_S16_EUlS15_E_NS1_11comp_targetILNS1_3genE10ELNS1_11target_archE1200ELNS1_3gpuE4ELNS1_3repE0EEENS1_30default_config_static_selectorELNS0_4arch9wavefront6targetE0EEEvT1_ ; -- Begin function _ZN7rocprim17ROCPRIM_400000_NS6detail17trampoline_kernelINS0_14default_configENS1_25partition_config_selectorILNS1_17partition_subalgoE9EllbEEZZNS1_14partition_implILS5_9ELb0ES3_jPlS8_PNS0_10empty_typeENS0_5tupleIJS8_S9_EEENSB_IJS8_SA_EEENS0_18inequality_wrapperIZN2at6native12_GLOBAL__N_124unique_dim_cuda_templateIfEESt5tupleIJNSF_6TensorESK_SK_EERKSK_lbbbEUlllE0_EEPmJS9_EEE10hipError_tPvRmT3_T4_T5_T6_T7_T9_mT8_P12ihipStream_tbDpT10_ENKUlT_T0_E_clISt17integral_constantIbLb0EES1A_EEDaS15_S16_EUlS15_E_NS1_11comp_targetILNS1_3genE10ELNS1_11target_archE1200ELNS1_3gpuE4ELNS1_3repE0EEENS1_30default_config_static_selectorELNS0_4arch9wavefront6targetE0EEEvT1_
	.p2align	8
	.type	_ZN7rocprim17ROCPRIM_400000_NS6detail17trampoline_kernelINS0_14default_configENS1_25partition_config_selectorILNS1_17partition_subalgoE9EllbEEZZNS1_14partition_implILS5_9ELb0ES3_jPlS8_PNS0_10empty_typeENS0_5tupleIJS8_S9_EEENSB_IJS8_SA_EEENS0_18inequality_wrapperIZN2at6native12_GLOBAL__N_124unique_dim_cuda_templateIfEESt5tupleIJNSF_6TensorESK_SK_EERKSK_lbbbEUlllE0_EEPmJS9_EEE10hipError_tPvRmT3_T4_T5_T6_T7_T9_mT8_P12ihipStream_tbDpT10_ENKUlT_T0_E_clISt17integral_constantIbLb0EES1A_EEDaS15_S16_EUlS15_E_NS1_11comp_targetILNS1_3genE10ELNS1_11target_archE1200ELNS1_3gpuE4ELNS1_3repE0EEENS1_30default_config_static_selectorELNS0_4arch9wavefront6targetE0EEEvT1_,@function
_ZN7rocprim17ROCPRIM_400000_NS6detail17trampoline_kernelINS0_14default_configENS1_25partition_config_selectorILNS1_17partition_subalgoE9EllbEEZZNS1_14partition_implILS5_9ELb0ES3_jPlS8_PNS0_10empty_typeENS0_5tupleIJS8_S9_EEENSB_IJS8_SA_EEENS0_18inequality_wrapperIZN2at6native12_GLOBAL__N_124unique_dim_cuda_templateIfEESt5tupleIJNSF_6TensorESK_SK_EERKSK_lbbbEUlllE0_EEPmJS9_EEE10hipError_tPvRmT3_T4_T5_T6_T7_T9_mT8_P12ihipStream_tbDpT10_ENKUlT_T0_E_clISt17integral_constantIbLb0EES1A_EEDaS15_S16_EUlS15_E_NS1_11comp_targetILNS1_3genE10ELNS1_11target_archE1200ELNS1_3gpuE4ELNS1_3repE0EEENS1_30default_config_static_selectorELNS0_4arch9wavefront6targetE0EEEvT1_: ; @_ZN7rocprim17ROCPRIM_400000_NS6detail17trampoline_kernelINS0_14default_configENS1_25partition_config_selectorILNS1_17partition_subalgoE9EllbEEZZNS1_14partition_implILS5_9ELb0ES3_jPlS8_PNS0_10empty_typeENS0_5tupleIJS8_S9_EEENSB_IJS8_SA_EEENS0_18inequality_wrapperIZN2at6native12_GLOBAL__N_124unique_dim_cuda_templateIfEESt5tupleIJNSF_6TensorESK_SK_EERKSK_lbbbEUlllE0_EEPmJS9_EEE10hipError_tPvRmT3_T4_T5_T6_T7_T9_mT8_P12ihipStream_tbDpT10_ENKUlT_T0_E_clISt17integral_constantIbLb0EES1A_EEDaS15_S16_EUlS15_E_NS1_11comp_targetILNS1_3genE10ELNS1_11target_archE1200ELNS1_3gpuE4ELNS1_3repE0EEENS1_30default_config_static_selectorELNS0_4arch9wavefront6targetE0EEEvT1_
; %bb.0:
	.section	.rodata,"a",@progbits
	.p2align	6, 0x0
	.amdhsa_kernel _ZN7rocprim17ROCPRIM_400000_NS6detail17trampoline_kernelINS0_14default_configENS1_25partition_config_selectorILNS1_17partition_subalgoE9EllbEEZZNS1_14partition_implILS5_9ELb0ES3_jPlS8_PNS0_10empty_typeENS0_5tupleIJS8_S9_EEENSB_IJS8_SA_EEENS0_18inequality_wrapperIZN2at6native12_GLOBAL__N_124unique_dim_cuda_templateIfEESt5tupleIJNSF_6TensorESK_SK_EERKSK_lbbbEUlllE0_EEPmJS9_EEE10hipError_tPvRmT3_T4_T5_T6_T7_T9_mT8_P12ihipStream_tbDpT10_ENKUlT_T0_E_clISt17integral_constantIbLb0EES1A_EEDaS15_S16_EUlS15_E_NS1_11comp_targetILNS1_3genE10ELNS1_11target_archE1200ELNS1_3gpuE4ELNS1_3repE0EEENS1_30default_config_static_selectorELNS0_4arch9wavefront6targetE0EEEvT1_
		.amdhsa_group_segment_fixed_size 0
		.amdhsa_private_segment_fixed_size 0
		.amdhsa_kernarg_size 120
		.amdhsa_user_sgpr_count 15
		.amdhsa_user_sgpr_dispatch_ptr 0
		.amdhsa_user_sgpr_queue_ptr 0
		.amdhsa_user_sgpr_kernarg_segment_ptr 1
		.amdhsa_user_sgpr_dispatch_id 0
		.amdhsa_user_sgpr_private_segment_size 0
		.amdhsa_wavefront_size32 1
		.amdhsa_uses_dynamic_stack 0
		.amdhsa_enable_private_segment 0
		.amdhsa_system_sgpr_workgroup_id_x 1
		.amdhsa_system_sgpr_workgroup_id_y 0
		.amdhsa_system_sgpr_workgroup_id_z 0
		.amdhsa_system_sgpr_workgroup_info 0
		.amdhsa_system_vgpr_workitem_id 0
		.amdhsa_next_free_vgpr 1
		.amdhsa_next_free_sgpr 1
		.amdhsa_reserve_vcc 0
		.amdhsa_float_round_mode_32 0
		.amdhsa_float_round_mode_16_64 0
		.amdhsa_float_denorm_mode_32 3
		.amdhsa_float_denorm_mode_16_64 3
		.amdhsa_dx10_clamp 1
		.amdhsa_ieee_mode 1
		.amdhsa_fp16_overflow 0
		.amdhsa_workgroup_processor_mode 1
		.amdhsa_memory_ordered 1
		.amdhsa_forward_progress 0
		.amdhsa_shared_vgpr_count 0
		.amdhsa_exception_fp_ieee_invalid_op 0
		.amdhsa_exception_fp_denorm_src 0
		.amdhsa_exception_fp_ieee_div_zero 0
		.amdhsa_exception_fp_ieee_overflow 0
		.amdhsa_exception_fp_ieee_underflow 0
		.amdhsa_exception_fp_ieee_inexact 0
		.amdhsa_exception_int_div_zero 0
	.end_amdhsa_kernel
	.section	.text._ZN7rocprim17ROCPRIM_400000_NS6detail17trampoline_kernelINS0_14default_configENS1_25partition_config_selectorILNS1_17partition_subalgoE9EllbEEZZNS1_14partition_implILS5_9ELb0ES3_jPlS8_PNS0_10empty_typeENS0_5tupleIJS8_S9_EEENSB_IJS8_SA_EEENS0_18inequality_wrapperIZN2at6native12_GLOBAL__N_124unique_dim_cuda_templateIfEESt5tupleIJNSF_6TensorESK_SK_EERKSK_lbbbEUlllE0_EEPmJS9_EEE10hipError_tPvRmT3_T4_T5_T6_T7_T9_mT8_P12ihipStream_tbDpT10_ENKUlT_T0_E_clISt17integral_constantIbLb0EES1A_EEDaS15_S16_EUlS15_E_NS1_11comp_targetILNS1_3genE10ELNS1_11target_archE1200ELNS1_3gpuE4ELNS1_3repE0EEENS1_30default_config_static_selectorELNS0_4arch9wavefront6targetE0EEEvT1_,"axG",@progbits,_ZN7rocprim17ROCPRIM_400000_NS6detail17trampoline_kernelINS0_14default_configENS1_25partition_config_selectorILNS1_17partition_subalgoE9EllbEEZZNS1_14partition_implILS5_9ELb0ES3_jPlS8_PNS0_10empty_typeENS0_5tupleIJS8_S9_EEENSB_IJS8_SA_EEENS0_18inequality_wrapperIZN2at6native12_GLOBAL__N_124unique_dim_cuda_templateIfEESt5tupleIJNSF_6TensorESK_SK_EERKSK_lbbbEUlllE0_EEPmJS9_EEE10hipError_tPvRmT3_T4_T5_T6_T7_T9_mT8_P12ihipStream_tbDpT10_ENKUlT_T0_E_clISt17integral_constantIbLb0EES1A_EEDaS15_S16_EUlS15_E_NS1_11comp_targetILNS1_3genE10ELNS1_11target_archE1200ELNS1_3gpuE4ELNS1_3repE0EEENS1_30default_config_static_selectorELNS0_4arch9wavefront6targetE0EEEvT1_,comdat
.Lfunc_end966:
	.size	_ZN7rocprim17ROCPRIM_400000_NS6detail17trampoline_kernelINS0_14default_configENS1_25partition_config_selectorILNS1_17partition_subalgoE9EllbEEZZNS1_14partition_implILS5_9ELb0ES3_jPlS8_PNS0_10empty_typeENS0_5tupleIJS8_S9_EEENSB_IJS8_SA_EEENS0_18inequality_wrapperIZN2at6native12_GLOBAL__N_124unique_dim_cuda_templateIfEESt5tupleIJNSF_6TensorESK_SK_EERKSK_lbbbEUlllE0_EEPmJS9_EEE10hipError_tPvRmT3_T4_T5_T6_T7_T9_mT8_P12ihipStream_tbDpT10_ENKUlT_T0_E_clISt17integral_constantIbLb0EES1A_EEDaS15_S16_EUlS15_E_NS1_11comp_targetILNS1_3genE10ELNS1_11target_archE1200ELNS1_3gpuE4ELNS1_3repE0EEENS1_30default_config_static_selectorELNS0_4arch9wavefront6targetE0EEEvT1_, .Lfunc_end966-_ZN7rocprim17ROCPRIM_400000_NS6detail17trampoline_kernelINS0_14default_configENS1_25partition_config_selectorILNS1_17partition_subalgoE9EllbEEZZNS1_14partition_implILS5_9ELb0ES3_jPlS8_PNS0_10empty_typeENS0_5tupleIJS8_S9_EEENSB_IJS8_SA_EEENS0_18inequality_wrapperIZN2at6native12_GLOBAL__N_124unique_dim_cuda_templateIfEESt5tupleIJNSF_6TensorESK_SK_EERKSK_lbbbEUlllE0_EEPmJS9_EEE10hipError_tPvRmT3_T4_T5_T6_T7_T9_mT8_P12ihipStream_tbDpT10_ENKUlT_T0_E_clISt17integral_constantIbLb0EES1A_EEDaS15_S16_EUlS15_E_NS1_11comp_targetILNS1_3genE10ELNS1_11target_archE1200ELNS1_3gpuE4ELNS1_3repE0EEENS1_30default_config_static_selectorELNS0_4arch9wavefront6targetE0EEEvT1_
                                        ; -- End function
	.section	.AMDGPU.csdata,"",@progbits
; Kernel info:
; codeLenInByte = 0
; NumSgprs: 0
; NumVgprs: 0
; ScratchSize: 0
; MemoryBound: 0
; FloatMode: 240
; IeeeMode: 1
; LDSByteSize: 0 bytes/workgroup (compile time only)
; SGPRBlocks: 0
; VGPRBlocks: 0
; NumSGPRsForWavesPerEU: 1
; NumVGPRsForWavesPerEU: 1
; Occupancy: 15
; WaveLimiterHint : 0
; COMPUTE_PGM_RSRC2:SCRATCH_EN: 0
; COMPUTE_PGM_RSRC2:USER_SGPR: 15
; COMPUTE_PGM_RSRC2:TRAP_HANDLER: 0
; COMPUTE_PGM_RSRC2:TGID_X_EN: 1
; COMPUTE_PGM_RSRC2:TGID_Y_EN: 0
; COMPUTE_PGM_RSRC2:TGID_Z_EN: 0
; COMPUTE_PGM_RSRC2:TIDIG_COMP_CNT: 0
	.section	.text._ZN7rocprim17ROCPRIM_400000_NS6detail17trampoline_kernelINS0_14default_configENS1_25partition_config_selectorILNS1_17partition_subalgoE9EllbEEZZNS1_14partition_implILS5_9ELb0ES3_jPlS8_PNS0_10empty_typeENS0_5tupleIJS8_S9_EEENSB_IJS8_SA_EEENS0_18inequality_wrapperIZN2at6native12_GLOBAL__N_124unique_dim_cuda_templateIfEESt5tupleIJNSF_6TensorESK_SK_EERKSK_lbbbEUlllE0_EEPmJS9_EEE10hipError_tPvRmT3_T4_T5_T6_T7_T9_mT8_P12ihipStream_tbDpT10_ENKUlT_T0_E_clISt17integral_constantIbLb0EES1A_EEDaS15_S16_EUlS15_E_NS1_11comp_targetILNS1_3genE9ELNS1_11target_archE1100ELNS1_3gpuE3ELNS1_3repE0EEENS1_30default_config_static_selectorELNS0_4arch9wavefront6targetE0EEEvT1_,"axG",@progbits,_ZN7rocprim17ROCPRIM_400000_NS6detail17trampoline_kernelINS0_14default_configENS1_25partition_config_selectorILNS1_17partition_subalgoE9EllbEEZZNS1_14partition_implILS5_9ELb0ES3_jPlS8_PNS0_10empty_typeENS0_5tupleIJS8_S9_EEENSB_IJS8_SA_EEENS0_18inequality_wrapperIZN2at6native12_GLOBAL__N_124unique_dim_cuda_templateIfEESt5tupleIJNSF_6TensorESK_SK_EERKSK_lbbbEUlllE0_EEPmJS9_EEE10hipError_tPvRmT3_T4_T5_T6_T7_T9_mT8_P12ihipStream_tbDpT10_ENKUlT_T0_E_clISt17integral_constantIbLb0EES1A_EEDaS15_S16_EUlS15_E_NS1_11comp_targetILNS1_3genE9ELNS1_11target_archE1100ELNS1_3gpuE3ELNS1_3repE0EEENS1_30default_config_static_selectorELNS0_4arch9wavefront6targetE0EEEvT1_,comdat
	.globl	_ZN7rocprim17ROCPRIM_400000_NS6detail17trampoline_kernelINS0_14default_configENS1_25partition_config_selectorILNS1_17partition_subalgoE9EllbEEZZNS1_14partition_implILS5_9ELb0ES3_jPlS8_PNS0_10empty_typeENS0_5tupleIJS8_S9_EEENSB_IJS8_SA_EEENS0_18inequality_wrapperIZN2at6native12_GLOBAL__N_124unique_dim_cuda_templateIfEESt5tupleIJNSF_6TensorESK_SK_EERKSK_lbbbEUlllE0_EEPmJS9_EEE10hipError_tPvRmT3_T4_T5_T6_T7_T9_mT8_P12ihipStream_tbDpT10_ENKUlT_T0_E_clISt17integral_constantIbLb0EES1A_EEDaS15_S16_EUlS15_E_NS1_11comp_targetILNS1_3genE9ELNS1_11target_archE1100ELNS1_3gpuE3ELNS1_3repE0EEENS1_30default_config_static_selectorELNS0_4arch9wavefront6targetE0EEEvT1_ ; -- Begin function _ZN7rocprim17ROCPRIM_400000_NS6detail17trampoline_kernelINS0_14default_configENS1_25partition_config_selectorILNS1_17partition_subalgoE9EllbEEZZNS1_14partition_implILS5_9ELb0ES3_jPlS8_PNS0_10empty_typeENS0_5tupleIJS8_S9_EEENSB_IJS8_SA_EEENS0_18inequality_wrapperIZN2at6native12_GLOBAL__N_124unique_dim_cuda_templateIfEESt5tupleIJNSF_6TensorESK_SK_EERKSK_lbbbEUlllE0_EEPmJS9_EEE10hipError_tPvRmT3_T4_T5_T6_T7_T9_mT8_P12ihipStream_tbDpT10_ENKUlT_T0_E_clISt17integral_constantIbLb0EES1A_EEDaS15_S16_EUlS15_E_NS1_11comp_targetILNS1_3genE9ELNS1_11target_archE1100ELNS1_3gpuE3ELNS1_3repE0EEENS1_30default_config_static_selectorELNS0_4arch9wavefront6targetE0EEEvT1_
	.p2align	8
	.type	_ZN7rocprim17ROCPRIM_400000_NS6detail17trampoline_kernelINS0_14default_configENS1_25partition_config_selectorILNS1_17partition_subalgoE9EllbEEZZNS1_14partition_implILS5_9ELb0ES3_jPlS8_PNS0_10empty_typeENS0_5tupleIJS8_S9_EEENSB_IJS8_SA_EEENS0_18inequality_wrapperIZN2at6native12_GLOBAL__N_124unique_dim_cuda_templateIfEESt5tupleIJNSF_6TensorESK_SK_EERKSK_lbbbEUlllE0_EEPmJS9_EEE10hipError_tPvRmT3_T4_T5_T6_T7_T9_mT8_P12ihipStream_tbDpT10_ENKUlT_T0_E_clISt17integral_constantIbLb0EES1A_EEDaS15_S16_EUlS15_E_NS1_11comp_targetILNS1_3genE9ELNS1_11target_archE1100ELNS1_3gpuE3ELNS1_3repE0EEENS1_30default_config_static_selectorELNS0_4arch9wavefront6targetE0EEEvT1_,@function
_ZN7rocprim17ROCPRIM_400000_NS6detail17trampoline_kernelINS0_14default_configENS1_25partition_config_selectorILNS1_17partition_subalgoE9EllbEEZZNS1_14partition_implILS5_9ELb0ES3_jPlS8_PNS0_10empty_typeENS0_5tupleIJS8_S9_EEENSB_IJS8_SA_EEENS0_18inequality_wrapperIZN2at6native12_GLOBAL__N_124unique_dim_cuda_templateIfEESt5tupleIJNSF_6TensorESK_SK_EERKSK_lbbbEUlllE0_EEPmJS9_EEE10hipError_tPvRmT3_T4_T5_T6_T7_T9_mT8_P12ihipStream_tbDpT10_ENKUlT_T0_E_clISt17integral_constantIbLb0EES1A_EEDaS15_S16_EUlS15_E_NS1_11comp_targetILNS1_3genE9ELNS1_11target_archE1100ELNS1_3gpuE3ELNS1_3repE0EEENS1_30default_config_static_selectorELNS0_4arch9wavefront6targetE0EEEvT1_: ; @_ZN7rocprim17ROCPRIM_400000_NS6detail17trampoline_kernelINS0_14default_configENS1_25partition_config_selectorILNS1_17partition_subalgoE9EllbEEZZNS1_14partition_implILS5_9ELb0ES3_jPlS8_PNS0_10empty_typeENS0_5tupleIJS8_S9_EEENSB_IJS8_SA_EEENS0_18inequality_wrapperIZN2at6native12_GLOBAL__N_124unique_dim_cuda_templateIfEESt5tupleIJNSF_6TensorESK_SK_EERKSK_lbbbEUlllE0_EEPmJS9_EEE10hipError_tPvRmT3_T4_T5_T6_T7_T9_mT8_P12ihipStream_tbDpT10_ENKUlT_T0_E_clISt17integral_constantIbLb0EES1A_EEDaS15_S16_EUlS15_E_NS1_11comp_targetILNS1_3genE9ELNS1_11target_archE1100ELNS1_3gpuE3ELNS1_3repE0EEENS1_30default_config_static_selectorELNS0_4arch9wavefront6targetE0EEEvT1_
; %bb.0:
	s_clause 0x3
	s_load_b128 s[4:7], s[0:1], 0x8
	s_load_b32 s8, s[0:1], 0x70
	s_load_b256 s[16:23], s[0:1], 0x40
	s_load_b64 s[24:25], s[0:1], 0x18
	s_mov_b32 s3, 0
	v_lshlrev_b32_e32 v55, 3, v0
	v_lshrrev_b32_e32 v33, 2, v0
	v_or_b32_e32 v38, 0x200, v0
	v_or_b32_e32 v36, 0x400, v0
	;; [unrolled: 1-line block ×7, first 2 shown]
	s_waitcnt lgkmcnt(0)
	s_lshl_b64 s[26:27], s[6:7], 3
	s_delay_alu instid0(SALU_CYCLE_1)
	s_add_u32 s9, s4, s26
	s_addc_u32 s10, s5, s27
	s_add_i32 s11, s8, -1
	s_load_b64 s[12:13], s[18:19], 0x0
	s_lshl_b32 s4, s11, 12
	s_lshl_b32 s5, s8, 12
	s_add_i32 s4, s6, s4
	s_lshl_b32 s2, s15, 12
	s_sub_i32 s28, s20, s4
	s_add_u32 s4, s6, s5
	s_addc_u32 s5, s7, 0
	s_cmp_eq_u32 s15, s11
	v_cmp_ge_u64_e64 s4, s[4:5], s[20:21]
	s_cselect_b32 s14, -1, 0
	s_lshl_b64 s[18:19], s[2:3], 3
	s_mov_b32 s3, -1
	s_delay_alu instid0(VALU_DEP_1) | instskip(NEXT) | instid1(SALU_CYCLE_1)
	s_and_b32 s21, s14, s4
	s_xor_b32 s20, s21, -1
	s_add_u32 s4, s9, s18
	s_addc_u32 s5, s10, s19
	s_and_b32 vcc_lo, exec_lo, s20
	s_cbranch_vccz .LBB967_2
; %bb.1:
	v_add_co_u32 v9, s2, s4, v55
	s_delay_alu instid0(VALU_DEP_1)
	v_add_co_ci_u32_e64 v10, null, s5, 0, s2
	global_load_b64 v[1:2], v55, s[4:5]
	v_add_co_u32 v3, vcc_lo, v9, 0x2000
	v_add_co_ci_u32_e32 v4, vcc_lo, 0, v10, vcc_lo
	v_add_co_u32 v5, vcc_lo, v9, 0x4000
	v_add_co_ci_u32_e32 v6, vcc_lo, 0, v10, vcc_lo
	;; [unrolled: 2-line block ×4, first 2 shown]
	s_clause 0x6
	global_load_b64 v[11:12], v[3:4], off offset:-4096
	global_load_b64 v[3:4], v[3:4], off
	global_load_b64 v[13:14], v[5:6], off offset:-4096
	global_load_b64 v[5:6], v[5:6], off
	;; [unrolled: 2-line block ×3, first 2 shown]
	global_load_b64 v[9:10], v[9:10], off
	v_lshrrev_b32_e32 v18, 2, v38
	v_lshrrev_b32_e32 v19, 2, v36
	;; [unrolled: 1-line block ×4, first 2 shown]
	v_and_b32_e32 v17, 0x78, v33
	v_lshrrev_b32_e32 v22, 2, v37
	v_lshrrev_b32_e32 v23, 2, v34
	;; [unrolled: 1-line block ×3, first 2 shown]
	v_and_b32_e32 v18, 0xf8, v18
	v_and_b32_e32 v19, 0x178, v19
	;; [unrolled: 1-line block ×4, first 2 shown]
	v_add_nc_u32_e32 v17, v17, v55
	v_and_b32_e32 v22, 0x2f8, v22
	v_and_b32_e32 v23, 0x378, v23
	;; [unrolled: 1-line block ×3, first 2 shown]
	v_add_nc_u32_e32 v18, v18, v55
	v_add_nc_u32_e32 v19, v19, v55
	;; [unrolled: 1-line block ×4, first 2 shown]
	s_mov_b32 s3, 0
	v_add_nc_u32_e32 v22, v22, v55
	v_add_nc_u32_e32 v23, v23, v55
	;; [unrolled: 1-line block ×3, first 2 shown]
	s_waitcnt vmcnt(7)
	ds_store_b64 v17, v[1:2]
	s_waitcnt vmcnt(6)
	ds_store_b64 v18, v[11:12] offset:4096
	s_waitcnt vmcnt(5)
	ds_store_b64 v19, v[3:4] offset:8192
	;; [unrolled: 2-line block ×7, first 2 shown]
	s_waitcnt lgkmcnt(0)
	s_barrier
.LBB967_2:
	s_load_b128 s[8:11], s[0:1], 0x60
	v_cmp_gt_u32_e64 s2, s28, v0
	s_and_not1_b32 vcc_lo, exec_lo, s3
	s_cbranch_vccnz .LBB967_20
; %bb.3:
                                        ; implicit-def: $vgpr1_vgpr2_vgpr3_vgpr4_vgpr5_vgpr6_vgpr7_vgpr8_vgpr9_vgpr10_vgpr11_vgpr12_vgpr13_vgpr14_vgpr15_vgpr16
	s_delay_alu instid0(VALU_DEP_1)
	s_and_saveexec_b32 s3, s2
	s_cbranch_execz .LBB967_11
; %bb.4:
	global_load_b64 v[1:2], v55, s[4:5]
	s_or_b32 exec_lo, exec_lo, s3
	s_delay_alu instid0(SALU_CYCLE_1)
	s_mov_b32 s2, exec_lo
	v_cmpx_gt_u32_e64 s28, v38
	s_cbranch_execnz .LBB967_12
.LBB967_5:
	s_or_b32 exec_lo, exec_lo, s2
	s_delay_alu instid0(SALU_CYCLE_1)
	s_mov_b32 s2, exec_lo
	v_cmpx_gt_u32_e64 s28, v36
	s_cbranch_execz .LBB967_13
.LBB967_6:
	v_lshlrev_b32_e32 v5, 3, v36
	global_load_b64 v[5:6], v5, s[4:5]
	s_or_b32 exec_lo, exec_lo, s2
	s_delay_alu instid0(SALU_CYCLE_1)
	s_mov_b32 s2, exec_lo
	v_cmpx_gt_u32_e64 s28, v40
	s_cbranch_execnz .LBB967_14
.LBB967_7:
	s_or_b32 exec_lo, exec_lo, s2
	s_delay_alu instid0(SALU_CYCLE_1)
	s_mov_b32 s2, exec_lo
	v_cmpx_gt_u32_e64 s28, v39
	s_cbranch_execz .LBB967_15
.LBB967_8:
	v_lshlrev_b32_e32 v9, 3, v39
	global_load_b64 v[9:10], v9, s[4:5]
	s_or_b32 exec_lo, exec_lo, s2
	s_delay_alu instid0(SALU_CYCLE_1)
	s_mov_b32 s2, exec_lo
	v_cmpx_gt_u32_e64 s28, v37
	s_cbranch_execnz .LBB967_16
.LBB967_9:
	s_or_b32 exec_lo, exec_lo, s2
	s_delay_alu instid0(SALU_CYCLE_1)
	s_mov_b32 s2, exec_lo
	v_cmpx_gt_u32_e64 s28, v34
	s_cbranch_execz .LBB967_17
.LBB967_10:
	v_lshlrev_b32_e32 v13, 3, v34
	global_load_b64 v[13:14], v13, s[4:5]
	s_or_b32 exec_lo, exec_lo, s2
	s_delay_alu instid0(SALU_CYCLE_1)
	s_mov_b32 s2, exec_lo
	v_cmpx_gt_u32_e64 s28, v35
	s_cbranch_execnz .LBB967_18
	s_branch .LBB967_19
.LBB967_11:
	s_or_b32 exec_lo, exec_lo, s3
	s_delay_alu instid0(SALU_CYCLE_1)
	s_mov_b32 s2, exec_lo
	v_cmpx_gt_u32_e64 s28, v38
	s_cbranch_execz .LBB967_5
.LBB967_12:
	v_lshlrev_b32_e32 v3, 3, v38
	global_load_b64 v[3:4], v3, s[4:5]
	s_or_b32 exec_lo, exec_lo, s2
	s_delay_alu instid0(SALU_CYCLE_1)
	s_mov_b32 s2, exec_lo
	v_cmpx_gt_u32_e64 s28, v36
	s_cbranch_execnz .LBB967_6
.LBB967_13:
	s_or_b32 exec_lo, exec_lo, s2
	s_delay_alu instid0(SALU_CYCLE_1)
	s_mov_b32 s2, exec_lo
	v_cmpx_gt_u32_e64 s28, v40
	s_cbranch_execz .LBB967_7
.LBB967_14:
	v_lshlrev_b32_e32 v7, 3, v40
	global_load_b64 v[7:8], v7, s[4:5]
	s_or_b32 exec_lo, exec_lo, s2
	s_delay_alu instid0(SALU_CYCLE_1)
	s_mov_b32 s2, exec_lo
	v_cmpx_gt_u32_e64 s28, v39
	s_cbranch_execnz .LBB967_8
.LBB967_15:
	s_or_b32 exec_lo, exec_lo, s2
	s_delay_alu instid0(SALU_CYCLE_1)
	s_mov_b32 s2, exec_lo
	v_cmpx_gt_u32_e64 s28, v37
	s_cbranch_execz .LBB967_9
.LBB967_16:
	v_lshlrev_b32_e32 v11, 3, v37
	global_load_b64 v[11:12], v11, s[4:5]
	s_or_b32 exec_lo, exec_lo, s2
	s_delay_alu instid0(SALU_CYCLE_1)
	s_mov_b32 s2, exec_lo
	v_cmpx_gt_u32_e64 s28, v34
	s_cbranch_execnz .LBB967_10
.LBB967_17:
	s_or_b32 exec_lo, exec_lo, s2
	s_delay_alu instid0(SALU_CYCLE_1)
	s_mov_b32 s2, exec_lo
	v_cmpx_gt_u32_e64 s28, v35
	s_cbranch_execz .LBB967_19
.LBB967_18:
	v_lshlrev_b32_e32 v15, 3, v35
	global_load_b64 v[15:16], v15, s[4:5]
.LBB967_19:
	s_or_b32 exec_lo, exec_lo, s2
	v_lshrrev_b32_e32 v17, 2, v38
	v_lshrrev_b32_e32 v18, 2, v36
	;; [unrolled: 1-line block ×4, first 2 shown]
	v_and_b32_e32 v19, 0x78, v33
	v_lshrrev_b32_e32 v22, 2, v37
	v_lshrrev_b32_e32 v23, 2, v34
	;; [unrolled: 1-line block ×3, first 2 shown]
	v_and_b32_e32 v17, 0xf8, v17
	v_and_b32_e32 v18, 0x1f8, v18
	;; [unrolled: 1-line block ×4, first 2 shown]
	v_add_nc_u32_e32 v19, v19, v55
	v_and_b32_e32 v22, 0x3f8, v22
	v_and_b32_e32 v23, 0x3f8, v23
	;; [unrolled: 1-line block ×3, first 2 shown]
	v_add_nc_u32_e32 v17, v17, v55
	v_add_nc_u32_e32 v18, v18, v55
	;; [unrolled: 1-line block ×7, first 2 shown]
	s_waitcnt vmcnt(0)
	ds_store_b64 v19, v[1:2]
	ds_store_b64 v17, v[3:4] offset:4096
	ds_store_b64 v18, v[5:6] offset:8192
	;; [unrolled: 1-line block ×7, first 2 shown]
	s_waitcnt lgkmcnt(0)
	s_barrier
.LBB967_20:
	v_add_lshl_u32 v41, v33, v55, 3
	s_waitcnt lgkmcnt(0)
	buffer_gl0_inv
	s_add_u32 s2, s24, s26
	s_addc_u32 s3, s25, s27
	s_add_u32 s2, s2, s18
	ds_load_2addr_b64 v[29:32], v41 offset1:1
	ds_load_2addr_b64 v[25:28], v41 offset0:2 offset1:3
	ds_load_2addr_b64 v[21:24], v41 offset0:4 offset1:5
	;; [unrolled: 1-line block ×3, first 2 shown]
	s_addc_u32 s3, s3, s19
	s_and_b32 vcc_lo, exec_lo, s20
	s_mov_b32 s18, -1
	s_waitcnt lgkmcnt(0)
	s_barrier
	buffer_gl0_inv
	s_cbranch_vccz .LBB967_22
; %bb.21:
	v_add_co_u32 v9, s18, s2, v55
	s_delay_alu instid0(VALU_DEP_1)
	v_add_co_ci_u32_e64 v10, null, s3, 0, s18
	global_load_b64 v[1:2], v55, s[2:3]
	v_add_co_u32 v3, vcc_lo, v9, 0x2000
	v_add_co_ci_u32_e32 v4, vcc_lo, 0, v10, vcc_lo
	v_add_co_u32 v5, vcc_lo, v9, 0x4000
	v_add_co_ci_u32_e32 v6, vcc_lo, 0, v10, vcc_lo
	;; [unrolled: 2-line block ×4, first 2 shown]
	s_clause 0x6
	global_load_b64 v[11:12], v[3:4], off offset:-4096
	global_load_b64 v[3:4], v[3:4], off
	global_load_b64 v[13:14], v[5:6], off offset:-4096
	global_load_b64 v[5:6], v[5:6], off
	;; [unrolled: 2-line block ×3, first 2 shown]
	global_load_b64 v[9:10], v[9:10], off
	v_lshrrev_b32_e32 v43, 2, v38
	v_lshrrev_b32_e32 v44, 2, v36
	;; [unrolled: 1-line block ×4, first 2 shown]
	v_and_b32_e32 v42, 0x78, v33
	v_lshrrev_b32_e32 v47, 2, v37
	v_lshrrev_b32_e32 v48, 2, v34
	;; [unrolled: 1-line block ×3, first 2 shown]
	v_and_b32_e32 v43, 0xf8, v43
	v_and_b32_e32 v44, 0x178, v44
	;; [unrolled: 1-line block ×4, first 2 shown]
	v_add_nc_u32_e32 v42, v42, v55
	v_and_b32_e32 v47, 0x2f8, v47
	v_and_b32_e32 v48, 0x378, v48
	;; [unrolled: 1-line block ×3, first 2 shown]
	v_add_nc_u32_e32 v43, v43, v55
	v_add_nc_u32_e32 v44, v44, v55
	;; [unrolled: 1-line block ×4, first 2 shown]
	s_mov_b32 s18, 0
	v_add_nc_u32_e32 v47, v47, v55
	v_add_nc_u32_e32 v48, v48, v55
	;; [unrolled: 1-line block ×3, first 2 shown]
	s_waitcnt vmcnt(7)
	ds_store_b64 v42, v[1:2]
	s_waitcnt vmcnt(6)
	ds_store_b64 v43, v[11:12] offset:4096
	s_waitcnt vmcnt(5)
	ds_store_b64 v44, v[3:4] offset:8192
	;; [unrolled: 2-line block ×7, first 2 shown]
	s_waitcnt lgkmcnt(0)
	s_barrier
.LBB967_22:
	s_and_not1_b32 vcc_lo, exec_lo, s18
	s_cbranch_vccnz .LBB967_40
; %bb.23:
	s_mov_b32 s18, exec_lo
                                        ; implicit-def: $vgpr1_vgpr2
	v_cmpx_gt_u32_e64 s28, v0
	s_cbranch_execz .LBB967_25
; %bb.24:
	global_load_b64 v[1:2], v55, s[2:3]
.LBB967_25:
	s_or_b32 exec_lo, exec_lo, s18
	s_delay_alu instid0(SALU_CYCLE_1)
	s_mov_b32 s18, exec_lo
                                        ; implicit-def: $vgpr3_vgpr4
	v_cmpx_gt_u32_e64 s28, v38
	s_cbranch_execz .LBB967_27
; %bb.26:
	v_lshlrev_b32_e32 v3, 3, v38
	global_load_b64 v[3:4], v3, s[2:3]
.LBB967_27:
	s_or_b32 exec_lo, exec_lo, s18
	s_delay_alu instid0(SALU_CYCLE_1)
	s_mov_b32 s18, exec_lo
                                        ; implicit-def: $vgpr5_vgpr6
	v_cmpx_gt_u32_e64 s28, v36
	s_cbranch_execz .LBB967_29
; %bb.28:
	v_lshlrev_b32_e32 v5, 3, v36
	global_load_b64 v[5:6], v5, s[2:3]
.LBB967_29:
	s_or_b32 exec_lo, exec_lo, s18
	s_delay_alu instid0(SALU_CYCLE_1)
	s_mov_b32 s18, exec_lo
                                        ; implicit-def: $vgpr7_vgpr8
	v_cmpx_gt_u32_e64 s28, v40
	s_cbranch_execz .LBB967_31
; %bb.30:
	v_lshlrev_b32_e32 v7, 3, v40
	global_load_b64 v[7:8], v7, s[2:3]
.LBB967_31:
	s_or_b32 exec_lo, exec_lo, s18
	s_delay_alu instid0(SALU_CYCLE_1)
	s_mov_b32 s18, exec_lo
                                        ; implicit-def: $vgpr9_vgpr10
	v_cmpx_gt_u32_e64 s28, v39
	s_cbranch_execz .LBB967_33
; %bb.32:
	v_lshlrev_b32_e32 v9, 3, v39
	global_load_b64 v[9:10], v9, s[2:3]
.LBB967_33:
	s_or_b32 exec_lo, exec_lo, s18
	s_delay_alu instid0(SALU_CYCLE_1)
	s_mov_b32 s18, exec_lo
                                        ; implicit-def: $vgpr11_vgpr12
	v_cmpx_gt_u32_e64 s28, v37
	s_cbranch_execz .LBB967_35
; %bb.34:
	v_lshlrev_b32_e32 v11, 3, v37
	global_load_b64 v[11:12], v11, s[2:3]
.LBB967_35:
	s_or_b32 exec_lo, exec_lo, s18
	s_delay_alu instid0(SALU_CYCLE_1)
	s_mov_b32 s18, exec_lo
                                        ; implicit-def: $vgpr13_vgpr14
	v_cmpx_gt_u32_e64 s28, v34
	s_cbranch_execz .LBB967_37
; %bb.36:
	v_lshlrev_b32_e32 v13, 3, v34
	global_load_b64 v[13:14], v13, s[2:3]
.LBB967_37:
	s_or_b32 exec_lo, exec_lo, s18
	s_delay_alu instid0(SALU_CYCLE_1)
	s_mov_b32 s18, exec_lo
                                        ; implicit-def: $vgpr15_vgpr16
	v_cmpx_gt_u32_e64 s28, v35
	s_cbranch_execz .LBB967_39
; %bb.38:
	v_lshlrev_b32_e32 v15, 3, v35
	global_load_b64 v[15:16], v15, s[2:3]
.LBB967_39:
	s_or_b32 exec_lo, exec_lo, s18
	v_lshrrev_b32_e32 v38, 2, v38
	v_lshrrev_b32_e32 v36, 2, v36
	v_lshrrev_b32_e32 v40, 2, v40
	v_lshrrev_b32_e32 v39, 2, v39
	v_and_b32_e32 v33, 0x78, v33
	v_lshrrev_b32_e32 v37, 2, v37
	v_lshrrev_b32_e32 v34, 2, v34
	;; [unrolled: 1-line block ×3, first 2 shown]
	v_and_b32_e32 v38, 0xf8, v38
	v_and_b32_e32 v36, 0x1f8, v36
	;; [unrolled: 1-line block ×4, first 2 shown]
	v_add_nc_u32_e32 v33, v33, v55
	v_and_b32_e32 v37, 0x3f8, v37
	v_and_b32_e32 v34, 0x3f8, v34
	;; [unrolled: 1-line block ×3, first 2 shown]
	v_add_nc_u32_e32 v38, v38, v55
	v_add_nc_u32_e32 v36, v36, v55
	;; [unrolled: 1-line block ×7, first 2 shown]
	s_waitcnt vmcnt(0)
	ds_store_b64 v33, v[1:2]
	ds_store_b64 v38, v[3:4] offset:4096
	ds_store_b64 v36, v[5:6] offset:8192
	;; [unrolled: 1-line block ×7, first 2 shown]
	s_waitcnt lgkmcnt(0)
	s_barrier
.LBB967_40:
	buffer_gl0_inv
	ds_load_2addr_b64 v[13:16], v41 offset1:1
	ds_load_2addr_b64 v[9:12], v41 offset0:2 offset1:3
	ds_load_2addr_b64 v[5:8], v41 offset0:4 offset1:5
	;; [unrolled: 1-line block ×3, first 2 shown]
	s_cmp_lg_u32 s15, 0
	v_cmp_gt_i64_e64 s25, s[22:23], 0
	s_cselect_b32 s24, -1, 0
	s_cmp_lg_u64 s[6:7], 0
	s_mov_b32 s3, 0
	s_cselect_b32 s2, -1, 0
	s_waitcnt lgkmcnt(0)
	s_or_b32 s2, s24, s2
	s_barrier
	s_and_b32 vcc_lo, exec_lo, s2
	buffer_gl0_inv
	s_cbranch_vccz .LBB967_49
; %bb.41:
	s_add_u32 s2, s4, -8
	s_addc_u32 s3, s5, -1
	v_cndmask_b32_e64 v41, 0, 1, s25
	s_load_b64 s[4:5], s[2:3], 0x0
	s_and_b32 vcc_lo, exec_lo, s20
	ds_store_b64 v55, v[19:20]
	v_cmp_ne_u32_e64 s2, 1, v41
	s_cbranch_vccz .LBB967_50
; %bb.42:
	v_mul_lo_u32 v35, v18, s22
	v_mul_lo_u32 v36, v17, s23
	v_mad_u64_u32 v[33:34], null, v17, s22, 0
	s_mov_b32 s3, 0
	s_and_b32 vcc_lo, exec_lo, s2
	s_mov_b32 s26, 0
	s_delay_alu instid0(VALU_DEP_1) | instskip(NEXT) | instid1(VALU_DEP_1)
	v_add3_u32 v34, v34, v36, v35
	v_lshlrev_b64 v[33:34], 2, v[33:34]
	s_cbranch_vccnz .LBB967_53
; %bb.43:
	v_mul_lo_u32 v37, v20, s22
	v_mul_lo_u32 v38, v19, s23
	v_mad_u64_u32 v[35:36], null, v19, s22, 0
	s_mov_b32 s26, -1
	s_mov_b32 s27, exec_lo
	s_delay_alu instid0(VALU_DEP_1) | instskip(SKIP_2) | instid1(VALU_DEP_3)
	v_add3_u32 v36, v36, v38, v37
	v_add_co_u32 v37, vcc_lo, s8, v33
	v_add_co_ci_u32_e32 v38, vcc_lo, s9, v34, vcc_lo
	v_lshlrev_b64 v[35:36], 2, v[35:36]
	s_delay_alu instid0(VALU_DEP_1) | instskip(NEXT) | instid1(VALU_DEP_2)
	v_add_co_u32 v35, vcc_lo, s8, v35
	v_add_co_ci_u32_e32 v36, vcc_lo, s9, v36, vcc_lo
	s_clause 0x1
	global_load_b32 v39, v[37:38], off
	global_load_b32 v40, v[35:36], off
	s_waitcnt vmcnt(0)
	v_cmpx_eq_f32_e32 v39, v40
	s_cbranch_execz .LBB967_52
; %bb.44:
	v_add_co_u32 v35, vcc_lo, v35, 4
	v_add_co_ci_u32_e32 v36, vcc_lo, 0, v36, vcc_lo
	v_add_co_u32 v37, vcc_lo, v37, 4
	v_add_co_ci_u32_e32 v38, vcc_lo, 0, v38, vcc_lo
	s_add_u32 s6, s22, -1
	s_addc_u32 s7, s23, -1
	s_mov_b64 s[18:19], 0
	s_mov_b32 s26, 0
                                        ; implicit-def: $sgpr29
	s_set_inst_prefetch_distance 0x1
	s_branch .LBB967_47
	.p2align	6
.LBB967_45:                             ;   in Loop: Header=BB967_47 Depth=1
	global_load_b32 v39, v[37:38], off
	global_load_b32 v40, v[35:36], off
	v_add_co_u32 v35, vcc_lo, v35, 4
	v_add_co_ci_u32_e32 v36, vcc_lo, 0, v36, vcc_lo
	v_add_co_u32 v37, s2, v37, 4
	s_delay_alu instid0(VALU_DEP_1)
	v_add_co_ci_u32_e64 v38, s2, 0, v38, s2
	s_add_u32 s18, s18, 1
	s_addc_u32 s19, s19, 0
	s_and_not1_b32 s2, s29, exec_lo
	s_waitcnt vmcnt(0)
	v_cmp_neq_f32_e32 vcc_lo, v39, v40
	s_and_b32 s29, vcc_lo, exec_lo
	s_delay_alu instid0(SALU_CYCLE_1)
	s_or_b32 s29, s2, s29
.LBB967_46:                             ;   in Loop: Header=BB967_47 Depth=1
	v_dual_mov_b32 v40, s19 :: v_dual_mov_b32 v39, s18
	s_and_b32 s2, exec_lo, s29
	s_delay_alu instid0(SALU_CYCLE_1) | instskip(NEXT) | instid1(SALU_CYCLE_1)
	s_or_b32 s26, s2, s26
	s_and_not1_b32 exec_lo, exec_lo, s26
	s_cbranch_execz .LBB967_51
.LBB967_47:                             ; =>This Inner Loop Header: Depth=1
	s_or_b32 s29, s29, exec_lo
	s_cmp_eq_u64 s[6:7], s[18:19]
	s_cbranch_scc0 .LBB967_45
; %bb.48:                               ;   in Loop: Header=BB967_47 Depth=1
	s_mov_b64 s[18:19], s[22:23]
                                        ; implicit-def: $vgpr35_vgpr36
                                        ; implicit-def: $vgpr37_vgpr38
	s_branch .LBB967_46
.LBB967_49:
                                        ; implicit-def: $sgpr2
                                        ; implicit-def: $vgpr34
	s_branch .LBB967_211
.LBB967_50:
                                        ; implicit-def: $sgpr2
                                        ; implicit-def: $vgpr34
	s_cbranch_execnz .LBB967_119
	s_branch .LBB967_210
.LBB967_51:
	s_set_inst_prefetch_distance 0x2
	s_or_b32 exec_lo, exec_lo, s26
	v_cmp_gt_i64_e32 vcc_lo, s[22:23], v[39:40]
	s_or_not1_b32 s26, vcc_lo, exec_lo
.LBB967_52:
	s_or_b32 exec_lo, exec_lo, s27
.LBB967_53:
	v_mul_lo_u32 v37, v24, s22
	v_mul_lo_u32 v38, v23, s23
	v_mad_u64_u32 v[35:36], null, v23, s22, 0
	s_and_not1_b32 vcc_lo, exec_lo, s25
	s_delay_alu instid0(VALU_DEP_1) | instskip(NEXT) | instid1(VALU_DEP_1)
	v_add3_u32 v36, v36, v38, v37
	v_lshlrev_b64 v[35:36], 2, v[35:36]
	s_cbranch_vccnz .LBB967_62
; %bb.54:
	s_delay_alu instid0(VALU_DEP_1) | instskip(NEXT) | instid1(VALU_DEP_2)
	v_add_co_u32 v37, vcc_lo, s8, v35
	v_add_co_ci_u32_e32 v38, vcc_lo, s9, v36, vcc_lo
	v_add_co_u32 v33, vcc_lo, s8, v33
	v_add_co_ci_u32_e32 v34, vcc_lo, s9, v34, vcc_lo
	s_mov_b32 s3, -1
	s_clause 0x1
	global_load_b32 v39, v[37:38], off
	global_load_b32 v40, v[33:34], off
	s_mov_b32 s27, exec_lo
	s_waitcnt vmcnt(0)
	v_cmpx_eq_f32_e32 v39, v40
	s_cbranch_execz .LBB967_61
; %bb.55:
	v_add_co_u32 v33, vcc_lo, v33, 4
	v_add_co_ci_u32_e32 v34, vcc_lo, 0, v34, vcc_lo
	v_add_co_u32 v37, vcc_lo, v37, 4
	v_add_co_ci_u32_e32 v38, vcc_lo, 0, v38, vcc_lo
	s_add_u32 s6, s22, -1
	s_addc_u32 s7, s23, -1
	s_mov_b64 s[18:19], 0
	s_mov_b32 s3, 0
                                        ; implicit-def: $sgpr29
	s_set_inst_prefetch_distance 0x1
	s_branch .LBB967_58
	.p2align	6
.LBB967_56:                             ;   in Loop: Header=BB967_58 Depth=1
	global_load_b32 v39, v[37:38], off
	global_load_b32 v40, v[33:34], off
	v_add_co_u32 v33, vcc_lo, v33, 4
	v_add_co_ci_u32_e32 v34, vcc_lo, 0, v34, vcc_lo
	v_add_co_u32 v37, s2, v37, 4
	s_delay_alu instid0(VALU_DEP_1)
	v_add_co_ci_u32_e64 v38, s2, 0, v38, s2
	s_add_u32 s18, s18, 1
	s_addc_u32 s19, s19, 0
	s_and_not1_b32 s2, s29, exec_lo
	s_waitcnt vmcnt(0)
	v_cmp_neq_f32_e32 vcc_lo, v39, v40
	s_and_b32 s29, vcc_lo, exec_lo
	s_delay_alu instid0(SALU_CYCLE_1)
	s_or_b32 s29, s2, s29
.LBB967_57:                             ;   in Loop: Header=BB967_58 Depth=1
	v_dual_mov_b32 v40, s19 :: v_dual_mov_b32 v39, s18
	s_and_b32 s2, exec_lo, s29
	s_delay_alu instid0(SALU_CYCLE_1) | instskip(NEXT) | instid1(SALU_CYCLE_1)
	s_or_b32 s3, s2, s3
	s_and_not1_b32 exec_lo, exec_lo, s3
	s_cbranch_execz .LBB967_60
.LBB967_58:                             ; =>This Inner Loop Header: Depth=1
	s_or_b32 s29, s29, exec_lo
	s_cmp_eq_u64 s[6:7], s[18:19]
	s_cbranch_scc0 .LBB967_56
; %bb.59:                               ;   in Loop: Header=BB967_58 Depth=1
	s_mov_b64 s[18:19], s[22:23]
                                        ; implicit-def: $vgpr33_vgpr34
                                        ; implicit-def: $vgpr37_vgpr38
	s_branch .LBB967_57
.LBB967_60:
	s_set_inst_prefetch_distance 0x2
	s_or_b32 exec_lo, exec_lo, s3
	v_cmp_gt_i64_e32 vcc_lo, s[22:23], v[39:40]
	s_or_not1_b32 s3, vcc_lo, exec_lo
.LBB967_61:
	s_or_b32 exec_lo, exec_lo, s27
.LBB967_62:
	v_mul_lo_u32 v37, v22, s22
	v_mul_lo_u32 v38, v21, s23
	v_mad_u64_u32 v[33:34], null, v21, s22, 0
	s_mov_b32 s27, 0
	s_and_not1_b32 vcc_lo, exec_lo, s25
	s_mov_b32 s29, 0
	s_delay_alu instid0(VALU_DEP_1) | instskip(NEXT) | instid1(VALU_DEP_1)
	v_add3_u32 v34, v34, v38, v37
	v_lshlrev_b64 v[37:38], 2, v[33:34]
	s_cbranch_vccnz .LBB967_71
; %bb.63:
	s_delay_alu instid0(VALU_DEP_1) | instskip(NEXT) | instid1(VALU_DEP_2)
	v_add_co_u32 v39, vcc_lo, s8, v37
	v_add_co_ci_u32_e32 v40, vcc_lo, s9, v38, vcc_lo
	v_add_co_u32 v33, vcc_lo, s8, v35
	v_add_co_ci_u32_e32 v34, vcc_lo, s9, v36, vcc_lo
	s_mov_b32 s29, -1
	s_clause 0x1
	global_load_b32 v35, v[39:40], off
	global_load_b32 v36, v[33:34], off
	s_mov_b32 s30, exec_lo
	s_waitcnt vmcnt(0)
	v_cmpx_eq_f32_e32 v35, v36
	s_cbranch_execz .LBB967_70
; %bb.64:
	v_add_co_u32 v33, vcc_lo, v33, 4
	v_add_co_ci_u32_e32 v34, vcc_lo, 0, v34, vcc_lo
	v_add_co_u32 v35, vcc_lo, v39, 4
	v_add_co_ci_u32_e32 v36, vcc_lo, 0, v40, vcc_lo
	s_add_u32 s6, s22, -1
	s_addc_u32 s7, s23, -1
	s_mov_b64 s[18:19], 0
	s_mov_b32 s29, 0
                                        ; implicit-def: $sgpr31
	s_set_inst_prefetch_distance 0x1
	s_branch .LBB967_67
	.p2align	6
.LBB967_65:                             ;   in Loop: Header=BB967_67 Depth=1
	global_load_b32 v39, v[35:36], off
	global_load_b32 v40, v[33:34], off
	v_add_co_u32 v33, vcc_lo, v33, 4
	v_add_co_ci_u32_e32 v34, vcc_lo, 0, v34, vcc_lo
	v_add_co_u32 v35, s2, v35, 4
	s_delay_alu instid0(VALU_DEP_1)
	v_add_co_ci_u32_e64 v36, s2, 0, v36, s2
	s_add_u32 s18, s18, 1
	s_addc_u32 s19, s19, 0
	s_and_not1_b32 s2, s31, exec_lo
	s_waitcnt vmcnt(0)
	v_cmp_neq_f32_e32 vcc_lo, v39, v40
	s_and_b32 s31, vcc_lo, exec_lo
	s_delay_alu instid0(SALU_CYCLE_1)
	s_or_b32 s31, s2, s31
.LBB967_66:                             ;   in Loop: Header=BB967_67 Depth=1
	v_dual_mov_b32 v40, s19 :: v_dual_mov_b32 v39, s18
	s_and_b32 s2, exec_lo, s31
	s_delay_alu instid0(SALU_CYCLE_1) | instskip(NEXT) | instid1(SALU_CYCLE_1)
	s_or_b32 s29, s2, s29
	s_and_not1_b32 exec_lo, exec_lo, s29
	s_cbranch_execz .LBB967_69
.LBB967_67:                             ; =>This Inner Loop Header: Depth=1
	s_or_b32 s31, s31, exec_lo
	s_cmp_eq_u64 s[6:7], s[18:19]
	s_cbranch_scc0 .LBB967_65
; %bb.68:                               ;   in Loop: Header=BB967_67 Depth=1
	s_mov_b64 s[18:19], s[22:23]
                                        ; implicit-def: $vgpr33_vgpr34
                                        ; implicit-def: $vgpr35_vgpr36
	s_branch .LBB967_66
.LBB967_69:
	s_set_inst_prefetch_distance 0x2
	s_or_b32 exec_lo, exec_lo, s29
	v_cmp_gt_i64_e32 vcc_lo, s[22:23], v[39:40]
	s_or_not1_b32 s29, vcc_lo, exec_lo
.LBB967_70:
	s_or_b32 exec_lo, exec_lo, s30
.LBB967_71:
	v_mul_lo_u32 v35, v28, s22
	v_mul_lo_u32 v36, v27, s23
	v_mad_u64_u32 v[33:34], null, v27, s22, 0
	s_and_not1_b32 vcc_lo, exec_lo, s25
	s_delay_alu instid0(VALU_DEP_1) | instskip(NEXT) | instid1(VALU_DEP_1)
	v_add3_u32 v34, v34, v36, v35
	v_lshlrev_b64 v[33:34], 2, v[33:34]
	s_cbranch_vccnz .LBB967_80
; %bb.72:
	s_delay_alu instid0(VALU_DEP_1) | instskip(NEXT) | instid1(VALU_DEP_2)
	v_add_co_u32 v39, vcc_lo, s8, v33
	v_add_co_ci_u32_e32 v40, vcc_lo, s9, v34, vcc_lo
	v_add_co_u32 v35, vcc_lo, s8, v37
	v_add_co_ci_u32_e32 v36, vcc_lo, s9, v38, vcc_lo
	s_mov_b32 s27, -1
	s_clause 0x1
	global_load_b32 v37, v[39:40], off
	global_load_b32 v38, v[35:36], off
	s_mov_b32 s30, exec_lo
	s_waitcnt vmcnt(0)
	v_cmpx_eq_f32_e32 v37, v38
	s_cbranch_execz .LBB967_79
; %bb.73:
	v_add_co_u32 v35, vcc_lo, v35, 4
	v_add_co_ci_u32_e32 v36, vcc_lo, 0, v36, vcc_lo
	v_add_co_u32 v37, vcc_lo, v39, 4
	v_add_co_ci_u32_e32 v38, vcc_lo, 0, v40, vcc_lo
	s_add_u32 s6, s22, -1
	s_addc_u32 s7, s23, -1
	s_mov_b64 s[18:19], 0
	s_mov_b32 s27, 0
                                        ; implicit-def: $sgpr31
	s_set_inst_prefetch_distance 0x1
	s_branch .LBB967_76
	.p2align	6
.LBB967_74:                             ;   in Loop: Header=BB967_76 Depth=1
	global_load_b32 v39, v[37:38], off
	global_load_b32 v40, v[35:36], off
	v_add_co_u32 v35, vcc_lo, v35, 4
	v_add_co_ci_u32_e32 v36, vcc_lo, 0, v36, vcc_lo
	v_add_co_u32 v37, s2, v37, 4
	s_delay_alu instid0(VALU_DEP_1)
	v_add_co_ci_u32_e64 v38, s2, 0, v38, s2
	s_add_u32 s18, s18, 1
	s_addc_u32 s19, s19, 0
	s_and_not1_b32 s2, s31, exec_lo
	s_waitcnt vmcnt(0)
	v_cmp_neq_f32_e32 vcc_lo, v39, v40
	s_and_b32 s31, vcc_lo, exec_lo
	s_delay_alu instid0(SALU_CYCLE_1)
	s_or_b32 s31, s2, s31
.LBB967_75:                             ;   in Loop: Header=BB967_76 Depth=1
	v_dual_mov_b32 v40, s19 :: v_dual_mov_b32 v39, s18
	s_and_b32 s2, exec_lo, s31
	s_delay_alu instid0(SALU_CYCLE_1) | instskip(NEXT) | instid1(SALU_CYCLE_1)
	s_or_b32 s27, s2, s27
	s_and_not1_b32 exec_lo, exec_lo, s27
	s_cbranch_execz .LBB967_78
.LBB967_76:                             ; =>This Inner Loop Header: Depth=1
	s_or_b32 s31, s31, exec_lo
	s_cmp_eq_u64 s[6:7], s[18:19]
	s_cbranch_scc0 .LBB967_74
; %bb.77:                               ;   in Loop: Header=BB967_76 Depth=1
	s_mov_b64 s[18:19], s[22:23]
                                        ; implicit-def: $vgpr35_vgpr36
                                        ; implicit-def: $vgpr37_vgpr38
	s_branch .LBB967_75
.LBB967_78:
	s_set_inst_prefetch_distance 0x2
	s_or_b32 exec_lo, exec_lo, s27
	v_cmp_gt_i64_e32 vcc_lo, s[22:23], v[39:40]
	s_or_not1_b32 s27, vcc_lo, exec_lo
.LBB967_79:
	s_or_b32 exec_lo, exec_lo, s30
.LBB967_80:
	v_mul_lo_u32 v37, v26, s22
	v_mul_lo_u32 v38, v25, s23
	v_mad_u64_u32 v[35:36], null, v25, s22, 0
	s_mov_b32 s30, 0
	s_and_not1_b32 vcc_lo, exec_lo, s25
	s_mov_b32 s31, 0
	s_delay_alu instid0(VALU_DEP_1) | instskip(NEXT) | instid1(VALU_DEP_1)
	v_add3_u32 v36, v36, v38, v37
	v_lshlrev_b64 v[37:38], 2, v[35:36]
	s_cbranch_vccnz .LBB967_89
; %bb.81:
	s_delay_alu instid0(VALU_DEP_1) | instskip(NEXT) | instid1(VALU_DEP_2)
	v_add_co_u32 v35, vcc_lo, s8, v37
	v_add_co_ci_u32_e32 v36, vcc_lo, s9, v38, vcc_lo
	v_add_co_u32 v33, vcc_lo, s8, v33
	v_add_co_ci_u32_e32 v34, vcc_lo, s9, v34, vcc_lo
	s_mov_b32 s31, -1
	s_clause 0x1
	global_load_b32 v39, v[35:36], off
	global_load_b32 v40, v[33:34], off
	s_mov_b32 s33, exec_lo
	s_waitcnt vmcnt(0)
	v_cmpx_eq_f32_e32 v39, v40
	s_cbranch_execz .LBB967_88
; %bb.82:
	v_add_co_u32 v33, vcc_lo, v33, 4
	v_add_co_ci_u32_e32 v34, vcc_lo, 0, v34, vcc_lo
	v_add_co_u32 v35, vcc_lo, v35, 4
	v_add_co_ci_u32_e32 v36, vcc_lo, 0, v36, vcc_lo
	s_add_u32 s6, s22, -1
	s_addc_u32 s7, s23, -1
	s_mov_b64 s[18:19], 0
	s_mov_b32 s31, 0
                                        ; implicit-def: $sgpr34
	s_set_inst_prefetch_distance 0x1
	s_branch .LBB967_85
	.p2align	6
.LBB967_83:                             ;   in Loop: Header=BB967_85 Depth=1
	global_load_b32 v39, v[35:36], off
	global_load_b32 v40, v[33:34], off
	v_add_co_u32 v33, vcc_lo, v33, 4
	v_add_co_ci_u32_e32 v34, vcc_lo, 0, v34, vcc_lo
	v_add_co_u32 v35, s2, v35, 4
	s_delay_alu instid0(VALU_DEP_1)
	v_add_co_ci_u32_e64 v36, s2, 0, v36, s2
	s_add_u32 s18, s18, 1
	s_addc_u32 s19, s19, 0
	s_and_not1_b32 s2, s34, exec_lo
	s_waitcnt vmcnt(0)
	v_cmp_neq_f32_e32 vcc_lo, v39, v40
	s_and_b32 s34, vcc_lo, exec_lo
	s_delay_alu instid0(SALU_CYCLE_1)
	s_or_b32 s34, s2, s34
.LBB967_84:                             ;   in Loop: Header=BB967_85 Depth=1
	v_dual_mov_b32 v40, s19 :: v_dual_mov_b32 v39, s18
	s_and_b32 s2, exec_lo, s34
	s_delay_alu instid0(SALU_CYCLE_1) | instskip(NEXT) | instid1(SALU_CYCLE_1)
	s_or_b32 s31, s2, s31
	s_and_not1_b32 exec_lo, exec_lo, s31
	s_cbranch_execz .LBB967_87
.LBB967_85:                             ; =>This Inner Loop Header: Depth=1
	s_or_b32 s34, s34, exec_lo
	s_cmp_eq_u64 s[6:7], s[18:19]
	s_cbranch_scc0 .LBB967_83
; %bb.86:                               ;   in Loop: Header=BB967_85 Depth=1
	s_mov_b64 s[18:19], s[22:23]
                                        ; implicit-def: $vgpr33_vgpr34
                                        ; implicit-def: $vgpr35_vgpr36
	s_branch .LBB967_84
.LBB967_87:
	s_set_inst_prefetch_distance 0x2
	s_or_b32 exec_lo, exec_lo, s31
	v_cmp_gt_i64_e32 vcc_lo, s[22:23], v[39:40]
	s_or_not1_b32 s31, vcc_lo, exec_lo
.LBB967_88:
	s_or_b32 exec_lo, exec_lo, s33
.LBB967_89:
	v_mul_lo_u32 v35, v32, s22
	v_mul_lo_u32 v36, v31, s23
	v_mad_u64_u32 v[33:34], null, v31, s22, 0
	s_and_not1_b32 vcc_lo, exec_lo, s25
	s_delay_alu instid0(VALU_DEP_1) | instskip(NEXT) | instid1(VALU_DEP_1)
	v_add3_u32 v34, v34, v36, v35
	v_lshlrev_b64 v[35:36], 2, v[33:34]
	s_cbranch_vccnz .LBB967_98
; %bb.90:
	s_delay_alu instid0(VALU_DEP_1) | instskip(NEXT) | instid1(VALU_DEP_2)
	v_add_co_u32 v39, vcc_lo, s8, v35
	v_add_co_ci_u32_e32 v40, vcc_lo, s9, v36, vcc_lo
	v_add_co_u32 v33, vcc_lo, s8, v37
	v_add_co_ci_u32_e32 v34, vcc_lo, s9, v38, vcc_lo
	s_mov_b32 s30, -1
	s_clause 0x1
	global_load_b32 v37, v[39:40], off
	global_load_b32 v38, v[33:34], off
	s_mov_b32 s33, exec_lo
	s_waitcnt vmcnt(0)
	v_cmpx_eq_f32_e32 v37, v38
	s_cbranch_execz .LBB967_97
; %bb.91:
	v_add_co_u32 v33, vcc_lo, v33, 4
	v_add_co_ci_u32_e32 v34, vcc_lo, 0, v34, vcc_lo
	v_add_co_u32 v37, vcc_lo, v39, 4
	v_add_co_ci_u32_e32 v38, vcc_lo, 0, v40, vcc_lo
	s_add_u32 s6, s22, -1
	s_addc_u32 s7, s23, -1
	s_mov_b64 s[18:19], 0
	s_mov_b32 s30, 0
                                        ; implicit-def: $sgpr34
	s_set_inst_prefetch_distance 0x1
	s_branch .LBB967_94
	.p2align	6
.LBB967_92:                             ;   in Loop: Header=BB967_94 Depth=1
	global_load_b32 v39, v[37:38], off
	global_load_b32 v40, v[33:34], off
	v_add_co_u32 v33, vcc_lo, v33, 4
	v_add_co_ci_u32_e32 v34, vcc_lo, 0, v34, vcc_lo
	v_add_co_u32 v37, s2, v37, 4
	s_delay_alu instid0(VALU_DEP_1)
	v_add_co_ci_u32_e64 v38, s2, 0, v38, s2
	s_add_u32 s18, s18, 1
	s_addc_u32 s19, s19, 0
	s_and_not1_b32 s2, s34, exec_lo
	s_waitcnt vmcnt(0)
	v_cmp_neq_f32_e32 vcc_lo, v39, v40
	s_and_b32 s34, vcc_lo, exec_lo
	s_delay_alu instid0(SALU_CYCLE_1)
	s_or_b32 s34, s2, s34
.LBB967_93:                             ;   in Loop: Header=BB967_94 Depth=1
	v_dual_mov_b32 v40, s19 :: v_dual_mov_b32 v39, s18
	s_and_b32 s2, exec_lo, s34
	s_delay_alu instid0(SALU_CYCLE_1) | instskip(NEXT) | instid1(SALU_CYCLE_1)
	s_or_b32 s30, s2, s30
	s_and_not1_b32 exec_lo, exec_lo, s30
	s_cbranch_execz .LBB967_96
.LBB967_94:                             ; =>This Inner Loop Header: Depth=1
	s_or_b32 s34, s34, exec_lo
	s_cmp_eq_u64 s[6:7], s[18:19]
	s_cbranch_scc0 .LBB967_92
; %bb.95:                               ;   in Loop: Header=BB967_94 Depth=1
	s_mov_b64 s[18:19], s[22:23]
                                        ; implicit-def: $vgpr33_vgpr34
                                        ; implicit-def: $vgpr37_vgpr38
	s_branch .LBB967_93
.LBB967_96:
	s_set_inst_prefetch_distance 0x2
	s_or_b32 exec_lo, exec_lo, s30
	v_cmp_gt_i64_e32 vcc_lo, s[22:23], v[39:40]
	s_or_not1_b32 s30, vcc_lo, exec_lo
.LBB967_97:
	s_or_b32 exec_lo, exec_lo, s33
.LBB967_98:
	v_mul_lo_u32 v37, v30, s22
	v_mul_lo_u32 v38, v29, s23
	v_mad_u64_u32 v[33:34], null, v29, s22, 0
	s_and_not1_b32 vcc_lo, exec_lo, s25
	s_mov_b32 s2, 0
	s_delay_alu instid0(VALU_DEP_1) | instskip(NEXT) | instid1(VALU_DEP_1)
	v_add3_u32 v34, v34, v38, v37
	v_lshlrev_b64 v[33:34], 2, v[33:34]
	s_cbranch_vccnz .LBB967_107
; %bb.99:
	s_delay_alu instid0(VALU_DEP_1) | instskip(NEXT) | instid1(VALU_DEP_2)
	v_add_co_u32 v37, vcc_lo, s8, v33
	v_add_co_ci_u32_e32 v38, vcc_lo, s9, v34, vcc_lo
	v_add_co_u32 v35, vcc_lo, s8, v35
	v_add_co_ci_u32_e32 v36, vcc_lo, s9, v36, vcc_lo
	s_mov_b32 s2, -1
	s_clause 0x1
	global_load_b32 v39, v[37:38], off
	global_load_b32 v40, v[35:36], off
	s_mov_b32 s33, exec_lo
	s_waitcnt vmcnt(0)
	v_cmpx_eq_f32_e32 v39, v40
	s_cbranch_execz .LBB967_106
; %bb.100:
	v_add_co_u32 v35, vcc_lo, v35, 4
	v_add_co_ci_u32_e32 v36, vcc_lo, 0, v36, vcc_lo
	v_add_co_u32 v37, vcc_lo, v37, 4
	v_add_co_ci_u32_e32 v38, vcc_lo, 0, v38, vcc_lo
	s_add_u32 s6, s22, -1
	s_addc_u32 s7, s23, -1
	s_mov_b64 s[18:19], 0
	s_mov_b32 s34, 0
                                        ; implicit-def: $sgpr35
	s_set_inst_prefetch_distance 0x1
	s_branch .LBB967_103
	.p2align	6
.LBB967_101:                            ;   in Loop: Header=BB967_103 Depth=1
	global_load_b32 v39, v[37:38], off
	global_load_b32 v40, v[35:36], off
	v_add_co_u32 v35, vcc_lo, v35, 4
	v_add_co_ci_u32_e32 v36, vcc_lo, 0, v36, vcc_lo
	v_add_co_u32 v37, s2, v37, 4
	s_delay_alu instid0(VALU_DEP_1)
	v_add_co_ci_u32_e64 v38, s2, 0, v38, s2
	s_add_u32 s18, s18, 1
	s_addc_u32 s19, s19, 0
	s_and_not1_b32 s2, s35, exec_lo
	s_waitcnt vmcnt(0)
	v_cmp_neq_f32_e32 vcc_lo, v39, v40
	s_and_b32 s35, vcc_lo, exec_lo
	s_delay_alu instid0(SALU_CYCLE_1)
	s_or_b32 s35, s2, s35
.LBB967_102:                            ;   in Loop: Header=BB967_103 Depth=1
	v_dual_mov_b32 v40, s19 :: v_dual_mov_b32 v39, s18
	s_and_b32 s2, exec_lo, s35
	s_delay_alu instid0(SALU_CYCLE_1) | instskip(NEXT) | instid1(SALU_CYCLE_1)
	s_or_b32 s34, s2, s34
	s_and_not1_b32 exec_lo, exec_lo, s34
	s_cbranch_execz .LBB967_105
.LBB967_103:                            ; =>This Inner Loop Header: Depth=1
	s_or_b32 s35, s35, exec_lo
	s_cmp_eq_u64 s[6:7], s[18:19]
	s_cbranch_scc0 .LBB967_101
; %bb.104:                              ;   in Loop: Header=BB967_103 Depth=1
	s_mov_b64 s[18:19], s[22:23]
                                        ; implicit-def: $vgpr35_vgpr36
                                        ; implicit-def: $vgpr37_vgpr38
	s_branch .LBB967_102
.LBB967_105:
	s_set_inst_prefetch_distance 0x2
	s_or_b32 exec_lo, exec_lo, s34
	v_cmp_gt_i64_e32 vcc_lo, s[22:23], v[39:40]
	s_or_not1_b32 s2, vcc_lo, exec_lo
.LBB967_106:
	s_or_b32 exec_lo, exec_lo, s33
.LBB967_107:
	s_waitcnt lgkmcnt(0)
	v_dual_mov_b32 v36, s5 :: v_dual_mov_b32 v35, s4
	s_mov_b32 s6, exec_lo
	s_barrier
	buffer_gl0_inv
	v_cmpx_ne_u32_e32 0, v0
	s_cbranch_execz .LBB967_109
; %bb.108:
	v_add_nc_u32_e32 v35, -8, v55
	ds_load_b64 v[35:36], v35
.LBB967_109:
	s_or_b32 exec_lo, exec_lo, s6
	v_cndmask_b32_e64 v38, 0, 1, s31
	v_cndmask_b32_e64 v40, 0, 1, s29
	;; [unrolled: 1-line block ×7, first 2 shown]
	v_lshlrev_b16 v38, 8, v38
	v_lshlrev_b16 v40, 8, v40
	;; [unrolled: 1-line block ×4, first 2 shown]
	s_mov_b32 s3, 0
	v_or_b32_e32 v37, v37, v38
	v_or_b32_e32 v38, v39, v40
	v_or_b32_e32 v44, v44, v42
	v_and_b32_e32 v39, 0xffff, v43
	s_and_not1_b32 vcc_lo, exec_lo, s25
	v_lshlrev_b32_e32 v40, 16, v37
	v_and_b32_e32 v42, 0xffff, v38
	v_lshlrev_b32_e32 v43, 16, v44
	s_mov_b32 s2, 0
	s_cbranch_vccnz .LBB967_118
; %bb.110:
	s_waitcnt lgkmcnt(0)
	v_mul_lo_u32 v38, v36, s22
	v_mul_lo_u32 v44, v35, s23
	v_mad_u64_u32 v[36:37], null, v35, s22, 0
	s_mov_b32 s2, -1
	s_mov_b32 s26, exec_lo
	s_delay_alu instid0(VALU_DEP_1) | instskip(NEXT) | instid1(VALU_DEP_1)
	v_add3_u32 v37, v37, v44, v38
	v_lshlrev_b64 v[35:36], 2, v[36:37]
	s_delay_alu instid0(VALU_DEP_1) | instskip(NEXT) | instid1(VALU_DEP_2)
	v_add_co_u32 v35, vcc_lo, s8, v35
	v_add_co_ci_u32_e32 v36, vcc_lo, s9, v36, vcc_lo
	v_add_co_u32 v33, vcc_lo, s8, v33
	v_add_co_ci_u32_e32 v34, vcc_lo, s9, v34, vcc_lo
	s_clause 0x1
	global_load_b32 v37, v[35:36], off
	global_load_b32 v38, v[33:34], off
	s_waitcnt vmcnt(0)
	v_cmpx_eq_f32_e32 v37, v38
	s_cbranch_execz .LBB967_117
; %bb.111:
	v_add_co_u32 v33, vcc_lo, v33, 4
	v_add_co_ci_u32_e32 v34, vcc_lo, 0, v34, vcc_lo
	v_add_co_u32 v35, vcc_lo, v35, 4
	v_add_co_ci_u32_e32 v36, vcc_lo, 0, v36, vcc_lo
	s_add_u32 s6, s22, -1
	s_addc_u32 s7, s23, -1
	s_mov_b64 s[18:19], 0
	s_mov_b32 s27, 0
                                        ; implicit-def: $sgpr29
	s_set_inst_prefetch_distance 0x1
	s_branch .LBB967_114
	.p2align	6
.LBB967_112:                            ;   in Loop: Header=BB967_114 Depth=1
	global_load_b32 v37, v[35:36], off
	global_load_b32 v38, v[33:34], off
	v_add_co_u32 v33, vcc_lo, v33, 4
	v_add_co_ci_u32_e32 v34, vcc_lo, 0, v34, vcc_lo
	v_add_co_u32 v35, s2, v35, 4
	s_delay_alu instid0(VALU_DEP_1)
	v_add_co_ci_u32_e64 v36, s2, 0, v36, s2
	s_add_u32 s18, s18, 1
	s_addc_u32 s19, s19, 0
	s_and_not1_b32 s2, s29, exec_lo
	s_waitcnt vmcnt(0)
	v_cmp_neq_f32_e32 vcc_lo, v37, v38
	s_and_b32 s29, vcc_lo, exec_lo
	s_delay_alu instid0(SALU_CYCLE_1)
	s_or_b32 s29, s2, s29
.LBB967_113:                            ;   in Loop: Header=BB967_114 Depth=1
	v_dual_mov_b32 v38, s19 :: v_dual_mov_b32 v37, s18
	s_and_b32 s2, exec_lo, s29
	s_delay_alu instid0(SALU_CYCLE_1) | instskip(NEXT) | instid1(SALU_CYCLE_1)
	s_or_b32 s27, s2, s27
	s_and_not1_b32 exec_lo, exec_lo, s27
	s_cbranch_execz .LBB967_116
.LBB967_114:                            ; =>This Inner Loop Header: Depth=1
	s_or_b32 s29, s29, exec_lo
	s_cmp_eq_u64 s[6:7], s[18:19]
	s_cbranch_scc0 .LBB967_112
; %bb.115:                              ;   in Loop: Header=BB967_114 Depth=1
	s_mov_b64 s[18:19], s[22:23]
                                        ; implicit-def: $vgpr33_vgpr34
                                        ; implicit-def: $vgpr35_vgpr36
	s_branch .LBB967_113
.LBB967_116:
	s_set_inst_prefetch_distance 0x2
	s_or_b32 exec_lo, exec_lo, s27
	v_cmp_gt_i64_e32 vcc_lo, s[22:23], v[37:38]
	s_or_not1_b32 s2, vcc_lo, exec_lo
.LBB967_117:
	s_or_b32 exec_lo, exec_lo, s26
.LBB967_118:
	v_or_b32_e32 v33, v39, v40
	s_delay_alu instid0(VALU_DEP_2)
	v_or_b32_e32 v34, v42, v43
	s_and_b32 vcc_lo, exec_lo, s3
	s_cbranch_vccz .LBB967_210
.LBB967_119:
	v_or_b32_e32 v33, 7, v55
	s_mov_b32 s3, 0
	s_mov_b32 s26, 0
	s_mov_b32 s27, exec_lo
	s_delay_alu instid0(VALU_DEP_1)
	v_cmpx_gt_u32_e64 s28, v33
	s_cbranch_execz .LBB967_130
; %bb.120:
	s_and_not1_b32 vcc_lo, exec_lo, s25
	s_mov_b32 s2, 0
	s_cbranch_vccnz .LBB967_129
; %bb.121:
	v_mul_lo_u32 v37, v18, s22
	v_mul_lo_u32 v38, v17, s23
	v_mad_u64_u32 v[33:34], null, v17, s22, 0
	v_mul_lo_u32 v39, v20, s22
	v_mul_lo_u32 v40, v19, s23
	s_waitcnt lgkmcnt(0)
	v_mad_u64_u32 v[35:36], null, v19, s22, 0
	s_mov_b32 s2, -1
	s_mov_b32 s25, exec_lo
	s_delay_alu instid0(VALU_DEP_4) | instskip(NEXT) | instid1(VALU_DEP_2)
	v_add3_u32 v34, v34, v38, v37
	v_add3_u32 v36, v36, v40, v39
	s_delay_alu instid0(VALU_DEP_2) | instskip(NEXT) | instid1(VALU_DEP_2)
	v_lshlrev_b64 v[33:34], 2, v[33:34]
	v_lshlrev_b64 v[37:38], 2, v[35:36]
	s_delay_alu instid0(VALU_DEP_2) | instskip(NEXT) | instid1(VALU_DEP_3)
	v_add_co_u32 v35, vcc_lo, s8, v33
	v_add_co_ci_u32_e32 v36, vcc_lo, s9, v34, vcc_lo
	s_delay_alu instid0(VALU_DEP_3) | instskip(NEXT) | instid1(VALU_DEP_4)
	v_add_co_u32 v33, vcc_lo, s8, v37
	v_add_co_ci_u32_e32 v34, vcc_lo, s9, v38, vcc_lo
	s_clause 0x1
	global_load_b32 v37, v[35:36], off
	global_load_b32 v38, v[33:34], off
	s_waitcnt vmcnt(0)
	v_cmpx_eq_f32_e32 v37, v38
	s_cbranch_execz .LBB967_128
; %bb.122:
	v_add_co_u32 v33, vcc_lo, v33, 4
	v_add_co_ci_u32_e32 v34, vcc_lo, 0, v34, vcc_lo
	v_add_co_u32 v35, vcc_lo, v35, 4
	v_add_co_ci_u32_e32 v36, vcc_lo, 0, v36, vcc_lo
	s_add_u32 s6, s22, -1
	s_addc_u32 s7, s23, -1
	s_mov_b64 s[18:19], 0
                                        ; implicit-def: $sgpr29
	s_set_inst_prefetch_distance 0x1
	s_branch .LBB967_125
	.p2align	6
.LBB967_123:                            ;   in Loop: Header=BB967_125 Depth=1
	global_load_b32 v37, v[35:36], off
	global_load_b32 v38, v[33:34], off
	v_add_co_u32 v33, vcc_lo, v33, 4
	v_add_co_ci_u32_e32 v34, vcc_lo, 0, v34, vcc_lo
	v_add_co_u32 v35, s2, v35, 4
	s_delay_alu instid0(VALU_DEP_1)
	v_add_co_ci_u32_e64 v36, s2, 0, v36, s2
	s_add_u32 s18, s18, 1
	s_addc_u32 s19, s19, 0
	s_and_not1_b32 s2, s29, exec_lo
	s_waitcnt vmcnt(0)
	v_cmp_neq_f32_e32 vcc_lo, v37, v38
	s_and_b32 s29, vcc_lo, exec_lo
	s_delay_alu instid0(SALU_CYCLE_1)
	s_or_b32 s29, s2, s29
.LBB967_124:                            ;   in Loop: Header=BB967_125 Depth=1
	v_dual_mov_b32 v38, s19 :: v_dual_mov_b32 v37, s18
	s_and_b32 s2, exec_lo, s29
	s_delay_alu instid0(SALU_CYCLE_1) | instskip(NEXT) | instid1(SALU_CYCLE_1)
	s_or_b32 s26, s2, s26
	s_and_not1_b32 exec_lo, exec_lo, s26
	s_cbranch_execz .LBB967_127
.LBB967_125:                            ; =>This Inner Loop Header: Depth=1
	s_or_b32 s29, s29, exec_lo
	s_cmp_eq_u64 s[6:7], s[18:19]
	s_cbranch_scc0 .LBB967_123
; %bb.126:                              ;   in Loop: Header=BB967_125 Depth=1
	s_mov_b64 s[18:19], s[22:23]
                                        ; implicit-def: $vgpr33_vgpr34
                                        ; implicit-def: $vgpr35_vgpr36
	s_branch .LBB967_124
.LBB967_127:
	s_set_inst_prefetch_distance 0x2
	s_or_b32 exec_lo, exec_lo, s26
	v_cmp_gt_i64_e32 vcc_lo, s[22:23], v[37:38]
	s_or_not1_b32 s2, vcc_lo, exec_lo
.LBB967_128:
	s_or_b32 exec_lo, exec_lo, s25
.LBB967_129:
	s_delay_alu instid0(SALU_CYCLE_1)
	s_and_b32 s26, s2, exec_lo
.LBB967_130:
	s_or_b32 exec_lo, exec_lo, s27
	v_or_b32_e32 v33, 6, v55
	s_mov_b32 s25, exec_lo
	s_delay_alu instid0(VALU_DEP_1)
	v_cmpx_gt_u32_e64 s28, v33
	s_cbranch_execz .LBB967_141
; %bb.131:
	v_cmp_ne_u32_e32 vcc_lo, 1, v41
	s_mov_b32 s2, 0
	s_cbranch_vccnz .LBB967_140
; %bb.132:
	v_mul_lo_u32 v37, v24, s22
	v_mul_lo_u32 v38, v23, s23
	v_mad_u64_u32 v[33:34], null, v23, s22, 0
	v_mul_lo_u32 v39, v18, s22
	v_mul_lo_u32 v40, v17, s23
	s_waitcnt lgkmcnt(0)
	v_mad_u64_u32 v[35:36], null, v17, s22, 0
	s_mov_b32 s2, -1
	s_mov_b32 s3, exec_lo
	s_delay_alu instid0(VALU_DEP_4) | instskip(NEXT) | instid1(VALU_DEP_2)
	v_add3_u32 v34, v34, v38, v37
	v_add3_u32 v36, v36, v40, v39
	s_delay_alu instid0(VALU_DEP_2) | instskip(NEXT) | instid1(VALU_DEP_2)
	v_lshlrev_b64 v[33:34], 2, v[33:34]
	v_lshlrev_b64 v[37:38], 2, v[35:36]
	s_delay_alu instid0(VALU_DEP_2) | instskip(NEXT) | instid1(VALU_DEP_3)
	v_add_co_u32 v35, vcc_lo, s8, v33
	v_add_co_ci_u32_e32 v36, vcc_lo, s9, v34, vcc_lo
	s_delay_alu instid0(VALU_DEP_3) | instskip(NEXT) | instid1(VALU_DEP_4)
	v_add_co_u32 v33, vcc_lo, s8, v37
	v_add_co_ci_u32_e32 v34, vcc_lo, s9, v38, vcc_lo
	s_clause 0x1
	global_load_b32 v37, v[35:36], off
	global_load_b32 v38, v[33:34], off
	s_waitcnt vmcnt(0)
	v_cmpx_eq_f32_e32 v37, v38
	s_cbranch_execz .LBB967_139
; %bb.133:
	v_add_co_u32 v33, vcc_lo, v33, 4
	v_add_co_ci_u32_e32 v34, vcc_lo, 0, v34, vcc_lo
	v_add_co_u32 v35, vcc_lo, v35, 4
	v_add_co_ci_u32_e32 v36, vcc_lo, 0, v36, vcc_lo
	s_add_u32 s6, s22, -1
	s_addc_u32 s7, s23, -1
	s_mov_b64 s[18:19], 0
	s_mov_b32 s27, 0
                                        ; implicit-def: $sgpr29
	s_set_inst_prefetch_distance 0x1
	s_branch .LBB967_136
	.p2align	6
.LBB967_134:                            ;   in Loop: Header=BB967_136 Depth=1
	global_load_b32 v37, v[35:36], off
	global_load_b32 v38, v[33:34], off
	v_add_co_u32 v33, vcc_lo, v33, 4
	v_add_co_ci_u32_e32 v34, vcc_lo, 0, v34, vcc_lo
	v_add_co_u32 v35, s2, v35, 4
	s_delay_alu instid0(VALU_DEP_1)
	v_add_co_ci_u32_e64 v36, s2, 0, v36, s2
	s_add_u32 s18, s18, 1
	s_addc_u32 s19, s19, 0
	s_and_not1_b32 s2, s29, exec_lo
	s_waitcnt vmcnt(0)
	v_cmp_neq_f32_e32 vcc_lo, v37, v38
	s_and_b32 s29, vcc_lo, exec_lo
	s_delay_alu instid0(SALU_CYCLE_1)
	s_or_b32 s29, s2, s29
.LBB967_135:                            ;   in Loop: Header=BB967_136 Depth=1
	v_dual_mov_b32 v38, s19 :: v_dual_mov_b32 v37, s18
	s_and_b32 s2, exec_lo, s29
	s_delay_alu instid0(SALU_CYCLE_1) | instskip(NEXT) | instid1(SALU_CYCLE_1)
	s_or_b32 s27, s2, s27
	s_and_not1_b32 exec_lo, exec_lo, s27
	s_cbranch_execz .LBB967_138
.LBB967_136:                            ; =>This Inner Loop Header: Depth=1
	s_or_b32 s29, s29, exec_lo
	s_cmp_eq_u64 s[6:7], s[18:19]
	s_cbranch_scc0 .LBB967_134
; %bb.137:                              ;   in Loop: Header=BB967_136 Depth=1
	s_mov_b64 s[18:19], s[22:23]
                                        ; implicit-def: $vgpr33_vgpr34
                                        ; implicit-def: $vgpr35_vgpr36
	s_branch .LBB967_135
.LBB967_138:
	s_set_inst_prefetch_distance 0x2
	s_or_b32 exec_lo, exec_lo, s27
	v_cmp_gt_i64_e32 vcc_lo, s[22:23], v[37:38]
	s_or_not1_b32 s2, vcc_lo, exec_lo
.LBB967_139:
	s_or_b32 exec_lo, exec_lo, s3
.LBB967_140:
	s_delay_alu instid0(SALU_CYCLE_1)
	s_and_b32 s3, s2, exec_lo
.LBB967_141:
	s_or_b32 exec_lo, exec_lo, s25
	v_or_b32_e32 v33, 5, v55
	s_mov_b32 s27, 0
	s_mov_b32 s25, 0
	s_mov_b32 s29, exec_lo
	s_delay_alu instid0(VALU_DEP_1)
	v_cmpx_gt_u32_e64 s28, v33
	s_cbranch_execz .LBB967_152
; %bb.142:
	v_cmp_ne_u32_e32 vcc_lo, 1, v41
	s_mov_b32 s2, 0
	s_cbranch_vccnz .LBB967_151
; %bb.143:
	v_mul_lo_u32 v37, v22, s22
	v_mul_lo_u32 v38, v21, s23
	v_mad_u64_u32 v[33:34], null, v21, s22, 0
	v_mul_lo_u32 v39, v24, s22
	v_mul_lo_u32 v40, v23, s23
	s_waitcnt lgkmcnt(0)
	v_mad_u64_u32 v[35:36], null, v23, s22, 0
	s_mov_b32 s2, -1
	s_mov_b32 s25, exec_lo
	s_delay_alu instid0(VALU_DEP_4) | instskip(NEXT) | instid1(VALU_DEP_2)
	v_add3_u32 v34, v34, v38, v37
	v_add3_u32 v36, v36, v40, v39
	s_delay_alu instid0(VALU_DEP_2) | instskip(NEXT) | instid1(VALU_DEP_2)
	v_lshlrev_b64 v[33:34], 2, v[33:34]
	v_lshlrev_b64 v[37:38], 2, v[35:36]
	s_delay_alu instid0(VALU_DEP_2) | instskip(NEXT) | instid1(VALU_DEP_3)
	v_add_co_u32 v35, vcc_lo, s8, v33
	v_add_co_ci_u32_e32 v36, vcc_lo, s9, v34, vcc_lo
	s_delay_alu instid0(VALU_DEP_3) | instskip(NEXT) | instid1(VALU_DEP_4)
	v_add_co_u32 v33, vcc_lo, s8, v37
	v_add_co_ci_u32_e32 v34, vcc_lo, s9, v38, vcc_lo
	s_clause 0x1
	global_load_b32 v37, v[35:36], off
	global_load_b32 v38, v[33:34], off
	s_waitcnt vmcnt(0)
	v_cmpx_eq_f32_e32 v37, v38
	s_cbranch_execz .LBB967_150
; %bb.144:
	v_add_co_u32 v33, vcc_lo, v33, 4
	v_add_co_ci_u32_e32 v34, vcc_lo, 0, v34, vcc_lo
	v_add_co_u32 v35, vcc_lo, v35, 4
	v_add_co_ci_u32_e32 v36, vcc_lo, 0, v36, vcc_lo
	s_add_u32 s6, s22, -1
	s_addc_u32 s7, s23, -1
	s_mov_b64 s[18:19], 0
	s_mov_b32 s30, 0
                                        ; implicit-def: $sgpr31
	s_set_inst_prefetch_distance 0x1
	s_branch .LBB967_147
	.p2align	6
.LBB967_145:                            ;   in Loop: Header=BB967_147 Depth=1
	global_load_b32 v37, v[35:36], off
	global_load_b32 v38, v[33:34], off
	v_add_co_u32 v33, vcc_lo, v33, 4
	v_add_co_ci_u32_e32 v34, vcc_lo, 0, v34, vcc_lo
	v_add_co_u32 v35, s2, v35, 4
	s_delay_alu instid0(VALU_DEP_1)
	v_add_co_ci_u32_e64 v36, s2, 0, v36, s2
	s_add_u32 s18, s18, 1
	s_addc_u32 s19, s19, 0
	s_and_not1_b32 s2, s31, exec_lo
	s_waitcnt vmcnt(0)
	v_cmp_neq_f32_e32 vcc_lo, v37, v38
	s_and_b32 s31, vcc_lo, exec_lo
	s_delay_alu instid0(SALU_CYCLE_1)
	s_or_b32 s31, s2, s31
.LBB967_146:                            ;   in Loop: Header=BB967_147 Depth=1
	v_dual_mov_b32 v38, s19 :: v_dual_mov_b32 v37, s18
	s_and_b32 s2, exec_lo, s31
	s_delay_alu instid0(SALU_CYCLE_1) | instskip(NEXT) | instid1(SALU_CYCLE_1)
	s_or_b32 s30, s2, s30
	s_and_not1_b32 exec_lo, exec_lo, s30
	s_cbranch_execz .LBB967_149
.LBB967_147:                            ; =>This Inner Loop Header: Depth=1
	s_or_b32 s31, s31, exec_lo
	s_cmp_eq_u64 s[6:7], s[18:19]
	s_cbranch_scc0 .LBB967_145
; %bb.148:                              ;   in Loop: Header=BB967_147 Depth=1
	s_mov_b64 s[18:19], s[22:23]
                                        ; implicit-def: $vgpr33_vgpr34
                                        ; implicit-def: $vgpr35_vgpr36
	s_branch .LBB967_146
.LBB967_149:
	s_set_inst_prefetch_distance 0x2
	s_or_b32 exec_lo, exec_lo, s30
	v_cmp_gt_i64_e32 vcc_lo, s[22:23], v[37:38]
	s_or_not1_b32 s2, vcc_lo, exec_lo
.LBB967_150:
	s_or_b32 exec_lo, exec_lo, s25
.LBB967_151:
	s_delay_alu instid0(SALU_CYCLE_1)
	s_and_b32 s25, s2, exec_lo
.LBB967_152:
	s_or_b32 exec_lo, exec_lo, s29
	v_or_b32_e32 v33, 4, v55
	s_mov_b32 s29, exec_lo
	s_delay_alu instid0(VALU_DEP_1)
	v_cmpx_gt_u32_e64 s28, v33
	s_cbranch_execz .LBB967_163
; %bb.153:
	v_cmp_ne_u32_e32 vcc_lo, 1, v41
	s_mov_b32 s2, 0
	s_cbranch_vccnz .LBB967_162
; %bb.154:
	v_mul_lo_u32 v37, v28, s22
	v_mul_lo_u32 v38, v27, s23
	v_mad_u64_u32 v[33:34], null, v27, s22, 0
	v_mul_lo_u32 v39, v22, s22
	v_mul_lo_u32 v40, v21, s23
	s_waitcnt lgkmcnt(0)
	v_mad_u64_u32 v[35:36], null, v21, s22, 0
	s_mov_b32 s2, -1
	s_mov_b32 s27, exec_lo
	s_delay_alu instid0(VALU_DEP_4) | instskip(NEXT) | instid1(VALU_DEP_2)
	v_add3_u32 v34, v34, v38, v37
	v_add3_u32 v36, v36, v40, v39
	s_delay_alu instid0(VALU_DEP_2) | instskip(NEXT) | instid1(VALU_DEP_2)
	v_lshlrev_b64 v[33:34], 2, v[33:34]
	v_lshlrev_b64 v[37:38], 2, v[35:36]
	s_delay_alu instid0(VALU_DEP_2) | instskip(NEXT) | instid1(VALU_DEP_3)
	v_add_co_u32 v35, vcc_lo, s8, v33
	v_add_co_ci_u32_e32 v36, vcc_lo, s9, v34, vcc_lo
	s_delay_alu instid0(VALU_DEP_3) | instskip(NEXT) | instid1(VALU_DEP_4)
	v_add_co_u32 v33, vcc_lo, s8, v37
	v_add_co_ci_u32_e32 v34, vcc_lo, s9, v38, vcc_lo
	s_clause 0x1
	global_load_b32 v37, v[35:36], off
	global_load_b32 v38, v[33:34], off
	s_waitcnt vmcnt(0)
	v_cmpx_eq_f32_e32 v37, v38
	s_cbranch_execz .LBB967_161
; %bb.155:
	v_add_co_u32 v33, vcc_lo, v33, 4
	v_add_co_ci_u32_e32 v34, vcc_lo, 0, v34, vcc_lo
	v_add_co_u32 v35, vcc_lo, v35, 4
	v_add_co_ci_u32_e32 v36, vcc_lo, 0, v36, vcc_lo
	s_add_u32 s6, s22, -1
	s_addc_u32 s7, s23, -1
	s_mov_b64 s[18:19], 0
	s_mov_b32 s30, 0
                                        ; implicit-def: $sgpr31
	s_set_inst_prefetch_distance 0x1
	s_branch .LBB967_158
	.p2align	6
.LBB967_156:                            ;   in Loop: Header=BB967_158 Depth=1
	global_load_b32 v37, v[35:36], off
	global_load_b32 v38, v[33:34], off
	v_add_co_u32 v33, vcc_lo, v33, 4
	v_add_co_ci_u32_e32 v34, vcc_lo, 0, v34, vcc_lo
	v_add_co_u32 v35, s2, v35, 4
	s_delay_alu instid0(VALU_DEP_1)
	v_add_co_ci_u32_e64 v36, s2, 0, v36, s2
	s_add_u32 s18, s18, 1
	s_addc_u32 s19, s19, 0
	s_and_not1_b32 s2, s31, exec_lo
	s_waitcnt vmcnt(0)
	v_cmp_neq_f32_e32 vcc_lo, v37, v38
	s_and_b32 s31, vcc_lo, exec_lo
	s_delay_alu instid0(SALU_CYCLE_1)
	s_or_b32 s31, s2, s31
.LBB967_157:                            ;   in Loop: Header=BB967_158 Depth=1
	v_dual_mov_b32 v38, s19 :: v_dual_mov_b32 v37, s18
	s_and_b32 s2, exec_lo, s31
	s_delay_alu instid0(SALU_CYCLE_1) | instskip(NEXT) | instid1(SALU_CYCLE_1)
	s_or_b32 s30, s2, s30
	s_and_not1_b32 exec_lo, exec_lo, s30
	s_cbranch_execz .LBB967_160
.LBB967_158:                            ; =>This Inner Loop Header: Depth=1
	s_or_b32 s31, s31, exec_lo
	s_cmp_eq_u64 s[6:7], s[18:19]
	s_cbranch_scc0 .LBB967_156
; %bb.159:                              ;   in Loop: Header=BB967_158 Depth=1
	s_mov_b64 s[18:19], s[22:23]
                                        ; implicit-def: $vgpr33_vgpr34
                                        ; implicit-def: $vgpr35_vgpr36
	s_branch .LBB967_157
.LBB967_160:
	s_set_inst_prefetch_distance 0x2
	s_or_b32 exec_lo, exec_lo, s30
	v_cmp_gt_i64_e32 vcc_lo, s[22:23], v[37:38]
	s_or_not1_b32 s2, vcc_lo, exec_lo
.LBB967_161:
	s_or_b32 exec_lo, exec_lo, s27
.LBB967_162:
	s_delay_alu instid0(SALU_CYCLE_1)
	s_and_b32 s27, s2, exec_lo
.LBB967_163:
	s_or_b32 exec_lo, exec_lo, s29
	v_or_b32_e32 v33, 3, v55
	s_mov_b32 s30, 0
	s_mov_b32 s29, 0
	s_mov_b32 s31, exec_lo
	s_delay_alu instid0(VALU_DEP_1)
	v_cmpx_gt_u32_e64 s28, v33
	s_cbranch_execz .LBB967_174
; %bb.164:
	v_cmp_ne_u32_e32 vcc_lo, 1, v41
	s_mov_b32 s2, 0
	s_cbranch_vccnz .LBB967_173
; %bb.165:
	v_mul_lo_u32 v37, v26, s22
	v_mul_lo_u32 v38, v25, s23
	v_mad_u64_u32 v[33:34], null, v25, s22, 0
	v_mul_lo_u32 v39, v28, s22
	v_mul_lo_u32 v40, v27, s23
	s_waitcnt lgkmcnt(0)
	v_mad_u64_u32 v[35:36], null, v27, s22, 0
	s_mov_b32 s2, -1
	s_mov_b32 s29, exec_lo
	s_delay_alu instid0(VALU_DEP_4) | instskip(NEXT) | instid1(VALU_DEP_2)
	v_add3_u32 v34, v34, v38, v37
	v_add3_u32 v36, v36, v40, v39
	s_delay_alu instid0(VALU_DEP_2) | instskip(NEXT) | instid1(VALU_DEP_2)
	v_lshlrev_b64 v[33:34], 2, v[33:34]
	v_lshlrev_b64 v[37:38], 2, v[35:36]
	s_delay_alu instid0(VALU_DEP_2) | instskip(NEXT) | instid1(VALU_DEP_3)
	v_add_co_u32 v35, vcc_lo, s8, v33
	v_add_co_ci_u32_e32 v36, vcc_lo, s9, v34, vcc_lo
	s_delay_alu instid0(VALU_DEP_3) | instskip(NEXT) | instid1(VALU_DEP_4)
	v_add_co_u32 v33, vcc_lo, s8, v37
	v_add_co_ci_u32_e32 v34, vcc_lo, s9, v38, vcc_lo
	s_clause 0x1
	global_load_b32 v37, v[35:36], off
	global_load_b32 v38, v[33:34], off
	s_waitcnt vmcnt(0)
	v_cmpx_eq_f32_e32 v37, v38
	s_cbranch_execz .LBB967_172
; %bb.166:
	v_add_co_u32 v33, vcc_lo, v33, 4
	v_add_co_ci_u32_e32 v34, vcc_lo, 0, v34, vcc_lo
	v_add_co_u32 v35, vcc_lo, v35, 4
	v_add_co_ci_u32_e32 v36, vcc_lo, 0, v36, vcc_lo
	s_add_u32 s6, s22, -1
	s_addc_u32 s7, s23, -1
	s_mov_b64 s[18:19], 0
	s_mov_b32 s33, 0
                                        ; implicit-def: $sgpr34
	s_set_inst_prefetch_distance 0x1
	s_branch .LBB967_169
	.p2align	6
.LBB967_167:                            ;   in Loop: Header=BB967_169 Depth=1
	global_load_b32 v37, v[35:36], off
	global_load_b32 v38, v[33:34], off
	v_add_co_u32 v33, vcc_lo, v33, 4
	v_add_co_ci_u32_e32 v34, vcc_lo, 0, v34, vcc_lo
	v_add_co_u32 v35, s2, v35, 4
	s_delay_alu instid0(VALU_DEP_1)
	v_add_co_ci_u32_e64 v36, s2, 0, v36, s2
	s_add_u32 s18, s18, 1
	s_addc_u32 s19, s19, 0
	s_and_not1_b32 s2, s34, exec_lo
	s_waitcnt vmcnt(0)
	v_cmp_neq_f32_e32 vcc_lo, v37, v38
	s_and_b32 s34, vcc_lo, exec_lo
	s_delay_alu instid0(SALU_CYCLE_1)
	s_or_b32 s34, s2, s34
.LBB967_168:                            ;   in Loop: Header=BB967_169 Depth=1
	v_dual_mov_b32 v38, s19 :: v_dual_mov_b32 v37, s18
	s_and_b32 s2, exec_lo, s34
	s_delay_alu instid0(SALU_CYCLE_1) | instskip(NEXT) | instid1(SALU_CYCLE_1)
	s_or_b32 s33, s2, s33
	s_and_not1_b32 exec_lo, exec_lo, s33
	s_cbranch_execz .LBB967_171
.LBB967_169:                            ; =>This Inner Loop Header: Depth=1
	s_or_b32 s34, s34, exec_lo
	s_cmp_eq_u64 s[6:7], s[18:19]
	s_cbranch_scc0 .LBB967_167
; %bb.170:                              ;   in Loop: Header=BB967_169 Depth=1
	s_mov_b64 s[18:19], s[22:23]
                                        ; implicit-def: $vgpr33_vgpr34
                                        ; implicit-def: $vgpr35_vgpr36
	s_branch .LBB967_168
.LBB967_171:
	s_set_inst_prefetch_distance 0x2
	s_or_b32 exec_lo, exec_lo, s33
	v_cmp_gt_i64_e32 vcc_lo, s[22:23], v[37:38]
	s_or_not1_b32 s2, vcc_lo, exec_lo
.LBB967_172:
	s_or_b32 exec_lo, exec_lo, s29
.LBB967_173:
	s_delay_alu instid0(SALU_CYCLE_1)
	s_and_b32 s29, s2, exec_lo
.LBB967_174:
	s_or_b32 exec_lo, exec_lo, s31
	v_or_b32_e32 v33, 2, v55
	s_mov_b32 s31, exec_lo
	s_delay_alu instid0(VALU_DEP_1)
	v_cmpx_gt_u32_e64 s28, v33
	s_cbranch_execz .LBB967_185
; %bb.175:
	v_cmp_ne_u32_e32 vcc_lo, 1, v41
	s_mov_b32 s2, 0
	s_cbranch_vccnz .LBB967_184
; %bb.176:
	v_mul_lo_u32 v37, v32, s22
	v_mul_lo_u32 v38, v31, s23
	v_mad_u64_u32 v[33:34], null, v31, s22, 0
	v_mul_lo_u32 v39, v26, s22
	v_mul_lo_u32 v40, v25, s23
	s_waitcnt lgkmcnt(0)
	v_mad_u64_u32 v[35:36], null, v25, s22, 0
	s_mov_b32 s2, -1
	s_mov_b32 s30, exec_lo
	s_delay_alu instid0(VALU_DEP_4) | instskip(NEXT) | instid1(VALU_DEP_2)
	v_add3_u32 v34, v34, v38, v37
	v_add3_u32 v36, v36, v40, v39
	s_delay_alu instid0(VALU_DEP_2) | instskip(NEXT) | instid1(VALU_DEP_2)
	v_lshlrev_b64 v[33:34], 2, v[33:34]
	v_lshlrev_b64 v[37:38], 2, v[35:36]
	s_delay_alu instid0(VALU_DEP_2) | instskip(NEXT) | instid1(VALU_DEP_3)
	v_add_co_u32 v35, vcc_lo, s8, v33
	v_add_co_ci_u32_e32 v36, vcc_lo, s9, v34, vcc_lo
	s_delay_alu instid0(VALU_DEP_3) | instskip(NEXT) | instid1(VALU_DEP_4)
	v_add_co_u32 v33, vcc_lo, s8, v37
	v_add_co_ci_u32_e32 v34, vcc_lo, s9, v38, vcc_lo
	s_clause 0x1
	global_load_b32 v37, v[35:36], off
	global_load_b32 v38, v[33:34], off
	s_waitcnt vmcnt(0)
	v_cmpx_eq_f32_e32 v37, v38
	s_cbranch_execz .LBB967_183
; %bb.177:
	v_add_co_u32 v33, vcc_lo, v33, 4
	v_add_co_ci_u32_e32 v34, vcc_lo, 0, v34, vcc_lo
	v_add_co_u32 v35, vcc_lo, v35, 4
	v_add_co_ci_u32_e32 v36, vcc_lo, 0, v36, vcc_lo
	s_add_u32 s6, s22, -1
	s_addc_u32 s7, s23, -1
	s_mov_b64 s[18:19], 0
	s_mov_b32 s33, 0
                                        ; implicit-def: $sgpr34
	s_set_inst_prefetch_distance 0x1
	s_branch .LBB967_180
	.p2align	6
.LBB967_178:                            ;   in Loop: Header=BB967_180 Depth=1
	global_load_b32 v37, v[35:36], off
	global_load_b32 v38, v[33:34], off
	v_add_co_u32 v33, vcc_lo, v33, 4
	v_add_co_ci_u32_e32 v34, vcc_lo, 0, v34, vcc_lo
	v_add_co_u32 v35, s2, v35, 4
	s_delay_alu instid0(VALU_DEP_1)
	v_add_co_ci_u32_e64 v36, s2, 0, v36, s2
	s_add_u32 s18, s18, 1
	s_addc_u32 s19, s19, 0
	s_and_not1_b32 s2, s34, exec_lo
	s_waitcnt vmcnt(0)
	v_cmp_neq_f32_e32 vcc_lo, v37, v38
	s_and_b32 s34, vcc_lo, exec_lo
	s_delay_alu instid0(SALU_CYCLE_1)
	s_or_b32 s34, s2, s34
.LBB967_179:                            ;   in Loop: Header=BB967_180 Depth=1
	v_dual_mov_b32 v38, s19 :: v_dual_mov_b32 v37, s18
	s_and_b32 s2, exec_lo, s34
	s_delay_alu instid0(SALU_CYCLE_1) | instskip(NEXT) | instid1(SALU_CYCLE_1)
	s_or_b32 s33, s2, s33
	s_and_not1_b32 exec_lo, exec_lo, s33
	s_cbranch_execz .LBB967_182
.LBB967_180:                            ; =>This Inner Loop Header: Depth=1
	s_or_b32 s34, s34, exec_lo
	s_cmp_eq_u64 s[6:7], s[18:19]
	s_cbranch_scc0 .LBB967_178
; %bb.181:                              ;   in Loop: Header=BB967_180 Depth=1
	s_mov_b64 s[18:19], s[22:23]
                                        ; implicit-def: $vgpr33_vgpr34
                                        ; implicit-def: $vgpr35_vgpr36
	s_branch .LBB967_179
.LBB967_182:
	s_set_inst_prefetch_distance 0x2
	s_or_b32 exec_lo, exec_lo, s33
	v_cmp_gt_i64_e32 vcc_lo, s[22:23], v[37:38]
	s_or_not1_b32 s2, vcc_lo, exec_lo
.LBB967_183:
	s_or_b32 exec_lo, exec_lo, s30
.LBB967_184:
	s_delay_alu instid0(SALU_CYCLE_1)
	s_and_b32 s30, s2, exec_lo
.LBB967_185:
	s_or_b32 exec_lo, exec_lo, s31
	v_or_b32_e32 v33, 1, v55
	s_mov_b32 s2, 0
	s_mov_b32 s31, exec_lo
	s_delay_alu instid0(VALU_DEP_1)
	v_cmpx_gt_u32_e64 s28, v33
	s_cbranch_execz .LBB967_196
; %bb.186:
	v_cmp_ne_u32_e32 vcc_lo, 1, v41
	s_cbranch_vccnz .LBB967_195
; %bb.187:
	v_mul_lo_u32 v37, v30, s22
	v_mul_lo_u32 v38, v29, s23
	v_mad_u64_u32 v[33:34], null, v29, s22, 0
	v_mul_lo_u32 v39, v32, s22
	v_mul_lo_u32 v40, v31, s23
	s_waitcnt lgkmcnt(0)
	v_mad_u64_u32 v[35:36], null, v31, s22, 0
	s_mov_b32 s2, -1
	s_mov_b32 s33, exec_lo
	s_delay_alu instid0(VALU_DEP_4) | instskip(NEXT) | instid1(VALU_DEP_2)
	v_add3_u32 v34, v34, v38, v37
	v_add3_u32 v36, v36, v40, v39
	s_delay_alu instid0(VALU_DEP_2) | instskip(NEXT) | instid1(VALU_DEP_2)
	v_lshlrev_b64 v[33:34], 2, v[33:34]
	v_lshlrev_b64 v[37:38], 2, v[35:36]
	s_delay_alu instid0(VALU_DEP_2) | instskip(NEXT) | instid1(VALU_DEP_3)
	v_add_co_u32 v35, vcc_lo, s8, v33
	v_add_co_ci_u32_e32 v36, vcc_lo, s9, v34, vcc_lo
	s_delay_alu instid0(VALU_DEP_3) | instskip(NEXT) | instid1(VALU_DEP_4)
	v_add_co_u32 v33, vcc_lo, s8, v37
	v_add_co_ci_u32_e32 v34, vcc_lo, s9, v38, vcc_lo
	s_clause 0x1
	global_load_b32 v37, v[35:36], off
	global_load_b32 v38, v[33:34], off
	s_waitcnt vmcnt(0)
	v_cmpx_eq_f32_e32 v37, v38
	s_cbranch_execz .LBB967_194
; %bb.188:
	v_add_co_u32 v33, vcc_lo, v33, 4
	v_add_co_ci_u32_e32 v34, vcc_lo, 0, v34, vcc_lo
	v_add_co_u32 v35, vcc_lo, v35, 4
	v_add_co_ci_u32_e32 v36, vcc_lo, 0, v36, vcc_lo
	s_add_u32 s6, s22, -1
	s_addc_u32 s7, s23, -1
	s_mov_b64 s[18:19], 0
	s_mov_b32 s34, 0
                                        ; implicit-def: $sgpr35
	s_set_inst_prefetch_distance 0x1
	s_branch .LBB967_191
	.p2align	6
.LBB967_189:                            ;   in Loop: Header=BB967_191 Depth=1
	global_load_b32 v37, v[35:36], off
	global_load_b32 v38, v[33:34], off
	v_add_co_u32 v33, vcc_lo, v33, 4
	v_add_co_ci_u32_e32 v34, vcc_lo, 0, v34, vcc_lo
	v_add_co_u32 v35, s2, v35, 4
	s_delay_alu instid0(VALU_DEP_1)
	v_add_co_ci_u32_e64 v36, s2, 0, v36, s2
	s_add_u32 s18, s18, 1
	s_addc_u32 s19, s19, 0
	s_and_not1_b32 s2, s35, exec_lo
	s_waitcnt vmcnt(0)
	v_cmp_neq_f32_e32 vcc_lo, v37, v38
	s_and_b32 s35, vcc_lo, exec_lo
	s_delay_alu instid0(SALU_CYCLE_1)
	s_or_b32 s35, s2, s35
.LBB967_190:                            ;   in Loop: Header=BB967_191 Depth=1
	v_dual_mov_b32 v38, s19 :: v_dual_mov_b32 v37, s18
	s_and_b32 s2, exec_lo, s35
	s_delay_alu instid0(SALU_CYCLE_1) | instskip(NEXT) | instid1(SALU_CYCLE_1)
	s_or_b32 s34, s2, s34
	s_and_not1_b32 exec_lo, exec_lo, s34
	s_cbranch_execz .LBB967_193
.LBB967_191:                            ; =>This Inner Loop Header: Depth=1
	s_or_b32 s35, s35, exec_lo
	s_cmp_eq_u64 s[6:7], s[18:19]
	s_cbranch_scc0 .LBB967_189
; %bb.192:                              ;   in Loop: Header=BB967_191 Depth=1
	s_mov_b64 s[18:19], s[22:23]
                                        ; implicit-def: $vgpr33_vgpr34
                                        ; implicit-def: $vgpr35_vgpr36
	s_branch .LBB967_190
.LBB967_193:
	s_set_inst_prefetch_distance 0x2
	s_or_b32 exec_lo, exec_lo, s34
	v_cmp_gt_i64_e32 vcc_lo, s[22:23], v[37:38]
	s_or_not1_b32 s2, vcc_lo, exec_lo
.LBB967_194:
	s_or_b32 exec_lo, exec_lo, s33
.LBB967_195:
	s_delay_alu instid0(SALU_CYCLE_1)
	s_and_b32 s2, s2, exec_lo
.LBB967_196:
	s_or_b32 exec_lo, exec_lo, s31
	s_waitcnt lgkmcnt(0)
	v_dual_mov_b32 v34, s5 :: v_dual_mov_b32 v33, s4
	s_mov_b32 s4, exec_lo
	s_barrier
	buffer_gl0_inv
	v_cmpx_ne_u32_e32 0, v0
	s_cbranch_execz .LBB967_198
; %bb.197:
	v_add_nc_u32_e32 v33, -8, v55
	ds_load_b64 v[33:34], v33
.LBB967_198:
	s_or_b32 exec_lo, exec_lo, s4
	v_cndmask_b32_e64 v36, 0, 1, s29
	v_cndmask_b32_e64 v38, 0, 1, s25
	;; [unrolled: 1-line block ×7, first 2 shown]
	v_lshlrev_b16 v36, 8, v36
	v_lshlrev_b16 v38, 8, v38
	;; [unrolled: 1-line block ×3, first 2 shown]
	s_mov_b32 s2, 0
	v_lshlrev_b16 v42, 8, v42
	v_or_b32_e32 v35, v35, v36
	v_or_b32_e32 v36, v37, v38
	;; [unrolled: 1-line block ×3, first 2 shown]
	s_mov_b32 s3, exec_lo
	v_and_b32_e32 v39, 0xffff, v42
	v_lshlrev_b32_e32 v40, 16, v35
	v_and_b32_e32 v42, 0xffff, v36
	v_lshlrev_b32_e32 v43, 16, v37
	v_cmpx_gt_u32_e64 s28, v55
	s_cbranch_execz .LBB967_209
; %bb.199:
	v_cmp_ne_u32_e32 vcc_lo, 1, v41
	s_cbranch_vccnz .LBB967_208
; %bb.200:
	s_waitcnt lgkmcnt(0)
	v_mul_lo_u32 v38, v34, s22
	v_mul_lo_u32 v41, v33, s23
	v_mad_u64_u32 v[34:35], null, v33, s22, 0
	v_mul_lo_u32 v33, v30, s22
	v_mul_lo_u32 v44, v29, s23
	v_mad_u64_u32 v[36:37], null, v29, s22, 0
	s_mov_b32 s2, -1
	s_mov_b32 s18, exec_lo
	s_delay_alu instid0(VALU_DEP_4) | instskip(NEXT) | instid1(VALU_DEP_2)
	v_add3_u32 v35, v35, v41, v38
	v_add3_u32 v37, v37, v44, v33
	s_delay_alu instid0(VALU_DEP_2) | instskip(NEXT) | instid1(VALU_DEP_2)
	v_lshlrev_b64 v[33:34], 2, v[34:35]
	v_lshlrev_b64 v[37:38], 2, v[36:37]
	s_delay_alu instid0(VALU_DEP_2) | instskip(NEXT) | instid1(VALU_DEP_3)
	v_add_co_u32 v35, vcc_lo, s8, v33
	v_add_co_ci_u32_e32 v36, vcc_lo, s9, v34, vcc_lo
	s_delay_alu instid0(VALU_DEP_3) | instskip(NEXT) | instid1(VALU_DEP_4)
	v_add_co_u32 v33, vcc_lo, s8, v37
	v_add_co_ci_u32_e32 v34, vcc_lo, s9, v38, vcc_lo
	s_clause 0x1
	global_load_b32 v37, v[35:36], off
	global_load_b32 v38, v[33:34], off
	s_waitcnt vmcnt(0)
	v_cmpx_eq_f32_e32 v37, v38
	s_cbranch_execz .LBB967_207
; %bb.201:
	v_add_co_u32 v33, vcc_lo, v33, 4
	v_add_co_ci_u32_e32 v34, vcc_lo, 0, v34, vcc_lo
	v_add_co_u32 v35, vcc_lo, v35, 4
	v_add_co_ci_u32_e32 v36, vcc_lo, 0, v36, vcc_lo
	s_add_u32 s4, s22, -1
	s_addc_u32 s5, s23, -1
	s_mov_b64 s[6:7], 0
	s_mov_b32 s19, 0
                                        ; implicit-def: $sgpr25
	s_set_inst_prefetch_distance 0x1
	s_branch .LBB967_204
	.p2align	6
.LBB967_202:                            ;   in Loop: Header=BB967_204 Depth=1
	global_load_b32 v37, v[35:36], off
	global_load_b32 v38, v[33:34], off
	v_add_co_u32 v33, vcc_lo, v33, 4
	v_add_co_ci_u32_e32 v34, vcc_lo, 0, v34, vcc_lo
	v_add_co_u32 v35, s2, v35, 4
	s_delay_alu instid0(VALU_DEP_1)
	v_add_co_ci_u32_e64 v36, s2, 0, v36, s2
	s_add_u32 s6, s6, 1
	s_addc_u32 s7, s7, 0
	s_and_not1_b32 s2, s25, exec_lo
	s_waitcnt vmcnt(0)
	v_cmp_neq_f32_e32 vcc_lo, v37, v38
	s_and_b32 s25, vcc_lo, exec_lo
	s_delay_alu instid0(SALU_CYCLE_1)
	s_or_b32 s25, s2, s25
.LBB967_203:                            ;   in Loop: Header=BB967_204 Depth=1
	v_dual_mov_b32 v38, s7 :: v_dual_mov_b32 v37, s6
	s_and_b32 s2, exec_lo, s25
	s_delay_alu instid0(SALU_CYCLE_1) | instskip(NEXT) | instid1(SALU_CYCLE_1)
	s_or_b32 s19, s2, s19
	s_and_not1_b32 exec_lo, exec_lo, s19
	s_cbranch_execz .LBB967_206
.LBB967_204:                            ; =>This Inner Loop Header: Depth=1
	s_or_b32 s25, s25, exec_lo
	s_cmp_eq_u64 s[4:5], s[6:7]
	s_cbranch_scc0 .LBB967_202
; %bb.205:                              ;   in Loop: Header=BB967_204 Depth=1
	s_mov_b64 s[6:7], s[22:23]
                                        ; implicit-def: $vgpr33_vgpr34
                                        ; implicit-def: $vgpr35_vgpr36
	s_branch .LBB967_203
.LBB967_206:
	s_set_inst_prefetch_distance 0x2
	s_or_b32 exec_lo, exec_lo, s19
	v_cmp_gt_i64_e32 vcc_lo, s[22:23], v[37:38]
	s_or_not1_b32 s2, vcc_lo, exec_lo
.LBB967_207:
	s_or_b32 exec_lo, exec_lo, s18
.LBB967_208:
	s_delay_alu instid0(SALU_CYCLE_1)
	s_and_b32 s2, s2, exec_lo
.LBB967_209:
	s_or_b32 exec_lo, exec_lo, s3
	s_waitcnt lgkmcnt(0)
	v_or_b32_e32 v33, v39, v40
	v_or_b32_e32 v34, v42, v43
.LBB967_210:
	s_waitcnt lgkmcnt(0)
	s_mov_b32 s3, -1
	s_cbranch_execnz .LBB967_379
.LBB967_211:
	v_cmp_gt_i64_e64 s18, s[22:23], 0
	s_and_b32 vcc_lo, exec_lo, s20
	ds_store_b64 v55, v[19:20]
	s_cbranch_vccz .LBB967_219
; %bb.212:
	v_mul_lo_u32 v35, v18, s22
	v_mul_lo_u32 v36, v17, s23
	v_mad_u64_u32 v[33:34], null, v17, s22, 0
	s_mov_b32 s19, 0
	s_and_not1_b32 vcc_lo, exec_lo, s18
	s_mov_b32 s25, 0
	s_delay_alu instid0(VALU_DEP_1) | instskip(NEXT) | instid1(VALU_DEP_1)
	v_add3_u32 v34, v34, v36, v35
	v_lshlrev_b64 v[33:34], 2, v[33:34]
	s_cbranch_vccnz .LBB967_222
; %bb.213:
	v_mul_lo_u32 v37, v20, s22
	v_mul_lo_u32 v38, v19, s23
	v_mad_u64_u32 v[35:36], null, v19, s22, 0
	s_mov_b32 s25, -1
	s_mov_b32 s26, exec_lo
	s_delay_alu instid0(VALU_DEP_1) | instskip(SKIP_2) | instid1(VALU_DEP_3)
	v_add3_u32 v36, v36, v38, v37
	v_add_co_u32 v37, vcc_lo, s8, v33
	v_add_co_ci_u32_e32 v38, vcc_lo, s9, v34, vcc_lo
	v_lshlrev_b64 v[35:36], 2, v[35:36]
	s_delay_alu instid0(VALU_DEP_1) | instskip(NEXT) | instid1(VALU_DEP_2)
	v_add_co_u32 v35, vcc_lo, s8, v35
	v_add_co_ci_u32_e32 v36, vcc_lo, s9, v36, vcc_lo
	s_clause 0x1
	global_load_b32 v39, v[37:38], off
	global_load_b32 v40, v[35:36], off
	s_waitcnt vmcnt(0)
	v_cmpx_eq_f32_e32 v39, v40
	s_cbranch_execz .LBB967_221
; %bb.214:
	v_add_co_u32 v35, vcc_lo, v35, 4
	v_add_co_ci_u32_e32 v36, vcc_lo, 0, v36, vcc_lo
	v_add_co_u32 v37, vcc_lo, v37, 4
	v_add_co_ci_u32_e32 v38, vcc_lo, 0, v38, vcc_lo
	s_add_u32 s4, s22, -1
	s_addc_u32 s5, s23, -1
	s_mov_b64 s[6:7], 0
	s_mov_b32 s25, 0
                                        ; implicit-def: $sgpr27
	s_set_inst_prefetch_distance 0x1
	s_branch .LBB967_217
	.p2align	6
.LBB967_215:                            ;   in Loop: Header=BB967_217 Depth=1
	global_load_b32 v39, v[37:38], off
	global_load_b32 v40, v[35:36], off
	v_add_co_u32 v35, vcc_lo, v35, 4
	v_add_co_ci_u32_e32 v36, vcc_lo, 0, v36, vcc_lo
	v_add_co_u32 v37, s2, v37, 4
	s_delay_alu instid0(VALU_DEP_1)
	v_add_co_ci_u32_e64 v38, s2, 0, v38, s2
	s_add_u32 s6, s6, 1
	s_addc_u32 s7, s7, 0
	s_and_not1_b32 s2, s27, exec_lo
	s_waitcnt vmcnt(0)
	v_cmp_neq_f32_e32 vcc_lo, v39, v40
	s_and_b32 s27, vcc_lo, exec_lo
	s_delay_alu instid0(SALU_CYCLE_1)
	s_or_b32 s27, s2, s27
.LBB967_216:                            ;   in Loop: Header=BB967_217 Depth=1
	v_dual_mov_b32 v40, s7 :: v_dual_mov_b32 v39, s6
	s_and_b32 s2, exec_lo, s27
	s_delay_alu instid0(SALU_CYCLE_1) | instskip(NEXT) | instid1(SALU_CYCLE_1)
	s_or_b32 s25, s2, s25
	s_and_not1_b32 exec_lo, exec_lo, s25
	s_cbranch_execz .LBB967_220
.LBB967_217:                            ; =>This Inner Loop Header: Depth=1
	s_or_b32 s27, s27, exec_lo
	s_cmp_eq_u64 s[4:5], s[6:7]
	s_cbranch_scc0 .LBB967_215
; %bb.218:                              ;   in Loop: Header=BB967_217 Depth=1
	s_mov_b64 s[6:7], s[22:23]
                                        ; implicit-def: $vgpr35_vgpr36
                                        ; implicit-def: $vgpr37_vgpr38
	s_branch .LBB967_216
.LBB967_219:
                                        ; implicit-def: $sgpr2
                                        ; implicit-def: $vgpr34
	s_cbranch_execnz .LBB967_288
	s_branch .LBB967_379
.LBB967_220:
	s_set_inst_prefetch_distance 0x2
	s_or_b32 exec_lo, exec_lo, s25
	v_cmp_gt_i64_e32 vcc_lo, s[22:23], v[39:40]
	s_or_not1_b32 s25, vcc_lo, exec_lo
.LBB967_221:
	s_or_b32 exec_lo, exec_lo, s26
.LBB967_222:
	v_mul_lo_u32 v37, v24, s22
	v_mul_lo_u32 v38, v23, s23
	v_mad_u64_u32 v[35:36], null, v23, s22, 0
	s_and_not1_b32 vcc_lo, exec_lo, s18
	s_delay_alu instid0(VALU_DEP_1) | instskip(NEXT) | instid1(VALU_DEP_1)
	v_add3_u32 v36, v36, v38, v37
	v_lshlrev_b64 v[35:36], 2, v[35:36]
	s_cbranch_vccnz .LBB967_231
; %bb.223:
	s_delay_alu instid0(VALU_DEP_1) | instskip(NEXT) | instid1(VALU_DEP_2)
	v_add_co_u32 v37, vcc_lo, s8, v35
	v_add_co_ci_u32_e32 v38, vcc_lo, s9, v36, vcc_lo
	v_add_co_u32 v33, vcc_lo, s8, v33
	v_add_co_ci_u32_e32 v34, vcc_lo, s9, v34, vcc_lo
	s_mov_b32 s19, -1
	s_clause 0x1
	global_load_b32 v39, v[37:38], off
	global_load_b32 v40, v[33:34], off
	s_mov_b32 s26, exec_lo
	s_waitcnt vmcnt(0)
	v_cmpx_eq_f32_e32 v39, v40
	s_cbranch_execz .LBB967_230
; %bb.224:
	v_add_co_u32 v33, vcc_lo, v33, 4
	v_add_co_ci_u32_e32 v34, vcc_lo, 0, v34, vcc_lo
	v_add_co_u32 v37, vcc_lo, v37, 4
	v_add_co_ci_u32_e32 v38, vcc_lo, 0, v38, vcc_lo
	s_add_u32 s4, s22, -1
	s_addc_u32 s5, s23, -1
	s_mov_b64 s[6:7], 0
	s_mov_b32 s19, 0
                                        ; implicit-def: $sgpr27
	s_set_inst_prefetch_distance 0x1
	s_branch .LBB967_227
	.p2align	6
.LBB967_225:                            ;   in Loop: Header=BB967_227 Depth=1
	global_load_b32 v39, v[37:38], off
	global_load_b32 v40, v[33:34], off
	v_add_co_u32 v33, vcc_lo, v33, 4
	v_add_co_ci_u32_e32 v34, vcc_lo, 0, v34, vcc_lo
	v_add_co_u32 v37, s2, v37, 4
	s_delay_alu instid0(VALU_DEP_1)
	v_add_co_ci_u32_e64 v38, s2, 0, v38, s2
	s_add_u32 s6, s6, 1
	s_addc_u32 s7, s7, 0
	s_and_not1_b32 s2, s27, exec_lo
	s_waitcnt vmcnt(0)
	v_cmp_neq_f32_e32 vcc_lo, v39, v40
	s_and_b32 s27, vcc_lo, exec_lo
	s_delay_alu instid0(SALU_CYCLE_1)
	s_or_b32 s27, s2, s27
.LBB967_226:                            ;   in Loop: Header=BB967_227 Depth=1
	v_dual_mov_b32 v40, s7 :: v_dual_mov_b32 v39, s6
	s_and_b32 s2, exec_lo, s27
	s_delay_alu instid0(SALU_CYCLE_1) | instskip(NEXT) | instid1(SALU_CYCLE_1)
	s_or_b32 s19, s2, s19
	s_and_not1_b32 exec_lo, exec_lo, s19
	s_cbranch_execz .LBB967_229
.LBB967_227:                            ; =>This Inner Loop Header: Depth=1
	s_or_b32 s27, s27, exec_lo
	s_cmp_eq_u64 s[4:5], s[6:7]
	s_cbranch_scc0 .LBB967_225
; %bb.228:                              ;   in Loop: Header=BB967_227 Depth=1
	s_mov_b64 s[6:7], s[22:23]
                                        ; implicit-def: $vgpr33_vgpr34
                                        ; implicit-def: $vgpr37_vgpr38
	s_branch .LBB967_226
.LBB967_229:
	s_set_inst_prefetch_distance 0x2
	s_or_b32 exec_lo, exec_lo, s19
	v_cmp_gt_i64_e32 vcc_lo, s[22:23], v[39:40]
	s_or_not1_b32 s19, vcc_lo, exec_lo
.LBB967_230:
	s_or_b32 exec_lo, exec_lo, s26
.LBB967_231:
	v_mul_lo_u32 v37, v22, s22
	v_mul_lo_u32 v38, v21, s23
	v_mad_u64_u32 v[33:34], null, v21, s22, 0
	s_mov_b32 s26, 0
	s_and_not1_b32 vcc_lo, exec_lo, s18
	s_mov_b32 s27, 0
	s_delay_alu instid0(VALU_DEP_1) | instskip(NEXT) | instid1(VALU_DEP_1)
	v_add3_u32 v34, v34, v38, v37
	v_lshlrev_b64 v[37:38], 2, v[33:34]
	s_cbranch_vccnz .LBB967_240
; %bb.232:
	s_delay_alu instid0(VALU_DEP_1) | instskip(NEXT) | instid1(VALU_DEP_2)
	v_add_co_u32 v39, vcc_lo, s8, v37
	v_add_co_ci_u32_e32 v40, vcc_lo, s9, v38, vcc_lo
	v_add_co_u32 v33, vcc_lo, s8, v35
	v_add_co_ci_u32_e32 v34, vcc_lo, s9, v36, vcc_lo
	s_mov_b32 s27, -1
	s_clause 0x1
	global_load_b32 v35, v[39:40], off
	global_load_b32 v36, v[33:34], off
	s_mov_b32 s29, exec_lo
	s_waitcnt vmcnt(0)
	v_cmpx_eq_f32_e32 v35, v36
	s_cbranch_execz .LBB967_239
; %bb.233:
	v_add_co_u32 v33, vcc_lo, v33, 4
	v_add_co_ci_u32_e32 v34, vcc_lo, 0, v34, vcc_lo
	v_add_co_u32 v35, vcc_lo, v39, 4
	v_add_co_ci_u32_e32 v36, vcc_lo, 0, v40, vcc_lo
	s_add_u32 s4, s22, -1
	s_addc_u32 s5, s23, -1
	s_mov_b64 s[6:7], 0
	s_mov_b32 s27, 0
                                        ; implicit-def: $sgpr30
	s_set_inst_prefetch_distance 0x1
	s_branch .LBB967_236
	.p2align	6
.LBB967_234:                            ;   in Loop: Header=BB967_236 Depth=1
	global_load_b32 v39, v[35:36], off
	global_load_b32 v40, v[33:34], off
	v_add_co_u32 v33, vcc_lo, v33, 4
	v_add_co_ci_u32_e32 v34, vcc_lo, 0, v34, vcc_lo
	v_add_co_u32 v35, s2, v35, 4
	s_delay_alu instid0(VALU_DEP_1)
	v_add_co_ci_u32_e64 v36, s2, 0, v36, s2
	s_add_u32 s6, s6, 1
	s_addc_u32 s7, s7, 0
	s_and_not1_b32 s2, s30, exec_lo
	s_waitcnt vmcnt(0)
	v_cmp_neq_f32_e32 vcc_lo, v39, v40
	s_and_b32 s30, vcc_lo, exec_lo
	s_delay_alu instid0(SALU_CYCLE_1)
	s_or_b32 s30, s2, s30
.LBB967_235:                            ;   in Loop: Header=BB967_236 Depth=1
	v_dual_mov_b32 v40, s7 :: v_dual_mov_b32 v39, s6
	s_and_b32 s2, exec_lo, s30
	s_delay_alu instid0(SALU_CYCLE_1) | instskip(NEXT) | instid1(SALU_CYCLE_1)
	s_or_b32 s27, s2, s27
	s_and_not1_b32 exec_lo, exec_lo, s27
	s_cbranch_execz .LBB967_238
.LBB967_236:                            ; =>This Inner Loop Header: Depth=1
	s_or_b32 s30, s30, exec_lo
	s_cmp_eq_u64 s[4:5], s[6:7]
	s_cbranch_scc0 .LBB967_234
; %bb.237:                              ;   in Loop: Header=BB967_236 Depth=1
	s_mov_b64 s[6:7], s[22:23]
                                        ; implicit-def: $vgpr33_vgpr34
                                        ; implicit-def: $vgpr35_vgpr36
	s_branch .LBB967_235
.LBB967_238:
	s_set_inst_prefetch_distance 0x2
	s_or_b32 exec_lo, exec_lo, s27
	v_cmp_gt_i64_e32 vcc_lo, s[22:23], v[39:40]
	s_or_not1_b32 s27, vcc_lo, exec_lo
.LBB967_239:
	s_or_b32 exec_lo, exec_lo, s29
.LBB967_240:
	v_mul_lo_u32 v35, v28, s22
	v_mul_lo_u32 v36, v27, s23
	v_mad_u64_u32 v[33:34], null, v27, s22, 0
	s_and_not1_b32 vcc_lo, exec_lo, s18
	s_delay_alu instid0(VALU_DEP_1) | instskip(NEXT) | instid1(VALU_DEP_1)
	v_add3_u32 v34, v34, v36, v35
	v_lshlrev_b64 v[33:34], 2, v[33:34]
	s_cbranch_vccnz .LBB967_249
; %bb.241:
	s_delay_alu instid0(VALU_DEP_1) | instskip(NEXT) | instid1(VALU_DEP_2)
	v_add_co_u32 v39, vcc_lo, s8, v33
	v_add_co_ci_u32_e32 v40, vcc_lo, s9, v34, vcc_lo
	v_add_co_u32 v35, vcc_lo, s8, v37
	v_add_co_ci_u32_e32 v36, vcc_lo, s9, v38, vcc_lo
	s_mov_b32 s26, -1
	s_clause 0x1
	global_load_b32 v37, v[39:40], off
	global_load_b32 v38, v[35:36], off
	s_mov_b32 s29, exec_lo
	s_waitcnt vmcnt(0)
	v_cmpx_eq_f32_e32 v37, v38
	s_cbranch_execz .LBB967_248
; %bb.242:
	v_add_co_u32 v35, vcc_lo, v35, 4
	v_add_co_ci_u32_e32 v36, vcc_lo, 0, v36, vcc_lo
	v_add_co_u32 v37, vcc_lo, v39, 4
	v_add_co_ci_u32_e32 v38, vcc_lo, 0, v40, vcc_lo
	s_add_u32 s4, s22, -1
	s_addc_u32 s5, s23, -1
	s_mov_b64 s[6:7], 0
	s_mov_b32 s26, 0
                                        ; implicit-def: $sgpr30
	s_set_inst_prefetch_distance 0x1
	s_branch .LBB967_245
	.p2align	6
.LBB967_243:                            ;   in Loop: Header=BB967_245 Depth=1
	global_load_b32 v39, v[37:38], off
	global_load_b32 v40, v[35:36], off
	v_add_co_u32 v35, vcc_lo, v35, 4
	v_add_co_ci_u32_e32 v36, vcc_lo, 0, v36, vcc_lo
	v_add_co_u32 v37, s2, v37, 4
	s_delay_alu instid0(VALU_DEP_1)
	v_add_co_ci_u32_e64 v38, s2, 0, v38, s2
	s_add_u32 s6, s6, 1
	s_addc_u32 s7, s7, 0
	s_and_not1_b32 s2, s30, exec_lo
	s_waitcnt vmcnt(0)
	v_cmp_neq_f32_e32 vcc_lo, v39, v40
	s_and_b32 s30, vcc_lo, exec_lo
	s_delay_alu instid0(SALU_CYCLE_1)
	s_or_b32 s30, s2, s30
.LBB967_244:                            ;   in Loop: Header=BB967_245 Depth=1
	v_dual_mov_b32 v40, s7 :: v_dual_mov_b32 v39, s6
	s_and_b32 s2, exec_lo, s30
	s_delay_alu instid0(SALU_CYCLE_1) | instskip(NEXT) | instid1(SALU_CYCLE_1)
	s_or_b32 s26, s2, s26
	s_and_not1_b32 exec_lo, exec_lo, s26
	s_cbranch_execz .LBB967_247
.LBB967_245:                            ; =>This Inner Loop Header: Depth=1
	s_or_b32 s30, s30, exec_lo
	s_cmp_eq_u64 s[4:5], s[6:7]
	s_cbranch_scc0 .LBB967_243
; %bb.246:                              ;   in Loop: Header=BB967_245 Depth=1
	s_mov_b64 s[6:7], s[22:23]
                                        ; implicit-def: $vgpr35_vgpr36
                                        ; implicit-def: $vgpr37_vgpr38
	s_branch .LBB967_244
.LBB967_247:
	s_set_inst_prefetch_distance 0x2
	s_or_b32 exec_lo, exec_lo, s26
	v_cmp_gt_i64_e32 vcc_lo, s[22:23], v[39:40]
	s_or_not1_b32 s26, vcc_lo, exec_lo
.LBB967_248:
	s_or_b32 exec_lo, exec_lo, s29
.LBB967_249:
	v_mul_lo_u32 v37, v26, s22
	v_mul_lo_u32 v38, v25, s23
	v_mad_u64_u32 v[35:36], null, v25, s22, 0
	s_mov_b32 s29, 0
	s_and_not1_b32 vcc_lo, exec_lo, s18
	s_mov_b32 s30, 0
	s_delay_alu instid0(VALU_DEP_1) | instskip(NEXT) | instid1(VALU_DEP_1)
	v_add3_u32 v36, v36, v38, v37
	v_lshlrev_b64 v[35:36], 2, v[35:36]
	s_cbranch_vccnz .LBB967_258
; %bb.250:
	s_delay_alu instid0(VALU_DEP_1) | instskip(NEXT) | instid1(VALU_DEP_2)
	v_add_co_u32 v37, vcc_lo, s8, v35
	v_add_co_ci_u32_e32 v38, vcc_lo, s9, v36, vcc_lo
	v_add_co_u32 v33, vcc_lo, s8, v33
	v_add_co_ci_u32_e32 v34, vcc_lo, s9, v34, vcc_lo
	s_mov_b32 s30, -1
	s_clause 0x1
	global_load_b32 v39, v[37:38], off
	global_load_b32 v40, v[33:34], off
	s_mov_b32 s31, exec_lo
	s_waitcnt vmcnt(0)
	v_cmpx_eq_f32_e32 v39, v40
	s_cbranch_execz .LBB967_257
; %bb.251:
	v_add_co_u32 v33, vcc_lo, v33, 4
	v_add_co_ci_u32_e32 v34, vcc_lo, 0, v34, vcc_lo
	v_add_co_u32 v37, vcc_lo, v37, 4
	v_add_co_ci_u32_e32 v38, vcc_lo, 0, v38, vcc_lo
	s_add_u32 s4, s22, -1
	s_addc_u32 s5, s23, -1
	s_mov_b64 s[6:7], 0
	s_mov_b32 s30, 0
                                        ; implicit-def: $sgpr33
	s_set_inst_prefetch_distance 0x1
	s_branch .LBB967_254
	.p2align	6
.LBB967_252:                            ;   in Loop: Header=BB967_254 Depth=1
	global_load_b32 v39, v[37:38], off
	global_load_b32 v40, v[33:34], off
	v_add_co_u32 v33, vcc_lo, v33, 4
	v_add_co_ci_u32_e32 v34, vcc_lo, 0, v34, vcc_lo
	v_add_co_u32 v37, s2, v37, 4
	s_delay_alu instid0(VALU_DEP_1)
	v_add_co_ci_u32_e64 v38, s2, 0, v38, s2
	s_add_u32 s6, s6, 1
	s_addc_u32 s7, s7, 0
	s_and_not1_b32 s2, s33, exec_lo
	s_waitcnt vmcnt(0)
	v_cmp_neq_f32_e32 vcc_lo, v39, v40
	s_and_b32 s33, vcc_lo, exec_lo
	s_delay_alu instid0(SALU_CYCLE_1)
	s_or_b32 s33, s2, s33
.LBB967_253:                            ;   in Loop: Header=BB967_254 Depth=1
	v_dual_mov_b32 v40, s7 :: v_dual_mov_b32 v39, s6
	s_and_b32 s2, exec_lo, s33
	s_delay_alu instid0(SALU_CYCLE_1) | instskip(NEXT) | instid1(SALU_CYCLE_1)
	s_or_b32 s30, s2, s30
	s_and_not1_b32 exec_lo, exec_lo, s30
	s_cbranch_execz .LBB967_256
.LBB967_254:                            ; =>This Inner Loop Header: Depth=1
	s_or_b32 s33, s33, exec_lo
	s_cmp_eq_u64 s[4:5], s[6:7]
	s_cbranch_scc0 .LBB967_252
; %bb.255:                              ;   in Loop: Header=BB967_254 Depth=1
	s_mov_b64 s[6:7], s[22:23]
                                        ; implicit-def: $vgpr33_vgpr34
                                        ; implicit-def: $vgpr37_vgpr38
	s_branch .LBB967_253
.LBB967_256:
	s_set_inst_prefetch_distance 0x2
	s_or_b32 exec_lo, exec_lo, s30
	v_cmp_gt_i64_e32 vcc_lo, s[22:23], v[39:40]
	s_or_not1_b32 s30, vcc_lo, exec_lo
.LBB967_257:
	s_or_b32 exec_lo, exec_lo, s31
.LBB967_258:
	v_mul_lo_u32 v37, v32, s22
	v_mul_lo_u32 v38, v31, s23
	v_mad_u64_u32 v[33:34], null, v31, s22, 0
	s_and_not1_b32 vcc_lo, exec_lo, s18
	s_delay_alu instid0(VALU_DEP_1) | instskip(NEXT) | instid1(VALU_DEP_1)
	v_add3_u32 v34, v34, v38, v37
	v_lshlrev_b64 v[33:34], 2, v[33:34]
	s_cbranch_vccnz .LBB967_267
; %bb.259:
	s_delay_alu instid0(VALU_DEP_1) | instskip(NEXT) | instid1(VALU_DEP_2)
	v_add_co_u32 v37, vcc_lo, s8, v33
	v_add_co_ci_u32_e32 v38, vcc_lo, s9, v34, vcc_lo
	v_add_co_u32 v35, vcc_lo, s8, v35
	v_add_co_ci_u32_e32 v36, vcc_lo, s9, v36, vcc_lo
	s_mov_b32 s29, -1
	s_clause 0x1
	global_load_b32 v39, v[37:38], off
	global_load_b32 v40, v[35:36], off
	s_mov_b32 s31, exec_lo
	s_waitcnt vmcnt(0)
	v_cmpx_eq_f32_e32 v39, v40
	s_cbranch_execz .LBB967_266
; %bb.260:
	v_add_co_u32 v35, vcc_lo, v35, 4
	v_add_co_ci_u32_e32 v36, vcc_lo, 0, v36, vcc_lo
	v_add_co_u32 v37, vcc_lo, v37, 4
	v_add_co_ci_u32_e32 v38, vcc_lo, 0, v38, vcc_lo
	s_add_u32 s4, s22, -1
	s_addc_u32 s5, s23, -1
	s_mov_b64 s[6:7], 0
	s_mov_b32 s29, 0
                                        ; implicit-def: $sgpr33
	s_set_inst_prefetch_distance 0x1
	s_branch .LBB967_263
	.p2align	6
.LBB967_261:                            ;   in Loop: Header=BB967_263 Depth=1
	global_load_b32 v39, v[37:38], off
	global_load_b32 v40, v[35:36], off
	v_add_co_u32 v35, vcc_lo, v35, 4
	v_add_co_ci_u32_e32 v36, vcc_lo, 0, v36, vcc_lo
	v_add_co_u32 v37, s2, v37, 4
	s_delay_alu instid0(VALU_DEP_1)
	v_add_co_ci_u32_e64 v38, s2, 0, v38, s2
	s_add_u32 s6, s6, 1
	s_addc_u32 s7, s7, 0
	s_and_not1_b32 s2, s33, exec_lo
	s_waitcnt vmcnt(0)
	v_cmp_neq_f32_e32 vcc_lo, v39, v40
	s_and_b32 s33, vcc_lo, exec_lo
	s_delay_alu instid0(SALU_CYCLE_1)
	s_or_b32 s33, s2, s33
.LBB967_262:                            ;   in Loop: Header=BB967_263 Depth=1
	v_dual_mov_b32 v40, s7 :: v_dual_mov_b32 v39, s6
	s_and_b32 s2, exec_lo, s33
	s_delay_alu instid0(SALU_CYCLE_1) | instskip(NEXT) | instid1(SALU_CYCLE_1)
	s_or_b32 s29, s2, s29
	s_and_not1_b32 exec_lo, exec_lo, s29
	s_cbranch_execz .LBB967_265
.LBB967_263:                            ; =>This Inner Loop Header: Depth=1
	s_or_b32 s33, s33, exec_lo
	s_cmp_eq_u64 s[4:5], s[6:7]
	s_cbranch_scc0 .LBB967_261
; %bb.264:                              ;   in Loop: Header=BB967_263 Depth=1
	s_mov_b64 s[6:7], s[22:23]
                                        ; implicit-def: $vgpr35_vgpr36
                                        ; implicit-def: $vgpr37_vgpr38
	s_branch .LBB967_262
.LBB967_265:
	s_set_inst_prefetch_distance 0x2
	s_or_b32 exec_lo, exec_lo, s29
	v_cmp_gt_i64_e32 vcc_lo, s[22:23], v[39:40]
	s_or_not1_b32 s29, vcc_lo, exec_lo
.LBB967_266:
	s_or_b32 exec_lo, exec_lo, s31
.LBB967_267:
	v_mul_lo_u32 v37, v30, s22
	v_mul_lo_u32 v38, v29, s23
	v_mad_u64_u32 v[35:36], null, v29, s22, 0
	s_and_not1_b32 vcc_lo, exec_lo, s18
	s_mov_b32 s2, 0
	s_delay_alu instid0(VALU_DEP_1)
	v_add3_u32 v36, v36, v38, v37
	s_cbranch_vccnz .LBB967_276
; %bb.268:
	s_delay_alu instid0(VALU_DEP_1) | instskip(SKIP_2) | instid1(VALU_DEP_1)
	v_lshlrev_b64 v[37:38], 2, v[35:36]
	s_mov_b32 s2, -1
	s_mov_b32 s31, exec_lo
	v_add_co_u32 v37, vcc_lo, s8, v37
	s_delay_alu instid0(VALU_DEP_2)
	v_add_co_ci_u32_e32 v38, vcc_lo, s9, v38, vcc_lo
	v_add_co_u32 v33, vcc_lo, s8, v33
	v_add_co_ci_u32_e32 v34, vcc_lo, s9, v34, vcc_lo
	s_clause 0x1
	global_load_b32 v39, v[37:38], off
	global_load_b32 v40, v[33:34], off
	s_waitcnt vmcnt(0)
	v_cmpx_eq_f32_e32 v39, v40
	s_cbranch_execz .LBB967_275
; %bb.269:
	v_add_co_u32 v33, vcc_lo, v33, 4
	v_add_co_ci_u32_e32 v34, vcc_lo, 0, v34, vcc_lo
	v_add_co_u32 v37, vcc_lo, v37, 4
	v_add_co_ci_u32_e32 v38, vcc_lo, 0, v38, vcc_lo
	s_add_u32 s4, s22, -1
	s_addc_u32 s5, s23, -1
	s_mov_b64 s[6:7], 0
	s_mov_b32 s33, 0
                                        ; implicit-def: $sgpr34
	s_set_inst_prefetch_distance 0x1
	s_branch .LBB967_272
	.p2align	6
.LBB967_270:                            ;   in Loop: Header=BB967_272 Depth=1
	global_load_b32 v39, v[37:38], off
	global_load_b32 v40, v[33:34], off
	v_add_co_u32 v33, vcc_lo, v33, 4
	v_add_co_ci_u32_e32 v34, vcc_lo, 0, v34, vcc_lo
	v_add_co_u32 v37, s2, v37, 4
	s_delay_alu instid0(VALU_DEP_1)
	v_add_co_ci_u32_e64 v38, s2, 0, v38, s2
	s_add_u32 s6, s6, 1
	s_addc_u32 s7, s7, 0
	s_and_not1_b32 s2, s34, exec_lo
	s_waitcnt vmcnt(0)
	v_cmp_neq_f32_e32 vcc_lo, v39, v40
	s_and_b32 s34, vcc_lo, exec_lo
	s_delay_alu instid0(SALU_CYCLE_1)
	s_or_b32 s34, s2, s34
.LBB967_271:                            ;   in Loop: Header=BB967_272 Depth=1
	v_dual_mov_b32 v40, s7 :: v_dual_mov_b32 v39, s6
	s_and_b32 s2, exec_lo, s34
	s_delay_alu instid0(SALU_CYCLE_1) | instskip(NEXT) | instid1(SALU_CYCLE_1)
	s_or_b32 s33, s2, s33
	s_and_not1_b32 exec_lo, exec_lo, s33
	s_cbranch_execz .LBB967_274
.LBB967_272:                            ; =>This Inner Loop Header: Depth=1
	s_or_b32 s34, s34, exec_lo
	s_cmp_eq_u64 s[4:5], s[6:7]
	s_cbranch_scc0 .LBB967_270
; %bb.273:                              ;   in Loop: Header=BB967_272 Depth=1
	s_mov_b64 s[6:7], s[22:23]
                                        ; implicit-def: $vgpr33_vgpr34
                                        ; implicit-def: $vgpr37_vgpr38
	s_branch .LBB967_271
.LBB967_274:
	s_set_inst_prefetch_distance 0x2
	s_or_b32 exec_lo, exec_lo, s33
	v_cmp_gt_i64_e32 vcc_lo, s[22:23], v[39:40]
	s_or_not1_b32 s2, vcc_lo, exec_lo
.LBB967_275:
	s_or_b32 exec_lo, exec_lo, s31
.LBB967_276:
	v_cndmask_b32_e64 v34, 0, 1, s30
	v_cndmask_b32_e64 v37, 0, 1, s27
	;; [unrolled: 1-line block ×7, first 2 shown]
	v_lshlrev_b16 v37, 8, v37
	v_lshlrev_b16 v38, 8, v38
	;; [unrolled: 1-line block ×4, first 2 shown]
	s_waitcnt lgkmcnt(0)
	v_or_b32_e32 v37, v40, v37
	v_or_b32_e32 v38, v41, v38
	;; [unrolled: 1-line block ×4, first 2 shown]
	s_barrier
	v_and_b32_e32 v34, 0xffff, v37
	v_lshlrev_b32_e32 v37, 16, v38
	v_and_b32_e32 v38, 0xffff, v39
	v_lshlrev_b32_e32 v33, 16, v33
	buffer_gl0_inv
                                        ; implicit-def: $sgpr2
	s_mov_b32 s4, exec_lo
	v_or_b32_e32 v34, v34, v37
	v_or_b32_e32 v33, v38, v33
	v_cmpx_ne_u32_e32 0, v0
	s_xor_b32 s19, exec_lo, s4
	s_cbranch_execz .LBB967_287
; %bb.277:
	s_and_not1_b32 vcc_lo, exec_lo, s18
	s_mov_b32 s2, 0
	s_cbranch_vccnz .LBB967_286
; %bb.278:
	v_add_nc_u32_e32 v37, -8, v55
	v_lshlrev_b64 v[35:36], 2, v[35:36]
	s_mov_b32 s2, -1
	s_mov_b32 s25, exec_lo
	ds_load_b64 v[37:38], v37
	s_waitcnt lgkmcnt(0)
	v_mul_lo_u32 v40, v38, s22
	v_mul_lo_u32 v41, v37, s23
	v_mad_u64_u32 v[38:39], null, v37, s22, 0
	s_delay_alu instid0(VALU_DEP_1) | instskip(NEXT) | instid1(VALU_DEP_1)
	v_add3_u32 v39, v39, v41, v40
	v_lshlrev_b64 v[37:38], 2, v[38:39]
	s_delay_alu instid0(VALU_DEP_1) | instskip(NEXT) | instid1(VALU_DEP_2)
	v_add_co_u32 v37, vcc_lo, s8, v37
	v_add_co_ci_u32_e32 v38, vcc_lo, s9, v38, vcc_lo
	v_add_co_u32 v35, vcc_lo, s8, v35
	v_add_co_ci_u32_e32 v36, vcc_lo, s9, v36, vcc_lo
	s_clause 0x1
	global_load_b32 v39, v[37:38], off
	global_load_b32 v40, v[35:36], off
	s_waitcnt vmcnt(0)
	v_cmpx_eq_f32_e32 v39, v40
	s_cbranch_execz .LBB967_285
; %bb.279:
	v_add_co_u32 v35, vcc_lo, v35, 4
	v_add_co_ci_u32_e32 v36, vcc_lo, 0, v36, vcc_lo
	v_add_co_u32 v37, vcc_lo, v37, 4
	v_add_co_ci_u32_e32 v38, vcc_lo, 0, v38, vcc_lo
	s_add_u32 s4, s22, -1
	s_addc_u32 s5, s23, -1
	s_mov_b64 s[6:7], 0
	s_mov_b32 s26, 0
                                        ; implicit-def: $sgpr27
	s_set_inst_prefetch_distance 0x1
	s_branch .LBB967_282
	.p2align	6
.LBB967_280:                            ;   in Loop: Header=BB967_282 Depth=1
	global_load_b32 v39, v[37:38], off
	global_load_b32 v40, v[35:36], off
	v_add_co_u32 v35, vcc_lo, v35, 4
	v_add_co_ci_u32_e32 v36, vcc_lo, 0, v36, vcc_lo
	v_add_co_u32 v37, s2, v37, 4
	s_delay_alu instid0(VALU_DEP_1)
	v_add_co_ci_u32_e64 v38, s2, 0, v38, s2
	s_add_u32 s6, s6, 1
	s_addc_u32 s7, s7, 0
	s_and_not1_b32 s2, s27, exec_lo
	s_waitcnt vmcnt(0)
	v_cmp_neq_f32_e32 vcc_lo, v39, v40
	s_and_b32 s27, vcc_lo, exec_lo
	s_delay_alu instid0(SALU_CYCLE_1)
	s_or_b32 s27, s2, s27
.LBB967_281:                            ;   in Loop: Header=BB967_282 Depth=1
	v_dual_mov_b32 v40, s7 :: v_dual_mov_b32 v39, s6
	s_and_b32 s2, exec_lo, s27
	s_delay_alu instid0(SALU_CYCLE_1) | instskip(NEXT) | instid1(SALU_CYCLE_1)
	s_or_b32 s26, s2, s26
	s_and_not1_b32 exec_lo, exec_lo, s26
	s_cbranch_execz .LBB967_284
.LBB967_282:                            ; =>This Inner Loop Header: Depth=1
	s_or_b32 s27, s27, exec_lo
	s_cmp_eq_u64 s[4:5], s[6:7]
	s_cbranch_scc0 .LBB967_280
; %bb.283:                              ;   in Loop: Header=BB967_282 Depth=1
	s_mov_b64 s[6:7], s[22:23]
                                        ; implicit-def: $vgpr35_vgpr36
                                        ; implicit-def: $vgpr37_vgpr38
	s_branch .LBB967_281
.LBB967_284:
	s_set_inst_prefetch_distance 0x2
	s_or_b32 exec_lo, exec_lo, s26
	v_cmp_gt_i64_e32 vcc_lo, s[22:23], v[39:40]
	s_or_not1_b32 s2, vcc_lo, exec_lo
.LBB967_285:
	s_or_b32 exec_lo, exec_lo, s25
.LBB967_286:
	s_delay_alu instid0(SALU_CYCLE_1)
	s_and_b32 s2, s2, exec_lo
	s_or_b32 s3, s3, exec_lo
.LBB967_287:
	s_or_b32 exec_lo, exec_lo, s19
	s_branch .LBB967_379
.LBB967_288:
	v_or_b32_e32 v33, 7, v55
	s_mov_b32 s19, 0
	s_mov_b32 s25, 0
	s_mov_b32 s26, exec_lo
	s_delay_alu instid0(VALU_DEP_1)
	v_cmpx_gt_u32_e64 s28, v33
	s_cbranch_execz .LBB967_299
; %bb.289:
	s_and_not1_b32 vcc_lo, exec_lo, s18
	s_mov_b32 s2, 0
	s_cbranch_vccnz .LBB967_298
; %bb.290:
	v_mul_lo_u32 v37, v18, s22
	v_mul_lo_u32 v38, v17, s23
	v_mad_u64_u32 v[33:34], null, v17, s22, 0
	v_mul_lo_u32 v39, v20, s22
	v_mul_lo_u32 v40, v19, s23
	v_mad_u64_u32 v[35:36], null, v19, s22, 0
	s_mov_b32 s2, -1
	s_mov_b32 s25, exec_lo
	s_delay_alu instid0(VALU_DEP_4) | instskip(NEXT) | instid1(VALU_DEP_2)
	v_add3_u32 v34, v34, v38, v37
	v_add3_u32 v36, v36, v40, v39
	s_delay_alu instid0(VALU_DEP_2) | instskip(NEXT) | instid1(VALU_DEP_2)
	v_lshlrev_b64 v[33:34], 2, v[33:34]
	v_lshlrev_b64 v[37:38], 2, v[35:36]
	s_delay_alu instid0(VALU_DEP_2) | instskip(NEXT) | instid1(VALU_DEP_3)
	v_add_co_u32 v35, vcc_lo, s8, v33
	v_add_co_ci_u32_e32 v36, vcc_lo, s9, v34, vcc_lo
	s_delay_alu instid0(VALU_DEP_3) | instskip(NEXT) | instid1(VALU_DEP_4)
	v_add_co_u32 v33, vcc_lo, s8, v37
	v_add_co_ci_u32_e32 v34, vcc_lo, s9, v38, vcc_lo
	s_clause 0x1
	global_load_b32 v37, v[35:36], off
	global_load_b32 v38, v[33:34], off
	s_waitcnt vmcnt(0)
	v_cmpx_eq_f32_e32 v37, v38
	s_cbranch_execz .LBB967_297
; %bb.291:
	v_add_co_u32 v33, vcc_lo, v33, 4
	v_add_co_ci_u32_e32 v34, vcc_lo, 0, v34, vcc_lo
	v_add_co_u32 v35, vcc_lo, v35, 4
	v_add_co_ci_u32_e32 v36, vcc_lo, 0, v36, vcc_lo
	s_add_u32 s4, s22, -1
	s_addc_u32 s5, s23, -1
	s_mov_b64 s[6:7], 0
	s_mov_b32 s27, 0
                                        ; implicit-def: $sgpr29
	s_set_inst_prefetch_distance 0x1
	s_branch .LBB967_294
	.p2align	6
.LBB967_292:                            ;   in Loop: Header=BB967_294 Depth=1
	global_load_b32 v37, v[35:36], off
	global_load_b32 v38, v[33:34], off
	v_add_co_u32 v33, vcc_lo, v33, 4
	v_add_co_ci_u32_e32 v34, vcc_lo, 0, v34, vcc_lo
	v_add_co_u32 v35, s2, v35, 4
	s_delay_alu instid0(VALU_DEP_1)
	v_add_co_ci_u32_e64 v36, s2, 0, v36, s2
	s_add_u32 s6, s6, 1
	s_addc_u32 s7, s7, 0
	s_and_not1_b32 s2, s29, exec_lo
	s_waitcnt vmcnt(0)
	v_cmp_neq_f32_e32 vcc_lo, v37, v38
	s_and_b32 s29, vcc_lo, exec_lo
	s_delay_alu instid0(SALU_CYCLE_1)
	s_or_b32 s29, s2, s29
.LBB967_293:                            ;   in Loop: Header=BB967_294 Depth=1
	v_dual_mov_b32 v38, s7 :: v_dual_mov_b32 v37, s6
	s_and_b32 s2, exec_lo, s29
	s_delay_alu instid0(SALU_CYCLE_1) | instskip(NEXT) | instid1(SALU_CYCLE_1)
	s_or_b32 s27, s2, s27
	s_and_not1_b32 exec_lo, exec_lo, s27
	s_cbranch_execz .LBB967_296
.LBB967_294:                            ; =>This Inner Loop Header: Depth=1
	s_or_b32 s29, s29, exec_lo
	s_cmp_eq_u64 s[4:5], s[6:7]
	s_cbranch_scc0 .LBB967_292
; %bb.295:                              ;   in Loop: Header=BB967_294 Depth=1
	s_mov_b64 s[6:7], s[22:23]
                                        ; implicit-def: $vgpr33_vgpr34
                                        ; implicit-def: $vgpr35_vgpr36
	s_branch .LBB967_293
.LBB967_296:
	s_set_inst_prefetch_distance 0x2
	s_or_b32 exec_lo, exec_lo, s27
	v_cmp_gt_i64_e32 vcc_lo, s[22:23], v[37:38]
	s_or_not1_b32 s2, vcc_lo, exec_lo
.LBB967_297:
	s_or_b32 exec_lo, exec_lo, s25
.LBB967_298:
	s_delay_alu instid0(SALU_CYCLE_1)
	s_and_b32 s25, s2, exec_lo
.LBB967_299:
	s_or_b32 exec_lo, exec_lo, s26
	v_or_b32_e32 v33, 6, v55
	s_mov_b32 s26, exec_lo
	s_delay_alu instid0(VALU_DEP_1)
	v_cmpx_gt_u32_e64 s28, v33
	s_cbranch_execz .LBB967_310
; %bb.300:
	s_and_not1_b32 vcc_lo, exec_lo, s18
	s_mov_b32 s2, 0
	s_cbranch_vccnz .LBB967_309
; %bb.301:
	v_mul_lo_u32 v37, v24, s22
	v_mul_lo_u32 v38, v23, s23
	v_mad_u64_u32 v[33:34], null, v23, s22, 0
	v_mul_lo_u32 v39, v18, s22
	v_mul_lo_u32 v40, v17, s23
	v_mad_u64_u32 v[35:36], null, v17, s22, 0
	s_mov_b32 s2, -1
	s_mov_b32 s19, exec_lo
	s_delay_alu instid0(VALU_DEP_4) | instskip(NEXT) | instid1(VALU_DEP_2)
	v_add3_u32 v34, v34, v38, v37
	v_add3_u32 v36, v36, v40, v39
	s_delay_alu instid0(VALU_DEP_2) | instskip(NEXT) | instid1(VALU_DEP_2)
	v_lshlrev_b64 v[33:34], 2, v[33:34]
	v_lshlrev_b64 v[37:38], 2, v[35:36]
	s_delay_alu instid0(VALU_DEP_2) | instskip(NEXT) | instid1(VALU_DEP_3)
	v_add_co_u32 v35, vcc_lo, s8, v33
	v_add_co_ci_u32_e32 v36, vcc_lo, s9, v34, vcc_lo
	s_delay_alu instid0(VALU_DEP_3) | instskip(NEXT) | instid1(VALU_DEP_4)
	v_add_co_u32 v33, vcc_lo, s8, v37
	v_add_co_ci_u32_e32 v34, vcc_lo, s9, v38, vcc_lo
	s_clause 0x1
	global_load_b32 v37, v[35:36], off
	global_load_b32 v38, v[33:34], off
	s_waitcnt vmcnt(0)
	v_cmpx_eq_f32_e32 v37, v38
	s_cbranch_execz .LBB967_308
; %bb.302:
	v_add_co_u32 v33, vcc_lo, v33, 4
	v_add_co_ci_u32_e32 v34, vcc_lo, 0, v34, vcc_lo
	v_add_co_u32 v35, vcc_lo, v35, 4
	v_add_co_ci_u32_e32 v36, vcc_lo, 0, v36, vcc_lo
	s_add_u32 s4, s22, -1
	s_addc_u32 s5, s23, -1
	s_mov_b64 s[6:7], 0
	s_mov_b32 s27, 0
                                        ; implicit-def: $sgpr29
	s_set_inst_prefetch_distance 0x1
	s_branch .LBB967_305
	.p2align	6
.LBB967_303:                            ;   in Loop: Header=BB967_305 Depth=1
	global_load_b32 v37, v[35:36], off
	global_load_b32 v38, v[33:34], off
	v_add_co_u32 v33, vcc_lo, v33, 4
	v_add_co_ci_u32_e32 v34, vcc_lo, 0, v34, vcc_lo
	v_add_co_u32 v35, s2, v35, 4
	s_delay_alu instid0(VALU_DEP_1)
	v_add_co_ci_u32_e64 v36, s2, 0, v36, s2
	s_add_u32 s6, s6, 1
	s_addc_u32 s7, s7, 0
	s_and_not1_b32 s2, s29, exec_lo
	s_waitcnt vmcnt(0)
	v_cmp_neq_f32_e32 vcc_lo, v37, v38
	s_and_b32 s29, vcc_lo, exec_lo
	s_delay_alu instid0(SALU_CYCLE_1)
	s_or_b32 s29, s2, s29
.LBB967_304:                            ;   in Loop: Header=BB967_305 Depth=1
	v_dual_mov_b32 v38, s7 :: v_dual_mov_b32 v37, s6
	s_and_b32 s2, exec_lo, s29
	s_delay_alu instid0(SALU_CYCLE_1) | instskip(NEXT) | instid1(SALU_CYCLE_1)
	s_or_b32 s27, s2, s27
	s_and_not1_b32 exec_lo, exec_lo, s27
	s_cbranch_execz .LBB967_307
.LBB967_305:                            ; =>This Inner Loop Header: Depth=1
	s_or_b32 s29, s29, exec_lo
	s_cmp_eq_u64 s[4:5], s[6:7]
	s_cbranch_scc0 .LBB967_303
; %bb.306:                              ;   in Loop: Header=BB967_305 Depth=1
	s_mov_b64 s[6:7], s[22:23]
                                        ; implicit-def: $vgpr33_vgpr34
                                        ; implicit-def: $vgpr35_vgpr36
	s_branch .LBB967_304
.LBB967_307:
	s_set_inst_prefetch_distance 0x2
	s_or_b32 exec_lo, exec_lo, s27
	v_cmp_gt_i64_e32 vcc_lo, s[22:23], v[37:38]
	s_or_not1_b32 s2, vcc_lo, exec_lo
.LBB967_308:
	s_or_b32 exec_lo, exec_lo, s19
.LBB967_309:
	s_delay_alu instid0(SALU_CYCLE_1)
	s_and_b32 s19, s2, exec_lo
.LBB967_310:
	s_or_b32 exec_lo, exec_lo, s26
	v_or_b32_e32 v33, 5, v55
	s_mov_b32 s26, 0
	s_mov_b32 s27, 0
	s_mov_b32 s29, exec_lo
	s_delay_alu instid0(VALU_DEP_1)
	v_cmpx_gt_u32_e64 s28, v33
	s_cbranch_execz .LBB967_321
; %bb.311:
	s_and_not1_b32 vcc_lo, exec_lo, s18
	s_mov_b32 s2, 0
	s_cbranch_vccnz .LBB967_320
; %bb.312:
	v_mul_lo_u32 v37, v22, s22
	v_mul_lo_u32 v38, v21, s23
	v_mad_u64_u32 v[33:34], null, v21, s22, 0
	v_mul_lo_u32 v39, v24, s22
	v_mul_lo_u32 v40, v23, s23
	v_mad_u64_u32 v[35:36], null, v23, s22, 0
	s_mov_b32 s2, -1
	s_mov_b32 s27, exec_lo
	s_delay_alu instid0(VALU_DEP_4) | instskip(NEXT) | instid1(VALU_DEP_2)
	v_add3_u32 v34, v34, v38, v37
	v_add3_u32 v36, v36, v40, v39
	s_delay_alu instid0(VALU_DEP_2) | instskip(NEXT) | instid1(VALU_DEP_2)
	v_lshlrev_b64 v[33:34], 2, v[33:34]
	v_lshlrev_b64 v[37:38], 2, v[35:36]
	s_delay_alu instid0(VALU_DEP_2) | instskip(NEXT) | instid1(VALU_DEP_3)
	v_add_co_u32 v35, vcc_lo, s8, v33
	v_add_co_ci_u32_e32 v36, vcc_lo, s9, v34, vcc_lo
	s_delay_alu instid0(VALU_DEP_3) | instskip(NEXT) | instid1(VALU_DEP_4)
	v_add_co_u32 v33, vcc_lo, s8, v37
	v_add_co_ci_u32_e32 v34, vcc_lo, s9, v38, vcc_lo
	s_clause 0x1
	global_load_b32 v37, v[35:36], off
	global_load_b32 v38, v[33:34], off
	s_waitcnt vmcnt(0)
	v_cmpx_eq_f32_e32 v37, v38
	s_cbranch_execz .LBB967_319
; %bb.313:
	v_add_co_u32 v33, vcc_lo, v33, 4
	v_add_co_ci_u32_e32 v34, vcc_lo, 0, v34, vcc_lo
	v_add_co_u32 v35, vcc_lo, v35, 4
	v_add_co_ci_u32_e32 v36, vcc_lo, 0, v36, vcc_lo
	s_add_u32 s4, s22, -1
	s_addc_u32 s5, s23, -1
	s_mov_b64 s[6:7], 0
	s_mov_b32 s30, 0
                                        ; implicit-def: $sgpr31
	s_set_inst_prefetch_distance 0x1
	s_branch .LBB967_316
	.p2align	6
.LBB967_314:                            ;   in Loop: Header=BB967_316 Depth=1
	global_load_b32 v37, v[35:36], off
	global_load_b32 v38, v[33:34], off
	v_add_co_u32 v33, vcc_lo, v33, 4
	v_add_co_ci_u32_e32 v34, vcc_lo, 0, v34, vcc_lo
	v_add_co_u32 v35, s2, v35, 4
	s_delay_alu instid0(VALU_DEP_1)
	v_add_co_ci_u32_e64 v36, s2, 0, v36, s2
	s_add_u32 s6, s6, 1
	s_addc_u32 s7, s7, 0
	s_and_not1_b32 s2, s31, exec_lo
	s_waitcnt vmcnt(0)
	v_cmp_neq_f32_e32 vcc_lo, v37, v38
	s_and_b32 s31, vcc_lo, exec_lo
	s_delay_alu instid0(SALU_CYCLE_1)
	s_or_b32 s31, s2, s31
.LBB967_315:                            ;   in Loop: Header=BB967_316 Depth=1
	v_dual_mov_b32 v38, s7 :: v_dual_mov_b32 v37, s6
	s_and_b32 s2, exec_lo, s31
	s_delay_alu instid0(SALU_CYCLE_1) | instskip(NEXT) | instid1(SALU_CYCLE_1)
	s_or_b32 s30, s2, s30
	s_and_not1_b32 exec_lo, exec_lo, s30
	s_cbranch_execz .LBB967_318
.LBB967_316:                            ; =>This Inner Loop Header: Depth=1
	s_or_b32 s31, s31, exec_lo
	s_cmp_eq_u64 s[4:5], s[6:7]
	s_cbranch_scc0 .LBB967_314
; %bb.317:                              ;   in Loop: Header=BB967_316 Depth=1
	s_mov_b64 s[6:7], s[22:23]
                                        ; implicit-def: $vgpr33_vgpr34
                                        ; implicit-def: $vgpr35_vgpr36
	s_branch .LBB967_315
.LBB967_318:
	s_set_inst_prefetch_distance 0x2
	s_or_b32 exec_lo, exec_lo, s30
	v_cmp_gt_i64_e32 vcc_lo, s[22:23], v[37:38]
	s_or_not1_b32 s2, vcc_lo, exec_lo
.LBB967_319:
	s_or_b32 exec_lo, exec_lo, s27
.LBB967_320:
	s_delay_alu instid0(SALU_CYCLE_1)
	s_and_b32 s27, s2, exec_lo
.LBB967_321:
	s_or_b32 exec_lo, exec_lo, s29
	v_or_b32_e32 v33, 4, v55
	s_mov_b32 s29, exec_lo
	s_delay_alu instid0(VALU_DEP_1)
	v_cmpx_gt_u32_e64 s28, v33
	s_cbranch_execz .LBB967_332
; %bb.322:
	s_and_not1_b32 vcc_lo, exec_lo, s18
	s_mov_b32 s2, 0
	s_cbranch_vccnz .LBB967_331
; %bb.323:
	v_mul_lo_u32 v37, v28, s22
	v_mul_lo_u32 v38, v27, s23
	v_mad_u64_u32 v[33:34], null, v27, s22, 0
	v_mul_lo_u32 v39, v22, s22
	v_mul_lo_u32 v40, v21, s23
	v_mad_u64_u32 v[35:36], null, v21, s22, 0
	s_mov_b32 s2, -1
	s_mov_b32 s26, exec_lo
	s_delay_alu instid0(VALU_DEP_4) | instskip(NEXT) | instid1(VALU_DEP_2)
	v_add3_u32 v34, v34, v38, v37
	v_add3_u32 v36, v36, v40, v39
	s_delay_alu instid0(VALU_DEP_2) | instskip(NEXT) | instid1(VALU_DEP_2)
	v_lshlrev_b64 v[33:34], 2, v[33:34]
	v_lshlrev_b64 v[37:38], 2, v[35:36]
	s_delay_alu instid0(VALU_DEP_2) | instskip(NEXT) | instid1(VALU_DEP_3)
	v_add_co_u32 v35, vcc_lo, s8, v33
	v_add_co_ci_u32_e32 v36, vcc_lo, s9, v34, vcc_lo
	s_delay_alu instid0(VALU_DEP_3) | instskip(NEXT) | instid1(VALU_DEP_4)
	v_add_co_u32 v33, vcc_lo, s8, v37
	v_add_co_ci_u32_e32 v34, vcc_lo, s9, v38, vcc_lo
	s_clause 0x1
	global_load_b32 v37, v[35:36], off
	global_load_b32 v38, v[33:34], off
	s_waitcnt vmcnt(0)
	v_cmpx_eq_f32_e32 v37, v38
	s_cbranch_execz .LBB967_330
; %bb.324:
	v_add_co_u32 v33, vcc_lo, v33, 4
	v_add_co_ci_u32_e32 v34, vcc_lo, 0, v34, vcc_lo
	v_add_co_u32 v35, vcc_lo, v35, 4
	v_add_co_ci_u32_e32 v36, vcc_lo, 0, v36, vcc_lo
	s_add_u32 s4, s22, -1
	s_addc_u32 s5, s23, -1
	s_mov_b64 s[6:7], 0
	s_mov_b32 s30, 0
                                        ; implicit-def: $sgpr31
	s_set_inst_prefetch_distance 0x1
	s_branch .LBB967_327
	.p2align	6
.LBB967_325:                            ;   in Loop: Header=BB967_327 Depth=1
	global_load_b32 v37, v[35:36], off
	global_load_b32 v38, v[33:34], off
	v_add_co_u32 v33, vcc_lo, v33, 4
	v_add_co_ci_u32_e32 v34, vcc_lo, 0, v34, vcc_lo
	v_add_co_u32 v35, s2, v35, 4
	s_delay_alu instid0(VALU_DEP_1)
	v_add_co_ci_u32_e64 v36, s2, 0, v36, s2
	s_add_u32 s6, s6, 1
	s_addc_u32 s7, s7, 0
	s_and_not1_b32 s2, s31, exec_lo
	s_waitcnt vmcnt(0)
	v_cmp_neq_f32_e32 vcc_lo, v37, v38
	s_and_b32 s31, vcc_lo, exec_lo
	s_delay_alu instid0(SALU_CYCLE_1)
	s_or_b32 s31, s2, s31
.LBB967_326:                            ;   in Loop: Header=BB967_327 Depth=1
	v_dual_mov_b32 v38, s7 :: v_dual_mov_b32 v37, s6
	s_and_b32 s2, exec_lo, s31
	s_delay_alu instid0(SALU_CYCLE_1) | instskip(NEXT) | instid1(SALU_CYCLE_1)
	s_or_b32 s30, s2, s30
	s_and_not1_b32 exec_lo, exec_lo, s30
	s_cbranch_execz .LBB967_329
.LBB967_327:                            ; =>This Inner Loop Header: Depth=1
	s_or_b32 s31, s31, exec_lo
	s_cmp_eq_u64 s[4:5], s[6:7]
	s_cbranch_scc0 .LBB967_325
; %bb.328:                              ;   in Loop: Header=BB967_327 Depth=1
	s_mov_b64 s[6:7], s[22:23]
                                        ; implicit-def: $vgpr33_vgpr34
                                        ; implicit-def: $vgpr35_vgpr36
	s_branch .LBB967_326
.LBB967_329:
	s_set_inst_prefetch_distance 0x2
	s_or_b32 exec_lo, exec_lo, s30
	v_cmp_gt_i64_e32 vcc_lo, s[22:23], v[37:38]
	s_or_not1_b32 s2, vcc_lo, exec_lo
.LBB967_330:
	s_or_b32 exec_lo, exec_lo, s26
.LBB967_331:
	s_delay_alu instid0(SALU_CYCLE_1)
	s_and_b32 s26, s2, exec_lo
.LBB967_332:
	s_or_b32 exec_lo, exec_lo, s29
	v_or_b32_e32 v33, 3, v55
	s_mov_b32 s30, 0
	s_mov_b32 s29, 0
	s_mov_b32 s31, exec_lo
	s_delay_alu instid0(VALU_DEP_1)
	v_cmpx_gt_u32_e64 s28, v33
	s_cbranch_execz .LBB967_343
; %bb.333:
	s_and_not1_b32 vcc_lo, exec_lo, s18
	s_mov_b32 s2, 0
	s_cbranch_vccnz .LBB967_342
; %bb.334:
	v_mul_lo_u32 v37, v26, s22
	v_mul_lo_u32 v38, v25, s23
	v_mad_u64_u32 v[33:34], null, v25, s22, 0
	v_mul_lo_u32 v39, v28, s22
	v_mul_lo_u32 v40, v27, s23
	v_mad_u64_u32 v[35:36], null, v27, s22, 0
	s_mov_b32 s2, -1
	s_mov_b32 s29, exec_lo
	s_delay_alu instid0(VALU_DEP_4) | instskip(NEXT) | instid1(VALU_DEP_2)
	v_add3_u32 v34, v34, v38, v37
	v_add3_u32 v36, v36, v40, v39
	s_delay_alu instid0(VALU_DEP_2) | instskip(NEXT) | instid1(VALU_DEP_2)
	v_lshlrev_b64 v[33:34], 2, v[33:34]
	v_lshlrev_b64 v[37:38], 2, v[35:36]
	s_delay_alu instid0(VALU_DEP_2) | instskip(NEXT) | instid1(VALU_DEP_3)
	v_add_co_u32 v35, vcc_lo, s8, v33
	v_add_co_ci_u32_e32 v36, vcc_lo, s9, v34, vcc_lo
	s_delay_alu instid0(VALU_DEP_3) | instskip(NEXT) | instid1(VALU_DEP_4)
	v_add_co_u32 v33, vcc_lo, s8, v37
	v_add_co_ci_u32_e32 v34, vcc_lo, s9, v38, vcc_lo
	s_clause 0x1
	global_load_b32 v37, v[35:36], off
	global_load_b32 v38, v[33:34], off
	s_waitcnt vmcnt(0)
	v_cmpx_eq_f32_e32 v37, v38
	s_cbranch_execz .LBB967_341
; %bb.335:
	v_add_co_u32 v33, vcc_lo, v33, 4
	v_add_co_ci_u32_e32 v34, vcc_lo, 0, v34, vcc_lo
	v_add_co_u32 v35, vcc_lo, v35, 4
	v_add_co_ci_u32_e32 v36, vcc_lo, 0, v36, vcc_lo
	s_add_u32 s4, s22, -1
	s_addc_u32 s5, s23, -1
	s_mov_b64 s[6:7], 0
	s_mov_b32 s33, 0
                                        ; implicit-def: $sgpr34
	s_set_inst_prefetch_distance 0x1
	s_branch .LBB967_338
	.p2align	6
.LBB967_336:                            ;   in Loop: Header=BB967_338 Depth=1
	global_load_b32 v37, v[35:36], off
	global_load_b32 v38, v[33:34], off
	v_add_co_u32 v33, vcc_lo, v33, 4
	v_add_co_ci_u32_e32 v34, vcc_lo, 0, v34, vcc_lo
	v_add_co_u32 v35, s2, v35, 4
	s_delay_alu instid0(VALU_DEP_1)
	v_add_co_ci_u32_e64 v36, s2, 0, v36, s2
	s_add_u32 s6, s6, 1
	s_addc_u32 s7, s7, 0
	s_and_not1_b32 s2, s34, exec_lo
	s_waitcnt vmcnt(0)
	v_cmp_neq_f32_e32 vcc_lo, v37, v38
	s_and_b32 s34, vcc_lo, exec_lo
	s_delay_alu instid0(SALU_CYCLE_1)
	s_or_b32 s34, s2, s34
.LBB967_337:                            ;   in Loop: Header=BB967_338 Depth=1
	v_dual_mov_b32 v38, s7 :: v_dual_mov_b32 v37, s6
	s_and_b32 s2, exec_lo, s34
	s_delay_alu instid0(SALU_CYCLE_1) | instskip(NEXT) | instid1(SALU_CYCLE_1)
	s_or_b32 s33, s2, s33
	s_and_not1_b32 exec_lo, exec_lo, s33
	s_cbranch_execz .LBB967_340
.LBB967_338:                            ; =>This Inner Loop Header: Depth=1
	s_or_b32 s34, s34, exec_lo
	s_cmp_eq_u64 s[4:5], s[6:7]
	s_cbranch_scc0 .LBB967_336
; %bb.339:                              ;   in Loop: Header=BB967_338 Depth=1
	s_mov_b64 s[6:7], s[22:23]
                                        ; implicit-def: $vgpr33_vgpr34
                                        ; implicit-def: $vgpr35_vgpr36
	s_branch .LBB967_337
.LBB967_340:
	s_set_inst_prefetch_distance 0x2
	s_or_b32 exec_lo, exec_lo, s33
	v_cmp_gt_i64_e32 vcc_lo, s[22:23], v[37:38]
	s_or_not1_b32 s2, vcc_lo, exec_lo
.LBB967_341:
	s_or_b32 exec_lo, exec_lo, s29
.LBB967_342:
	s_delay_alu instid0(SALU_CYCLE_1)
	s_and_b32 s29, s2, exec_lo
.LBB967_343:
	s_or_b32 exec_lo, exec_lo, s31
	v_or_b32_e32 v33, 2, v55
	s_mov_b32 s31, exec_lo
	s_delay_alu instid0(VALU_DEP_1)
	v_cmpx_gt_u32_e64 s28, v33
	s_cbranch_execz .LBB967_354
; %bb.344:
	s_and_not1_b32 vcc_lo, exec_lo, s18
	s_mov_b32 s2, 0
	s_cbranch_vccnz .LBB967_353
; %bb.345:
	v_mul_lo_u32 v37, v32, s22
	v_mul_lo_u32 v38, v31, s23
	v_mad_u64_u32 v[33:34], null, v31, s22, 0
	v_mul_lo_u32 v39, v26, s22
	v_mul_lo_u32 v40, v25, s23
	v_mad_u64_u32 v[35:36], null, v25, s22, 0
	s_mov_b32 s2, -1
	s_mov_b32 s30, exec_lo
	s_delay_alu instid0(VALU_DEP_4) | instskip(NEXT) | instid1(VALU_DEP_2)
	v_add3_u32 v34, v34, v38, v37
	v_add3_u32 v36, v36, v40, v39
	s_delay_alu instid0(VALU_DEP_2) | instskip(NEXT) | instid1(VALU_DEP_2)
	v_lshlrev_b64 v[33:34], 2, v[33:34]
	v_lshlrev_b64 v[37:38], 2, v[35:36]
	s_delay_alu instid0(VALU_DEP_2) | instskip(NEXT) | instid1(VALU_DEP_3)
	v_add_co_u32 v35, vcc_lo, s8, v33
	v_add_co_ci_u32_e32 v36, vcc_lo, s9, v34, vcc_lo
	s_delay_alu instid0(VALU_DEP_3) | instskip(NEXT) | instid1(VALU_DEP_4)
	v_add_co_u32 v33, vcc_lo, s8, v37
	v_add_co_ci_u32_e32 v34, vcc_lo, s9, v38, vcc_lo
	s_clause 0x1
	global_load_b32 v37, v[35:36], off
	global_load_b32 v38, v[33:34], off
	s_waitcnt vmcnt(0)
	v_cmpx_eq_f32_e32 v37, v38
	s_cbranch_execz .LBB967_352
; %bb.346:
	v_add_co_u32 v33, vcc_lo, v33, 4
	v_add_co_ci_u32_e32 v34, vcc_lo, 0, v34, vcc_lo
	v_add_co_u32 v35, vcc_lo, v35, 4
	v_add_co_ci_u32_e32 v36, vcc_lo, 0, v36, vcc_lo
	s_add_u32 s4, s22, -1
	s_addc_u32 s5, s23, -1
	s_mov_b64 s[6:7], 0
	s_mov_b32 s33, 0
                                        ; implicit-def: $sgpr34
	s_set_inst_prefetch_distance 0x1
	s_branch .LBB967_349
	.p2align	6
.LBB967_347:                            ;   in Loop: Header=BB967_349 Depth=1
	global_load_b32 v37, v[35:36], off
	global_load_b32 v38, v[33:34], off
	v_add_co_u32 v33, vcc_lo, v33, 4
	v_add_co_ci_u32_e32 v34, vcc_lo, 0, v34, vcc_lo
	v_add_co_u32 v35, s2, v35, 4
	s_delay_alu instid0(VALU_DEP_1)
	v_add_co_ci_u32_e64 v36, s2, 0, v36, s2
	s_add_u32 s6, s6, 1
	s_addc_u32 s7, s7, 0
	s_and_not1_b32 s2, s34, exec_lo
	s_waitcnt vmcnt(0)
	v_cmp_neq_f32_e32 vcc_lo, v37, v38
	s_and_b32 s34, vcc_lo, exec_lo
	s_delay_alu instid0(SALU_CYCLE_1)
	s_or_b32 s34, s2, s34
.LBB967_348:                            ;   in Loop: Header=BB967_349 Depth=1
	v_dual_mov_b32 v38, s7 :: v_dual_mov_b32 v37, s6
	s_and_b32 s2, exec_lo, s34
	s_delay_alu instid0(SALU_CYCLE_1) | instskip(NEXT) | instid1(SALU_CYCLE_1)
	s_or_b32 s33, s2, s33
	s_and_not1_b32 exec_lo, exec_lo, s33
	s_cbranch_execz .LBB967_351
.LBB967_349:                            ; =>This Inner Loop Header: Depth=1
	s_or_b32 s34, s34, exec_lo
	s_cmp_eq_u64 s[4:5], s[6:7]
	s_cbranch_scc0 .LBB967_347
; %bb.350:                              ;   in Loop: Header=BB967_349 Depth=1
	s_mov_b64 s[6:7], s[22:23]
                                        ; implicit-def: $vgpr33_vgpr34
                                        ; implicit-def: $vgpr35_vgpr36
	s_branch .LBB967_348
.LBB967_351:
	s_set_inst_prefetch_distance 0x2
	s_or_b32 exec_lo, exec_lo, s33
	v_cmp_gt_i64_e32 vcc_lo, s[22:23], v[37:38]
	s_or_not1_b32 s2, vcc_lo, exec_lo
.LBB967_352:
	s_or_b32 exec_lo, exec_lo, s30
.LBB967_353:
	s_delay_alu instid0(SALU_CYCLE_1)
	s_and_b32 s30, s2, exec_lo
.LBB967_354:
	s_or_b32 exec_lo, exec_lo, s31
	v_or_b32_e32 v33, 1, v55
	s_mov_b32 s2, 0
	s_mov_b32 s31, exec_lo
	s_delay_alu instid0(VALU_DEP_1)
	v_cmpx_gt_u32_e64 s28, v33
	s_cbranch_execz .LBB967_365
; %bb.355:
	s_and_not1_b32 vcc_lo, exec_lo, s18
	s_cbranch_vccnz .LBB967_364
; %bb.356:
	v_mul_lo_u32 v37, v30, s22
	v_mul_lo_u32 v38, v29, s23
	v_mad_u64_u32 v[33:34], null, v29, s22, 0
	v_mul_lo_u32 v39, v32, s22
	v_mul_lo_u32 v40, v31, s23
	v_mad_u64_u32 v[35:36], null, v31, s22, 0
	s_mov_b32 s2, -1
	s_mov_b32 s33, exec_lo
	s_delay_alu instid0(VALU_DEP_4) | instskip(NEXT) | instid1(VALU_DEP_2)
	v_add3_u32 v34, v34, v38, v37
	v_add3_u32 v36, v36, v40, v39
	s_delay_alu instid0(VALU_DEP_2) | instskip(NEXT) | instid1(VALU_DEP_2)
	v_lshlrev_b64 v[33:34], 2, v[33:34]
	v_lshlrev_b64 v[37:38], 2, v[35:36]
	s_delay_alu instid0(VALU_DEP_2) | instskip(NEXT) | instid1(VALU_DEP_3)
	v_add_co_u32 v35, vcc_lo, s8, v33
	v_add_co_ci_u32_e32 v36, vcc_lo, s9, v34, vcc_lo
	s_delay_alu instid0(VALU_DEP_3) | instskip(NEXT) | instid1(VALU_DEP_4)
	v_add_co_u32 v33, vcc_lo, s8, v37
	v_add_co_ci_u32_e32 v34, vcc_lo, s9, v38, vcc_lo
	s_clause 0x1
	global_load_b32 v37, v[35:36], off
	global_load_b32 v38, v[33:34], off
	s_waitcnt vmcnt(0)
	v_cmpx_eq_f32_e32 v37, v38
	s_cbranch_execz .LBB967_363
; %bb.357:
	v_add_co_u32 v33, vcc_lo, v33, 4
	v_add_co_ci_u32_e32 v34, vcc_lo, 0, v34, vcc_lo
	v_add_co_u32 v35, vcc_lo, v35, 4
	v_add_co_ci_u32_e32 v36, vcc_lo, 0, v36, vcc_lo
	s_add_u32 s4, s22, -1
	s_addc_u32 s5, s23, -1
	s_mov_b64 s[6:7], 0
	s_mov_b32 s34, 0
                                        ; implicit-def: $sgpr35
	s_set_inst_prefetch_distance 0x1
	s_branch .LBB967_360
	.p2align	6
.LBB967_358:                            ;   in Loop: Header=BB967_360 Depth=1
	global_load_b32 v37, v[35:36], off
	global_load_b32 v38, v[33:34], off
	v_add_co_u32 v33, vcc_lo, v33, 4
	v_add_co_ci_u32_e32 v34, vcc_lo, 0, v34, vcc_lo
	v_add_co_u32 v35, s2, v35, 4
	s_delay_alu instid0(VALU_DEP_1)
	v_add_co_ci_u32_e64 v36, s2, 0, v36, s2
	s_add_u32 s6, s6, 1
	s_addc_u32 s7, s7, 0
	s_and_not1_b32 s2, s35, exec_lo
	s_waitcnt vmcnt(0)
	v_cmp_neq_f32_e32 vcc_lo, v37, v38
	s_and_b32 s35, vcc_lo, exec_lo
	s_delay_alu instid0(SALU_CYCLE_1)
	s_or_b32 s35, s2, s35
.LBB967_359:                            ;   in Loop: Header=BB967_360 Depth=1
	v_dual_mov_b32 v38, s7 :: v_dual_mov_b32 v37, s6
	s_and_b32 s2, exec_lo, s35
	s_delay_alu instid0(SALU_CYCLE_1) | instskip(NEXT) | instid1(SALU_CYCLE_1)
	s_or_b32 s34, s2, s34
	s_and_not1_b32 exec_lo, exec_lo, s34
	s_cbranch_execz .LBB967_362
.LBB967_360:                            ; =>This Inner Loop Header: Depth=1
	s_or_b32 s35, s35, exec_lo
	s_cmp_eq_u64 s[4:5], s[6:7]
	s_cbranch_scc0 .LBB967_358
; %bb.361:                              ;   in Loop: Header=BB967_360 Depth=1
	s_mov_b64 s[6:7], s[22:23]
                                        ; implicit-def: $vgpr33_vgpr34
                                        ; implicit-def: $vgpr35_vgpr36
	s_branch .LBB967_359
.LBB967_362:
	s_set_inst_prefetch_distance 0x2
	s_or_b32 exec_lo, exec_lo, s34
	v_cmp_gt_i64_e32 vcc_lo, s[22:23], v[37:38]
	s_or_not1_b32 s2, vcc_lo, exec_lo
.LBB967_363:
	s_or_b32 exec_lo, exec_lo, s33
.LBB967_364:
	s_delay_alu instid0(SALU_CYCLE_1)
	s_and_b32 s2, s2, exec_lo
.LBB967_365:
	s_or_b32 exec_lo, exec_lo, s31
	v_cndmask_b32_e64 v34, 0, 1, s29
	v_cndmask_b32_e64 v35, 0, 1, s27
	;; [unrolled: 1-line block ×7, first 2 shown]
	v_lshlrev_b16 v35, 8, v35
	v_lshlrev_b16 v36, 8, v36
	;; [unrolled: 1-line block ×4, first 2 shown]
	s_mov_b32 s19, exec_lo
	v_or_b32_e32 v35, v38, v35
	v_or_b32_e32 v36, v39, v36
	;; [unrolled: 1-line block ×4, first 2 shown]
	s_waitcnt lgkmcnt(0)
	v_and_b32_e32 v34, 0xffff, v35
	v_lshlrev_b32_e32 v35, 16, v36
	v_and_b32_e32 v36, 0xffff, v37
	v_lshlrev_b32_e32 v33, 16, v33
	s_barrier
	buffer_gl0_inv
	v_or_b32_e32 v34, v34, v35
                                        ; implicit-def: $sgpr2
	v_or_b32_e32 v33, v36, v33
	v_cmpx_ne_u32_e32 0, v0
	s_cbranch_execz .LBB967_378
; %bb.366:
	s_mov_b32 s2, 0
	s_mov_b32 s25, exec_lo
	v_cmpx_gt_u32_e64 s28, v55
	s_cbranch_execz .LBB967_377
; %bb.367:
	s_and_not1_b32 vcc_lo, exec_lo, s18
	s_cbranch_vccnz .LBB967_376
; %bb.368:
	v_add_nc_u32_e32 v35, -8, v55
	v_mul_lo_u32 v42, v29, s23
	v_mad_u64_u32 v[38:39], null, v29, s22, 0
	s_mov_b32 s2, -1
	ds_load_b64 v[35:36], v35
	s_waitcnt lgkmcnt(0)
	v_mul_lo_u32 v40, v36, s22
	v_mul_lo_u32 v41, v35, s23
	v_mad_u64_u32 v[36:37], null, v35, s22, 0
	v_mul_lo_u32 v35, v30, s22
	s_delay_alu instid0(VALU_DEP_2) | instskip(NEXT) | instid1(VALU_DEP_2)
	v_add3_u32 v37, v37, v41, v40
	v_add3_u32 v39, v39, v42, v35
	s_delay_alu instid0(VALU_DEP_2) | instskip(NEXT) | instid1(VALU_DEP_2)
	v_lshlrev_b64 v[35:36], 2, v[36:37]
	v_lshlrev_b64 v[39:40], 2, v[38:39]
	s_delay_alu instid0(VALU_DEP_2) | instskip(NEXT) | instid1(VALU_DEP_3)
	v_add_co_u32 v37, vcc_lo, s8, v35
	v_add_co_ci_u32_e32 v38, vcc_lo, s9, v36, vcc_lo
	s_delay_alu instid0(VALU_DEP_3) | instskip(NEXT) | instid1(VALU_DEP_4)
	v_add_co_u32 v35, vcc_lo, s8, v39
	v_add_co_ci_u32_e32 v36, vcc_lo, s9, v40, vcc_lo
	s_clause 0x1
	global_load_b32 v39, v[37:38], off
	global_load_b32 v40, v[35:36], off
	s_mov_b32 s8, exec_lo
	s_waitcnt vmcnt(0)
	v_cmpx_eq_f32_e32 v39, v40
	s_cbranch_execz .LBB967_375
; %bb.369:
	v_add_co_u32 v35, vcc_lo, v35, 4
	v_add_co_ci_u32_e32 v36, vcc_lo, 0, v36, vcc_lo
	v_add_co_u32 v37, vcc_lo, v37, 4
	v_add_co_ci_u32_e32 v38, vcc_lo, 0, v38, vcc_lo
	s_add_u32 s4, s22, -1
	s_addc_u32 s5, s23, -1
	s_mov_b64 s[6:7], 0
	s_mov_b32 s9, 0
                                        ; implicit-def: $sgpr18
	s_set_inst_prefetch_distance 0x1
	s_branch .LBB967_372
	.p2align	6
.LBB967_370:                            ;   in Loop: Header=BB967_372 Depth=1
	global_load_b32 v39, v[37:38], off
	global_load_b32 v40, v[35:36], off
	v_add_co_u32 v35, vcc_lo, v35, 4
	v_add_co_ci_u32_e32 v36, vcc_lo, 0, v36, vcc_lo
	v_add_co_u32 v37, s2, v37, 4
	s_delay_alu instid0(VALU_DEP_1)
	v_add_co_ci_u32_e64 v38, s2, 0, v38, s2
	s_add_u32 s6, s6, 1
	s_addc_u32 s7, s7, 0
	s_and_not1_b32 s2, s18, exec_lo
	s_waitcnt vmcnt(0)
	v_cmp_neq_f32_e32 vcc_lo, v39, v40
	s_and_b32 s18, vcc_lo, exec_lo
	s_delay_alu instid0(SALU_CYCLE_1)
	s_or_b32 s18, s2, s18
.LBB967_371:                            ;   in Loop: Header=BB967_372 Depth=1
	v_dual_mov_b32 v40, s7 :: v_dual_mov_b32 v39, s6
	s_and_b32 s2, exec_lo, s18
	s_delay_alu instid0(SALU_CYCLE_1) | instskip(NEXT) | instid1(SALU_CYCLE_1)
	s_or_b32 s9, s2, s9
	s_and_not1_b32 exec_lo, exec_lo, s9
	s_cbranch_execz .LBB967_374
.LBB967_372:                            ; =>This Inner Loop Header: Depth=1
	s_or_b32 s18, s18, exec_lo
	s_cmp_eq_u64 s[4:5], s[6:7]
	s_cbranch_scc0 .LBB967_370
; %bb.373:                              ;   in Loop: Header=BB967_372 Depth=1
	s_mov_b64 s[6:7], s[22:23]
                                        ; implicit-def: $vgpr35_vgpr36
                                        ; implicit-def: $vgpr37_vgpr38
	s_branch .LBB967_371
.LBB967_374:
	s_set_inst_prefetch_distance 0x2
	s_or_b32 exec_lo, exec_lo, s9
	v_cmp_gt_i64_e32 vcc_lo, s[22:23], v[39:40]
	s_or_not1_b32 s2, vcc_lo, exec_lo
.LBB967_375:
	s_or_b32 exec_lo, exec_lo, s8
.LBB967_376:
	s_delay_alu instid0(SALU_CYCLE_1)
	s_and_b32 s2, s2, exec_lo
.LBB967_377:
	s_or_b32 exec_lo, exec_lo, s25
	s_delay_alu instid0(SALU_CYCLE_1)
	s_and_b32 s2, s2, exec_lo
	s_or_b32 s3, s3, exec_lo
.LBB967_378:
	s_or_b32 exec_lo, exec_lo, s19
.LBB967_379:
	s_and_saveexec_b32 s4, s3
; %bb.380:
	v_and_b32_e32 v35, 0xffffff00, v33
	v_cndmask_b32_e64 v36, 0, 1, s2
	s_delay_alu instid0(VALU_DEP_1) | instskip(NEXT) | instid1(VALU_DEP_1)
	v_or_b32_e32 v35, v36, v35
	v_and_b32_e32 v35, 0xffff, v35
	s_delay_alu instid0(VALU_DEP_1)
	v_and_or_b32 v33, 0xffff0000, v33, v35
; %bb.381:
	s_or_b32 exec_lo, exec_lo, s4
	s_delay_alu instid0(SALU_CYCLE_1)
	s_and_not1_b32 vcc_lo, exec_lo, s21
	s_cbranch_vccnz .LBB967_383
; %bb.382:
	v_cmp_gt_u32_e32 vcc_lo, s28, v55
	v_or_b32_e32 v36, 1, v55
	v_and_b32_e32 v37, 0xffffff00, v34
	v_or_b32_e32 v38, 2, v55
	v_cndmask_b32_e32 v35, 0, v33, vcc_lo
	s_delay_alu instid0(VALU_DEP_4) | instskip(SKIP_1) | instid1(VALU_DEP_4)
	v_cmp_gt_u32_e32 vcc_lo, s28, v36
	v_or_b32_e32 v36, 4, v55
	v_cmp_gt_u32_e64 s2, s28, v38
	v_or_b32_e32 v38, 3, v55
	v_and_b32_e32 v35, 0xff, v35
	s_delay_alu instid0(VALU_DEP_2) | instskip(NEXT) | instid1(VALU_DEP_2)
	v_cmp_gt_u32_e64 s3, s28, v38
	v_cndmask_b32_e32 v35, v35, v33, vcc_lo
	v_cmp_gt_u32_e32 vcc_lo, s28, v36
	v_cndmask_b32_e32 v36, v37, v34, vcc_lo
	v_or_b32_e32 v37, 5, v55
	s_delay_alu instid0(VALU_DEP_2) | instskip(SKIP_1) | instid1(VALU_DEP_1)
	v_and_b32_e32 v36, 0xffff00ff, v36
	v_and_b32_e32 v35, 0xffff, v35
	v_cndmask_b32_e64 v35, v35, v33, s2
	s_delay_alu instid0(VALU_DEP_4) | instskip(SKIP_1) | instid1(VALU_DEP_3)
	v_cmp_gt_u32_e64 s2, s28, v37
	v_or_b32_e32 v37, 6, v55
	v_and_b32_e32 v35, 0xffffff, v35
	s_delay_alu instid0(VALU_DEP_3) | instskip(NEXT) | instid1(VALU_DEP_2)
	v_cndmask_b32_e64 v36, v36, v34, s2
	v_cndmask_b32_e64 v35, v35, v33, s3
	s_delay_alu instid0(VALU_DEP_1) | instskip(SKIP_2) | instid1(VALU_DEP_3)
	v_dual_cndmask_b32 v35, v35, v33 :: v_dual_and_b32 v36, 0xff00ffff, v36
	v_cmp_gt_u32_e32 vcc_lo, s28, v37
	v_or_b32_e32 v37, 7, v55
	v_cndmask_b32_e64 v35, v35, v33, s2
	s_delay_alu instid0(VALU_DEP_1) | instskip(NEXT) | instid1(VALU_DEP_1)
	v_dual_cndmask_b32 v36, v36, v34 :: v_dual_cndmask_b32 v35, v35, v33
	v_and_b32_e32 v36, 0xffffff, v36
	s_delay_alu instid0(VALU_DEP_4) | instskip(NEXT) | instid1(VALU_DEP_2)
	v_cmp_gt_u32_e32 vcc_lo, s28, v37
	v_dual_cndmask_b32 v34, v36, v34 :: v_dual_cndmask_b32 v33, v35, v33
.LBB967_383:
	s_delay_alu instid0(VALU_DEP_1) | instskip(NEXT) | instid1(VALU_DEP_2)
	v_and_b32_e32 v42, 0xff, v33
	v_alignbit_b32 v35, v34, v33, 24
	v_bfe_u32 v44, v33, 8, 8
	v_bfe_u32 v46, v33, 16, 8
	v_and_b32_e32 v50, 0xff, v34
	v_bfe_u32 v52, v34, 8, 8
	v_and_b32_e32 v48, 0xff, v35
	v_add_nc_u32_e32 v35, v44, v42
	v_mbcnt_lo_u32_b32 v57, -1, 0
	v_bfe_u32 v54, v34, 16, 8
	v_lshrrev_b32_e32 v56, 24, v34
	v_lshrrev_b32_e32 v58, 5, v0
	v_add3_u32 v35, v35, v46, v48
	v_and_b32_e32 v36, 15, v57
	v_and_b32_e32 v37, 16, v57
	s_and_b32 vcc_lo, exec_lo, s24
	s_mov_b32 s9, -1
	v_add3_u32 v35, v35, v50, v52
	v_cmp_eq_u32_e64 s4, 0, v36
	v_cmp_lt_u32_e64 s2, 1, v36
	v_cmp_lt_u32_e64 s5, 3, v36
	;; [unrolled: 1-line block ×3, first 2 shown]
	v_add3_u32 v59, v35, v54, v56
	v_or_b32_e32 v35, 31, v0
	v_cmp_eq_u32_e64 s7, 0, v37
	s_waitcnt lgkmcnt(0)
	s_barrier
	buffer_gl0_inv
	v_cmp_eq_u32_e64 s6, v35, v0
	s_cbranch_vccz .LBB967_409
; %bb.384:
	v_mov_b32_dpp v35, v59 row_shr:1 row_mask:0xf bank_mask:0xf
	s_delay_alu instid0(VALU_DEP_1) | instskip(NEXT) | instid1(VALU_DEP_1)
	v_cndmask_b32_e64 v35, v35, 0, s4
	v_add_nc_u32_e32 v35, v35, v59
	s_delay_alu instid0(VALU_DEP_1) | instskip(NEXT) | instid1(VALU_DEP_1)
	v_mov_b32_dpp v36, v35 row_shr:2 row_mask:0xf bank_mask:0xf
	v_cndmask_b32_e64 v36, 0, v36, s2
	s_delay_alu instid0(VALU_DEP_1) | instskip(NEXT) | instid1(VALU_DEP_1)
	v_add_nc_u32_e32 v35, v35, v36
	v_mov_b32_dpp v36, v35 row_shr:4 row_mask:0xf bank_mask:0xf
	s_delay_alu instid0(VALU_DEP_1) | instskip(NEXT) | instid1(VALU_DEP_1)
	v_cndmask_b32_e64 v36, 0, v36, s5
	v_add_nc_u32_e32 v35, v35, v36
	s_delay_alu instid0(VALU_DEP_1) | instskip(NEXT) | instid1(VALU_DEP_1)
	v_mov_b32_dpp v36, v35 row_shr:8 row_mask:0xf bank_mask:0xf
	v_cndmask_b32_e64 v36, 0, v36, s3
	s_delay_alu instid0(VALU_DEP_1) | instskip(SKIP_3) | instid1(VALU_DEP_1)
	v_add_nc_u32_e32 v35, v35, v36
	ds_swizzle_b32 v36, v35 offset:swizzle(BROADCAST,32,15)
	s_waitcnt lgkmcnt(0)
	v_cndmask_b32_e64 v36, v36, 0, s7
	v_add_nc_u32_e32 v35, v35, v36
	s_and_saveexec_b32 s8, s6
	s_cbranch_execz .LBB967_386
; %bb.385:
	v_lshlrev_b32_e32 v36, 2, v58
	ds_store_b32 v36, v35
.LBB967_386:
	s_or_b32 exec_lo, exec_lo, s8
	s_delay_alu instid0(SALU_CYCLE_1)
	s_mov_b32 s8, exec_lo
	s_waitcnt lgkmcnt(0)
	s_barrier
	buffer_gl0_inv
	v_cmpx_gt_u32_e32 16, v0
	s_cbranch_execz .LBB967_388
; %bb.387:
	v_lshlrev_b32_e32 v36, 2, v0
	ds_load_b32 v37, v36
	s_waitcnt lgkmcnt(0)
	v_mov_b32_dpp v38, v37 row_shr:1 row_mask:0xf bank_mask:0xf
	s_delay_alu instid0(VALU_DEP_1) | instskip(NEXT) | instid1(VALU_DEP_1)
	v_cndmask_b32_e64 v38, v38, 0, s4
	v_add_nc_u32_e32 v37, v38, v37
	s_delay_alu instid0(VALU_DEP_1) | instskip(NEXT) | instid1(VALU_DEP_1)
	v_mov_b32_dpp v38, v37 row_shr:2 row_mask:0xf bank_mask:0xf
	v_cndmask_b32_e64 v38, 0, v38, s2
	s_delay_alu instid0(VALU_DEP_1) | instskip(NEXT) | instid1(VALU_DEP_1)
	v_add_nc_u32_e32 v37, v37, v38
	v_mov_b32_dpp v38, v37 row_shr:4 row_mask:0xf bank_mask:0xf
	s_delay_alu instid0(VALU_DEP_1) | instskip(NEXT) | instid1(VALU_DEP_1)
	v_cndmask_b32_e64 v38, 0, v38, s5
	v_add_nc_u32_e32 v37, v37, v38
	s_delay_alu instid0(VALU_DEP_1) | instskip(NEXT) | instid1(VALU_DEP_1)
	v_mov_b32_dpp v38, v37 row_shr:8 row_mask:0xf bank_mask:0xf
	v_cndmask_b32_e64 v38, 0, v38, s3
	s_delay_alu instid0(VALU_DEP_1)
	v_add_nc_u32_e32 v37, v37, v38
	ds_store_b32 v36, v37
.LBB967_388:
	s_or_b32 exec_lo, exec_lo, s8
	v_cmp_gt_u32_e32 vcc_lo, 32, v0
	s_mov_b32 s9, exec_lo
	s_waitcnt lgkmcnt(0)
	s_barrier
	buffer_gl0_inv
                                        ; implicit-def: $vgpr43
	v_cmpx_lt_u32_e32 31, v0
	s_cbranch_execz .LBB967_390
; %bb.389:
	v_lshl_add_u32 v36, v58, 2, -4
	ds_load_b32 v43, v36
	s_waitcnt lgkmcnt(0)
	v_add_nc_u32_e32 v35, v43, v35
.LBB967_390:
	s_or_b32 exec_lo, exec_lo, s9
	v_add_nc_u32_e32 v36, -1, v57
	s_delay_alu instid0(VALU_DEP_1) | instskip(NEXT) | instid1(VALU_DEP_1)
	v_cmp_gt_i32_e64 s8, 0, v36
	v_cndmask_b32_e64 v36, v36, v57, s8
	v_cmp_eq_u32_e64 s8, 0, v57
	s_delay_alu instid0(VALU_DEP_2)
	v_lshlrev_b32_e32 v36, 2, v36
	ds_bpermute_b32 v45, v36, v35
	s_and_saveexec_b32 s9, vcc_lo
	s_cbranch_execz .LBB967_408
; %bb.391:
	v_mov_b32_e32 v38, 0
	ds_load_b32 v35, v38 offset:60
	s_and_saveexec_b32 s18, s8
	s_cbranch_execz .LBB967_393
; %bb.392:
	s_add_i32 s22, s15, 32
	s_mov_b32 s23, 0
	v_mov_b32_e32 v36, 1
	s_lshl_b64 s[22:23], s[22:23], 3
	s_delay_alu instid0(SALU_CYCLE_1)
	s_add_u32 s22, s10, s22
	s_addc_u32 s23, s11, s23
	s_waitcnt lgkmcnt(0)
	global_store_b64 v38, v[35:36], s[22:23]
.LBB967_393:
	s_or_b32 exec_lo, exec_lo, s18
	v_xad_u32 v36, v57, -1, s15
	s_mov_b32 s19, 0
	s_mov_b32 s18, exec_lo
	s_delay_alu instid0(VALU_DEP_1) | instskip(NEXT) | instid1(VALU_DEP_1)
	v_add_nc_u32_e32 v37, 32, v36
	v_lshlrev_b64 v[37:38], 3, v[37:38]
	s_delay_alu instid0(VALU_DEP_1) | instskip(NEXT) | instid1(VALU_DEP_2)
	v_add_co_u32 v40, vcc_lo, s10, v37
	v_add_co_ci_u32_e32 v41, vcc_lo, s11, v38, vcc_lo
	global_load_b64 v[38:39], v[40:41], off glc
	s_waitcnt vmcnt(0)
	v_and_b32_e32 v37, 0xff, v39
	s_delay_alu instid0(VALU_DEP_1)
	v_cmpx_eq_u16_e32 0, v37
	s_cbranch_execz .LBB967_396
.LBB967_394:                            ; =>This Inner Loop Header: Depth=1
	global_load_b64 v[38:39], v[40:41], off glc
	s_waitcnt vmcnt(0)
	v_and_b32_e32 v37, 0xff, v39
	s_delay_alu instid0(VALU_DEP_1) | instskip(SKIP_1) | instid1(SALU_CYCLE_1)
	v_cmp_ne_u16_e32 vcc_lo, 0, v37
	s_or_b32 s19, vcc_lo, s19
	s_and_not1_b32 exec_lo, exec_lo, s19
	s_cbranch_execnz .LBB967_394
; %bb.395:
	s_or_b32 exec_lo, exec_lo, s19
.LBB967_396:
	s_delay_alu instid0(SALU_CYCLE_1)
	s_or_b32 exec_lo, exec_lo, s18
	v_cmp_ne_u32_e32 vcc_lo, 31, v57
	v_lshlrev_b32_e64 v49, v57, -1
	v_add_nc_u32_e32 v53, 2, v57
	v_add_nc_u32_e32 v62, 4, v57
	;; [unrolled: 1-line block ×3, first 2 shown]
	v_add_co_ci_u32_e32 v37, vcc_lo, 0, v57, vcc_lo
	v_add_nc_u32_e32 v66, 16, v57
	s_delay_alu instid0(VALU_DEP_2)
	v_lshlrev_b32_e32 v47, 2, v37
	v_and_b32_e32 v37, 0xff, v39
	ds_bpermute_b32 v40, v47, v38
	v_cmp_eq_u16_e32 vcc_lo, 2, v37
	v_and_or_b32 v37, vcc_lo, v49, 0x80000000
	v_cmp_gt_u32_e32 vcc_lo, 30, v57
	s_delay_alu instid0(VALU_DEP_2) | instskip(SKIP_1) | instid1(VALU_DEP_2)
	v_ctz_i32_b32_e32 v37, v37
	v_cndmask_b32_e64 v41, 0, 1, vcc_lo
	v_cmp_lt_u32_e32 vcc_lo, v57, v37
	s_waitcnt lgkmcnt(0)
	s_delay_alu instid0(VALU_DEP_2) | instskip(NEXT) | instid1(VALU_DEP_1)
	v_dual_cndmask_b32 v40, 0, v40 :: v_dual_lshlrev_b32 v41, 1, v41
	v_add_lshl_u32 v51, v41, v57, 2
	v_cmp_gt_u32_e32 vcc_lo, 28, v57
	s_delay_alu instid0(VALU_DEP_3) | instskip(SKIP_4) | instid1(VALU_DEP_1)
	v_add_nc_u32_e32 v38, v40, v38
	v_cndmask_b32_e64 v41, 0, 1, vcc_lo
	v_cmp_le_u32_e32 vcc_lo, v53, v37
	ds_bpermute_b32 v40, v51, v38
	v_lshlrev_b32_e32 v41, 2, v41
	v_add_lshl_u32 v60, v41, v57, 2
	s_waitcnt lgkmcnt(0)
	v_cndmask_b32_e32 v40, 0, v40, vcc_lo
	v_cmp_gt_u32_e32 vcc_lo, 24, v57
	s_delay_alu instid0(VALU_DEP_2) | instskip(SKIP_4) | instid1(VALU_DEP_1)
	v_add_nc_u32_e32 v38, v38, v40
	v_cndmask_b32_e64 v41, 0, 1, vcc_lo
	v_cmp_le_u32_e32 vcc_lo, v62, v37
	ds_bpermute_b32 v40, v60, v38
	v_lshlrev_b32_e32 v41, 3, v41
	v_add_lshl_u32 v63, v41, v57, 2
	s_waitcnt lgkmcnt(0)
	v_cndmask_b32_e32 v40, 0, v40, vcc_lo
	v_cmp_gt_u32_e32 vcc_lo, 16, v57
	s_delay_alu instid0(VALU_DEP_2) | instskip(SKIP_4) | instid1(VALU_DEP_1)
	v_add_nc_u32_e32 v38, v38, v40
	v_cndmask_b32_e64 v41, 0, 1, vcc_lo
	v_cmp_le_u32_e32 vcc_lo, v64, v37
	ds_bpermute_b32 v40, v63, v38
	v_lshlrev_b32_e32 v41, 4, v41
	v_add_lshl_u32 v65, v41, v57, 2
	s_waitcnt lgkmcnt(0)
	v_cndmask_b32_e32 v40, 0, v40, vcc_lo
	v_cmp_le_u32_e32 vcc_lo, v66, v37
	s_delay_alu instid0(VALU_DEP_2) | instskip(SKIP_3) | instid1(VALU_DEP_1)
	v_add_nc_u32_e32 v38, v38, v40
	ds_bpermute_b32 v40, v65, v38
	s_waitcnt lgkmcnt(0)
	v_cndmask_b32_e32 v37, 0, v40, vcc_lo
	v_dual_mov_b32 v37, 0 :: v_dual_add_nc_u32 v38, v38, v37
	s_branch .LBB967_398
.LBB967_397:                            ;   in Loop: Header=BB967_398 Depth=1
	s_or_b32 exec_lo, exec_lo, s18
	ds_bpermute_b32 v41, v47, v38
	v_and_b32_e32 v40, 0xff, v39
	v_subrev_nc_u32_e32 v36, 32, v36
	s_delay_alu instid0(VALU_DEP_2) | instskip(SKIP_1) | instid1(VALU_DEP_1)
	v_cmp_eq_u16_e32 vcc_lo, 2, v40
	v_and_or_b32 v40, vcc_lo, v49, 0x80000000
	v_ctz_i32_b32_e32 v40, v40
	s_delay_alu instid0(VALU_DEP_1) | instskip(SKIP_3) | instid1(VALU_DEP_2)
	v_cmp_lt_u32_e32 vcc_lo, v57, v40
	s_waitcnt lgkmcnt(0)
	v_cndmask_b32_e32 v41, 0, v41, vcc_lo
	v_cmp_le_u32_e32 vcc_lo, v53, v40
	v_add_nc_u32_e32 v38, v41, v38
	ds_bpermute_b32 v41, v51, v38
	s_waitcnt lgkmcnt(0)
	v_cndmask_b32_e32 v41, 0, v41, vcc_lo
	v_cmp_le_u32_e32 vcc_lo, v62, v40
	s_delay_alu instid0(VALU_DEP_2) | instskip(SKIP_4) | instid1(VALU_DEP_2)
	v_add_nc_u32_e32 v38, v38, v41
	ds_bpermute_b32 v41, v60, v38
	s_waitcnt lgkmcnt(0)
	v_cndmask_b32_e32 v41, 0, v41, vcc_lo
	v_cmp_le_u32_e32 vcc_lo, v64, v40
	v_add_nc_u32_e32 v38, v38, v41
	ds_bpermute_b32 v41, v63, v38
	s_waitcnt lgkmcnt(0)
	v_cndmask_b32_e32 v41, 0, v41, vcc_lo
	v_cmp_le_u32_e32 vcc_lo, v66, v40
	s_delay_alu instid0(VALU_DEP_2) | instskip(SKIP_3) | instid1(VALU_DEP_1)
	v_add_nc_u32_e32 v38, v38, v41
	ds_bpermute_b32 v41, v65, v38
	s_waitcnt lgkmcnt(0)
	v_cndmask_b32_e32 v40, 0, v41, vcc_lo
	v_add3_u32 v38, v40, v61, v38
.LBB967_398:                            ; =>This Loop Header: Depth=1
                                        ;     Child Loop BB967_401 Depth 2
	v_and_b32_e32 v39, 0xff, v39
	s_delay_alu instid0(VALU_DEP_2) | instskip(NEXT) | instid1(VALU_DEP_2)
	v_mov_b32_e32 v61, v38
	v_cmp_ne_u16_e32 vcc_lo, 2, v39
	v_cndmask_b32_e64 v39, 0, 1, vcc_lo
	;;#ASMSTART
	;;#ASMEND
	s_delay_alu instid0(VALU_DEP_1)
	v_cmp_ne_u32_e32 vcc_lo, 0, v39
	s_cmp_lg_u32 vcc_lo, exec_lo
	s_cbranch_scc1 .LBB967_403
; %bb.399:                              ;   in Loop: Header=BB967_398 Depth=1
	v_lshlrev_b64 v[38:39], 3, v[36:37]
	s_mov_b32 s18, exec_lo
	s_delay_alu instid0(VALU_DEP_1) | instskip(NEXT) | instid1(VALU_DEP_2)
	v_add_co_u32 v40, vcc_lo, s10, v38
	v_add_co_ci_u32_e32 v41, vcc_lo, s11, v39, vcc_lo
	global_load_b64 v[38:39], v[40:41], off glc
	s_waitcnt vmcnt(0)
	v_and_b32_e32 v67, 0xff, v39
	s_delay_alu instid0(VALU_DEP_1)
	v_cmpx_eq_u16_e32 0, v67
	s_cbranch_execz .LBB967_397
; %bb.400:                              ;   in Loop: Header=BB967_398 Depth=1
	s_mov_b32 s19, 0
.LBB967_401:                            ;   Parent Loop BB967_398 Depth=1
                                        ; =>  This Inner Loop Header: Depth=2
	global_load_b64 v[38:39], v[40:41], off glc
	s_waitcnt vmcnt(0)
	v_and_b32_e32 v67, 0xff, v39
	s_delay_alu instid0(VALU_DEP_1) | instskip(SKIP_1) | instid1(SALU_CYCLE_1)
	v_cmp_ne_u16_e32 vcc_lo, 0, v67
	s_or_b32 s19, vcc_lo, s19
	s_and_not1_b32 exec_lo, exec_lo, s19
	s_cbranch_execnz .LBB967_401
; %bb.402:                              ;   in Loop: Header=BB967_398 Depth=1
	s_or_b32 exec_lo, exec_lo, s19
	s_branch .LBB967_397
.LBB967_403:                            ;   in Loop: Header=BB967_398 Depth=1
                                        ; implicit-def: $vgpr38
                                        ; implicit-def: $vgpr39
	s_cbranch_execz .LBB967_398
; %bb.404:
	s_and_saveexec_b32 s18, s8
	s_cbranch_execz .LBB967_406
; %bb.405:
	s_add_i32 s22, s15, 32
	s_mov_b32 s23, 0
	v_dual_mov_b32 v37, 2 :: v_dual_add_nc_u32 v36, v61, v35
	s_lshl_b64 s[22:23], s[22:23], 3
	v_mov_b32_e32 v38, 0
	v_add_nc_u32_e64 v39, 0x8400, 0
	s_add_u32 s22, s10, s22
	s_addc_u32 s23, s11, s23
	global_store_b64 v38, v[36:37], s[22:23]
	ds_store_2addr_b32 v39, v35, v61 offset1:2
.LBB967_406:
	s_or_b32 exec_lo, exec_lo, s18
	v_cmp_eq_u32_e32 vcc_lo, 0, v0
	s_and_b32 exec_lo, exec_lo, vcc_lo
	s_cbranch_execz .LBB967_408
; %bb.407:
	v_mov_b32_e32 v35, 0
	ds_store_b32 v35, v61 offset:60
.LBB967_408:
	s_or_b32 exec_lo, exec_lo, s9
	s_waitcnt lgkmcnt(0)
	v_cndmask_b32_e64 v36, v45, v43, s8
	v_cmp_ne_u32_e32 vcc_lo, 0, v0
	v_mov_b32_e32 v35, 0
	s_waitcnt_vscnt null, 0x0
	s_barrier
	buffer_gl0_inv
	v_cndmask_b32_e32 v36, 0, v36, vcc_lo
	ds_load_b32 v35, v35 offset:60
	s_waitcnt lgkmcnt(0)
	s_barrier
	buffer_gl0_inv
	v_add_nc_u32_e32 v53, v35, v36
	v_add_nc_u32_e64 v35, 0x8400, 0
	s_delay_alu instid0(VALU_DEP_2) | instskip(SKIP_2) | instid1(VALU_DEP_1)
	v_add_nc_u32_e32 v51, v53, v42
	ds_load_2addr_b32 v[35:36], v35 offset1:2
	v_add_nc_u32_e32 v49, v51, v44
	v_add_nc_u32_e32 v47, v49, v46
	s_delay_alu instid0(VALU_DEP_1) | instskip(NEXT) | instid1(VALU_DEP_1)
	v_add_nc_u32_e32 v45, v47, v48
	v_add_nc_u32_e32 v43, v45, v50
	s_waitcnt lgkmcnt(0)
	v_readfirstlane_b32 s8, v36
	s_delay_alu instid0(VALU_DEP_2) | instskip(NEXT) | instid1(VALU_DEP_1)
	v_add_nc_u32_e32 v41, v43, v52
	v_add_nc_u32_e32 v39, v41, v54
	v_lshrrev_b64 v[37:38], 24, v[33:34]
	s_branch .LBB967_419
.LBB967_409:
                                        ; implicit-def: $vgpr39
                                        ; implicit-def: $vgpr41
                                        ; implicit-def: $vgpr43
                                        ; implicit-def: $vgpr45
                                        ; implicit-def: $vgpr47
                                        ; implicit-def: $vgpr49
                                        ; implicit-def: $vgpr51
                                        ; implicit-def: $vgpr53
                                        ; implicit-def: $sgpr8
                                        ; implicit-def: $vgpr35
	v_lshrrev_b64 v[37:38], 24, v[33:34]
	s_and_b32 vcc_lo, exec_lo, s9
	s_cbranch_vccz .LBB967_419
; %bb.410:
	v_mov_b32_dpp v35, v59 row_shr:1 row_mask:0xf bank_mask:0xf
	s_delay_alu instid0(VALU_DEP_1) | instskip(NEXT) | instid1(VALU_DEP_1)
	v_cndmask_b32_e64 v35, v35, 0, s4
	v_add_nc_u32_e32 v35, v35, v59
	s_delay_alu instid0(VALU_DEP_1) | instskip(NEXT) | instid1(VALU_DEP_1)
	v_mov_b32_dpp v36, v35 row_shr:2 row_mask:0xf bank_mask:0xf
	v_cndmask_b32_e64 v36, 0, v36, s2
	s_delay_alu instid0(VALU_DEP_1) | instskip(NEXT) | instid1(VALU_DEP_1)
	v_add_nc_u32_e32 v35, v35, v36
	v_mov_b32_dpp v36, v35 row_shr:4 row_mask:0xf bank_mask:0xf
	s_delay_alu instid0(VALU_DEP_1) | instskip(NEXT) | instid1(VALU_DEP_1)
	v_cndmask_b32_e64 v36, 0, v36, s5
	v_add_nc_u32_e32 v35, v35, v36
	s_delay_alu instid0(VALU_DEP_1) | instskip(NEXT) | instid1(VALU_DEP_1)
	v_mov_b32_dpp v36, v35 row_shr:8 row_mask:0xf bank_mask:0xf
	v_cndmask_b32_e64 v36, 0, v36, s3
	s_delay_alu instid0(VALU_DEP_1) | instskip(SKIP_3) | instid1(VALU_DEP_1)
	v_add_nc_u32_e32 v35, v35, v36
	ds_swizzle_b32 v36, v35 offset:swizzle(BROADCAST,32,15)
	s_waitcnt lgkmcnt(0)
	v_cndmask_b32_e64 v36, v36, 0, s7
	v_add_nc_u32_e32 v35, v35, v36
	s_and_saveexec_b32 s7, s6
	s_cbranch_execz .LBB967_412
; %bb.411:
	v_lshlrev_b32_e32 v36, 2, v58
	ds_store_b32 v36, v35
.LBB967_412:
	s_or_b32 exec_lo, exec_lo, s7
	s_delay_alu instid0(SALU_CYCLE_1)
	s_mov_b32 s6, exec_lo
	s_waitcnt lgkmcnt(0)
	s_barrier
	buffer_gl0_inv
	v_cmpx_gt_u32_e32 16, v0
	s_cbranch_execz .LBB967_414
; %bb.413:
	v_lshlrev_b32_e32 v36, 2, v0
	ds_load_b32 v38, v36
	s_waitcnt lgkmcnt(0)
	v_mov_b32_dpp v39, v38 row_shr:1 row_mask:0xf bank_mask:0xf
	s_delay_alu instid0(VALU_DEP_1) | instskip(NEXT) | instid1(VALU_DEP_1)
	v_cndmask_b32_e64 v39, v39, 0, s4
	v_add_nc_u32_e32 v38, v39, v38
	s_delay_alu instid0(VALU_DEP_1) | instskip(NEXT) | instid1(VALU_DEP_1)
	v_mov_b32_dpp v39, v38 row_shr:2 row_mask:0xf bank_mask:0xf
	v_cndmask_b32_e64 v39, 0, v39, s2
	s_delay_alu instid0(VALU_DEP_1) | instskip(NEXT) | instid1(VALU_DEP_1)
	v_add_nc_u32_e32 v38, v38, v39
	v_mov_b32_dpp v39, v38 row_shr:4 row_mask:0xf bank_mask:0xf
	s_delay_alu instid0(VALU_DEP_1) | instskip(NEXT) | instid1(VALU_DEP_1)
	v_cndmask_b32_e64 v39, 0, v39, s5
	v_add_nc_u32_e32 v38, v38, v39
	s_delay_alu instid0(VALU_DEP_1) | instskip(NEXT) | instid1(VALU_DEP_1)
	v_mov_b32_dpp v39, v38 row_shr:8 row_mask:0xf bank_mask:0xf
	v_cndmask_b32_e64 v39, 0, v39, s3
	s_delay_alu instid0(VALU_DEP_1)
	v_add_nc_u32_e32 v38, v38, v39
	ds_store_b32 v36, v38
.LBB967_414:
	s_or_b32 exec_lo, exec_lo, s6
	v_mov_b32_e32 v36, 0
	v_mov_b32_e32 v38, 0
	s_mov_b32 s2, exec_lo
	s_waitcnt lgkmcnt(0)
	s_barrier
	buffer_gl0_inv
	v_cmpx_lt_u32_e32 31, v0
	s_cbranch_execz .LBB967_416
; %bb.415:
	v_lshl_add_u32 v38, v58, 2, -4
	ds_load_b32 v38, v38
.LBB967_416:
	s_or_b32 exec_lo, exec_lo, s2
	v_add_nc_u32_e32 v39, -1, v57
	s_waitcnt lgkmcnt(0)
	v_add_nc_u32_e32 v35, v38, v35
	s_mov_b32 s8, 0
	s_delay_alu instid0(VALU_DEP_2) | instskip(SKIP_2) | instid1(VALU_DEP_2)
	v_cmp_gt_i32_e32 vcc_lo, 0, v39
	v_cndmask_b32_e32 v39, v39, v57, vcc_lo
	v_cmp_eq_u32_e32 vcc_lo, 0, v0
	v_lshlrev_b32_e32 v39, 2, v39
	ds_bpermute_b32 v39, v39, v35
	ds_load_b32 v35, v36 offset:60
	s_and_saveexec_b32 s2, vcc_lo
	s_cbranch_execz .LBB967_418
; %bb.417:
	v_mov_b32_e32 v40, 0
	v_mov_b32_e32 v36, 2
	s_waitcnt lgkmcnt(0)
	global_store_b64 v40, v[35:36], s[10:11] offset:256
.LBB967_418:
	s_or_b32 exec_lo, exec_lo, s2
	v_cmp_eq_u32_e64 s2, 0, v57
	s_waitcnt lgkmcnt(0)
	s_waitcnt_vscnt null, 0x0
	s_barrier
	buffer_gl0_inv
	v_cndmask_b32_e64 v36, v39, v38, s2
	s_delay_alu instid0(VALU_DEP_1) | instskip(NEXT) | instid1(VALU_DEP_1)
	v_cndmask_b32_e64 v53, v36, 0, vcc_lo
	v_add_nc_u32_e32 v51, v53, v42
	s_delay_alu instid0(VALU_DEP_1) | instskip(NEXT) | instid1(VALU_DEP_1)
	v_add_nc_u32_e32 v49, v51, v44
	v_add_nc_u32_e32 v47, v49, v46
	s_delay_alu instid0(VALU_DEP_1) | instskip(NEXT) | instid1(VALU_DEP_1)
	v_add_nc_u32_e32 v45, v47, v48
	;; [unrolled: 3-line block ×3, first 2 shown]
	v_add_nc_u32_e32 v39, v41, v54
.LBB967_419:
	s_load_b128 s[4:7], s[0:1], 0x28
	v_add_nc_u32_e32 v59, s8, v35
	v_cmp_gt_u32_e64 s0, 0x201, v35
	v_lshrrev_b32_e32 v58, 8, v33
	v_lshrrev_b32_e32 v57, 16, v33
	;; [unrolled: 1-line block ×4, first 2 shown]
	v_cmp_lt_u32_e64 s1, v53, v59
	s_and_b32 vcc_lo, exec_lo, s0
	s_mov_b32 s2, -1
	s_cbranch_vccz .LBB967_445
; %bb.420:
	s_delay_alu instid0(VALU_DEP_1) | instskip(NEXT) | instid1(SALU_CYCLE_1)
	s_or_b32 s2, s20, s1
	s_and_saveexec_b32 s1, s2
	s_cbranch_execz .LBB967_423
; %bb.421:
	v_and_b32_e32 v40, 1, v33
	s_delay_alu instid0(VALU_DEP_1)
	v_cmp_eq_u32_e32 vcc_lo, 1, v40
	s_and_b32 exec_lo, exec_lo, vcc_lo
	s_cbranch_execz .LBB967_423
; %bb.422:
	v_mov_b32_e32 v54, 0
	s_lshl_b64 s[2:3], s[12:13], 3
	s_waitcnt lgkmcnt(0)
	s_add_u32 s2, s4, s2
	s_addc_u32 s3, s5, s3
	v_lshlrev_b64 v[60:61], 3, v[53:54]
	s_delay_alu instid0(VALU_DEP_1) | instskip(NEXT) | instid1(VALU_DEP_2)
	v_add_co_u32 v60, vcc_lo, s2, v60
	v_add_co_ci_u32_e32 v61, vcc_lo, s3, v61, vcc_lo
	global_store_b64 v[60:61], v[29:30], off
.LBB967_423:
	s_or_b32 exec_lo, exec_lo, s1
	v_cmp_lt_u32_e32 vcc_lo, v51, v59
	s_or_b32 s2, s20, vcc_lo
	s_delay_alu instid0(SALU_CYCLE_1)
	s_and_saveexec_b32 s1, s2
	s_cbranch_execz .LBB967_426
; %bb.424:
	v_and_b32_e32 v40, 1, v58
	s_delay_alu instid0(VALU_DEP_1)
	v_cmp_eq_u32_e32 vcc_lo, 1, v40
	s_and_b32 exec_lo, exec_lo, vcc_lo
	s_cbranch_execz .LBB967_426
; %bb.425:
	v_mov_b32_e32 v52, 0
	s_lshl_b64 s[2:3], s[12:13], 3
	s_waitcnt lgkmcnt(0)
	s_add_u32 s2, s4, s2
	s_addc_u32 s3, s5, s3
	v_lshlrev_b64 v[60:61], 3, v[51:52]
	s_delay_alu instid0(VALU_DEP_1) | instskip(NEXT) | instid1(VALU_DEP_2)
	v_add_co_u32 v60, vcc_lo, s2, v60
	v_add_co_ci_u32_e32 v61, vcc_lo, s3, v61, vcc_lo
	global_store_b64 v[60:61], v[31:32], off
.LBB967_426:
	s_or_b32 exec_lo, exec_lo, s1
	v_cmp_lt_u32_e32 vcc_lo, v49, v59
	s_or_b32 s2, s20, vcc_lo
	s_delay_alu instid0(SALU_CYCLE_1)
	s_and_saveexec_b32 s1, s2
	s_cbranch_execz .LBB967_429
; %bb.427:
	v_and_b32_e32 v40, 1, v57
	s_delay_alu instid0(VALU_DEP_1)
	v_cmp_eq_u32_e32 vcc_lo, 1, v40
	s_and_b32 exec_lo, exec_lo, vcc_lo
	s_cbranch_execz .LBB967_429
; %bb.428:
	v_mov_b32_e32 v50, 0
	s_lshl_b64 s[2:3], s[12:13], 3
	s_waitcnt lgkmcnt(0)
	s_add_u32 s2, s4, s2
	s_addc_u32 s3, s5, s3
	v_lshlrev_b64 v[60:61], 3, v[49:50]
	s_delay_alu instid0(VALU_DEP_1) | instskip(NEXT) | instid1(VALU_DEP_2)
	v_add_co_u32 v60, vcc_lo, s2, v60
	v_add_co_ci_u32_e32 v61, vcc_lo, s3, v61, vcc_lo
	global_store_b64 v[60:61], v[25:26], off
.LBB967_429:
	s_or_b32 exec_lo, exec_lo, s1
	v_cmp_lt_u32_e32 vcc_lo, v47, v59
	s_or_b32 s2, s20, vcc_lo
	s_delay_alu instid0(SALU_CYCLE_1)
	s_and_saveexec_b32 s1, s2
	s_cbranch_execz .LBB967_432
; %bb.430:
	v_and_b32_e32 v40, 1, v37
	s_delay_alu instid0(VALU_DEP_1)
	v_cmp_eq_u32_e32 vcc_lo, 1, v40
	s_and_b32 exec_lo, exec_lo, vcc_lo
	s_cbranch_execz .LBB967_432
; %bb.431:
	v_mov_b32_e32 v48, 0
	s_lshl_b64 s[2:3], s[12:13], 3
	s_waitcnt lgkmcnt(0)
	s_add_u32 s2, s4, s2
	s_addc_u32 s3, s5, s3
	v_lshlrev_b64 v[60:61], 3, v[47:48]
	s_delay_alu instid0(VALU_DEP_1) | instskip(NEXT) | instid1(VALU_DEP_2)
	v_add_co_u32 v60, vcc_lo, s2, v60
	v_add_co_ci_u32_e32 v61, vcc_lo, s3, v61, vcc_lo
	global_store_b64 v[60:61], v[27:28], off
.LBB967_432:
	s_or_b32 exec_lo, exec_lo, s1
	v_cmp_lt_u32_e32 vcc_lo, v45, v59
	s_or_b32 s2, s20, vcc_lo
	s_delay_alu instid0(SALU_CYCLE_1)
	s_and_saveexec_b32 s1, s2
	s_cbranch_execz .LBB967_435
; %bb.433:
	v_and_b32_e32 v40, 1, v34
	s_delay_alu instid0(VALU_DEP_1)
	v_cmp_eq_u32_e32 vcc_lo, 1, v40
	s_and_b32 exec_lo, exec_lo, vcc_lo
	s_cbranch_execz .LBB967_435
; %bb.434:
	v_mov_b32_e32 v46, 0
	s_lshl_b64 s[2:3], s[12:13], 3
	s_waitcnt lgkmcnt(0)
	s_add_u32 s2, s4, s2
	s_addc_u32 s3, s5, s3
	v_lshlrev_b64 v[60:61], 3, v[45:46]
	s_delay_alu instid0(VALU_DEP_1) | instskip(NEXT) | instid1(VALU_DEP_2)
	v_add_co_u32 v60, vcc_lo, s2, v60
	v_add_co_ci_u32_e32 v61, vcc_lo, s3, v61, vcc_lo
	global_store_b64 v[60:61], v[21:22], off
.LBB967_435:
	s_or_b32 exec_lo, exec_lo, s1
	v_cmp_lt_u32_e32 vcc_lo, v43, v59
	s_or_b32 s2, s20, vcc_lo
	s_delay_alu instid0(SALU_CYCLE_1)
	s_and_saveexec_b32 s1, s2
	s_cbranch_execz .LBB967_438
; %bb.436:
	v_and_b32_e32 v40, 1, v38
	s_delay_alu instid0(VALU_DEP_1)
	v_cmp_eq_u32_e32 vcc_lo, 1, v40
	s_and_b32 exec_lo, exec_lo, vcc_lo
	s_cbranch_execz .LBB967_438
; %bb.437:
	v_mov_b32_e32 v44, 0
	s_lshl_b64 s[2:3], s[12:13], 3
	s_waitcnt lgkmcnt(0)
	s_add_u32 s2, s4, s2
	s_addc_u32 s3, s5, s3
	v_lshlrev_b64 v[60:61], 3, v[43:44]
	s_delay_alu instid0(VALU_DEP_1) | instskip(NEXT) | instid1(VALU_DEP_2)
	v_add_co_u32 v60, vcc_lo, s2, v60
	v_add_co_ci_u32_e32 v61, vcc_lo, s3, v61, vcc_lo
	global_store_b64 v[60:61], v[23:24], off
.LBB967_438:
	s_or_b32 exec_lo, exec_lo, s1
	v_cmp_lt_u32_e32 vcc_lo, v41, v59
	s_or_b32 s2, s20, vcc_lo
	s_delay_alu instid0(SALU_CYCLE_1)
	s_and_saveexec_b32 s1, s2
	s_cbranch_execz .LBB967_441
; %bb.439:
	v_and_b32_e32 v40, 1, v36
	s_delay_alu instid0(VALU_DEP_1)
	v_cmp_eq_u32_e32 vcc_lo, 1, v40
	s_and_b32 exec_lo, exec_lo, vcc_lo
	s_cbranch_execz .LBB967_441
; %bb.440:
	v_mov_b32_e32 v42, 0
	s_lshl_b64 s[2:3], s[12:13], 3
	s_waitcnt lgkmcnt(0)
	s_add_u32 s2, s4, s2
	s_addc_u32 s3, s5, s3
	v_lshlrev_b64 v[60:61], 3, v[41:42]
	s_delay_alu instid0(VALU_DEP_1) | instskip(NEXT) | instid1(VALU_DEP_2)
	v_add_co_u32 v60, vcc_lo, s2, v60
	v_add_co_ci_u32_e32 v61, vcc_lo, s3, v61, vcc_lo
	global_store_b64 v[60:61], v[17:18], off
.LBB967_441:
	s_or_b32 exec_lo, exec_lo, s1
	v_cmp_lt_u32_e32 vcc_lo, v39, v59
	s_or_b32 s2, s20, vcc_lo
	s_delay_alu instid0(SALU_CYCLE_1)
	s_and_saveexec_b32 s1, s2
	s_cbranch_execz .LBB967_444
; %bb.442:
	v_and_b32_e32 v40, 1, v56
	s_delay_alu instid0(VALU_DEP_1)
	v_cmp_eq_u32_e32 vcc_lo, 1, v40
	s_and_b32 exec_lo, exec_lo, vcc_lo
	s_cbranch_execz .LBB967_444
; %bb.443:
	v_mov_b32_e32 v40, 0
	s_lshl_b64 s[2:3], s[12:13], 3
	s_waitcnt lgkmcnt(0)
	s_add_u32 s2, s4, s2
	s_addc_u32 s3, s5, s3
	v_lshlrev_b64 v[60:61], 3, v[39:40]
	s_delay_alu instid0(VALU_DEP_1) | instskip(NEXT) | instid1(VALU_DEP_2)
	v_add_co_u32 v60, vcc_lo, s2, v60
	v_add_co_ci_u32_e32 v61, vcc_lo, s3, v61, vcc_lo
	global_store_b64 v[60:61], v[19:20], off
.LBB967_444:
	s_or_b32 exec_lo, exec_lo, s1
	s_mov_b32 s2, 0
.LBB967_445:
	v_and_b32_e32 v33, 1, v33
	s_and_b32 vcc_lo, exec_lo, s2
	s_delay_alu instid0(VALU_DEP_1)
	v_cmp_eq_u32_e64 s1, 1, v33
	s_cbranch_vccz .LBB967_466
; %bb.446:
	s_delay_alu instid0(VALU_DEP_1)
	s_and_saveexec_b32 s2, s1
	s_cbranch_execz .LBB967_448
; %bb.447:
	v_subrev_nc_u32_e32 v40, s8, v53
	s_delay_alu instid0(VALU_DEP_1)
	v_lshlrev_b32_e32 v40, 3, v40
	ds_store_b64 v40, v[29:30]
.LBB967_448:
	s_or_b32 exec_lo, exec_lo, s2
	v_and_b32_e32 v29, 1, v58
	s_mov_b32 s1, exec_lo
	s_delay_alu instid0(VALU_DEP_1)
	v_cmpx_eq_u32_e32 1, v29
	s_cbranch_execz .LBB967_450
; %bb.449:
	v_subrev_nc_u32_e32 v29, s8, v51
	s_delay_alu instid0(VALU_DEP_1)
	v_lshlrev_b32_e32 v29, 3, v29
	ds_store_b64 v29, v[31:32]
.LBB967_450:
	s_or_b32 exec_lo, exec_lo, s1
	v_and_b32_e32 v29, 1, v57
	s_mov_b32 s1, exec_lo
	s_delay_alu instid0(VALU_DEP_1)
	v_cmpx_eq_u32_e32 1, v29
	;; [unrolled: 12-line block ×7, first 2 shown]
	s_cbranch_execz .LBB967_462
; %bb.461:
	v_subrev_nc_u32_e32 v17, s8, v39
	s_delay_alu instid0(VALU_DEP_1)
	v_lshlrev_b32_e32 v17, 3, v17
	ds_store_b64 v17, v[19:20]
.LBB967_462:
	s_or_b32 exec_lo, exec_lo, s1
	s_delay_alu instid0(SALU_CYCLE_1)
	s_mov_b32 s2, exec_lo
	s_waitcnt lgkmcnt(0)
	s_waitcnt_vscnt null, 0x0
	s_barrier
	buffer_gl0_inv
	v_cmpx_lt_u32_e64 v0, v35
	s_cbranch_execz .LBB967_465
; %bb.463:
	s_mov_b32 s9, 0
	s_lshl_b64 s[10:11], s[12:13], 3
	s_lshl_b64 s[18:19], s[8:9], 3
	v_dual_mov_b32 v19, v55 :: v_dual_mov_b32 v20, v0
	s_add_u32 s1, s10, s18
	s_addc_u32 s3, s11, s19
	s_add_u32 s1, s4, s1
	s_addc_u32 s3, s5, s3
	v_add_co_u32 v17, s1, s1, v55
	s_delay_alu instid0(VALU_DEP_1)
	v_add_co_ci_u32_e64 v18, null, s3, 0, s1
	.p2align	6
.LBB967_464:                            ; =>This Inner Loop Header: Depth=1
	ds_load_b64 v[21:22], v19
	v_add_nc_u32_e32 v20, 0x200, v20
	v_add_nc_u32_e32 v19, 0x1000, v19
	s_delay_alu instid0(VALU_DEP_2) | instskip(SKIP_4) | instid1(VALU_DEP_1)
	v_cmp_ge_u32_e32 vcc_lo, v20, v35
	s_or_b32 s9, vcc_lo, s9
	s_waitcnt lgkmcnt(0)
	global_store_b64 v[17:18], v[21:22], off
	v_add_co_u32 v17, s1, 0x1000, v17
	v_add_co_ci_u32_e64 v18, s1, 0, v18, s1
	s_and_not1_b32 exec_lo, exec_lo, s9
	s_cbranch_execnz .LBB967_464
.LBB967_465:
	s_or_b32 exec_lo, exec_lo, s2
.LBB967_466:
	s_delay_alu instid0(SALU_CYCLE_1)
	s_and_b32 vcc_lo, exec_lo, s0
	s_mov_b32 s0, -1
	s_waitcnt lgkmcnt(0)
	s_waitcnt_vscnt null, 0x0
	s_barrier
	buffer_gl0_inv
	s_cbranch_vccz .LBB967_494
; %bb.467:
	v_cmp_lt_u32_e32 vcc_lo, v53, v59
	s_or_b32 s1, s20, vcc_lo
	s_delay_alu instid0(SALU_CYCLE_1)
	s_and_saveexec_b32 s0, s1
	s_cbranch_execz .LBB967_470
; %bb.468:
	v_cmp_eq_u32_e32 vcc_lo, 1, v33
	s_and_b32 exec_lo, exec_lo, vcc_lo
	s_cbranch_execz .LBB967_470
; %bb.469:
	v_mov_b32_e32 v54, 0
	s_lshl_b64 s[2:3], s[12:13], 3
	s_delay_alu instid0(SALU_CYCLE_1) | instskip(SKIP_1) | instid1(VALU_DEP_1)
	s_add_u32 s1, s6, s2
	s_addc_u32 s2, s7, s3
	v_lshlrev_b64 v[17:18], 3, v[53:54]
	s_delay_alu instid0(VALU_DEP_1) | instskip(NEXT) | instid1(VALU_DEP_2)
	v_add_co_u32 v17, vcc_lo, s1, v17
	v_add_co_ci_u32_e32 v18, vcc_lo, s2, v18, vcc_lo
	global_store_b64 v[17:18], v[13:14], off
.LBB967_470:
	s_or_b32 exec_lo, exec_lo, s0
	v_cmp_lt_u32_e32 vcc_lo, v51, v59
	s_or_b32 s1, s20, vcc_lo
	s_delay_alu instid0(SALU_CYCLE_1)
	s_and_saveexec_b32 s0, s1
	s_cbranch_execz .LBB967_473
; %bb.471:
	v_and_b32_e32 v17, 1, v58
	s_delay_alu instid0(VALU_DEP_1)
	v_cmp_eq_u32_e32 vcc_lo, 1, v17
	s_and_b32 exec_lo, exec_lo, vcc_lo
	s_cbranch_execz .LBB967_473
; %bb.472:
	v_mov_b32_e32 v52, 0
	s_lshl_b64 s[2:3], s[12:13], 3
	s_delay_alu instid0(SALU_CYCLE_1) | instskip(SKIP_1) | instid1(VALU_DEP_1)
	s_add_u32 s1, s6, s2
	s_addc_u32 s2, s7, s3
	v_lshlrev_b64 v[17:18], 3, v[51:52]
	s_delay_alu instid0(VALU_DEP_1) | instskip(NEXT) | instid1(VALU_DEP_2)
	v_add_co_u32 v17, vcc_lo, s1, v17
	v_add_co_ci_u32_e32 v18, vcc_lo, s2, v18, vcc_lo
	global_store_b64 v[17:18], v[15:16], off
.LBB967_473:
	s_or_b32 exec_lo, exec_lo, s0
	v_cmp_lt_u32_e32 vcc_lo, v49, v59
	s_or_b32 s1, s20, vcc_lo
	s_delay_alu instid0(SALU_CYCLE_1)
	s_and_saveexec_b32 s0, s1
	s_cbranch_execz .LBB967_476
; %bb.474:
	v_and_b32_e32 v17, 1, v57
	s_delay_alu instid0(VALU_DEP_1)
	v_cmp_eq_u32_e32 vcc_lo, 1, v17
	s_and_b32 exec_lo, exec_lo, vcc_lo
	s_cbranch_execz .LBB967_476
; %bb.475:
	v_mov_b32_e32 v50, 0
	s_lshl_b64 s[2:3], s[12:13], 3
	s_delay_alu instid0(SALU_CYCLE_1) | instskip(SKIP_1) | instid1(VALU_DEP_1)
	s_add_u32 s1, s6, s2
	s_addc_u32 s2, s7, s3
	v_lshlrev_b64 v[17:18], 3, v[49:50]
	s_delay_alu instid0(VALU_DEP_1) | instskip(NEXT) | instid1(VALU_DEP_2)
	v_add_co_u32 v17, vcc_lo, s1, v17
	v_add_co_ci_u32_e32 v18, vcc_lo, s2, v18, vcc_lo
	global_store_b64 v[17:18], v[9:10], off
.LBB967_476:
	;; [unrolled: 24-line block ×7, first 2 shown]
	s_or_b32 exec_lo, exec_lo, s0
.LBB967_492:
	v_cmp_eq_u32_e32 vcc_lo, 0, v0
	s_and_b32 s0, vcc_lo, s14
	s_delay_alu instid0(SALU_CYCLE_1)
	s_and_saveexec_b32 s1, s0
	s_cbranch_execz .LBB967_515
.LBB967_493:
	v_add_co_u32 v0, s0, s12, v35
	s_delay_alu instid0(VALU_DEP_1) | instskip(SKIP_1) | instid1(VALU_DEP_3)
	v_add_co_ci_u32_e64 v1, null, s13, 0, s0
	v_mov_b32_e32 v2, 0
	v_add_co_u32 v0, vcc_lo, v0, s8
	s_delay_alu instid0(VALU_DEP_3)
	v_add_co_ci_u32_e32 v1, vcc_lo, 0, v1, vcc_lo
	global_store_b64 v2, v[0:1], s[16:17]
	s_nop 0
	s_sendmsg sendmsg(MSG_DEALLOC_VGPRS)
	s_endpgm
.LBB967_494:
	s_and_b32 vcc_lo, exec_lo, s0
	s_cbranch_vccz .LBB967_492
; %bb.495:
	s_mov_b32 s0, exec_lo
	v_cmpx_eq_u32_e32 1, v33
	s_cbranch_execz .LBB967_497
; %bb.496:
	v_subrev_nc_u32_e32 v17, s8, v53
	s_delay_alu instid0(VALU_DEP_1)
	v_lshlrev_b32_e32 v17, 3, v17
	ds_store_b64 v17, v[13:14]
.LBB967_497:
	s_or_b32 exec_lo, exec_lo, s0
	v_and_b32_e32 v13, 1, v58
	s_mov_b32 s0, exec_lo
	s_delay_alu instid0(VALU_DEP_1)
	v_cmpx_eq_u32_e32 1, v13
	s_cbranch_execz .LBB967_499
; %bb.498:
	v_subrev_nc_u32_e32 v13, s8, v51
	s_delay_alu instid0(VALU_DEP_1)
	v_lshlrev_b32_e32 v13, 3, v13
	ds_store_b64 v13, v[15:16]
.LBB967_499:
	s_or_b32 exec_lo, exec_lo, s0
	v_and_b32_e32 v13, 1, v57
	s_mov_b32 s0, exec_lo
	s_delay_alu instid0(VALU_DEP_1)
	;; [unrolled: 12-line block ×7, first 2 shown]
	v_cmpx_eq_u32_e32 1, v1
	s_cbranch_execz .LBB967_511
; %bb.510:
	v_subrev_nc_u32_e32 v1, s8, v39
	s_delay_alu instid0(VALU_DEP_1)
	v_lshlrev_b32_e32 v1, 3, v1
	ds_store_b64 v1, v[3:4]
.LBB967_511:
	s_or_b32 exec_lo, exec_lo, s0
	s_delay_alu instid0(SALU_CYCLE_1)
	s_mov_b32 s1, exec_lo
	s_waitcnt lgkmcnt(0)
	s_waitcnt_vscnt null, 0x0
	s_barrier
	buffer_gl0_inv
	v_cmpx_lt_u32_e64 v0, v35
	s_cbranch_execz .LBB967_514
; %bb.512:
	s_mov_b32 s9, 0
	s_lshl_b64 s[2:3], s[12:13], 3
	s_lshl_b64 s[4:5], s[8:9], 3
	v_mov_b32_e32 v3, v0
	s_add_u32 s0, s2, s4
	s_addc_u32 s2, s3, s5
	s_add_u32 s0, s6, s0
	s_addc_u32 s2, s7, s2
	v_add_co_u32 v1, s0, s0, v55
	s_delay_alu instid0(VALU_DEP_1)
	v_add_co_ci_u32_e64 v2, null, s2, 0, s0
	.p2align	6
.LBB967_513:                            ; =>This Inner Loop Header: Depth=1
	ds_load_b64 v[4:5], v55
	v_add_nc_u32_e32 v3, 0x200, v3
	v_add_nc_u32_e32 v55, 0x1000, v55
	s_delay_alu instid0(VALU_DEP_2) | instskip(SKIP_4) | instid1(VALU_DEP_1)
	v_cmp_ge_u32_e32 vcc_lo, v3, v35
	s_or_b32 s9, vcc_lo, s9
	s_waitcnt lgkmcnt(0)
	global_store_b64 v[1:2], v[4:5], off
	v_add_co_u32 v1, s0, 0x1000, v1
	v_add_co_ci_u32_e64 v2, s0, 0, v2, s0
	s_and_not1_b32 exec_lo, exec_lo, s9
	s_cbranch_execnz .LBB967_513
.LBB967_514:
	s_or_b32 exec_lo, exec_lo, s1
	v_cmp_eq_u32_e32 vcc_lo, 0, v0
	s_and_b32 s0, vcc_lo, s14
	s_delay_alu instid0(SALU_CYCLE_1)
	s_and_saveexec_b32 s1, s0
	s_cbranch_execnz .LBB967_493
.LBB967_515:
	s_nop 0
	s_sendmsg sendmsg(MSG_DEALLOC_VGPRS)
	s_endpgm
	.section	.rodata,"a",@progbits
	.p2align	6, 0x0
	.amdhsa_kernel _ZN7rocprim17ROCPRIM_400000_NS6detail17trampoline_kernelINS0_14default_configENS1_25partition_config_selectorILNS1_17partition_subalgoE9EllbEEZZNS1_14partition_implILS5_9ELb0ES3_jPlS8_PNS0_10empty_typeENS0_5tupleIJS8_S9_EEENSB_IJS8_SA_EEENS0_18inequality_wrapperIZN2at6native12_GLOBAL__N_124unique_dim_cuda_templateIfEESt5tupleIJNSF_6TensorESK_SK_EERKSK_lbbbEUlllE0_EEPmJS9_EEE10hipError_tPvRmT3_T4_T5_T6_T7_T9_mT8_P12ihipStream_tbDpT10_ENKUlT_T0_E_clISt17integral_constantIbLb0EES1A_EEDaS15_S16_EUlS15_E_NS1_11comp_targetILNS1_3genE9ELNS1_11target_archE1100ELNS1_3gpuE3ELNS1_3repE0EEENS1_30default_config_static_selectorELNS0_4arch9wavefront6targetE0EEEvT1_
		.amdhsa_group_segment_fixed_size 33804
		.amdhsa_private_segment_fixed_size 0
		.amdhsa_kernarg_size 120
		.amdhsa_user_sgpr_count 15
		.amdhsa_user_sgpr_dispatch_ptr 0
		.amdhsa_user_sgpr_queue_ptr 0
		.amdhsa_user_sgpr_kernarg_segment_ptr 1
		.amdhsa_user_sgpr_dispatch_id 0
		.amdhsa_user_sgpr_private_segment_size 0
		.amdhsa_wavefront_size32 1
		.amdhsa_uses_dynamic_stack 0
		.amdhsa_enable_private_segment 0
		.amdhsa_system_sgpr_workgroup_id_x 1
		.amdhsa_system_sgpr_workgroup_id_y 0
		.amdhsa_system_sgpr_workgroup_id_z 0
		.amdhsa_system_sgpr_workgroup_info 0
		.amdhsa_system_vgpr_workitem_id 0
		.amdhsa_next_free_vgpr 68
		.amdhsa_next_free_sgpr 36
		.amdhsa_reserve_vcc 1
		.amdhsa_float_round_mode_32 0
		.amdhsa_float_round_mode_16_64 0
		.amdhsa_float_denorm_mode_32 3
		.amdhsa_float_denorm_mode_16_64 3
		.amdhsa_dx10_clamp 1
		.amdhsa_ieee_mode 1
		.amdhsa_fp16_overflow 0
		.amdhsa_workgroup_processor_mode 1
		.amdhsa_memory_ordered 1
		.amdhsa_forward_progress 0
		.amdhsa_shared_vgpr_count 0
		.amdhsa_exception_fp_ieee_invalid_op 0
		.amdhsa_exception_fp_denorm_src 0
		.amdhsa_exception_fp_ieee_div_zero 0
		.amdhsa_exception_fp_ieee_overflow 0
		.amdhsa_exception_fp_ieee_underflow 0
		.amdhsa_exception_fp_ieee_inexact 0
		.amdhsa_exception_int_div_zero 0
	.end_amdhsa_kernel
	.section	.text._ZN7rocprim17ROCPRIM_400000_NS6detail17trampoline_kernelINS0_14default_configENS1_25partition_config_selectorILNS1_17partition_subalgoE9EllbEEZZNS1_14partition_implILS5_9ELb0ES3_jPlS8_PNS0_10empty_typeENS0_5tupleIJS8_S9_EEENSB_IJS8_SA_EEENS0_18inequality_wrapperIZN2at6native12_GLOBAL__N_124unique_dim_cuda_templateIfEESt5tupleIJNSF_6TensorESK_SK_EERKSK_lbbbEUlllE0_EEPmJS9_EEE10hipError_tPvRmT3_T4_T5_T6_T7_T9_mT8_P12ihipStream_tbDpT10_ENKUlT_T0_E_clISt17integral_constantIbLb0EES1A_EEDaS15_S16_EUlS15_E_NS1_11comp_targetILNS1_3genE9ELNS1_11target_archE1100ELNS1_3gpuE3ELNS1_3repE0EEENS1_30default_config_static_selectorELNS0_4arch9wavefront6targetE0EEEvT1_,"axG",@progbits,_ZN7rocprim17ROCPRIM_400000_NS6detail17trampoline_kernelINS0_14default_configENS1_25partition_config_selectorILNS1_17partition_subalgoE9EllbEEZZNS1_14partition_implILS5_9ELb0ES3_jPlS8_PNS0_10empty_typeENS0_5tupleIJS8_S9_EEENSB_IJS8_SA_EEENS0_18inequality_wrapperIZN2at6native12_GLOBAL__N_124unique_dim_cuda_templateIfEESt5tupleIJNSF_6TensorESK_SK_EERKSK_lbbbEUlllE0_EEPmJS9_EEE10hipError_tPvRmT3_T4_T5_T6_T7_T9_mT8_P12ihipStream_tbDpT10_ENKUlT_T0_E_clISt17integral_constantIbLb0EES1A_EEDaS15_S16_EUlS15_E_NS1_11comp_targetILNS1_3genE9ELNS1_11target_archE1100ELNS1_3gpuE3ELNS1_3repE0EEENS1_30default_config_static_selectorELNS0_4arch9wavefront6targetE0EEEvT1_,comdat
.Lfunc_end967:
	.size	_ZN7rocprim17ROCPRIM_400000_NS6detail17trampoline_kernelINS0_14default_configENS1_25partition_config_selectorILNS1_17partition_subalgoE9EllbEEZZNS1_14partition_implILS5_9ELb0ES3_jPlS8_PNS0_10empty_typeENS0_5tupleIJS8_S9_EEENSB_IJS8_SA_EEENS0_18inequality_wrapperIZN2at6native12_GLOBAL__N_124unique_dim_cuda_templateIfEESt5tupleIJNSF_6TensorESK_SK_EERKSK_lbbbEUlllE0_EEPmJS9_EEE10hipError_tPvRmT3_T4_T5_T6_T7_T9_mT8_P12ihipStream_tbDpT10_ENKUlT_T0_E_clISt17integral_constantIbLb0EES1A_EEDaS15_S16_EUlS15_E_NS1_11comp_targetILNS1_3genE9ELNS1_11target_archE1100ELNS1_3gpuE3ELNS1_3repE0EEENS1_30default_config_static_selectorELNS0_4arch9wavefront6targetE0EEEvT1_, .Lfunc_end967-_ZN7rocprim17ROCPRIM_400000_NS6detail17trampoline_kernelINS0_14default_configENS1_25partition_config_selectorILNS1_17partition_subalgoE9EllbEEZZNS1_14partition_implILS5_9ELb0ES3_jPlS8_PNS0_10empty_typeENS0_5tupleIJS8_S9_EEENSB_IJS8_SA_EEENS0_18inequality_wrapperIZN2at6native12_GLOBAL__N_124unique_dim_cuda_templateIfEESt5tupleIJNSF_6TensorESK_SK_EERKSK_lbbbEUlllE0_EEPmJS9_EEE10hipError_tPvRmT3_T4_T5_T6_T7_T9_mT8_P12ihipStream_tbDpT10_ENKUlT_T0_E_clISt17integral_constantIbLb0EES1A_EEDaS15_S16_EUlS15_E_NS1_11comp_targetILNS1_3genE9ELNS1_11target_archE1100ELNS1_3gpuE3ELNS1_3repE0EEENS1_30default_config_static_selectorELNS0_4arch9wavefront6targetE0EEEvT1_
                                        ; -- End function
	.section	.AMDGPU.csdata,"",@progbits
; Kernel info:
; codeLenInByte = 20360
; NumSgprs: 38
; NumVgprs: 68
; ScratchSize: 0
; MemoryBound: 0
; FloatMode: 240
; IeeeMode: 1
; LDSByteSize: 33804 bytes/workgroup (compile time only)
; SGPRBlocks: 4
; VGPRBlocks: 8
; NumSGPRsForWavesPerEU: 38
; NumVGPRsForWavesPerEU: 68
; Occupancy: 12
; WaveLimiterHint : 1
; COMPUTE_PGM_RSRC2:SCRATCH_EN: 0
; COMPUTE_PGM_RSRC2:USER_SGPR: 15
; COMPUTE_PGM_RSRC2:TRAP_HANDLER: 0
; COMPUTE_PGM_RSRC2:TGID_X_EN: 1
; COMPUTE_PGM_RSRC2:TGID_Y_EN: 0
; COMPUTE_PGM_RSRC2:TGID_Z_EN: 0
; COMPUTE_PGM_RSRC2:TIDIG_COMP_CNT: 0
	.section	.text._ZN7rocprim17ROCPRIM_400000_NS6detail17trampoline_kernelINS0_14default_configENS1_25partition_config_selectorILNS1_17partition_subalgoE9EllbEEZZNS1_14partition_implILS5_9ELb0ES3_jPlS8_PNS0_10empty_typeENS0_5tupleIJS8_S9_EEENSB_IJS8_SA_EEENS0_18inequality_wrapperIZN2at6native12_GLOBAL__N_124unique_dim_cuda_templateIfEESt5tupleIJNSF_6TensorESK_SK_EERKSK_lbbbEUlllE0_EEPmJS9_EEE10hipError_tPvRmT3_T4_T5_T6_T7_T9_mT8_P12ihipStream_tbDpT10_ENKUlT_T0_E_clISt17integral_constantIbLb0EES1A_EEDaS15_S16_EUlS15_E_NS1_11comp_targetILNS1_3genE8ELNS1_11target_archE1030ELNS1_3gpuE2ELNS1_3repE0EEENS1_30default_config_static_selectorELNS0_4arch9wavefront6targetE0EEEvT1_,"axG",@progbits,_ZN7rocprim17ROCPRIM_400000_NS6detail17trampoline_kernelINS0_14default_configENS1_25partition_config_selectorILNS1_17partition_subalgoE9EllbEEZZNS1_14partition_implILS5_9ELb0ES3_jPlS8_PNS0_10empty_typeENS0_5tupleIJS8_S9_EEENSB_IJS8_SA_EEENS0_18inequality_wrapperIZN2at6native12_GLOBAL__N_124unique_dim_cuda_templateIfEESt5tupleIJNSF_6TensorESK_SK_EERKSK_lbbbEUlllE0_EEPmJS9_EEE10hipError_tPvRmT3_T4_T5_T6_T7_T9_mT8_P12ihipStream_tbDpT10_ENKUlT_T0_E_clISt17integral_constantIbLb0EES1A_EEDaS15_S16_EUlS15_E_NS1_11comp_targetILNS1_3genE8ELNS1_11target_archE1030ELNS1_3gpuE2ELNS1_3repE0EEENS1_30default_config_static_selectorELNS0_4arch9wavefront6targetE0EEEvT1_,comdat
	.globl	_ZN7rocprim17ROCPRIM_400000_NS6detail17trampoline_kernelINS0_14default_configENS1_25partition_config_selectorILNS1_17partition_subalgoE9EllbEEZZNS1_14partition_implILS5_9ELb0ES3_jPlS8_PNS0_10empty_typeENS0_5tupleIJS8_S9_EEENSB_IJS8_SA_EEENS0_18inequality_wrapperIZN2at6native12_GLOBAL__N_124unique_dim_cuda_templateIfEESt5tupleIJNSF_6TensorESK_SK_EERKSK_lbbbEUlllE0_EEPmJS9_EEE10hipError_tPvRmT3_T4_T5_T6_T7_T9_mT8_P12ihipStream_tbDpT10_ENKUlT_T0_E_clISt17integral_constantIbLb0EES1A_EEDaS15_S16_EUlS15_E_NS1_11comp_targetILNS1_3genE8ELNS1_11target_archE1030ELNS1_3gpuE2ELNS1_3repE0EEENS1_30default_config_static_selectorELNS0_4arch9wavefront6targetE0EEEvT1_ ; -- Begin function _ZN7rocprim17ROCPRIM_400000_NS6detail17trampoline_kernelINS0_14default_configENS1_25partition_config_selectorILNS1_17partition_subalgoE9EllbEEZZNS1_14partition_implILS5_9ELb0ES3_jPlS8_PNS0_10empty_typeENS0_5tupleIJS8_S9_EEENSB_IJS8_SA_EEENS0_18inequality_wrapperIZN2at6native12_GLOBAL__N_124unique_dim_cuda_templateIfEESt5tupleIJNSF_6TensorESK_SK_EERKSK_lbbbEUlllE0_EEPmJS9_EEE10hipError_tPvRmT3_T4_T5_T6_T7_T9_mT8_P12ihipStream_tbDpT10_ENKUlT_T0_E_clISt17integral_constantIbLb0EES1A_EEDaS15_S16_EUlS15_E_NS1_11comp_targetILNS1_3genE8ELNS1_11target_archE1030ELNS1_3gpuE2ELNS1_3repE0EEENS1_30default_config_static_selectorELNS0_4arch9wavefront6targetE0EEEvT1_
	.p2align	8
	.type	_ZN7rocprim17ROCPRIM_400000_NS6detail17trampoline_kernelINS0_14default_configENS1_25partition_config_selectorILNS1_17partition_subalgoE9EllbEEZZNS1_14partition_implILS5_9ELb0ES3_jPlS8_PNS0_10empty_typeENS0_5tupleIJS8_S9_EEENSB_IJS8_SA_EEENS0_18inequality_wrapperIZN2at6native12_GLOBAL__N_124unique_dim_cuda_templateIfEESt5tupleIJNSF_6TensorESK_SK_EERKSK_lbbbEUlllE0_EEPmJS9_EEE10hipError_tPvRmT3_T4_T5_T6_T7_T9_mT8_P12ihipStream_tbDpT10_ENKUlT_T0_E_clISt17integral_constantIbLb0EES1A_EEDaS15_S16_EUlS15_E_NS1_11comp_targetILNS1_3genE8ELNS1_11target_archE1030ELNS1_3gpuE2ELNS1_3repE0EEENS1_30default_config_static_selectorELNS0_4arch9wavefront6targetE0EEEvT1_,@function
_ZN7rocprim17ROCPRIM_400000_NS6detail17trampoline_kernelINS0_14default_configENS1_25partition_config_selectorILNS1_17partition_subalgoE9EllbEEZZNS1_14partition_implILS5_9ELb0ES3_jPlS8_PNS0_10empty_typeENS0_5tupleIJS8_S9_EEENSB_IJS8_SA_EEENS0_18inequality_wrapperIZN2at6native12_GLOBAL__N_124unique_dim_cuda_templateIfEESt5tupleIJNSF_6TensorESK_SK_EERKSK_lbbbEUlllE0_EEPmJS9_EEE10hipError_tPvRmT3_T4_T5_T6_T7_T9_mT8_P12ihipStream_tbDpT10_ENKUlT_T0_E_clISt17integral_constantIbLb0EES1A_EEDaS15_S16_EUlS15_E_NS1_11comp_targetILNS1_3genE8ELNS1_11target_archE1030ELNS1_3gpuE2ELNS1_3repE0EEENS1_30default_config_static_selectorELNS0_4arch9wavefront6targetE0EEEvT1_: ; @_ZN7rocprim17ROCPRIM_400000_NS6detail17trampoline_kernelINS0_14default_configENS1_25partition_config_selectorILNS1_17partition_subalgoE9EllbEEZZNS1_14partition_implILS5_9ELb0ES3_jPlS8_PNS0_10empty_typeENS0_5tupleIJS8_S9_EEENSB_IJS8_SA_EEENS0_18inequality_wrapperIZN2at6native12_GLOBAL__N_124unique_dim_cuda_templateIfEESt5tupleIJNSF_6TensorESK_SK_EERKSK_lbbbEUlllE0_EEPmJS9_EEE10hipError_tPvRmT3_T4_T5_T6_T7_T9_mT8_P12ihipStream_tbDpT10_ENKUlT_T0_E_clISt17integral_constantIbLb0EES1A_EEDaS15_S16_EUlS15_E_NS1_11comp_targetILNS1_3genE8ELNS1_11target_archE1030ELNS1_3gpuE2ELNS1_3repE0EEENS1_30default_config_static_selectorELNS0_4arch9wavefront6targetE0EEEvT1_
; %bb.0:
	.section	.rodata,"a",@progbits
	.p2align	6, 0x0
	.amdhsa_kernel _ZN7rocprim17ROCPRIM_400000_NS6detail17trampoline_kernelINS0_14default_configENS1_25partition_config_selectorILNS1_17partition_subalgoE9EllbEEZZNS1_14partition_implILS5_9ELb0ES3_jPlS8_PNS0_10empty_typeENS0_5tupleIJS8_S9_EEENSB_IJS8_SA_EEENS0_18inequality_wrapperIZN2at6native12_GLOBAL__N_124unique_dim_cuda_templateIfEESt5tupleIJNSF_6TensorESK_SK_EERKSK_lbbbEUlllE0_EEPmJS9_EEE10hipError_tPvRmT3_T4_T5_T6_T7_T9_mT8_P12ihipStream_tbDpT10_ENKUlT_T0_E_clISt17integral_constantIbLb0EES1A_EEDaS15_S16_EUlS15_E_NS1_11comp_targetILNS1_3genE8ELNS1_11target_archE1030ELNS1_3gpuE2ELNS1_3repE0EEENS1_30default_config_static_selectorELNS0_4arch9wavefront6targetE0EEEvT1_
		.amdhsa_group_segment_fixed_size 0
		.amdhsa_private_segment_fixed_size 0
		.amdhsa_kernarg_size 120
		.amdhsa_user_sgpr_count 15
		.amdhsa_user_sgpr_dispatch_ptr 0
		.amdhsa_user_sgpr_queue_ptr 0
		.amdhsa_user_sgpr_kernarg_segment_ptr 1
		.amdhsa_user_sgpr_dispatch_id 0
		.amdhsa_user_sgpr_private_segment_size 0
		.amdhsa_wavefront_size32 1
		.amdhsa_uses_dynamic_stack 0
		.amdhsa_enable_private_segment 0
		.amdhsa_system_sgpr_workgroup_id_x 1
		.amdhsa_system_sgpr_workgroup_id_y 0
		.amdhsa_system_sgpr_workgroup_id_z 0
		.amdhsa_system_sgpr_workgroup_info 0
		.amdhsa_system_vgpr_workitem_id 0
		.amdhsa_next_free_vgpr 1
		.amdhsa_next_free_sgpr 1
		.amdhsa_reserve_vcc 0
		.amdhsa_float_round_mode_32 0
		.amdhsa_float_round_mode_16_64 0
		.amdhsa_float_denorm_mode_32 3
		.amdhsa_float_denorm_mode_16_64 3
		.amdhsa_dx10_clamp 1
		.amdhsa_ieee_mode 1
		.amdhsa_fp16_overflow 0
		.amdhsa_workgroup_processor_mode 1
		.amdhsa_memory_ordered 1
		.amdhsa_forward_progress 0
		.amdhsa_shared_vgpr_count 0
		.amdhsa_exception_fp_ieee_invalid_op 0
		.amdhsa_exception_fp_denorm_src 0
		.amdhsa_exception_fp_ieee_div_zero 0
		.amdhsa_exception_fp_ieee_overflow 0
		.amdhsa_exception_fp_ieee_underflow 0
		.amdhsa_exception_fp_ieee_inexact 0
		.amdhsa_exception_int_div_zero 0
	.end_amdhsa_kernel
	.section	.text._ZN7rocprim17ROCPRIM_400000_NS6detail17trampoline_kernelINS0_14default_configENS1_25partition_config_selectorILNS1_17partition_subalgoE9EllbEEZZNS1_14partition_implILS5_9ELb0ES3_jPlS8_PNS0_10empty_typeENS0_5tupleIJS8_S9_EEENSB_IJS8_SA_EEENS0_18inequality_wrapperIZN2at6native12_GLOBAL__N_124unique_dim_cuda_templateIfEESt5tupleIJNSF_6TensorESK_SK_EERKSK_lbbbEUlllE0_EEPmJS9_EEE10hipError_tPvRmT3_T4_T5_T6_T7_T9_mT8_P12ihipStream_tbDpT10_ENKUlT_T0_E_clISt17integral_constantIbLb0EES1A_EEDaS15_S16_EUlS15_E_NS1_11comp_targetILNS1_3genE8ELNS1_11target_archE1030ELNS1_3gpuE2ELNS1_3repE0EEENS1_30default_config_static_selectorELNS0_4arch9wavefront6targetE0EEEvT1_,"axG",@progbits,_ZN7rocprim17ROCPRIM_400000_NS6detail17trampoline_kernelINS0_14default_configENS1_25partition_config_selectorILNS1_17partition_subalgoE9EllbEEZZNS1_14partition_implILS5_9ELb0ES3_jPlS8_PNS0_10empty_typeENS0_5tupleIJS8_S9_EEENSB_IJS8_SA_EEENS0_18inequality_wrapperIZN2at6native12_GLOBAL__N_124unique_dim_cuda_templateIfEESt5tupleIJNSF_6TensorESK_SK_EERKSK_lbbbEUlllE0_EEPmJS9_EEE10hipError_tPvRmT3_T4_T5_T6_T7_T9_mT8_P12ihipStream_tbDpT10_ENKUlT_T0_E_clISt17integral_constantIbLb0EES1A_EEDaS15_S16_EUlS15_E_NS1_11comp_targetILNS1_3genE8ELNS1_11target_archE1030ELNS1_3gpuE2ELNS1_3repE0EEENS1_30default_config_static_selectorELNS0_4arch9wavefront6targetE0EEEvT1_,comdat
.Lfunc_end968:
	.size	_ZN7rocprim17ROCPRIM_400000_NS6detail17trampoline_kernelINS0_14default_configENS1_25partition_config_selectorILNS1_17partition_subalgoE9EllbEEZZNS1_14partition_implILS5_9ELb0ES3_jPlS8_PNS0_10empty_typeENS0_5tupleIJS8_S9_EEENSB_IJS8_SA_EEENS0_18inequality_wrapperIZN2at6native12_GLOBAL__N_124unique_dim_cuda_templateIfEESt5tupleIJNSF_6TensorESK_SK_EERKSK_lbbbEUlllE0_EEPmJS9_EEE10hipError_tPvRmT3_T4_T5_T6_T7_T9_mT8_P12ihipStream_tbDpT10_ENKUlT_T0_E_clISt17integral_constantIbLb0EES1A_EEDaS15_S16_EUlS15_E_NS1_11comp_targetILNS1_3genE8ELNS1_11target_archE1030ELNS1_3gpuE2ELNS1_3repE0EEENS1_30default_config_static_selectorELNS0_4arch9wavefront6targetE0EEEvT1_, .Lfunc_end968-_ZN7rocprim17ROCPRIM_400000_NS6detail17trampoline_kernelINS0_14default_configENS1_25partition_config_selectorILNS1_17partition_subalgoE9EllbEEZZNS1_14partition_implILS5_9ELb0ES3_jPlS8_PNS0_10empty_typeENS0_5tupleIJS8_S9_EEENSB_IJS8_SA_EEENS0_18inequality_wrapperIZN2at6native12_GLOBAL__N_124unique_dim_cuda_templateIfEESt5tupleIJNSF_6TensorESK_SK_EERKSK_lbbbEUlllE0_EEPmJS9_EEE10hipError_tPvRmT3_T4_T5_T6_T7_T9_mT8_P12ihipStream_tbDpT10_ENKUlT_T0_E_clISt17integral_constantIbLb0EES1A_EEDaS15_S16_EUlS15_E_NS1_11comp_targetILNS1_3genE8ELNS1_11target_archE1030ELNS1_3gpuE2ELNS1_3repE0EEENS1_30default_config_static_selectorELNS0_4arch9wavefront6targetE0EEEvT1_
                                        ; -- End function
	.section	.AMDGPU.csdata,"",@progbits
; Kernel info:
; codeLenInByte = 0
; NumSgprs: 0
; NumVgprs: 0
; ScratchSize: 0
; MemoryBound: 0
; FloatMode: 240
; IeeeMode: 1
; LDSByteSize: 0 bytes/workgroup (compile time only)
; SGPRBlocks: 0
; VGPRBlocks: 0
; NumSGPRsForWavesPerEU: 1
; NumVGPRsForWavesPerEU: 1
; Occupancy: 16
; WaveLimiterHint : 0
; COMPUTE_PGM_RSRC2:SCRATCH_EN: 0
; COMPUTE_PGM_RSRC2:USER_SGPR: 15
; COMPUTE_PGM_RSRC2:TRAP_HANDLER: 0
; COMPUTE_PGM_RSRC2:TGID_X_EN: 1
; COMPUTE_PGM_RSRC2:TGID_Y_EN: 0
; COMPUTE_PGM_RSRC2:TGID_Z_EN: 0
; COMPUTE_PGM_RSRC2:TIDIG_COMP_CNT: 0
	.section	.text._ZN7rocprim17ROCPRIM_400000_NS6detail17trampoline_kernelINS0_14default_configENS1_25partition_config_selectorILNS1_17partition_subalgoE9EllbEEZZNS1_14partition_implILS5_9ELb0ES3_jPlS8_PNS0_10empty_typeENS0_5tupleIJS8_S9_EEENSB_IJS8_SA_EEENS0_18inequality_wrapperIZN2at6native12_GLOBAL__N_124unique_dim_cuda_templateIfEESt5tupleIJNSF_6TensorESK_SK_EERKSK_lbbbEUlllE0_EEPmJS9_EEE10hipError_tPvRmT3_T4_T5_T6_T7_T9_mT8_P12ihipStream_tbDpT10_ENKUlT_T0_E_clISt17integral_constantIbLb1EES1A_EEDaS15_S16_EUlS15_E_NS1_11comp_targetILNS1_3genE0ELNS1_11target_archE4294967295ELNS1_3gpuE0ELNS1_3repE0EEENS1_30default_config_static_selectorELNS0_4arch9wavefront6targetE0EEEvT1_,"axG",@progbits,_ZN7rocprim17ROCPRIM_400000_NS6detail17trampoline_kernelINS0_14default_configENS1_25partition_config_selectorILNS1_17partition_subalgoE9EllbEEZZNS1_14partition_implILS5_9ELb0ES3_jPlS8_PNS0_10empty_typeENS0_5tupleIJS8_S9_EEENSB_IJS8_SA_EEENS0_18inequality_wrapperIZN2at6native12_GLOBAL__N_124unique_dim_cuda_templateIfEESt5tupleIJNSF_6TensorESK_SK_EERKSK_lbbbEUlllE0_EEPmJS9_EEE10hipError_tPvRmT3_T4_T5_T6_T7_T9_mT8_P12ihipStream_tbDpT10_ENKUlT_T0_E_clISt17integral_constantIbLb1EES1A_EEDaS15_S16_EUlS15_E_NS1_11comp_targetILNS1_3genE0ELNS1_11target_archE4294967295ELNS1_3gpuE0ELNS1_3repE0EEENS1_30default_config_static_selectorELNS0_4arch9wavefront6targetE0EEEvT1_,comdat
	.globl	_ZN7rocprim17ROCPRIM_400000_NS6detail17trampoline_kernelINS0_14default_configENS1_25partition_config_selectorILNS1_17partition_subalgoE9EllbEEZZNS1_14partition_implILS5_9ELb0ES3_jPlS8_PNS0_10empty_typeENS0_5tupleIJS8_S9_EEENSB_IJS8_SA_EEENS0_18inequality_wrapperIZN2at6native12_GLOBAL__N_124unique_dim_cuda_templateIfEESt5tupleIJNSF_6TensorESK_SK_EERKSK_lbbbEUlllE0_EEPmJS9_EEE10hipError_tPvRmT3_T4_T5_T6_T7_T9_mT8_P12ihipStream_tbDpT10_ENKUlT_T0_E_clISt17integral_constantIbLb1EES1A_EEDaS15_S16_EUlS15_E_NS1_11comp_targetILNS1_3genE0ELNS1_11target_archE4294967295ELNS1_3gpuE0ELNS1_3repE0EEENS1_30default_config_static_selectorELNS0_4arch9wavefront6targetE0EEEvT1_ ; -- Begin function _ZN7rocprim17ROCPRIM_400000_NS6detail17trampoline_kernelINS0_14default_configENS1_25partition_config_selectorILNS1_17partition_subalgoE9EllbEEZZNS1_14partition_implILS5_9ELb0ES3_jPlS8_PNS0_10empty_typeENS0_5tupleIJS8_S9_EEENSB_IJS8_SA_EEENS0_18inequality_wrapperIZN2at6native12_GLOBAL__N_124unique_dim_cuda_templateIfEESt5tupleIJNSF_6TensorESK_SK_EERKSK_lbbbEUlllE0_EEPmJS9_EEE10hipError_tPvRmT3_T4_T5_T6_T7_T9_mT8_P12ihipStream_tbDpT10_ENKUlT_T0_E_clISt17integral_constantIbLb1EES1A_EEDaS15_S16_EUlS15_E_NS1_11comp_targetILNS1_3genE0ELNS1_11target_archE4294967295ELNS1_3gpuE0ELNS1_3repE0EEENS1_30default_config_static_selectorELNS0_4arch9wavefront6targetE0EEEvT1_
	.p2align	8
	.type	_ZN7rocprim17ROCPRIM_400000_NS6detail17trampoline_kernelINS0_14default_configENS1_25partition_config_selectorILNS1_17partition_subalgoE9EllbEEZZNS1_14partition_implILS5_9ELb0ES3_jPlS8_PNS0_10empty_typeENS0_5tupleIJS8_S9_EEENSB_IJS8_SA_EEENS0_18inequality_wrapperIZN2at6native12_GLOBAL__N_124unique_dim_cuda_templateIfEESt5tupleIJNSF_6TensorESK_SK_EERKSK_lbbbEUlllE0_EEPmJS9_EEE10hipError_tPvRmT3_T4_T5_T6_T7_T9_mT8_P12ihipStream_tbDpT10_ENKUlT_T0_E_clISt17integral_constantIbLb1EES1A_EEDaS15_S16_EUlS15_E_NS1_11comp_targetILNS1_3genE0ELNS1_11target_archE4294967295ELNS1_3gpuE0ELNS1_3repE0EEENS1_30default_config_static_selectorELNS0_4arch9wavefront6targetE0EEEvT1_,@function
_ZN7rocprim17ROCPRIM_400000_NS6detail17trampoline_kernelINS0_14default_configENS1_25partition_config_selectorILNS1_17partition_subalgoE9EllbEEZZNS1_14partition_implILS5_9ELb0ES3_jPlS8_PNS0_10empty_typeENS0_5tupleIJS8_S9_EEENSB_IJS8_SA_EEENS0_18inequality_wrapperIZN2at6native12_GLOBAL__N_124unique_dim_cuda_templateIfEESt5tupleIJNSF_6TensorESK_SK_EERKSK_lbbbEUlllE0_EEPmJS9_EEE10hipError_tPvRmT3_T4_T5_T6_T7_T9_mT8_P12ihipStream_tbDpT10_ENKUlT_T0_E_clISt17integral_constantIbLb1EES1A_EEDaS15_S16_EUlS15_E_NS1_11comp_targetILNS1_3genE0ELNS1_11target_archE4294967295ELNS1_3gpuE0ELNS1_3repE0EEENS1_30default_config_static_selectorELNS0_4arch9wavefront6targetE0EEEvT1_: ; @_ZN7rocprim17ROCPRIM_400000_NS6detail17trampoline_kernelINS0_14default_configENS1_25partition_config_selectorILNS1_17partition_subalgoE9EllbEEZZNS1_14partition_implILS5_9ELb0ES3_jPlS8_PNS0_10empty_typeENS0_5tupleIJS8_S9_EEENSB_IJS8_SA_EEENS0_18inequality_wrapperIZN2at6native12_GLOBAL__N_124unique_dim_cuda_templateIfEESt5tupleIJNSF_6TensorESK_SK_EERKSK_lbbbEUlllE0_EEPmJS9_EEE10hipError_tPvRmT3_T4_T5_T6_T7_T9_mT8_P12ihipStream_tbDpT10_ENKUlT_T0_E_clISt17integral_constantIbLb1EES1A_EEDaS15_S16_EUlS15_E_NS1_11comp_targetILNS1_3genE0ELNS1_11target_archE4294967295ELNS1_3gpuE0ELNS1_3repE0EEENS1_30default_config_static_selectorELNS0_4arch9wavefront6targetE0EEEvT1_
; %bb.0:
	.section	.rodata,"a",@progbits
	.p2align	6, 0x0
	.amdhsa_kernel _ZN7rocprim17ROCPRIM_400000_NS6detail17trampoline_kernelINS0_14default_configENS1_25partition_config_selectorILNS1_17partition_subalgoE9EllbEEZZNS1_14partition_implILS5_9ELb0ES3_jPlS8_PNS0_10empty_typeENS0_5tupleIJS8_S9_EEENSB_IJS8_SA_EEENS0_18inequality_wrapperIZN2at6native12_GLOBAL__N_124unique_dim_cuda_templateIfEESt5tupleIJNSF_6TensorESK_SK_EERKSK_lbbbEUlllE0_EEPmJS9_EEE10hipError_tPvRmT3_T4_T5_T6_T7_T9_mT8_P12ihipStream_tbDpT10_ENKUlT_T0_E_clISt17integral_constantIbLb1EES1A_EEDaS15_S16_EUlS15_E_NS1_11comp_targetILNS1_3genE0ELNS1_11target_archE4294967295ELNS1_3gpuE0ELNS1_3repE0EEENS1_30default_config_static_selectorELNS0_4arch9wavefront6targetE0EEEvT1_
		.amdhsa_group_segment_fixed_size 0
		.amdhsa_private_segment_fixed_size 0
		.amdhsa_kernarg_size 136
		.amdhsa_user_sgpr_count 15
		.amdhsa_user_sgpr_dispatch_ptr 0
		.amdhsa_user_sgpr_queue_ptr 0
		.amdhsa_user_sgpr_kernarg_segment_ptr 1
		.amdhsa_user_sgpr_dispatch_id 0
		.amdhsa_user_sgpr_private_segment_size 0
		.amdhsa_wavefront_size32 1
		.amdhsa_uses_dynamic_stack 0
		.amdhsa_enable_private_segment 0
		.amdhsa_system_sgpr_workgroup_id_x 1
		.amdhsa_system_sgpr_workgroup_id_y 0
		.amdhsa_system_sgpr_workgroup_id_z 0
		.amdhsa_system_sgpr_workgroup_info 0
		.amdhsa_system_vgpr_workitem_id 0
		.amdhsa_next_free_vgpr 1
		.amdhsa_next_free_sgpr 1
		.amdhsa_reserve_vcc 0
		.amdhsa_float_round_mode_32 0
		.amdhsa_float_round_mode_16_64 0
		.amdhsa_float_denorm_mode_32 3
		.amdhsa_float_denorm_mode_16_64 3
		.amdhsa_dx10_clamp 1
		.amdhsa_ieee_mode 1
		.amdhsa_fp16_overflow 0
		.amdhsa_workgroup_processor_mode 1
		.amdhsa_memory_ordered 1
		.amdhsa_forward_progress 0
		.amdhsa_shared_vgpr_count 0
		.amdhsa_exception_fp_ieee_invalid_op 0
		.amdhsa_exception_fp_denorm_src 0
		.amdhsa_exception_fp_ieee_div_zero 0
		.amdhsa_exception_fp_ieee_overflow 0
		.amdhsa_exception_fp_ieee_underflow 0
		.amdhsa_exception_fp_ieee_inexact 0
		.amdhsa_exception_int_div_zero 0
	.end_amdhsa_kernel
	.section	.text._ZN7rocprim17ROCPRIM_400000_NS6detail17trampoline_kernelINS0_14default_configENS1_25partition_config_selectorILNS1_17partition_subalgoE9EllbEEZZNS1_14partition_implILS5_9ELb0ES3_jPlS8_PNS0_10empty_typeENS0_5tupleIJS8_S9_EEENSB_IJS8_SA_EEENS0_18inequality_wrapperIZN2at6native12_GLOBAL__N_124unique_dim_cuda_templateIfEESt5tupleIJNSF_6TensorESK_SK_EERKSK_lbbbEUlllE0_EEPmJS9_EEE10hipError_tPvRmT3_T4_T5_T6_T7_T9_mT8_P12ihipStream_tbDpT10_ENKUlT_T0_E_clISt17integral_constantIbLb1EES1A_EEDaS15_S16_EUlS15_E_NS1_11comp_targetILNS1_3genE0ELNS1_11target_archE4294967295ELNS1_3gpuE0ELNS1_3repE0EEENS1_30default_config_static_selectorELNS0_4arch9wavefront6targetE0EEEvT1_,"axG",@progbits,_ZN7rocprim17ROCPRIM_400000_NS6detail17trampoline_kernelINS0_14default_configENS1_25partition_config_selectorILNS1_17partition_subalgoE9EllbEEZZNS1_14partition_implILS5_9ELb0ES3_jPlS8_PNS0_10empty_typeENS0_5tupleIJS8_S9_EEENSB_IJS8_SA_EEENS0_18inequality_wrapperIZN2at6native12_GLOBAL__N_124unique_dim_cuda_templateIfEESt5tupleIJNSF_6TensorESK_SK_EERKSK_lbbbEUlllE0_EEPmJS9_EEE10hipError_tPvRmT3_T4_T5_T6_T7_T9_mT8_P12ihipStream_tbDpT10_ENKUlT_T0_E_clISt17integral_constantIbLb1EES1A_EEDaS15_S16_EUlS15_E_NS1_11comp_targetILNS1_3genE0ELNS1_11target_archE4294967295ELNS1_3gpuE0ELNS1_3repE0EEENS1_30default_config_static_selectorELNS0_4arch9wavefront6targetE0EEEvT1_,comdat
.Lfunc_end969:
	.size	_ZN7rocprim17ROCPRIM_400000_NS6detail17trampoline_kernelINS0_14default_configENS1_25partition_config_selectorILNS1_17partition_subalgoE9EllbEEZZNS1_14partition_implILS5_9ELb0ES3_jPlS8_PNS0_10empty_typeENS0_5tupleIJS8_S9_EEENSB_IJS8_SA_EEENS0_18inequality_wrapperIZN2at6native12_GLOBAL__N_124unique_dim_cuda_templateIfEESt5tupleIJNSF_6TensorESK_SK_EERKSK_lbbbEUlllE0_EEPmJS9_EEE10hipError_tPvRmT3_T4_T5_T6_T7_T9_mT8_P12ihipStream_tbDpT10_ENKUlT_T0_E_clISt17integral_constantIbLb1EES1A_EEDaS15_S16_EUlS15_E_NS1_11comp_targetILNS1_3genE0ELNS1_11target_archE4294967295ELNS1_3gpuE0ELNS1_3repE0EEENS1_30default_config_static_selectorELNS0_4arch9wavefront6targetE0EEEvT1_, .Lfunc_end969-_ZN7rocprim17ROCPRIM_400000_NS6detail17trampoline_kernelINS0_14default_configENS1_25partition_config_selectorILNS1_17partition_subalgoE9EllbEEZZNS1_14partition_implILS5_9ELb0ES3_jPlS8_PNS0_10empty_typeENS0_5tupleIJS8_S9_EEENSB_IJS8_SA_EEENS0_18inequality_wrapperIZN2at6native12_GLOBAL__N_124unique_dim_cuda_templateIfEESt5tupleIJNSF_6TensorESK_SK_EERKSK_lbbbEUlllE0_EEPmJS9_EEE10hipError_tPvRmT3_T4_T5_T6_T7_T9_mT8_P12ihipStream_tbDpT10_ENKUlT_T0_E_clISt17integral_constantIbLb1EES1A_EEDaS15_S16_EUlS15_E_NS1_11comp_targetILNS1_3genE0ELNS1_11target_archE4294967295ELNS1_3gpuE0ELNS1_3repE0EEENS1_30default_config_static_selectorELNS0_4arch9wavefront6targetE0EEEvT1_
                                        ; -- End function
	.section	.AMDGPU.csdata,"",@progbits
; Kernel info:
; codeLenInByte = 0
; NumSgprs: 0
; NumVgprs: 0
; ScratchSize: 0
; MemoryBound: 0
; FloatMode: 240
; IeeeMode: 1
; LDSByteSize: 0 bytes/workgroup (compile time only)
; SGPRBlocks: 0
; VGPRBlocks: 0
; NumSGPRsForWavesPerEU: 1
; NumVGPRsForWavesPerEU: 1
; Occupancy: 16
; WaveLimiterHint : 0
; COMPUTE_PGM_RSRC2:SCRATCH_EN: 0
; COMPUTE_PGM_RSRC2:USER_SGPR: 15
; COMPUTE_PGM_RSRC2:TRAP_HANDLER: 0
; COMPUTE_PGM_RSRC2:TGID_X_EN: 1
; COMPUTE_PGM_RSRC2:TGID_Y_EN: 0
; COMPUTE_PGM_RSRC2:TGID_Z_EN: 0
; COMPUTE_PGM_RSRC2:TIDIG_COMP_CNT: 0
	.section	.text._ZN7rocprim17ROCPRIM_400000_NS6detail17trampoline_kernelINS0_14default_configENS1_25partition_config_selectorILNS1_17partition_subalgoE9EllbEEZZNS1_14partition_implILS5_9ELb0ES3_jPlS8_PNS0_10empty_typeENS0_5tupleIJS8_S9_EEENSB_IJS8_SA_EEENS0_18inequality_wrapperIZN2at6native12_GLOBAL__N_124unique_dim_cuda_templateIfEESt5tupleIJNSF_6TensorESK_SK_EERKSK_lbbbEUlllE0_EEPmJS9_EEE10hipError_tPvRmT3_T4_T5_T6_T7_T9_mT8_P12ihipStream_tbDpT10_ENKUlT_T0_E_clISt17integral_constantIbLb1EES1A_EEDaS15_S16_EUlS15_E_NS1_11comp_targetILNS1_3genE5ELNS1_11target_archE942ELNS1_3gpuE9ELNS1_3repE0EEENS1_30default_config_static_selectorELNS0_4arch9wavefront6targetE0EEEvT1_,"axG",@progbits,_ZN7rocprim17ROCPRIM_400000_NS6detail17trampoline_kernelINS0_14default_configENS1_25partition_config_selectorILNS1_17partition_subalgoE9EllbEEZZNS1_14partition_implILS5_9ELb0ES3_jPlS8_PNS0_10empty_typeENS0_5tupleIJS8_S9_EEENSB_IJS8_SA_EEENS0_18inequality_wrapperIZN2at6native12_GLOBAL__N_124unique_dim_cuda_templateIfEESt5tupleIJNSF_6TensorESK_SK_EERKSK_lbbbEUlllE0_EEPmJS9_EEE10hipError_tPvRmT3_T4_T5_T6_T7_T9_mT8_P12ihipStream_tbDpT10_ENKUlT_T0_E_clISt17integral_constantIbLb1EES1A_EEDaS15_S16_EUlS15_E_NS1_11comp_targetILNS1_3genE5ELNS1_11target_archE942ELNS1_3gpuE9ELNS1_3repE0EEENS1_30default_config_static_selectorELNS0_4arch9wavefront6targetE0EEEvT1_,comdat
	.globl	_ZN7rocprim17ROCPRIM_400000_NS6detail17trampoline_kernelINS0_14default_configENS1_25partition_config_selectorILNS1_17partition_subalgoE9EllbEEZZNS1_14partition_implILS5_9ELb0ES3_jPlS8_PNS0_10empty_typeENS0_5tupleIJS8_S9_EEENSB_IJS8_SA_EEENS0_18inequality_wrapperIZN2at6native12_GLOBAL__N_124unique_dim_cuda_templateIfEESt5tupleIJNSF_6TensorESK_SK_EERKSK_lbbbEUlllE0_EEPmJS9_EEE10hipError_tPvRmT3_T4_T5_T6_T7_T9_mT8_P12ihipStream_tbDpT10_ENKUlT_T0_E_clISt17integral_constantIbLb1EES1A_EEDaS15_S16_EUlS15_E_NS1_11comp_targetILNS1_3genE5ELNS1_11target_archE942ELNS1_3gpuE9ELNS1_3repE0EEENS1_30default_config_static_selectorELNS0_4arch9wavefront6targetE0EEEvT1_ ; -- Begin function _ZN7rocprim17ROCPRIM_400000_NS6detail17trampoline_kernelINS0_14default_configENS1_25partition_config_selectorILNS1_17partition_subalgoE9EllbEEZZNS1_14partition_implILS5_9ELb0ES3_jPlS8_PNS0_10empty_typeENS0_5tupleIJS8_S9_EEENSB_IJS8_SA_EEENS0_18inequality_wrapperIZN2at6native12_GLOBAL__N_124unique_dim_cuda_templateIfEESt5tupleIJNSF_6TensorESK_SK_EERKSK_lbbbEUlllE0_EEPmJS9_EEE10hipError_tPvRmT3_T4_T5_T6_T7_T9_mT8_P12ihipStream_tbDpT10_ENKUlT_T0_E_clISt17integral_constantIbLb1EES1A_EEDaS15_S16_EUlS15_E_NS1_11comp_targetILNS1_3genE5ELNS1_11target_archE942ELNS1_3gpuE9ELNS1_3repE0EEENS1_30default_config_static_selectorELNS0_4arch9wavefront6targetE0EEEvT1_
	.p2align	8
	.type	_ZN7rocprim17ROCPRIM_400000_NS6detail17trampoline_kernelINS0_14default_configENS1_25partition_config_selectorILNS1_17partition_subalgoE9EllbEEZZNS1_14partition_implILS5_9ELb0ES3_jPlS8_PNS0_10empty_typeENS0_5tupleIJS8_S9_EEENSB_IJS8_SA_EEENS0_18inequality_wrapperIZN2at6native12_GLOBAL__N_124unique_dim_cuda_templateIfEESt5tupleIJNSF_6TensorESK_SK_EERKSK_lbbbEUlllE0_EEPmJS9_EEE10hipError_tPvRmT3_T4_T5_T6_T7_T9_mT8_P12ihipStream_tbDpT10_ENKUlT_T0_E_clISt17integral_constantIbLb1EES1A_EEDaS15_S16_EUlS15_E_NS1_11comp_targetILNS1_3genE5ELNS1_11target_archE942ELNS1_3gpuE9ELNS1_3repE0EEENS1_30default_config_static_selectorELNS0_4arch9wavefront6targetE0EEEvT1_,@function
_ZN7rocprim17ROCPRIM_400000_NS6detail17trampoline_kernelINS0_14default_configENS1_25partition_config_selectorILNS1_17partition_subalgoE9EllbEEZZNS1_14partition_implILS5_9ELb0ES3_jPlS8_PNS0_10empty_typeENS0_5tupleIJS8_S9_EEENSB_IJS8_SA_EEENS0_18inequality_wrapperIZN2at6native12_GLOBAL__N_124unique_dim_cuda_templateIfEESt5tupleIJNSF_6TensorESK_SK_EERKSK_lbbbEUlllE0_EEPmJS9_EEE10hipError_tPvRmT3_T4_T5_T6_T7_T9_mT8_P12ihipStream_tbDpT10_ENKUlT_T0_E_clISt17integral_constantIbLb1EES1A_EEDaS15_S16_EUlS15_E_NS1_11comp_targetILNS1_3genE5ELNS1_11target_archE942ELNS1_3gpuE9ELNS1_3repE0EEENS1_30default_config_static_selectorELNS0_4arch9wavefront6targetE0EEEvT1_: ; @_ZN7rocprim17ROCPRIM_400000_NS6detail17trampoline_kernelINS0_14default_configENS1_25partition_config_selectorILNS1_17partition_subalgoE9EllbEEZZNS1_14partition_implILS5_9ELb0ES3_jPlS8_PNS0_10empty_typeENS0_5tupleIJS8_S9_EEENSB_IJS8_SA_EEENS0_18inequality_wrapperIZN2at6native12_GLOBAL__N_124unique_dim_cuda_templateIfEESt5tupleIJNSF_6TensorESK_SK_EERKSK_lbbbEUlllE0_EEPmJS9_EEE10hipError_tPvRmT3_T4_T5_T6_T7_T9_mT8_P12ihipStream_tbDpT10_ENKUlT_T0_E_clISt17integral_constantIbLb1EES1A_EEDaS15_S16_EUlS15_E_NS1_11comp_targetILNS1_3genE5ELNS1_11target_archE942ELNS1_3gpuE9ELNS1_3repE0EEENS1_30default_config_static_selectorELNS0_4arch9wavefront6targetE0EEEvT1_
; %bb.0:
	.section	.rodata,"a",@progbits
	.p2align	6, 0x0
	.amdhsa_kernel _ZN7rocprim17ROCPRIM_400000_NS6detail17trampoline_kernelINS0_14default_configENS1_25partition_config_selectorILNS1_17partition_subalgoE9EllbEEZZNS1_14partition_implILS5_9ELb0ES3_jPlS8_PNS0_10empty_typeENS0_5tupleIJS8_S9_EEENSB_IJS8_SA_EEENS0_18inequality_wrapperIZN2at6native12_GLOBAL__N_124unique_dim_cuda_templateIfEESt5tupleIJNSF_6TensorESK_SK_EERKSK_lbbbEUlllE0_EEPmJS9_EEE10hipError_tPvRmT3_T4_T5_T6_T7_T9_mT8_P12ihipStream_tbDpT10_ENKUlT_T0_E_clISt17integral_constantIbLb1EES1A_EEDaS15_S16_EUlS15_E_NS1_11comp_targetILNS1_3genE5ELNS1_11target_archE942ELNS1_3gpuE9ELNS1_3repE0EEENS1_30default_config_static_selectorELNS0_4arch9wavefront6targetE0EEEvT1_
		.amdhsa_group_segment_fixed_size 0
		.amdhsa_private_segment_fixed_size 0
		.amdhsa_kernarg_size 136
		.amdhsa_user_sgpr_count 15
		.amdhsa_user_sgpr_dispatch_ptr 0
		.amdhsa_user_sgpr_queue_ptr 0
		.amdhsa_user_sgpr_kernarg_segment_ptr 1
		.amdhsa_user_sgpr_dispatch_id 0
		.amdhsa_user_sgpr_private_segment_size 0
		.amdhsa_wavefront_size32 1
		.amdhsa_uses_dynamic_stack 0
		.amdhsa_enable_private_segment 0
		.amdhsa_system_sgpr_workgroup_id_x 1
		.amdhsa_system_sgpr_workgroup_id_y 0
		.amdhsa_system_sgpr_workgroup_id_z 0
		.amdhsa_system_sgpr_workgroup_info 0
		.amdhsa_system_vgpr_workitem_id 0
		.amdhsa_next_free_vgpr 1
		.amdhsa_next_free_sgpr 1
		.amdhsa_reserve_vcc 0
		.amdhsa_float_round_mode_32 0
		.amdhsa_float_round_mode_16_64 0
		.amdhsa_float_denorm_mode_32 3
		.amdhsa_float_denorm_mode_16_64 3
		.amdhsa_dx10_clamp 1
		.amdhsa_ieee_mode 1
		.amdhsa_fp16_overflow 0
		.amdhsa_workgroup_processor_mode 1
		.amdhsa_memory_ordered 1
		.amdhsa_forward_progress 0
		.amdhsa_shared_vgpr_count 0
		.amdhsa_exception_fp_ieee_invalid_op 0
		.amdhsa_exception_fp_denorm_src 0
		.amdhsa_exception_fp_ieee_div_zero 0
		.amdhsa_exception_fp_ieee_overflow 0
		.amdhsa_exception_fp_ieee_underflow 0
		.amdhsa_exception_fp_ieee_inexact 0
		.amdhsa_exception_int_div_zero 0
	.end_amdhsa_kernel
	.section	.text._ZN7rocprim17ROCPRIM_400000_NS6detail17trampoline_kernelINS0_14default_configENS1_25partition_config_selectorILNS1_17partition_subalgoE9EllbEEZZNS1_14partition_implILS5_9ELb0ES3_jPlS8_PNS0_10empty_typeENS0_5tupleIJS8_S9_EEENSB_IJS8_SA_EEENS0_18inequality_wrapperIZN2at6native12_GLOBAL__N_124unique_dim_cuda_templateIfEESt5tupleIJNSF_6TensorESK_SK_EERKSK_lbbbEUlllE0_EEPmJS9_EEE10hipError_tPvRmT3_T4_T5_T6_T7_T9_mT8_P12ihipStream_tbDpT10_ENKUlT_T0_E_clISt17integral_constantIbLb1EES1A_EEDaS15_S16_EUlS15_E_NS1_11comp_targetILNS1_3genE5ELNS1_11target_archE942ELNS1_3gpuE9ELNS1_3repE0EEENS1_30default_config_static_selectorELNS0_4arch9wavefront6targetE0EEEvT1_,"axG",@progbits,_ZN7rocprim17ROCPRIM_400000_NS6detail17trampoline_kernelINS0_14default_configENS1_25partition_config_selectorILNS1_17partition_subalgoE9EllbEEZZNS1_14partition_implILS5_9ELb0ES3_jPlS8_PNS0_10empty_typeENS0_5tupleIJS8_S9_EEENSB_IJS8_SA_EEENS0_18inequality_wrapperIZN2at6native12_GLOBAL__N_124unique_dim_cuda_templateIfEESt5tupleIJNSF_6TensorESK_SK_EERKSK_lbbbEUlllE0_EEPmJS9_EEE10hipError_tPvRmT3_T4_T5_T6_T7_T9_mT8_P12ihipStream_tbDpT10_ENKUlT_T0_E_clISt17integral_constantIbLb1EES1A_EEDaS15_S16_EUlS15_E_NS1_11comp_targetILNS1_3genE5ELNS1_11target_archE942ELNS1_3gpuE9ELNS1_3repE0EEENS1_30default_config_static_selectorELNS0_4arch9wavefront6targetE0EEEvT1_,comdat
.Lfunc_end970:
	.size	_ZN7rocprim17ROCPRIM_400000_NS6detail17trampoline_kernelINS0_14default_configENS1_25partition_config_selectorILNS1_17partition_subalgoE9EllbEEZZNS1_14partition_implILS5_9ELb0ES3_jPlS8_PNS0_10empty_typeENS0_5tupleIJS8_S9_EEENSB_IJS8_SA_EEENS0_18inequality_wrapperIZN2at6native12_GLOBAL__N_124unique_dim_cuda_templateIfEESt5tupleIJNSF_6TensorESK_SK_EERKSK_lbbbEUlllE0_EEPmJS9_EEE10hipError_tPvRmT3_T4_T5_T6_T7_T9_mT8_P12ihipStream_tbDpT10_ENKUlT_T0_E_clISt17integral_constantIbLb1EES1A_EEDaS15_S16_EUlS15_E_NS1_11comp_targetILNS1_3genE5ELNS1_11target_archE942ELNS1_3gpuE9ELNS1_3repE0EEENS1_30default_config_static_selectorELNS0_4arch9wavefront6targetE0EEEvT1_, .Lfunc_end970-_ZN7rocprim17ROCPRIM_400000_NS6detail17trampoline_kernelINS0_14default_configENS1_25partition_config_selectorILNS1_17partition_subalgoE9EllbEEZZNS1_14partition_implILS5_9ELb0ES3_jPlS8_PNS0_10empty_typeENS0_5tupleIJS8_S9_EEENSB_IJS8_SA_EEENS0_18inequality_wrapperIZN2at6native12_GLOBAL__N_124unique_dim_cuda_templateIfEESt5tupleIJNSF_6TensorESK_SK_EERKSK_lbbbEUlllE0_EEPmJS9_EEE10hipError_tPvRmT3_T4_T5_T6_T7_T9_mT8_P12ihipStream_tbDpT10_ENKUlT_T0_E_clISt17integral_constantIbLb1EES1A_EEDaS15_S16_EUlS15_E_NS1_11comp_targetILNS1_3genE5ELNS1_11target_archE942ELNS1_3gpuE9ELNS1_3repE0EEENS1_30default_config_static_selectorELNS0_4arch9wavefront6targetE0EEEvT1_
                                        ; -- End function
	.section	.AMDGPU.csdata,"",@progbits
; Kernel info:
; codeLenInByte = 0
; NumSgprs: 0
; NumVgprs: 0
; ScratchSize: 0
; MemoryBound: 0
; FloatMode: 240
; IeeeMode: 1
; LDSByteSize: 0 bytes/workgroup (compile time only)
; SGPRBlocks: 0
; VGPRBlocks: 0
; NumSGPRsForWavesPerEU: 1
; NumVGPRsForWavesPerEU: 1
; Occupancy: 16
; WaveLimiterHint : 0
; COMPUTE_PGM_RSRC2:SCRATCH_EN: 0
; COMPUTE_PGM_RSRC2:USER_SGPR: 15
; COMPUTE_PGM_RSRC2:TRAP_HANDLER: 0
; COMPUTE_PGM_RSRC2:TGID_X_EN: 1
; COMPUTE_PGM_RSRC2:TGID_Y_EN: 0
; COMPUTE_PGM_RSRC2:TGID_Z_EN: 0
; COMPUTE_PGM_RSRC2:TIDIG_COMP_CNT: 0
	.section	.text._ZN7rocprim17ROCPRIM_400000_NS6detail17trampoline_kernelINS0_14default_configENS1_25partition_config_selectorILNS1_17partition_subalgoE9EllbEEZZNS1_14partition_implILS5_9ELb0ES3_jPlS8_PNS0_10empty_typeENS0_5tupleIJS8_S9_EEENSB_IJS8_SA_EEENS0_18inequality_wrapperIZN2at6native12_GLOBAL__N_124unique_dim_cuda_templateIfEESt5tupleIJNSF_6TensorESK_SK_EERKSK_lbbbEUlllE0_EEPmJS9_EEE10hipError_tPvRmT3_T4_T5_T6_T7_T9_mT8_P12ihipStream_tbDpT10_ENKUlT_T0_E_clISt17integral_constantIbLb1EES1A_EEDaS15_S16_EUlS15_E_NS1_11comp_targetILNS1_3genE4ELNS1_11target_archE910ELNS1_3gpuE8ELNS1_3repE0EEENS1_30default_config_static_selectorELNS0_4arch9wavefront6targetE0EEEvT1_,"axG",@progbits,_ZN7rocprim17ROCPRIM_400000_NS6detail17trampoline_kernelINS0_14default_configENS1_25partition_config_selectorILNS1_17partition_subalgoE9EllbEEZZNS1_14partition_implILS5_9ELb0ES3_jPlS8_PNS0_10empty_typeENS0_5tupleIJS8_S9_EEENSB_IJS8_SA_EEENS0_18inequality_wrapperIZN2at6native12_GLOBAL__N_124unique_dim_cuda_templateIfEESt5tupleIJNSF_6TensorESK_SK_EERKSK_lbbbEUlllE0_EEPmJS9_EEE10hipError_tPvRmT3_T4_T5_T6_T7_T9_mT8_P12ihipStream_tbDpT10_ENKUlT_T0_E_clISt17integral_constantIbLb1EES1A_EEDaS15_S16_EUlS15_E_NS1_11comp_targetILNS1_3genE4ELNS1_11target_archE910ELNS1_3gpuE8ELNS1_3repE0EEENS1_30default_config_static_selectorELNS0_4arch9wavefront6targetE0EEEvT1_,comdat
	.globl	_ZN7rocprim17ROCPRIM_400000_NS6detail17trampoline_kernelINS0_14default_configENS1_25partition_config_selectorILNS1_17partition_subalgoE9EllbEEZZNS1_14partition_implILS5_9ELb0ES3_jPlS8_PNS0_10empty_typeENS0_5tupleIJS8_S9_EEENSB_IJS8_SA_EEENS0_18inequality_wrapperIZN2at6native12_GLOBAL__N_124unique_dim_cuda_templateIfEESt5tupleIJNSF_6TensorESK_SK_EERKSK_lbbbEUlllE0_EEPmJS9_EEE10hipError_tPvRmT3_T4_T5_T6_T7_T9_mT8_P12ihipStream_tbDpT10_ENKUlT_T0_E_clISt17integral_constantIbLb1EES1A_EEDaS15_S16_EUlS15_E_NS1_11comp_targetILNS1_3genE4ELNS1_11target_archE910ELNS1_3gpuE8ELNS1_3repE0EEENS1_30default_config_static_selectorELNS0_4arch9wavefront6targetE0EEEvT1_ ; -- Begin function _ZN7rocprim17ROCPRIM_400000_NS6detail17trampoline_kernelINS0_14default_configENS1_25partition_config_selectorILNS1_17partition_subalgoE9EllbEEZZNS1_14partition_implILS5_9ELb0ES3_jPlS8_PNS0_10empty_typeENS0_5tupleIJS8_S9_EEENSB_IJS8_SA_EEENS0_18inequality_wrapperIZN2at6native12_GLOBAL__N_124unique_dim_cuda_templateIfEESt5tupleIJNSF_6TensorESK_SK_EERKSK_lbbbEUlllE0_EEPmJS9_EEE10hipError_tPvRmT3_T4_T5_T6_T7_T9_mT8_P12ihipStream_tbDpT10_ENKUlT_T0_E_clISt17integral_constantIbLb1EES1A_EEDaS15_S16_EUlS15_E_NS1_11comp_targetILNS1_3genE4ELNS1_11target_archE910ELNS1_3gpuE8ELNS1_3repE0EEENS1_30default_config_static_selectorELNS0_4arch9wavefront6targetE0EEEvT1_
	.p2align	8
	.type	_ZN7rocprim17ROCPRIM_400000_NS6detail17trampoline_kernelINS0_14default_configENS1_25partition_config_selectorILNS1_17partition_subalgoE9EllbEEZZNS1_14partition_implILS5_9ELb0ES3_jPlS8_PNS0_10empty_typeENS0_5tupleIJS8_S9_EEENSB_IJS8_SA_EEENS0_18inequality_wrapperIZN2at6native12_GLOBAL__N_124unique_dim_cuda_templateIfEESt5tupleIJNSF_6TensorESK_SK_EERKSK_lbbbEUlllE0_EEPmJS9_EEE10hipError_tPvRmT3_T4_T5_T6_T7_T9_mT8_P12ihipStream_tbDpT10_ENKUlT_T0_E_clISt17integral_constantIbLb1EES1A_EEDaS15_S16_EUlS15_E_NS1_11comp_targetILNS1_3genE4ELNS1_11target_archE910ELNS1_3gpuE8ELNS1_3repE0EEENS1_30default_config_static_selectorELNS0_4arch9wavefront6targetE0EEEvT1_,@function
_ZN7rocprim17ROCPRIM_400000_NS6detail17trampoline_kernelINS0_14default_configENS1_25partition_config_selectorILNS1_17partition_subalgoE9EllbEEZZNS1_14partition_implILS5_9ELb0ES3_jPlS8_PNS0_10empty_typeENS0_5tupleIJS8_S9_EEENSB_IJS8_SA_EEENS0_18inequality_wrapperIZN2at6native12_GLOBAL__N_124unique_dim_cuda_templateIfEESt5tupleIJNSF_6TensorESK_SK_EERKSK_lbbbEUlllE0_EEPmJS9_EEE10hipError_tPvRmT3_T4_T5_T6_T7_T9_mT8_P12ihipStream_tbDpT10_ENKUlT_T0_E_clISt17integral_constantIbLb1EES1A_EEDaS15_S16_EUlS15_E_NS1_11comp_targetILNS1_3genE4ELNS1_11target_archE910ELNS1_3gpuE8ELNS1_3repE0EEENS1_30default_config_static_selectorELNS0_4arch9wavefront6targetE0EEEvT1_: ; @_ZN7rocprim17ROCPRIM_400000_NS6detail17trampoline_kernelINS0_14default_configENS1_25partition_config_selectorILNS1_17partition_subalgoE9EllbEEZZNS1_14partition_implILS5_9ELb0ES3_jPlS8_PNS0_10empty_typeENS0_5tupleIJS8_S9_EEENSB_IJS8_SA_EEENS0_18inequality_wrapperIZN2at6native12_GLOBAL__N_124unique_dim_cuda_templateIfEESt5tupleIJNSF_6TensorESK_SK_EERKSK_lbbbEUlllE0_EEPmJS9_EEE10hipError_tPvRmT3_T4_T5_T6_T7_T9_mT8_P12ihipStream_tbDpT10_ENKUlT_T0_E_clISt17integral_constantIbLb1EES1A_EEDaS15_S16_EUlS15_E_NS1_11comp_targetILNS1_3genE4ELNS1_11target_archE910ELNS1_3gpuE8ELNS1_3repE0EEENS1_30default_config_static_selectorELNS0_4arch9wavefront6targetE0EEEvT1_
; %bb.0:
	.section	.rodata,"a",@progbits
	.p2align	6, 0x0
	.amdhsa_kernel _ZN7rocprim17ROCPRIM_400000_NS6detail17trampoline_kernelINS0_14default_configENS1_25partition_config_selectorILNS1_17partition_subalgoE9EllbEEZZNS1_14partition_implILS5_9ELb0ES3_jPlS8_PNS0_10empty_typeENS0_5tupleIJS8_S9_EEENSB_IJS8_SA_EEENS0_18inequality_wrapperIZN2at6native12_GLOBAL__N_124unique_dim_cuda_templateIfEESt5tupleIJNSF_6TensorESK_SK_EERKSK_lbbbEUlllE0_EEPmJS9_EEE10hipError_tPvRmT3_T4_T5_T6_T7_T9_mT8_P12ihipStream_tbDpT10_ENKUlT_T0_E_clISt17integral_constantIbLb1EES1A_EEDaS15_S16_EUlS15_E_NS1_11comp_targetILNS1_3genE4ELNS1_11target_archE910ELNS1_3gpuE8ELNS1_3repE0EEENS1_30default_config_static_selectorELNS0_4arch9wavefront6targetE0EEEvT1_
		.amdhsa_group_segment_fixed_size 0
		.amdhsa_private_segment_fixed_size 0
		.amdhsa_kernarg_size 136
		.amdhsa_user_sgpr_count 15
		.amdhsa_user_sgpr_dispatch_ptr 0
		.amdhsa_user_sgpr_queue_ptr 0
		.amdhsa_user_sgpr_kernarg_segment_ptr 1
		.amdhsa_user_sgpr_dispatch_id 0
		.amdhsa_user_sgpr_private_segment_size 0
		.amdhsa_wavefront_size32 1
		.amdhsa_uses_dynamic_stack 0
		.amdhsa_enable_private_segment 0
		.amdhsa_system_sgpr_workgroup_id_x 1
		.amdhsa_system_sgpr_workgroup_id_y 0
		.amdhsa_system_sgpr_workgroup_id_z 0
		.amdhsa_system_sgpr_workgroup_info 0
		.amdhsa_system_vgpr_workitem_id 0
		.amdhsa_next_free_vgpr 1
		.amdhsa_next_free_sgpr 1
		.amdhsa_reserve_vcc 0
		.amdhsa_float_round_mode_32 0
		.amdhsa_float_round_mode_16_64 0
		.amdhsa_float_denorm_mode_32 3
		.amdhsa_float_denorm_mode_16_64 3
		.amdhsa_dx10_clamp 1
		.amdhsa_ieee_mode 1
		.amdhsa_fp16_overflow 0
		.amdhsa_workgroup_processor_mode 1
		.amdhsa_memory_ordered 1
		.amdhsa_forward_progress 0
		.amdhsa_shared_vgpr_count 0
		.amdhsa_exception_fp_ieee_invalid_op 0
		.amdhsa_exception_fp_denorm_src 0
		.amdhsa_exception_fp_ieee_div_zero 0
		.amdhsa_exception_fp_ieee_overflow 0
		.amdhsa_exception_fp_ieee_underflow 0
		.amdhsa_exception_fp_ieee_inexact 0
		.amdhsa_exception_int_div_zero 0
	.end_amdhsa_kernel
	.section	.text._ZN7rocprim17ROCPRIM_400000_NS6detail17trampoline_kernelINS0_14default_configENS1_25partition_config_selectorILNS1_17partition_subalgoE9EllbEEZZNS1_14partition_implILS5_9ELb0ES3_jPlS8_PNS0_10empty_typeENS0_5tupleIJS8_S9_EEENSB_IJS8_SA_EEENS0_18inequality_wrapperIZN2at6native12_GLOBAL__N_124unique_dim_cuda_templateIfEESt5tupleIJNSF_6TensorESK_SK_EERKSK_lbbbEUlllE0_EEPmJS9_EEE10hipError_tPvRmT3_T4_T5_T6_T7_T9_mT8_P12ihipStream_tbDpT10_ENKUlT_T0_E_clISt17integral_constantIbLb1EES1A_EEDaS15_S16_EUlS15_E_NS1_11comp_targetILNS1_3genE4ELNS1_11target_archE910ELNS1_3gpuE8ELNS1_3repE0EEENS1_30default_config_static_selectorELNS0_4arch9wavefront6targetE0EEEvT1_,"axG",@progbits,_ZN7rocprim17ROCPRIM_400000_NS6detail17trampoline_kernelINS0_14default_configENS1_25partition_config_selectorILNS1_17partition_subalgoE9EllbEEZZNS1_14partition_implILS5_9ELb0ES3_jPlS8_PNS0_10empty_typeENS0_5tupleIJS8_S9_EEENSB_IJS8_SA_EEENS0_18inequality_wrapperIZN2at6native12_GLOBAL__N_124unique_dim_cuda_templateIfEESt5tupleIJNSF_6TensorESK_SK_EERKSK_lbbbEUlllE0_EEPmJS9_EEE10hipError_tPvRmT3_T4_T5_T6_T7_T9_mT8_P12ihipStream_tbDpT10_ENKUlT_T0_E_clISt17integral_constantIbLb1EES1A_EEDaS15_S16_EUlS15_E_NS1_11comp_targetILNS1_3genE4ELNS1_11target_archE910ELNS1_3gpuE8ELNS1_3repE0EEENS1_30default_config_static_selectorELNS0_4arch9wavefront6targetE0EEEvT1_,comdat
.Lfunc_end971:
	.size	_ZN7rocprim17ROCPRIM_400000_NS6detail17trampoline_kernelINS0_14default_configENS1_25partition_config_selectorILNS1_17partition_subalgoE9EllbEEZZNS1_14partition_implILS5_9ELb0ES3_jPlS8_PNS0_10empty_typeENS0_5tupleIJS8_S9_EEENSB_IJS8_SA_EEENS0_18inequality_wrapperIZN2at6native12_GLOBAL__N_124unique_dim_cuda_templateIfEESt5tupleIJNSF_6TensorESK_SK_EERKSK_lbbbEUlllE0_EEPmJS9_EEE10hipError_tPvRmT3_T4_T5_T6_T7_T9_mT8_P12ihipStream_tbDpT10_ENKUlT_T0_E_clISt17integral_constantIbLb1EES1A_EEDaS15_S16_EUlS15_E_NS1_11comp_targetILNS1_3genE4ELNS1_11target_archE910ELNS1_3gpuE8ELNS1_3repE0EEENS1_30default_config_static_selectorELNS0_4arch9wavefront6targetE0EEEvT1_, .Lfunc_end971-_ZN7rocprim17ROCPRIM_400000_NS6detail17trampoline_kernelINS0_14default_configENS1_25partition_config_selectorILNS1_17partition_subalgoE9EllbEEZZNS1_14partition_implILS5_9ELb0ES3_jPlS8_PNS0_10empty_typeENS0_5tupleIJS8_S9_EEENSB_IJS8_SA_EEENS0_18inequality_wrapperIZN2at6native12_GLOBAL__N_124unique_dim_cuda_templateIfEESt5tupleIJNSF_6TensorESK_SK_EERKSK_lbbbEUlllE0_EEPmJS9_EEE10hipError_tPvRmT3_T4_T5_T6_T7_T9_mT8_P12ihipStream_tbDpT10_ENKUlT_T0_E_clISt17integral_constantIbLb1EES1A_EEDaS15_S16_EUlS15_E_NS1_11comp_targetILNS1_3genE4ELNS1_11target_archE910ELNS1_3gpuE8ELNS1_3repE0EEENS1_30default_config_static_selectorELNS0_4arch9wavefront6targetE0EEEvT1_
                                        ; -- End function
	.section	.AMDGPU.csdata,"",@progbits
; Kernel info:
; codeLenInByte = 0
; NumSgprs: 0
; NumVgprs: 0
; ScratchSize: 0
; MemoryBound: 0
; FloatMode: 240
; IeeeMode: 1
; LDSByteSize: 0 bytes/workgroup (compile time only)
; SGPRBlocks: 0
; VGPRBlocks: 0
; NumSGPRsForWavesPerEU: 1
; NumVGPRsForWavesPerEU: 1
; Occupancy: 16
; WaveLimiterHint : 0
; COMPUTE_PGM_RSRC2:SCRATCH_EN: 0
; COMPUTE_PGM_RSRC2:USER_SGPR: 15
; COMPUTE_PGM_RSRC2:TRAP_HANDLER: 0
; COMPUTE_PGM_RSRC2:TGID_X_EN: 1
; COMPUTE_PGM_RSRC2:TGID_Y_EN: 0
; COMPUTE_PGM_RSRC2:TGID_Z_EN: 0
; COMPUTE_PGM_RSRC2:TIDIG_COMP_CNT: 0
	.section	.text._ZN7rocprim17ROCPRIM_400000_NS6detail17trampoline_kernelINS0_14default_configENS1_25partition_config_selectorILNS1_17partition_subalgoE9EllbEEZZNS1_14partition_implILS5_9ELb0ES3_jPlS8_PNS0_10empty_typeENS0_5tupleIJS8_S9_EEENSB_IJS8_SA_EEENS0_18inequality_wrapperIZN2at6native12_GLOBAL__N_124unique_dim_cuda_templateIfEESt5tupleIJNSF_6TensorESK_SK_EERKSK_lbbbEUlllE0_EEPmJS9_EEE10hipError_tPvRmT3_T4_T5_T6_T7_T9_mT8_P12ihipStream_tbDpT10_ENKUlT_T0_E_clISt17integral_constantIbLb1EES1A_EEDaS15_S16_EUlS15_E_NS1_11comp_targetILNS1_3genE3ELNS1_11target_archE908ELNS1_3gpuE7ELNS1_3repE0EEENS1_30default_config_static_selectorELNS0_4arch9wavefront6targetE0EEEvT1_,"axG",@progbits,_ZN7rocprim17ROCPRIM_400000_NS6detail17trampoline_kernelINS0_14default_configENS1_25partition_config_selectorILNS1_17partition_subalgoE9EllbEEZZNS1_14partition_implILS5_9ELb0ES3_jPlS8_PNS0_10empty_typeENS0_5tupleIJS8_S9_EEENSB_IJS8_SA_EEENS0_18inequality_wrapperIZN2at6native12_GLOBAL__N_124unique_dim_cuda_templateIfEESt5tupleIJNSF_6TensorESK_SK_EERKSK_lbbbEUlllE0_EEPmJS9_EEE10hipError_tPvRmT3_T4_T5_T6_T7_T9_mT8_P12ihipStream_tbDpT10_ENKUlT_T0_E_clISt17integral_constantIbLb1EES1A_EEDaS15_S16_EUlS15_E_NS1_11comp_targetILNS1_3genE3ELNS1_11target_archE908ELNS1_3gpuE7ELNS1_3repE0EEENS1_30default_config_static_selectorELNS0_4arch9wavefront6targetE0EEEvT1_,comdat
	.globl	_ZN7rocprim17ROCPRIM_400000_NS6detail17trampoline_kernelINS0_14default_configENS1_25partition_config_selectorILNS1_17partition_subalgoE9EllbEEZZNS1_14partition_implILS5_9ELb0ES3_jPlS8_PNS0_10empty_typeENS0_5tupleIJS8_S9_EEENSB_IJS8_SA_EEENS0_18inequality_wrapperIZN2at6native12_GLOBAL__N_124unique_dim_cuda_templateIfEESt5tupleIJNSF_6TensorESK_SK_EERKSK_lbbbEUlllE0_EEPmJS9_EEE10hipError_tPvRmT3_T4_T5_T6_T7_T9_mT8_P12ihipStream_tbDpT10_ENKUlT_T0_E_clISt17integral_constantIbLb1EES1A_EEDaS15_S16_EUlS15_E_NS1_11comp_targetILNS1_3genE3ELNS1_11target_archE908ELNS1_3gpuE7ELNS1_3repE0EEENS1_30default_config_static_selectorELNS0_4arch9wavefront6targetE0EEEvT1_ ; -- Begin function _ZN7rocprim17ROCPRIM_400000_NS6detail17trampoline_kernelINS0_14default_configENS1_25partition_config_selectorILNS1_17partition_subalgoE9EllbEEZZNS1_14partition_implILS5_9ELb0ES3_jPlS8_PNS0_10empty_typeENS0_5tupleIJS8_S9_EEENSB_IJS8_SA_EEENS0_18inequality_wrapperIZN2at6native12_GLOBAL__N_124unique_dim_cuda_templateIfEESt5tupleIJNSF_6TensorESK_SK_EERKSK_lbbbEUlllE0_EEPmJS9_EEE10hipError_tPvRmT3_T4_T5_T6_T7_T9_mT8_P12ihipStream_tbDpT10_ENKUlT_T0_E_clISt17integral_constantIbLb1EES1A_EEDaS15_S16_EUlS15_E_NS1_11comp_targetILNS1_3genE3ELNS1_11target_archE908ELNS1_3gpuE7ELNS1_3repE0EEENS1_30default_config_static_selectorELNS0_4arch9wavefront6targetE0EEEvT1_
	.p2align	8
	.type	_ZN7rocprim17ROCPRIM_400000_NS6detail17trampoline_kernelINS0_14default_configENS1_25partition_config_selectorILNS1_17partition_subalgoE9EllbEEZZNS1_14partition_implILS5_9ELb0ES3_jPlS8_PNS0_10empty_typeENS0_5tupleIJS8_S9_EEENSB_IJS8_SA_EEENS0_18inequality_wrapperIZN2at6native12_GLOBAL__N_124unique_dim_cuda_templateIfEESt5tupleIJNSF_6TensorESK_SK_EERKSK_lbbbEUlllE0_EEPmJS9_EEE10hipError_tPvRmT3_T4_T5_T6_T7_T9_mT8_P12ihipStream_tbDpT10_ENKUlT_T0_E_clISt17integral_constantIbLb1EES1A_EEDaS15_S16_EUlS15_E_NS1_11comp_targetILNS1_3genE3ELNS1_11target_archE908ELNS1_3gpuE7ELNS1_3repE0EEENS1_30default_config_static_selectorELNS0_4arch9wavefront6targetE0EEEvT1_,@function
_ZN7rocprim17ROCPRIM_400000_NS6detail17trampoline_kernelINS0_14default_configENS1_25partition_config_selectorILNS1_17partition_subalgoE9EllbEEZZNS1_14partition_implILS5_9ELb0ES3_jPlS8_PNS0_10empty_typeENS0_5tupleIJS8_S9_EEENSB_IJS8_SA_EEENS0_18inequality_wrapperIZN2at6native12_GLOBAL__N_124unique_dim_cuda_templateIfEESt5tupleIJNSF_6TensorESK_SK_EERKSK_lbbbEUlllE0_EEPmJS9_EEE10hipError_tPvRmT3_T4_T5_T6_T7_T9_mT8_P12ihipStream_tbDpT10_ENKUlT_T0_E_clISt17integral_constantIbLb1EES1A_EEDaS15_S16_EUlS15_E_NS1_11comp_targetILNS1_3genE3ELNS1_11target_archE908ELNS1_3gpuE7ELNS1_3repE0EEENS1_30default_config_static_selectorELNS0_4arch9wavefront6targetE0EEEvT1_: ; @_ZN7rocprim17ROCPRIM_400000_NS6detail17trampoline_kernelINS0_14default_configENS1_25partition_config_selectorILNS1_17partition_subalgoE9EllbEEZZNS1_14partition_implILS5_9ELb0ES3_jPlS8_PNS0_10empty_typeENS0_5tupleIJS8_S9_EEENSB_IJS8_SA_EEENS0_18inequality_wrapperIZN2at6native12_GLOBAL__N_124unique_dim_cuda_templateIfEESt5tupleIJNSF_6TensorESK_SK_EERKSK_lbbbEUlllE0_EEPmJS9_EEE10hipError_tPvRmT3_T4_T5_T6_T7_T9_mT8_P12ihipStream_tbDpT10_ENKUlT_T0_E_clISt17integral_constantIbLb1EES1A_EEDaS15_S16_EUlS15_E_NS1_11comp_targetILNS1_3genE3ELNS1_11target_archE908ELNS1_3gpuE7ELNS1_3repE0EEENS1_30default_config_static_selectorELNS0_4arch9wavefront6targetE0EEEvT1_
; %bb.0:
	.section	.rodata,"a",@progbits
	.p2align	6, 0x0
	.amdhsa_kernel _ZN7rocprim17ROCPRIM_400000_NS6detail17trampoline_kernelINS0_14default_configENS1_25partition_config_selectorILNS1_17partition_subalgoE9EllbEEZZNS1_14partition_implILS5_9ELb0ES3_jPlS8_PNS0_10empty_typeENS0_5tupleIJS8_S9_EEENSB_IJS8_SA_EEENS0_18inequality_wrapperIZN2at6native12_GLOBAL__N_124unique_dim_cuda_templateIfEESt5tupleIJNSF_6TensorESK_SK_EERKSK_lbbbEUlllE0_EEPmJS9_EEE10hipError_tPvRmT3_T4_T5_T6_T7_T9_mT8_P12ihipStream_tbDpT10_ENKUlT_T0_E_clISt17integral_constantIbLb1EES1A_EEDaS15_S16_EUlS15_E_NS1_11comp_targetILNS1_3genE3ELNS1_11target_archE908ELNS1_3gpuE7ELNS1_3repE0EEENS1_30default_config_static_selectorELNS0_4arch9wavefront6targetE0EEEvT1_
		.amdhsa_group_segment_fixed_size 0
		.amdhsa_private_segment_fixed_size 0
		.amdhsa_kernarg_size 136
		.amdhsa_user_sgpr_count 15
		.amdhsa_user_sgpr_dispatch_ptr 0
		.amdhsa_user_sgpr_queue_ptr 0
		.amdhsa_user_sgpr_kernarg_segment_ptr 1
		.amdhsa_user_sgpr_dispatch_id 0
		.amdhsa_user_sgpr_private_segment_size 0
		.amdhsa_wavefront_size32 1
		.amdhsa_uses_dynamic_stack 0
		.amdhsa_enable_private_segment 0
		.amdhsa_system_sgpr_workgroup_id_x 1
		.amdhsa_system_sgpr_workgroup_id_y 0
		.amdhsa_system_sgpr_workgroup_id_z 0
		.amdhsa_system_sgpr_workgroup_info 0
		.amdhsa_system_vgpr_workitem_id 0
		.amdhsa_next_free_vgpr 1
		.amdhsa_next_free_sgpr 1
		.amdhsa_reserve_vcc 0
		.amdhsa_float_round_mode_32 0
		.amdhsa_float_round_mode_16_64 0
		.amdhsa_float_denorm_mode_32 3
		.amdhsa_float_denorm_mode_16_64 3
		.amdhsa_dx10_clamp 1
		.amdhsa_ieee_mode 1
		.amdhsa_fp16_overflow 0
		.amdhsa_workgroup_processor_mode 1
		.amdhsa_memory_ordered 1
		.amdhsa_forward_progress 0
		.amdhsa_shared_vgpr_count 0
		.amdhsa_exception_fp_ieee_invalid_op 0
		.amdhsa_exception_fp_denorm_src 0
		.amdhsa_exception_fp_ieee_div_zero 0
		.amdhsa_exception_fp_ieee_overflow 0
		.amdhsa_exception_fp_ieee_underflow 0
		.amdhsa_exception_fp_ieee_inexact 0
		.amdhsa_exception_int_div_zero 0
	.end_amdhsa_kernel
	.section	.text._ZN7rocprim17ROCPRIM_400000_NS6detail17trampoline_kernelINS0_14default_configENS1_25partition_config_selectorILNS1_17partition_subalgoE9EllbEEZZNS1_14partition_implILS5_9ELb0ES3_jPlS8_PNS0_10empty_typeENS0_5tupleIJS8_S9_EEENSB_IJS8_SA_EEENS0_18inequality_wrapperIZN2at6native12_GLOBAL__N_124unique_dim_cuda_templateIfEESt5tupleIJNSF_6TensorESK_SK_EERKSK_lbbbEUlllE0_EEPmJS9_EEE10hipError_tPvRmT3_T4_T5_T6_T7_T9_mT8_P12ihipStream_tbDpT10_ENKUlT_T0_E_clISt17integral_constantIbLb1EES1A_EEDaS15_S16_EUlS15_E_NS1_11comp_targetILNS1_3genE3ELNS1_11target_archE908ELNS1_3gpuE7ELNS1_3repE0EEENS1_30default_config_static_selectorELNS0_4arch9wavefront6targetE0EEEvT1_,"axG",@progbits,_ZN7rocprim17ROCPRIM_400000_NS6detail17trampoline_kernelINS0_14default_configENS1_25partition_config_selectorILNS1_17partition_subalgoE9EllbEEZZNS1_14partition_implILS5_9ELb0ES3_jPlS8_PNS0_10empty_typeENS0_5tupleIJS8_S9_EEENSB_IJS8_SA_EEENS0_18inequality_wrapperIZN2at6native12_GLOBAL__N_124unique_dim_cuda_templateIfEESt5tupleIJNSF_6TensorESK_SK_EERKSK_lbbbEUlllE0_EEPmJS9_EEE10hipError_tPvRmT3_T4_T5_T6_T7_T9_mT8_P12ihipStream_tbDpT10_ENKUlT_T0_E_clISt17integral_constantIbLb1EES1A_EEDaS15_S16_EUlS15_E_NS1_11comp_targetILNS1_3genE3ELNS1_11target_archE908ELNS1_3gpuE7ELNS1_3repE0EEENS1_30default_config_static_selectorELNS0_4arch9wavefront6targetE0EEEvT1_,comdat
.Lfunc_end972:
	.size	_ZN7rocprim17ROCPRIM_400000_NS6detail17trampoline_kernelINS0_14default_configENS1_25partition_config_selectorILNS1_17partition_subalgoE9EllbEEZZNS1_14partition_implILS5_9ELb0ES3_jPlS8_PNS0_10empty_typeENS0_5tupleIJS8_S9_EEENSB_IJS8_SA_EEENS0_18inequality_wrapperIZN2at6native12_GLOBAL__N_124unique_dim_cuda_templateIfEESt5tupleIJNSF_6TensorESK_SK_EERKSK_lbbbEUlllE0_EEPmJS9_EEE10hipError_tPvRmT3_T4_T5_T6_T7_T9_mT8_P12ihipStream_tbDpT10_ENKUlT_T0_E_clISt17integral_constantIbLb1EES1A_EEDaS15_S16_EUlS15_E_NS1_11comp_targetILNS1_3genE3ELNS1_11target_archE908ELNS1_3gpuE7ELNS1_3repE0EEENS1_30default_config_static_selectorELNS0_4arch9wavefront6targetE0EEEvT1_, .Lfunc_end972-_ZN7rocprim17ROCPRIM_400000_NS6detail17trampoline_kernelINS0_14default_configENS1_25partition_config_selectorILNS1_17partition_subalgoE9EllbEEZZNS1_14partition_implILS5_9ELb0ES3_jPlS8_PNS0_10empty_typeENS0_5tupleIJS8_S9_EEENSB_IJS8_SA_EEENS0_18inequality_wrapperIZN2at6native12_GLOBAL__N_124unique_dim_cuda_templateIfEESt5tupleIJNSF_6TensorESK_SK_EERKSK_lbbbEUlllE0_EEPmJS9_EEE10hipError_tPvRmT3_T4_T5_T6_T7_T9_mT8_P12ihipStream_tbDpT10_ENKUlT_T0_E_clISt17integral_constantIbLb1EES1A_EEDaS15_S16_EUlS15_E_NS1_11comp_targetILNS1_3genE3ELNS1_11target_archE908ELNS1_3gpuE7ELNS1_3repE0EEENS1_30default_config_static_selectorELNS0_4arch9wavefront6targetE0EEEvT1_
                                        ; -- End function
	.section	.AMDGPU.csdata,"",@progbits
; Kernel info:
; codeLenInByte = 0
; NumSgprs: 0
; NumVgprs: 0
; ScratchSize: 0
; MemoryBound: 0
; FloatMode: 240
; IeeeMode: 1
; LDSByteSize: 0 bytes/workgroup (compile time only)
; SGPRBlocks: 0
; VGPRBlocks: 0
; NumSGPRsForWavesPerEU: 1
; NumVGPRsForWavesPerEU: 1
; Occupancy: 16
; WaveLimiterHint : 0
; COMPUTE_PGM_RSRC2:SCRATCH_EN: 0
; COMPUTE_PGM_RSRC2:USER_SGPR: 15
; COMPUTE_PGM_RSRC2:TRAP_HANDLER: 0
; COMPUTE_PGM_RSRC2:TGID_X_EN: 1
; COMPUTE_PGM_RSRC2:TGID_Y_EN: 0
; COMPUTE_PGM_RSRC2:TGID_Z_EN: 0
; COMPUTE_PGM_RSRC2:TIDIG_COMP_CNT: 0
	.section	.text._ZN7rocprim17ROCPRIM_400000_NS6detail17trampoline_kernelINS0_14default_configENS1_25partition_config_selectorILNS1_17partition_subalgoE9EllbEEZZNS1_14partition_implILS5_9ELb0ES3_jPlS8_PNS0_10empty_typeENS0_5tupleIJS8_S9_EEENSB_IJS8_SA_EEENS0_18inequality_wrapperIZN2at6native12_GLOBAL__N_124unique_dim_cuda_templateIfEESt5tupleIJNSF_6TensorESK_SK_EERKSK_lbbbEUlllE0_EEPmJS9_EEE10hipError_tPvRmT3_T4_T5_T6_T7_T9_mT8_P12ihipStream_tbDpT10_ENKUlT_T0_E_clISt17integral_constantIbLb1EES1A_EEDaS15_S16_EUlS15_E_NS1_11comp_targetILNS1_3genE2ELNS1_11target_archE906ELNS1_3gpuE6ELNS1_3repE0EEENS1_30default_config_static_selectorELNS0_4arch9wavefront6targetE0EEEvT1_,"axG",@progbits,_ZN7rocprim17ROCPRIM_400000_NS6detail17trampoline_kernelINS0_14default_configENS1_25partition_config_selectorILNS1_17partition_subalgoE9EllbEEZZNS1_14partition_implILS5_9ELb0ES3_jPlS8_PNS0_10empty_typeENS0_5tupleIJS8_S9_EEENSB_IJS8_SA_EEENS0_18inequality_wrapperIZN2at6native12_GLOBAL__N_124unique_dim_cuda_templateIfEESt5tupleIJNSF_6TensorESK_SK_EERKSK_lbbbEUlllE0_EEPmJS9_EEE10hipError_tPvRmT3_T4_T5_T6_T7_T9_mT8_P12ihipStream_tbDpT10_ENKUlT_T0_E_clISt17integral_constantIbLb1EES1A_EEDaS15_S16_EUlS15_E_NS1_11comp_targetILNS1_3genE2ELNS1_11target_archE906ELNS1_3gpuE6ELNS1_3repE0EEENS1_30default_config_static_selectorELNS0_4arch9wavefront6targetE0EEEvT1_,comdat
	.globl	_ZN7rocprim17ROCPRIM_400000_NS6detail17trampoline_kernelINS0_14default_configENS1_25partition_config_selectorILNS1_17partition_subalgoE9EllbEEZZNS1_14partition_implILS5_9ELb0ES3_jPlS8_PNS0_10empty_typeENS0_5tupleIJS8_S9_EEENSB_IJS8_SA_EEENS0_18inequality_wrapperIZN2at6native12_GLOBAL__N_124unique_dim_cuda_templateIfEESt5tupleIJNSF_6TensorESK_SK_EERKSK_lbbbEUlllE0_EEPmJS9_EEE10hipError_tPvRmT3_T4_T5_T6_T7_T9_mT8_P12ihipStream_tbDpT10_ENKUlT_T0_E_clISt17integral_constantIbLb1EES1A_EEDaS15_S16_EUlS15_E_NS1_11comp_targetILNS1_3genE2ELNS1_11target_archE906ELNS1_3gpuE6ELNS1_3repE0EEENS1_30default_config_static_selectorELNS0_4arch9wavefront6targetE0EEEvT1_ ; -- Begin function _ZN7rocprim17ROCPRIM_400000_NS6detail17trampoline_kernelINS0_14default_configENS1_25partition_config_selectorILNS1_17partition_subalgoE9EllbEEZZNS1_14partition_implILS5_9ELb0ES3_jPlS8_PNS0_10empty_typeENS0_5tupleIJS8_S9_EEENSB_IJS8_SA_EEENS0_18inequality_wrapperIZN2at6native12_GLOBAL__N_124unique_dim_cuda_templateIfEESt5tupleIJNSF_6TensorESK_SK_EERKSK_lbbbEUlllE0_EEPmJS9_EEE10hipError_tPvRmT3_T4_T5_T6_T7_T9_mT8_P12ihipStream_tbDpT10_ENKUlT_T0_E_clISt17integral_constantIbLb1EES1A_EEDaS15_S16_EUlS15_E_NS1_11comp_targetILNS1_3genE2ELNS1_11target_archE906ELNS1_3gpuE6ELNS1_3repE0EEENS1_30default_config_static_selectorELNS0_4arch9wavefront6targetE0EEEvT1_
	.p2align	8
	.type	_ZN7rocprim17ROCPRIM_400000_NS6detail17trampoline_kernelINS0_14default_configENS1_25partition_config_selectorILNS1_17partition_subalgoE9EllbEEZZNS1_14partition_implILS5_9ELb0ES3_jPlS8_PNS0_10empty_typeENS0_5tupleIJS8_S9_EEENSB_IJS8_SA_EEENS0_18inequality_wrapperIZN2at6native12_GLOBAL__N_124unique_dim_cuda_templateIfEESt5tupleIJNSF_6TensorESK_SK_EERKSK_lbbbEUlllE0_EEPmJS9_EEE10hipError_tPvRmT3_T4_T5_T6_T7_T9_mT8_P12ihipStream_tbDpT10_ENKUlT_T0_E_clISt17integral_constantIbLb1EES1A_EEDaS15_S16_EUlS15_E_NS1_11comp_targetILNS1_3genE2ELNS1_11target_archE906ELNS1_3gpuE6ELNS1_3repE0EEENS1_30default_config_static_selectorELNS0_4arch9wavefront6targetE0EEEvT1_,@function
_ZN7rocprim17ROCPRIM_400000_NS6detail17trampoline_kernelINS0_14default_configENS1_25partition_config_selectorILNS1_17partition_subalgoE9EllbEEZZNS1_14partition_implILS5_9ELb0ES3_jPlS8_PNS0_10empty_typeENS0_5tupleIJS8_S9_EEENSB_IJS8_SA_EEENS0_18inequality_wrapperIZN2at6native12_GLOBAL__N_124unique_dim_cuda_templateIfEESt5tupleIJNSF_6TensorESK_SK_EERKSK_lbbbEUlllE0_EEPmJS9_EEE10hipError_tPvRmT3_T4_T5_T6_T7_T9_mT8_P12ihipStream_tbDpT10_ENKUlT_T0_E_clISt17integral_constantIbLb1EES1A_EEDaS15_S16_EUlS15_E_NS1_11comp_targetILNS1_3genE2ELNS1_11target_archE906ELNS1_3gpuE6ELNS1_3repE0EEENS1_30default_config_static_selectorELNS0_4arch9wavefront6targetE0EEEvT1_: ; @_ZN7rocprim17ROCPRIM_400000_NS6detail17trampoline_kernelINS0_14default_configENS1_25partition_config_selectorILNS1_17partition_subalgoE9EllbEEZZNS1_14partition_implILS5_9ELb0ES3_jPlS8_PNS0_10empty_typeENS0_5tupleIJS8_S9_EEENSB_IJS8_SA_EEENS0_18inequality_wrapperIZN2at6native12_GLOBAL__N_124unique_dim_cuda_templateIfEESt5tupleIJNSF_6TensorESK_SK_EERKSK_lbbbEUlllE0_EEPmJS9_EEE10hipError_tPvRmT3_T4_T5_T6_T7_T9_mT8_P12ihipStream_tbDpT10_ENKUlT_T0_E_clISt17integral_constantIbLb1EES1A_EEDaS15_S16_EUlS15_E_NS1_11comp_targetILNS1_3genE2ELNS1_11target_archE906ELNS1_3gpuE6ELNS1_3repE0EEENS1_30default_config_static_selectorELNS0_4arch9wavefront6targetE0EEEvT1_
; %bb.0:
	.section	.rodata,"a",@progbits
	.p2align	6, 0x0
	.amdhsa_kernel _ZN7rocprim17ROCPRIM_400000_NS6detail17trampoline_kernelINS0_14default_configENS1_25partition_config_selectorILNS1_17partition_subalgoE9EllbEEZZNS1_14partition_implILS5_9ELb0ES3_jPlS8_PNS0_10empty_typeENS0_5tupleIJS8_S9_EEENSB_IJS8_SA_EEENS0_18inequality_wrapperIZN2at6native12_GLOBAL__N_124unique_dim_cuda_templateIfEESt5tupleIJNSF_6TensorESK_SK_EERKSK_lbbbEUlllE0_EEPmJS9_EEE10hipError_tPvRmT3_T4_T5_T6_T7_T9_mT8_P12ihipStream_tbDpT10_ENKUlT_T0_E_clISt17integral_constantIbLb1EES1A_EEDaS15_S16_EUlS15_E_NS1_11comp_targetILNS1_3genE2ELNS1_11target_archE906ELNS1_3gpuE6ELNS1_3repE0EEENS1_30default_config_static_selectorELNS0_4arch9wavefront6targetE0EEEvT1_
		.amdhsa_group_segment_fixed_size 0
		.amdhsa_private_segment_fixed_size 0
		.amdhsa_kernarg_size 136
		.amdhsa_user_sgpr_count 15
		.amdhsa_user_sgpr_dispatch_ptr 0
		.amdhsa_user_sgpr_queue_ptr 0
		.amdhsa_user_sgpr_kernarg_segment_ptr 1
		.amdhsa_user_sgpr_dispatch_id 0
		.amdhsa_user_sgpr_private_segment_size 0
		.amdhsa_wavefront_size32 1
		.amdhsa_uses_dynamic_stack 0
		.amdhsa_enable_private_segment 0
		.amdhsa_system_sgpr_workgroup_id_x 1
		.amdhsa_system_sgpr_workgroup_id_y 0
		.amdhsa_system_sgpr_workgroup_id_z 0
		.amdhsa_system_sgpr_workgroup_info 0
		.amdhsa_system_vgpr_workitem_id 0
		.amdhsa_next_free_vgpr 1
		.amdhsa_next_free_sgpr 1
		.amdhsa_reserve_vcc 0
		.amdhsa_float_round_mode_32 0
		.amdhsa_float_round_mode_16_64 0
		.amdhsa_float_denorm_mode_32 3
		.amdhsa_float_denorm_mode_16_64 3
		.amdhsa_dx10_clamp 1
		.amdhsa_ieee_mode 1
		.amdhsa_fp16_overflow 0
		.amdhsa_workgroup_processor_mode 1
		.amdhsa_memory_ordered 1
		.amdhsa_forward_progress 0
		.amdhsa_shared_vgpr_count 0
		.amdhsa_exception_fp_ieee_invalid_op 0
		.amdhsa_exception_fp_denorm_src 0
		.amdhsa_exception_fp_ieee_div_zero 0
		.amdhsa_exception_fp_ieee_overflow 0
		.amdhsa_exception_fp_ieee_underflow 0
		.amdhsa_exception_fp_ieee_inexact 0
		.amdhsa_exception_int_div_zero 0
	.end_amdhsa_kernel
	.section	.text._ZN7rocprim17ROCPRIM_400000_NS6detail17trampoline_kernelINS0_14default_configENS1_25partition_config_selectorILNS1_17partition_subalgoE9EllbEEZZNS1_14partition_implILS5_9ELb0ES3_jPlS8_PNS0_10empty_typeENS0_5tupleIJS8_S9_EEENSB_IJS8_SA_EEENS0_18inequality_wrapperIZN2at6native12_GLOBAL__N_124unique_dim_cuda_templateIfEESt5tupleIJNSF_6TensorESK_SK_EERKSK_lbbbEUlllE0_EEPmJS9_EEE10hipError_tPvRmT3_T4_T5_T6_T7_T9_mT8_P12ihipStream_tbDpT10_ENKUlT_T0_E_clISt17integral_constantIbLb1EES1A_EEDaS15_S16_EUlS15_E_NS1_11comp_targetILNS1_3genE2ELNS1_11target_archE906ELNS1_3gpuE6ELNS1_3repE0EEENS1_30default_config_static_selectorELNS0_4arch9wavefront6targetE0EEEvT1_,"axG",@progbits,_ZN7rocprim17ROCPRIM_400000_NS6detail17trampoline_kernelINS0_14default_configENS1_25partition_config_selectorILNS1_17partition_subalgoE9EllbEEZZNS1_14partition_implILS5_9ELb0ES3_jPlS8_PNS0_10empty_typeENS0_5tupleIJS8_S9_EEENSB_IJS8_SA_EEENS0_18inequality_wrapperIZN2at6native12_GLOBAL__N_124unique_dim_cuda_templateIfEESt5tupleIJNSF_6TensorESK_SK_EERKSK_lbbbEUlllE0_EEPmJS9_EEE10hipError_tPvRmT3_T4_T5_T6_T7_T9_mT8_P12ihipStream_tbDpT10_ENKUlT_T0_E_clISt17integral_constantIbLb1EES1A_EEDaS15_S16_EUlS15_E_NS1_11comp_targetILNS1_3genE2ELNS1_11target_archE906ELNS1_3gpuE6ELNS1_3repE0EEENS1_30default_config_static_selectorELNS0_4arch9wavefront6targetE0EEEvT1_,comdat
.Lfunc_end973:
	.size	_ZN7rocprim17ROCPRIM_400000_NS6detail17trampoline_kernelINS0_14default_configENS1_25partition_config_selectorILNS1_17partition_subalgoE9EllbEEZZNS1_14partition_implILS5_9ELb0ES3_jPlS8_PNS0_10empty_typeENS0_5tupleIJS8_S9_EEENSB_IJS8_SA_EEENS0_18inequality_wrapperIZN2at6native12_GLOBAL__N_124unique_dim_cuda_templateIfEESt5tupleIJNSF_6TensorESK_SK_EERKSK_lbbbEUlllE0_EEPmJS9_EEE10hipError_tPvRmT3_T4_T5_T6_T7_T9_mT8_P12ihipStream_tbDpT10_ENKUlT_T0_E_clISt17integral_constantIbLb1EES1A_EEDaS15_S16_EUlS15_E_NS1_11comp_targetILNS1_3genE2ELNS1_11target_archE906ELNS1_3gpuE6ELNS1_3repE0EEENS1_30default_config_static_selectorELNS0_4arch9wavefront6targetE0EEEvT1_, .Lfunc_end973-_ZN7rocprim17ROCPRIM_400000_NS6detail17trampoline_kernelINS0_14default_configENS1_25partition_config_selectorILNS1_17partition_subalgoE9EllbEEZZNS1_14partition_implILS5_9ELb0ES3_jPlS8_PNS0_10empty_typeENS0_5tupleIJS8_S9_EEENSB_IJS8_SA_EEENS0_18inequality_wrapperIZN2at6native12_GLOBAL__N_124unique_dim_cuda_templateIfEESt5tupleIJNSF_6TensorESK_SK_EERKSK_lbbbEUlllE0_EEPmJS9_EEE10hipError_tPvRmT3_T4_T5_T6_T7_T9_mT8_P12ihipStream_tbDpT10_ENKUlT_T0_E_clISt17integral_constantIbLb1EES1A_EEDaS15_S16_EUlS15_E_NS1_11comp_targetILNS1_3genE2ELNS1_11target_archE906ELNS1_3gpuE6ELNS1_3repE0EEENS1_30default_config_static_selectorELNS0_4arch9wavefront6targetE0EEEvT1_
                                        ; -- End function
	.section	.AMDGPU.csdata,"",@progbits
; Kernel info:
; codeLenInByte = 0
; NumSgprs: 0
; NumVgprs: 0
; ScratchSize: 0
; MemoryBound: 0
; FloatMode: 240
; IeeeMode: 1
; LDSByteSize: 0 bytes/workgroup (compile time only)
; SGPRBlocks: 0
; VGPRBlocks: 0
; NumSGPRsForWavesPerEU: 1
; NumVGPRsForWavesPerEU: 1
; Occupancy: 15
; WaveLimiterHint : 0
; COMPUTE_PGM_RSRC2:SCRATCH_EN: 0
; COMPUTE_PGM_RSRC2:USER_SGPR: 15
; COMPUTE_PGM_RSRC2:TRAP_HANDLER: 0
; COMPUTE_PGM_RSRC2:TGID_X_EN: 1
; COMPUTE_PGM_RSRC2:TGID_Y_EN: 0
; COMPUTE_PGM_RSRC2:TGID_Z_EN: 0
; COMPUTE_PGM_RSRC2:TIDIG_COMP_CNT: 0
	.section	.text._ZN7rocprim17ROCPRIM_400000_NS6detail17trampoline_kernelINS0_14default_configENS1_25partition_config_selectorILNS1_17partition_subalgoE9EllbEEZZNS1_14partition_implILS5_9ELb0ES3_jPlS8_PNS0_10empty_typeENS0_5tupleIJS8_S9_EEENSB_IJS8_SA_EEENS0_18inequality_wrapperIZN2at6native12_GLOBAL__N_124unique_dim_cuda_templateIfEESt5tupleIJNSF_6TensorESK_SK_EERKSK_lbbbEUlllE0_EEPmJS9_EEE10hipError_tPvRmT3_T4_T5_T6_T7_T9_mT8_P12ihipStream_tbDpT10_ENKUlT_T0_E_clISt17integral_constantIbLb1EES1A_EEDaS15_S16_EUlS15_E_NS1_11comp_targetILNS1_3genE10ELNS1_11target_archE1200ELNS1_3gpuE4ELNS1_3repE0EEENS1_30default_config_static_selectorELNS0_4arch9wavefront6targetE0EEEvT1_,"axG",@progbits,_ZN7rocprim17ROCPRIM_400000_NS6detail17trampoline_kernelINS0_14default_configENS1_25partition_config_selectorILNS1_17partition_subalgoE9EllbEEZZNS1_14partition_implILS5_9ELb0ES3_jPlS8_PNS0_10empty_typeENS0_5tupleIJS8_S9_EEENSB_IJS8_SA_EEENS0_18inequality_wrapperIZN2at6native12_GLOBAL__N_124unique_dim_cuda_templateIfEESt5tupleIJNSF_6TensorESK_SK_EERKSK_lbbbEUlllE0_EEPmJS9_EEE10hipError_tPvRmT3_T4_T5_T6_T7_T9_mT8_P12ihipStream_tbDpT10_ENKUlT_T0_E_clISt17integral_constantIbLb1EES1A_EEDaS15_S16_EUlS15_E_NS1_11comp_targetILNS1_3genE10ELNS1_11target_archE1200ELNS1_3gpuE4ELNS1_3repE0EEENS1_30default_config_static_selectorELNS0_4arch9wavefront6targetE0EEEvT1_,comdat
	.globl	_ZN7rocprim17ROCPRIM_400000_NS6detail17trampoline_kernelINS0_14default_configENS1_25partition_config_selectorILNS1_17partition_subalgoE9EllbEEZZNS1_14partition_implILS5_9ELb0ES3_jPlS8_PNS0_10empty_typeENS0_5tupleIJS8_S9_EEENSB_IJS8_SA_EEENS0_18inequality_wrapperIZN2at6native12_GLOBAL__N_124unique_dim_cuda_templateIfEESt5tupleIJNSF_6TensorESK_SK_EERKSK_lbbbEUlllE0_EEPmJS9_EEE10hipError_tPvRmT3_T4_T5_T6_T7_T9_mT8_P12ihipStream_tbDpT10_ENKUlT_T0_E_clISt17integral_constantIbLb1EES1A_EEDaS15_S16_EUlS15_E_NS1_11comp_targetILNS1_3genE10ELNS1_11target_archE1200ELNS1_3gpuE4ELNS1_3repE0EEENS1_30default_config_static_selectorELNS0_4arch9wavefront6targetE0EEEvT1_ ; -- Begin function _ZN7rocprim17ROCPRIM_400000_NS6detail17trampoline_kernelINS0_14default_configENS1_25partition_config_selectorILNS1_17partition_subalgoE9EllbEEZZNS1_14partition_implILS5_9ELb0ES3_jPlS8_PNS0_10empty_typeENS0_5tupleIJS8_S9_EEENSB_IJS8_SA_EEENS0_18inequality_wrapperIZN2at6native12_GLOBAL__N_124unique_dim_cuda_templateIfEESt5tupleIJNSF_6TensorESK_SK_EERKSK_lbbbEUlllE0_EEPmJS9_EEE10hipError_tPvRmT3_T4_T5_T6_T7_T9_mT8_P12ihipStream_tbDpT10_ENKUlT_T0_E_clISt17integral_constantIbLb1EES1A_EEDaS15_S16_EUlS15_E_NS1_11comp_targetILNS1_3genE10ELNS1_11target_archE1200ELNS1_3gpuE4ELNS1_3repE0EEENS1_30default_config_static_selectorELNS0_4arch9wavefront6targetE0EEEvT1_
	.p2align	8
	.type	_ZN7rocprim17ROCPRIM_400000_NS6detail17trampoline_kernelINS0_14default_configENS1_25partition_config_selectorILNS1_17partition_subalgoE9EllbEEZZNS1_14partition_implILS5_9ELb0ES3_jPlS8_PNS0_10empty_typeENS0_5tupleIJS8_S9_EEENSB_IJS8_SA_EEENS0_18inequality_wrapperIZN2at6native12_GLOBAL__N_124unique_dim_cuda_templateIfEESt5tupleIJNSF_6TensorESK_SK_EERKSK_lbbbEUlllE0_EEPmJS9_EEE10hipError_tPvRmT3_T4_T5_T6_T7_T9_mT8_P12ihipStream_tbDpT10_ENKUlT_T0_E_clISt17integral_constantIbLb1EES1A_EEDaS15_S16_EUlS15_E_NS1_11comp_targetILNS1_3genE10ELNS1_11target_archE1200ELNS1_3gpuE4ELNS1_3repE0EEENS1_30default_config_static_selectorELNS0_4arch9wavefront6targetE0EEEvT1_,@function
_ZN7rocprim17ROCPRIM_400000_NS6detail17trampoline_kernelINS0_14default_configENS1_25partition_config_selectorILNS1_17partition_subalgoE9EllbEEZZNS1_14partition_implILS5_9ELb0ES3_jPlS8_PNS0_10empty_typeENS0_5tupleIJS8_S9_EEENSB_IJS8_SA_EEENS0_18inequality_wrapperIZN2at6native12_GLOBAL__N_124unique_dim_cuda_templateIfEESt5tupleIJNSF_6TensorESK_SK_EERKSK_lbbbEUlllE0_EEPmJS9_EEE10hipError_tPvRmT3_T4_T5_T6_T7_T9_mT8_P12ihipStream_tbDpT10_ENKUlT_T0_E_clISt17integral_constantIbLb1EES1A_EEDaS15_S16_EUlS15_E_NS1_11comp_targetILNS1_3genE10ELNS1_11target_archE1200ELNS1_3gpuE4ELNS1_3repE0EEENS1_30default_config_static_selectorELNS0_4arch9wavefront6targetE0EEEvT1_: ; @_ZN7rocprim17ROCPRIM_400000_NS6detail17trampoline_kernelINS0_14default_configENS1_25partition_config_selectorILNS1_17partition_subalgoE9EllbEEZZNS1_14partition_implILS5_9ELb0ES3_jPlS8_PNS0_10empty_typeENS0_5tupleIJS8_S9_EEENSB_IJS8_SA_EEENS0_18inequality_wrapperIZN2at6native12_GLOBAL__N_124unique_dim_cuda_templateIfEESt5tupleIJNSF_6TensorESK_SK_EERKSK_lbbbEUlllE0_EEPmJS9_EEE10hipError_tPvRmT3_T4_T5_T6_T7_T9_mT8_P12ihipStream_tbDpT10_ENKUlT_T0_E_clISt17integral_constantIbLb1EES1A_EEDaS15_S16_EUlS15_E_NS1_11comp_targetILNS1_3genE10ELNS1_11target_archE1200ELNS1_3gpuE4ELNS1_3repE0EEENS1_30default_config_static_selectorELNS0_4arch9wavefront6targetE0EEEvT1_
; %bb.0:
	.section	.rodata,"a",@progbits
	.p2align	6, 0x0
	.amdhsa_kernel _ZN7rocprim17ROCPRIM_400000_NS6detail17trampoline_kernelINS0_14default_configENS1_25partition_config_selectorILNS1_17partition_subalgoE9EllbEEZZNS1_14partition_implILS5_9ELb0ES3_jPlS8_PNS0_10empty_typeENS0_5tupleIJS8_S9_EEENSB_IJS8_SA_EEENS0_18inequality_wrapperIZN2at6native12_GLOBAL__N_124unique_dim_cuda_templateIfEESt5tupleIJNSF_6TensorESK_SK_EERKSK_lbbbEUlllE0_EEPmJS9_EEE10hipError_tPvRmT3_T4_T5_T6_T7_T9_mT8_P12ihipStream_tbDpT10_ENKUlT_T0_E_clISt17integral_constantIbLb1EES1A_EEDaS15_S16_EUlS15_E_NS1_11comp_targetILNS1_3genE10ELNS1_11target_archE1200ELNS1_3gpuE4ELNS1_3repE0EEENS1_30default_config_static_selectorELNS0_4arch9wavefront6targetE0EEEvT1_
		.amdhsa_group_segment_fixed_size 0
		.amdhsa_private_segment_fixed_size 0
		.amdhsa_kernarg_size 136
		.amdhsa_user_sgpr_count 15
		.amdhsa_user_sgpr_dispatch_ptr 0
		.amdhsa_user_sgpr_queue_ptr 0
		.amdhsa_user_sgpr_kernarg_segment_ptr 1
		.amdhsa_user_sgpr_dispatch_id 0
		.amdhsa_user_sgpr_private_segment_size 0
		.amdhsa_wavefront_size32 1
		.amdhsa_uses_dynamic_stack 0
		.amdhsa_enable_private_segment 0
		.amdhsa_system_sgpr_workgroup_id_x 1
		.amdhsa_system_sgpr_workgroup_id_y 0
		.amdhsa_system_sgpr_workgroup_id_z 0
		.amdhsa_system_sgpr_workgroup_info 0
		.amdhsa_system_vgpr_workitem_id 0
		.amdhsa_next_free_vgpr 1
		.amdhsa_next_free_sgpr 1
		.amdhsa_reserve_vcc 0
		.amdhsa_float_round_mode_32 0
		.amdhsa_float_round_mode_16_64 0
		.amdhsa_float_denorm_mode_32 3
		.amdhsa_float_denorm_mode_16_64 3
		.amdhsa_dx10_clamp 1
		.amdhsa_ieee_mode 1
		.amdhsa_fp16_overflow 0
		.amdhsa_workgroup_processor_mode 1
		.amdhsa_memory_ordered 1
		.amdhsa_forward_progress 0
		.amdhsa_shared_vgpr_count 0
		.amdhsa_exception_fp_ieee_invalid_op 0
		.amdhsa_exception_fp_denorm_src 0
		.amdhsa_exception_fp_ieee_div_zero 0
		.amdhsa_exception_fp_ieee_overflow 0
		.amdhsa_exception_fp_ieee_underflow 0
		.amdhsa_exception_fp_ieee_inexact 0
		.amdhsa_exception_int_div_zero 0
	.end_amdhsa_kernel
	.section	.text._ZN7rocprim17ROCPRIM_400000_NS6detail17trampoline_kernelINS0_14default_configENS1_25partition_config_selectorILNS1_17partition_subalgoE9EllbEEZZNS1_14partition_implILS5_9ELb0ES3_jPlS8_PNS0_10empty_typeENS0_5tupleIJS8_S9_EEENSB_IJS8_SA_EEENS0_18inequality_wrapperIZN2at6native12_GLOBAL__N_124unique_dim_cuda_templateIfEESt5tupleIJNSF_6TensorESK_SK_EERKSK_lbbbEUlllE0_EEPmJS9_EEE10hipError_tPvRmT3_T4_T5_T6_T7_T9_mT8_P12ihipStream_tbDpT10_ENKUlT_T0_E_clISt17integral_constantIbLb1EES1A_EEDaS15_S16_EUlS15_E_NS1_11comp_targetILNS1_3genE10ELNS1_11target_archE1200ELNS1_3gpuE4ELNS1_3repE0EEENS1_30default_config_static_selectorELNS0_4arch9wavefront6targetE0EEEvT1_,"axG",@progbits,_ZN7rocprim17ROCPRIM_400000_NS6detail17trampoline_kernelINS0_14default_configENS1_25partition_config_selectorILNS1_17partition_subalgoE9EllbEEZZNS1_14partition_implILS5_9ELb0ES3_jPlS8_PNS0_10empty_typeENS0_5tupleIJS8_S9_EEENSB_IJS8_SA_EEENS0_18inequality_wrapperIZN2at6native12_GLOBAL__N_124unique_dim_cuda_templateIfEESt5tupleIJNSF_6TensorESK_SK_EERKSK_lbbbEUlllE0_EEPmJS9_EEE10hipError_tPvRmT3_T4_T5_T6_T7_T9_mT8_P12ihipStream_tbDpT10_ENKUlT_T0_E_clISt17integral_constantIbLb1EES1A_EEDaS15_S16_EUlS15_E_NS1_11comp_targetILNS1_3genE10ELNS1_11target_archE1200ELNS1_3gpuE4ELNS1_3repE0EEENS1_30default_config_static_selectorELNS0_4arch9wavefront6targetE0EEEvT1_,comdat
.Lfunc_end974:
	.size	_ZN7rocprim17ROCPRIM_400000_NS6detail17trampoline_kernelINS0_14default_configENS1_25partition_config_selectorILNS1_17partition_subalgoE9EllbEEZZNS1_14partition_implILS5_9ELb0ES3_jPlS8_PNS0_10empty_typeENS0_5tupleIJS8_S9_EEENSB_IJS8_SA_EEENS0_18inequality_wrapperIZN2at6native12_GLOBAL__N_124unique_dim_cuda_templateIfEESt5tupleIJNSF_6TensorESK_SK_EERKSK_lbbbEUlllE0_EEPmJS9_EEE10hipError_tPvRmT3_T4_T5_T6_T7_T9_mT8_P12ihipStream_tbDpT10_ENKUlT_T0_E_clISt17integral_constantIbLb1EES1A_EEDaS15_S16_EUlS15_E_NS1_11comp_targetILNS1_3genE10ELNS1_11target_archE1200ELNS1_3gpuE4ELNS1_3repE0EEENS1_30default_config_static_selectorELNS0_4arch9wavefront6targetE0EEEvT1_, .Lfunc_end974-_ZN7rocprim17ROCPRIM_400000_NS6detail17trampoline_kernelINS0_14default_configENS1_25partition_config_selectorILNS1_17partition_subalgoE9EllbEEZZNS1_14partition_implILS5_9ELb0ES3_jPlS8_PNS0_10empty_typeENS0_5tupleIJS8_S9_EEENSB_IJS8_SA_EEENS0_18inequality_wrapperIZN2at6native12_GLOBAL__N_124unique_dim_cuda_templateIfEESt5tupleIJNSF_6TensorESK_SK_EERKSK_lbbbEUlllE0_EEPmJS9_EEE10hipError_tPvRmT3_T4_T5_T6_T7_T9_mT8_P12ihipStream_tbDpT10_ENKUlT_T0_E_clISt17integral_constantIbLb1EES1A_EEDaS15_S16_EUlS15_E_NS1_11comp_targetILNS1_3genE10ELNS1_11target_archE1200ELNS1_3gpuE4ELNS1_3repE0EEENS1_30default_config_static_selectorELNS0_4arch9wavefront6targetE0EEEvT1_
                                        ; -- End function
	.section	.AMDGPU.csdata,"",@progbits
; Kernel info:
; codeLenInByte = 0
; NumSgprs: 0
; NumVgprs: 0
; ScratchSize: 0
; MemoryBound: 0
; FloatMode: 240
; IeeeMode: 1
; LDSByteSize: 0 bytes/workgroup (compile time only)
; SGPRBlocks: 0
; VGPRBlocks: 0
; NumSGPRsForWavesPerEU: 1
; NumVGPRsForWavesPerEU: 1
; Occupancy: 15
; WaveLimiterHint : 0
; COMPUTE_PGM_RSRC2:SCRATCH_EN: 0
; COMPUTE_PGM_RSRC2:USER_SGPR: 15
; COMPUTE_PGM_RSRC2:TRAP_HANDLER: 0
; COMPUTE_PGM_RSRC2:TGID_X_EN: 1
; COMPUTE_PGM_RSRC2:TGID_Y_EN: 0
; COMPUTE_PGM_RSRC2:TGID_Z_EN: 0
; COMPUTE_PGM_RSRC2:TIDIG_COMP_CNT: 0
	.section	.text._ZN7rocprim17ROCPRIM_400000_NS6detail17trampoline_kernelINS0_14default_configENS1_25partition_config_selectorILNS1_17partition_subalgoE9EllbEEZZNS1_14partition_implILS5_9ELb0ES3_jPlS8_PNS0_10empty_typeENS0_5tupleIJS8_S9_EEENSB_IJS8_SA_EEENS0_18inequality_wrapperIZN2at6native12_GLOBAL__N_124unique_dim_cuda_templateIfEESt5tupleIJNSF_6TensorESK_SK_EERKSK_lbbbEUlllE0_EEPmJS9_EEE10hipError_tPvRmT3_T4_T5_T6_T7_T9_mT8_P12ihipStream_tbDpT10_ENKUlT_T0_E_clISt17integral_constantIbLb1EES1A_EEDaS15_S16_EUlS15_E_NS1_11comp_targetILNS1_3genE9ELNS1_11target_archE1100ELNS1_3gpuE3ELNS1_3repE0EEENS1_30default_config_static_selectorELNS0_4arch9wavefront6targetE0EEEvT1_,"axG",@progbits,_ZN7rocprim17ROCPRIM_400000_NS6detail17trampoline_kernelINS0_14default_configENS1_25partition_config_selectorILNS1_17partition_subalgoE9EllbEEZZNS1_14partition_implILS5_9ELb0ES3_jPlS8_PNS0_10empty_typeENS0_5tupleIJS8_S9_EEENSB_IJS8_SA_EEENS0_18inequality_wrapperIZN2at6native12_GLOBAL__N_124unique_dim_cuda_templateIfEESt5tupleIJNSF_6TensorESK_SK_EERKSK_lbbbEUlllE0_EEPmJS9_EEE10hipError_tPvRmT3_T4_T5_T6_T7_T9_mT8_P12ihipStream_tbDpT10_ENKUlT_T0_E_clISt17integral_constantIbLb1EES1A_EEDaS15_S16_EUlS15_E_NS1_11comp_targetILNS1_3genE9ELNS1_11target_archE1100ELNS1_3gpuE3ELNS1_3repE0EEENS1_30default_config_static_selectorELNS0_4arch9wavefront6targetE0EEEvT1_,comdat
	.globl	_ZN7rocprim17ROCPRIM_400000_NS6detail17trampoline_kernelINS0_14default_configENS1_25partition_config_selectorILNS1_17partition_subalgoE9EllbEEZZNS1_14partition_implILS5_9ELb0ES3_jPlS8_PNS0_10empty_typeENS0_5tupleIJS8_S9_EEENSB_IJS8_SA_EEENS0_18inequality_wrapperIZN2at6native12_GLOBAL__N_124unique_dim_cuda_templateIfEESt5tupleIJNSF_6TensorESK_SK_EERKSK_lbbbEUlllE0_EEPmJS9_EEE10hipError_tPvRmT3_T4_T5_T6_T7_T9_mT8_P12ihipStream_tbDpT10_ENKUlT_T0_E_clISt17integral_constantIbLb1EES1A_EEDaS15_S16_EUlS15_E_NS1_11comp_targetILNS1_3genE9ELNS1_11target_archE1100ELNS1_3gpuE3ELNS1_3repE0EEENS1_30default_config_static_selectorELNS0_4arch9wavefront6targetE0EEEvT1_ ; -- Begin function _ZN7rocprim17ROCPRIM_400000_NS6detail17trampoline_kernelINS0_14default_configENS1_25partition_config_selectorILNS1_17partition_subalgoE9EllbEEZZNS1_14partition_implILS5_9ELb0ES3_jPlS8_PNS0_10empty_typeENS0_5tupleIJS8_S9_EEENSB_IJS8_SA_EEENS0_18inequality_wrapperIZN2at6native12_GLOBAL__N_124unique_dim_cuda_templateIfEESt5tupleIJNSF_6TensorESK_SK_EERKSK_lbbbEUlllE0_EEPmJS9_EEE10hipError_tPvRmT3_T4_T5_T6_T7_T9_mT8_P12ihipStream_tbDpT10_ENKUlT_T0_E_clISt17integral_constantIbLb1EES1A_EEDaS15_S16_EUlS15_E_NS1_11comp_targetILNS1_3genE9ELNS1_11target_archE1100ELNS1_3gpuE3ELNS1_3repE0EEENS1_30default_config_static_selectorELNS0_4arch9wavefront6targetE0EEEvT1_
	.p2align	8
	.type	_ZN7rocprim17ROCPRIM_400000_NS6detail17trampoline_kernelINS0_14default_configENS1_25partition_config_selectorILNS1_17partition_subalgoE9EllbEEZZNS1_14partition_implILS5_9ELb0ES3_jPlS8_PNS0_10empty_typeENS0_5tupleIJS8_S9_EEENSB_IJS8_SA_EEENS0_18inequality_wrapperIZN2at6native12_GLOBAL__N_124unique_dim_cuda_templateIfEESt5tupleIJNSF_6TensorESK_SK_EERKSK_lbbbEUlllE0_EEPmJS9_EEE10hipError_tPvRmT3_T4_T5_T6_T7_T9_mT8_P12ihipStream_tbDpT10_ENKUlT_T0_E_clISt17integral_constantIbLb1EES1A_EEDaS15_S16_EUlS15_E_NS1_11comp_targetILNS1_3genE9ELNS1_11target_archE1100ELNS1_3gpuE3ELNS1_3repE0EEENS1_30default_config_static_selectorELNS0_4arch9wavefront6targetE0EEEvT1_,@function
_ZN7rocprim17ROCPRIM_400000_NS6detail17trampoline_kernelINS0_14default_configENS1_25partition_config_selectorILNS1_17partition_subalgoE9EllbEEZZNS1_14partition_implILS5_9ELb0ES3_jPlS8_PNS0_10empty_typeENS0_5tupleIJS8_S9_EEENSB_IJS8_SA_EEENS0_18inequality_wrapperIZN2at6native12_GLOBAL__N_124unique_dim_cuda_templateIfEESt5tupleIJNSF_6TensorESK_SK_EERKSK_lbbbEUlllE0_EEPmJS9_EEE10hipError_tPvRmT3_T4_T5_T6_T7_T9_mT8_P12ihipStream_tbDpT10_ENKUlT_T0_E_clISt17integral_constantIbLb1EES1A_EEDaS15_S16_EUlS15_E_NS1_11comp_targetILNS1_3genE9ELNS1_11target_archE1100ELNS1_3gpuE3ELNS1_3repE0EEENS1_30default_config_static_selectorELNS0_4arch9wavefront6targetE0EEEvT1_: ; @_ZN7rocprim17ROCPRIM_400000_NS6detail17trampoline_kernelINS0_14default_configENS1_25partition_config_selectorILNS1_17partition_subalgoE9EllbEEZZNS1_14partition_implILS5_9ELb0ES3_jPlS8_PNS0_10empty_typeENS0_5tupleIJS8_S9_EEENSB_IJS8_SA_EEENS0_18inequality_wrapperIZN2at6native12_GLOBAL__N_124unique_dim_cuda_templateIfEESt5tupleIJNSF_6TensorESK_SK_EERKSK_lbbbEUlllE0_EEPmJS9_EEE10hipError_tPvRmT3_T4_T5_T6_T7_T9_mT8_P12ihipStream_tbDpT10_ENKUlT_T0_E_clISt17integral_constantIbLb1EES1A_EEDaS15_S16_EUlS15_E_NS1_11comp_targetILNS1_3genE9ELNS1_11target_archE1100ELNS1_3gpuE3ELNS1_3repE0EEENS1_30default_config_static_selectorELNS0_4arch9wavefront6targetE0EEEvT1_
; %bb.0:
	s_clause 0x3
	s_load_b128 s[4:7], s[0:1], 0x8
	s_load_b64 s[24:25], s[0:1], 0x18
	s_load_b256 s[8:15], s[0:1], 0x40
	s_load_b128 s[20:23], s[0:1], 0x60
	v_cmp_ne_u32_e64 s3, 0, v0
	v_cmp_eq_u32_e64 s2, 0, v0
	s_delay_alu instid0(VALU_DEP_1)
	s_and_saveexec_b32 s16, s2
	s_cbranch_execz .LBB975_4
; %bb.1:
	s_mov_b32 s18, exec_lo
	s_mov_b32 s17, exec_lo
	v_mbcnt_lo_u32_b32 v1, s18, 0
                                        ; implicit-def: $vgpr2
	s_delay_alu instid0(VALU_DEP_1)
	v_cmpx_eq_u32_e32 0, v1
	s_cbranch_execz .LBB975_3
; %bb.2:
	s_load_b64 s[26:27], s[0:1], 0x78
	s_bcnt1_i32_b32 s18, s18
	s_delay_alu instid0(SALU_CYCLE_1)
	v_dual_mov_b32 v2, 0 :: v_dual_mov_b32 v3, s18
	s_waitcnt lgkmcnt(0)
	global_atomic_add_u32 v2, v2, v3, s[26:27] glc
.LBB975_3:
	s_or_b32 exec_lo, exec_lo, s17
	s_waitcnt vmcnt(0)
	v_readfirstlane_b32 s17, v2
	s_delay_alu instid0(VALU_DEP_1)
	v_dual_mov_b32 v2, 0 :: v_dual_add_nc_u32 v1, s17, v1
	ds_store_b32 v2, v1
.LBB975_4:
	s_or_b32 exec_lo, exec_lo, s16
	v_mov_b32_e32 v1, 0
	s_clause 0x1
	s_load_b128 s[16:19], s[0:1], 0x28
	s_load_b32 s0, s[0:1], 0x70
	s_waitcnt lgkmcnt(0)
	s_barrier
	buffer_gl0_inv
	ds_load_b32 v3, v1
	s_waitcnt lgkmcnt(0)
	s_barrier
	buffer_gl0_inv
	global_load_b64 v[1:2], v1, s[10:11]
	s_lshl_b64 s[26:27], s[6:7], 3
	s_mov_b32 s1, 0
	s_add_u32 s10, s4, s26
	s_addc_u32 s11, s5, s27
	v_lshlrev_b32_e32 v55, 3, v0
	v_lshrrev_b32_e32 v34, 2, v0
	v_or_b32_e32 v39, 0x200, v0
	v_or_b32_e32 v38, 0x400, v0
	;; [unrolled: 1-line block ×5, first 2 shown]
	s_add_i32 s28, s0, -1
	s_lshl_b32 s5, s0, 12
	s_lshl_b32 s4, s28, 12
	v_or_b32_e32 v33, 0xc00, v0
	v_readfirstlane_b32 s30, v3
	s_add_i32 s4, s6, s4
	v_or_b32_e32 v36, 0xe00, v0
	s_sub_i32 s31, s12, s4
	s_delay_alu instid0(VALU_DEP_2)
	s_lshl_b32 s0, s30, 12
	s_add_u32 s4, s6, s5
	s_addc_u32 s5, s7, 0
	s_cmp_eq_u32 s30, s28
	v_cmp_ge_u64_e64 s4, s[4:5], s[12:13]
	s_cselect_b32 s28, -1, 0
	s_lshl_b64 s[12:13], s[0:1], 3
	s_mov_b32 s1, -1
	s_delay_alu instid0(VALU_DEP_1) | instskip(NEXT) | instid1(SALU_CYCLE_1)
	s_and_b32 s33, s4, s28
	s_xor_b32 s29, s33, -1
	s_add_u32 s4, s10, s12
	s_addc_u32 s5, s11, s13
	s_and_b32 vcc_lo, exec_lo, s29
	s_waitcnt vmcnt(0)
	v_readfirstlane_b32 s10, v1
	v_readfirstlane_b32 s11, v2
	s_cbranch_vccz .LBB975_6
; %bb.5:
	v_add_co_u32 v9, s0, s4, v55
	s_delay_alu instid0(VALU_DEP_1)
	v_add_co_ci_u32_e64 v10, null, s5, 0, s0
	global_load_b64 v[1:2], v55, s[4:5]
	v_add_co_u32 v3, vcc_lo, v9, 0x2000
	v_add_co_ci_u32_e32 v4, vcc_lo, 0, v10, vcc_lo
	v_add_co_u32 v5, vcc_lo, v9, 0x4000
	v_add_co_ci_u32_e32 v6, vcc_lo, 0, v10, vcc_lo
	;; [unrolled: 2-line block ×4, first 2 shown]
	s_clause 0x6
	global_load_b64 v[11:12], v[3:4], off offset:-4096
	global_load_b64 v[3:4], v[3:4], off
	global_load_b64 v[13:14], v[5:6], off offset:-4096
	global_load_b64 v[5:6], v[5:6], off
	global_load_b64 v[15:16], v[7:8], off offset:-4096
	global_load_b64 v[7:8], v[7:8], off
	global_load_b64 v[9:10], v[9:10], off
	v_lshrrev_b32_e32 v18, 2, v39
	v_lshrrev_b32_e32 v19, 2, v38
	;; [unrolled: 1-line block ×4, first 2 shown]
	v_and_b32_e32 v17, 0x78, v34
	v_lshrrev_b32_e32 v22, 2, v35
	v_lshrrev_b32_e32 v23, 2, v33
	v_lshrrev_b32_e32 v24, 2, v36
	v_and_b32_e32 v18, 0xf8, v18
	v_and_b32_e32 v19, 0x178, v19
	;; [unrolled: 1-line block ×4, first 2 shown]
	v_add_nc_u32_e32 v17, v17, v55
	v_and_b32_e32 v22, 0x2f8, v22
	v_and_b32_e32 v23, 0x378, v23
	;; [unrolled: 1-line block ×3, first 2 shown]
	v_add_nc_u32_e32 v18, v18, v55
	v_add_nc_u32_e32 v19, v19, v55
	;; [unrolled: 1-line block ×4, first 2 shown]
	s_mov_b32 s1, 0
	v_add_nc_u32_e32 v22, v22, v55
	v_add_nc_u32_e32 v23, v23, v55
	v_add_nc_u32_e32 v24, v24, v55
	s_waitcnt vmcnt(7)
	ds_store_b64 v17, v[1:2]
	s_waitcnt vmcnt(6)
	ds_store_b64 v18, v[11:12] offset:4096
	s_waitcnt vmcnt(5)
	ds_store_b64 v19, v[3:4] offset:8192
	;; [unrolled: 2-line block ×7, first 2 shown]
	s_waitcnt lgkmcnt(0)
	s_barrier
.LBB975_6:
	v_cmp_gt_u32_e64 s0, s31, v0
	s_and_not1_b32 vcc_lo, exec_lo, s1
	s_cbranch_vccnz .LBB975_24
; %bb.7:
                                        ; implicit-def: $vgpr1_vgpr2_vgpr3_vgpr4_vgpr5_vgpr6_vgpr7_vgpr8_vgpr9_vgpr10_vgpr11_vgpr12_vgpr13_vgpr14_vgpr15_vgpr16
	s_delay_alu instid0(VALU_DEP_1)
	s_and_saveexec_b32 s1, s0
	s_cbranch_execz .LBB975_15
; %bb.8:
	global_load_b64 v[1:2], v55, s[4:5]
	s_or_b32 exec_lo, exec_lo, s1
	s_delay_alu instid0(SALU_CYCLE_1)
	s_mov_b32 s0, exec_lo
	v_cmpx_gt_u32_e64 s31, v39
	s_cbranch_execnz .LBB975_16
.LBB975_9:
	s_or_b32 exec_lo, exec_lo, s0
	s_delay_alu instid0(SALU_CYCLE_1)
	s_mov_b32 s0, exec_lo
	v_cmpx_gt_u32_e64 s31, v38
	s_cbranch_execz .LBB975_17
.LBB975_10:
	v_lshlrev_b32_e32 v5, 3, v38
	global_load_b64 v[5:6], v5, s[4:5]
	s_or_b32 exec_lo, exec_lo, s0
	s_delay_alu instid0(SALU_CYCLE_1)
	s_mov_b32 s0, exec_lo
	v_cmpx_gt_u32_e64 s31, v40
	s_cbranch_execnz .LBB975_18
.LBB975_11:
	s_or_b32 exec_lo, exec_lo, s0
	s_delay_alu instid0(SALU_CYCLE_1)
	s_mov_b32 s0, exec_lo
	v_cmpx_gt_u32_e64 s31, v37
	s_cbranch_execz .LBB975_19
.LBB975_12:
	v_lshlrev_b32_e32 v9, 3, v37
	global_load_b64 v[9:10], v9, s[4:5]
	s_or_b32 exec_lo, exec_lo, s0
	s_delay_alu instid0(SALU_CYCLE_1)
	s_mov_b32 s0, exec_lo
	v_cmpx_gt_u32_e64 s31, v35
	s_cbranch_execnz .LBB975_20
.LBB975_13:
	s_or_b32 exec_lo, exec_lo, s0
	s_delay_alu instid0(SALU_CYCLE_1)
	s_mov_b32 s0, exec_lo
	v_cmpx_gt_u32_e64 s31, v33
	s_cbranch_execz .LBB975_21
.LBB975_14:
	v_lshlrev_b32_e32 v13, 3, v33
	global_load_b64 v[13:14], v13, s[4:5]
	s_or_b32 exec_lo, exec_lo, s0
	s_delay_alu instid0(SALU_CYCLE_1)
	s_mov_b32 s0, exec_lo
	v_cmpx_gt_u32_e64 s31, v36
	s_cbranch_execnz .LBB975_22
	s_branch .LBB975_23
.LBB975_15:
	s_or_b32 exec_lo, exec_lo, s1
	s_delay_alu instid0(SALU_CYCLE_1)
	s_mov_b32 s0, exec_lo
	v_cmpx_gt_u32_e64 s31, v39
	s_cbranch_execz .LBB975_9
.LBB975_16:
	v_lshlrev_b32_e32 v3, 3, v39
	global_load_b64 v[3:4], v3, s[4:5]
	s_or_b32 exec_lo, exec_lo, s0
	s_delay_alu instid0(SALU_CYCLE_1)
	s_mov_b32 s0, exec_lo
	v_cmpx_gt_u32_e64 s31, v38
	s_cbranch_execnz .LBB975_10
.LBB975_17:
	s_or_b32 exec_lo, exec_lo, s0
	s_delay_alu instid0(SALU_CYCLE_1)
	s_mov_b32 s0, exec_lo
	v_cmpx_gt_u32_e64 s31, v40
	s_cbranch_execz .LBB975_11
.LBB975_18:
	v_lshlrev_b32_e32 v7, 3, v40
	global_load_b64 v[7:8], v7, s[4:5]
	s_or_b32 exec_lo, exec_lo, s0
	s_delay_alu instid0(SALU_CYCLE_1)
	s_mov_b32 s0, exec_lo
	v_cmpx_gt_u32_e64 s31, v37
	s_cbranch_execnz .LBB975_12
.LBB975_19:
	s_or_b32 exec_lo, exec_lo, s0
	s_delay_alu instid0(SALU_CYCLE_1)
	s_mov_b32 s0, exec_lo
	v_cmpx_gt_u32_e64 s31, v35
	s_cbranch_execz .LBB975_13
.LBB975_20:
	v_lshlrev_b32_e32 v11, 3, v35
	global_load_b64 v[11:12], v11, s[4:5]
	s_or_b32 exec_lo, exec_lo, s0
	s_delay_alu instid0(SALU_CYCLE_1)
	s_mov_b32 s0, exec_lo
	v_cmpx_gt_u32_e64 s31, v33
	s_cbranch_execnz .LBB975_14
.LBB975_21:
	s_or_b32 exec_lo, exec_lo, s0
	s_delay_alu instid0(SALU_CYCLE_1)
	s_mov_b32 s0, exec_lo
	v_cmpx_gt_u32_e64 s31, v36
	s_cbranch_execz .LBB975_23
.LBB975_22:
	v_lshlrev_b32_e32 v15, 3, v36
	global_load_b64 v[15:16], v15, s[4:5]
.LBB975_23:
	s_or_b32 exec_lo, exec_lo, s0
	v_lshrrev_b32_e32 v17, 2, v39
	v_lshrrev_b32_e32 v18, 2, v38
	;; [unrolled: 1-line block ×4, first 2 shown]
	v_and_b32_e32 v19, 0x78, v34
	v_lshrrev_b32_e32 v22, 2, v35
	v_lshrrev_b32_e32 v23, 2, v33
	;; [unrolled: 1-line block ×3, first 2 shown]
	v_and_b32_e32 v17, 0xf8, v17
	v_and_b32_e32 v18, 0x1f8, v18
	;; [unrolled: 1-line block ×4, first 2 shown]
	v_add_nc_u32_e32 v19, v19, v55
	v_and_b32_e32 v22, 0x3f8, v22
	v_and_b32_e32 v23, 0x3f8, v23
	;; [unrolled: 1-line block ×3, first 2 shown]
	v_add_nc_u32_e32 v17, v17, v55
	v_add_nc_u32_e32 v18, v18, v55
	;; [unrolled: 1-line block ×7, first 2 shown]
	s_waitcnt vmcnt(0)
	ds_store_b64 v19, v[1:2]
	ds_store_b64 v17, v[3:4] offset:4096
	ds_store_b64 v18, v[5:6] offset:8192
	;; [unrolled: 1-line block ×7, first 2 shown]
	s_waitcnt lgkmcnt(0)
	s_barrier
.LBB975_24:
	v_add_lshl_u32 v41, v34, v55, 3
	buffer_gl0_inv
	s_add_u32 s0, s24, s26
	s_addc_u32 s1, s25, s27
	s_add_u32 s0, s0, s12
	ds_load_2addr_b64 v[29:32], v41 offset1:1
	ds_load_2addr_b64 v[25:28], v41 offset0:2 offset1:3
	ds_load_2addr_b64 v[21:24], v41 offset0:4 offset1:5
	;; [unrolled: 1-line block ×3, first 2 shown]
	s_addc_u32 s1, s1, s13
	s_and_b32 vcc_lo, exec_lo, s29
	s_mov_b32 s12, -1
	s_waitcnt lgkmcnt(0)
	s_barrier
	buffer_gl0_inv
	s_cbranch_vccz .LBB975_26
; %bb.25:
	v_add_co_u32 v9, s12, s0, v55
	s_delay_alu instid0(VALU_DEP_1)
	v_add_co_ci_u32_e64 v10, null, s1, 0, s12
	global_load_b64 v[1:2], v55, s[0:1]
	v_add_co_u32 v3, vcc_lo, v9, 0x2000
	v_add_co_ci_u32_e32 v4, vcc_lo, 0, v10, vcc_lo
	v_add_co_u32 v5, vcc_lo, v9, 0x4000
	v_add_co_ci_u32_e32 v6, vcc_lo, 0, v10, vcc_lo
	;; [unrolled: 2-line block ×4, first 2 shown]
	s_clause 0x6
	global_load_b64 v[11:12], v[3:4], off offset:-4096
	global_load_b64 v[3:4], v[3:4], off
	global_load_b64 v[13:14], v[5:6], off offset:-4096
	global_load_b64 v[5:6], v[5:6], off
	;; [unrolled: 2-line block ×3, first 2 shown]
	global_load_b64 v[9:10], v[9:10], off
	v_lshrrev_b32_e32 v43, 2, v39
	v_lshrrev_b32_e32 v44, 2, v38
	;; [unrolled: 1-line block ×4, first 2 shown]
	v_and_b32_e32 v42, 0x78, v34
	v_lshrrev_b32_e32 v47, 2, v35
	v_lshrrev_b32_e32 v48, 2, v33
	;; [unrolled: 1-line block ×3, first 2 shown]
	v_and_b32_e32 v43, 0xf8, v43
	v_and_b32_e32 v44, 0x178, v44
	;; [unrolled: 1-line block ×4, first 2 shown]
	v_add_nc_u32_e32 v42, v42, v55
	v_and_b32_e32 v47, 0x2f8, v47
	v_and_b32_e32 v48, 0x378, v48
	;; [unrolled: 1-line block ×3, first 2 shown]
	v_add_nc_u32_e32 v43, v43, v55
	v_add_nc_u32_e32 v44, v44, v55
	;; [unrolled: 1-line block ×4, first 2 shown]
	s_mov_b32 s12, 0
	v_add_nc_u32_e32 v47, v47, v55
	v_add_nc_u32_e32 v48, v48, v55
	;; [unrolled: 1-line block ×3, first 2 shown]
	s_waitcnt vmcnt(7)
	ds_store_b64 v42, v[1:2]
	s_waitcnt vmcnt(6)
	ds_store_b64 v43, v[11:12] offset:4096
	s_waitcnt vmcnt(5)
	ds_store_b64 v44, v[3:4] offset:8192
	;; [unrolled: 2-line block ×7, first 2 shown]
	s_waitcnt lgkmcnt(0)
	s_barrier
.LBB975_26:
	s_and_not1_b32 vcc_lo, exec_lo, s12
	s_cbranch_vccnz .LBB975_44
; %bb.27:
	s_mov_b32 s12, exec_lo
                                        ; implicit-def: $vgpr1_vgpr2
	v_cmpx_gt_u32_e64 s31, v0
	s_cbranch_execz .LBB975_29
; %bb.28:
	global_load_b64 v[1:2], v55, s[0:1]
.LBB975_29:
	s_or_b32 exec_lo, exec_lo, s12
	s_delay_alu instid0(SALU_CYCLE_1)
	s_mov_b32 s12, exec_lo
                                        ; implicit-def: $vgpr3_vgpr4
	v_cmpx_gt_u32_e64 s31, v39
	s_cbranch_execz .LBB975_31
; %bb.30:
	v_lshlrev_b32_e32 v3, 3, v39
	global_load_b64 v[3:4], v3, s[0:1]
.LBB975_31:
	s_or_b32 exec_lo, exec_lo, s12
	s_delay_alu instid0(SALU_CYCLE_1)
	s_mov_b32 s12, exec_lo
                                        ; implicit-def: $vgpr5_vgpr6
	v_cmpx_gt_u32_e64 s31, v38
	s_cbranch_execz .LBB975_33
; %bb.32:
	v_lshlrev_b32_e32 v5, 3, v38
	global_load_b64 v[5:6], v5, s[0:1]
.LBB975_33:
	s_or_b32 exec_lo, exec_lo, s12
	s_delay_alu instid0(SALU_CYCLE_1)
	s_mov_b32 s12, exec_lo
                                        ; implicit-def: $vgpr7_vgpr8
	v_cmpx_gt_u32_e64 s31, v40
	s_cbranch_execz .LBB975_35
; %bb.34:
	v_lshlrev_b32_e32 v7, 3, v40
	global_load_b64 v[7:8], v7, s[0:1]
.LBB975_35:
	s_or_b32 exec_lo, exec_lo, s12
	s_delay_alu instid0(SALU_CYCLE_1)
	s_mov_b32 s12, exec_lo
                                        ; implicit-def: $vgpr9_vgpr10
	v_cmpx_gt_u32_e64 s31, v37
	s_cbranch_execz .LBB975_37
; %bb.36:
	v_lshlrev_b32_e32 v9, 3, v37
	global_load_b64 v[9:10], v9, s[0:1]
.LBB975_37:
	s_or_b32 exec_lo, exec_lo, s12
	s_delay_alu instid0(SALU_CYCLE_1)
	s_mov_b32 s12, exec_lo
                                        ; implicit-def: $vgpr11_vgpr12
	v_cmpx_gt_u32_e64 s31, v35
	s_cbranch_execz .LBB975_39
; %bb.38:
	v_lshlrev_b32_e32 v11, 3, v35
	global_load_b64 v[11:12], v11, s[0:1]
.LBB975_39:
	s_or_b32 exec_lo, exec_lo, s12
	s_delay_alu instid0(SALU_CYCLE_1)
	s_mov_b32 s12, exec_lo
                                        ; implicit-def: $vgpr13_vgpr14
	v_cmpx_gt_u32_e64 s31, v33
	s_cbranch_execz .LBB975_41
; %bb.40:
	v_lshlrev_b32_e32 v13, 3, v33
	global_load_b64 v[13:14], v13, s[0:1]
.LBB975_41:
	s_or_b32 exec_lo, exec_lo, s12
	s_delay_alu instid0(SALU_CYCLE_1)
	s_mov_b32 s12, exec_lo
                                        ; implicit-def: $vgpr15_vgpr16
	v_cmpx_gt_u32_e64 s31, v36
	s_cbranch_execz .LBB975_43
; %bb.42:
	v_lshlrev_b32_e32 v15, 3, v36
	global_load_b64 v[15:16], v15, s[0:1]
.LBB975_43:
	s_or_b32 exec_lo, exec_lo, s12
	v_lshrrev_b32_e32 v39, 2, v39
	v_lshrrev_b32_e32 v38, 2, v38
	;; [unrolled: 1-line block ×4, first 2 shown]
	v_and_b32_e32 v34, 0x78, v34
	v_lshrrev_b32_e32 v35, 2, v35
	v_lshrrev_b32_e32 v33, 2, v33
	;; [unrolled: 1-line block ×3, first 2 shown]
	v_and_b32_e32 v39, 0xf8, v39
	v_and_b32_e32 v38, 0x1f8, v38
	;; [unrolled: 1-line block ×4, first 2 shown]
	v_add_nc_u32_e32 v34, v34, v55
	v_and_b32_e32 v35, 0x3f8, v35
	v_and_b32_e32 v33, 0x3f8, v33
	;; [unrolled: 1-line block ×3, first 2 shown]
	v_add_nc_u32_e32 v39, v39, v55
	v_add_nc_u32_e32 v38, v38, v55
	;; [unrolled: 1-line block ×7, first 2 shown]
	s_waitcnt vmcnt(0)
	ds_store_b64 v34, v[1:2]
	ds_store_b64 v39, v[3:4] offset:4096
	ds_store_b64 v38, v[5:6] offset:8192
	;; [unrolled: 1-line block ×7, first 2 shown]
	s_waitcnt lgkmcnt(0)
	s_barrier
.LBB975_44:
	buffer_gl0_inv
	ds_load_2addr_b64 v[13:16], v41 offset1:1
	ds_load_2addr_b64 v[9:12], v41 offset0:2 offset1:3
	ds_load_2addr_b64 v[5:8], v41 offset0:4 offset1:5
	;; [unrolled: 1-line block ×3, first 2 shown]
	s_cmp_lg_u32 s30, 0
	v_cmp_gt_i64_e64 s13, s[14:15], 0
	s_cselect_b32 s12, -1, 0
	s_cmp_lg_u64 s[6:7], 0
	s_mov_b32 s1, 0
	s_cselect_b32 s0, -1, 0
	s_waitcnt lgkmcnt(0)
	s_or_b32 s0, s0, s12
	s_barrier
	s_and_b32 vcc_lo, exec_lo, s0
	buffer_gl0_inv
	s_cbranch_vccz .LBB975_53
; %bb.45:
	v_mov_b32_e32 v33, 0
	v_cndmask_b32_e64 v43, 0, 1, s13
	s_and_b32 vcc_lo, exec_lo, s29
	ds_store_b64 v55, v[19:20]
	global_load_b64 v[33:34], v33, s[4:5] offset:-8
	v_cmp_ne_u32_e64 s0, 1, v43
	s_cbranch_vccz .LBB975_54
; %bb.46:
	v_mul_lo_u32 v37, v18, s14
	v_mul_lo_u32 v38, v17, s15
	v_mad_u64_u32 v[35:36], null, v17, s14, 0
	s_and_b32 vcc_lo, exec_lo, s0
	s_mov_b32 s24, 0
	s_delay_alu instid0(VALU_DEP_1) | instskip(NEXT) | instid1(VALU_DEP_1)
	v_add3_u32 v36, v36, v38, v37
	v_lshlrev_b64 v[35:36], 2, v[35:36]
	s_cbranch_vccnz .LBB975_57
; %bb.47:
	v_mul_lo_u32 v39, v20, s14
	v_mul_lo_u32 v40, v19, s15
	v_mad_u64_u32 v[37:38], null, v19, s14, 0
	s_mov_b32 s24, -1
	s_mov_b32 s25, exec_lo
	s_delay_alu instid0(VALU_DEP_1) | instskip(SKIP_2) | instid1(VALU_DEP_3)
	v_add3_u32 v38, v38, v40, v39
	v_add_co_u32 v39, vcc_lo, s20, v35
	v_add_co_ci_u32_e32 v40, vcc_lo, s21, v36, vcc_lo
	v_lshlrev_b64 v[37:38], 2, v[37:38]
	s_delay_alu instid0(VALU_DEP_1) | instskip(NEXT) | instid1(VALU_DEP_2)
	v_add_co_u32 v37, vcc_lo, s20, v37
	v_add_co_ci_u32_e32 v38, vcc_lo, s21, v38, vcc_lo
	s_clause 0x1
	global_load_b32 v41, v[39:40], off
	global_load_b32 v42, v[37:38], off
	s_waitcnt vmcnt(0)
	v_cmpx_eq_f32_e32 v41, v42
	s_cbranch_execz .LBB975_56
; %bb.48:
	v_add_co_u32 v37, vcc_lo, v37, 4
	v_add_co_ci_u32_e32 v38, vcc_lo, 0, v38, vcc_lo
	v_add_co_u32 v39, vcc_lo, v39, 4
	v_add_co_ci_u32_e32 v40, vcc_lo, 0, v40, vcc_lo
	s_add_u32 s4, s14, -1
	s_addc_u32 s5, s15, -1
	s_mov_b64 s[6:7], 0
	s_mov_b32 s24, 0
                                        ; implicit-def: $sgpr26
	s_set_inst_prefetch_distance 0x1
	s_branch .LBB975_51
	.p2align	6
.LBB975_49:                             ;   in Loop: Header=BB975_51 Depth=1
	global_load_b32 v41, v[39:40], off
	global_load_b32 v42, v[37:38], off
	v_add_co_u32 v37, vcc_lo, v37, 4
	v_add_co_ci_u32_e32 v38, vcc_lo, 0, v38, vcc_lo
	v_add_co_u32 v39, s0, v39, 4
	s_delay_alu instid0(VALU_DEP_1)
	v_add_co_ci_u32_e64 v40, s0, 0, v40, s0
	s_add_u32 s6, s6, 1
	s_addc_u32 s7, s7, 0
	s_and_not1_b32 s0, s26, exec_lo
	s_waitcnt vmcnt(0)
	v_cmp_neq_f32_e32 vcc_lo, v41, v42
	s_and_b32 s26, vcc_lo, exec_lo
	s_delay_alu instid0(SALU_CYCLE_1)
	s_or_b32 s26, s0, s26
.LBB975_50:                             ;   in Loop: Header=BB975_51 Depth=1
	v_dual_mov_b32 v42, s7 :: v_dual_mov_b32 v41, s6
	s_and_b32 s0, exec_lo, s26
	s_delay_alu instid0(SALU_CYCLE_1) | instskip(NEXT) | instid1(SALU_CYCLE_1)
	s_or_b32 s24, s0, s24
	s_and_not1_b32 exec_lo, exec_lo, s24
	s_cbranch_execz .LBB975_55
.LBB975_51:                             ; =>This Inner Loop Header: Depth=1
	s_or_b32 s26, s26, exec_lo
	s_cmp_eq_u64 s[4:5], s[6:7]
	s_cbranch_scc0 .LBB975_49
; %bb.52:                               ;   in Loop: Header=BB975_51 Depth=1
	s_mov_b64 s[6:7], s[14:15]
                                        ; implicit-def: $vgpr37_vgpr38
                                        ; implicit-def: $vgpr39_vgpr40
	s_branch .LBB975_50
.LBB975_53:
                                        ; implicit-def: $sgpr0
                                        ; implicit-def: $vgpr36
	s_branch .LBB975_215
.LBB975_54:
                                        ; implicit-def: $sgpr0
                                        ; implicit-def: $vgpr36
	s_cbranch_execnz .LBB975_123
	s_branch .LBB975_214
.LBB975_55:
	s_set_inst_prefetch_distance 0x2
	s_or_b32 exec_lo, exec_lo, s24
	v_cmp_gt_i64_e32 vcc_lo, s[14:15], v[41:42]
	s_or_not1_b32 s24, vcc_lo, exec_lo
.LBB975_56:
	s_or_b32 exec_lo, exec_lo, s25
.LBB975_57:
	v_mul_lo_u32 v39, v24, s14
	v_mul_lo_u32 v40, v23, s15
	v_mad_u64_u32 v[37:38], null, v23, s14, 0
	s_and_not1_b32 vcc_lo, exec_lo, s13
	s_delay_alu instid0(VALU_DEP_1) | instskip(NEXT) | instid1(VALU_DEP_1)
	v_add3_u32 v38, v38, v40, v39
	v_lshlrev_b64 v[37:38], 2, v[37:38]
	s_cbranch_vccnz .LBB975_66
; %bb.58:
	s_delay_alu instid0(VALU_DEP_1) | instskip(NEXT) | instid1(VALU_DEP_2)
	v_add_co_u32 v39, vcc_lo, s20, v37
	v_add_co_ci_u32_e32 v40, vcc_lo, s21, v38, vcc_lo
	v_add_co_u32 v35, vcc_lo, s20, v35
	v_add_co_ci_u32_e32 v36, vcc_lo, s21, v36, vcc_lo
	s_mov_b32 s1, -1
	s_clause 0x1
	global_load_b32 v41, v[39:40], off
	global_load_b32 v42, v[35:36], off
	s_mov_b32 s25, exec_lo
	s_waitcnt vmcnt(0)
	v_cmpx_eq_f32_e32 v41, v42
	s_cbranch_execz .LBB975_65
; %bb.59:
	v_add_co_u32 v35, vcc_lo, v35, 4
	v_add_co_ci_u32_e32 v36, vcc_lo, 0, v36, vcc_lo
	v_add_co_u32 v39, vcc_lo, v39, 4
	v_add_co_ci_u32_e32 v40, vcc_lo, 0, v40, vcc_lo
	s_add_u32 s4, s14, -1
	s_addc_u32 s5, s15, -1
	s_mov_b64 s[6:7], 0
	s_mov_b32 s1, 0
                                        ; implicit-def: $sgpr26
	s_set_inst_prefetch_distance 0x1
	s_branch .LBB975_62
	.p2align	6
.LBB975_60:                             ;   in Loop: Header=BB975_62 Depth=1
	global_load_b32 v41, v[39:40], off
	global_load_b32 v42, v[35:36], off
	v_add_co_u32 v35, vcc_lo, v35, 4
	v_add_co_ci_u32_e32 v36, vcc_lo, 0, v36, vcc_lo
	v_add_co_u32 v39, s0, v39, 4
	s_delay_alu instid0(VALU_DEP_1)
	v_add_co_ci_u32_e64 v40, s0, 0, v40, s0
	s_add_u32 s6, s6, 1
	s_addc_u32 s7, s7, 0
	s_and_not1_b32 s0, s26, exec_lo
	s_waitcnt vmcnt(0)
	v_cmp_neq_f32_e32 vcc_lo, v41, v42
	s_and_b32 s26, vcc_lo, exec_lo
	s_delay_alu instid0(SALU_CYCLE_1)
	s_or_b32 s26, s0, s26
.LBB975_61:                             ;   in Loop: Header=BB975_62 Depth=1
	v_dual_mov_b32 v42, s7 :: v_dual_mov_b32 v41, s6
	s_and_b32 s0, exec_lo, s26
	s_delay_alu instid0(SALU_CYCLE_1) | instskip(NEXT) | instid1(SALU_CYCLE_1)
	s_or_b32 s1, s0, s1
	s_and_not1_b32 exec_lo, exec_lo, s1
	s_cbranch_execz .LBB975_64
.LBB975_62:                             ; =>This Inner Loop Header: Depth=1
	s_or_b32 s26, s26, exec_lo
	s_cmp_eq_u64 s[4:5], s[6:7]
	s_cbranch_scc0 .LBB975_60
; %bb.63:                               ;   in Loop: Header=BB975_62 Depth=1
	s_mov_b64 s[6:7], s[14:15]
                                        ; implicit-def: $vgpr35_vgpr36
                                        ; implicit-def: $vgpr39_vgpr40
	s_branch .LBB975_61
.LBB975_64:
	s_set_inst_prefetch_distance 0x2
	s_or_b32 exec_lo, exec_lo, s1
	v_cmp_gt_i64_e32 vcc_lo, s[14:15], v[41:42]
	s_or_not1_b32 s1, vcc_lo, exec_lo
.LBB975_65:
	s_or_b32 exec_lo, exec_lo, s25
.LBB975_66:
	v_mul_lo_u32 v39, v22, s14
	v_mul_lo_u32 v40, v21, s15
	v_mad_u64_u32 v[35:36], null, v21, s14, 0
	s_mov_b32 s25, 0
	s_and_not1_b32 vcc_lo, exec_lo, s13
	s_mov_b32 s26, 0
	s_delay_alu instid0(VALU_DEP_1) | instskip(NEXT) | instid1(VALU_DEP_1)
	v_add3_u32 v36, v36, v40, v39
	v_lshlrev_b64 v[39:40], 2, v[35:36]
	s_cbranch_vccnz .LBB975_75
; %bb.67:
	s_delay_alu instid0(VALU_DEP_1) | instskip(NEXT) | instid1(VALU_DEP_2)
	v_add_co_u32 v41, vcc_lo, s20, v39
	v_add_co_ci_u32_e32 v42, vcc_lo, s21, v40, vcc_lo
	v_add_co_u32 v35, vcc_lo, s20, v37
	v_add_co_ci_u32_e32 v36, vcc_lo, s21, v38, vcc_lo
	s_mov_b32 s26, -1
	s_clause 0x1
	global_load_b32 v37, v[41:42], off
	global_load_b32 v38, v[35:36], off
	s_mov_b32 s27, exec_lo
	s_waitcnt vmcnt(0)
	v_cmpx_eq_f32_e32 v37, v38
	s_cbranch_execz .LBB975_74
; %bb.68:
	v_add_co_u32 v35, vcc_lo, v35, 4
	v_add_co_ci_u32_e32 v36, vcc_lo, 0, v36, vcc_lo
	v_add_co_u32 v37, vcc_lo, v41, 4
	v_add_co_ci_u32_e32 v38, vcc_lo, 0, v42, vcc_lo
	s_add_u32 s4, s14, -1
	s_addc_u32 s5, s15, -1
	s_mov_b64 s[6:7], 0
	s_mov_b32 s26, 0
                                        ; implicit-def: $sgpr34
	s_set_inst_prefetch_distance 0x1
	s_branch .LBB975_71
	.p2align	6
.LBB975_69:                             ;   in Loop: Header=BB975_71 Depth=1
	global_load_b32 v41, v[37:38], off
	global_load_b32 v42, v[35:36], off
	v_add_co_u32 v35, vcc_lo, v35, 4
	v_add_co_ci_u32_e32 v36, vcc_lo, 0, v36, vcc_lo
	v_add_co_u32 v37, s0, v37, 4
	s_delay_alu instid0(VALU_DEP_1)
	v_add_co_ci_u32_e64 v38, s0, 0, v38, s0
	s_add_u32 s6, s6, 1
	s_addc_u32 s7, s7, 0
	s_and_not1_b32 s0, s34, exec_lo
	s_waitcnt vmcnt(0)
	v_cmp_neq_f32_e32 vcc_lo, v41, v42
	s_and_b32 s34, vcc_lo, exec_lo
	s_delay_alu instid0(SALU_CYCLE_1)
	s_or_b32 s34, s0, s34
.LBB975_70:                             ;   in Loop: Header=BB975_71 Depth=1
	v_dual_mov_b32 v42, s7 :: v_dual_mov_b32 v41, s6
	s_and_b32 s0, exec_lo, s34
	s_delay_alu instid0(SALU_CYCLE_1) | instskip(NEXT) | instid1(SALU_CYCLE_1)
	s_or_b32 s26, s0, s26
	s_and_not1_b32 exec_lo, exec_lo, s26
	s_cbranch_execz .LBB975_73
.LBB975_71:                             ; =>This Inner Loop Header: Depth=1
	s_or_b32 s34, s34, exec_lo
	s_cmp_eq_u64 s[4:5], s[6:7]
	s_cbranch_scc0 .LBB975_69
; %bb.72:                               ;   in Loop: Header=BB975_71 Depth=1
	s_mov_b64 s[6:7], s[14:15]
                                        ; implicit-def: $vgpr35_vgpr36
                                        ; implicit-def: $vgpr37_vgpr38
	s_branch .LBB975_70
.LBB975_73:
	s_set_inst_prefetch_distance 0x2
	s_or_b32 exec_lo, exec_lo, s26
	v_cmp_gt_i64_e32 vcc_lo, s[14:15], v[41:42]
	s_or_not1_b32 s26, vcc_lo, exec_lo
.LBB975_74:
	s_or_b32 exec_lo, exec_lo, s27
.LBB975_75:
	v_mul_lo_u32 v37, v28, s14
	v_mul_lo_u32 v38, v27, s15
	v_mad_u64_u32 v[35:36], null, v27, s14, 0
	s_and_not1_b32 vcc_lo, exec_lo, s13
	s_delay_alu instid0(VALU_DEP_1) | instskip(NEXT) | instid1(VALU_DEP_1)
	v_add3_u32 v36, v36, v38, v37
	v_lshlrev_b64 v[35:36], 2, v[35:36]
	s_cbranch_vccnz .LBB975_84
; %bb.76:
	s_delay_alu instid0(VALU_DEP_1) | instskip(NEXT) | instid1(VALU_DEP_2)
	v_add_co_u32 v41, vcc_lo, s20, v35
	v_add_co_ci_u32_e32 v42, vcc_lo, s21, v36, vcc_lo
	v_add_co_u32 v37, vcc_lo, s20, v39
	v_add_co_ci_u32_e32 v38, vcc_lo, s21, v40, vcc_lo
	s_mov_b32 s25, -1
	s_clause 0x1
	global_load_b32 v39, v[41:42], off
	global_load_b32 v40, v[37:38], off
	s_mov_b32 s27, exec_lo
	s_waitcnt vmcnt(0)
	v_cmpx_eq_f32_e32 v39, v40
	s_cbranch_execz .LBB975_83
; %bb.77:
	v_add_co_u32 v37, vcc_lo, v37, 4
	v_add_co_ci_u32_e32 v38, vcc_lo, 0, v38, vcc_lo
	v_add_co_u32 v39, vcc_lo, v41, 4
	v_add_co_ci_u32_e32 v40, vcc_lo, 0, v42, vcc_lo
	s_add_u32 s4, s14, -1
	s_addc_u32 s5, s15, -1
	s_mov_b64 s[6:7], 0
	s_mov_b32 s25, 0
                                        ; implicit-def: $sgpr34
	s_set_inst_prefetch_distance 0x1
	s_branch .LBB975_80
	.p2align	6
.LBB975_78:                             ;   in Loop: Header=BB975_80 Depth=1
	global_load_b32 v41, v[39:40], off
	global_load_b32 v42, v[37:38], off
	v_add_co_u32 v37, vcc_lo, v37, 4
	v_add_co_ci_u32_e32 v38, vcc_lo, 0, v38, vcc_lo
	v_add_co_u32 v39, s0, v39, 4
	s_delay_alu instid0(VALU_DEP_1)
	v_add_co_ci_u32_e64 v40, s0, 0, v40, s0
	s_add_u32 s6, s6, 1
	s_addc_u32 s7, s7, 0
	s_and_not1_b32 s0, s34, exec_lo
	s_waitcnt vmcnt(0)
	v_cmp_neq_f32_e32 vcc_lo, v41, v42
	s_and_b32 s34, vcc_lo, exec_lo
	s_delay_alu instid0(SALU_CYCLE_1)
	s_or_b32 s34, s0, s34
.LBB975_79:                             ;   in Loop: Header=BB975_80 Depth=1
	v_dual_mov_b32 v42, s7 :: v_dual_mov_b32 v41, s6
	s_and_b32 s0, exec_lo, s34
	s_delay_alu instid0(SALU_CYCLE_1) | instskip(NEXT) | instid1(SALU_CYCLE_1)
	s_or_b32 s25, s0, s25
	s_and_not1_b32 exec_lo, exec_lo, s25
	s_cbranch_execz .LBB975_82
.LBB975_80:                             ; =>This Inner Loop Header: Depth=1
	s_or_b32 s34, s34, exec_lo
	s_cmp_eq_u64 s[4:5], s[6:7]
	s_cbranch_scc0 .LBB975_78
; %bb.81:                               ;   in Loop: Header=BB975_80 Depth=1
	s_mov_b64 s[6:7], s[14:15]
                                        ; implicit-def: $vgpr37_vgpr38
                                        ; implicit-def: $vgpr39_vgpr40
	s_branch .LBB975_79
.LBB975_82:
	s_set_inst_prefetch_distance 0x2
	s_or_b32 exec_lo, exec_lo, s25
	v_cmp_gt_i64_e32 vcc_lo, s[14:15], v[41:42]
	s_or_not1_b32 s25, vcc_lo, exec_lo
.LBB975_83:
	s_or_b32 exec_lo, exec_lo, s27
.LBB975_84:
	v_mul_lo_u32 v39, v26, s14
	v_mul_lo_u32 v40, v25, s15
	v_mad_u64_u32 v[37:38], null, v25, s14, 0
	s_mov_b32 s27, 0
	s_and_not1_b32 vcc_lo, exec_lo, s13
	s_mov_b32 s34, 0
	s_delay_alu instid0(VALU_DEP_1) | instskip(NEXT) | instid1(VALU_DEP_1)
	v_add3_u32 v38, v38, v40, v39
	v_lshlrev_b64 v[39:40], 2, v[37:38]
	s_cbranch_vccnz .LBB975_93
; %bb.85:
	s_delay_alu instid0(VALU_DEP_1) | instskip(NEXT) | instid1(VALU_DEP_2)
	v_add_co_u32 v37, vcc_lo, s20, v39
	v_add_co_ci_u32_e32 v38, vcc_lo, s21, v40, vcc_lo
	v_add_co_u32 v35, vcc_lo, s20, v35
	v_add_co_ci_u32_e32 v36, vcc_lo, s21, v36, vcc_lo
	s_mov_b32 s34, -1
	s_clause 0x1
	global_load_b32 v41, v[37:38], off
	global_load_b32 v42, v[35:36], off
	s_mov_b32 s35, exec_lo
	s_waitcnt vmcnt(0)
	v_cmpx_eq_f32_e32 v41, v42
	s_cbranch_execz .LBB975_92
; %bb.86:
	v_add_co_u32 v35, vcc_lo, v35, 4
	v_add_co_ci_u32_e32 v36, vcc_lo, 0, v36, vcc_lo
	v_add_co_u32 v37, vcc_lo, v37, 4
	v_add_co_ci_u32_e32 v38, vcc_lo, 0, v38, vcc_lo
	s_add_u32 s4, s14, -1
	s_addc_u32 s5, s15, -1
	s_mov_b64 s[6:7], 0
	s_mov_b32 s34, 0
                                        ; implicit-def: $sgpr36
	s_set_inst_prefetch_distance 0x1
	s_branch .LBB975_89
	.p2align	6
.LBB975_87:                             ;   in Loop: Header=BB975_89 Depth=1
	global_load_b32 v41, v[37:38], off
	global_load_b32 v42, v[35:36], off
	v_add_co_u32 v35, vcc_lo, v35, 4
	v_add_co_ci_u32_e32 v36, vcc_lo, 0, v36, vcc_lo
	v_add_co_u32 v37, s0, v37, 4
	s_delay_alu instid0(VALU_DEP_1)
	v_add_co_ci_u32_e64 v38, s0, 0, v38, s0
	s_add_u32 s6, s6, 1
	s_addc_u32 s7, s7, 0
	s_and_not1_b32 s0, s36, exec_lo
	s_waitcnt vmcnt(0)
	v_cmp_neq_f32_e32 vcc_lo, v41, v42
	s_and_b32 s36, vcc_lo, exec_lo
	s_delay_alu instid0(SALU_CYCLE_1)
	s_or_b32 s36, s0, s36
.LBB975_88:                             ;   in Loop: Header=BB975_89 Depth=1
	v_dual_mov_b32 v42, s7 :: v_dual_mov_b32 v41, s6
	s_and_b32 s0, exec_lo, s36
	s_delay_alu instid0(SALU_CYCLE_1) | instskip(NEXT) | instid1(SALU_CYCLE_1)
	s_or_b32 s34, s0, s34
	s_and_not1_b32 exec_lo, exec_lo, s34
	s_cbranch_execz .LBB975_91
.LBB975_89:                             ; =>This Inner Loop Header: Depth=1
	s_or_b32 s36, s36, exec_lo
	s_cmp_eq_u64 s[4:5], s[6:7]
	s_cbranch_scc0 .LBB975_87
; %bb.90:                               ;   in Loop: Header=BB975_89 Depth=1
	s_mov_b64 s[6:7], s[14:15]
                                        ; implicit-def: $vgpr35_vgpr36
                                        ; implicit-def: $vgpr37_vgpr38
	s_branch .LBB975_88
.LBB975_91:
	s_set_inst_prefetch_distance 0x2
	s_or_b32 exec_lo, exec_lo, s34
	v_cmp_gt_i64_e32 vcc_lo, s[14:15], v[41:42]
	s_or_not1_b32 s34, vcc_lo, exec_lo
.LBB975_92:
	s_or_b32 exec_lo, exec_lo, s35
.LBB975_93:
	v_mul_lo_u32 v37, v32, s14
	v_mul_lo_u32 v38, v31, s15
	v_mad_u64_u32 v[35:36], null, v31, s14, 0
	s_and_not1_b32 vcc_lo, exec_lo, s13
	s_delay_alu instid0(VALU_DEP_1) | instskip(NEXT) | instid1(VALU_DEP_1)
	v_add3_u32 v36, v36, v38, v37
	v_lshlrev_b64 v[37:38], 2, v[35:36]
	s_cbranch_vccnz .LBB975_102
; %bb.94:
	s_delay_alu instid0(VALU_DEP_1) | instskip(NEXT) | instid1(VALU_DEP_2)
	v_add_co_u32 v41, vcc_lo, s20, v37
	v_add_co_ci_u32_e32 v42, vcc_lo, s21, v38, vcc_lo
	v_add_co_u32 v35, vcc_lo, s20, v39
	v_add_co_ci_u32_e32 v36, vcc_lo, s21, v40, vcc_lo
	s_mov_b32 s27, -1
	s_clause 0x1
	global_load_b32 v39, v[41:42], off
	global_load_b32 v40, v[35:36], off
	s_mov_b32 s35, exec_lo
	s_waitcnt vmcnt(0)
	v_cmpx_eq_f32_e32 v39, v40
	s_cbranch_execz .LBB975_101
; %bb.95:
	v_add_co_u32 v35, vcc_lo, v35, 4
	v_add_co_ci_u32_e32 v36, vcc_lo, 0, v36, vcc_lo
	v_add_co_u32 v39, vcc_lo, v41, 4
	v_add_co_ci_u32_e32 v40, vcc_lo, 0, v42, vcc_lo
	s_add_u32 s4, s14, -1
	s_addc_u32 s5, s15, -1
	s_mov_b64 s[6:7], 0
	s_mov_b32 s27, 0
                                        ; implicit-def: $sgpr36
	s_set_inst_prefetch_distance 0x1
	s_branch .LBB975_98
	.p2align	6
.LBB975_96:                             ;   in Loop: Header=BB975_98 Depth=1
	global_load_b32 v41, v[39:40], off
	global_load_b32 v42, v[35:36], off
	v_add_co_u32 v35, vcc_lo, v35, 4
	v_add_co_ci_u32_e32 v36, vcc_lo, 0, v36, vcc_lo
	v_add_co_u32 v39, s0, v39, 4
	s_delay_alu instid0(VALU_DEP_1)
	v_add_co_ci_u32_e64 v40, s0, 0, v40, s0
	s_add_u32 s6, s6, 1
	s_addc_u32 s7, s7, 0
	s_and_not1_b32 s0, s36, exec_lo
	s_waitcnt vmcnt(0)
	v_cmp_neq_f32_e32 vcc_lo, v41, v42
	s_and_b32 s36, vcc_lo, exec_lo
	s_delay_alu instid0(SALU_CYCLE_1)
	s_or_b32 s36, s0, s36
.LBB975_97:                             ;   in Loop: Header=BB975_98 Depth=1
	v_dual_mov_b32 v42, s7 :: v_dual_mov_b32 v41, s6
	s_and_b32 s0, exec_lo, s36
	s_delay_alu instid0(SALU_CYCLE_1) | instskip(NEXT) | instid1(SALU_CYCLE_1)
	s_or_b32 s27, s0, s27
	s_and_not1_b32 exec_lo, exec_lo, s27
	s_cbranch_execz .LBB975_100
.LBB975_98:                             ; =>This Inner Loop Header: Depth=1
	s_or_b32 s36, s36, exec_lo
	s_cmp_eq_u64 s[4:5], s[6:7]
	s_cbranch_scc0 .LBB975_96
; %bb.99:                               ;   in Loop: Header=BB975_98 Depth=1
	s_mov_b64 s[6:7], s[14:15]
                                        ; implicit-def: $vgpr35_vgpr36
                                        ; implicit-def: $vgpr39_vgpr40
	s_branch .LBB975_97
.LBB975_100:
	s_set_inst_prefetch_distance 0x2
	s_or_b32 exec_lo, exec_lo, s27
	v_cmp_gt_i64_e32 vcc_lo, s[14:15], v[41:42]
	s_or_not1_b32 s27, vcc_lo, exec_lo
.LBB975_101:
	s_or_b32 exec_lo, exec_lo, s35
.LBB975_102:
	v_mul_lo_u32 v39, v30, s14
	v_mul_lo_u32 v40, v29, s15
	v_mad_u64_u32 v[35:36], null, v29, s14, 0
	s_and_not1_b32 vcc_lo, exec_lo, s13
	s_mov_b32 s0, 0
	s_delay_alu instid0(VALU_DEP_1) | instskip(NEXT) | instid1(VALU_DEP_1)
	v_add3_u32 v36, v36, v40, v39
	v_lshlrev_b64 v[35:36], 2, v[35:36]
	s_cbranch_vccnz .LBB975_111
; %bb.103:
	s_delay_alu instid0(VALU_DEP_1) | instskip(NEXT) | instid1(VALU_DEP_2)
	v_add_co_u32 v39, vcc_lo, s20, v35
	v_add_co_ci_u32_e32 v40, vcc_lo, s21, v36, vcc_lo
	v_add_co_u32 v37, vcc_lo, s20, v37
	v_add_co_ci_u32_e32 v38, vcc_lo, s21, v38, vcc_lo
	s_mov_b32 s0, -1
	s_clause 0x1
	global_load_b32 v41, v[39:40], off
	global_load_b32 v42, v[37:38], off
	s_mov_b32 s35, exec_lo
	s_waitcnt vmcnt(0)
	v_cmpx_eq_f32_e32 v41, v42
	s_cbranch_execz .LBB975_110
; %bb.104:
	v_add_co_u32 v37, vcc_lo, v37, 4
	v_add_co_ci_u32_e32 v38, vcc_lo, 0, v38, vcc_lo
	v_add_co_u32 v39, vcc_lo, v39, 4
	v_add_co_ci_u32_e32 v40, vcc_lo, 0, v40, vcc_lo
	s_add_u32 s4, s14, -1
	s_addc_u32 s5, s15, -1
	s_mov_b64 s[6:7], 0
	s_mov_b32 s36, 0
                                        ; implicit-def: $sgpr37
	s_set_inst_prefetch_distance 0x1
	s_branch .LBB975_107
	.p2align	6
.LBB975_105:                            ;   in Loop: Header=BB975_107 Depth=1
	global_load_b32 v41, v[39:40], off
	global_load_b32 v42, v[37:38], off
	v_add_co_u32 v37, vcc_lo, v37, 4
	v_add_co_ci_u32_e32 v38, vcc_lo, 0, v38, vcc_lo
	v_add_co_u32 v39, s0, v39, 4
	s_delay_alu instid0(VALU_DEP_1)
	v_add_co_ci_u32_e64 v40, s0, 0, v40, s0
	s_add_u32 s6, s6, 1
	s_addc_u32 s7, s7, 0
	s_and_not1_b32 s0, s37, exec_lo
	s_waitcnt vmcnt(0)
	v_cmp_neq_f32_e32 vcc_lo, v41, v42
	s_and_b32 s37, vcc_lo, exec_lo
	s_delay_alu instid0(SALU_CYCLE_1)
	s_or_b32 s37, s0, s37
.LBB975_106:                            ;   in Loop: Header=BB975_107 Depth=1
	v_dual_mov_b32 v42, s7 :: v_dual_mov_b32 v41, s6
	s_and_b32 s0, exec_lo, s37
	s_delay_alu instid0(SALU_CYCLE_1) | instskip(NEXT) | instid1(SALU_CYCLE_1)
	s_or_b32 s36, s0, s36
	s_and_not1_b32 exec_lo, exec_lo, s36
	s_cbranch_execz .LBB975_109
.LBB975_107:                            ; =>This Inner Loop Header: Depth=1
	s_or_b32 s37, s37, exec_lo
	s_cmp_eq_u64 s[4:5], s[6:7]
	s_cbranch_scc0 .LBB975_105
; %bb.108:                              ;   in Loop: Header=BB975_107 Depth=1
	s_mov_b64 s[6:7], s[14:15]
                                        ; implicit-def: $vgpr37_vgpr38
                                        ; implicit-def: $vgpr39_vgpr40
	s_branch .LBB975_106
.LBB975_109:
	s_set_inst_prefetch_distance 0x2
	s_or_b32 exec_lo, exec_lo, s36
	v_cmp_gt_i64_e32 vcc_lo, s[14:15], v[41:42]
	s_or_not1_b32 s0, vcc_lo, exec_lo
.LBB975_110:
	s_or_b32 exec_lo, exec_lo, s35
.LBB975_111:
	s_waitcnt vmcnt(0)
	v_dual_mov_b32 v38, v34 :: v_dual_mov_b32 v37, v33
	s_waitcnt lgkmcnt(0)
	s_barrier
	buffer_gl0_inv
	s_and_saveexec_b32 s4, s3
	s_cbranch_execz .LBB975_113
; %bb.112:
	v_add_nc_u32_e32 v37, -8, v55
	ds_load_b64 v[37:38], v37
.LBB975_113:
	s_or_b32 exec_lo, exec_lo, s4
	v_cndmask_b32_e64 v40, 0, 1, s34
	v_cndmask_b32_e64 v42, 0, 1, s26
	;; [unrolled: 1-line block ×7, first 2 shown]
	v_lshlrev_b16 v40, 8, v40
	v_lshlrev_b16 v42, 8, v42
	;; [unrolled: 1-line block ×4, first 2 shown]
	s_mov_b32 s1, 0
	v_or_b32_e32 v39, v39, v40
	v_or_b32_e32 v40, v41, v42
	;; [unrolled: 1-line block ×3, first 2 shown]
	v_and_b32_e32 v41, 0xffff, v45
	s_and_not1_b32 vcc_lo, exec_lo, s13
	v_lshlrev_b32_e32 v42, 16, v39
	v_and_b32_e32 v44, 0xffff, v40
	v_lshlrev_b32_e32 v45, 16, v46
	s_mov_b32 s0, 0
	s_cbranch_vccnz .LBB975_122
; %bb.114:
	s_waitcnt lgkmcnt(0)
	v_mul_lo_u32 v40, v38, s14
	v_mul_lo_u32 v46, v37, s15
	v_mad_u64_u32 v[38:39], null, v37, s14, 0
	s_mov_b32 s0, -1
	s_mov_b32 s24, exec_lo
	s_delay_alu instid0(VALU_DEP_1) | instskip(NEXT) | instid1(VALU_DEP_1)
	v_add3_u32 v39, v39, v46, v40
	v_lshlrev_b64 v[37:38], 2, v[38:39]
	s_delay_alu instid0(VALU_DEP_1) | instskip(NEXT) | instid1(VALU_DEP_2)
	v_add_co_u32 v37, vcc_lo, s20, v37
	v_add_co_ci_u32_e32 v38, vcc_lo, s21, v38, vcc_lo
	v_add_co_u32 v35, vcc_lo, s20, v35
	v_add_co_ci_u32_e32 v36, vcc_lo, s21, v36, vcc_lo
	s_clause 0x1
	global_load_b32 v39, v[37:38], off
	global_load_b32 v40, v[35:36], off
	s_waitcnt vmcnt(0)
	v_cmpx_eq_f32_e32 v39, v40
	s_cbranch_execz .LBB975_121
; %bb.115:
	v_add_co_u32 v35, vcc_lo, v35, 4
	v_add_co_ci_u32_e32 v36, vcc_lo, 0, v36, vcc_lo
	v_add_co_u32 v37, vcc_lo, v37, 4
	v_add_co_ci_u32_e32 v38, vcc_lo, 0, v38, vcc_lo
	s_add_u32 s4, s14, -1
	s_addc_u32 s5, s15, -1
	s_mov_b64 s[6:7], 0
	s_mov_b32 s25, 0
                                        ; implicit-def: $sgpr26
	s_set_inst_prefetch_distance 0x1
	s_branch .LBB975_118
	.p2align	6
.LBB975_116:                            ;   in Loop: Header=BB975_118 Depth=1
	global_load_b32 v39, v[37:38], off
	global_load_b32 v40, v[35:36], off
	v_add_co_u32 v35, vcc_lo, v35, 4
	v_add_co_ci_u32_e32 v36, vcc_lo, 0, v36, vcc_lo
	v_add_co_u32 v37, s0, v37, 4
	s_delay_alu instid0(VALU_DEP_1)
	v_add_co_ci_u32_e64 v38, s0, 0, v38, s0
	s_add_u32 s6, s6, 1
	s_addc_u32 s7, s7, 0
	s_and_not1_b32 s0, s26, exec_lo
	s_waitcnt vmcnt(0)
	v_cmp_neq_f32_e32 vcc_lo, v39, v40
	s_and_b32 s26, vcc_lo, exec_lo
	s_delay_alu instid0(SALU_CYCLE_1)
	s_or_b32 s26, s0, s26
.LBB975_117:                            ;   in Loop: Header=BB975_118 Depth=1
	v_dual_mov_b32 v40, s7 :: v_dual_mov_b32 v39, s6
	s_and_b32 s0, exec_lo, s26
	s_delay_alu instid0(SALU_CYCLE_1) | instskip(NEXT) | instid1(SALU_CYCLE_1)
	s_or_b32 s25, s0, s25
	s_and_not1_b32 exec_lo, exec_lo, s25
	s_cbranch_execz .LBB975_120
.LBB975_118:                            ; =>This Inner Loop Header: Depth=1
	s_or_b32 s26, s26, exec_lo
	s_cmp_eq_u64 s[4:5], s[6:7]
	s_cbranch_scc0 .LBB975_116
; %bb.119:                              ;   in Loop: Header=BB975_118 Depth=1
	s_mov_b64 s[6:7], s[14:15]
                                        ; implicit-def: $vgpr35_vgpr36
                                        ; implicit-def: $vgpr37_vgpr38
	s_branch .LBB975_117
.LBB975_120:
	s_set_inst_prefetch_distance 0x2
	s_or_b32 exec_lo, exec_lo, s25
	v_cmp_gt_i64_e32 vcc_lo, s[14:15], v[39:40]
	s_or_not1_b32 s0, vcc_lo, exec_lo
.LBB975_121:
	s_or_b32 exec_lo, exec_lo, s24
.LBB975_122:
	v_or_b32_e32 v35, v41, v42
	s_delay_alu instid0(VALU_DEP_2)
	v_or_b32_e32 v36, v44, v45
	s_and_b32 vcc_lo, exec_lo, s1
	s_cbranch_vccz .LBB975_214
.LBB975_123:
	v_or_b32_e32 v35, 7, v55
	s_mov_b32 s1, 0
	s_mov_b32 s24, 0
	s_mov_b32 s25, exec_lo
	s_delay_alu instid0(VALU_DEP_1)
	v_cmpx_gt_u32_e64 s31, v35
	s_cbranch_execz .LBB975_134
; %bb.124:
	s_and_not1_b32 vcc_lo, exec_lo, s13
	s_mov_b32 s0, 0
	s_cbranch_vccnz .LBB975_133
; %bb.125:
	v_mul_lo_u32 v39, v18, s14
	v_mul_lo_u32 v40, v17, s15
	v_mad_u64_u32 v[35:36], null, v17, s14, 0
	v_mul_lo_u32 v41, v20, s14
	v_mul_lo_u32 v42, v19, s15
	s_waitcnt lgkmcnt(0)
	v_mad_u64_u32 v[37:38], null, v19, s14, 0
	s_mov_b32 s0, -1
	s_mov_b32 s13, exec_lo
	s_delay_alu instid0(VALU_DEP_4) | instskip(NEXT) | instid1(VALU_DEP_2)
	v_add3_u32 v36, v36, v40, v39
	v_add3_u32 v38, v38, v42, v41
	s_delay_alu instid0(VALU_DEP_2) | instskip(NEXT) | instid1(VALU_DEP_2)
	v_lshlrev_b64 v[35:36], 2, v[35:36]
	v_lshlrev_b64 v[39:40], 2, v[37:38]
	s_delay_alu instid0(VALU_DEP_2) | instskip(NEXT) | instid1(VALU_DEP_3)
	v_add_co_u32 v37, vcc_lo, s20, v35
	v_add_co_ci_u32_e32 v38, vcc_lo, s21, v36, vcc_lo
	s_delay_alu instid0(VALU_DEP_3) | instskip(NEXT) | instid1(VALU_DEP_4)
	v_add_co_u32 v35, vcc_lo, s20, v39
	v_add_co_ci_u32_e32 v36, vcc_lo, s21, v40, vcc_lo
	s_clause 0x1
	global_load_b32 v39, v[37:38], off
	global_load_b32 v40, v[35:36], off
	s_waitcnt vmcnt(0)
	v_cmpx_eq_f32_e32 v39, v40
	s_cbranch_execz .LBB975_132
; %bb.126:
	v_add_co_u32 v35, vcc_lo, v35, 4
	v_add_co_ci_u32_e32 v36, vcc_lo, 0, v36, vcc_lo
	v_add_co_u32 v37, vcc_lo, v37, 4
	v_add_co_ci_u32_e32 v38, vcc_lo, 0, v38, vcc_lo
	s_add_u32 s4, s14, -1
	s_addc_u32 s5, s15, -1
	s_mov_b64 s[6:7], 0
                                        ; implicit-def: $sgpr26
	s_set_inst_prefetch_distance 0x1
	s_branch .LBB975_129
	.p2align	6
.LBB975_127:                            ;   in Loop: Header=BB975_129 Depth=1
	global_load_b32 v39, v[37:38], off
	global_load_b32 v40, v[35:36], off
	v_add_co_u32 v35, vcc_lo, v35, 4
	v_add_co_ci_u32_e32 v36, vcc_lo, 0, v36, vcc_lo
	v_add_co_u32 v37, s0, v37, 4
	s_delay_alu instid0(VALU_DEP_1)
	v_add_co_ci_u32_e64 v38, s0, 0, v38, s0
	s_add_u32 s6, s6, 1
	s_addc_u32 s7, s7, 0
	s_and_not1_b32 s0, s26, exec_lo
	s_waitcnt vmcnt(0)
	v_cmp_neq_f32_e32 vcc_lo, v39, v40
	s_and_b32 s26, vcc_lo, exec_lo
	s_delay_alu instid0(SALU_CYCLE_1)
	s_or_b32 s26, s0, s26
.LBB975_128:                            ;   in Loop: Header=BB975_129 Depth=1
	v_dual_mov_b32 v40, s7 :: v_dual_mov_b32 v39, s6
	s_and_b32 s0, exec_lo, s26
	s_delay_alu instid0(SALU_CYCLE_1) | instskip(NEXT) | instid1(SALU_CYCLE_1)
	s_or_b32 s24, s0, s24
	s_and_not1_b32 exec_lo, exec_lo, s24
	s_cbranch_execz .LBB975_131
.LBB975_129:                            ; =>This Inner Loop Header: Depth=1
	s_or_b32 s26, s26, exec_lo
	s_cmp_eq_u64 s[4:5], s[6:7]
	s_cbranch_scc0 .LBB975_127
; %bb.130:                              ;   in Loop: Header=BB975_129 Depth=1
	s_mov_b64 s[6:7], s[14:15]
                                        ; implicit-def: $vgpr35_vgpr36
                                        ; implicit-def: $vgpr37_vgpr38
	s_branch .LBB975_128
.LBB975_131:
	s_set_inst_prefetch_distance 0x2
	s_or_b32 exec_lo, exec_lo, s24
	v_cmp_gt_i64_e32 vcc_lo, s[14:15], v[39:40]
	s_or_not1_b32 s0, vcc_lo, exec_lo
.LBB975_132:
	s_or_b32 exec_lo, exec_lo, s13
.LBB975_133:
	s_delay_alu instid0(SALU_CYCLE_1)
	s_and_b32 s24, s0, exec_lo
.LBB975_134:
	s_or_b32 exec_lo, exec_lo, s25
	v_or_b32_e32 v35, 6, v55
	s_mov_b32 s13, exec_lo
	s_delay_alu instid0(VALU_DEP_1)
	v_cmpx_gt_u32_e64 s31, v35
	s_cbranch_execz .LBB975_145
; %bb.135:
	v_cmp_ne_u32_e32 vcc_lo, 1, v43
	s_mov_b32 s0, 0
	s_cbranch_vccnz .LBB975_144
; %bb.136:
	v_mul_lo_u32 v39, v24, s14
	v_mul_lo_u32 v40, v23, s15
	v_mad_u64_u32 v[35:36], null, v23, s14, 0
	v_mul_lo_u32 v41, v18, s14
	v_mul_lo_u32 v42, v17, s15
	s_waitcnt lgkmcnt(0)
	v_mad_u64_u32 v[37:38], null, v17, s14, 0
	s_mov_b32 s0, -1
	s_mov_b32 s1, exec_lo
	s_delay_alu instid0(VALU_DEP_4) | instskip(NEXT) | instid1(VALU_DEP_2)
	v_add3_u32 v36, v36, v40, v39
	v_add3_u32 v38, v38, v42, v41
	s_delay_alu instid0(VALU_DEP_2) | instskip(NEXT) | instid1(VALU_DEP_2)
	v_lshlrev_b64 v[35:36], 2, v[35:36]
	v_lshlrev_b64 v[39:40], 2, v[37:38]
	s_delay_alu instid0(VALU_DEP_2) | instskip(NEXT) | instid1(VALU_DEP_3)
	v_add_co_u32 v37, vcc_lo, s20, v35
	v_add_co_ci_u32_e32 v38, vcc_lo, s21, v36, vcc_lo
	s_delay_alu instid0(VALU_DEP_3) | instskip(NEXT) | instid1(VALU_DEP_4)
	v_add_co_u32 v35, vcc_lo, s20, v39
	v_add_co_ci_u32_e32 v36, vcc_lo, s21, v40, vcc_lo
	s_clause 0x1
	global_load_b32 v39, v[37:38], off
	global_load_b32 v40, v[35:36], off
	s_waitcnt vmcnt(0)
	v_cmpx_eq_f32_e32 v39, v40
	s_cbranch_execz .LBB975_143
; %bb.137:
	v_add_co_u32 v35, vcc_lo, v35, 4
	v_add_co_ci_u32_e32 v36, vcc_lo, 0, v36, vcc_lo
	v_add_co_u32 v37, vcc_lo, v37, 4
	v_add_co_ci_u32_e32 v38, vcc_lo, 0, v38, vcc_lo
	s_add_u32 s4, s14, -1
	s_addc_u32 s5, s15, -1
	s_mov_b64 s[6:7], 0
	s_mov_b32 s25, 0
                                        ; implicit-def: $sgpr26
	s_set_inst_prefetch_distance 0x1
	s_branch .LBB975_140
	.p2align	6
.LBB975_138:                            ;   in Loop: Header=BB975_140 Depth=1
	global_load_b32 v39, v[37:38], off
	global_load_b32 v40, v[35:36], off
	v_add_co_u32 v35, vcc_lo, v35, 4
	v_add_co_ci_u32_e32 v36, vcc_lo, 0, v36, vcc_lo
	v_add_co_u32 v37, s0, v37, 4
	s_delay_alu instid0(VALU_DEP_1)
	v_add_co_ci_u32_e64 v38, s0, 0, v38, s0
	s_add_u32 s6, s6, 1
	s_addc_u32 s7, s7, 0
	s_and_not1_b32 s0, s26, exec_lo
	s_waitcnt vmcnt(0)
	v_cmp_neq_f32_e32 vcc_lo, v39, v40
	s_and_b32 s26, vcc_lo, exec_lo
	s_delay_alu instid0(SALU_CYCLE_1)
	s_or_b32 s26, s0, s26
.LBB975_139:                            ;   in Loop: Header=BB975_140 Depth=1
	v_dual_mov_b32 v40, s7 :: v_dual_mov_b32 v39, s6
	s_and_b32 s0, exec_lo, s26
	s_delay_alu instid0(SALU_CYCLE_1) | instskip(NEXT) | instid1(SALU_CYCLE_1)
	s_or_b32 s25, s0, s25
	s_and_not1_b32 exec_lo, exec_lo, s25
	s_cbranch_execz .LBB975_142
.LBB975_140:                            ; =>This Inner Loop Header: Depth=1
	s_or_b32 s26, s26, exec_lo
	s_cmp_eq_u64 s[4:5], s[6:7]
	s_cbranch_scc0 .LBB975_138
; %bb.141:                              ;   in Loop: Header=BB975_140 Depth=1
	s_mov_b64 s[6:7], s[14:15]
                                        ; implicit-def: $vgpr35_vgpr36
                                        ; implicit-def: $vgpr37_vgpr38
	s_branch .LBB975_139
.LBB975_142:
	s_set_inst_prefetch_distance 0x2
	s_or_b32 exec_lo, exec_lo, s25
	v_cmp_gt_i64_e32 vcc_lo, s[14:15], v[39:40]
	s_or_not1_b32 s0, vcc_lo, exec_lo
.LBB975_143:
	s_or_b32 exec_lo, exec_lo, s1
.LBB975_144:
	s_delay_alu instid0(SALU_CYCLE_1)
	s_and_b32 s1, s0, exec_lo
.LBB975_145:
	s_or_b32 exec_lo, exec_lo, s13
	v_or_b32_e32 v35, 5, v55
	s_mov_b32 s25, 0
	s_mov_b32 s13, 0
	s_mov_b32 s26, exec_lo
	s_delay_alu instid0(VALU_DEP_1)
	v_cmpx_gt_u32_e64 s31, v35
	s_cbranch_execz .LBB975_156
; %bb.146:
	v_cmp_ne_u32_e32 vcc_lo, 1, v43
	s_mov_b32 s0, 0
	s_cbranch_vccnz .LBB975_155
; %bb.147:
	v_mul_lo_u32 v39, v22, s14
	v_mul_lo_u32 v40, v21, s15
	v_mad_u64_u32 v[35:36], null, v21, s14, 0
	v_mul_lo_u32 v41, v24, s14
	v_mul_lo_u32 v42, v23, s15
	s_waitcnt lgkmcnt(0)
	v_mad_u64_u32 v[37:38], null, v23, s14, 0
	s_mov_b32 s0, -1
	s_mov_b32 s13, exec_lo
	s_delay_alu instid0(VALU_DEP_4) | instskip(NEXT) | instid1(VALU_DEP_2)
	v_add3_u32 v36, v36, v40, v39
	v_add3_u32 v38, v38, v42, v41
	s_delay_alu instid0(VALU_DEP_2) | instskip(NEXT) | instid1(VALU_DEP_2)
	v_lshlrev_b64 v[35:36], 2, v[35:36]
	v_lshlrev_b64 v[39:40], 2, v[37:38]
	s_delay_alu instid0(VALU_DEP_2) | instskip(NEXT) | instid1(VALU_DEP_3)
	v_add_co_u32 v37, vcc_lo, s20, v35
	v_add_co_ci_u32_e32 v38, vcc_lo, s21, v36, vcc_lo
	s_delay_alu instid0(VALU_DEP_3) | instskip(NEXT) | instid1(VALU_DEP_4)
	v_add_co_u32 v35, vcc_lo, s20, v39
	v_add_co_ci_u32_e32 v36, vcc_lo, s21, v40, vcc_lo
	s_clause 0x1
	global_load_b32 v39, v[37:38], off
	global_load_b32 v40, v[35:36], off
	s_waitcnt vmcnt(0)
	v_cmpx_eq_f32_e32 v39, v40
	s_cbranch_execz .LBB975_154
; %bb.148:
	v_add_co_u32 v35, vcc_lo, v35, 4
	v_add_co_ci_u32_e32 v36, vcc_lo, 0, v36, vcc_lo
	v_add_co_u32 v37, vcc_lo, v37, 4
	v_add_co_ci_u32_e32 v38, vcc_lo, 0, v38, vcc_lo
	s_add_u32 s4, s14, -1
	s_addc_u32 s5, s15, -1
	s_mov_b64 s[6:7], 0
	s_mov_b32 s27, 0
                                        ; implicit-def: $sgpr34
	s_set_inst_prefetch_distance 0x1
	s_branch .LBB975_151
	.p2align	6
.LBB975_149:                            ;   in Loop: Header=BB975_151 Depth=1
	global_load_b32 v39, v[37:38], off
	global_load_b32 v40, v[35:36], off
	v_add_co_u32 v35, vcc_lo, v35, 4
	v_add_co_ci_u32_e32 v36, vcc_lo, 0, v36, vcc_lo
	v_add_co_u32 v37, s0, v37, 4
	s_delay_alu instid0(VALU_DEP_1)
	v_add_co_ci_u32_e64 v38, s0, 0, v38, s0
	s_add_u32 s6, s6, 1
	s_addc_u32 s7, s7, 0
	s_and_not1_b32 s0, s34, exec_lo
	s_waitcnt vmcnt(0)
	v_cmp_neq_f32_e32 vcc_lo, v39, v40
	s_and_b32 s34, vcc_lo, exec_lo
	s_delay_alu instid0(SALU_CYCLE_1)
	s_or_b32 s34, s0, s34
.LBB975_150:                            ;   in Loop: Header=BB975_151 Depth=1
	v_dual_mov_b32 v40, s7 :: v_dual_mov_b32 v39, s6
	s_and_b32 s0, exec_lo, s34
	s_delay_alu instid0(SALU_CYCLE_1) | instskip(NEXT) | instid1(SALU_CYCLE_1)
	s_or_b32 s27, s0, s27
	s_and_not1_b32 exec_lo, exec_lo, s27
	s_cbranch_execz .LBB975_153
.LBB975_151:                            ; =>This Inner Loop Header: Depth=1
	s_or_b32 s34, s34, exec_lo
	s_cmp_eq_u64 s[4:5], s[6:7]
	s_cbranch_scc0 .LBB975_149
; %bb.152:                              ;   in Loop: Header=BB975_151 Depth=1
	s_mov_b64 s[6:7], s[14:15]
                                        ; implicit-def: $vgpr35_vgpr36
                                        ; implicit-def: $vgpr37_vgpr38
	s_branch .LBB975_150
.LBB975_153:
	s_set_inst_prefetch_distance 0x2
	s_or_b32 exec_lo, exec_lo, s27
	v_cmp_gt_i64_e32 vcc_lo, s[14:15], v[39:40]
	s_or_not1_b32 s0, vcc_lo, exec_lo
.LBB975_154:
	s_or_b32 exec_lo, exec_lo, s13
.LBB975_155:
	s_delay_alu instid0(SALU_CYCLE_1)
	s_and_b32 s13, s0, exec_lo
.LBB975_156:
	s_or_b32 exec_lo, exec_lo, s26
	v_or_b32_e32 v35, 4, v55
	s_mov_b32 s26, exec_lo
	s_delay_alu instid0(VALU_DEP_1)
	v_cmpx_gt_u32_e64 s31, v35
	s_cbranch_execz .LBB975_167
; %bb.157:
	v_cmp_ne_u32_e32 vcc_lo, 1, v43
	s_mov_b32 s0, 0
	s_cbranch_vccnz .LBB975_166
; %bb.158:
	v_mul_lo_u32 v39, v28, s14
	v_mul_lo_u32 v40, v27, s15
	v_mad_u64_u32 v[35:36], null, v27, s14, 0
	v_mul_lo_u32 v41, v22, s14
	v_mul_lo_u32 v42, v21, s15
	s_waitcnt lgkmcnt(0)
	v_mad_u64_u32 v[37:38], null, v21, s14, 0
	s_mov_b32 s0, -1
	s_mov_b32 s25, exec_lo
	s_delay_alu instid0(VALU_DEP_4) | instskip(NEXT) | instid1(VALU_DEP_2)
	v_add3_u32 v36, v36, v40, v39
	v_add3_u32 v38, v38, v42, v41
	s_delay_alu instid0(VALU_DEP_2) | instskip(NEXT) | instid1(VALU_DEP_2)
	v_lshlrev_b64 v[35:36], 2, v[35:36]
	v_lshlrev_b64 v[39:40], 2, v[37:38]
	s_delay_alu instid0(VALU_DEP_2) | instskip(NEXT) | instid1(VALU_DEP_3)
	v_add_co_u32 v37, vcc_lo, s20, v35
	v_add_co_ci_u32_e32 v38, vcc_lo, s21, v36, vcc_lo
	s_delay_alu instid0(VALU_DEP_3) | instskip(NEXT) | instid1(VALU_DEP_4)
	v_add_co_u32 v35, vcc_lo, s20, v39
	v_add_co_ci_u32_e32 v36, vcc_lo, s21, v40, vcc_lo
	s_clause 0x1
	global_load_b32 v39, v[37:38], off
	global_load_b32 v40, v[35:36], off
	s_waitcnt vmcnt(0)
	v_cmpx_eq_f32_e32 v39, v40
	s_cbranch_execz .LBB975_165
; %bb.159:
	v_add_co_u32 v35, vcc_lo, v35, 4
	v_add_co_ci_u32_e32 v36, vcc_lo, 0, v36, vcc_lo
	v_add_co_u32 v37, vcc_lo, v37, 4
	v_add_co_ci_u32_e32 v38, vcc_lo, 0, v38, vcc_lo
	s_add_u32 s4, s14, -1
	s_addc_u32 s5, s15, -1
	s_mov_b64 s[6:7], 0
	s_mov_b32 s27, 0
                                        ; implicit-def: $sgpr34
	s_set_inst_prefetch_distance 0x1
	s_branch .LBB975_162
	.p2align	6
.LBB975_160:                            ;   in Loop: Header=BB975_162 Depth=1
	global_load_b32 v39, v[37:38], off
	global_load_b32 v40, v[35:36], off
	v_add_co_u32 v35, vcc_lo, v35, 4
	v_add_co_ci_u32_e32 v36, vcc_lo, 0, v36, vcc_lo
	v_add_co_u32 v37, s0, v37, 4
	s_delay_alu instid0(VALU_DEP_1)
	v_add_co_ci_u32_e64 v38, s0, 0, v38, s0
	s_add_u32 s6, s6, 1
	s_addc_u32 s7, s7, 0
	s_and_not1_b32 s0, s34, exec_lo
	s_waitcnt vmcnt(0)
	v_cmp_neq_f32_e32 vcc_lo, v39, v40
	s_and_b32 s34, vcc_lo, exec_lo
	s_delay_alu instid0(SALU_CYCLE_1)
	s_or_b32 s34, s0, s34
.LBB975_161:                            ;   in Loop: Header=BB975_162 Depth=1
	v_dual_mov_b32 v40, s7 :: v_dual_mov_b32 v39, s6
	s_and_b32 s0, exec_lo, s34
	s_delay_alu instid0(SALU_CYCLE_1) | instskip(NEXT) | instid1(SALU_CYCLE_1)
	s_or_b32 s27, s0, s27
	s_and_not1_b32 exec_lo, exec_lo, s27
	s_cbranch_execz .LBB975_164
.LBB975_162:                            ; =>This Inner Loop Header: Depth=1
	s_or_b32 s34, s34, exec_lo
	s_cmp_eq_u64 s[4:5], s[6:7]
	s_cbranch_scc0 .LBB975_160
; %bb.163:                              ;   in Loop: Header=BB975_162 Depth=1
	s_mov_b64 s[6:7], s[14:15]
                                        ; implicit-def: $vgpr35_vgpr36
                                        ; implicit-def: $vgpr37_vgpr38
	s_branch .LBB975_161
.LBB975_164:
	s_set_inst_prefetch_distance 0x2
	s_or_b32 exec_lo, exec_lo, s27
	v_cmp_gt_i64_e32 vcc_lo, s[14:15], v[39:40]
	s_or_not1_b32 s0, vcc_lo, exec_lo
.LBB975_165:
	s_or_b32 exec_lo, exec_lo, s25
.LBB975_166:
	s_delay_alu instid0(SALU_CYCLE_1)
	s_and_b32 s25, s0, exec_lo
.LBB975_167:
	s_or_b32 exec_lo, exec_lo, s26
	v_or_b32_e32 v35, 3, v55
	s_mov_b32 s27, 0
	s_mov_b32 s26, 0
	s_mov_b32 s34, exec_lo
	s_delay_alu instid0(VALU_DEP_1)
	v_cmpx_gt_u32_e64 s31, v35
	s_cbranch_execz .LBB975_178
; %bb.168:
	v_cmp_ne_u32_e32 vcc_lo, 1, v43
	s_mov_b32 s0, 0
	s_cbranch_vccnz .LBB975_177
; %bb.169:
	v_mul_lo_u32 v39, v26, s14
	v_mul_lo_u32 v40, v25, s15
	v_mad_u64_u32 v[35:36], null, v25, s14, 0
	v_mul_lo_u32 v41, v28, s14
	v_mul_lo_u32 v42, v27, s15
	s_waitcnt lgkmcnt(0)
	v_mad_u64_u32 v[37:38], null, v27, s14, 0
	s_mov_b32 s0, -1
	s_mov_b32 s26, exec_lo
	s_delay_alu instid0(VALU_DEP_4) | instskip(NEXT) | instid1(VALU_DEP_2)
	v_add3_u32 v36, v36, v40, v39
	v_add3_u32 v38, v38, v42, v41
	s_delay_alu instid0(VALU_DEP_2) | instskip(NEXT) | instid1(VALU_DEP_2)
	v_lshlrev_b64 v[35:36], 2, v[35:36]
	v_lshlrev_b64 v[39:40], 2, v[37:38]
	s_delay_alu instid0(VALU_DEP_2) | instskip(NEXT) | instid1(VALU_DEP_3)
	v_add_co_u32 v37, vcc_lo, s20, v35
	v_add_co_ci_u32_e32 v38, vcc_lo, s21, v36, vcc_lo
	s_delay_alu instid0(VALU_DEP_3) | instskip(NEXT) | instid1(VALU_DEP_4)
	v_add_co_u32 v35, vcc_lo, s20, v39
	v_add_co_ci_u32_e32 v36, vcc_lo, s21, v40, vcc_lo
	s_clause 0x1
	global_load_b32 v39, v[37:38], off
	global_load_b32 v40, v[35:36], off
	s_waitcnt vmcnt(0)
	v_cmpx_eq_f32_e32 v39, v40
	s_cbranch_execz .LBB975_176
; %bb.170:
	v_add_co_u32 v35, vcc_lo, v35, 4
	v_add_co_ci_u32_e32 v36, vcc_lo, 0, v36, vcc_lo
	v_add_co_u32 v37, vcc_lo, v37, 4
	v_add_co_ci_u32_e32 v38, vcc_lo, 0, v38, vcc_lo
	s_add_u32 s4, s14, -1
	s_addc_u32 s5, s15, -1
	s_mov_b64 s[6:7], 0
	s_mov_b32 s35, 0
                                        ; implicit-def: $sgpr36
	s_set_inst_prefetch_distance 0x1
	s_branch .LBB975_173
	.p2align	6
.LBB975_171:                            ;   in Loop: Header=BB975_173 Depth=1
	global_load_b32 v39, v[37:38], off
	global_load_b32 v40, v[35:36], off
	v_add_co_u32 v35, vcc_lo, v35, 4
	v_add_co_ci_u32_e32 v36, vcc_lo, 0, v36, vcc_lo
	v_add_co_u32 v37, s0, v37, 4
	s_delay_alu instid0(VALU_DEP_1)
	v_add_co_ci_u32_e64 v38, s0, 0, v38, s0
	s_add_u32 s6, s6, 1
	s_addc_u32 s7, s7, 0
	s_and_not1_b32 s0, s36, exec_lo
	s_waitcnt vmcnt(0)
	v_cmp_neq_f32_e32 vcc_lo, v39, v40
	s_and_b32 s36, vcc_lo, exec_lo
	s_delay_alu instid0(SALU_CYCLE_1)
	s_or_b32 s36, s0, s36
.LBB975_172:                            ;   in Loop: Header=BB975_173 Depth=1
	v_dual_mov_b32 v40, s7 :: v_dual_mov_b32 v39, s6
	s_and_b32 s0, exec_lo, s36
	s_delay_alu instid0(SALU_CYCLE_1) | instskip(NEXT) | instid1(SALU_CYCLE_1)
	s_or_b32 s35, s0, s35
	s_and_not1_b32 exec_lo, exec_lo, s35
	s_cbranch_execz .LBB975_175
.LBB975_173:                            ; =>This Inner Loop Header: Depth=1
	s_or_b32 s36, s36, exec_lo
	s_cmp_eq_u64 s[4:5], s[6:7]
	s_cbranch_scc0 .LBB975_171
; %bb.174:                              ;   in Loop: Header=BB975_173 Depth=1
	s_mov_b64 s[6:7], s[14:15]
                                        ; implicit-def: $vgpr35_vgpr36
                                        ; implicit-def: $vgpr37_vgpr38
	s_branch .LBB975_172
.LBB975_175:
	s_set_inst_prefetch_distance 0x2
	s_or_b32 exec_lo, exec_lo, s35
	v_cmp_gt_i64_e32 vcc_lo, s[14:15], v[39:40]
	s_or_not1_b32 s0, vcc_lo, exec_lo
.LBB975_176:
	s_or_b32 exec_lo, exec_lo, s26
.LBB975_177:
	s_delay_alu instid0(SALU_CYCLE_1)
	s_and_b32 s26, s0, exec_lo
.LBB975_178:
	s_or_b32 exec_lo, exec_lo, s34
	v_or_b32_e32 v35, 2, v55
	s_mov_b32 s34, exec_lo
	s_delay_alu instid0(VALU_DEP_1)
	v_cmpx_gt_u32_e64 s31, v35
	s_cbranch_execz .LBB975_189
; %bb.179:
	v_cmp_ne_u32_e32 vcc_lo, 1, v43
	s_mov_b32 s0, 0
	s_cbranch_vccnz .LBB975_188
; %bb.180:
	v_mul_lo_u32 v39, v32, s14
	v_mul_lo_u32 v40, v31, s15
	v_mad_u64_u32 v[35:36], null, v31, s14, 0
	v_mul_lo_u32 v41, v26, s14
	v_mul_lo_u32 v42, v25, s15
	s_waitcnt lgkmcnt(0)
	v_mad_u64_u32 v[37:38], null, v25, s14, 0
	s_mov_b32 s0, -1
	s_mov_b32 s27, exec_lo
	s_delay_alu instid0(VALU_DEP_4) | instskip(NEXT) | instid1(VALU_DEP_2)
	v_add3_u32 v36, v36, v40, v39
	v_add3_u32 v38, v38, v42, v41
	s_delay_alu instid0(VALU_DEP_2) | instskip(NEXT) | instid1(VALU_DEP_2)
	v_lshlrev_b64 v[35:36], 2, v[35:36]
	v_lshlrev_b64 v[39:40], 2, v[37:38]
	s_delay_alu instid0(VALU_DEP_2) | instskip(NEXT) | instid1(VALU_DEP_3)
	v_add_co_u32 v37, vcc_lo, s20, v35
	v_add_co_ci_u32_e32 v38, vcc_lo, s21, v36, vcc_lo
	s_delay_alu instid0(VALU_DEP_3) | instskip(NEXT) | instid1(VALU_DEP_4)
	v_add_co_u32 v35, vcc_lo, s20, v39
	v_add_co_ci_u32_e32 v36, vcc_lo, s21, v40, vcc_lo
	s_clause 0x1
	global_load_b32 v39, v[37:38], off
	global_load_b32 v40, v[35:36], off
	s_waitcnt vmcnt(0)
	v_cmpx_eq_f32_e32 v39, v40
	s_cbranch_execz .LBB975_187
; %bb.181:
	v_add_co_u32 v35, vcc_lo, v35, 4
	v_add_co_ci_u32_e32 v36, vcc_lo, 0, v36, vcc_lo
	v_add_co_u32 v37, vcc_lo, v37, 4
	v_add_co_ci_u32_e32 v38, vcc_lo, 0, v38, vcc_lo
	s_add_u32 s4, s14, -1
	s_addc_u32 s5, s15, -1
	s_mov_b64 s[6:7], 0
	s_mov_b32 s35, 0
                                        ; implicit-def: $sgpr36
	s_set_inst_prefetch_distance 0x1
	s_branch .LBB975_184
	.p2align	6
.LBB975_182:                            ;   in Loop: Header=BB975_184 Depth=1
	global_load_b32 v39, v[37:38], off
	global_load_b32 v40, v[35:36], off
	v_add_co_u32 v35, vcc_lo, v35, 4
	v_add_co_ci_u32_e32 v36, vcc_lo, 0, v36, vcc_lo
	v_add_co_u32 v37, s0, v37, 4
	s_delay_alu instid0(VALU_DEP_1)
	v_add_co_ci_u32_e64 v38, s0, 0, v38, s0
	s_add_u32 s6, s6, 1
	s_addc_u32 s7, s7, 0
	s_and_not1_b32 s0, s36, exec_lo
	s_waitcnt vmcnt(0)
	v_cmp_neq_f32_e32 vcc_lo, v39, v40
	s_and_b32 s36, vcc_lo, exec_lo
	s_delay_alu instid0(SALU_CYCLE_1)
	s_or_b32 s36, s0, s36
.LBB975_183:                            ;   in Loop: Header=BB975_184 Depth=1
	v_dual_mov_b32 v40, s7 :: v_dual_mov_b32 v39, s6
	s_and_b32 s0, exec_lo, s36
	s_delay_alu instid0(SALU_CYCLE_1) | instskip(NEXT) | instid1(SALU_CYCLE_1)
	s_or_b32 s35, s0, s35
	s_and_not1_b32 exec_lo, exec_lo, s35
	s_cbranch_execz .LBB975_186
.LBB975_184:                            ; =>This Inner Loop Header: Depth=1
	s_or_b32 s36, s36, exec_lo
	s_cmp_eq_u64 s[4:5], s[6:7]
	s_cbranch_scc0 .LBB975_182
; %bb.185:                              ;   in Loop: Header=BB975_184 Depth=1
	s_mov_b64 s[6:7], s[14:15]
                                        ; implicit-def: $vgpr35_vgpr36
                                        ; implicit-def: $vgpr37_vgpr38
	s_branch .LBB975_183
.LBB975_186:
	s_set_inst_prefetch_distance 0x2
	s_or_b32 exec_lo, exec_lo, s35
	v_cmp_gt_i64_e32 vcc_lo, s[14:15], v[39:40]
	s_or_not1_b32 s0, vcc_lo, exec_lo
.LBB975_187:
	s_or_b32 exec_lo, exec_lo, s27
.LBB975_188:
	s_delay_alu instid0(SALU_CYCLE_1)
	s_and_b32 s27, s0, exec_lo
.LBB975_189:
	s_or_b32 exec_lo, exec_lo, s34
	v_or_b32_e32 v35, 1, v55
	s_mov_b32 s0, 0
	s_mov_b32 s34, exec_lo
	s_delay_alu instid0(VALU_DEP_1)
	v_cmpx_gt_u32_e64 s31, v35
	s_cbranch_execz .LBB975_200
; %bb.190:
	v_cmp_ne_u32_e32 vcc_lo, 1, v43
	s_cbranch_vccnz .LBB975_199
; %bb.191:
	v_mul_lo_u32 v39, v30, s14
	v_mul_lo_u32 v40, v29, s15
	v_mad_u64_u32 v[35:36], null, v29, s14, 0
	v_mul_lo_u32 v41, v32, s14
	v_mul_lo_u32 v42, v31, s15
	s_waitcnt lgkmcnt(0)
	v_mad_u64_u32 v[37:38], null, v31, s14, 0
	s_mov_b32 s0, -1
	s_mov_b32 s35, exec_lo
	s_delay_alu instid0(VALU_DEP_4) | instskip(NEXT) | instid1(VALU_DEP_2)
	v_add3_u32 v36, v36, v40, v39
	v_add3_u32 v38, v38, v42, v41
	s_delay_alu instid0(VALU_DEP_2) | instskip(NEXT) | instid1(VALU_DEP_2)
	v_lshlrev_b64 v[35:36], 2, v[35:36]
	v_lshlrev_b64 v[39:40], 2, v[37:38]
	s_delay_alu instid0(VALU_DEP_2) | instskip(NEXT) | instid1(VALU_DEP_3)
	v_add_co_u32 v37, vcc_lo, s20, v35
	v_add_co_ci_u32_e32 v38, vcc_lo, s21, v36, vcc_lo
	s_delay_alu instid0(VALU_DEP_3) | instskip(NEXT) | instid1(VALU_DEP_4)
	v_add_co_u32 v35, vcc_lo, s20, v39
	v_add_co_ci_u32_e32 v36, vcc_lo, s21, v40, vcc_lo
	s_clause 0x1
	global_load_b32 v39, v[37:38], off
	global_load_b32 v40, v[35:36], off
	s_waitcnt vmcnt(0)
	v_cmpx_eq_f32_e32 v39, v40
	s_cbranch_execz .LBB975_198
; %bb.192:
	v_add_co_u32 v35, vcc_lo, v35, 4
	v_add_co_ci_u32_e32 v36, vcc_lo, 0, v36, vcc_lo
	v_add_co_u32 v37, vcc_lo, v37, 4
	v_add_co_ci_u32_e32 v38, vcc_lo, 0, v38, vcc_lo
	s_add_u32 s4, s14, -1
	s_addc_u32 s5, s15, -1
	s_mov_b64 s[6:7], 0
	s_mov_b32 s36, 0
                                        ; implicit-def: $sgpr37
	s_set_inst_prefetch_distance 0x1
	s_branch .LBB975_195
	.p2align	6
.LBB975_193:                            ;   in Loop: Header=BB975_195 Depth=1
	global_load_b32 v39, v[37:38], off
	global_load_b32 v40, v[35:36], off
	v_add_co_u32 v35, vcc_lo, v35, 4
	v_add_co_ci_u32_e32 v36, vcc_lo, 0, v36, vcc_lo
	v_add_co_u32 v37, s0, v37, 4
	s_delay_alu instid0(VALU_DEP_1)
	v_add_co_ci_u32_e64 v38, s0, 0, v38, s0
	s_add_u32 s6, s6, 1
	s_addc_u32 s7, s7, 0
	s_and_not1_b32 s0, s37, exec_lo
	s_waitcnt vmcnt(0)
	v_cmp_neq_f32_e32 vcc_lo, v39, v40
	s_and_b32 s37, vcc_lo, exec_lo
	s_delay_alu instid0(SALU_CYCLE_1)
	s_or_b32 s37, s0, s37
.LBB975_194:                            ;   in Loop: Header=BB975_195 Depth=1
	v_dual_mov_b32 v40, s7 :: v_dual_mov_b32 v39, s6
	s_and_b32 s0, exec_lo, s37
	s_delay_alu instid0(SALU_CYCLE_1) | instskip(NEXT) | instid1(SALU_CYCLE_1)
	s_or_b32 s36, s0, s36
	s_and_not1_b32 exec_lo, exec_lo, s36
	s_cbranch_execz .LBB975_197
.LBB975_195:                            ; =>This Inner Loop Header: Depth=1
	s_or_b32 s37, s37, exec_lo
	s_cmp_eq_u64 s[4:5], s[6:7]
	s_cbranch_scc0 .LBB975_193
; %bb.196:                              ;   in Loop: Header=BB975_195 Depth=1
	s_mov_b64 s[6:7], s[14:15]
                                        ; implicit-def: $vgpr35_vgpr36
                                        ; implicit-def: $vgpr37_vgpr38
	s_branch .LBB975_194
.LBB975_197:
	s_set_inst_prefetch_distance 0x2
	s_or_b32 exec_lo, exec_lo, s36
	v_cmp_gt_i64_e32 vcc_lo, s[14:15], v[39:40]
	s_or_not1_b32 s0, vcc_lo, exec_lo
.LBB975_198:
	s_or_b32 exec_lo, exec_lo, s35
.LBB975_199:
	s_delay_alu instid0(SALU_CYCLE_1)
	s_and_b32 s0, s0, exec_lo
.LBB975_200:
	s_or_b32 exec_lo, exec_lo, s34
	s_waitcnt vmcnt(0) lgkmcnt(0)
	s_barrier
	buffer_gl0_inv
	s_and_saveexec_b32 s4, s3
	s_cbranch_execz .LBB975_202
; %bb.201:
	v_add_nc_u32_e32 v33, -8, v55
	ds_load_b64 v[33:34], v33
.LBB975_202:
	s_or_b32 exec_lo, exec_lo, s4
	v_cndmask_b32_e64 v36, 0, 1, s26
	v_cndmask_b32_e64 v38, 0, 1, s13
	v_cndmask_b32_e64 v39, 0, 1, s24
	v_cndmask_b32_e64 v35, 0, 1, s27
	v_cndmask_b32_e64 v37, 0, 1, s25
	v_cndmask_b32_e64 v40, 0, 1, s1
	v_cndmask_b32_e64 v41, 0, 1, s0
	v_lshlrev_b16 v36, 8, v36
	v_lshlrev_b16 v38, 8, v38
	;; [unrolled: 1-line block ×3, first 2 shown]
	s_mov_b32 s0, 0
	v_lshlrev_b16 v41, 8, v41
	v_or_b32_e32 v35, v35, v36
	v_or_b32_e32 v36, v37, v38
	;; [unrolled: 1-line block ×3, first 2 shown]
	s_mov_b32 s1, exec_lo
	v_and_b32_e32 v39, 0xffff, v41
	v_lshlrev_b32_e32 v40, 16, v35
	v_and_b32_e32 v41, 0xffff, v36
	v_lshlrev_b32_e32 v42, 16, v37
	v_cmpx_gt_u32_e64 s31, v55
	s_cbranch_execz .LBB975_213
; %bb.203:
	v_cmp_ne_u32_e32 vcc_lo, 1, v43
	s_cbranch_vccnz .LBB975_212
; %bb.204:
	s_waitcnt lgkmcnt(0)
	v_mul_lo_u32 v38, v34, s14
	v_mul_lo_u32 v43, v33, s15
	v_mad_u64_u32 v[34:35], null, v33, s14, 0
	v_mul_lo_u32 v33, v30, s14
	v_mul_lo_u32 v44, v29, s15
	v_mad_u64_u32 v[36:37], null, v29, s14, 0
	s_mov_b32 s0, -1
	s_mov_b32 s13, exec_lo
	s_delay_alu instid0(VALU_DEP_4) | instskip(NEXT) | instid1(VALU_DEP_2)
	v_add3_u32 v35, v35, v43, v38
	v_add3_u32 v37, v37, v44, v33
	s_delay_alu instid0(VALU_DEP_2) | instskip(NEXT) | instid1(VALU_DEP_2)
	v_lshlrev_b64 v[33:34], 2, v[34:35]
	v_lshlrev_b64 v[37:38], 2, v[36:37]
	s_delay_alu instid0(VALU_DEP_2) | instskip(NEXT) | instid1(VALU_DEP_3)
	v_add_co_u32 v35, vcc_lo, s20, v33
	v_add_co_ci_u32_e32 v36, vcc_lo, s21, v34, vcc_lo
	s_delay_alu instid0(VALU_DEP_3) | instskip(NEXT) | instid1(VALU_DEP_4)
	v_add_co_u32 v33, vcc_lo, s20, v37
	v_add_co_ci_u32_e32 v34, vcc_lo, s21, v38, vcc_lo
	s_clause 0x1
	global_load_b32 v37, v[35:36], off
	global_load_b32 v38, v[33:34], off
	s_waitcnt vmcnt(0)
	v_cmpx_eq_f32_e32 v37, v38
	s_cbranch_execz .LBB975_211
; %bb.205:
	v_add_co_u32 v33, vcc_lo, v33, 4
	v_add_co_ci_u32_e32 v34, vcc_lo, 0, v34, vcc_lo
	v_add_co_u32 v35, vcc_lo, v35, 4
	v_add_co_ci_u32_e32 v36, vcc_lo, 0, v36, vcc_lo
	s_add_u32 s4, s14, -1
	s_addc_u32 s5, s15, -1
	s_mov_b64 s[6:7], 0
	s_mov_b32 s24, 0
                                        ; implicit-def: $sgpr25
	s_set_inst_prefetch_distance 0x1
	s_branch .LBB975_208
	.p2align	6
.LBB975_206:                            ;   in Loop: Header=BB975_208 Depth=1
	global_load_b32 v37, v[35:36], off
	global_load_b32 v38, v[33:34], off
	v_add_co_u32 v33, vcc_lo, v33, 4
	v_add_co_ci_u32_e32 v34, vcc_lo, 0, v34, vcc_lo
	v_add_co_u32 v35, s0, v35, 4
	s_delay_alu instid0(VALU_DEP_1)
	v_add_co_ci_u32_e64 v36, s0, 0, v36, s0
	s_add_u32 s6, s6, 1
	s_addc_u32 s7, s7, 0
	s_and_not1_b32 s0, s25, exec_lo
	s_waitcnt vmcnt(0)
	v_cmp_neq_f32_e32 vcc_lo, v37, v38
	s_and_b32 s25, vcc_lo, exec_lo
	s_delay_alu instid0(SALU_CYCLE_1)
	s_or_b32 s25, s0, s25
.LBB975_207:                            ;   in Loop: Header=BB975_208 Depth=1
	v_dual_mov_b32 v38, s7 :: v_dual_mov_b32 v37, s6
	s_and_b32 s0, exec_lo, s25
	s_delay_alu instid0(SALU_CYCLE_1) | instskip(NEXT) | instid1(SALU_CYCLE_1)
	s_or_b32 s24, s0, s24
	s_and_not1_b32 exec_lo, exec_lo, s24
	s_cbranch_execz .LBB975_210
.LBB975_208:                            ; =>This Inner Loop Header: Depth=1
	s_or_b32 s25, s25, exec_lo
	s_cmp_eq_u64 s[4:5], s[6:7]
	s_cbranch_scc0 .LBB975_206
; %bb.209:                              ;   in Loop: Header=BB975_208 Depth=1
	s_mov_b64 s[6:7], s[14:15]
                                        ; implicit-def: $vgpr33_vgpr34
                                        ; implicit-def: $vgpr35_vgpr36
	s_branch .LBB975_207
.LBB975_210:
	s_set_inst_prefetch_distance 0x2
	s_or_b32 exec_lo, exec_lo, s24
	v_cmp_gt_i64_e32 vcc_lo, s[14:15], v[37:38]
	s_or_not1_b32 s0, vcc_lo, exec_lo
.LBB975_211:
	s_or_b32 exec_lo, exec_lo, s13
.LBB975_212:
	s_delay_alu instid0(SALU_CYCLE_1)
	s_and_b32 s0, s0, exec_lo
.LBB975_213:
	s_or_b32 exec_lo, exec_lo, s1
	v_or_b32_e32 v35, v39, v40
	v_or_b32_e32 v36, v41, v42
.LBB975_214:
	s_mov_b32 s1, -1
	s_cbranch_execnz .LBB975_383
.LBB975_215:
	v_cmp_gt_i64_e64 s13, s[14:15], 0
	s_and_b32 vcc_lo, exec_lo, s29
	ds_store_b64 v55, v[19:20]
	s_cbranch_vccz .LBB975_223
; %bb.216:
	v_mul_lo_u32 v35, v18, s14
	v_mul_lo_u32 v36, v17, s15
	s_waitcnt vmcnt(0) lgkmcnt(1)
	v_mad_u64_u32 v[33:34], null, v17, s14, 0
	s_mov_b32 s24, 0
	s_and_not1_b32 vcc_lo, exec_lo, s13
	s_mov_b32 s25, 0
	s_delay_alu instid0(VALU_DEP_1) | instskip(NEXT) | instid1(VALU_DEP_1)
	v_add3_u32 v34, v34, v36, v35
	v_lshlrev_b64 v[33:34], 2, v[33:34]
	s_cbranch_vccnz .LBB975_226
; %bb.217:
	v_mul_lo_u32 v37, v20, s14
	v_mul_lo_u32 v38, v19, s15
	v_mad_u64_u32 v[35:36], null, v19, s14, 0
	s_mov_b32 s25, -1
	s_mov_b32 s26, exec_lo
	s_delay_alu instid0(VALU_DEP_1) | instskip(SKIP_2) | instid1(VALU_DEP_3)
	v_add3_u32 v36, v36, v38, v37
	v_add_co_u32 v37, vcc_lo, s20, v33
	v_add_co_ci_u32_e32 v38, vcc_lo, s21, v34, vcc_lo
	v_lshlrev_b64 v[35:36], 2, v[35:36]
	s_delay_alu instid0(VALU_DEP_1) | instskip(NEXT) | instid1(VALU_DEP_2)
	v_add_co_u32 v35, vcc_lo, s20, v35
	v_add_co_ci_u32_e32 v36, vcc_lo, s21, v36, vcc_lo
	s_clause 0x1
	global_load_b32 v39, v[37:38], off
	global_load_b32 v40, v[35:36], off
	s_waitcnt vmcnt(0)
	v_cmpx_eq_f32_e32 v39, v40
	s_cbranch_execz .LBB975_225
; %bb.218:
	v_add_co_u32 v35, vcc_lo, v35, 4
	v_add_co_ci_u32_e32 v36, vcc_lo, 0, v36, vcc_lo
	v_add_co_u32 v37, vcc_lo, v37, 4
	v_add_co_ci_u32_e32 v38, vcc_lo, 0, v38, vcc_lo
	s_add_u32 s4, s14, -1
	s_addc_u32 s5, s15, -1
	s_mov_b64 s[6:7], 0
	s_mov_b32 s25, 0
                                        ; implicit-def: $sgpr27
	s_set_inst_prefetch_distance 0x1
	s_branch .LBB975_221
	.p2align	6
.LBB975_219:                            ;   in Loop: Header=BB975_221 Depth=1
	global_load_b32 v39, v[37:38], off
	global_load_b32 v40, v[35:36], off
	v_add_co_u32 v35, vcc_lo, v35, 4
	v_add_co_ci_u32_e32 v36, vcc_lo, 0, v36, vcc_lo
	v_add_co_u32 v37, s0, v37, 4
	s_delay_alu instid0(VALU_DEP_1)
	v_add_co_ci_u32_e64 v38, s0, 0, v38, s0
	s_add_u32 s6, s6, 1
	s_addc_u32 s7, s7, 0
	s_and_not1_b32 s0, s27, exec_lo
	s_waitcnt vmcnt(0)
	v_cmp_neq_f32_e32 vcc_lo, v39, v40
	s_and_b32 s27, vcc_lo, exec_lo
	s_delay_alu instid0(SALU_CYCLE_1)
	s_or_b32 s27, s0, s27
.LBB975_220:                            ;   in Loop: Header=BB975_221 Depth=1
	v_dual_mov_b32 v40, s7 :: v_dual_mov_b32 v39, s6
	s_and_b32 s0, exec_lo, s27
	s_delay_alu instid0(SALU_CYCLE_1) | instskip(NEXT) | instid1(SALU_CYCLE_1)
	s_or_b32 s25, s0, s25
	s_and_not1_b32 exec_lo, exec_lo, s25
	s_cbranch_execz .LBB975_224
.LBB975_221:                            ; =>This Inner Loop Header: Depth=1
	s_or_b32 s27, s27, exec_lo
	s_cmp_eq_u64 s[4:5], s[6:7]
	s_cbranch_scc0 .LBB975_219
; %bb.222:                              ;   in Loop: Header=BB975_221 Depth=1
	s_mov_b64 s[6:7], s[14:15]
                                        ; implicit-def: $vgpr35_vgpr36
                                        ; implicit-def: $vgpr37_vgpr38
	s_branch .LBB975_220
.LBB975_223:
                                        ; implicit-def: $sgpr0
                                        ; implicit-def: $vgpr36
	s_cbranch_execnz .LBB975_292
	s_branch .LBB975_383
.LBB975_224:
	s_set_inst_prefetch_distance 0x2
	s_or_b32 exec_lo, exec_lo, s25
	v_cmp_gt_i64_e32 vcc_lo, s[14:15], v[39:40]
	s_or_not1_b32 s25, vcc_lo, exec_lo
.LBB975_225:
	s_or_b32 exec_lo, exec_lo, s26
.LBB975_226:
	v_mul_lo_u32 v37, v24, s14
	v_mul_lo_u32 v38, v23, s15
	v_mad_u64_u32 v[35:36], null, v23, s14, 0
	s_and_not1_b32 vcc_lo, exec_lo, s13
	s_delay_alu instid0(VALU_DEP_1) | instskip(NEXT) | instid1(VALU_DEP_1)
	v_add3_u32 v36, v36, v38, v37
	v_lshlrev_b64 v[35:36], 2, v[35:36]
	s_cbranch_vccnz .LBB975_235
; %bb.227:
	s_delay_alu instid0(VALU_DEP_1) | instskip(NEXT) | instid1(VALU_DEP_2)
	v_add_co_u32 v37, vcc_lo, s20, v35
	v_add_co_ci_u32_e32 v38, vcc_lo, s21, v36, vcc_lo
	v_add_co_u32 v33, vcc_lo, s20, v33
	v_add_co_ci_u32_e32 v34, vcc_lo, s21, v34, vcc_lo
	s_mov_b32 s24, -1
	s_clause 0x1
	global_load_b32 v39, v[37:38], off
	global_load_b32 v40, v[33:34], off
	s_mov_b32 s26, exec_lo
	s_waitcnt vmcnt(0)
	v_cmpx_eq_f32_e32 v39, v40
	s_cbranch_execz .LBB975_234
; %bb.228:
	v_add_co_u32 v33, vcc_lo, v33, 4
	v_add_co_ci_u32_e32 v34, vcc_lo, 0, v34, vcc_lo
	v_add_co_u32 v37, vcc_lo, v37, 4
	v_add_co_ci_u32_e32 v38, vcc_lo, 0, v38, vcc_lo
	s_add_u32 s4, s14, -1
	s_addc_u32 s5, s15, -1
	s_mov_b64 s[6:7], 0
	s_mov_b32 s24, 0
                                        ; implicit-def: $sgpr27
	s_set_inst_prefetch_distance 0x1
	s_branch .LBB975_231
	.p2align	6
.LBB975_229:                            ;   in Loop: Header=BB975_231 Depth=1
	global_load_b32 v39, v[37:38], off
	global_load_b32 v40, v[33:34], off
	v_add_co_u32 v33, vcc_lo, v33, 4
	v_add_co_ci_u32_e32 v34, vcc_lo, 0, v34, vcc_lo
	v_add_co_u32 v37, s0, v37, 4
	s_delay_alu instid0(VALU_DEP_1)
	v_add_co_ci_u32_e64 v38, s0, 0, v38, s0
	s_add_u32 s6, s6, 1
	s_addc_u32 s7, s7, 0
	s_and_not1_b32 s0, s27, exec_lo
	s_waitcnt vmcnt(0)
	v_cmp_neq_f32_e32 vcc_lo, v39, v40
	s_and_b32 s27, vcc_lo, exec_lo
	s_delay_alu instid0(SALU_CYCLE_1)
	s_or_b32 s27, s0, s27
.LBB975_230:                            ;   in Loop: Header=BB975_231 Depth=1
	v_dual_mov_b32 v40, s7 :: v_dual_mov_b32 v39, s6
	s_and_b32 s0, exec_lo, s27
	s_delay_alu instid0(SALU_CYCLE_1) | instskip(NEXT) | instid1(SALU_CYCLE_1)
	s_or_b32 s24, s0, s24
	s_and_not1_b32 exec_lo, exec_lo, s24
	s_cbranch_execz .LBB975_233
.LBB975_231:                            ; =>This Inner Loop Header: Depth=1
	s_or_b32 s27, s27, exec_lo
	s_cmp_eq_u64 s[4:5], s[6:7]
	s_cbranch_scc0 .LBB975_229
; %bb.232:                              ;   in Loop: Header=BB975_231 Depth=1
	s_mov_b64 s[6:7], s[14:15]
                                        ; implicit-def: $vgpr33_vgpr34
                                        ; implicit-def: $vgpr37_vgpr38
	s_branch .LBB975_230
.LBB975_233:
	s_set_inst_prefetch_distance 0x2
	s_or_b32 exec_lo, exec_lo, s24
	v_cmp_gt_i64_e32 vcc_lo, s[14:15], v[39:40]
	s_or_not1_b32 s24, vcc_lo, exec_lo
.LBB975_234:
	s_or_b32 exec_lo, exec_lo, s26
.LBB975_235:
	v_mul_lo_u32 v37, v22, s14
	v_mul_lo_u32 v38, v21, s15
	v_mad_u64_u32 v[33:34], null, v21, s14, 0
	s_mov_b32 s26, 0
	s_and_not1_b32 vcc_lo, exec_lo, s13
	s_mov_b32 s27, 0
	s_delay_alu instid0(VALU_DEP_1) | instskip(NEXT) | instid1(VALU_DEP_1)
	v_add3_u32 v34, v34, v38, v37
	v_lshlrev_b64 v[37:38], 2, v[33:34]
	s_cbranch_vccnz .LBB975_244
; %bb.236:
	s_delay_alu instid0(VALU_DEP_1) | instskip(NEXT) | instid1(VALU_DEP_2)
	v_add_co_u32 v39, vcc_lo, s20, v37
	v_add_co_ci_u32_e32 v40, vcc_lo, s21, v38, vcc_lo
	v_add_co_u32 v33, vcc_lo, s20, v35
	v_add_co_ci_u32_e32 v34, vcc_lo, s21, v36, vcc_lo
	s_mov_b32 s27, -1
	s_clause 0x1
	global_load_b32 v35, v[39:40], off
	global_load_b32 v36, v[33:34], off
	s_mov_b32 s34, exec_lo
	s_waitcnt vmcnt(0)
	v_cmpx_eq_f32_e32 v35, v36
	s_cbranch_execz .LBB975_243
; %bb.237:
	v_add_co_u32 v33, vcc_lo, v33, 4
	v_add_co_ci_u32_e32 v34, vcc_lo, 0, v34, vcc_lo
	v_add_co_u32 v35, vcc_lo, v39, 4
	v_add_co_ci_u32_e32 v36, vcc_lo, 0, v40, vcc_lo
	s_add_u32 s4, s14, -1
	s_addc_u32 s5, s15, -1
	s_mov_b64 s[6:7], 0
	s_mov_b32 s27, 0
                                        ; implicit-def: $sgpr35
	s_set_inst_prefetch_distance 0x1
	s_branch .LBB975_240
	.p2align	6
.LBB975_238:                            ;   in Loop: Header=BB975_240 Depth=1
	global_load_b32 v39, v[35:36], off
	global_load_b32 v40, v[33:34], off
	v_add_co_u32 v33, vcc_lo, v33, 4
	v_add_co_ci_u32_e32 v34, vcc_lo, 0, v34, vcc_lo
	v_add_co_u32 v35, s0, v35, 4
	s_delay_alu instid0(VALU_DEP_1)
	v_add_co_ci_u32_e64 v36, s0, 0, v36, s0
	s_add_u32 s6, s6, 1
	s_addc_u32 s7, s7, 0
	s_and_not1_b32 s0, s35, exec_lo
	s_waitcnt vmcnt(0)
	v_cmp_neq_f32_e32 vcc_lo, v39, v40
	s_and_b32 s35, vcc_lo, exec_lo
	s_delay_alu instid0(SALU_CYCLE_1)
	s_or_b32 s35, s0, s35
.LBB975_239:                            ;   in Loop: Header=BB975_240 Depth=1
	v_dual_mov_b32 v40, s7 :: v_dual_mov_b32 v39, s6
	s_and_b32 s0, exec_lo, s35
	s_delay_alu instid0(SALU_CYCLE_1) | instskip(NEXT) | instid1(SALU_CYCLE_1)
	s_or_b32 s27, s0, s27
	s_and_not1_b32 exec_lo, exec_lo, s27
	s_cbranch_execz .LBB975_242
.LBB975_240:                            ; =>This Inner Loop Header: Depth=1
	s_or_b32 s35, s35, exec_lo
	s_cmp_eq_u64 s[4:5], s[6:7]
	s_cbranch_scc0 .LBB975_238
; %bb.241:                              ;   in Loop: Header=BB975_240 Depth=1
	s_mov_b64 s[6:7], s[14:15]
                                        ; implicit-def: $vgpr33_vgpr34
                                        ; implicit-def: $vgpr35_vgpr36
	s_branch .LBB975_239
.LBB975_242:
	s_set_inst_prefetch_distance 0x2
	s_or_b32 exec_lo, exec_lo, s27
	v_cmp_gt_i64_e32 vcc_lo, s[14:15], v[39:40]
	s_or_not1_b32 s27, vcc_lo, exec_lo
.LBB975_243:
	s_or_b32 exec_lo, exec_lo, s34
.LBB975_244:
	v_mul_lo_u32 v35, v28, s14
	v_mul_lo_u32 v36, v27, s15
	v_mad_u64_u32 v[33:34], null, v27, s14, 0
	s_and_not1_b32 vcc_lo, exec_lo, s13
	s_delay_alu instid0(VALU_DEP_1) | instskip(NEXT) | instid1(VALU_DEP_1)
	v_add3_u32 v34, v34, v36, v35
	v_lshlrev_b64 v[33:34], 2, v[33:34]
	s_cbranch_vccnz .LBB975_253
; %bb.245:
	s_delay_alu instid0(VALU_DEP_1) | instskip(NEXT) | instid1(VALU_DEP_2)
	v_add_co_u32 v39, vcc_lo, s20, v33
	v_add_co_ci_u32_e32 v40, vcc_lo, s21, v34, vcc_lo
	v_add_co_u32 v35, vcc_lo, s20, v37
	v_add_co_ci_u32_e32 v36, vcc_lo, s21, v38, vcc_lo
	s_mov_b32 s26, -1
	s_clause 0x1
	global_load_b32 v37, v[39:40], off
	global_load_b32 v38, v[35:36], off
	s_mov_b32 s34, exec_lo
	s_waitcnt vmcnt(0)
	v_cmpx_eq_f32_e32 v37, v38
	s_cbranch_execz .LBB975_252
; %bb.246:
	v_add_co_u32 v35, vcc_lo, v35, 4
	v_add_co_ci_u32_e32 v36, vcc_lo, 0, v36, vcc_lo
	v_add_co_u32 v37, vcc_lo, v39, 4
	v_add_co_ci_u32_e32 v38, vcc_lo, 0, v40, vcc_lo
	s_add_u32 s4, s14, -1
	s_addc_u32 s5, s15, -1
	s_mov_b64 s[6:7], 0
	s_mov_b32 s26, 0
                                        ; implicit-def: $sgpr35
	s_set_inst_prefetch_distance 0x1
	s_branch .LBB975_249
	.p2align	6
.LBB975_247:                            ;   in Loop: Header=BB975_249 Depth=1
	global_load_b32 v39, v[37:38], off
	global_load_b32 v40, v[35:36], off
	v_add_co_u32 v35, vcc_lo, v35, 4
	v_add_co_ci_u32_e32 v36, vcc_lo, 0, v36, vcc_lo
	v_add_co_u32 v37, s0, v37, 4
	s_delay_alu instid0(VALU_DEP_1)
	v_add_co_ci_u32_e64 v38, s0, 0, v38, s0
	s_add_u32 s6, s6, 1
	s_addc_u32 s7, s7, 0
	s_and_not1_b32 s0, s35, exec_lo
	s_waitcnt vmcnt(0)
	v_cmp_neq_f32_e32 vcc_lo, v39, v40
	s_and_b32 s35, vcc_lo, exec_lo
	s_delay_alu instid0(SALU_CYCLE_1)
	s_or_b32 s35, s0, s35
.LBB975_248:                            ;   in Loop: Header=BB975_249 Depth=1
	v_dual_mov_b32 v40, s7 :: v_dual_mov_b32 v39, s6
	s_and_b32 s0, exec_lo, s35
	s_delay_alu instid0(SALU_CYCLE_1) | instskip(NEXT) | instid1(SALU_CYCLE_1)
	s_or_b32 s26, s0, s26
	s_and_not1_b32 exec_lo, exec_lo, s26
	s_cbranch_execz .LBB975_251
.LBB975_249:                            ; =>This Inner Loop Header: Depth=1
	s_or_b32 s35, s35, exec_lo
	s_cmp_eq_u64 s[4:5], s[6:7]
	s_cbranch_scc0 .LBB975_247
; %bb.250:                              ;   in Loop: Header=BB975_249 Depth=1
	s_mov_b64 s[6:7], s[14:15]
                                        ; implicit-def: $vgpr35_vgpr36
                                        ; implicit-def: $vgpr37_vgpr38
	s_branch .LBB975_248
.LBB975_251:
	s_set_inst_prefetch_distance 0x2
	s_or_b32 exec_lo, exec_lo, s26
	v_cmp_gt_i64_e32 vcc_lo, s[14:15], v[39:40]
	s_or_not1_b32 s26, vcc_lo, exec_lo
.LBB975_252:
	s_or_b32 exec_lo, exec_lo, s34
.LBB975_253:
	v_mul_lo_u32 v37, v26, s14
	v_mul_lo_u32 v38, v25, s15
	v_mad_u64_u32 v[35:36], null, v25, s14, 0
	s_mov_b32 s34, 0
	s_and_not1_b32 vcc_lo, exec_lo, s13
	s_mov_b32 s35, 0
	s_delay_alu instid0(VALU_DEP_1) | instskip(NEXT) | instid1(VALU_DEP_1)
	v_add3_u32 v36, v36, v38, v37
	v_lshlrev_b64 v[37:38], 2, v[35:36]
	s_cbranch_vccnz .LBB975_262
; %bb.254:
	s_delay_alu instid0(VALU_DEP_1) | instskip(NEXT) | instid1(VALU_DEP_2)
	v_add_co_u32 v35, vcc_lo, s20, v37
	v_add_co_ci_u32_e32 v36, vcc_lo, s21, v38, vcc_lo
	v_add_co_u32 v33, vcc_lo, s20, v33
	v_add_co_ci_u32_e32 v34, vcc_lo, s21, v34, vcc_lo
	s_mov_b32 s35, -1
	s_clause 0x1
	global_load_b32 v39, v[35:36], off
	global_load_b32 v40, v[33:34], off
	s_mov_b32 s36, exec_lo
	s_waitcnt vmcnt(0)
	v_cmpx_eq_f32_e32 v39, v40
	s_cbranch_execz .LBB975_261
; %bb.255:
	v_add_co_u32 v33, vcc_lo, v33, 4
	v_add_co_ci_u32_e32 v34, vcc_lo, 0, v34, vcc_lo
	v_add_co_u32 v35, vcc_lo, v35, 4
	v_add_co_ci_u32_e32 v36, vcc_lo, 0, v36, vcc_lo
	s_add_u32 s4, s14, -1
	s_addc_u32 s5, s15, -1
	s_mov_b64 s[6:7], 0
	s_mov_b32 s35, 0
                                        ; implicit-def: $sgpr37
	s_set_inst_prefetch_distance 0x1
	s_branch .LBB975_258
	.p2align	6
.LBB975_256:                            ;   in Loop: Header=BB975_258 Depth=1
	global_load_b32 v39, v[35:36], off
	global_load_b32 v40, v[33:34], off
	v_add_co_u32 v33, vcc_lo, v33, 4
	v_add_co_ci_u32_e32 v34, vcc_lo, 0, v34, vcc_lo
	v_add_co_u32 v35, s0, v35, 4
	s_delay_alu instid0(VALU_DEP_1)
	v_add_co_ci_u32_e64 v36, s0, 0, v36, s0
	s_add_u32 s6, s6, 1
	s_addc_u32 s7, s7, 0
	s_and_not1_b32 s0, s37, exec_lo
	s_waitcnt vmcnt(0)
	v_cmp_neq_f32_e32 vcc_lo, v39, v40
	s_and_b32 s37, vcc_lo, exec_lo
	s_delay_alu instid0(SALU_CYCLE_1)
	s_or_b32 s37, s0, s37
.LBB975_257:                            ;   in Loop: Header=BB975_258 Depth=1
	v_dual_mov_b32 v40, s7 :: v_dual_mov_b32 v39, s6
	s_and_b32 s0, exec_lo, s37
	s_delay_alu instid0(SALU_CYCLE_1) | instskip(NEXT) | instid1(SALU_CYCLE_1)
	s_or_b32 s35, s0, s35
	s_and_not1_b32 exec_lo, exec_lo, s35
	s_cbranch_execz .LBB975_260
.LBB975_258:                            ; =>This Inner Loop Header: Depth=1
	s_or_b32 s37, s37, exec_lo
	s_cmp_eq_u64 s[4:5], s[6:7]
	s_cbranch_scc0 .LBB975_256
; %bb.259:                              ;   in Loop: Header=BB975_258 Depth=1
	s_mov_b64 s[6:7], s[14:15]
                                        ; implicit-def: $vgpr33_vgpr34
                                        ; implicit-def: $vgpr35_vgpr36
	s_branch .LBB975_257
.LBB975_260:
	s_set_inst_prefetch_distance 0x2
	s_or_b32 exec_lo, exec_lo, s35
	v_cmp_gt_i64_e32 vcc_lo, s[14:15], v[39:40]
	s_or_not1_b32 s35, vcc_lo, exec_lo
.LBB975_261:
	s_or_b32 exec_lo, exec_lo, s36
.LBB975_262:
	v_mul_lo_u32 v35, v32, s14
	v_mul_lo_u32 v36, v31, s15
	v_mad_u64_u32 v[33:34], null, v31, s14, 0
	s_and_not1_b32 vcc_lo, exec_lo, s13
	s_delay_alu instid0(VALU_DEP_1) | instskip(NEXT) | instid1(VALU_DEP_1)
	v_add3_u32 v34, v34, v36, v35
	v_lshlrev_b64 v[35:36], 2, v[33:34]
	s_cbranch_vccnz .LBB975_271
; %bb.263:
	s_delay_alu instid0(VALU_DEP_1) | instskip(NEXT) | instid1(VALU_DEP_2)
	v_add_co_u32 v39, vcc_lo, s20, v35
	v_add_co_ci_u32_e32 v40, vcc_lo, s21, v36, vcc_lo
	v_add_co_u32 v33, vcc_lo, s20, v37
	v_add_co_ci_u32_e32 v34, vcc_lo, s21, v38, vcc_lo
	s_mov_b32 s34, -1
	s_clause 0x1
	global_load_b32 v37, v[39:40], off
	global_load_b32 v38, v[33:34], off
	s_mov_b32 s36, exec_lo
	s_waitcnt vmcnt(0)
	v_cmpx_eq_f32_e32 v37, v38
	s_cbranch_execz .LBB975_270
; %bb.264:
	v_add_co_u32 v33, vcc_lo, v33, 4
	v_add_co_ci_u32_e32 v34, vcc_lo, 0, v34, vcc_lo
	v_add_co_u32 v37, vcc_lo, v39, 4
	v_add_co_ci_u32_e32 v38, vcc_lo, 0, v40, vcc_lo
	s_add_u32 s4, s14, -1
	s_addc_u32 s5, s15, -1
	s_mov_b64 s[6:7], 0
	s_mov_b32 s34, 0
                                        ; implicit-def: $sgpr37
	s_set_inst_prefetch_distance 0x1
	s_branch .LBB975_267
	.p2align	6
.LBB975_265:                            ;   in Loop: Header=BB975_267 Depth=1
	global_load_b32 v39, v[37:38], off
	global_load_b32 v40, v[33:34], off
	v_add_co_u32 v33, vcc_lo, v33, 4
	v_add_co_ci_u32_e32 v34, vcc_lo, 0, v34, vcc_lo
	v_add_co_u32 v37, s0, v37, 4
	s_delay_alu instid0(VALU_DEP_1)
	v_add_co_ci_u32_e64 v38, s0, 0, v38, s0
	s_add_u32 s6, s6, 1
	s_addc_u32 s7, s7, 0
	s_and_not1_b32 s0, s37, exec_lo
	s_waitcnt vmcnt(0)
	v_cmp_neq_f32_e32 vcc_lo, v39, v40
	s_and_b32 s37, vcc_lo, exec_lo
	s_delay_alu instid0(SALU_CYCLE_1)
	s_or_b32 s37, s0, s37
.LBB975_266:                            ;   in Loop: Header=BB975_267 Depth=1
	v_dual_mov_b32 v40, s7 :: v_dual_mov_b32 v39, s6
	s_and_b32 s0, exec_lo, s37
	s_delay_alu instid0(SALU_CYCLE_1) | instskip(NEXT) | instid1(SALU_CYCLE_1)
	s_or_b32 s34, s0, s34
	s_and_not1_b32 exec_lo, exec_lo, s34
	s_cbranch_execz .LBB975_269
.LBB975_267:                            ; =>This Inner Loop Header: Depth=1
	s_or_b32 s37, s37, exec_lo
	s_cmp_eq_u64 s[4:5], s[6:7]
	s_cbranch_scc0 .LBB975_265
; %bb.268:                              ;   in Loop: Header=BB975_267 Depth=1
	s_mov_b64 s[6:7], s[14:15]
                                        ; implicit-def: $vgpr33_vgpr34
                                        ; implicit-def: $vgpr37_vgpr38
	s_branch .LBB975_266
.LBB975_269:
	s_set_inst_prefetch_distance 0x2
	s_or_b32 exec_lo, exec_lo, s34
	v_cmp_gt_i64_e32 vcc_lo, s[14:15], v[39:40]
	s_or_not1_b32 s34, vcc_lo, exec_lo
.LBB975_270:
	s_or_b32 exec_lo, exec_lo, s36
.LBB975_271:
	v_mul_lo_u32 v37, v30, s14
	v_mul_lo_u32 v38, v29, s15
	v_mad_u64_u32 v[33:34], null, v29, s14, 0
	s_and_not1_b32 vcc_lo, exec_lo, s13
	s_mov_b32 s0, 0
	s_delay_alu instid0(VALU_DEP_1)
	v_add3_u32 v34, v34, v38, v37
	s_cbranch_vccnz .LBB975_280
; %bb.272:
	s_delay_alu instid0(VALU_DEP_1) | instskip(SKIP_2) | instid1(VALU_DEP_1)
	v_lshlrev_b64 v[37:38], 2, v[33:34]
	s_mov_b32 s0, -1
	s_mov_b32 s36, exec_lo
	v_add_co_u32 v37, vcc_lo, s20, v37
	s_delay_alu instid0(VALU_DEP_2)
	v_add_co_ci_u32_e32 v38, vcc_lo, s21, v38, vcc_lo
	v_add_co_u32 v35, vcc_lo, s20, v35
	v_add_co_ci_u32_e32 v36, vcc_lo, s21, v36, vcc_lo
	s_clause 0x1
	global_load_b32 v39, v[37:38], off
	global_load_b32 v40, v[35:36], off
	s_waitcnt vmcnt(0)
	v_cmpx_eq_f32_e32 v39, v40
	s_cbranch_execz .LBB975_279
; %bb.273:
	v_add_co_u32 v35, vcc_lo, v35, 4
	v_add_co_ci_u32_e32 v36, vcc_lo, 0, v36, vcc_lo
	v_add_co_u32 v37, vcc_lo, v37, 4
	v_add_co_ci_u32_e32 v38, vcc_lo, 0, v38, vcc_lo
	s_add_u32 s4, s14, -1
	s_addc_u32 s5, s15, -1
	s_mov_b64 s[6:7], 0
	s_mov_b32 s37, 0
                                        ; implicit-def: $sgpr38
	s_set_inst_prefetch_distance 0x1
	s_branch .LBB975_276
	.p2align	6
.LBB975_274:                            ;   in Loop: Header=BB975_276 Depth=1
	global_load_b32 v39, v[37:38], off
	global_load_b32 v40, v[35:36], off
	v_add_co_u32 v35, vcc_lo, v35, 4
	v_add_co_ci_u32_e32 v36, vcc_lo, 0, v36, vcc_lo
	v_add_co_u32 v37, s0, v37, 4
	s_delay_alu instid0(VALU_DEP_1)
	v_add_co_ci_u32_e64 v38, s0, 0, v38, s0
	s_add_u32 s6, s6, 1
	s_addc_u32 s7, s7, 0
	s_and_not1_b32 s0, s38, exec_lo
	s_waitcnt vmcnt(0)
	v_cmp_neq_f32_e32 vcc_lo, v39, v40
	s_and_b32 s38, vcc_lo, exec_lo
	s_delay_alu instid0(SALU_CYCLE_1)
	s_or_b32 s38, s0, s38
.LBB975_275:                            ;   in Loop: Header=BB975_276 Depth=1
	v_dual_mov_b32 v40, s7 :: v_dual_mov_b32 v39, s6
	s_and_b32 s0, exec_lo, s38
	s_delay_alu instid0(SALU_CYCLE_1) | instskip(NEXT) | instid1(SALU_CYCLE_1)
	s_or_b32 s37, s0, s37
	s_and_not1_b32 exec_lo, exec_lo, s37
	s_cbranch_execz .LBB975_278
.LBB975_276:                            ; =>This Inner Loop Header: Depth=1
	s_or_b32 s38, s38, exec_lo
	s_cmp_eq_u64 s[4:5], s[6:7]
	s_cbranch_scc0 .LBB975_274
; %bb.277:                              ;   in Loop: Header=BB975_276 Depth=1
	s_mov_b64 s[6:7], s[14:15]
                                        ; implicit-def: $vgpr35_vgpr36
                                        ; implicit-def: $vgpr37_vgpr38
	s_branch .LBB975_275
.LBB975_278:
	s_set_inst_prefetch_distance 0x2
	s_or_b32 exec_lo, exec_lo, s37
	v_cmp_gt_i64_e32 vcc_lo, s[14:15], v[39:40]
	s_or_not1_b32 s0, vcc_lo, exec_lo
.LBB975_279:
	s_or_b32 exec_lo, exec_lo, s36
.LBB975_280:
	v_cndmask_b32_e64 v36, 0, 1, s35
	v_cndmask_b32_e64 v37, 0, 1, s27
	;; [unrolled: 1-line block ×7, first 2 shown]
	v_lshlrev_b16 v37, 8, v37
	v_lshlrev_b16 v38, 8, v38
	v_lshlrev_b16 v39, 8, v39
	v_lshlrev_b16 v36, 8, v36
	s_waitcnt lgkmcnt(0)
	v_or_b32_e32 v37, v40, v37
	v_or_b32_e32 v38, v41, v38
	;; [unrolled: 1-line block ×4, first 2 shown]
	s_barrier
	v_and_b32_e32 v36, 0xffff, v37
	v_lshlrev_b32_e32 v37, 16, v38
	v_and_b32_e32 v38, 0xffff, v39
	v_lshlrev_b32_e32 v35, 16, v35
	buffer_gl0_inv
                                        ; implicit-def: $sgpr0
	v_or_b32_e32 v36, v36, v37
	v_or_b32_e32 v35, v38, v35
	s_and_saveexec_b32 s4, s3
	s_delay_alu instid0(SALU_CYCLE_1)
	s_xor_b32 s24, exec_lo, s4
	s_cbranch_execz .LBB975_291
; %bb.281:
	s_and_not1_b32 vcc_lo, exec_lo, s13
	s_mov_b32 s0, 0
	s_cbranch_vccnz .LBB975_290
; %bb.282:
	v_add_nc_u32_e32 v37, -8, v55
	v_lshlrev_b64 v[33:34], 2, v[33:34]
	s_mov_b32 s0, -1
	s_mov_b32 s25, exec_lo
	ds_load_b64 v[37:38], v37
	s_waitcnt lgkmcnt(0)
	v_mul_lo_u32 v40, v38, s14
	v_mul_lo_u32 v41, v37, s15
	v_mad_u64_u32 v[38:39], null, v37, s14, 0
	s_delay_alu instid0(VALU_DEP_1) | instskip(NEXT) | instid1(VALU_DEP_1)
	v_add3_u32 v39, v39, v41, v40
	v_lshlrev_b64 v[37:38], 2, v[38:39]
	s_delay_alu instid0(VALU_DEP_1) | instskip(NEXT) | instid1(VALU_DEP_2)
	v_add_co_u32 v37, vcc_lo, s20, v37
	v_add_co_ci_u32_e32 v38, vcc_lo, s21, v38, vcc_lo
	v_add_co_u32 v33, vcc_lo, s20, v33
	v_add_co_ci_u32_e32 v34, vcc_lo, s21, v34, vcc_lo
	s_clause 0x1
	global_load_b32 v39, v[37:38], off
	global_load_b32 v40, v[33:34], off
	s_waitcnt vmcnt(0)
	v_cmpx_eq_f32_e32 v39, v40
	s_cbranch_execz .LBB975_289
; %bb.283:
	v_add_co_u32 v33, vcc_lo, v33, 4
	v_add_co_ci_u32_e32 v34, vcc_lo, 0, v34, vcc_lo
	v_add_co_u32 v37, vcc_lo, v37, 4
	v_add_co_ci_u32_e32 v38, vcc_lo, 0, v38, vcc_lo
	s_add_u32 s4, s14, -1
	s_addc_u32 s5, s15, -1
	s_mov_b64 s[6:7], 0
	s_mov_b32 s26, 0
                                        ; implicit-def: $sgpr27
	s_set_inst_prefetch_distance 0x1
	s_branch .LBB975_286
	.p2align	6
.LBB975_284:                            ;   in Loop: Header=BB975_286 Depth=1
	global_load_b32 v39, v[37:38], off
	global_load_b32 v40, v[33:34], off
	v_add_co_u32 v33, vcc_lo, v33, 4
	v_add_co_ci_u32_e32 v34, vcc_lo, 0, v34, vcc_lo
	v_add_co_u32 v37, s0, v37, 4
	s_delay_alu instid0(VALU_DEP_1)
	v_add_co_ci_u32_e64 v38, s0, 0, v38, s0
	s_add_u32 s6, s6, 1
	s_addc_u32 s7, s7, 0
	s_and_not1_b32 s0, s27, exec_lo
	s_waitcnt vmcnt(0)
	v_cmp_neq_f32_e32 vcc_lo, v39, v40
	s_and_b32 s27, vcc_lo, exec_lo
	s_delay_alu instid0(SALU_CYCLE_1)
	s_or_b32 s27, s0, s27
.LBB975_285:                            ;   in Loop: Header=BB975_286 Depth=1
	v_dual_mov_b32 v40, s7 :: v_dual_mov_b32 v39, s6
	s_and_b32 s0, exec_lo, s27
	s_delay_alu instid0(SALU_CYCLE_1) | instskip(NEXT) | instid1(SALU_CYCLE_1)
	s_or_b32 s26, s0, s26
	s_and_not1_b32 exec_lo, exec_lo, s26
	s_cbranch_execz .LBB975_288
.LBB975_286:                            ; =>This Inner Loop Header: Depth=1
	s_or_b32 s27, s27, exec_lo
	s_cmp_eq_u64 s[4:5], s[6:7]
	s_cbranch_scc0 .LBB975_284
; %bb.287:                              ;   in Loop: Header=BB975_286 Depth=1
	s_mov_b64 s[6:7], s[14:15]
                                        ; implicit-def: $vgpr33_vgpr34
                                        ; implicit-def: $vgpr37_vgpr38
	s_branch .LBB975_285
.LBB975_288:
	s_set_inst_prefetch_distance 0x2
	s_or_b32 exec_lo, exec_lo, s26
	v_cmp_gt_i64_e32 vcc_lo, s[14:15], v[39:40]
	s_or_not1_b32 s0, vcc_lo, exec_lo
.LBB975_289:
	s_or_b32 exec_lo, exec_lo, s25
.LBB975_290:
	s_delay_alu instid0(SALU_CYCLE_1)
	s_and_b32 s0, s0, exec_lo
	s_or_b32 s1, s1, exec_lo
.LBB975_291:
	s_or_b32 exec_lo, exec_lo, s24
	s_branch .LBB975_383
.LBB975_292:
	s_waitcnt vmcnt(0) lgkmcnt(1)
	v_or_b32_e32 v33, 7, v55
	s_mov_b32 s24, 0
	s_mov_b32 s25, 0
	s_mov_b32 s26, exec_lo
	s_delay_alu instid0(VALU_DEP_1)
	v_cmpx_gt_u32_e64 s31, v33
	s_cbranch_execz .LBB975_303
; %bb.293:
	s_and_not1_b32 vcc_lo, exec_lo, s13
	s_mov_b32 s0, 0
	s_cbranch_vccnz .LBB975_302
; %bb.294:
	v_mul_lo_u32 v37, v18, s14
	v_mul_lo_u32 v38, v17, s15
	v_mad_u64_u32 v[33:34], null, v17, s14, 0
	v_mul_lo_u32 v39, v20, s14
	v_mul_lo_u32 v40, v19, s15
	v_mad_u64_u32 v[35:36], null, v19, s14, 0
	s_mov_b32 s0, -1
	s_mov_b32 s25, exec_lo
	s_delay_alu instid0(VALU_DEP_4) | instskip(NEXT) | instid1(VALU_DEP_2)
	v_add3_u32 v34, v34, v38, v37
	v_add3_u32 v36, v36, v40, v39
	s_delay_alu instid0(VALU_DEP_2) | instskip(NEXT) | instid1(VALU_DEP_2)
	v_lshlrev_b64 v[33:34], 2, v[33:34]
	v_lshlrev_b64 v[37:38], 2, v[35:36]
	s_delay_alu instid0(VALU_DEP_2) | instskip(NEXT) | instid1(VALU_DEP_3)
	v_add_co_u32 v35, vcc_lo, s20, v33
	v_add_co_ci_u32_e32 v36, vcc_lo, s21, v34, vcc_lo
	s_delay_alu instid0(VALU_DEP_3) | instskip(NEXT) | instid1(VALU_DEP_4)
	v_add_co_u32 v33, vcc_lo, s20, v37
	v_add_co_ci_u32_e32 v34, vcc_lo, s21, v38, vcc_lo
	s_clause 0x1
	global_load_b32 v37, v[35:36], off
	global_load_b32 v38, v[33:34], off
	s_waitcnt vmcnt(0)
	v_cmpx_eq_f32_e32 v37, v38
	s_cbranch_execz .LBB975_301
; %bb.295:
	v_add_co_u32 v33, vcc_lo, v33, 4
	v_add_co_ci_u32_e32 v34, vcc_lo, 0, v34, vcc_lo
	v_add_co_u32 v35, vcc_lo, v35, 4
	v_add_co_ci_u32_e32 v36, vcc_lo, 0, v36, vcc_lo
	s_add_u32 s4, s14, -1
	s_addc_u32 s5, s15, -1
	s_mov_b64 s[6:7], 0
	s_mov_b32 s27, 0
                                        ; implicit-def: $sgpr34
	s_set_inst_prefetch_distance 0x1
	s_branch .LBB975_298
	.p2align	6
.LBB975_296:                            ;   in Loop: Header=BB975_298 Depth=1
	global_load_b32 v37, v[35:36], off
	global_load_b32 v38, v[33:34], off
	v_add_co_u32 v33, vcc_lo, v33, 4
	v_add_co_ci_u32_e32 v34, vcc_lo, 0, v34, vcc_lo
	v_add_co_u32 v35, s0, v35, 4
	s_delay_alu instid0(VALU_DEP_1)
	v_add_co_ci_u32_e64 v36, s0, 0, v36, s0
	s_add_u32 s6, s6, 1
	s_addc_u32 s7, s7, 0
	s_and_not1_b32 s0, s34, exec_lo
	s_waitcnt vmcnt(0)
	v_cmp_neq_f32_e32 vcc_lo, v37, v38
	s_and_b32 s34, vcc_lo, exec_lo
	s_delay_alu instid0(SALU_CYCLE_1)
	s_or_b32 s34, s0, s34
.LBB975_297:                            ;   in Loop: Header=BB975_298 Depth=1
	v_dual_mov_b32 v38, s7 :: v_dual_mov_b32 v37, s6
	s_and_b32 s0, exec_lo, s34
	s_delay_alu instid0(SALU_CYCLE_1) | instskip(NEXT) | instid1(SALU_CYCLE_1)
	s_or_b32 s27, s0, s27
	s_and_not1_b32 exec_lo, exec_lo, s27
	s_cbranch_execz .LBB975_300
.LBB975_298:                            ; =>This Inner Loop Header: Depth=1
	s_or_b32 s34, s34, exec_lo
	s_cmp_eq_u64 s[4:5], s[6:7]
	s_cbranch_scc0 .LBB975_296
; %bb.299:                              ;   in Loop: Header=BB975_298 Depth=1
	s_mov_b64 s[6:7], s[14:15]
                                        ; implicit-def: $vgpr33_vgpr34
                                        ; implicit-def: $vgpr35_vgpr36
	s_branch .LBB975_297
.LBB975_300:
	s_set_inst_prefetch_distance 0x2
	s_or_b32 exec_lo, exec_lo, s27
	v_cmp_gt_i64_e32 vcc_lo, s[14:15], v[37:38]
	s_or_not1_b32 s0, vcc_lo, exec_lo
.LBB975_301:
	s_or_b32 exec_lo, exec_lo, s25
.LBB975_302:
	s_delay_alu instid0(SALU_CYCLE_1)
	s_and_b32 s25, s0, exec_lo
.LBB975_303:
	s_or_b32 exec_lo, exec_lo, s26
	v_or_b32_e32 v33, 6, v55
	s_mov_b32 s26, exec_lo
	s_delay_alu instid0(VALU_DEP_1)
	v_cmpx_gt_u32_e64 s31, v33
	s_cbranch_execz .LBB975_314
; %bb.304:
	s_and_not1_b32 vcc_lo, exec_lo, s13
	s_mov_b32 s0, 0
	s_cbranch_vccnz .LBB975_313
; %bb.305:
	v_mul_lo_u32 v37, v24, s14
	v_mul_lo_u32 v38, v23, s15
	v_mad_u64_u32 v[33:34], null, v23, s14, 0
	v_mul_lo_u32 v39, v18, s14
	v_mul_lo_u32 v40, v17, s15
	v_mad_u64_u32 v[35:36], null, v17, s14, 0
	s_mov_b32 s0, -1
	s_mov_b32 s24, exec_lo
	s_delay_alu instid0(VALU_DEP_4) | instskip(NEXT) | instid1(VALU_DEP_2)
	v_add3_u32 v34, v34, v38, v37
	v_add3_u32 v36, v36, v40, v39
	s_delay_alu instid0(VALU_DEP_2) | instskip(NEXT) | instid1(VALU_DEP_2)
	v_lshlrev_b64 v[33:34], 2, v[33:34]
	v_lshlrev_b64 v[37:38], 2, v[35:36]
	s_delay_alu instid0(VALU_DEP_2) | instskip(NEXT) | instid1(VALU_DEP_3)
	v_add_co_u32 v35, vcc_lo, s20, v33
	v_add_co_ci_u32_e32 v36, vcc_lo, s21, v34, vcc_lo
	s_delay_alu instid0(VALU_DEP_3) | instskip(NEXT) | instid1(VALU_DEP_4)
	v_add_co_u32 v33, vcc_lo, s20, v37
	v_add_co_ci_u32_e32 v34, vcc_lo, s21, v38, vcc_lo
	s_clause 0x1
	global_load_b32 v37, v[35:36], off
	global_load_b32 v38, v[33:34], off
	s_waitcnt vmcnt(0)
	v_cmpx_eq_f32_e32 v37, v38
	s_cbranch_execz .LBB975_312
; %bb.306:
	v_add_co_u32 v33, vcc_lo, v33, 4
	v_add_co_ci_u32_e32 v34, vcc_lo, 0, v34, vcc_lo
	v_add_co_u32 v35, vcc_lo, v35, 4
	v_add_co_ci_u32_e32 v36, vcc_lo, 0, v36, vcc_lo
	s_add_u32 s4, s14, -1
	s_addc_u32 s5, s15, -1
	s_mov_b64 s[6:7], 0
	s_mov_b32 s27, 0
                                        ; implicit-def: $sgpr34
	s_set_inst_prefetch_distance 0x1
	s_branch .LBB975_309
	.p2align	6
.LBB975_307:                            ;   in Loop: Header=BB975_309 Depth=1
	global_load_b32 v37, v[35:36], off
	global_load_b32 v38, v[33:34], off
	v_add_co_u32 v33, vcc_lo, v33, 4
	v_add_co_ci_u32_e32 v34, vcc_lo, 0, v34, vcc_lo
	v_add_co_u32 v35, s0, v35, 4
	s_delay_alu instid0(VALU_DEP_1)
	v_add_co_ci_u32_e64 v36, s0, 0, v36, s0
	s_add_u32 s6, s6, 1
	s_addc_u32 s7, s7, 0
	s_and_not1_b32 s0, s34, exec_lo
	s_waitcnt vmcnt(0)
	v_cmp_neq_f32_e32 vcc_lo, v37, v38
	s_and_b32 s34, vcc_lo, exec_lo
	s_delay_alu instid0(SALU_CYCLE_1)
	s_or_b32 s34, s0, s34
.LBB975_308:                            ;   in Loop: Header=BB975_309 Depth=1
	v_dual_mov_b32 v38, s7 :: v_dual_mov_b32 v37, s6
	s_and_b32 s0, exec_lo, s34
	s_delay_alu instid0(SALU_CYCLE_1) | instskip(NEXT) | instid1(SALU_CYCLE_1)
	s_or_b32 s27, s0, s27
	s_and_not1_b32 exec_lo, exec_lo, s27
	s_cbranch_execz .LBB975_311
.LBB975_309:                            ; =>This Inner Loop Header: Depth=1
	s_or_b32 s34, s34, exec_lo
	s_cmp_eq_u64 s[4:5], s[6:7]
	s_cbranch_scc0 .LBB975_307
; %bb.310:                              ;   in Loop: Header=BB975_309 Depth=1
	s_mov_b64 s[6:7], s[14:15]
                                        ; implicit-def: $vgpr33_vgpr34
                                        ; implicit-def: $vgpr35_vgpr36
	s_branch .LBB975_308
.LBB975_311:
	s_set_inst_prefetch_distance 0x2
	s_or_b32 exec_lo, exec_lo, s27
	v_cmp_gt_i64_e32 vcc_lo, s[14:15], v[37:38]
	s_or_not1_b32 s0, vcc_lo, exec_lo
.LBB975_312:
	s_or_b32 exec_lo, exec_lo, s24
.LBB975_313:
	s_delay_alu instid0(SALU_CYCLE_1)
	s_and_b32 s24, s0, exec_lo
.LBB975_314:
	s_or_b32 exec_lo, exec_lo, s26
	v_or_b32_e32 v33, 5, v55
	s_mov_b32 s26, 0
	s_mov_b32 s27, 0
	s_mov_b32 s34, exec_lo
	s_delay_alu instid0(VALU_DEP_1)
	v_cmpx_gt_u32_e64 s31, v33
	s_cbranch_execz .LBB975_325
; %bb.315:
	s_and_not1_b32 vcc_lo, exec_lo, s13
	s_mov_b32 s0, 0
	s_cbranch_vccnz .LBB975_324
; %bb.316:
	v_mul_lo_u32 v37, v22, s14
	v_mul_lo_u32 v38, v21, s15
	v_mad_u64_u32 v[33:34], null, v21, s14, 0
	v_mul_lo_u32 v39, v24, s14
	v_mul_lo_u32 v40, v23, s15
	v_mad_u64_u32 v[35:36], null, v23, s14, 0
	s_mov_b32 s0, -1
	s_mov_b32 s27, exec_lo
	s_delay_alu instid0(VALU_DEP_4) | instskip(NEXT) | instid1(VALU_DEP_2)
	v_add3_u32 v34, v34, v38, v37
	v_add3_u32 v36, v36, v40, v39
	s_delay_alu instid0(VALU_DEP_2) | instskip(NEXT) | instid1(VALU_DEP_2)
	v_lshlrev_b64 v[33:34], 2, v[33:34]
	v_lshlrev_b64 v[37:38], 2, v[35:36]
	s_delay_alu instid0(VALU_DEP_2) | instskip(NEXT) | instid1(VALU_DEP_3)
	v_add_co_u32 v35, vcc_lo, s20, v33
	v_add_co_ci_u32_e32 v36, vcc_lo, s21, v34, vcc_lo
	s_delay_alu instid0(VALU_DEP_3) | instskip(NEXT) | instid1(VALU_DEP_4)
	v_add_co_u32 v33, vcc_lo, s20, v37
	v_add_co_ci_u32_e32 v34, vcc_lo, s21, v38, vcc_lo
	s_clause 0x1
	global_load_b32 v37, v[35:36], off
	global_load_b32 v38, v[33:34], off
	s_waitcnt vmcnt(0)
	v_cmpx_eq_f32_e32 v37, v38
	s_cbranch_execz .LBB975_323
; %bb.317:
	v_add_co_u32 v33, vcc_lo, v33, 4
	v_add_co_ci_u32_e32 v34, vcc_lo, 0, v34, vcc_lo
	v_add_co_u32 v35, vcc_lo, v35, 4
	v_add_co_ci_u32_e32 v36, vcc_lo, 0, v36, vcc_lo
	s_add_u32 s4, s14, -1
	s_addc_u32 s5, s15, -1
	s_mov_b64 s[6:7], 0
	s_mov_b32 s35, 0
                                        ; implicit-def: $sgpr36
	s_set_inst_prefetch_distance 0x1
	s_branch .LBB975_320
	.p2align	6
.LBB975_318:                            ;   in Loop: Header=BB975_320 Depth=1
	global_load_b32 v37, v[35:36], off
	global_load_b32 v38, v[33:34], off
	v_add_co_u32 v33, vcc_lo, v33, 4
	v_add_co_ci_u32_e32 v34, vcc_lo, 0, v34, vcc_lo
	v_add_co_u32 v35, s0, v35, 4
	s_delay_alu instid0(VALU_DEP_1)
	v_add_co_ci_u32_e64 v36, s0, 0, v36, s0
	s_add_u32 s6, s6, 1
	s_addc_u32 s7, s7, 0
	s_and_not1_b32 s0, s36, exec_lo
	s_waitcnt vmcnt(0)
	v_cmp_neq_f32_e32 vcc_lo, v37, v38
	s_and_b32 s36, vcc_lo, exec_lo
	s_delay_alu instid0(SALU_CYCLE_1)
	s_or_b32 s36, s0, s36
.LBB975_319:                            ;   in Loop: Header=BB975_320 Depth=1
	v_dual_mov_b32 v38, s7 :: v_dual_mov_b32 v37, s6
	s_and_b32 s0, exec_lo, s36
	s_delay_alu instid0(SALU_CYCLE_1) | instskip(NEXT) | instid1(SALU_CYCLE_1)
	s_or_b32 s35, s0, s35
	s_and_not1_b32 exec_lo, exec_lo, s35
	s_cbranch_execz .LBB975_322
.LBB975_320:                            ; =>This Inner Loop Header: Depth=1
	s_or_b32 s36, s36, exec_lo
	s_cmp_eq_u64 s[4:5], s[6:7]
	s_cbranch_scc0 .LBB975_318
; %bb.321:                              ;   in Loop: Header=BB975_320 Depth=1
	s_mov_b64 s[6:7], s[14:15]
                                        ; implicit-def: $vgpr33_vgpr34
                                        ; implicit-def: $vgpr35_vgpr36
	s_branch .LBB975_319
.LBB975_322:
	s_set_inst_prefetch_distance 0x2
	s_or_b32 exec_lo, exec_lo, s35
	v_cmp_gt_i64_e32 vcc_lo, s[14:15], v[37:38]
	s_or_not1_b32 s0, vcc_lo, exec_lo
.LBB975_323:
	s_or_b32 exec_lo, exec_lo, s27
.LBB975_324:
	s_delay_alu instid0(SALU_CYCLE_1)
	s_and_b32 s27, s0, exec_lo
.LBB975_325:
	s_or_b32 exec_lo, exec_lo, s34
	v_or_b32_e32 v33, 4, v55
	s_mov_b32 s34, exec_lo
	s_delay_alu instid0(VALU_DEP_1)
	v_cmpx_gt_u32_e64 s31, v33
	s_cbranch_execz .LBB975_336
; %bb.326:
	s_and_not1_b32 vcc_lo, exec_lo, s13
	s_mov_b32 s0, 0
	s_cbranch_vccnz .LBB975_335
; %bb.327:
	v_mul_lo_u32 v37, v28, s14
	v_mul_lo_u32 v38, v27, s15
	v_mad_u64_u32 v[33:34], null, v27, s14, 0
	v_mul_lo_u32 v39, v22, s14
	v_mul_lo_u32 v40, v21, s15
	v_mad_u64_u32 v[35:36], null, v21, s14, 0
	s_mov_b32 s0, -1
	s_mov_b32 s26, exec_lo
	s_delay_alu instid0(VALU_DEP_4) | instskip(NEXT) | instid1(VALU_DEP_2)
	v_add3_u32 v34, v34, v38, v37
	v_add3_u32 v36, v36, v40, v39
	s_delay_alu instid0(VALU_DEP_2) | instskip(NEXT) | instid1(VALU_DEP_2)
	v_lshlrev_b64 v[33:34], 2, v[33:34]
	v_lshlrev_b64 v[37:38], 2, v[35:36]
	s_delay_alu instid0(VALU_DEP_2) | instskip(NEXT) | instid1(VALU_DEP_3)
	v_add_co_u32 v35, vcc_lo, s20, v33
	v_add_co_ci_u32_e32 v36, vcc_lo, s21, v34, vcc_lo
	s_delay_alu instid0(VALU_DEP_3) | instskip(NEXT) | instid1(VALU_DEP_4)
	v_add_co_u32 v33, vcc_lo, s20, v37
	v_add_co_ci_u32_e32 v34, vcc_lo, s21, v38, vcc_lo
	s_clause 0x1
	global_load_b32 v37, v[35:36], off
	global_load_b32 v38, v[33:34], off
	s_waitcnt vmcnt(0)
	v_cmpx_eq_f32_e32 v37, v38
	s_cbranch_execz .LBB975_334
; %bb.328:
	v_add_co_u32 v33, vcc_lo, v33, 4
	v_add_co_ci_u32_e32 v34, vcc_lo, 0, v34, vcc_lo
	v_add_co_u32 v35, vcc_lo, v35, 4
	v_add_co_ci_u32_e32 v36, vcc_lo, 0, v36, vcc_lo
	s_add_u32 s4, s14, -1
	s_addc_u32 s5, s15, -1
	s_mov_b64 s[6:7], 0
	s_mov_b32 s35, 0
                                        ; implicit-def: $sgpr36
	s_set_inst_prefetch_distance 0x1
	s_branch .LBB975_331
	.p2align	6
.LBB975_329:                            ;   in Loop: Header=BB975_331 Depth=1
	global_load_b32 v37, v[35:36], off
	global_load_b32 v38, v[33:34], off
	v_add_co_u32 v33, vcc_lo, v33, 4
	v_add_co_ci_u32_e32 v34, vcc_lo, 0, v34, vcc_lo
	v_add_co_u32 v35, s0, v35, 4
	s_delay_alu instid0(VALU_DEP_1)
	v_add_co_ci_u32_e64 v36, s0, 0, v36, s0
	s_add_u32 s6, s6, 1
	s_addc_u32 s7, s7, 0
	s_and_not1_b32 s0, s36, exec_lo
	s_waitcnt vmcnt(0)
	v_cmp_neq_f32_e32 vcc_lo, v37, v38
	s_and_b32 s36, vcc_lo, exec_lo
	s_delay_alu instid0(SALU_CYCLE_1)
	s_or_b32 s36, s0, s36
.LBB975_330:                            ;   in Loop: Header=BB975_331 Depth=1
	v_dual_mov_b32 v38, s7 :: v_dual_mov_b32 v37, s6
	s_and_b32 s0, exec_lo, s36
	s_delay_alu instid0(SALU_CYCLE_1) | instskip(NEXT) | instid1(SALU_CYCLE_1)
	s_or_b32 s35, s0, s35
	s_and_not1_b32 exec_lo, exec_lo, s35
	s_cbranch_execz .LBB975_333
.LBB975_331:                            ; =>This Inner Loop Header: Depth=1
	s_or_b32 s36, s36, exec_lo
	s_cmp_eq_u64 s[4:5], s[6:7]
	s_cbranch_scc0 .LBB975_329
; %bb.332:                              ;   in Loop: Header=BB975_331 Depth=1
	s_mov_b64 s[6:7], s[14:15]
                                        ; implicit-def: $vgpr33_vgpr34
                                        ; implicit-def: $vgpr35_vgpr36
	s_branch .LBB975_330
.LBB975_333:
	s_set_inst_prefetch_distance 0x2
	s_or_b32 exec_lo, exec_lo, s35
	v_cmp_gt_i64_e32 vcc_lo, s[14:15], v[37:38]
	s_or_not1_b32 s0, vcc_lo, exec_lo
.LBB975_334:
	s_or_b32 exec_lo, exec_lo, s26
.LBB975_335:
	s_delay_alu instid0(SALU_CYCLE_1)
	s_and_b32 s26, s0, exec_lo
.LBB975_336:
	s_or_b32 exec_lo, exec_lo, s34
	v_or_b32_e32 v33, 3, v55
	s_mov_b32 s35, 0
	s_mov_b32 s34, 0
	s_mov_b32 s36, exec_lo
	s_delay_alu instid0(VALU_DEP_1)
	v_cmpx_gt_u32_e64 s31, v33
	s_cbranch_execz .LBB975_347
; %bb.337:
	s_and_not1_b32 vcc_lo, exec_lo, s13
	s_mov_b32 s0, 0
	s_cbranch_vccnz .LBB975_346
; %bb.338:
	v_mul_lo_u32 v37, v26, s14
	v_mul_lo_u32 v38, v25, s15
	v_mad_u64_u32 v[33:34], null, v25, s14, 0
	v_mul_lo_u32 v39, v28, s14
	v_mul_lo_u32 v40, v27, s15
	v_mad_u64_u32 v[35:36], null, v27, s14, 0
	s_mov_b32 s0, -1
	s_mov_b32 s34, exec_lo
	s_delay_alu instid0(VALU_DEP_4) | instskip(NEXT) | instid1(VALU_DEP_2)
	v_add3_u32 v34, v34, v38, v37
	v_add3_u32 v36, v36, v40, v39
	s_delay_alu instid0(VALU_DEP_2) | instskip(NEXT) | instid1(VALU_DEP_2)
	v_lshlrev_b64 v[33:34], 2, v[33:34]
	v_lshlrev_b64 v[37:38], 2, v[35:36]
	s_delay_alu instid0(VALU_DEP_2) | instskip(NEXT) | instid1(VALU_DEP_3)
	v_add_co_u32 v35, vcc_lo, s20, v33
	v_add_co_ci_u32_e32 v36, vcc_lo, s21, v34, vcc_lo
	s_delay_alu instid0(VALU_DEP_3) | instskip(NEXT) | instid1(VALU_DEP_4)
	v_add_co_u32 v33, vcc_lo, s20, v37
	v_add_co_ci_u32_e32 v34, vcc_lo, s21, v38, vcc_lo
	s_clause 0x1
	global_load_b32 v37, v[35:36], off
	global_load_b32 v38, v[33:34], off
	s_waitcnt vmcnt(0)
	v_cmpx_eq_f32_e32 v37, v38
	s_cbranch_execz .LBB975_345
; %bb.339:
	v_add_co_u32 v33, vcc_lo, v33, 4
	v_add_co_ci_u32_e32 v34, vcc_lo, 0, v34, vcc_lo
	v_add_co_u32 v35, vcc_lo, v35, 4
	v_add_co_ci_u32_e32 v36, vcc_lo, 0, v36, vcc_lo
	s_add_u32 s4, s14, -1
	s_addc_u32 s5, s15, -1
	s_mov_b64 s[6:7], 0
	s_mov_b32 s37, 0
                                        ; implicit-def: $sgpr38
	s_set_inst_prefetch_distance 0x1
	s_branch .LBB975_342
	.p2align	6
.LBB975_340:                            ;   in Loop: Header=BB975_342 Depth=1
	global_load_b32 v37, v[35:36], off
	global_load_b32 v38, v[33:34], off
	v_add_co_u32 v33, vcc_lo, v33, 4
	v_add_co_ci_u32_e32 v34, vcc_lo, 0, v34, vcc_lo
	v_add_co_u32 v35, s0, v35, 4
	s_delay_alu instid0(VALU_DEP_1)
	v_add_co_ci_u32_e64 v36, s0, 0, v36, s0
	s_add_u32 s6, s6, 1
	s_addc_u32 s7, s7, 0
	s_and_not1_b32 s0, s38, exec_lo
	s_waitcnt vmcnt(0)
	v_cmp_neq_f32_e32 vcc_lo, v37, v38
	s_and_b32 s38, vcc_lo, exec_lo
	s_delay_alu instid0(SALU_CYCLE_1)
	s_or_b32 s38, s0, s38
.LBB975_341:                            ;   in Loop: Header=BB975_342 Depth=1
	v_dual_mov_b32 v38, s7 :: v_dual_mov_b32 v37, s6
	s_and_b32 s0, exec_lo, s38
	s_delay_alu instid0(SALU_CYCLE_1) | instskip(NEXT) | instid1(SALU_CYCLE_1)
	s_or_b32 s37, s0, s37
	s_and_not1_b32 exec_lo, exec_lo, s37
	s_cbranch_execz .LBB975_344
.LBB975_342:                            ; =>This Inner Loop Header: Depth=1
	s_or_b32 s38, s38, exec_lo
	s_cmp_eq_u64 s[4:5], s[6:7]
	s_cbranch_scc0 .LBB975_340
; %bb.343:                              ;   in Loop: Header=BB975_342 Depth=1
	s_mov_b64 s[6:7], s[14:15]
                                        ; implicit-def: $vgpr33_vgpr34
                                        ; implicit-def: $vgpr35_vgpr36
	s_branch .LBB975_341
.LBB975_344:
	s_set_inst_prefetch_distance 0x2
	s_or_b32 exec_lo, exec_lo, s37
	v_cmp_gt_i64_e32 vcc_lo, s[14:15], v[37:38]
	s_or_not1_b32 s0, vcc_lo, exec_lo
.LBB975_345:
	s_or_b32 exec_lo, exec_lo, s34
.LBB975_346:
	s_delay_alu instid0(SALU_CYCLE_1)
	s_and_b32 s34, s0, exec_lo
.LBB975_347:
	s_or_b32 exec_lo, exec_lo, s36
	v_or_b32_e32 v33, 2, v55
	s_mov_b32 s36, exec_lo
	s_delay_alu instid0(VALU_DEP_1)
	v_cmpx_gt_u32_e64 s31, v33
	s_cbranch_execz .LBB975_358
; %bb.348:
	s_and_not1_b32 vcc_lo, exec_lo, s13
	s_mov_b32 s0, 0
	s_cbranch_vccnz .LBB975_357
; %bb.349:
	v_mul_lo_u32 v37, v32, s14
	v_mul_lo_u32 v38, v31, s15
	v_mad_u64_u32 v[33:34], null, v31, s14, 0
	v_mul_lo_u32 v39, v26, s14
	v_mul_lo_u32 v40, v25, s15
	v_mad_u64_u32 v[35:36], null, v25, s14, 0
	s_mov_b32 s0, -1
	s_mov_b32 s35, exec_lo
	s_delay_alu instid0(VALU_DEP_4) | instskip(NEXT) | instid1(VALU_DEP_2)
	v_add3_u32 v34, v34, v38, v37
	v_add3_u32 v36, v36, v40, v39
	s_delay_alu instid0(VALU_DEP_2) | instskip(NEXT) | instid1(VALU_DEP_2)
	v_lshlrev_b64 v[33:34], 2, v[33:34]
	v_lshlrev_b64 v[37:38], 2, v[35:36]
	s_delay_alu instid0(VALU_DEP_2) | instskip(NEXT) | instid1(VALU_DEP_3)
	v_add_co_u32 v35, vcc_lo, s20, v33
	v_add_co_ci_u32_e32 v36, vcc_lo, s21, v34, vcc_lo
	s_delay_alu instid0(VALU_DEP_3) | instskip(NEXT) | instid1(VALU_DEP_4)
	v_add_co_u32 v33, vcc_lo, s20, v37
	v_add_co_ci_u32_e32 v34, vcc_lo, s21, v38, vcc_lo
	s_clause 0x1
	global_load_b32 v37, v[35:36], off
	global_load_b32 v38, v[33:34], off
	s_waitcnt vmcnt(0)
	v_cmpx_eq_f32_e32 v37, v38
	s_cbranch_execz .LBB975_356
; %bb.350:
	v_add_co_u32 v33, vcc_lo, v33, 4
	v_add_co_ci_u32_e32 v34, vcc_lo, 0, v34, vcc_lo
	v_add_co_u32 v35, vcc_lo, v35, 4
	v_add_co_ci_u32_e32 v36, vcc_lo, 0, v36, vcc_lo
	s_add_u32 s4, s14, -1
	s_addc_u32 s5, s15, -1
	s_mov_b64 s[6:7], 0
	s_mov_b32 s37, 0
                                        ; implicit-def: $sgpr38
	s_set_inst_prefetch_distance 0x1
	s_branch .LBB975_353
	.p2align	6
.LBB975_351:                            ;   in Loop: Header=BB975_353 Depth=1
	global_load_b32 v37, v[35:36], off
	global_load_b32 v38, v[33:34], off
	v_add_co_u32 v33, vcc_lo, v33, 4
	v_add_co_ci_u32_e32 v34, vcc_lo, 0, v34, vcc_lo
	v_add_co_u32 v35, s0, v35, 4
	s_delay_alu instid0(VALU_DEP_1)
	v_add_co_ci_u32_e64 v36, s0, 0, v36, s0
	s_add_u32 s6, s6, 1
	s_addc_u32 s7, s7, 0
	s_and_not1_b32 s0, s38, exec_lo
	s_waitcnt vmcnt(0)
	v_cmp_neq_f32_e32 vcc_lo, v37, v38
	s_and_b32 s38, vcc_lo, exec_lo
	s_delay_alu instid0(SALU_CYCLE_1)
	s_or_b32 s38, s0, s38
.LBB975_352:                            ;   in Loop: Header=BB975_353 Depth=1
	v_dual_mov_b32 v38, s7 :: v_dual_mov_b32 v37, s6
	s_and_b32 s0, exec_lo, s38
	s_delay_alu instid0(SALU_CYCLE_1) | instskip(NEXT) | instid1(SALU_CYCLE_1)
	s_or_b32 s37, s0, s37
	s_and_not1_b32 exec_lo, exec_lo, s37
	s_cbranch_execz .LBB975_355
.LBB975_353:                            ; =>This Inner Loop Header: Depth=1
	s_or_b32 s38, s38, exec_lo
	s_cmp_eq_u64 s[4:5], s[6:7]
	s_cbranch_scc0 .LBB975_351
; %bb.354:                              ;   in Loop: Header=BB975_353 Depth=1
	s_mov_b64 s[6:7], s[14:15]
                                        ; implicit-def: $vgpr33_vgpr34
                                        ; implicit-def: $vgpr35_vgpr36
	s_branch .LBB975_352
.LBB975_355:
	s_set_inst_prefetch_distance 0x2
	s_or_b32 exec_lo, exec_lo, s37
	v_cmp_gt_i64_e32 vcc_lo, s[14:15], v[37:38]
	s_or_not1_b32 s0, vcc_lo, exec_lo
.LBB975_356:
	s_or_b32 exec_lo, exec_lo, s35
.LBB975_357:
	s_delay_alu instid0(SALU_CYCLE_1)
	s_and_b32 s35, s0, exec_lo
.LBB975_358:
	s_or_b32 exec_lo, exec_lo, s36
	v_or_b32_e32 v33, 1, v55
	s_mov_b32 s0, 0
	s_mov_b32 s36, exec_lo
	s_delay_alu instid0(VALU_DEP_1)
	v_cmpx_gt_u32_e64 s31, v33
	s_cbranch_execz .LBB975_369
; %bb.359:
	s_and_not1_b32 vcc_lo, exec_lo, s13
	s_cbranch_vccnz .LBB975_368
; %bb.360:
	v_mul_lo_u32 v37, v30, s14
	v_mul_lo_u32 v38, v29, s15
	v_mad_u64_u32 v[33:34], null, v29, s14, 0
	v_mul_lo_u32 v39, v32, s14
	v_mul_lo_u32 v40, v31, s15
	v_mad_u64_u32 v[35:36], null, v31, s14, 0
	s_mov_b32 s0, -1
	s_mov_b32 s37, exec_lo
	s_delay_alu instid0(VALU_DEP_4) | instskip(NEXT) | instid1(VALU_DEP_2)
	v_add3_u32 v34, v34, v38, v37
	v_add3_u32 v36, v36, v40, v39
	s_delay_alu instid0(VALU_DEP_2) | instskip(NEXT) | instid1(VALU_DEP_2)
	v_lshlrev_b64 v[33:34], 2, v[33:34]
	v_lshlrev_b64 v[37:38], 2, v[35:36]
	s_delay_alu instid0(VALU_DEP_2) | instskip(NEXT) | instid1(VALU_DEP_3)
	v_add_co_u32 v35, vcc_lo, s20, v33
	v_add_co_ci_u32_e32 v36, vcc_lo, s21, v34, vcc_lo
	s_delay_alu instid0(VALU_DEP_3) | instskip(NEXT) | instid1(VALU_DEP_4)
	v_add_co_u32 v33, vcc_lo, s20, v37
	v_add_co_ci_u32_e32 v34, vcc_lo, s21, v38, vcc_lo
	s_clause 0x1
	global_load_b32 v37, v[35:36], off
	global_load_b32 v38, v[33:34], off
	s_waitcnt vmcnt(0)
	v_cmpx_eq_f32_e32 v37, v38
	s_cbranch_execz .LBB975_367
; %bb.361:
	v_add_co_u32 v33, vcc_lo, v33, 4
	v_add_co_ci_u32_e32 v34, vcc_lo, 0, v34, vcc_lo
	v_add_co_u32 v35, vcc_lo, v35, 4
	v_add_co_ci_u32_e32 v36, vcc_lo, 0, v36, vcc_lo
	s_add_u32 s4, s14, -1
	s_addc_u32 s5, s15, -1
	s_mov_b64 s[6:7], 0
	s_mov_b32 s38, 0
                                        ; implicit-def: $sgpr39
	s_set_inst_prefetch_distance 0x1
	s_branch .LBB975_364
	.p2align	6
.LBB975_362:                            ;   in Loop: Header=BB975_364 Depth=1
	global_load_b32 v37, v[35:36], off
	global_load_b32 v38, v[33:34], off
	v_add_co_u32 v33, vcc_lo, v33, 4
	v_add_co_ci_u32_e32 v34, vcc_lo, 0, v34, vcc_lo
	v_add_co_u32 v35, s0, v35, 4
	s_delay_alu instid0(VALU_DEP_1)
	v_add_co_ci_u32_e64 v36, s0, 0, v36, s0
	s_add_u32 s6, s6, 1
	s_addc_u32 s7, s7, 0
	s_and_not1_b32 s0, s39, exec_lo
	s_waitcnt vmcnt(0)
	v_cmp_neq_f32_e32 vcc_lo, v37, v38
	s_and_b32 s39, vcc_lo, exec_lo
	s_delay_alu instid0(SALU_CYCLE_1)
	s_or_b32 s39, s0, s39
.LBB975_363:                            ;   in Loop: Header=BB975_364 Depth=1
	v_dual_mov_b32 v38, s7 :: v_dual_mov_b32 v37, s6
	s_and_b32 s0, exec_lo, s39
	s_delay_alu instid0(SALU_CYCLE_1) | instskip(NEXT) | instid1(SALU_CYCLE_1)
	s_or_b32 s38, s0, s38
	s_and_not1_b32 exec_lo, exec_lo, s38
	s_cbranch_execz .LBB975_366
.LBB975_364:                            ; =>This Inner Loop Header: Depth=1
	s_or_b32 s39, s39, exec_lo
	s_cmp_eq_u64 s[4:5], s[6:7]
	s_cbranch_scc0 .LBB975_362
; %bb.365:                              ;   in Loop: Header=BB975_364 Depth=1
	s_mov_b64 s[6:7], s[14:15]
                                        ; implicit-def: $vgpr33_vgpr34
                                        ; implicit-def: $vgpr35_vgpr36
	s_branch .LBB975_363
.LBB975_366:
	s_set_inst_prefetch_distance 0x2
	s_or_b32 exec_lo, exec_lo, s38
	v_cmp_gt_i64_e32 vcc_lo, s[14:15], v[37:38]
	s_or_not1_b32 s0, vcc_lo, exec_lo
.LBB975_367:
	s_or_b32 exec_lo, exec_lo, s37
.LBB975_368:
	s_delay_alu instid0(SALU_CYCLE_1)
	s_and_b32 s0, s0, exec_lo
.LBB975_369:
	s_or_b32 exec_lo, exec_lo, s36
	v_cndmask_b32_e64 v34, 0, 1, s34
	v_cndmask_b32_e64 v35, 0, 1, s27
	;; [unrolled: 1-line block ×7, first 2 shown]
	v_lshlrev_b16 v35, 8, v35
	v_lshlrev_b16 v36, 8, v36
	;; [unrolled: 1-line block ×4, first 2 shown]
	s_waitcnt lgkmcnt(0)
	v_or_b32_e32 v35, v38, v35
	v_or_b32_e32 v36, v39, v36
	;; [unrolled: 1-line block ×4, first 2 shown]
	s_barrier
	v_and_b32_e32 v34, 0xffff, v35
	v_lshlrev_b32_e32 v35, 16, v36
	v_and_b32_e32 v37, 0xffff, v37
	v_lshlrev_b32_e32 v33, 16, v33
	buffer_gl0_inv
                                        ; implicit-def: $sgpr0
	v_or_b32_e32 v36, v34, v35
	v_or_b32_e32 v35, v37, v33
	s_and_saveexec_b32 s24, s3
	s_cbranch_execz .LBB975_382
; %bb.370:
	s_mov_b32 s0, 0
	s_mov_b32 s3, exec_lo
	v_cmpx_gt_u32_e64 s31, v55
	s_cbranch_execz .LBB975_381
; %bb.371:
	s_and_not1_b32 vcc_lo, exec_lo, s13
	s_cbranch_vccnz .LBB975_380
; %bb.372:
	v_add_nc_u32_e32 v33, -8, v55
	v_mul_lo_u32 v41, v30, s14
	v_mul_lo_u32 v42, v29, s15
	s_mov_b32 s0, -1
	s_mov_b32 s13, exec_lo
	ds_load_b64 v[33:34], v33
	s_waitcnt lgkmcnt(0)
	v_mul_lo_u32 v39, v34, s14
	v_mul_lo_u32 v40, v33, s15
	v_mad_u64_u32 v[37:38], null, v33, s14, 0
	v_mad_u64_u32 v[33:34], null, v29, s14, 0
	s_delay_alu instid0(VALU_DEP_2) | instskip(NEXT) | instid1(VALU_DEP_2)
	v_add3_u32 v38, v38, v40, v39
	v_add3_u32 v34, v34, v42, v41
	s_delay_alu instid0(VALU_DEP_2) | instskip(NEXT) | instid1(VALU_DEP_2)
	v_lshlrev_b64 v[37:38], 2, v[37:38]
	v_lshlrev_b64 v[33:34], 2, v[33:34]
	s_delay_alu instid0(VALU_DEP_2) | instskip(NEXT) | instid1(VALU_DEP_3)
	v_add_co_u32 v37, vcc_lo, s20, v37
	v_add_co_ci_u32_e32 v38, vcc_lo, s21, v38, vcc_lo
	s_delay_alu instid0(VALU_DEP_3) | instskip(NEXT) | instid1(VALU_DEP_4)
	v_add_co_u32 v33, vcc_lo, s20, v33
	v_add_co_ci_u32_e32 v34, vcc_lo, s21, v34, vcc_lo
	s_clause 0x1
	global_load_b32 v39, v[37:38], off
	global_load_b32 v40, v[33:34], off
	s_waitcnt vmcnt(0)
	v_cmpx_eq_f32_e32 v39, v40
	s_cbranch_execz .LBB975_379
; %bb.373:
	v_add_co_u32 v33, vcc_lo, v33, 4
	v_add_co_ci_u32_e32 v34, vcc_lo, 0, v34, vcc_lo
	v_add_co_u32 v37, vcc_lo, v37, 4
	v_add_co_ci_u32_e32 v38, vcc_lo, 0, v38, vcc_lo
	s_add_u32 s4, s14, -1
	s_addc_u32 s5, s15, -1
	s_mov_b64 s[6:7], 0
	s_mov_b32 s20, 0
                                        ; implicit-def: $sgpr21
	s_set_inst_prefetch_distance 0x1
	s_branch .LBB975_376
	.p2align	6
.LBB975_374:                            ;   in Loop: Header=BB975_376 Depth=1
	global_load_b32 v39, v[37:38], off
	global_load_b32 v40, v[33:34], off
	v_add_co_u32 v33, vcc_lo, v33, 4
	v_add_co_ci_u32_e32 v34, vcc_lo, 0, v34, vcc_lo
	v_add_co_u32 v37, s0, v37, 4
	s_delay_alu instid0(VALU_DEP_1)
	v_add_co_ci_u32_e64 v38, s0, 0, v38, s0
	s_add_u32 s6, s6, 1
	s_addc_u32 s7, s7, 0
	s_and_not1_b32 s0, s21, exec_lo
	s_waitcnt vmcnt(0)
	v_cmp_neq_f32_e32 vcc_lo, v39, v40
	s_and_b32 s21, vcc_lo, exec_lo
	s_delay_alu instid0(SALU_CYCLE_1)
	s_or_b32 s21, s0, s21
.LBB975_375:                            ;   in Loop: Header=BB975_376 Depth=1
	v_dual_mov_b32 v40, s7 :: v_dual_mov_b32 v39, s6
	s_and_b32 s0, exec_lo, s21
	s_delay_alu instid0(SALU_CYCLE_1) | instskip(NEXT) | instid1(SALU_CYCLE_1)
	s_or_b32 s20, s0, s20
	s_and_not1_b32 exec_lo, exec_lo, s20
	s_cbranch_execz .LBB975_378
.LBB975_376:                            ; =>This Inner Loop Header: Depth=1
	s_or_b32 s21, s21, exec_lo
	s_cmp_eq_u64 s[4:5], s[6:7]
	s_cbranch_scc0 .LBB975_374
; %bb.377:                              ;   in Loop: Header=BB975_376 Depth=1
	s_mov_b64 s[6:7], s[14:15]
                                        ; implicit-def: $vgpr33_vgpr34
                                        ; implicit-def: $vgpr37_vgpr38
	s_branch .LBB975_375
.LBB975_378:
	s_set_inst_prefetch_distance 0x2
	s_or_b32 exec_lo, exec_lo, s20
	v_cmp_gt_i64_e32 vcc_lo, s[14:15], v[39:40]
	s_or_not1_b32 s0, vcc_lo, exec_lo
.LBB975_379:
	s_or_b32 exec_lo, exec_lo, s13
.LBB975_380:
	s_delay_alu instid0(SALU_CYCLE_1)
	s_and_b32 s0, s0, exec_lo
.LBB975_381:
	s_or_b32 exec_lo, exec_lo, s3
	s_delay_alu instid0(SALU_CYCLE_1)
	s_and_b32 s0, s0, exec_lo
	s_or_b32 s1, s1, exec_lo
.LBB975_382:
	s_or_b32 exec_lo, exec_lo, s24
.LBB975_383:
	s_and_saveexec_b32 s3, s1
	s_cbranch_execz .LBB975_385
; %bb.384:
	s_waitcnt vmcnt(0) lgkmcnt(0)
	v_and_b32_e32 v33, 0xffffff00, v35
	v_cndmask_b32_e64 v34, 0, 1, s0
	s_delay_alu instid0(VALU_DEP_1) | instskip(NEXT) | instid1(VALU_DEP_1)
	v_or_b32_e32 v33, v34, v33
	v_and_b32_e32 v33, 0xffff, v33
	s_delay_alu instid0(VALU_DEP_1)
	v_and_or_b32 v35, 0xffff0000, v35, v33
.LBB975_385:
	s_or_b32 exec_lo, exec_lo, s3
	s_delay_alu instid0(SALU_CYCLE_1)
	s_and_not1_b32 vcc_lo, exec_lo, s33
	s_cbranch_vccnz .LBB975_387
; %bb.386:
	v_cmp_gt_u32_e32 vcc_lo, s31, v55
	s_waitcnt vmcnt(0) lgkmcnt(0)
	v_or_b32_e32 v34, 1, v55
	v_and_b32_e32 v37, 0xffffff00, v36
	v_or_b32_e32 v38, 2, v55
	v_cndmask_b32_e32 v33, 0, v35, vcc_lo
	s_delay_alu instid0(VALU_DEP_4) | instskip(SKIP_1) | instid1(VALU_DEP_4)
	v_cmp_gt_u32_e32 vcc_lo, s31, v34
	v_or_b32_e32 v34, 4, v55
	v_cmp_gt_u32_e64 s0, s31, v38
	v_or_b32_e32 v38, 3, v55
	v_and_b32_e32 v33, 0xff, v33
	s_delay_alu instid0(VALU_DEP_2) | instskip(NEXT) | instid1(VALU_DEP_2)
	v_cmp_gt_u32_e64 s1, s31, v38
	v_cndmask_b32_e32 v33, v33, v35, vcc_lo
	v_cmp_gt_u32_e32 vcc_lo, s31, v34
	v_cndmask_b32_e32 v34, v37, v36, vcc_lo
	v_or_b32_e32 v37, 5, v55
	s_delay_alu instid0(VALU_DEP_2) | instskip(SKIP_1) | instid1(VALU_DEP_1)
	v_and_b32_e32 v34, 0xffff00ff, v34
	v_and_b32_e32 v33, 0xffff, v33
	v_cndmask_b32_e64 v33, v33, v35, s0
	s_delay_alu instid0(VALU_DEP_4) | instskip(SKIP_1) | instid1(VALU_DEP_3)
	v_cmp_gt_u32_e64 s0, s31, v37
	v_or_b32_e32 v37, 6, v55
	v_and_b32_e32 v33, 0xffffff, v33
	s_delay_alu instid0(VALU_DEP_3) | instskip(NEXT) | instid1(VALU_DEP_2)
	v_cndmask_b32_e64 v34, v34, v36, s0
	v_cndmask_b32_e64 v33, v33, v35, s1
	s_delay_alu instid0(VALU_DEP_1) | instskip(SKIP_2) | instid1(VALU_DEP_3)
	v_dual_cndmask_b32 v33, v33, v35 :: v_dual_and_b32 v34, 0xff00ffff, v34
	v_cmp_gt_u32_e32 vcc_lo, s31, v37
	v_or_b32_e32 v37, 7, v55
	v_cndmask_b32_e64 v33, v33, v35, s0
	s_delay_alu instid0(VALU_DEP_1) | instskip(NEXT) | instid1(VALU_DEP_1)
	v_dual_cndmask_b32 v34, v34, v36 :: v_dual_cndmask_b32 v33, v33, v35
	v_and_b32_e32 v34, 0xffffff, v34
	s_delay_alu instid0(VALU_DEP_4) | instskip(NEXT) | instid1(VALU_DEP_2)
	v_cmp_gt_u32_e32 vcc_lo, s31, v37
	v_dual_cndmask_b32 v36, v34, v36 :: v_dual_cndmask_b32 v35, v33, v35
.LBB975_387:
	s_delay_alu instid0(VALU_DEP_1) | instskip(SKIP_1) | instid1(VALU_DEP_2)
	v_and_b32_e32 v44, 0xff, v35
	s_waitcnt vmcnt(0) lgkmcnt(0)
	v_alignbit_b32 v33, v36, v35, 24
	v_bfe_u32 v46, v35, 8, 8
	v_bfe_u32 v48, v35, 16, 8
	v_and_b32_e32 v52, 0xff, v36
	v_bfe_u32 v54, v36, 8, 8
	v_and_b32_e32 v50, 0xff, v33
	v_add_nc_u32_e32 v33, v46, v44
	v_mbcnt_lo_u32_b32 v58, -1, 0
	v_bfe_u32 v57, v36, 16, 8
	v_lshrrev_b32_e32 v56, 24, v36
	v_lshrrev_b32_e32 v59, 5, v0
	v_add3_u32 v33, v33, v48, v50
	v_and_b32_e32 v34, 15, v58
	v_and_b32_e32 v37, 16, v58
	s_and_b32 vcc_lo, exec_lo, s12
	s_mov_b32 s7, -1
	v_add3_u32 v33, v33, v52, v54
	v_cmp_eq_u32_e64 s3, 0, v34
	v_cmp_lt_u32_e64 s0, 1, v34
	v_cmp_lt_u32_e64 s4, 3, v34
	;; [unrolled: 1-line block ×3, first 2 shown]
	v_add3_u32 v60, v33, v57, v56
	v_or_b32_e32 v33, 31, v0
	v_cmp_eq_u32_e64 s6, 0, v37
	s_barrier
	buffer_gl0_inv
	v_cmp_eq_u32_e64 s5, v33, v0
	s_cbranch_vccz .LBB975_418
; %bb.388:
	v_mov_b32_dpp v33, v60 row_shr:1 row_mask:0xf bank_mask:0xf
	s_delay_alu instid0(VALU_DEP_1) | instskip(NEXT) | instid1(VALU_DEP_1)
	v_cndmask_b32_e64 v33, v33, 0, s3
	v_add_nc_u32_e32 v33, v33, v60
	s_delay_alu instid0(VALU_DEP_1) | instskip(NEXT) | instid1(VALU_DEP_1)
	v_mov_b32_dpp v34, v33 row_shr:2 row_mask:0xf bank_mask:0xf
	v_cndmask_b32_e64 v34, 0, v34, s0
	s_delay_alu instid0(VALU_DEP_1) | instskip(NEXT) | instid1(VALU_DEP_1)
	v_add_nc_u32_e32 v33, v33, v34
	v_mov_b32_dpp v34, v33 row_shr:4 row_mask:0xf bank_mask:0xf
	s_delay_alu instid0(VALU_DEP_1) | instskip(NEXT) | instid1(VALU_DEP_1)
	v_cndmask_b32_e64 v34, 0, v34, s4
	v_add_nc_u32_e32 v33, v33, v34
	s_delay_alu instid0(VALU_DEP_1) | instskip(NEXT) | instid1(VALU_DEP_1)
	v_mov_b32_dpp v34, v33 row_shr:8 row_mask:0xf bank_mask:0xf
	v_cndmask_b32_e64 v34, 0, v34, s1
	s_delay_alu instid0(VALU_DEP_1) | instskip(SKIP_3) | instid1(VALU_DEP_1)
	v_add_nc_u32_e32 v33, v33, v34
	ds_swizzle_b32 v34, v33 offset:swizzle(BROADCAST,32,15)
	s_waitcnt lgkmcnt(0)
	v_cndmask_b32_e64 v34, v34, 0, s6
	v_add_nc_u32_e32 v33, v33, v34
	s_and_saveexec_b32 s7, s5
	s_cbranch_execz .LBB975_390
; %bb.389:
	v_lshlrev_b32_e32 v34, 2, v59
	ds_store_b32 v34, v33
.LBB975_390:
	s_or_b32 exec_lo, exec_lo, s7
	s_delay_alu instid0(SALU_CYCLE_1)
	s_mov_b32 s7, exec_lo
	s_waitcnt lgkmcnt(0)
	s_barrier
	buffer_gl0_inv
	v_cmpx_gt_u32_e32 16, v0
	s_cbranch_execz .LBB975_392
; %bb.391:
	v_lshlrev_b32_e32 v34, 2, v0
	ds_load_b32 v37, v34
	s_waitcnt lgkmcnt(0)
	v_mov_b32_dpp v38, v37 row_shr:1 row_mask:0xf bank_mask:0xf
	s_delay_alu instid0(VALU_DEP_1) | instskip(NEXT) | instid1(VALU_DEP_1)
	v_cndmask_b32_e64 v38, v38, 0, s3
	v_add_nc_u32_e32 v37, v38, v37
	s_delay_alu instid0(VALU_DEP_1) | instskip(NEXT) | instid1(VALU_DEP_1)
	v_mov_b32_dpp v38, v37 row_shr:2 row_mask:0xf bank_mask:0xf
	v_cndmask_b32_e64 v38, 0, v38, s0
	s_delay_alu instid0(VALU_DEP_1) | instskip(NEXT) | instid1(VALU_DEP_1)
	v_add_nc_u32_e32 v37, v37, v38
	v_mov_b32_dpp v38, v37 row_shr:4 row_mask:0xf bank_mask:0xf
	s_delay_alu instid0(VALU_DEP_1) | instskip(NEXT) | instid1(VALU_DEP_1)
	v_cndmask_b32_e64 v38, 0, v38, s4
	v_add_nc_u32_e32 v37, v37, v38
	s_delay_alu instid0(VALU_DEP_1) | instskip(NEXT) | instid1(VALU_DEP_1)
	v_mov_b32_dpp v38, v37 row_shr:8 row_mask:0xf bank_mask:0xf
	v_cndmask_b32_e64 v38, 0, v38, s1
	s_delay_alu instid0(VALU_DEP_1)
	v_add_nc_u32_e32 v37, v37, v38
	ds_store_b32 v34, v37
.LBB975_392:
	s_or_b32 exec_lo, exec_lo, s7
	v_cmp_gt_u32_e32 vcc_lo, 32, v0
	s_mov_b32 s12, exec_lo
	s_waitcnt lgkmcnt(0)
	s_barrier
	buffer_gl0_inv
                                        ; implicit-def: $vgpr43
	v_cmpx_lt_u32_e32 31, v0
	s_cbranch_execz .LBB975_394
; %bb.393:
	v_lshl_add_u32 v34, v59, 2, -4
	ds_load_b32 v43, v34
	s_waitcnt lgkmcnt(0)
	v_add_nc_u32_e32 v33, v43, v33
.LBB975_394:
	s_or_b32 exec_lo, exec_lo, s12
	v_add_nc_u32_e32 v34, -1, v58
	s_delay_alu instid0(VALU_DEP_1) | instskip(NEXT) | instid1(VALU_DEP_1)
	v_cmp_gt_i32_e64 s7, 0, v34
	v_cndmask_b32_e64 v34, v34, v58, s7
	v_cmp_eq_u32_e64 s7, 0, v58
	s_delay_alu instid0(VALU_DEP_2)
	v_lshlrev_b32_e32 v34, 2, v34
	ds_bpermute_b32 v45, v34, v33
	s_and_saveexec_b32 s12, vcc_lo
	s_cbranch_execz .LBB975_417
; %bb.395:
	v_mov_b32_e32 v39, 0
	ds_load_b32 v33, v39 offset:60
	s_and_saveexec_b32 s13, s7
	s_cbranch_execz .LBB975_397
; %bb.396:
	s_add_i32 s14, s30, 32
	s_mov_b32 s15, 0
	v_mov_b32_e32 v34, 1
	s_lshl_b64 s[14:15], s[14:15], 3
	s_delay_alu instid0(SALU_CYCLE_1)
	s_add_u32 s14, s22, s14
	s_addc_u32 s15, s23, s15
	s_waitcnt lgkmcnt(0)
	global_store_b64 v39, v[33:34], s[14:15]
.LBB975_397:
	s_or_b32 exec_lo, exec_lo, s13
	v_xad_u32 v37, v58, -1, s30
	s_mov_b32 s14, 0
	s_mov_b32 s13, exec_lo
	s_delay_alu instid0(VALU_DEP_1) | instskip(NEXT) | instid1(VALU_DEP_1)
	v_add_nc_u32_e32 v38, 32, v37
	v_lshlrev_b64 v[38:39], 3, v[38:39]
	s_delay_alu instid0(VALU_DEP_1) | instskip(NEXT) | instid1(VALU_DEP_2)
	v_add_co_u32 v41, vcc_lo, s22, v38
	v_add_co_ci_u32_e32 v42, vcc_lo, s23, v39, vcc_lo
	global_load_b64 v[39:40], v[41:42], off glc
	s_waitcnt vmcnt(0)
	v_and_b32_e32 v34, 0xff, v40
	s_delay_alu instid0(VALU_DEP_1)
	v_cmpx_eq_u16_e32 0, v34
	s_cbranch_execz .LBB975_403
; %bb.398:
	s_mov_b32 s15, 1
	.p2align	6
.LBB975_399:                            ; =>This Loop Header: Depth=1
                                        ;     Child Loop BB975_400 Depth 2
	s_delay_alu instid0(SALU_CYCLE_1)
	s_max_u32 s20, s15, 1
.LBB975_400:                            ;   Parent Loop BB975_399 Depth=1
                                        ; =>  This Inner Loop Header: Depth=2
	s_delay_alu instid0(SALU_CYCLE_1)
	s_add_i32 s20, s20, -1
	s_sleep 1
	s_cmp_eq_u32 s20, 0
	s_cbranch_scc0 .LBB975_400
; %bb.401:                              ;   in Loop: Header=BB975_399 Depth=1
	global_load_b64 v[39:40], v[41:42], off glc
	s_cmp_lt_u32 s15, 32
	s_cselect_b32 s20, -1, 0
	s_delay_alu instid0(SALU_CYCLE_1) | instskip(SKIP_3) | instid1(VALU_DEP_1)
	s_cmp_lg_u32 s20, 0
	s_addc_u32 s15, s15, 0
	s_waitcnt vmcnt(0)
	v_and_b32_e32 v34, 0xff, v40
	v_cmp_ne_u16_e32 vcc_lo, 0, v34
	s_or_b32 s14, vcc_lo, s14
	s_delay_alu instid0(SALU_CYCLE_1)
	s_and_not1_b32 exec_lo, exec_lo, s14
	s_cbranch_execnz .LBB975_399
; %bb.402:
	s_or_b32 exec_lo, exec_lo, s14
.LBB975_403:
	s_delay_alu instid0(SALU_CYCLE_1)
	s_or_b32 exec_lo, exec_lo, s13
	v_cmp_ne_u32_e32 vcc_lo, 31, v58
	v_and_b32_e32 v38, 0xff, v40
	v_lshlrev_b32_e64 v47, v58, -1
	v_add_nc_u32_e32 v51, 2, v58
	v_add_nc_u32_e32 v61, 4, v58
	v_add_co_ci_u32_e32 v34, vcc_lo, 0, v58, vcc_lo
	v_cmp_eq_u16_e32 vcc_lo, 2, v38
	v_add_nc_u32_e32 v64, 8, v58
	v_add_nc_u32_e32 v66, 16, v58
	v_and_or_b32 v38, vcc_lo, v47, 0x80000000
	v_cmp_gt_u32_e32 vcc_lo, 30, v58
	s_delay_alu instid0(VALU_DEP_2) | instskip(SKIP_1) | instid1(VALU_DEP_2)
	v_ctz_i32_b32_e32 v38, v38
	v_cndmask_b32_e64 v42, 0, 1, vcc_lo
	v_cmp_lt_u32_e32 vcc_lo, v58, v38
	v_lshlrev_b32_e32 v34, 2, v34
	s_delay_alu instid0(VALU_DEP_3)
	v_lshlrev_b32_e32 v42, 1, v42
	ds_bpermute_b32 v41, v34, v39
	v_add_lshl_u32 v49, v42, v58, 2
	s_waitcnt lgkmcnt(0)
	v_cndmask_b32_e32 v41, 0, v41, vcc_lo
	v_cmp_gt_u32_e32 vcc_lo, 28, v58
	s_delay_alu instid0(VALU_DEP_2) | instskip(SKIP_4) | instid1(VALU_DEP_1)
	v_add_nc_u32_e32 v39, v41, v39
	v_cndmask_b32_e64 v42, 0, 1, vcc_lo
	v_cmp_le_u32_e32 vcc_lo, v51, v38
	ds_bpermute_b32 v41, v49, v39
	v_lshlrev_b32_e32 v42, 2, v42
	v_add_lshl_u32 v53, v42, v58, 2
	s_waitcnt lgkmcnt(0)
	v_cndmask_b32_e32 v41, 0, v41, vcc_lo
	v_cmp_gt_u32_e32 vcc_lo, 24, v58
	s_delay_alu instid0(VALU_DEP_2) | instskip(SKIP_4) | instid1(VALU_DEP_1)
	v_add_nc_u32_e32 v39, v39, v41
	v_cndmask_b32_e64 v42, 0, 1, vcc_lo
	v_cmp_le_u32_e32 vcc_lo, v61, v38
	ds_bpermute_b32 v41, v53, v39
	v_lshlrev_b32_e32 v42, 3, v42
	;; [unrolled: 10-line block ×3, first 2 shown]
	v_add_lshl_u32 v65, v42, v58, 2
	s_waitcnt lgkmcnt(0)
	v_cndmask_b32_e32 v41, 0, v41, vcc_lo
	v_cmp_le_u32_e32 vcc_lo, v66, v38
	s_delay_alu instid0(VALU_DEP_2) | instskip(SKIP_3) | instid1(VALU_DEP_1)
	v_add_nc_u32_e32 v39, v39, v41
	ds_bpermute_b32 v41, v65, v39
	s_waitcnt lgkmcnt(0)
	v_cndmask_b32_e32 v38, 0, v41, vcc_lo
	v_dual_mov_b32 v38, 0 :: v_dual_add_nc_u32 v39, v39, v38
	s_branch .LBB975_405
.LBB975_404:                            ;   in Loop: Header=BB975_405 Depth=1
	s_or_b32 exec_lo, exec_lo, s13
	ds_bpermute_b32 v42, v34, v39
	v_and_b32_e32 v41, 0xff, v40
	v_subrev_nc_u32_e32 v37, 32, v37
	s_delay_alu instid0(VALU_DEP_2) | instskip(SKIP_1) | instid1(VALU_DEP_1)
	v_cmp_eq_u16_e32 vcc_lo, 2, v41
	v_and_or_b32 v41, vcc_lo, v47, 0x80000000
	v_ctz_i32_b32_e32 v41, v41
	s_delay_alu instid0(VALU_DEP_1) | instskip(SKIP_3) | instid1(VALU_DEP_2)
	v_cmp_lt_u32_e32 vcc_lo, v58, v41
	s_waitcnt lgkmcnt(0)
	v_cndmask_b32_e32 v42, 0, v42, vcc_lo
	v_cmp_le_u32_e32 vcc_lo, v51, v41
	v_add_nc_u32_e32 v39, v42, v39
	ds_bpermute_b32 v42, v49, v39
	s_waitcnt lgkmcnt(0)
	v_cndmask_b32_e32 v42, 0, v42, vcc_lo
	v_cmp_le_u32_e32 vcc_lo, v61, v41
	s_delay_alu instid0(VALU_DEP_2) | instskip(SKIP_4) | instid1(VALU_DEP_2)
	v_add_nc_u32_e32 v39, v39, v42
	ds_bpermute_b32 v42, v53, v39
	s_waitcnt lgkmcnt(0)
	v_cndmask_b32_e32 v42, 0, v42, vcc_lo
	v_cmp_le_u32_e32 vcc_lo, v64, v41
	v_add_nc_u32_e32 v39, v39, v42
	ds_bpermute_b32 v42, v63, v39
	s_waitcnt lgkmcnt(0)
	v_cndmask_b32_e32 v42, 0, v42, vcc_lo
	v_cmp_le_u32_e32 vcc_lo, v66, v41
	s_delay_alu instid0(VALU_DEP_2) | instskip(SKIP_3) | instid1(VALU_DEP_1)
	v_add_nc_u32_e32 v39, v39, v42
	ds_bpermute_b32 v42, v65, v39
	s_waitcnt lgkmcnt(0)
	v_cndmask_b32_e32 v41, 0, v42, vcc_lo
	v_add3_u32 v39, v41, v62, v39
.LBB975_405:                            ; =>This Loop Header: Depth=1
                                        ;     Child Loop BB975_408 Depth 2
                                        ;       Child Loop BB975_409 Depth 3
	v_and_b32_e32 v40, 0xff, v40
	s_delay_alu instid0(VALU_DEP_2) | instskip(NEXT) | instid1(VALU_DEP_2)
	v_mov_b32_e32 v62, v39
	v_cmp_ne_u16_e32 vcc_lo, 2, v40
	v_cndmask_b32_e64 v40, 0, 1, vcc_lo
	;;#ASMSTART
	;;#ASMEND
	s_delay_alu instid0(VALU_DEP_1)
	v_cmp_ne_u32_e32 vcc_lo, 0, v40
	s_cmp_lg_u32 vcc_lo, exec_lo
	s_cbranch_scc1 .LBB975_412
; %bb.406:                              ;   in Loop: Header=BB975_405 Depth=1
	v_lshlrev_b64 v[39:40], 3, v[37:38]
	s_mov_b32 s13, exec_lo
	s_delay_alu instid0(VALU_DEP_1) | instskip(NEXT) | instid1(VALU_DEP_2)
	v_add_co_u32 v41, vcc_lo, s22, v39
	v_add_co_ci_u32_e32 v42, vcc_lo, s23, v40, vcc_lo
	global_load_b64 v[39:40], v[41:42], off glc
	s_waitcnt vmcnt(0)
	v_and_b32_e32 v67, 0xff, v40
	s_delay_alu instid0(VALU_DEP_1)
	v_cmpx_eq_u16_e32 0, v67
	s_cbranch_execz .LBB975_404
; %bb.407:                              ;   in Loop: Header=BB975_405 Depth=1
	s_mov_b32 s15, 1
	s_mov_b32 s14, 0
	.p2align	6
.LBB975_408:                            ;   Parent Loop BB975_405 Depth=1
                                        ; =>  This Loop Header: Depth=2
                                        ;       Child Loop BB975_409 Depth 3
	s_max_u32 s20, s15, 1
.LBB975_409:                            ;   Parent Loop BB975_405 Depth=1
                                        ;     Parent Loop BB975_408 Depth=2
                                        ; =>    This Inner Loop Header: Depth=3
	s_delay_alu instid0(SALU_CYCLE_1)
	s_add_i32 s20, s20, -1
	s_sleep 1
	s_cmp_eq_u32 s20, 0
	s_cbranch_scc0 .LBB975_409
; %bb.410:                              ;   in Loop: Header=BB975_408 Depth=2
	global_load_b64 v[39:40], v[41:42], off glc
	s_cmp_lt_u32 s15, 32
	s_cselect_b32 s20, -1, 0
	s_delay_alu instid0(SALU_CYCLE_1) | instskip(SKIP_3) | instid1(VALU_DEP_1)
	s_cmp_lg_u32 s20, 0
	s_addc_u32 s15, s15, 0
	s_waitcnt vmcnt(0)
	v_and_b32_e32 v67, 0xff, v40
	v_cmp_ne_u16_e32 vcc_lo, 0, v67
	s_or_b32 s14, vcc_lo, s14
	s_delay_alu instid0(SALU_CYCLE_1)
	s_and_not1_b32 exec_lo, exec_lo, s14
	s_cbranch_execnz .LBB975_408
; %bb.411:                              ;   in Loop: Header=BB975_405 Depth=1
	s_or_b32 exec_lo, exec_lo, s14
	s_branch .LBB975_404
.LBB975_412:                            ;   in Loop: Header=BB975_405 Depth=1
                                        ; implicit-def: $vgpr39
                                        ; implicit-def: $vgpr40
	s_cbranch_execz .LBB975_405
; %bb.413:
	s_and_saveexec_b32 s13, s7
	s_cbranch_execz .LBB975_415
; %bb.414:
	s_add_i32 s14, s30, 32
	s_mov_b32 s15, 0
	v_dual_mov_b32 v38, 2 :: v_dual_add_nc_u32 v37, v62, v33
	s_lshl_b64 s[14:15], s[14:15], 3
	v_mov_b32_e32 v34, 0
	v_add_nc_u32_e64 v39, 0x8400, 0
	s_add_u32 s14, s22, s14
	s_addc_u32 s15, s23, s15
	global_store_b64 v34, v[37:38], s[14:15]
	ds_store_2addr_b32 v39, v33, v62 offset1:2
.LBB975_415:
	s_or_b32 exec_lo, exec_lo, s13
	s_delay_alu instid0(SALU_CYCLE_1)
	s_and_b32 exec_lo, exec_lo, s2
	s_cbranch_execz .LBB975_417
; %bb.416:
	v_mov_b32_e32 v33, 0
	ds_store_b32 v33, v62 offset:60
.LBB975_417:
	s_or_b32 exec_lo, exec_lo, s12
	v_mov_b32_e32 v33, 0
	s_waitcnt lgkmcnt(0)
	s_waitcnt_vscnt null, 0x0
	s_barrier
	buffer_gl0_inv
	v_cndmask_b32_e64 v34, v45, v43, s7
	ds_load_b32 v33, v33 offset:60
	s_waitcnt lgkmcnt(0)
	s_barrier
	buffer_gl0_inv
	v_cndmask_b32_e64 v34, v34, 0, s2
	s_delay_alu instid0(VALU_DEP_1) | instskip(SKIP_1) | instid1(VALU_DEP_2)
	v_add_nc_u32_e32 v53, v33, v34
	v_add_nc_u32_e64 v33, 0x8400, 0
	v_add_nc_u32_e32 v51, v53, v44
	ds_load_2addr_b32 v[33:34], v33 offset1:2
	v_add_nc_u32_e32 v49, v51, v46
	s_delay_alu instid0(VALU_DEP_1) | instskip(NEXT) | instid1(VALU_DEP_1)
	v_add_nc_u32_e32 v47, v49, v48
	v_add_nc_u32_e32 v45, v47, v50
	s_delay_alu instid0(VALU_DEP_1) | instskip(SKIP_2) | instid1(VALU_DEP_2)
	v_add_nc_u32_e32 v43, v45, v52
	s_waitcnt lgkmcnt(0)
	v_readfirstlane_b32 s12, v34
	v_add_nc_u32_e32 v41, v43, v54
	s_delay_alu instid0(VALU_DEP_1)
	v_add_nc_u32_e32 v39, v41, v57
	v_lshrrev_b64 v[37:38], 24, v[35:36]
	s_branch .LBB975_428
.LBB975_418:
                                        ; implicit-def: $vgpr39
                                        ; implicit-def: $vgpr41
                                        ; implicit-def: $vgpr43
                                        ; implicit-def: $vgpr45
                                        ; implicit-def: $vgpr47
                                        ; implicit-def: $vgpr49
                                        ; implicit-def: $vgpr51
                                        ; implicit-def: $vgpr53
                                        ; implicit-def: $sgpr12
                                        ; implicit-def: $vgpr33
	v_lshrrev_b64 v[37:38], 24, v[35:36]
	s_and_b32 vcc_lo, exec_lo, s7
	s_cbranch_vccz .LBB975_428
; %bb.419:
	v_mov_b32_dpp v33, v60 row_shr:1 row_mask:0xf bank_mask:0xf
	s_delay_alu instid0(VALU_DEP_1) | instskip(NEXT) | instid1(VALU_DEP_1)
	v_cndmask_b32_e64 v33, v33, 0, s3
	v_add_nc_u32_e32 v33, v33, v60
	s_delay_alu instid0(VALU_DEP_1) | instskip(NEXT) | instid1(VALU_DEP_1)
	v_mov_b32_dpp v34, v33 row_shr:2 row_mask:0xf bank_mask:0xf
	v_cndmask_b32_e64 v34, 0, v34, s0
	s_delay_alu instid0(VALU_DEP_1) | instskip(NEXT) | instid1(VALU_DEP_1)
	v_add_nc_u32_e32 v33, v33, v34
	v_mov_b32_dpp v34, v33 row_shr:4 row_mask:0xf bank_mask:0xf
	s_delay_alu instid0(VALU_DEP_1) | instskip(NEXT) | instid1(VALU_DEP_1)
	v_cndmask_b32_e64 v34, 0, v34, s4
	v_add_nc_u32_e32 v33, v33, v34
	s_delay_alu instid0(VALU_DEP_1) | instskip(NEXT) | instid1(VALU_DEP_1)
	v_mov_b32_dpp v34, v33 row_shr:8 row_mask:0xf bank_mask:0xf
	v_cndmask_b32_e64 v34, 0, v34, s1
	s_delay_alu instid0(VALU_DEP_1) | instskip(SKIP_3) | instid1(VALU_DEP_1)
	v_add_nc_u32_e32 v33, v33, v34
	ds_swizzle_b32 v34, v33 offset:swizzle(BROADCAST,32,15)
	s_waitcnt lgkmcnt(0)
	v_cndmask_b32_e64 v34, v34, 0, s6
	v_add_nc_u32_e32 v33, v33, v34
	s_and_saveexec_b32 s6, s5
	s_cbranch_execz .LBB975_421
; %bb.420:
	v_lshlrev_b32_e32 v34, 2, v59
	ds_store_b32 v34, v33
.LBB975_421:
	s_or_b32 exec_lo, exec_lo, s6
	s_delay_alu instid0(SALU_CYCLE_1)
	s_mov_b32 s5, exec_lo
	s_waitcnt lgkmcnt(0)
	s_barrier
	buffer_gl0_inv
	v_cmpx_gt_u32_e32 16, v0
	s_cbranch_execz .LBB975_423
; %bb.422:
	v_lshlrev_b32_e32 v34, 2, v0
	ds_load_b32 v38, v34
	s_waitcnt lgkmcnt(0)
	v_mov_b32_dpp v39, v38 row_shr:1 row_mask:0xf bank_mask:0xf
	s_delay_alu instid0(VALU_DEP_1) | instskip(NEXT) | instid1(VALU_DEP_1)
	v_cndmask_b32_e64 v39, v39, 0, s3
	v_add_nc_u32_e32 v38, v39, v38
	s_delay_alu instid0(VALU_DEP_1) | instskip(NEXT) | instid1(VALU_DEP_1)
	v_mov_b32_dpp v39, v38 row_shr:2 row_mask:0xf bank_mask:0xf
	v_cndmask_b32_e64 v39, 0, v39, s0
	s_delay_alu instid0(VALU_DEP_1) | instskip(NEXT) | instid1(VALU_DEP_1)
	v_add_nc_u32_e32 v38, v38, v39
	v_mov_b32_dpp v39, v38 row_shr:4 row_mask:0xf bank_mask:0xf
	s_delay_alu instid0(VALU_DEP_1) | instskip(NEXT) | instid1(VALU_DEP_1)
	v_cndmask_b32_e64 v39, 0, v39, s4
	v_add_nc_u32_e32 v38, v38, v39
	s_delay_alu instid0(VALU_DEP_1) | instskip(NEXT) | instid1(VALU_DEP_1)
	v_mov_b32_dpp v39, v38 row_shr:8 row_mask:0xf bank_mask:0xf
	v_cndmask_b32_e64 v39, 0, v39, s1
	s_delay_alu instid0(VALU_DEP_1)
	v_add_nc_u32_e32 v38, v38, v39
	ds_store_b32 v34, v38
.LBB975_423:
	s_or_b32 exec_lo, exec_lo, s5
	v_mov_b32_e32 v34, 0
	v_mov_b32_e32 v38, 0
	s_mov_b32 s0, exec_lo
	s_waitcnt lgkmcnt(0)
	s_barrier
	buffer_gl0_inv
	v_cmpx_lt_u32_e32 31, v0
	s_cbranch_execz .LBB975_425
; %bb.424:
	v_lshl_add_u32 v38, v59, 2, -4
	ds_load_b32 v38, v38
.LBB975_425:
	s_or_b32 exec_lo, exec_lo, s0
	v_add_nc_u32_e32 v39, -1, v58
	s_waitcnt lgkmcnt(0)
	v_add_nc_u32_e32 v33, v38, v33
	s_mov_b32 s12, 0
	s_delay_alu instid0(VALU_DEP_2) | instskip(SKIP_1) | instid1(VALU_DEP_1)
	v_cmp_gt_i32_e32 vcc_lo, 0, v39
	v_cndmask_b32_e32 v39, v39, v58, vcc_lo
	v_lshlrev_b32_e32 v39, 2, v39
	ds_bpermute_b32 v39, v39, v33
	ds_load_b32 v33, v34 offset:60
	s_and_saveexec_b32 s0, s2
	s_cbranch_execz .LBB975_427
; %bb.426:
	v_mov_b32_e32 v40, 0
	v_mov_b32_e32 v34, 2
	s_waitcnt lgkmcnt(0)
	global_store_b64 v40, v[33:34], s[22:23] offset:256
.LBB975_427:
	s_or_b32 exec_lo, exec_lo, s0
	v_cmp_eq_u32_e32 vcc_lo, 0, v58
	s_waitcnt lgkmcnt(0)
	s_waitcnt_vscnt null, 0x0
	s_barrier
	buffer_gl0_inv
	v_cndmask_b32_e32 v34, v39, v38, vcc_lo
	s_delay_alu instid0(VALU_DEP_1) | instskip(NEXT) | instid1(VALU_DEP_1)
	v_cndmask_b32_e64 v53, v34, 0, s2
	v_add_nc_u32_e32 v51, v53, v44
	s_delay_alu instid0(VALU_DEP_1) | instskip(NEXT) | instid1(VALU_DEP_1)
	v_add_nc_u32_e32 v49, v51, v46
	v_add_nc_u32_e32 v47, v49, v48
	s_delay_alu instid0(VALU_DEP_1) | instskip(NEXT) | instid1(VALU_DEP_1)
	v_add_nc_u32_e32 v45, v47, v50
	;; [unrolled: 3-line block ×3, first 2 shown]
	v_add_nc_u32_e32 v39, v41, v57
.LBB975_428:
	v_add_nc_u32_e32 v59, s12, v33
	v_cmp_gt_u32_e64 s0, 0x201, v33
	v_lshrrev_b32_e32 v58, 8, v35
	v_lshrrev_b32_e32 v57, 16, v35
	;; [unrolled: 1-line block ×4, first 2 shown]
	v_cmp_lt_u32_e64 s1, v53, v59
	s_and_b32 vcc_lo, exec_lo, s0
	s_mov_b32 s3, -1
	s_cbranch_vccz .LBB975_454
; %bb.429:
	s_delay_alu instid0(VALU_DEP_1) | instskip(NEXT) | instid1(SALU_CYCLE_1)
	s_or_b32 s3, s29, s1
	s_and_saveexec_b32 s1, s3
	s_cbranch_execz .LBB975_432
; %bb.430:
	v_and_b32_e32 v40, 1, v35
	s_delay_alu instid0(VALU_DEP_1)
	v_cmp_eq_u32_e32 vcc_lo, 1, v40
	s_and_b32 exec_lo, exec_lo, vcc_lo
	s_cbranch_execz .LBB975_432
; %bb.431:
	v_mov_b32_e32 v54, 0
	s_lshl_b64 s[4:5], s[10:11], 3
	s_delay_alu instid0(SALU_CYCLE_1) | instskip(SKIP_1) | instid1(VALU_DEP_1)
	s_add_u32 s3, s16, s4
	s_addc_u32 s4, s17, s5
	v_lshlrev_b64 v[60:61], 3, v[53:54]
	s_delay_alu instid0(VALU_DEP_1) | instskip(NEXT) | instid1(VALU_DEP_2)
	v_add_co_u32 v60, vcc_lo, s3, v60
	v_add_co_ci_u32_e32 v61, vcc_lo, s4, v61, vcc_lo
	global_store_b64 v[60:61], v[29:30], off
.LBB975_432:
	s_or_b32 exec_lo, exec_lo, s1
	v_cmp_lt_u32_e32 vcc_lo, v51, v59
	s_or_b32 s3, s29, vcc_lo
	s_delay_alu instid0(SALU_CYCLE_1)
	s_and_saveexec_b32 s1, s3
	s_cbranch_execz .LBB975_435
; %bb.433:
	v_and_b32_e32 v40, 1, v58
	s_delay_alu instid0(VALU_DEP_1)
	v_cmp_eq_u32_e32 vcc_lo, 1, v40
	s_and_b32 exec_lo, exec_lo, vcc_lo
	s_cbranch_execz .LBB975_435
; %bb.434:
	v_mov_b32_e32 v52, 0
	s_lshl_b64 s[4:5], s[10:11], 3
	s_delay_alu instid0(SALU_CYCLE_1) | instskip(SKIP_1) | instid1(VALU_DEP_1)
	s_add_u32 s3, s16, s4
	s_addc_u32 s4, s17, s5
	v_lshlrev_b64 v[60:61], 3, v[51:52]
	s_delay_alu instid0(VALU_DEP_1) | instskip(NEXT) | instid1(VALU_DEP_2)
	v_add_co_u32 v60, vcc_lo, s3, v60
	v_add_co_ci_u32_e32 v61, vcc_lo, s4, v61, vcc_lo
	global_store_b64 v[60:61], v[31:32], off
.LBB975_435:
	s_or_b32 exec_lo, exec_lo, s1
	v_cmp_lt_u32_e32 vcc_lo, v49, v59
	s_or_b32 s3, s29, vcc_lo
	s_delay_alu instid0(SALU_CYCLE_1)
	;; [unrolled: 24-line block ×7, first 2 shown]
	s_and_saveexec_b32 s1, s3
	s_cbranch_execz .LBB975_453
; %bb.451:
	v_and_b32_e32 v40, 1, v56
	s_delay_alu instid0(VALU_DEP_1)
	v_cmp_eq_u32_e32 vcc_lo, 1, v40
	s_and_b32 exec_lo, exec_lo, vcc_lo
	s_cbranch_execz .LBB975_453
; %bb.452:
	v_mov_b32_e32 v40, 0
	s_lshl_b64 s[4:5], s[10:11], 3
	s_delay_alu instid0(SALU_CYCLE_1) | instskip(SKIP_1) | instid1(VALU_DEP_1)
	s_add_u32 s3, s16, s4
	s_addc_u32 s4, s17, s5
	v_lshlrev_b64 v[60:61], 3, v[39:40]
	s_delay_alu instid0(VALU_DEP_1) | instskip(NEXT) | instid1(VALU_DEP_2)
	v_add_co_u32 v60, vcc_lo, s3, v60
	v_add_co_ci_u32_e32 v61, vcc_lo, s4, v61, vcc_lo
	global_store_b64 v[60:61], v[19:20], off
.LBB975_453:
	s_or_b32 exec_lo, exec_lo, s1
	s_mov_b32 s3, 0
.LBB975_454:
	v_and_b32_e32 v35, 1, v35
	s_and_b32 vcc_lo, exec_lo, s3
	s_delay_alu instid0(VALU_DEP_1)
	v_cmp_eq_u32_e64 s1, 1, v35
	s_cbranch_vccz .LBB975_475
; %bb.455:
	s_delay_alu instid0(VALU_DEP_1)
	s_and_saveexec_b32 s3, s1
	s_cbranch_execz .LBB975_457
; %bb.456:
	v_subrev_nc_u32_e32 v40, s12, v53
	s_delay_alu instid0(VALU_DEP_1)
	v_lshlrev_b32_e32 v40, 3, v40
	ds_store_b64 v40, v[29:30]
.LBB975_457:
	s_or_b32 exec_lo, exec_lo, s3
	v_and_b32_e32 v29, 1, v58
	s_mov_b32 s1, exec_lo
	s_delay_alu instid0(VALU_DEP_1)
	v_cmpx_eq_u32_e32 1, v29
	s_cbranch_execz .LBB975_459
; %bb.458:
	v_subrev_nc_u32_e32 v29, s12, v51
	s_delay_alu instid0(VALU_DEP_1)
	v_lshlrev_b32_e32 v29, 3, v29
	ds_store_b64 v29, v[31:32]
.LBB975_459:
	s_or_b32 exec_lo, exec_lo, s1
	v_and_b32_e32 v29, 1, v57
	s_mov_b32 s1, exec_lo
	s_delay_alu instid0(VALU_DEP_1)
	v_cmpx_eq_u32_e32 1, v29
	;; [unrolled: 12-line block ×7, first 2 shown]
	s_cbranch_execz .LBB975_471
; %bb.470:
	v_subrev_nc_u32_e32 v17, s12, v39
	s_delay_alu instid0(VALU_DEP_1)
	v_lshlrev_b32_e32 v17, 3, v17
	ds_store_b64 v17, v[19:20]
.LBB975_471:
	s_or_b32 exec_lo, exec_lo, s1
	s_delay_alu instid0(SALU_CYCLE_1)
	s_mov_b32 s3, exec_lo
	s_waitcnt lgkmcnt(0)
	s_waitcnt_vscnt null, 0x0
	s_barrier
	buffer_gl0_inv
	v_cmpx_lt_u32_e64 v0, v33
	s_cbranch_execz .LBB975_474
; %bb.472:
	s_mov_b32 s13, 0
	s_lshl_b64 s[4:5], s[10:11], 3
	s_lshl_b64 s[6:7], s[12:13], 3
	v_dual_mov_b32 v19, v55 :: v_dual_mov_b32 v20, v0
	s_add_u32 s1, s4, s6
	s_addc_u32 s4, s5, s7
	s_add_u32 s1, s16, s1
	s_addc_u32 s4, s17, s4
	v_add_co_u32 v17, s1, s1, v55
	s_delay_alu instid0(VALU_DEP_1)
	v_add_co_ci_u32_e64 v18, null, s4, 0, s1
	.p2align	6
.LBB975_473:                            ; =>This Inner Loop Header: Depth=1
	ds_load_b64 v[21:22], v19
	v_add_nc_u32_e32 v20, 0x200, v20
	v_add_nc_u32_e32 v19, 0x1000, v19
	s_delay_alu instid0(VALU_DEP_2) | instskip(SKIP_4) | instid1(VALU_DEP_1)
	v_cmp_ge_u32_e32 vcc_lo, v20, v33
	s_or_b32 s13, vcc_lo, s13
	s_waitcnt lgkmcnt(0)
	global_store_b64 v[17:18], v[21:22], off
	v_add_co_u32 v17, s1, 0x1000, v17
	v_add_co_ci_u32_e64 v18, s1, 0, v18, s1
	s_and_not1_b32 exec_lo, exec_lo, s13
	s_cbranch_execnz .LBB975_473
.LBB975_474:
	s_or_b32 exec_lo, exec_lo, s3
.LBB975_475:
	s_delay_alu instid0(SALU_CYCLE_1)
	s_and_b32 vcc_lo, exec_lo, s0
	s_mov_b32 s0, -1
	s_waitcnt_vscnt null, 0x0
	s_barrier
	buffer_gl0_inv
	s_cbranch_vccz .LBB975_503
; %bb.476:
	v_cmp_lt_u32_e32 vcc_lo, v53, v59
	s_or_b32 s1, s29, vcc_lo
	s_delay_alu instid0(SALU_CYCLE_1)
	s_and_saveexec_b32 s0, s1
	s_cbranch_execz .LBB975_479
; %bb.477:
	v_cmp_eq_u32_e32 vcc_lo, 1, v35
	s_and_b32 exec_lo, exec_lo, vcc_lo
	s_cbranch_execz .LBB975_479
; %bb.478:
	v_mov_b32_e32 v54, 0
	s_lshl_b64 s[4:5], s[10:11], 3
	s_delay_alu instid0(SALU_CYCLE_1) | instskip(SKIP_1) | instid1(VALU_DEP_1)
	s_add_u32 s1, s18, s4
	s_addc_u32 s3, s19, s5
	v_lshlrev_b64 v[17:18], 3, v[53:54]
	s_delay_alu instid0(VALU_DEP_1) | instskip(NEXT) | instid1(VALU_DEP_2)
	v_add_co_u32 v17, vcc_lo, s1, v17
	v_add_co_ci_u32_e32 v18, vcc_lo, s3, v18, vcc_lo
	global_store_b64 v[17:18], v[13:14], off
.LBB975_479:
	s_or_b32 exec_lo, exec_lo, s0
	v_cmp_lt_u32_e32 vcc_lo, v51, v59
	s_or_b32 s1, s29, vcc_lo
	s_delay_alu instid0(SALU_CYCLE_1)
	s_and_saveexec_b32 s0, s1
	s_cbranch_execz .LBB975_482
; %bb.480:
	v_and_b32_e32 v17, 1, v58
	s_delay_alu instid0(VALU_DEP_1)
	v_cmp_eq_u32_e32 vcc_lo, 1, v17
	s_and_b32 exec_lo, exec_lo, vcc_lo
	s_cbranch_execz .LBB975_482
; %bb.481:
	v_mov_b32_e32 v52, 0
	s_lshl_b64 s[4:5], s[10:11], 3
	s_delay_alu instid0(SALU_CYCLE_1) | instskip(SKIP_1) | instid1(VALU_DEP_1)
	s_add_u32 s1, s18, s4
	s_addc_u32 s3, s19, s5
	v_lshlrev_b64 v[17:18], 3, v[51:52]
	s_delay_alu instid0(VALU_DEP_1) | instskip(NEXT) | instid1(VALU_DEP_2)
	v_add_co_u32 v17, vcc_lo, s1, v17
	v_add_co_ci_u32_e32 v18, vcc_lo, s3, v18, vcc_lo
	global_store_b64 v[17:18], v[15:16], off
.LBB975_482:
	s_or_b32 exec_lo, exec_lo, s0
	v_cmp_lt_u32_e32 vcc_lo, v49, v59
	s_or_b32 s1, s29, vcc_lo
	s_delay_alu instid0(SALU_CYCLE_1)
	s_and_saveexec_b32 s0, s1
	s_cbranch_execz .LBB975_485
; %bb.483:
	v_and_b32_e32 v17, 1, v57
	s_delay_alu instid0(VALU_DEP_1)
	v_cmp_eq_u32_e32 vcc_lo, 1, v17
	s_and_b32 exec_lo, exec_lo, vcc_lo
	s_cbranch_execz .LBB975_485
; %bb.484:
	v_mov_b32_e32 v50, 0
	s_lshl_b64 s[4:5], s[10:11], 3
	s_delay_alu instid0(SALU_CYCLE_1) | instskip(SKIP_1) | instid1(VALU_DEP_1)
	s_add_u32 s1, s18, s4
	s_addc_u32 s3, s19, s5
	v_lshlrev_b64 v[17:18], 3, v[49:50]
	s_delay_alu instid0(VALU_DEP_1) | instskip(NEXT) | instid1(VALU_DEP_2)
	v_add_co_u32 v17, vcc_lo, s1, v17
	v_add_co_ci_u32_e32 v18, vcc_lo, s3, v18, vcc_lo
	global_store_b64 v[17:18], v[9:10], off
.LBB975_485:
	;; [unrolled: 24-line block ×7, first 2 shown]
	s_or_b32 exec_lo, exec_lo, s0
.LBB975_501:
	s_and_b32 s0, s2, s28
	s_delay_alu instid0(SALU_CYCLE_1)
	s_and_saveexec_b32 s1, s0
	s_cbranch_execz .LBB975_524
.LBB975_502:
	v_add_co_u32 v0, s0, s10, v33
	s_delay_alu instid0(VALU_DEP_1) | instskip(SKIP_1) | instid1(VALU_DEP_3)
	v_add_co_ci_u32_e64 v1, null, s11, 0, s0
	v_mov_b32_e32 v2, 0
	v_add_co_u32 v0, vcc_lo, v0, s12
	s_delay_alu instid0(VALU_DEP_3)
	v_add_co_ci_u32_e32 v1, vcc_lo, 0, v1, vcc_lo
	global_store_b64 v2, v[0:1], s[8:9]
	s_nop 0
	s_sendmsg sendmsg(MSG_DEALLOC_VGPRS)
	s_endpgm
.LBB975_503:
	s_and_b32 vcc_lo, exec_lo, s0
	s_cbranch_vccz .LBB975_501
; %bb.504:
	s_mov_b32 s0, exec_lo
	v_cmpx_eq_u32_e32 1, v35
	s_cbranch_execz .LBB975_506
; %bb.505:
	v_subrev_nc_u32_e32 v17, s12, v53
	s_delay_alu instid0(VALU_DEP_1)
	v_lshlrev_b32_e32 v17, 3, v17
	ds_store_b64 v17, v[13:14]
.LBB975_506:
	s_or_b32 exec_lo, exec_lo, s0
	v_and_b32_e32 v13, 1, v58
	s_mov_b32 s0, exec_lo
	s_delay_alu instid0(VALU_DEP_1)
	v_cmpx_eq_u32_e32 1, v13
	s_cbranch_execz .LBB975_508
; %bb.507:
	v_subrev_nc_u32_e32 v13, s12, v51
	s_delay_alu instid0(VALU_DEP_1)
	v_lshlrev_b32_e32 v13, 3, v13
	ds_store_b64 v13, v[15:16]
.LBB975_508:
	s_or_b32 exec_lo, exec_lo, s0
	v_and_b32_e32 v13, 1, v57
	s_mov_b32 s0, exec_lo
	s_delay_alu instid0(VALU_DEP_1)
	;; [unrolled: 12-line block ×7, first 2 shown]
	v_cmpx_eq_u32_e32 1, v1
	s_cbranch_execz .LBB975_520
; %bb.519:
	v_subrev_nc_u32_e32 v1, s12, v39
	s_delay_alu instid0(VALU_DEP_1)
	v_lshlrev_b32_e32 v1, 3, v1
	ds_store_b64 v1, v[3:4]
.LBB975_520:
	s_or_b32 exec_lo, exec_lo, s0
	s_delay_alu instid0(SALU_CYCLE_1)
	s_mov_b32 s1, exec_lo
	s_waitcnt lgkmcnt(0)
	s_waitcnt_vscnt null, 0x0
	s_barrier
	buffer_gl0_inv
	v_cmpx_lt_u32_e64 v0, v33
	s_cbranch_execz .LBB975_523
; %bb.521:
	s_mov_b32 s13, 0
	s_lshl_b64 s[4:5], s[10:11], 3
	s_lshl_b64 s[6:7], s[12:13], 3
	s_delay_alu instid0(SALU_CYCLE_1) | instskip(SKIP_4) | instid1(VALU_DEP_1)
	s_add_u32 s0, s4, s6
	s_addc_u32 s3, s5, s7
	s_add_u32 s0, s18, s0
	s_addc_u32 s3, s19, s3
	v_add_co_u32 v1, s0, s0, v55
	v_add_co_ci_u32_e64 v2, null, s3, 0, s0
	.p2align	6
.LBB975_522:                            ; =>This Inner Loop Header: Depth=1
	ds_load_b64 v[3:4], v55
	v_add_nc_u32_e32 v0, 0x200, v0
	v_add_nc_u32_e32 v55, 0x1000, v55
	s_delay_alu instid0(VALU_DEP_2) | instskip(SKIP_4) | instid1(VALU_DEP_1)
	v_cmp_ge_u32_e32 vcc_lo, v0, v33
	s_or_b32 s13, vcc_lo, s13
	s_waitcnt lgkmcnt(0)
	global_store_b64 v[1:2], v[3:4], off
	v_add_co_u32 v1, s0, 0x1000, v1
	v_add_co_ci_u32_e64 v2, s0, 0, v2, s0
	s_and_not1_b32 exec_lo, exec_lo, s13
	s_cbranch_execnz .LBB975_522
.LBB975_523:
	s_or_b32 exec_lo, exec_lo, s1
	s_and_b32 s0, s2, s28
	s_delay_alu instid0(SALU_CYCLE_1)
	s_and_saveexec_b32 s1, s0
	s_cbranch_execnz .LBB975_502
.LBB975_524:
	s_nop 0
	s_sendmsg sendmsg(MSG_DEALLOC_VGPRS)
	s_endpgm
	.section	.rodata,"a",@progbits
	.p2align	6, 0x0
	.amdhsa_kernel _ZN7rocprim17ROCPRIM_400000_NS6detail17trampoline_kernelINS0_14default_configENS1_25partition_config_selectorILNS1_17partition_subalgoE9EllbEEZZNS1_14partition_implILS5_9ELb0ES3_jPlS8_PNS0_10empty_typeENS0_5tupleIJS8_S9_EEENSB_IJS8_SA_EEENS0_18inequality_wrapperIZN2at6native12_GLOBAL__N_124unique_dim_cuda_templateIfEESt5tupleIJNSF_6TensorESK_SK_EERKSK_lbbbEUlllE0_EEPmJS9_EEE10hipError_tPvRmT3_T4_T5_T6_T7_T9_mT8_P12ihipStream_tbDpT10_ENKUlT_T0_E_clISt17integral_constantIbLb1EES1A_EEDaS15_S16_EUlS15_E_NS1_11comp_targetILNS1_3genE9ELNS1_11target_archE1100ELNS1_3gpuE3ELNS1_3repE0EEENS1_30default_config_static_selectorELNS0_4arch9wavefront6targetE0EEEvT1_
		.amdhsa_group_segment_fixed_size 33804
		.amdhsa_private_segment_fixed_size 0
		.amdhsa_kernarg_size 136
		.amdhsa_user_sgpr_count 15
		.amdhsa_user_sgpr_dispatch_ptr 0
		.amdhsa_user_sgpr_queue_ptr 0
		.amdhsa_user_sgpr_kernarg_segment_ptr 1
		.amdhsa_user_sgpr_dispatch_id 0
		.amdhsa_user_sgpr_private_segment_size 0
		.amdhsa_wavefront_size32 1
		.amdhsa_uses_dynamic_stack 0
		.amdhsa_enable_private_segment 0
		.amdhsa_system_sgpr_workgroup_id_x 1
		.amdhsa_system_sgpr_workgroup_id_y 0
		.amdhsa_system_sgpr_workgroup_id_z 0
		.amdhsa_system_sgpr_workgroup_info 0
		.amdhsa_system_vgpr_workitem_id 0
		.amdhsa_next_free_vgpr 68
		.amdhsa_next_free_sgpr 40
		.amdhsa_reserve_vcc 1
		.amdhsa_float_round_mode_32 0
		.amdhsa_float_round_mode_16_64 0
		.amdhsa_float_denorm_mode_32 3
		.amdhsa_float_denorm_mode_16_64 3
		.amdhsa_dx10_clamp 1
		.amdhsa_ieee_mode 1
		.amdhsa_fp16_overflow 0
		.amdhsa_workgroup_processor_mode 1
		.amdhsa_memory_ordered 1
		.amdhsa_forward_progress 0
		.amdhsa_shared_vgpr_count 0
		.amdhsa_exception_fp_ieee_invalid_op 0
		.amdhsa_exception_fp_denorm_src 0
		.amdhsa_exception_fp_ieee_div_zero 0
		.amdhsa_exception_fp_ieee_overflow 0
		.amdhsa_exception_fp_ieee_underflow 0
		.amdhsa_exception_fp_ieee_inexact 0
		.amdhsa_exception_int_div_zero 0
	.end_amdhsa_kernel
	.section	.text._ZN7rocprim17ROCPRIM_400000_NS6detail17trampoline_kernelINS0_14default_configENS1_25partition_config_selectorILNS1_17partition_subalgoE9EllbEEZZNS1_14partition_implILS5_9ELb0ES3_jPlS8_PNS0_10empty_typeENS0_5tupleIJS8_S9_EEENSB_IJS8_SA_EEENS0_18inequality_wrapperIZN2at6native12_GLOBAL__N_124unique_dim_cuda_templateIfEESt5tupleIJNSF_6TensorESK_SK_EERKSK_lbbbEUlllE0_EEPmJS9_EEE10hipError_tPvRmT3_T4_T5_T6_T7_T9_mT8_P12ihipStream_tbDpT10_ENKUlT_T0_E_clISt17integral_constantIbLb1EES1A_EEDaS15_S16_EUlS15_E_NS1_11comp_targetILNS1_3genE9ELNS1_11target_archE1100ELNS1_3gpuE3ELNS1_3repE0EEENS1_30default_config_static_selectorELNS0_4arch9wavefront6targetE0EEEvT1_,"axG",@progbits,_ZN7rocprim17ROCPRIM_400000_NS6detail17trampoline_kernelINS0_14default_configENS1_25partition_config_selectorILNS1_17partition_subalgoE9EllbEEZZNS1_14partition_implILS5_9ELb0ES3_jPlS8_PNS0_10empty_typeENS0_5tupleIJS8_S9_EEENSB_IJS8_SA_EEENS0_18inequality_wrapperIZN2at6native12_GLOBAL__N_124unique_dim_cuda_templateIfEESt5tupleIJNSF_6TensorESK_SK_EERKSK_lbbbEUlllE0_EEPmJS9_EEE10hipError_tPvRmT3_T4_T5_T6_T7_T9_mT8_P12ihipStream_tbDpT10_ENKUlT_T0_E_clISt17integral_constantIbLb1EES1A_EEDaS15_S16_EUlS15_E_NS1_11comp_targetILNS1_3genE9ELNS1_11target_archE1100ELNS1_3gpuE3ELNS1_3repE0EEENS1_30default_config_static_selectorELNS0_4arch9wavefront6targetE0EEEvT1_,comdat
.Lfunc_end975:
	.size	_ZN7rocprim17ROCPRIM_400000_NS6detail17trampoline_kernelINS0_14default_configENS1_25partition_config_selectorILNS1_17partition_subalgoE9EllbEEZZNS1_14partition_implILS5_9ELb0ES3_jPlS8_PNS0_10empty_typeENS0_5tupleIJS8_S9_EEENSB_IJS8_SA_EEENS0_18inequality_wrapperIZN2at6native12_GLOBAL__N_124unique_dim_cuda_templateIfEESt5tupleIJNSF_6TensorESK_SK_EERKSK_lbbbEUlllE0_EEPmJS9_EEE10hipError_tPvRmT3_T4_T5_T6_T7_T9_mT8_P12ihipStream_tbDpT10_ENKUlT_T0_E_clISt17integral_constantIbLb1EES1A_EEDaS15_S16_EUlS15_E_NS1_11comp_targetILNS1_3genE9ELNS1_11target_archE1100ELNS1_3gpuE3ELNS1_3repE0EEENS1_30default_config_static_selectorELNS0_4arch9wavefront6targetE0EEEvT1_, .Lfunc_end975-_ZN7rocprim17ROCPRIM_400000_NS6detail17trampoline_kernelINS0_14default_configENS1_25partition_config_selectorILNS1_17partition_subalgoE9EllbEEZZNS1_14partition_implILS5_9ELb0ES3_jPlS8_PNS0_10empty_typeENS0_5tupleIJS8_S9_EEENSB_IJS8_SA_EEENS0_18inequality_wrapperIZN2at6native12_GLOBAL__N_124unique_dim_cuda_templateIfEESt5tupleIJNSF_6TensorESK_SK_EERKSK_lbbbEUlllE0_EEPmJS9_EEE10hipError_tPvRmT3_T4_T5_T6_T7_T9_mT8_P12ihipStream_tbDpT10_ENKUlT_T0_E_clISt17integral_constantIbLb1EES1A_EEDaS15_S16_EUlS15_E_NS1_11comp_targetILNS1_3genE9ELNS1_11target_archE1100ELNS1_3gpuE3ELNS1_3repE0EEENS1_30default_config_static_selectorELNS0_4arch9wavefront6targetE0EEEvT1_
                                        ; -- End function
	.section	.AMDGPU.csdata,"",@progbits
; Kernel info:
; codeLenInByte = 20604
; NumSgprs: 42
; NumVgprs: 68
; ScratchSize: 0
; MemoryBound: 0
; FloatMode: 240
; IeeeMode: 1
; LDSByteSize: 33804 bytes/workgroup (compile time only)
; SGPRBlocks: 5
; VGPRBlocks: 8
; NumSGPRsForWavesPerEU: 42
; NumVGPRsForWavesPerEU: 68
; Occupancy: 12
; WaveLimiterHint : 1
; COMPUTE_PGM_RSRC2:SCRATCH_EN: 0
; COMPUTE_PGM_RSRC2:USER_SGPR: 15
; COMPUTE_PGM_RSRC2:TRAP_HANDLER: 0
; COMPUTE_PGM_RSRC2:TGID_X_EN: 1
; COMPUTE_PGM_RSRC2:TGID_Y_EN: 0
; COMPUTE_PGM_RSRC2:TGID_Z_EN: 0
; COMPUTE_PGM_RSRC2:TIDIG_COMP_CNT: 0
	.section	.text._ZN7rocprim17ROCPRIM_400000_NS6detail17trampoline_kernelINS0_14default_configENS1_25partition_config_selectorILNS1_17partition_subalgoE9EllbEEZZNS1_14partition_implILS5_9ELb0ES3_jPlS8_PNS0_10empty_typeENS0_5tupleIJS8_S9_EEENSB_IJS8_SA_EEENS0_18inequality_wrapperIZN2at6native12_GLOBAL__N_124unique_dim_cuda_templateIfEESt5tupleIJNSF_6TensorESK_SK_EERKSK_lbbbEUlllE0_EEPmJS9_EEE10hipError_tPvRmT3_T4_T5_T6_T7_T9_mT8_P12ihipStream_tbDpT10_ENKUlT_T0_E_clISt17integral_constantIbLb1EES1A_EEDaS15_S16_EUlS15_E_NS1_11comp_targetILNS1_3genE8ELNS1_11target_archE1030ELNS1_3gpuE2ELNS1_3repE0EEENS1_30default_config_static_selectorELNS0_4arch9wavefront6targetE0EEEvT1_,"axG",@progbits,_ZN7rocprim17ROCPRIM_400000_NS6detail17trampoline_kernelINS0_14default_configENS1_25partition_config_selectorILNS1_17partition_subalgoE9EllbEEZZNS1_14partition_implILS5_9ELb0ES3_jPlS8_PNS0_10empty_typeENS0_5tupleIJS8_S9_EEENSB_IJS8_SA_EEENS0_18inequality_wrapperIZN2at6native12_GLOBAL__N_124unique_dim_cuda_templateIfEESt5tupleIJNSF_6TensorESK_SK_EERKSK_lbbbEUlllE0_EEPmJS9_EEE10hipError_tPvRmT3_T4_T5_T6_T7_T9_mT8_P12ihipStream_tbDpT10_ENKUlT_T0_E_clISt17integral_constantIbLb1EES1A_EEDaS15_S16_EUlS15_E_NS1_11comp_targetILNS1_3genE8ELNS1_11target_archE1030ELNS1_3gpuE2ELNS1_3repE0EEENS1_30default_config_static_selectorELNS0_4arch9wavefront6targetE0EEEvT1_,comdat
	.globl	_ZN7rocprim17ROCPRIM_400000_NS6detail17trampoline_kernelINS0_14default_configENS1_25partition_config_selectorILNS1_17partition_subalgoE9EllbEEZZNS1_14partition_implILS5_9ELb0ES3_jPlS8_PNS0_10empty_typeENS0_5tupleIJS8_S9_EEENSB_IJS8_SA_EEENS0_18inequality_wrapperIZN2at6native12_GLOBAL__N_124unique_dim_cuda_templateIfEESt5tupleIJNSF_6TensorESK_SK_EERKSK_lbbbEUlllE0_EEPmJS9_EEE10hipError_tPvRmT3_T4_T5_T6_T7_T9_mT8_P12ihipStream_tbDpT10_ENKUlT_T0_E_clISt17integral_constantIbLb1EES1A_EEDaS15_S16_EUlS15_E_NS1_11comp_targetILNS1_3genE8ELNS1_11target_archE1030ELNS1_3gpuE2ELNS1_3repE0EEENS1_30default_config_static_selectorELNS0_4arch9wavefront6targetE0EEEvT1_ ; -- Begin function _ZN7rocprim17ROCPRIM_400000_NS6detail17trampoline_kernelINS0_14default_configENS1_25partition_config_selectorILNS1_17partition_subalgoE9EllbEEZZNS1_14partition_implILS5_9ELb0ES3_jPlS8_PNS0_10empty_typeENS0_5tupleIJS8_S9_EEENSB_IJS8_SA_EEENS0_18inequality_wrapperIZN2at6native12_GLOBAL__N_124unique_dim_cuda_templateIfEESt5tupleIJNSF_6TensorESK_SK_EERKSK_lbbbEUlllE0_EEPmJS9_EEE10hipError_tPvRmT3_T4_T5_T6_T7_T9_mT8_P12ihipStream_tbDpT10_ENKUlT_T0_E_clISt17integral_constantIbLb1EES1A_EEDaS15_S16_EUlS15_E_NS1_11comp_targetILNS1_3genE8ELNS1_11target_archE1030ELNS1_3gpuE2ELNS1_3repE0EEENS1_30default_config_static_selectorELNS0_4arch9wavefront6targetE0EEEvT1_
	.p2align	8
	.type	_ZN7rocprim17ROCPRIM_400000_NS6detail17trampoline_kernelINS0_14default_configENS1_25partition_config_selectorILNS1_17partition_subalgoE9EllbEEZZNS1_14partition_implILS5_9ELb0ES3_jPlS8_PNS0_10empty_typeENS0_5tupleIJS8_S9_EEENSB_IJS8_SA_EEENS0_18inequality_wrapperIZN2at6native12_GLOBAL__N_124unique_dim_cuda_templateIfEESt5tupleIJNSF_6TensorESK_SK_EERKSK_lbbbEUlllE0_EEPmJS9_EEE10hipError_tPvRmT3_T4_T5_T6_T7_T9_mT8_P12ihipStream_tbDpT10_ENKUlT_T0_E_clISt17integral_constantIbLb1EES1A_EEDaS15_S16_EUlS15_E_NS1_11comp_targetILNS1_3genE8ELNS1_11target_archE1030ELNS1_3gpuE2ELNS1_3repE0EEENS1_30default_config_static_selectorELNS0_4arch9wavefront6targetE0EEEvT1_,@function
_ZN7rocprim17ROCPRIM_400000_NS6detail17trampoline_kernelINS0_14default_configENS1_25partition_config_selectorILNS1_17partition_subalgoE9EllbEEZZNS1_14partition_implILS5_9ELb0ES3_jPlS8_PNS0_10empty_typeENS0_5tupleIJS8_S9_EEENSB_IJS8_SA_EEENS0_18inequality_wrapperIZN2at6native12_GLOBAL__N_124unique_dim_cuda_templateIfEESt5tupleIJNSF_6TensorESK_SK_EERKSK_lbbbEUlllE0_EEPmJS9_EEE10hipError_tPvRmT3_T4_T5_T6_T7_T9_mT8_P12ihipStream_tbDpT10_ENKUlT_T0_E_clISt17integral_constantIbLb1EES1A_EEDaS15_S16_EUlS15_E_NS1_11comp_targetILNS1_3genE8ELNS1_11target_archE1030ELNS1_3gpuE2ELNS1_3repE0EEENS1_30default_config_static_selectorELNS0_4arch9wavefront6targetE0EEEvT1_: ; @_ZN7rocprim17ROCPRIM_400000_NS6detail17trampoline_kernelINS0_14default_configENS1_25partition_config_selectorILNS1_17partition_subalgoE9EllbEEZZNS1_14partition_implILS5_9ELb0ES3_jPlS8_PNS0_10empty_typeENS0_5tupleIJS8_S9_EEENSB_IJS8_SA_EEENS0_18inequality_wrapperIZN2at6native12_GLOBAL__N_124unique_dim_cuda_templateIfEESt5tupleIJNSF_6TensorESK_SK_EERKSK_lbbbEUlllE0_EEPmJS9_EEE10hipError_tPvRmT3_T4_T5_T6_T7_T9_mT8_P12ihipStream_tbDpT10_ENKUlT_T0_E_clISt17integral_constantIbLb1EES1A_EEDaS15_S16_EUlS15_E_NS1_11comp_targetILNS1_3genE8ELNS1_11target_archE1030ELNS1_3gpuE2ELNS1_3repE0EEENS1_30default_config_static_selectorELNS0_4arch9wavefront6targetE0EEEvT1_
; %bb.0:
	.section	.rodata,"a",@progbits
	.p2align	6, 0x0
	.amdhsa_kernel _ZN7rocprim17ROCPRIM_400000_NS6detail17trampoline_kernelINS0_14default_configENS1_25partition_config_selectorILNS1_17partition_subalgoE9EllbEEZZNS1_14partition_implILS5_9ELb0ES3_jPlS8_PNS0_10empty_typeENS0_5tupleIJS8_S9_EEENSB_IJS8_SA_EEENS0_18inequality_wrapperIZN2at6native12_GLOBAL__N_124unique_dim_cuda_templateIfEESt5tupleIJNSF_6TensorESK_SK_EERKSK_lbbbEUlllE0_EEPmJS9_EEE10hipError_tPvRmT3_T4_T5_T6_T7_T9_mT8_P12ihipStream_tbDpT10_ENKUlT_T0_E_clISt17integral_constantIbLb1EES1A_EEDaS15_S16_EUlS15_E_NS1_11comp_targetILNS1_3genE8ELNS1_11target_archE1030ELNS1_3gpuE2ELNS1_3repE0EEENS1_30default_config_static_selectorELNS0_4arch9wavefront6targetE0EEEvT1_
		.amdhsa_group_segment_fixed_size 0
		.amdhsa_private_segment_fixed_size 0
		.amdhsa_kernarg_size 136
		.amdhsa_user_sgpr_count 15
		.amdhsa_user_sgpr_dispatch_ptr 0
		.amdhsa_user_sgpr_queue_ptr 0
		.amdhsa_user_sgpr_kernarg_segment_ptr 1
		.amdhsa_user_sgpr_dispatch_id 0
		.amdhsa_user_sgpr_private_segment_size 0
		.amdhsa_wavefront_size32 1
		.amdhsa_uses_dynamic_stack 0
		.amdhsa_enable_private_segment 0
		.amdhsa_system_sgpr_workgroup_id_x 1
		.amdhsa_system_sgpr_workgroup_id_y 0
		.amdhsa_system_sgpr_workgroup_id_z 0
		.amdhsa_system_sgpr_workgroup_info 0
		.amdhsa_system_vgpr_workitem_id 0
		.amdhsa_next_free_vgpr 1
		.amdhsa_next_free_sgpr 1
		.amdhsa_reserve_vcc 0
		.amdhsa_float_round_mode_32 0
		.amdhsa_float_round_mode_16_64 0
		.amdhsa_float_denorm_mode_32 3
		.amdhsa_float_denorm_mode_16_64 3
		.amdhsa_dx10_clamp 1
		.amdhsa_ieee_mode 1
		.amdhsa_fp16_overflow 0
		.amdhsa_workgroup_processor_mode 1
		.amdhsa_memory_ordered 1
		.amdhsa_forward_progress 0
		.amdhsa_shared_vgpr_count 0
		.amdhsa_exception_fp_ieee_invalid_op 0
		.amdhsa_exception_fp_denorm_src 0
		.amdhsa_exception_fp_ieee_div_zero 0
		.amdhsa_exception_fp_ieee_overflow 0
		.amdhsa_exception_fp_ieee_underflow 0
		.amdhsa_exception_fp_ieee_inexact 0
		.amdhsa_exception_int_div_zero 0
	.end_amdhsa_kernel
	.section	.text._ZN7rocprim17ROCPRIM_400000_NS6detail17trampoline_kernelINS0_14default_configENS1_25partition_config_selectorILNS1_17partition_subalgoE9EllbEEZZNS1_14partition_implILS5_9ELb0ES3_jPlS8_PNS0_10empty_typeENS0_5tupleIJS8_S9_EEENSB_IJS8_SA_EEENS0_18inequality_wrapperIZN2at6native12_GLOBAL__N_124unique_dim_cuda_templateIfEESt5tupleIJNSF_6TensorESK_SK_EERKSK_lbbbEUlllE0_EEPmJS9_EEE10hipError_tPvRmT3_T4_T5_T6_T7_T9_mT8_P12ihipStream_tbDpT10_ENKUlT_T0_E_clISt17integral_constantIbLb1EES1A_EEDaS15_S16_EUlS15_E_NS1_11comp_targetILNS1_3genE8ELNS1_11target_archE1030ELNS1_3gpuE2ELNS1_3repE0EEENS1_30default_config_static_selectorELNS0_4arch9wavefront6targetE0EEEvT1_,"axG",@progbits,_ZN7rocprim17ROCPRIM_400000_NS6detail17trampoline_kernelINS0_14default_configENS1_25partition_config_selectorILNS1_17partition_subalgoE9EllbEEZZNS1_14partition_implILS5_9ELb0ES3_jPlS8_PNS0_10empty_typeENS0_5tupleIJS8_S9_EEENSB_IJS8_SA_EEENS0_18inequality_wrapperIZN2at6native12_GLOBAL__N_124unique_dim_cuda_templateIfEESt5tupleIJNSF_6TensorESK_SK_EERKSK_lbbbEUlllE0_EEPmJS9_EEE10hipError_tPvRmT3_T4_T5_T6_T7_T9_mT8_P12ihipStream_tbDpT10_ENKUlT_T0_E_clISt17integral_constantIbLb1EES1A_EEDaS15_S16_EUlS15_E_NS1_11comp_targetILNS1_3genE8ELNS1_11target_archE1030ELNS1_3gpuE2ELNS1_3repE0EEENS1_30default_config_static_selectorELNS0_4arch9wavefront6targetE0EEEvT1_,comdat
.Lfunc_end976:
	.size	_ZN7rocprim17ROCPRIM_400000_NS6detail17trampoline_kernelINS0_14default_configENS1_25partition_config_selectorILNS1_17partition_subalgoE9EllbEEZZNS1_14partition_implILS5_9ELb0ES3_jPlS8_PNS0_10empty_typeENS0_5tupleIJS8_S9_EEENSB_IJS8_SA_EEENS0_18inequality_wrapperIZN2at6native12_GLOBAL__N_124unique_dim_cuda_templateIfEESt5tupleIJNSF_6TensorESK_SK_EERKSK_lbbbEUlllE0_EEPmJS9_EEE10hipError_tPvRmT3_T4_T5_T6_T7_T9_mT8_P12ihipStream_tbDpT10_ENKUlT_T0_E_clISt17integral_constantIbLb1EES1A_EEDaS15_S16_EUlS15_E_NS1_11comp_targetILNS1_3genE8ELNS1_11target_archE1030ELNS1_3gpuE2ELNS1_3repE0EEENS1_30default_config_static_selectorELNS0_4arch9wavefront6targetE0EEEvT1_, .Lfunc_end976-_ZN7rocprim17ROCPRIM_400000_NS6detail17trampoline_kernelINS0_14default_configENS1_25partition_config_selectorILNS1_17partition_subalgoE9EllbEEZZNS1_14partition_implILS5_9ELb0ES3_jPlS8_PNS0_10empty_typeENS0_5tupleIJS8_S9_EEENSB_IJS8_SA_EEENS0_18inequality_wrapperIZN2at6native12_GLOBAL__N_124unique_dim_cuda_templateIfEESt5tupleIJNSF_6TensorESK_SK_EERKSK_lbbbEUlllE0_EEPmJS9_EEE10hipError_tPvRmT3_T4_T5_T6_T7_T9_mT8_P12ihipStream_tbDpT10_ENKUlT_T0_E_clISt17integral_constantIbLb1EES1A_EEDaS15_S16_EUlS15_E_NS1_11comp_targetILNS1_3genE8ELNS1_11target_archE1030ELNS1_3gpuE2ELNS1_3repE0EEENS1_30default_config_static_selectorELNS0_4arch9wavefront6targetE0EEEvT1_
                                        ; -- End function
	.section	.AMDGPU.csdata,"",@progbits
; Kernel info:
; codeLenInByte = 0
; NumSgprs: 0
; NumVgprs: 0
; ScratchSize: 0
; MemoryBound: 0
; FloatMode: 240
; IeeeMode: 1
; LDSByteSize: 0 bytes/workgroup (compile time only)
; SGPRBlocks: 0
; VGPRBlocks: 0
; NumSGPRsForWavesPerEU: 1
; NumVGPRsForWavesPerEU: 1
; Occupancy: 16
; WaveLimiterHint : 0
; COMPUTE_PGM_RSRC2:SCRATCH_EN: 0
; COMPUTE_PGM_RSRC2:USER_SGPR: 15
; COMPUTE_PGM_RSRC2:TRAP_HANDLER: 0
; COMPUTE_PGM_RSRC2:TGID_X_EN: 1
; COMPUTE_PGM_RSRC2:TGID_Y_EN: 0
; COMPUTE_PGM_RSRC2:TGID_Z_EN: 0
; COMPUTE_PGM_RSRC2:TIDIG_COMP_CNT: 0
	.section	.text._ZN7rocprim17ROCPRIM_400000_NS6detail17trampoline_kernelINS0_14default_configENS1_25partition_config_selectorILNS1_17partition_subalgoE9EllbEEZZNS1_14partition_implILS5_9ELb0ES3_jPlS8_PNS0_10empty_typeENS0_5tupleIJS8_S9_EEENSB_IJS8_SA_EEENS0_18inequality_wrapperIZN2at6native12_GLOBAL__N_124unique_dim_cuda_templateIfEESt5tupleIJNSF_6TensorESK_SK_EERKSK_lbbbEUlllE0_EEPmJS9_EEE10hipError_tPvRmT3_T4_T5_T6_T7_T9_mT8_P12ihipStream_tbDpT10_ENKUlT_T0_E_clISt17integral_constantIbLb1EES19_IbLb0EEEEDaS15_S16_EUlS15_E_NS1_11comp_targetILNS1_3genE0ELNS1_11target_archE4294967295ELNS1_3gpuE0ELNS1_3repE0EEENS1_30default_config_static_selectorELNS0_4arch9wavefront6targetE0EEEvT1_,"axG",@progbits,_ZN7rocprim17ROCPRIM_400000_NS6detail17trampoline_kernelINS0_14default_configENS1_25partition_config_selectorILNS1_17partition_subalgoE9EllbEEZZNS1_14partition_implILS5_9ELb0ES3_jPlS8_PNS0_10empty_typeENS0_5tupleIJS8_S9_EEENSB_IJS8_SA_EEENS0_18inequality_wrapperIZN2at6native12_GLOBAL__N_124unique_dim_cuda_templateIfEESt5tupleIJNSF_6TensorESK_SK_EERKSK_lbbbEUlllE0_EEPmJS9_EEE10hipError_tPvRmT3_T4_T5_T6_T7_T9_mT8_P12ihipStream_tbDpT10_ENKUlT_T0_E_clISt17integral_constantIbLb1EES19_IbLb0EEEEDaS15_S16_EUlS15_E_NS1_11comp_targetILNS1_3genE0ELNS1_11target_archE4294967295ELNS1_3gpuE0ELNS1_3repE0EEENS1_30default_config_static_selectorELNS0_4arch9wavefront6targetE0EEEvT1_,comdat
	.globl	_ZN7rocprim17ROCPRIM_400000_NS6detail17trampoline_kernelINS0_14default_configENS1_25partition_config_selectorILNS1_17partition_subalgoE9EllbEEZZNS1_14partition_implILS5_9ELb0ES3_jPlS8_PNS0_10empty_typeENS0_5tupleIJS8_S9_EEENSB_IJS8_SA_EEENS0_18inequality_wrapperIZN2at6native12_GLOBAL__N_124unique_dim_cuda_templateIfEESt5tupleIJNSF_6TensorESK_SK_EERKSK_lbbbEUlllE0_EEPmJS9_EEE10hipError_tPvRmT3_T4_T5_T6_T7_T9_mT8_P12ihipStream_tbDpT10_ENKUlT_T0_E_clISt17integral_constantIbLb1EES19_IbLb0EEEEDaS15_S16_EUlS15_E_NS1_11comp_targetILNS1_3genE0ELNS1_11target_archE4294967295ELNS1_3gpuE0ELNS1_3repE0EEENS1_30default_config_static_selectorELNS0_4arch9wavefront6targetE0EEEvT1_ ; -- Begin function _ZN7rocprim17ROCPRIM_400000_NS6detail17trampoline_kernelINS0_14default_configENS1_25partition_config_selectorILNS1_17partition_subalgoE9EllbEEZZNS1_14partition_implILS5_9ELb0ES3_jPlS8_PNS0_10empty_typeENS0_5tupleIJS8_S9_EEENSB_IJS8_SA_EEENS0_18inequality_wrapperIZN2at6native12_GLOBAL__N_124unique_dim_cuda_templateIfEESt5tupleIJNSF_6TensorESK_SK_EERKSK_lbbbEUlllE0_EEPmJS9_EEE10hipError_tPvRmT3_T4_T5_T6_T7_T9_mT8_P12ihipStream_tbDpT10_ENKUlT_T0_E_clISt17integral_constantIbLb1EES19_IbLb0EEEEDaS15_S16_EUlS15_E_NS1_11comp_targetILNS1_3genE0ELNS1_11target_archE4294967295ELNS1_3gpuE0ELNS1_3repE0EEENS1_30default_config_static_selectorELNS0_4arch9wavefront6targetE0EEEvT1_
	.p2align	8
	.type	_ZN7rocprim17ROCPRIM_400000_NS6detail17trampoline_kernelINS0_14default_configENS1_25partition_config_selectorILNS1_17partition_subalgoE9EllbEEZZNS1_14partition_implILS5_9ELb0ES3_jPlS8_PNS0_10empty_typeENS0_5tupleIJS8_S9_EEENSB_IJS8_SA_EEENS0_18inequality_wrapperIZN2at6native12_GLOBAL__N_124unique_dim_cuda_templateIfEESt5tupleIJNSF_6TensorESK_SK_EERKSK_lbbbEUlllE0_EEPmJS9_EEE10hipError_tPvRmT3_T4_T5_T6_T7_T9_mT8_P12ihipStream_tbDpT10_ENKUlT_T0_E_clISt17integral_constantIbLb1EES19_IbLb0EEEEDaS15_S16_EUlS15_E_NS1_11comp_targetILNS1_3genE0ELNS1_11target_archE4294967295ELNS1_3gpuE0ELNS1_3repE0EEENS1_30default_config_static_selectorELNS0_4arch9wavefront6targetE0EEEvT1_,@function
_ZN7rocprim17ROCPRIM_400000_NS6detail17trampoline_kernelINS0_14default_configENS1_25partition_config_selectorILNS1_17partition_subalgoE9EllbEEZZNS1_14partition_implILS5_9ELb0ES3_jPlS8_PNS0_10empty_typeENS0_5tupleIJS8_S9_EEENSB_IJS8_SA_EEENS0_18inequality_wrapperIZN2at6native12_GLOBAL__N_124unique_dim_cuda_templateIfEESt5tupleIJNSF_6TensorESK_SK_EERKSK_lbbbEUlllE0_EEPmJS9_EEE10hipError_tPvRmT3_T4_T5_T6_T7_T9_mT8_P12ihipStream_tbDpT10_ENKUlT_T0_E_clISt17integral_constantIbLb1EES19_IbLb0EEEEDaS15_S16_EUlS15_E_NS1_11comp_targetILNS1_3genE0ELNS1_11target_archE4294967295ELNS1_3gpuE0ELNS1_3repE0EEENS1_30default_config_static_selectorELNS0_4arch9wavefront6targetE0EEEvT1_: ; @_ZN7rocprim17ROCPRIM_400000_NS6detail17trampoline_kernelINS0_14default_configENS1_25partition_config_selectorILNS1_17partition_subalgoE9EllbEEZZNS1_14partition_implILS5_9ELb0ES3_jPlS8_PNS0_10empty_typeENS0_5tupleIJS8_S9_EEENSB_IJS8_SA_EEENS0_18inequality_wrapperIZN2at6native12_GLOBAL__N_124unique_dim_cuda_templateIfEESt5tupleIJNSF_6TensorESK_SK_EERKSK_lbbbEUlllE0_EEPmJS9_EEE10hipError_tPvRmT3_T4_T5_T6_T7_T9_mT8_P12ihipStream_tbDpT10_ENKUlT_T0_E_clISt17integral_constantIbLb1EES19_IbLb0EEEEDaS15_S16_EUlS15_E_NS1_11comp_targetILNS1_3genE0ELNS1_11target_archE4294967295ELNS1_3gpuE0ELNS1_3repE0EEENS1_30default_config_static_selectorELNS0_4arch9wavefront6targetE0EEEvT1_
; %bb.0:
	.section	.rodata,"a",@progbits
	.p2align	6, 0x0
	.amdhsa_kernel _ZN7rocprim17ROCPRIM_400000_NS6detail17trampoline_kernelINS0_14default_configENS1_25partition_config_selectorILNS1_17partition_subalgoE9EllbEEZZNS1_14partition_implILS5_9ELb0ES3_jPlS8_PNS0_10empty_typeENS0_5tupleIJS8_S9_EEENSB_IJS8_SA_EEENS0_18inequality_wrapperIZN2at6native12_GLOBAL__N_124unique_dim_cuda_templateIfEESt5tupleIJNSF_6TensorESK_SK_EERKSK_lbbbEUlllE0_EEPmJS9_EEE10hipError_tPvRmT3_T4_T5_T6_T7_T9_mT8_P12ihipStream_tbDpT10_ENKUlT_T0_E_clISt17integral_constantIbLb1EES19_IbLb0EEEEDaS15_S16_EUlS15_E_NS1_11comp_targetILNS1_3genE0ELNS1_11target_archE4294967295ELNS1_3gpuE0ELNS1_3repE0EEENS1_30default_config_static_selectorELNS0_4arch9wavefront6targetE0EEEvT1_
		.amdhsa_group_segment_fixed_size 0
		.amdhsa_private_segment_fixed_size 0
		.amdhsa_kernarg_size 120
		.amdhsa_user_sgpr_count 15
		.amdhsa_user_sgpr_dispatch_ptr 0
		.amdhsa_user_sgpr_queue_ptr 0
		.amdhsa_user_sgpr_kernarg_segment_ptr 1
		.amdhsa_user_sgpr_dispatch_id 0
		.amdhsa_user_sgpr_private_segment_size 0
		.amdhsa_wavefront_size32 1
		.amdhsa_uses_dynamic_stack 0
		.amdhsa_enable_private_segment 0
		.amdhsa_system_sgpr_workgroup_id_x 1
		.amdhsa_system_sgpr_workgroup_id_y 0
		.amdhsa_system_sgpr_workgroup_id_z 0
		.amdhsa_system_sgpr_workgroup_info 0
		.amdhsa_system_vgpr_workitem_id 0
		.amdhsa_next_free_vgpr 1
		.amdhsa_next_free_sgpr 1
		.amdhsa_reserve_vcc 0
		.amdhsa_float_round_mode_32 0
		.amdhsa_float_round_mode_16_64 0
		.amdhsa_float_denorm_mode_32 3
		.amdhsa_float_denorm_mode_16_64 3
		.amdhsa_dx10_clamp 1
		.amdhsa_ieee_mode 1
		.amdhsa_fp16_overflow 0
		.amdhsa_workgroup_processor_mode 1
		.amdhsa_memory_ordered 1
		.amdhsa_forward_progress 0
		.amdhsa_shared_vgpr_count 0
		.amdhsa_exception_fp_ieee_invalid_op 0
		.amdhsa_exception_fp_denorm_src 0
		.amdhsa_exception_fp_ieee_div_zero 0
		.amdhsa_exception_fp_ieee_overflow 0
		.amdhsa_exception_fp_ieee_underflow 0
		.amdhsa_exception_fp_ieee_inexact 0
		.amdhsa_exception_int_div_zero 0
	.end_amdhsa_kernel
	.section	.text._ZN7rocprim17ROCPRIM_400000_NS6detail17trampoline_kernelINS0_14default_configENS1_25partition_config_selectorILNS1_17partition_subalgoE9EllbEEZZNS1_14partition_implILS5_9ELb0ES3_jPlS8_PNS0_10empty_typeENS0_5tupleIJS8_S9_EEENSB_IJS8_SA_EEENS0_18inequality_wrapperIZN2at6native12_GLOBAL__N_124unique_dim_cuda_templateIfEESt5tupleIJNSF_6TensorESK_SK_EERKSK_lbbbEUlllE0_EEPmJS9_EEE10hipError_tPvRmT3_T4_T5_T6_T7_T9_mT8_P12ihipStream_tbDpT10_ENKUlT_T0_E_clISt17integral_constantIbLb1EES19_IbLb0EEEEDaS15_S16_EUlS15_E_NS1_11comp_targetILNS1_3genE0ELNS1_11target_archE4294967295ELNS1_3gpuE0ELNS1_3repE0EEENS1_30default_config_static_selectorELNS0_4arch9wavefront6targetE0EEEvT1_,"axG",@progbits,_ZN7rocprim17ROCPRIM_400000_NS6detail17trampoline_kernelINS0_14default_configENS1_25partition_config_selectorILNS1_17partition_subalgoE9EllbEEZZNS1_14partition_implILS5_9ELb0ES3_jPlS8_PNS0_10empty_typeENS0_5tupleIJS8_S9_EEENSB_IJS8_SA_EEENS0_18inequality_wrapperIZN2at6native12_GLOBAL__N_124unique_dim_cuda_templateIfEESt5tupleIJNSF_6TensorESK_SK_EERKSK_lbbbEUlllE0_EEPmJS9_EEE10hipError_tPvRmT3_T4_T5_T6_T7_T9_mT8_P12ihipStream_tbDpT10_ENKUlT_T0_E_clISt17integral_constantIbLb1EES19_IbLb0EEEEDaS15_S16_EUlS15_E_NS1_11comp_targetILNS1_3genE0ELNS1_11target_archE4294967295ELNS1_3gpuE0ELNS1_3repE0EEENS1_30default_config_static_selectorELNS0_4arch9wavefront6targetE0EEEvT1_,comdat
.Lfunc_end977:
	.size	_ZN7rocprim17ROCPRIM_400000_NS6detail17trampoline_kernelINS0_14default_configENS1_25partition_config_selectorILNS1_17partition_subalgoE9EllbEEZZNS1_14partition_implILS5_9ELb0ES3_jPlS8_PNS0_10empty_typeENS0_5tupleIJS8_S9_EEENSB_IJS8_SA_EEENS0_18inequality_wrapperIZN2at6native12_GLOBAL__N_124unique_dim_cuda_templateIfEESt5tupleIJNSF_6TensorESK_SK_EERKSK_lbbbEUlllE0_EEPmJS9_EEE10hipError_tPvRmT3_T4_T5_T6_T7_T9_mT8_P12ihipStream_tbDpT10_ENKUlT_T0_E_clISt17integral_constantIbLb1EES19_IbLb0EEEEDaS15_S16_EUlS15_E_NS1_11comp_targetILNS1_3genE0ELNS1_11target_archE4294967295ELNS1_3gpuE0ELNS1_3repE0EEENS1_30default_config_static_selectorELNS0_4arch9wavefront6targetE0EEEvT1_, .Lfunc_end977-_ZN7rocprim17ROCPRIM_400000_NS6detail17trampoline_kernelINS0_14default_configENS1_25partition_config_selectorILNS1_17partition_subalgoE9EllbEEZZNS1_14partition_implILS5_9ELb0ES3_jPlS8_PNS0_10empty_typeENS0_5tupleIJS8_S9_EEENSB_IJS8_SA_EEENS0_18inequality_wrapperIZN2at6native12_GLOBAL__N_124unique_dim_cuda_templateIfEESt5tupleIJNSF_6TensorESK_SK_EERKSK_lbbbEUlllE0_EEPmJS9_EEE10hipError_tPvRmT3_T4_T5_T6_T7_T9_mT8_P12ihipStream_tbDpT10_ENKUlT_T0_E_clISt17integral_constantIbLb1EES19_IbLb0EEEEDaS15_S16_EUlS15_E_NS1_11comp_targetILNS1_3genE0ELNS1_11target_archE4294967295ELNS1_3gpuE0ELNS1_3repE0EEENS1_30default_config_static_selectorELNS0_4arch9wavefront6targetE0EEEvT1_
                                        ; -- End function
	.section	.AMDGPU.csdata,"",@progbits
; Kernel info:
; codeLenInByte = 0
; NumSgprs: 0
; NumVgprs: 0
; ScratchSize: 0
; MemoryBound: 0
; FloatMode: 240
; IeeeMode: 1
; LDSByteSize: 0 bytes/workgroup (compile time only)
; SGPRBlocks: 0
; VGPRBlocks: 0
; NumSGPRsForWavesPerEU: 1
; NumVGPRsForWavesPerEU: 1
; Occupancy: 16
; WaveLimiterHint : 0
; COMPUTE_PGM_RSRC2:SCRATCH_EN: 0
; COMPUTE_PGM_RSRC2:USER_SGPR: 15
; COMPUTE_PGM_RSRC2:TRAP_HANDLER: 0
; COMPUTE_PGM_RSRC2:TGID_X_EN: 1
; COMPUTE_PGM_RSRC2:TGID_Y_EN: 0
; COMPUTE_PGM_RSRC2:TGID_Z_EN: 0
; COMPUTE_PGM_RSRC2:TIDIG_COMP_CNT: 0
	.section	.text._ZN7rocprim17ROCPRIM_400000_NS6detail17trampoline_kernelINS0_14default_configENS1_25partition_config_selectorILNS1_17partition_subalgoE9EllbEEZZNS1_14partition_implILS5_9ELb0ES3_jPlS8_PNS0_10empty_typeENS0_5tupleIJS8_S9_EEENSB_IJS8_SA_EEENS0_18inequality_wrapperIZN2at6native12_GLOBAL__N_124unique_dim_cuda_templateIfEESt5tupleIJNSF_6TensorESK_SK_EERKSK_lbbbEUlllE0_EEPmJS9_EEE10hipError_tPvRmT3_T4_T5_T6_T7_T9_mT8_P12ihipStream_tbDpT10_ENKUlT_T0_E_clISt17integral_constantIbLb1EES19_IbLb0EEEEDaS15_S16_EUlS15_E_NS1_11comp_targetILNS1_3genE5ELNS1_11target_archE942ELNS1_3gpuE9ELNS1_3repE0EEENS1_30default_config_static_selectorELNS0_4arch9wavefront6targetE0EEEvT1_,"axG",@progbits,_ZN7rocprim17ROCPRIM_400000_NS6detail17trampoline_kernelINS0_14default_configENS1_25partition_config_selectorILNS1_17partition_subalgoE9EllbEEZZNS1_14partition_implILS5_9ELb0ES3_jPlS8_PNS0_10empty_typeENS0_5tupleIJS8_S9_EEENSB_IJS8_SA_EEENS0_18inequality_wrapperIZN2at6native12_GLOBAL__N_124unique_dim_cuda_templateIfEESt5tupleIJNSF_6TensorESK_SK_EERKSK_lbbbEUlllE0_EEPmJS9_EEE10hipError_tPvRmT3_T4_T5_T6_T7_T9_mT8_P12ihipStream_tbDpT10_ENKUlT_T0_E_clISt17integral_constantIbLb1EES19_IbLb0EEEEDaS15_S16_EUlS15_E_NS1_11comp_targetILNS1_3genE5ELNS1_11target_archE942ELNS1_3gpuE9ELNS1_3repE0EEENS1_30default_config_static_selectorELNS0_4arch9wavefront6targetE0EEEvT1_,comdat
	.globl	_ZN7rocprim17ROCPRIM_400000_NS6detail17trampoline_kernelINS0_14default_configENS1_25partition_config_selectorILNS1_17partition_subalgoE9EllbEEZZNS1_14partition_implILS5_9ELb0ES3_jPlS8_PNS0_10empty_typeENS0_5tupleIJS8_S9_EEENSB_IJS8_SA_EEENS0_18inequality_wrapperIZN2at6native12_GLOBAL__N_124unique_dim_cuda_templateIfEESt5tupleIJNSF_6TensorESK_SK_EERKSK_lbbbEUlllE0_EEPmJS9_EEE10hipError_tPvRmT3_T4_T5_T6_T7_T9_mT8_P12ihipStream_tbDpT10_ENKUlT_T0_E_clISt17integral_constantIbLb1EES19_IbLb0EEEEDaS15_S16_EUlS15_E_NS1_11comp_targetILNS1_3genE5ELNS1_11target_archE942ELNS1_3gpuE9ELNS1_3repE0EEENS1_30default_config_static_selectorELNS0_4arch9wavefront6targetE0EEEvT1_ ; -- Begin function _ZN7rocprim17ROCPRIM_400000_NS6detail17trampoline_kernelINS0_14default_configENS1_25partition_config_selectorILNS1_17partition_subalgoE9EllbEEZZNS1_14partition_implILS5_9ELb0ES3_jPlS8_PNS0_10empty_typeENS0_5tupleIJS8_S9_EEENSB_IJS8_SA_EEENS0_18inequality_wrapperIZN2at6native12_GLOBAL__N_124unique_dim_cuda_templateIfEESt5tupleIJNSF_6TensorESK_SK_EERKSK_lbbbEUlllE0_EEPmJS9_EEE10hipError_tPvRmT3_T4_T5_T6_T7_T9_mT8_P12ihipStream_tbDpT10_ENKUlT_T0_E_clISt17integral_constantIbLb1EES19_IbLb0EEEEDaS15_S16_EUlS15_E_NS1_11comp_targetILNS1_3genE5ELNS1_11target_archE942ELNS1_3gpuE9ELNS1_3repE0EEENS1_30default_config_static_selectorELNS0_4arch9wavefront6targetE0EEEvT1_
	.p2align	8
	.type	_ZN7rocprim17ROCPRIM_400000_NS6detail17trampoline_kernelINS0_14default_configENS1_25partition_config_selectorILNS1_17partition_subalgoE9EllbEEZZNS1_14partition_implILS5_9ELb0ES3_jPlS8_PNS0_10empty_typeENS0_5tupleIJS8_S9_EEENSB_IJS8_SA_EEENS0_18inequality_wrapperIZN2at6native12_GLOBAL__N_124unique_dim_cuda_templateIfEESt5tupleIJNSF_6TensorESK_SK_EERKSK_lbbbEUlllE0_EEPmJS9_EEE10hipError_tPvRmT3_T4_T5_T6_T7_T9_mT8_P12ihipStream_tbDpT10_ENKUlT_T0_E_clISt17integral_constantIbLb1EES19_IbLb0EEEEDaS15_S16_EUlS15_E_NS1_11comp_targetILNS1_3genE5ELNS1_11target_archE942ELNS1_3gpuE9ELNS1_3repE0EEENS1_30default_config_static_selectorELNS0_4arch9wavefront6targetE0EEEvT1_,@function
_ZN7rocprim17ROCPRIM_400000_NS6detail17trampoline_kernelINS0_14default_configENS1_25partition_config_selectorILNS1_17partition_subalgoE9EllbEEZZNS1_14partition_implILS5_9ELb0ES3_jPlS8_PNS0_10empty_typeENS0_5tupleIJS8_S9_EEENSB_IJS8_SA_EEENS0_18inequality_wrapperIZN2at6native12_GLOBAL__N_124unique_dim_cuda_templateIfEESt5tupleIJNSF_6TensorESK_SK_EERKSK_lbbbEUlllE0_EEPmJS9_EEE10hipError_tPvRmT3_T4_T5_T6_T7_T9_mT8_P12ihipStream_tbDpT10_ENKUlT_T0_E_clISt17integral_constantIbLb1EES19_IbLb0EEEEDaS15_S16_EUlS15_E_NS1_11comp_targetILNS1_3genE5ELNS1_11target_archE942ELNS1_3gpuE9ELNS1_3repE0EEENS1_30default_config_static_selectorELNS0_4arch9wavefront6targetE0EEEvT1_: ; @_ZN7rocprim17ROCPRIM_400000_NS6detail17trampoline_kernelINS0_14default_configENS1_25partition_config_selectorILNS1_17partition_subalgoE9EllbEEZZNS1_14partition_implILS5_9ELb0ES3_jPlS8_PNS0_10empty_typeENS0_5tupleIJS8_S9_EEENSB_IJS8_SA_EEENS0_18inequality_wrapperIZN2at6native12_GLOBAL__N_124unique_dim_cuda_templateIfEESt5tupleIJNSF_6TensorESK_SK_EERKSK_lbbbEUlllE0_EEPmJS9_EEE10hipError_tPvRmT3_T4_T5_T6_T7_T9_mT8_P12ihipStream_tbDpT10_ENKUlT_T0_E_clISt17integral_constantIbLb1EES19_IbLb0EEEEDaS15_S16_EUlS15_E_NS1_11comp_targetILNS1_3genE5ELNS1_11target_archE942ELNS1_3gpuE9ELNS1_3repE0EEENS1_30default_config_static_selectorELNS0_4arch9wavefront6targetE0EEEvT1_
; %bb.0:
	.section	.rodata,"a",@progbits
	.p2align	6, 0x0
	.amdhsa_kernel _ZN7rocprim17ROCPRIM_400000_NS6detail17trampoline_kernelINS0_14default_configENS1_25partition_config_selectorILNS1_17partition_subalgoE9EllbEEZZNS1_14partition_implILS5_9ELb0ES3_jPlS8_PNS0_10empty_typeENS0_5tupleIJS8_S9_EEENSB_IJS8_SA_EEENS0_18inequality_wrapperIZN2at6native12_GLOBAL__N_124unique_dim_cuda_templateIfEESt5tupleIJNSF_6TensorESK_SK_EERKSK_lbbbEUlllE0_EEPmJS9_EEE10hipError_tPvRmT3_T4_T5_T6_T7_T9_mT8_P12ihipStream_tbDpT10_ENKUlT_T0_E_clISt17integral_constantIbLb1EES19_IbLb0EEEEDaS15_S16_EUlS15_E_NS1_11comp_targetILNS1_3genE5ELNS1_11target_archE942ELNS1_3gpuE9ELNS1_3repE0EEENS1_30default_config_static_selectorELNS0_4arch9wavefront6targetE0EEEvT1_
		.amdhsa_group_segment_fixed_size 0
		.amdhsa_private_segment_fixed_size 0
		.amdhsa_kernarg_size 120
		.amdhsa_user_sgpr_count 15
		.amdhsa_user_sgpr_dispatch_ptr 0
		.amdhsa_user_sgpr_queue_ptr 0
		.amdhsa_user_sgpr_kernarg_segment_ptr 1
		.amdhsa_user_sgpr_dispatch_id 0
		.amdhsa_user_sgpr_private_segment_size 0
		.amdhsa_wavefront_size32 1
		.amdhsa_uses_dynamic_stack 0
		.amdhsa_enable_private_segment 0
		.amdhsa_system_sgpr_workgroup_id_x 1
		.amdhsa_system_sgpr_workgroup_id_y 0
		.amdhsa_system_sgpr_workgroup_id_z 0
		.amdhsa_system_sgpr_workgroup_info 0
		.amdhsa_system_vgpr_workitem_id 0
		.amdhsa_next_free_vgpr 1
		.amdhsa_next_free_sgpr 1
		.amdhsa_reserve_vcc 0
		.amdhsa_float_round_mode_32 0
		.amdhsa_float_round_mode_16_64 0
		.amdhsa_float_denorm_mode_32 3
		.amdhsa_float_denorm_mode_16_64 3
		.amdhsa_dx10_clamp 1
		.amdhsa_ieee_mode 1
		.amdhsa_fp16_overflow 0
		.amdhsa_workgroup_processor_mode 1
		.amdhsa_memory_ordered 1
		.amdhsa_forward_progress 0
		.amdhsa_shared_vgpr_count 0
		.amdhsa_exception_fp_ieee_invalid_op 0
		.amdhsa_exception_fp_denorm_src 0
		.amdhsa_exception_fp_ieee_div_zero 0
		.amdhsa_exception_fp_ieee_overflow 0
		.amdhsa_exception_fp_ieee_underflow 0
		.amdhsa_exception_fp_ieee_inexact 0
		.amdhsa_exception_int_div_zero 0
	.end_amdhsa_kernel
	.section	.text._ZN7rocprim17ROCPRIM_400000_NS6detail17trampoline_kernelINS0_14default_configENS1_25partition_config_selectorILNS1_17partition_subalgoE9EllbEEZZNS1_14partition_implILS5_9ELb0ES3_jPlS8_PNS0_10empty_typeENS0_5tupleIJS8_S9_EEENSB_IJS8_SA_EEENS0_18inequality_wrapperIZN2at6native12_GLOBAL__N_124unique_dim_cuda_templateIfEESt5tupleIJNSF_6TensorESK_SK_EERKSK_lbbbEUlllE0_EEPmJS9_EEE10hipError_tPvRmT3_T4_T5_T6_T7_T9_mT8_P12ihipStream_tbDpT10_ENKUlT_T0_E_clISt17integral_constantIbLb1EES19_IbLb0EEEEDaS15_S16_EUlS15_E_NS1_11comp_targetILNS1_3genE5ELNS1_11target_archE942ELNS1_3gpuE9ELNS1_3repE0EEENS1_30default_config_static_selectorELNS0_4arch9wavefront6targetE0EEEvT1_,"axG",@progbits,_ZN7rocprim17ROCPRIM_400000_NS6detail17trampoline_kernelINS0_14default_configENS1_25partition_config_selectorILNS1_17partition_subalgoE9EllbEEZZNS1_14partition_implILS5_9ELb0ES3_jPlS8_PNS0_10empty_typeENS0_5tupleIJS8_S9_EEENSB_IJS8_SA_EEENS0_18inequality_wrapperIZN2at6native12_GLOBAL__N_124unique_dim_cuda_templateIfEESt5tupleIJNSF_6TensorESK_SK_EERKSK_lbbbEUlllE0_EEPmJS9_EEE10hipError_tPvRmT3_T4_T5_T6_T7_T9_mT8_P12ihipStream_tbDpT10_ENKUlT_T0_E_clISt17integral_constantIbLb1EES19_IbLb0EEEEDaS15_S16_EUlS15_E_NS1_11comp_targetILNS1_3genE5ELNS1_11target_archE942ELNS1_3gpuE9ELNS1_3repE0EEENS1_30default_config_static_selectorELNS0_4arch9wavefront6targetE0EEEvT1_,comdat
.Lfunc_end978:
	.size	_ZN7rocprim17ROCPRIM_400000_NS6detail17trampoline_kernelINS0_14default_configENS1_25partition_config_selectorILNS1_17partition_subalgoE9EllbEEZZNS1_14partition_implILS5_9ELb0ES3_jPlS8_PNS0_10empty_typeENS0_5tupleIJS8_S9_EEENSB_IJS8_SA_EEENS0_18inequality_wrapperIZN2at6native12_GLOBAL__N_124unique_dim_cuda_templateIfEESt5tupleIJNSF_6TensorESK_SK_EERKSK_lbbbEUlllE0_EEPmJS9_EEE10hipError_tPvRmT3_T4_T5_T6_T7_T9_mT8_P12ihipStream_tbDpT10_ENKUlT_T0_E_clISt17integral_constantIbLb1EES19_IbLb0EEEEDaS15_S16_EUlS15_E_NS1_11comp_targetILNS1_3genE5ELNS1_11target_archE942ELNS1_3gpuE9ELNS1_3repE0EEENS1_30default_config_static_selectorELNS0_4arch9wavefront6targetE0EEEvT1_, .Lfunc_end978-_ZN7rocprim17ROCPRIM_400000_NS6detail17trampoline_kernelINS0_14default_configENS1_25partition_config_selectorILNS1_17partition_subalgoE9EllbEEZZNS1_14partition_implILS5_9ELb0ES3_jPlS8_PNS0_10empty_typeENS0_5tupleIJS8_S9_EEENSB_IJS8_SA_EEENS0_18inequality_wrapperIZN2at6native12_GLOBAL__N_124unique_dim_cuda_templateIfEESt5tupleIJNSF_6TensorESK_SK_EERKSK_lbbbEUlllE0_EEPmJS9_EEE10hipError_tPvRmT3_T4_T5_T6_T7_T9_mT8_P12ihipStream_tbDpT10_ENKUlT_T0_E_clISt17integral_constantIbLb1EES19_IbLb0EEEEDaS15_S16_EUlS15_E_NS1_11comp_targetILNS1_3genE5ELNS1_11target_archE942ELNS1_3gpuE9ELNS1_3repE0EEENS1_30default_config_static_selectorELNS0_4arch9wavefront6targetE0EEEvT1_
                                        ; -- End function
	.section	.AMDGPU.csdata,"",@progbits
; Kernel info:
; codeLenInByte = 0
; NumSgprs: 0
; NumVgprs: 0
; ScratchSize: 0
; MemoryBound: 0
; FloatMode: 240
; IeeeMode: 1
; LDSByteSize: 0 bytes/workgroup (compile time only)
; SGPRBlocks: 0
; VGPRBlocks: 0
; NumSGPRsForWavesPerEU: 1
; NumVGPRsForWavesPerEU: 1
; Occupancy: 16
; WaveLimiterHint : 0
; COMPUTE_PGM_RSRC2:SCRATCH_EN: 0
; COMPUTE_PGM_RSRC2:USER_SGPR: 15
; COMPUTE_PGM_RSRC2:TRAP_HANDLER: 0
; COMPUTE_PGM_RSRC2:TGID_X_EN: 1
; COMPUTE_PGM_RSRC2:TGID_Y_EN: 0
; COMPUTE_PGM_RSRC2:TGID_Z_EN: 0
; COMPUTE_PGM_RSRC2:TIDIG_COMP_CNT: 0
	.section	.text._ZN7rocprim17ROCPRIM_400000_NS6detail17trampoline_kernelINS0_14default_configENS1_25partition_config_selectorILNS1_17partition_subalgoE9EllbEEZZNS1_14partition_implILS5_9ELb0ES3_jPlS8_PNS0_10empty_typeENS0_5tupleIJS8_S9_EEENSB_IJS8_SA_EEENS0_18inequality_wrapperIZN2at6native12_GLOBAL__N_124unique_dim_cuda_templateIfEESt5tupleIJNSF_6TensorESK_SK_EERKSK_lbbbEUlllE0_EEPmJS9_EEE10hipError_tPvRmT3_T4_T5_T6_T7_T9_mT8_P12ihipStream_tbDpT10_ENKUlT_T0_E_clISt17integral_constantIbLb1EES19_IbLb0EEEEDaS15_S16_EUlS15_E_NS1_11comp_targetILNS1_3genE4ELNS1_11target_archE910ELNS1_3gpuE8ELNS1_3repE0EEENS1_30default_config_static_selectorELNS0_4arch9wavefront6targetE0EEEvT1_,"axG",@progbits,_ZN7rocprim17ROCPRIM_400000_NS6detail17trampoline_kernelINS0_14default_configENS1_25partition_config_selectorILNS1_17partition_subalgoE9EllbEEZZNS1_14partition_implILS5_9ELb0ES3_jPlS8_PNS0_10empty_typeENS0_5tupleIJS8_S9_EEENSB_IJS8_SA_EEENS0_18inequality_wrapperIZN2at6native12_GLOBAL__N_124unique_dim_cuda_templateIfEESt5tupleIJNSF_6TensorESK_SK_EERKSK_lbbbEUlllE0_EEPmJS9_EEE10hipError_tPvRmT3_T4_T5_T6_T7_T9_mT8_P12ihipStream_tbDpT10_ENKUlT_T0_E_clISt17integral_constantIbLb1EES19_IbLb0EEEEDaS15_S16_EUlS15_E_NS1_11comp_targetILNS1_3genE4ELNS1_11target_archE910ELNS1_3gpuE8ELNS1_3repE0EEENS1_30default_config_static_selectorELNS0_4arch9wavefront6targetE0EEEvT1_,comdat
	.globl	_ZN7rocprim17ROCPRIM_400000_NS6detail17trampoline_kernelINS0_14default_configENS1_25partition_config_selectorILNS1_17partition_subalgoE9EllbEEZZNS1_14partition_implILS5_9ELb0ES3_jPlS8_PNS0_10empty_typeENS0_5tupleIJS8_S9_EEENSB_IJS8_SA_EEENS0_18inequality_wrapperIZN2at6native12_GLOBAL__N_124unique_dim_cuda_templateIfEESt5tupleIJNSF_6TensorESK_SK_EERKSK_lbbbEUlllE0_EEPmJS9_EEE10hipError_tPvRmT3_T4_T5_T6_T7_T9_mT8_P12ihipStream_tbDpT10_ENKUlT_T0_E_clISt17integral_constantIbLb1EES19_IbLb0EEEEDaS15_S16_EUlS15_E_NS1_11comp_targetILNS1_3genE4ELNS1_11target_archE910ELNS1_3gpuE8ELNS1_3repE0EEENS1_30default_config_static_selectorELNS0_4arch9wavefront6targetE0EEEvT1_ ; -- Begin function _ZN7rocprim17ROCPRIM_400000_NS6detail17trampoline_kernelINS0_14default_configENS1_25partition_config_selectorILNS1_17partition_subalgoE9EllbEEZZNS1_14partition_implILS5_9ELb0ES3_jPlS8_PNS0_10empty_typeENS0_5tupleIJS8_S9_EEENSB_IJS8_SA_EEENS0_18inequality_wrapperIZN2at6native12_GLOBAL__N_124unique_dim_cuda_templateIfEESt5tupleIJNSF_6TensorESK_SK_EERKSK_lbbbEUlllE0_EEPmJS9_EEE10hipError_tPvRmT3_T4_T5_T6_T7_T9_mT8_P12ihipStream_tbDpT10_ENKUlT_T0_E_clISt17integral_constantIbLb1EES19_IbLb0EEEEDaS15_S16_EUlS15_E_NS1_11comp_targetILNS1_3genE4ELNS1_11target_archE910ELNS1_3gpuE8ELNS1_3repE0EEENS1_30default_config_static_selectorELNS0_4arch9wavefront6targetE0EEEvT1_
	.p2align	8
	.type	_ZN7rocprim17ROCPRIM_400000_NS6detail17trampoline_kernelINS0_14default_configENS1_25partition_config_selectorILNS1_17partition_subalgoE9EllbEEZZNS1_14partition_implILS5_9ELb0ES3_jPlS8_PNS0_10empty_typeENS0_5tupleIJS8_S9_EEENSB_IJS8_SA_EEENS0_18inequality_wrapperIZN2at6native12_GLOBAL__N_124unique_dim_cuda_templateIfEESt5tupleIJNSF_6TensorESK_SK_EERKSK_lbbbEUlllE0_EEPmJS9_EEE10hipError_tPvRmT3_T4_T5_T6_T7_T9_mT8_P12ihipStream_tbDpT10_ENKUlT_T0_E_clISt17integral_constantIbLb1EES19_IbLb0EEEEDaS15_S16_EUlS15_E_NS1_11comp_targetILNS1_3genE4ELNS1_11target_archE910ELNS1_3gpuE8ELNS1_3repE0EEENS1_30default_config_static_selectorELNS0_4arch9wavefront6targetE0EEEvT1_,@function
_ZN7rocprim17ROCPRIM_400000_NS6detail17trampoline_kernelINS0_14default_configENS1_25partition_config_selectorILNS1_17partition_subalgoE9EllbEEZZNS1_14partition_implILS5_9ELb0ES3_jPlS8_PNS0_10empty_typeENS0_5tupleIJS8_S9_EEENSB_IJS8_SA_EEENS0_18inequality_wrapperIZN2at6native12_GLOBAL__N_124unique_dim_cuda_templateIfEESt5tupleIJNSF_6TensorESK_SK_EERKSK_lbbbEUlllE0_EEPmJS9_EEE10hipError_tPvRmT3_T4_T5_T6_T7_T9_mT8_P12ihipStream_tbDpT10_ENKUlT_T0_E_clISt17integral_constantIbLb1EES19_IbLb0EEEEDaS15_S16_EUlS15_E_NS1_11comp_targetILNS1_3genE4ELNS1_11target_archE910ELNS1_3gpuE8ELNS1_3repE0EEENS1_30default_config_static_selectorELNS0_4arch9wavefront6targetE0EEEvT1_: ; @_ZN7rocprim17ROCPRIM_400000_NS6detail17trampoline_kernelINS0_14default_configENS1_25partition_config_selectorILNS1_17partition_subalgoE9EllbEEZZNS1_14partition_implILS5_9ELb0ES3_jPlS8_PNS0_10empty_typeENS0_5tupleIJS8_S9_EEENSB_IJS8_SA_EEENS0_18inequality_wrapperIZN2at6native12_GLOBAL__N_124unique_dim_cuda_templateIfEESt5tupleIJNSF_6TensorESK_SK_EERKSK_lbbbEUlllE0_EEPmJS9_EEE10hipError_tPvRmT3_T4_T5_T6_T7_T9_mT8_P12ihipStream_tbDpT10_ENKUlT_T0_E_clISt17integral_constantIbLb1EES19_IbLb0EEEEDaS15_S16_EUlS15_E_NS1_11comp_targetILNS1_3genE4ELNS1_11target_archE910ELNS1_3gpuE8ELNS1_3repE0EEENS1_30default_config_static_selectorELNS0_4arch9wavefront6targetE0EEEvT1_
; %bb.0:
	.section	.rodata,"a",@progbits
	.p2align	6, 0x0
	.amdhsa_kernel _ZN7rocprim17ROCPRIM_400000_NS6detail17trampoline_kernelINS0_14default_configENS1_25partition_config_selectorILNS1_17partition_subalgoE9EllbEEZZNS1_14partition_implILS5_9ELb0ES3_jPlS8_PNS0_10empty_typeENS0_5tupleIJS8_S9_EEENSB_IJS8_SA_EEENS0_18inequality_wrapperIZN2at6native12_GLOBAL__N_124unique_dim_cuda_templateIfEESt5tupleIJNSF_6TensorESK_SK_EERKSK_lbbbEUlllE0_EEPmJS9_EEE10hipError_tPvRmT3_T4_T5_T6_T7_T9_mT8_P12ihipStream_tbDpT10_ENKUlT_T0_E_clISt17integral_constantIbLb1EES19_IbLb0EEEEDaS15_S16_EUlS15_E_NS1_11comp_targetILNS1_3genE4ELNS1_11target_archE910ELNS1_3gpuE8ELNS1_3repE0EEENS1_30default_config_static_selectorELNS0_4arch9wavefront6targetE0EEEvT1_
		.amdhsa_group_segment_fixed_size 0
		.amdhsa_private_segment_fixed_size 0
		.amdhsa_kernarg_size 120
		.amdhsa_user_sgpr_count 15
		.amdhsa_user_sgpr_dispatch_ptr 0
		.amdhsa_user_sgpr_queue_ptr 0
		.amdhsa_user_sgpr_kernarg_segment_ptr 1
		.amdhsa_user_sgpr_dispatch_id 0
		.amdhsa_user_sgpr_private_segment_size 0
		.amdhsa_wavefront_size32 1
		.amdhsa_uses_dynamic_stack 0
		.amdhsa_enable_private_segment 0
		.amdhsa_system_sgpr_workgroup_id_x 1
		.amdhsa_system_sgpr_workgroup_id_y 0
		.amdhsa_system_sgpr_workgroup_id_z 0
		.amdhsa_system_sgpr_workgroup_info 0
		.amdhsa_system_vgpr_workitem_id 0
		.amdhsa_next_free_vgpr 1
		.amdhsa_next_free_sgpr 1
		.amdhsa_reserve_vcc 0
		.amdhsa_float_round_mode_32 0
		.amdhsa_float_round_mode_16_64 0
		.amdhsa_float_denorm_mode_32 3
		.amdhsa_float_denorm_mode_16_64 3
		.amdhsa_dx10_clamp 1
		.amdhsa_ieee_mode 1
		.amdhsa_fp16_overflow 0
		.amdhsa_workgroup_processor_mode 1
		.amdhsa_memory_ordered 1
		.amdhsa_forward_progress 0
		.amdhsa_shared_vgpr_count 0
		.amdhsa_exception_fp_ieee_invalid_op 0
		.amdhsa_exception_fp_denorm_src 0
		.amdhsa_exception_fp_ieee_div_zero 0
		.amdhsa_exception_fp_ieee_overflow 0
		.amdhsa_exception_fp_ieee_underflow 0
		.amdhsa_exception_fp_ieee_inexact 0
		.amdhsa_exception_int_div_zero 0
	.end_amdhsa_kernel
	.section	.text._ZN7rocprim17ROCPRIM_400000_NS6detail17trampoline_kernelINS0_14default_configENS1_25partition_config_selectorILNS1_17partition_subalgoE9EllbEEZZNS1_14partition_implILS5_9ELb0ES3_jPlS8_PNS0_10empty_typeENS0_5tupleIJS8_S9_EEENSB_IJS8_SA_EEENS0_18inequality_wrapperIZN2at6native12_GLOBAL__N_124unique_dim_cuda_templateIfEESt5tupleIJNSF_6TensorESK_SK_EERKSK_lbbbEUlllE0_EEPmJS9_EEE10hipError_tPvRmT3_T4_T5_T6_T7_T9_mT8_P12ihipStream_tbDpT10_ENKUlT_T0_E_clISt17integral_constantIbLb1EES19_IbLb0EEEEDaS15_S16_EUlS15_E_NS1_11comp_targetILNS1_3genE4ELNS1_11target_archE910ELNS1_3gpuE8ELNS1_3repE0EEENS1_30default_config_static_selectorELNS0_4arch9wavefront6targetE0EEEvT1_,"axG",@progbits,_ZN7rocprim17ROCPRIM_400000_NS6detail17trampoline_kernelINS0_14default_configENS1_25partition_config_selectorILNS1_17partition_subalgoE9EllbEEZZNS1_14partition_implILS5_9ELb0ES3_jPlS8_PNS0_10empty_typeENS0_5tupleIJS8_S9_EEENSB_IJS8_SA_EEENS0_18inequality_wrapperIZN2at6native12_GLOBAL__N_124unique_dim_cuda_templateIfEESt5tupleIJNSF_6TensorESK_SK_EERKSK_lbbbEUlllE0_EEPmJS9_EEE10hipError_tPvRmT3_T4_T5_T6_T7_T9_mT8_P12ihipStream_tbDpT10_ENKUlT_T0_E_clISt17integral_constantIbLb1EES19_IbLb0EEEEDaS15_S16_EUlS15_E_NS1_11comp_targetILNS1_3genE4ELNS1_11target_archE910ELNS1_3gpuE8ELNS1_3repE0EEENS1_30default_config_static_selectorELNS0_4arch9wavefront6targetE0EEEvT1_,comdat
.Lfunc_end979:
	.size	_ZN7rocprim17ROCPRIM_400000_NS6detail17trampoline_kernelINS0_14default_configENS1_25partition_config_selectorILNS1_17partition_subalgoE9EllbEEZZNS1_14partition_implILS5_9ELb0ES3_jPlS8_PNS0_10empty_typeENS0_5tupleIJS8_S9_EEENSB_IJS8_SA_EEENS0_18inequality_wrapperIZN2at6native12_GLOBAL__N_124unique_dim_cuda_templateIfEESt5tupleIJNSF_6TensorESK_SK_EERKSK_lbbbEUlllE0_EEPmJS9_EEE10hipError_tPvRmT3_T4_T5_T6_T7_T9_mT8_P12ihipStream_tbDpT10_ENKUlT_T0_E_clISt17integral_constantIbLb1EES19_IbLb0EEEEDaS15_S16_EUlS15_E_NS1_11comp_targetILNS1_3genE4ELNS1_11target_archE910ELNS1_3gpuE8ELNS1_3repE0EEENS1_30default_config_static_selectorELNS0_4arch9wavefront6targetE0EEEvT1_, .Lfunc_end979-_ZN7rocprim17ROCPRIM_400000_NS6detail17trampoline_kernelINS0_14default_configENS1_25partition_config_selectorILNS1_17partition_subalgoE9EllbEEZZNS1_14partition_implILS5_9ELb0ES3_jPlS8_PNS0_10empty_typeENS0_5tupleIJS8_S9_EEENSB_IJS8_SA_EEENS0_18inequality_wrapperIZN2at6native12_GLOBAL__N_124unique_dim_cuda_templateIfEESt5tupleIJNSF_6TensorESK_SK_EERKSK_lbbbEUlllE0_EEPmJS9_EEE10hipError_tPvRmT3_T4_T5_T6_T7_T9_mT8_P12ihipStream_tbDpT10_ENKUlT_T0_E_clISt17integral_constantIbLb1EES19_IbLb0EEEEDaS15_S16_EUlS15_E_NS1_11comp_targetILNS1_3genE4ELNS1_11target_archE910ELNS1_3gpuE8ELNS1_3repE0EEENS1_30default_config_static_selectorELNS0_4arch9wavefront6targetE0EEEvT1_
                                        ; -- End function
	.section	.AMDGPU.csdata,"",@progbits
; Kernel info:
; codeLenInByte = 0
; NumSgprs: 0
; NumVgprs: 0
; ScratchSize: 0
; MemoryBound: 0
; FloatMode: 240
; IeeeMode: 1
; LDSByteSize: 0 bytes/workgroup (compile time only)
; SGPRBlocks: 0
; VGPRBlocks: 0
; NumSGPRsForWavesPerEU: 1
; NumVGPRsForWavesPerEU: 1
; Occupancy: 16
; WaveLimiterHint : 0
; COMPUTE_PGM_RSRC2:SCRATCH_EN: 0
; COMPUTE_PGM_RSRC2:USER_SGPR: 15
; COMPUTE_PGM_RSRC2:TRAP_HANDLER: 0
; COMPUTE_PGM_RSRC2:TGID_X_EN: 1
; COMPUTE_PGM_RSRC2:TGID_Y_EN: 0
; COMPUTE_PGM_RSRC2:TGID_Z_EN: 0
; COMPUTE_PGM_RSRC2:TIDIG_COMP_CNT: 0
	.section	.text._ZN7rocprim17ROCPRIM_400000_NS6detail17trampoline_kernelINS0_14default_configENS1_25partition_config_selectorILNS1_17partition_subalgoE9EllbEEZZNS1_14partition_implILS5_9ELb0ES3_jPlS8_PNS0_10empty_typeENS0_5tupleIJS8_S9_EEENSB_IJS8_SA_EEENS0_18inequality_wrapperIZN2at6native12_GLOBAL__N_124unique_dim_cuda_templateIfEESt5tupleIJNSF_6TensorESK_SK_EERKSK_lbbbEUlllE0_EEPmJS9_EEE10hipError_tPvRmT3_T4_T5_T6_T7_T9_mT8_P12ihipStream_tbDpT10_ENKUlT_T0_E_clISt17integral_constantIbLb1EES19_IbLb0EEEEDaS15_S16_EUlS15_E_NS1_11comp_targetILNS1_3genE3ELNS1_11target_archE908ELNS1_3gpuE7ELNS1_3repE0EEENS1_30default_config_static_selectorELNS0_4arch9wavefront6targetE0EEEvT1_,"axG",@progbits,_ZN7rocprim17ROCPRIM_400000_NS6detail17trampoline_kernelINS0_14default_configENS1_25partition_config_selectorILNS1_17partition_subalgoE9EllbEEZZNS1_14partition_implILS5_9ELb0ES3_jPlS8_PNS0_10empty_typeENS0_5tupleIJS8_S9_EEENSB_IJS8_SA_EEENS0_18inequality_wrapperIZN2at6native12_GLOBAL__N_124unique_dim_cuda_templateIfEESt5tupleIJNSF_6TensorESK_SK_EERKSK_lbbbEUlllE0_EEPmJS9_EEE10hipError_tPvRmT3_T4_T5_T6_T7_T9_mT8_P12ihipStream_tbDpT10_ENKUlT_T0_E_clISt17integral_constantIbLb1EES19_IbLb0EEEEDaS15_S16_EUlS15_E_NS1_11comp_targetILNS1_3genE3ELNS1_11target_archE908ELNS1_3gpuE7ELNS1_3repE0EEENS1_30default_config_static_selectorELNS0_4arch9wavefront6targetE0EEEvT1_,comdat
	.globl	_ZN7rocprim17ROCPRIM_400000_NS6detail17trampoline_kernelINS0_14default_configENS1_25partition_config_selectorILNS1_17partition_subalgoE9EllbEEZZNS1_14partition_implILS5_9ELb0ES3_jPlS8_PNS0_10empty_typeENS0_5tupleIJS8_S9_EEENSB_IJS8_SA_EEENS0_18inequality_wrapperIZN2at6native12_GLOBAL__N_124unique_dim_cuda_templateIfEESt5tupleIJNSF_6TensorESK_SK_EERKSK_lbbbEUlllE0_EEPmJS9_EEE10hipError_tPvRmT3_T4_T5_T6_T7_T9_mT8_P12ihipStream_tbDpT10_ENKUlT_T0_E_clISt17integral_constantIbLb1EES19_IbLb0EEEEDaS15_S16_EUlS15_E_NS1_11comp_targetILNS1_3genE3ELNS1_11target_archE908ELNS1_3gpuE7ELNS1_3repE0EEENS1_30default_config_static_selectorELNS0_4arch9wavefront6targetE0EEEvT1_ ; -- Begin function _ZN7rocprim17ROCPRIM_400000_NS6detail17trampoline_kernelINS0_14default_configENS1_25partition_config_selectorILNS1_17partition_subalgoE9EllbEEZZNS1_14partition_implILS5_9ELb0ES3_jPlS8_PNS0_10empty_typeENS0_5tupleIJS8_S9_EEENSB_IJS8_SA_EEENS0_18inequality_wrapperIZN2at6native12_GLOBAL__N_124unique_dim_cuda_templateIfEESt5tupleIJNSF_6TensorESK_SK_EERKSK_lbbbEUlllE0_EEPmJS9_EEE10hipError_tPvRmT3_T4_T5_T6_T7_T9_mT8_P12ihipStream_tbDpT10_ENKUlT_T0_E_clISt17integral_constantIbLb1EES19_IbLb0EEEEDaS15_S16_EUlS15_E_NS1_11comp_targetILNS1_3genE3ELNS1_11target_archE908ELNS1_3gpuE7ELNS1_3repE0EEENS1_30default_config_static_selectorELNS0_4arch9wavefront6targetE0EEEvT1_
	.p2align	8
	.type	_ZN7rocprim17ROCPRIM_400000_NS6detail17trampoline_kernelINS0_14default_configENS1_25partition_config_selectorILNS1_17partition_subalgoE9EllbEEZZNS1_14partition_implILS5_9ELb0ES3_jPlS8_PNS0_10empty_typeENS0_5tupleIJS8_S9_EEENSB_IJS8_SA_EEENS0_18inequality_wrapperIZN2at6native12_GLOBAL__N_124unique_dim_cuda_templateIfEESt5tupleIJNSF_6TensorESK_SK_EERKSK_lbbbEUlllE0_EEPmJS9_EEE10hipError_tPvRmT3_T4_T5_T6_T7_T9_mT8_P12ihipStream_tbDpT10_ENKUlT_T0_E_clISt17integral_constantIbLb1EES19_IbLb0EEEEDaS15_S16_EUlS15_E_NS1_11comp_targetILNS1_3genE3ELNS1_11target_archE908ELNS1_3gpuE7ELNS1_3repE0EEENS1_30default_config_static_selectorELNS0_4arch9wavefront6targetE0EEEvT1_,@function
_ZN7rocprim17ROCPRIM_400000_NS6detail17trampoline_kernelINS0_14default_configENS1_25partition_config_selectorILNS1_17partition_subalgoE9EllbEEZZNS1_14partition_implILS5_9ELb0ES3_jPlS8_PNS0_10empty_typeENS0_5tupleIJS8_S9_EEENSB_IJS8_SA_EEENS0_18inequality_wrapperIZN2at6native12_GLOBAL__N_124unique_dim_cuda_templateIfEESt5tupleIJNSF_6TensorESK_SK_EERKSK_lbbbEUlllE0_EEPmJS9_EEE10hipError_tPvRmT3_T4_T5_T6_T7_T9_mT8_P12ihipStream_tbDpT10_ENKUlT_T0_E_clISt17integral_constantIbLb1EES19_IbLb0EEEEDaS15_S16_EUlS15_E_NS1_11comp_targetILNS1_3genE3ELNS1_11target_archE908ELNS1_3gpuE7ELNS1_3repE0EEENS1_30default_config_static_selectorELNS0_4arch9wavefront6targetE0EEEvT1_: ; @_ZN7rocprim17ROCPRIM_400000_NS6detail17trampoline_kernelINS0_14default_configENS1_25partition_config_selectorILNS1_17partition_subalgoE9EllbEEZZNS1_14partition_implILS5_9ELb0ES3_jPlS8_PNS0_10empty_typeENS0_5tupleIJS8_S9_EEENSB_IJS8_SA_EEENS0_18inequality_wrapperIZN2at6native12_GLOBAL__N_124unique_dim_cuda_templateIfEESt5tupleIJNSF_6TensorESK_SK_EERKSK_lbbbEUlllE0_EEPmJS9_EEE10hipError_tPvRmT3_T4_T5_T6_T7_T9_mT8_P12ihipStream_tbDpT10_ENKUlT_T0_E_clISt17integral_constantIbLb1EES19_IbLb0EEEEDaS15_S16_EUlS15_E_NS1_11comp_targetILNS1_3genE3ELNS1_11target_archE908ELNS1_3gpuE7ELNS1_3repE0EEENS1_30default_config_static_selectorELNS0_4arch9wavefront6targetE0EEEvT1_
; %bb.0:
	.section	.rodata,"a",@progbits
	.p2align	6, 0x0
	.amdhsa_kernel _ZN7rocprim17ROCPRIM_400000_NS6detail17trampoline_kernelINS0_14default_configENS1_25partition_config_selectorILNS1_17partition_subalgoE9EllbEEZZNS1_14partition_implILS5_9ELb0ES3_jPlS8_PNS0_10empty_typeENS0_5tupleIJS8_S9_EEENSB_IJS8_SA_EEENS0_18inequality_wrapperIZN2at6native12_GLOBAL__N_124unique_dim_cuda_templateIfEESt5tupleIJNSF_6TensorESK_SK_EERKSK_lbbbEUlllE0_EEPmJS9_EEE10hipError_tPvRmT3_T4_T5_T6_T7_T9_mT8_P12ihipStream_tbDpT10_ENKUlT_T0_E_clISt17integral_constantIbLb1EES19_IbLb0EEEEDaS15_S16_EUlS15_E_NS1_11comp_targetILNS1_3genE3ELNS1_11target_archE908ELNS1_3gpuE7ELNS1_3repE0EEENS1_30default_config_static_selectorELNS0_4arch9wavefront6targetE0EEEvT1_
		.amdhsa_group_segment_fixed_size 0
		.amdhsa_private_segment_fixed_size 0
		.amdhsa_kernarg_size 120
		.amdhsa_user_sgpr_count 15
		.amdhsa_user_sgpr_dispatch_ptr 0
		.amdhsa_user_sgpr_queue_ptr 0
		.amdhsa_user_sgpr_kernarg_segment_ptr 1
		.amdhsa_user_sgpr_dispatch_id 0
		.amdhsa_user_sgpr_private_segment_size 0
		.amdhsa_wavefront_size32 1
		.amdhsa_uses_dynamic_stack 0
		.amdhsa_enable_private_segment 0
		.amdhsa_system_sgpr_workgroup_id_x 1
		.amdhsa_system_sgpr_workgroup_id_y 0
		.amdhsa_system_sgpr_workgroup_id_z 0
		.amdhsa_system_sgpr_workgroup_info 0
		.amdhsa_system_vgpr_workitem_id 0
		.amdhsa_next_free_vgpr 1
		.amdhsa_next_free_sgpr 1
		.amdhsa_reserve_vcc 0
		.amdhsa_float_round_mode_32 0
		.amdhsa_float_round_mode_16_64 0
		.amdhsa_float_denorm_mode_32 3
		.amdhsa_float_denorm_mode_16_64 3
		.amdhsa_dx10_clamp 1
		.amdhsa_ieee_mode 1
		.amdhsa_fp16_overflow 0
		.amdhsa_workgroup_processor_mode 1
		.amdhsa_memory_ordered 1
		.amdhsa_forward_progress 0
		.amdhsa_shared_vgpr_count 0
		.amdhsa_exception_fp_ieee_invalid_op 0
		.amdhsa_exception_fp_denorm_src 0
		.amdhsa_exception_fp_ieee_div_zero 0
		.amdhsa_exception_fp_ieee_overflow 0
		.amdhsa_exception_fp_ieee_underflow 0
		.amdhsa_exception_fp_ieee_inexact 0
		.amdhsa_exception_int_div_zero 0
	.end_amdhsa_kernel
	.section	.text._ZN7rocprim17ROCPRIM_400000_NS6detail17trampoline_kernelINS0_14default_configENS1_25partition_config_selectorILNS1_17partition_subalgoE9EllbEEZZNS1_14partition_implILS5_9ELb0ES3_jPlS8_PNS0_10empty_typeENS0_5tupleIJS8_S9_EEENSB_IJS8_SA_EEENS0_18inequality_wrapperIZN2at6native12_GLOBAL__N_124unique_dim_cuda_templateIfEESt5tupleIJNSF_6TensorESK_SK_EERKSK_lbbbEUlllE0_EEPmJS9_EEE10hipError_tPvRmT3_T4_T5_T6_T7_T9_mT8_P12ihipStream_tbDpT10_ENKUlT_T0_E_clISt17integral_constantIbLb1EES19_IbLb0EEEEDaS15_S16_EUlS15_E_NS1_11comp_targetILNS1_3genE3ELNS1_11target_archE908ELNS1_3gpuE7ELNS1_3repE0EEENS1_30default_config_static_selectorELNS0_4arch9wavefront6targetE0EEEvT1_,"axG",@progbits,_ZN7rocprim17ROCPRIM_400000_NS6detail17trampoline_kernelINS0_14default_configENS1_25partition_config_selectorILNS1_17partition_subalgoE9EllbEEZZNS1_14partition_implILS5_9ELb0ES3_jPlS8_PNS0_10empty_typeENS0_5tupleIJS8_S9_EEENSB_IJS8_SA_EEENS0_18inequality_wrapperIZN2at6native12_GLOBAL__N_124unique_dim_cuda_templateIfEESt5tupleIJNSF_6TensorESK_SK_EERKSK_lbbbEUlllE0_EEPmJS9_EEE10hipError_tPvRmT3_T4_T5_T6_T7_T9_mT8_P12ihipStream_tbDpT10_ENKUlT_T0_E_clISt17integral_constantIbLb1EES19_IbLb0EEEEDaS15_S16_EUlS15_E_NS1_11comp_targetILNS1_3genE3ELNS1_11target_archE908ELNS1_3gpuE7ELNS1_3repE0EEENS1_30default_config_static_selectorELNS0_4arch9wavefront6targetE0EEEvT1_,comdat
.Lfunc_end980:
	.size	_ZN7rocprim17ROCPRIM_400000_NS6detail17trampoline_kernelINS0_14default_configENS1_25partition_config_selectorILNS1_17partition_subalgoE9EllbEEZZNS1_14partition_implILS5_9ELb0ES3_jPlS8_PNS0_10empty_typeENS0_5tupleIJS8_S9_EEENSB_IJS8_SA_EEENS0_18inequality_wrapperIZN2at6native12_GLOBAL__N_124unique_dim_cuda_templateIfEESt5tupleIJNSF_6TensorESK_SK_EERKSK_lbbbEUlllE0_EEPmJS9_EEE10hipError_tPvRmT3_T4_T5_T6_T7_T9_mT8_P12ihipStream_tbDpT10_ENKUlT_T0_E_clISt17integral_constantIbLb1EES19_IbLb0EEEEDaS15_S16_EUlS15_E_NS1_11comp_targetILNS1_3genE3ELNS1_11target_archE908ELNS1_3gpuE7ELNS1_3repE0EEENS1_30default_config_static_selectorELNS0_4arch9wavefront6targetE0EEEvT1_, .Lfunc_end980-_ZN7rocprim17ROCPRIM_400000_NS6detail17trampoline_kernelINS0_14default_configENS1_25partition_config_selectorILNS1_17partition_subalgoE9EllbEEZZNS1_14partition_implILS5_9ELb0ES3_jPlS8_PNS0_10empty_typeENS0_5tupleIJS8_S9_EEENSB_IJS8_SA_EEENS0_18inequality_wrapperIZN2at6native12_GLOBAL__N_124unique_dim_cuda_templateIfEESt5tupleIJNSF_6TensorESK_SK_EERKSK_lbbbEUlllE0_EEPmJS9_EEE10hipError_tPvRmT3_T4_T5_T6_T7_T9_mT8_P12ihipStream_tbDpT10_ENKUlT_T0_E_clISt17integral_constantIbLb1EES19_IbLb0EEEEDaS15_S16_EUlS15_E_NS1_11comp_targetILNS1_3genE3ELNS1_11target_archE908ELNS1_3gpuE7ELNS1_3repE0EEENS1_30default_config_static_selectorELNS0_4arch9wavefront6targetE0EEEvT1_
                                        ; -- End function
	.section	.AMDGPU.csdata,"",@progbits
; Kernel info:
; codeLenInByte = 0
; NumSgprs: 0
; NumVgprs: 0
; ScratchSize: 0
; MemoryBound: 0
; FloatMode: 240
; IeeeMode: 1
; LDSByteSize: 0 bytes/workgroup (compile time only)
; SGPRBlocks: 0
; VGPRBlocks: 0
; NumSGPRsForWavesPerEU: 1
; NumVGPRsForWavesPerEU: 1
; Occupancy: 16
; WaveLimiterHint : 0
; COMPUTE_PGM_RSRC2:SCRATCH_EN: 0
; COMPUTE_PGM_RSRC2:USER_SGPR: 15
; COMPUTE_PGM_RSRC2:TRAP_HANDLER: 0
; COMPUTE_PGM_RSRC2:TGID_X_EN: 1
; COMPUTE_PGM_RSRC2:TGID_Y_EN: 0
; COMPUTE_PGM_RSRC2:TGID_Z_EN: 0
; COMPUTE_PGM_RSRC2:TIDIG_COMP_CNT: 0
	.section	.text._ZN7rocprim17ROCPRIM_400000_NS6detail17trampoline_kernelINS0_14default_configENS1_25partition_config_selectorILNS1_17partition_subalgoE9EllbEEZZNS1_14partition_implILS5_9ELb0ES3_jPlS8_PNS0_10empty_typeENS0_5tupleIJS8_S9_EEENSB_IJS8_SA_EEENS0_18inequality_wrapperIZN2at6native12_GLOBAL__N_124unique_dim_cuda_templateIfEESt5tupleIJNSF_6TensorESK_SK_EERKSK_lbbbEUlllE0_EEPmJS9_EEE10hipError_tPvRmT3_T4_T5_T6_T7_T9_mT8_P12ihipStream_tbDpT10_ENKUlT_T0_E_clISt17integral_constantIbLb1EES19_IbLb0EEEEDaS15_S16_EUlS15_E_NS1_11comp_targetILNS1_3genE2ELNS1_11target_archE906ELNS1_3gpuE6ELNS1_3repE0EEENS1_30default_config_static_selectorELNS0_4arch9wavefront6targetE0EEEvT1_,"axG",@progbits,_ZN7rocprim17ROCPRIM_400000_NS6detail17trampoline_kernelINS0_14default_configENS1_25partition_config_selectorILNS1_17partition_subalgoE9EllbEEZZNS1_14partition_implILS5_9ELb0ES3_jPlS8_PNS0_10empty_typeENS0_5tupleIJS8_S9_EEENSB_IJS8_SA_EEENS0_18inequality_wrapperIZN2at6native12_GLOBAL__N_124unique_dim_cuda_templateIfEESt5tupleIJNSF_6TensorESK_SK_EERKSK_lbbbEUlllE0_EEPmJS9_EEE10hipError_tPvRmT3_T4_T5_T6_T7_T9_mT8_P12ihipStream_tbDpT10_ENKUlT_T0_E_clISt17integral_constantIbLb1EES19_IbLb0EEEEDaS15_S16_EUlS15_E_NS1_11comp_targetILNS1_3genE2ELNS1_11target_archE906ELNS1_3gpuE6ELNS1_3repE0EEENS1_30default_config_static_selectorELNS0_4arch9wavefront6targetE0EEEvT1_,comdat
	.globl	_ZN7rocprim17ROCPRIM_400000_NS6detail17trampoline_kernelINS0_14default_configENS1_25partition_config_selectorILNS1_17partition_subalgoE9EllbEEZZNS1_14partition_implILS5_9ELb0ES3_jPlS8_PNS0_10empty_typeENS0_5tupleIJS8_S9_EEENSB_IJS8_SA_EEENS0_18inequality_wrapperIZN2at6native12_GLOBAL__N_124unique_dim_cuda_templateIfEESt5tupleIJNSF_6TensorESK_SK_EERKSK_lbbbEUlllE0_EEPmJS9_EEE10hipError_tPvRmT3_T4_T5_T6_T7_T9_mT8_P12ihipStream_tbDpT10_ENKUlT_T0_E_clISt17integral_constantIbLb1EES19_IbLb0EEEEDaS15_S16_EUlS15_E_NS1_11comp_targetILNS1_3genE2ELNS1_11target_archE906ELNS1_3gpuE6ELNS1_3repE0EEENS1_30default_config_static_selectorELNS0_4arch9wavefront6targetE0EEEvT1_ ; -- Begin function _ZN7rocprim17ROCPRIM_400000_NS6detail17trampoline_kernelINS0_14default_configENS1_25partition_config_selectorILNS1_17partition_subalgoE9EllbEEZZNS1_14partition_implILS5_9ELb0ES3_jPlS8_PNS0_10empty_typeENS0_5tupleIJS8_S9_EEENSB_IJS8_SA_EEENS0_18inequality_wrapperIZN2at6native12_GLOBAL__N_124unique_dim_cuda_templateIfEESt5tupleIJNSF_6TensorESK_SK_EERKSK_lbbbEUlllE0_EEPmJS9_EEE10hipError_tPvRmT3_T4_T5_T6_T7_T9_mT8_P12ihipStream_tbDpT10_ENKUlT_T0_E_clISt17integral_constantIbLb1EES19_IbLb0EEEEDaS15_S16_EUlS15_E_NS1_11comp_targetILNS1_3genE2ELNS1_11target_archE906ELNS1_3gpuE6ELNS1_3repE0EEENS1_30default_config_static_selectorELNS0_4arch9wavefront6targetE0EEEvT1_
	.p2align	8
	.type	_ZN7rocprim17ROCPRIM_400000_NS6detail17trampoline_kernelINS0_14default_configENS1_25partition_config_selectorILNS1_17partition_subalgoE9EllbEEZZNS1_14partition_implILS5_9ELb0ES3_jPlS8_PNS0_10empty_typeENS0_5tupleIJS8_S9_EEENSB_IJS8_SA_EEENS0_18inequality_wrapperIZN2at6native12_GLOBAL__N_124unique_dim_cuda_templateIfEESt5tupleIJNSF_6TensorESK_SK_EERKSK_lbbbEUlllE0_EEPmJS9_EEE10hipError_tPvRmT3_T4_T5_T6_T7_T9_mT8_P12ihipStream_tbDpT10_ENKUlT_T0_E_clISt17integral_constantIbLb1EES19_IbLb0EEEEDaS15_S16_EUlS15_E_NS1_11comp_targetILNS1_3genE2ELNS1_11target_archE906ELNS1_3gpuE6ELNS1_3repE0EEENS1_30default_config_static_selectorELNS0_4arch9wavefront6targetE0EEEvT1_,@function
_ZN7rocprim17ROCPRIM_400000_NS6detail17trampoline_kernelINS0_14default_configENS1_25partition_config_selectorILNS1_17partition_subalgoE9EllbEEZZNS1_14partition_implILS5_9ELb0ES3_jPlS8_PNS0_10empty_typeENS0_5tupleIJS8_S9_EEENSB_IJS8_SA_EEENS0_18inequality_wrapperIZN2at6native12_GLOBAL__N_124unique_dim_cuda_templateIfEESt5tupleIJNSF_6TensorESK_SK_EERKSK_lbbbEUlllE0_EEPmJS9_EEE10hipError_tPvRmT3_T4_T5_T6_T7_T9_mT8_P12ihipStream_tbDpT10_ENKUlT_T0_E_clISt17integral_constantIbLb1EES19_IbLb0EEEEDaS15_S16_EUlS15_E_NS1_11comp_targetILNS1_3genE2ELNS1_11target_archE906ELNS1_3gpuE6ELNS1_3repE0EEENS1_30default_config_static_selectorELNS0_4arch9wavefront6targetE0EEEvT1_: ; @_ZN7rocprim17ROCPRIM_400000_NS6detail17trampoline_kernelINS0_14default_configENS1_25partition_config_selectorILNS1_17partition_subalgoE9EllbEEZZNS1_14partition_implILS5_9ELb0ES3_jPlS8_PNS0_10empty_typeENS0_5tupleIJS8_S9_EEENSB_IJS8_SA_EEENS0_18inequality_wrapperIZN2at6native12_GLOBAL__N_124unique_dim_cuda_templateIfEESt5tupleIJNSF_6TensorESK_SK_EERKSK_lbbbEUlllE0_EEPmJS9_EEE10hipError_tPvRmT3_T4_T5_T6_T7_T9_mT8_P12ihipStream_tbDpT10_ENKUlT_T0_E_clISt17integral_constantIbLb1EES19_IbLb0EEEEDaS15_S16_EUlS15_E_NS1_11comp_targetILNS1_3genE2ELNS1_11target_archE906ELNS1_3gpuE6ELNS1_3repE0EEENS1_30default_config_static_selectorELNS0_4arch9wavefront6targetE0EEEvT1_
; %bb.0:
	.section	.rodata,"a",@progbits
	.p2align	6, 0x0
	.amdhsa_kernel _ZN7rocprim17ROCPRIM_400000_NS6detail17trampoline_kernelINS0_14default_configENS1_25partition_config_selectorILNS1_17partition_subalgoE9EllbEEZZNS1_14partition_implILS5_9ELb0ES3_jPlS8_PNS0_10empty_typeENS0_5tupleIJS8_S9_EEENSB_IJS8_SA_EEENS0_18inequality_wrapperIZN2at6native12_GLOBAL__N_124unique_dim_cuda_templateIfEESt5tupleIJNSF_6TensorESK_SK_EERKSK_lbbbEUlllE0_EEPmJS9_EEE10hipError_tPvRmT3_T4_T5_T6_T7_T9_mT8_P12ihipStream_tbDpT10_ENKUlT_T0_E_clISt17integral_constantIbLb1EES19_IbLb0EEEEDaS15_S16_EUlS15_E_NS1_11comp_targetILNS1_3genE2ELNS1_11target_archE906ELNS1_3gpuE6ELNS1_3repE0EEENS1_30default_config_static_selectorELNS0_4arch9wavefront6targetE0EEEvT1_
		.amdhsa_group_segment_fixed_size 0
		.amdhsa_private_segment_fixed_size 0
		.amdhsa_kernarg_size 120
		.amdhsa_user_sgpr_count 15
		.amdhsa_user_sgpr_dispatch_ptr 0
		.amdhsa_user_sgpr_queue_ptr 0
		.amdhsa_user_sgpr_kernarg_segment_ptr 1
		.amdhsa_user_sgpr_dispatch_id 0
		.amdhsa_user_sgpr_private_segment_size 0
		.amdhsa_wavefront_size32 1
		.amdhsa_uses_dynamic_stack 0
		.amdhsa_enable_private_segment 0
		.amdhsa_system_sgpr_workgroup_id_x 1
		.amdhsa_system_sgpr_workgroup_id_y 0
		.amdhsa_system_sgpr_workgroup_id_z 0
		.amdhsa_system_sgpr_workgroup_info 0
		.amdhsa_system_vgpr_workitem_id 0
		.amdhsa_next_free_vgpr 1
		.amdhsa_next_free_sgpr 1
		.amdhsa_reserve_vcc 0
		.amdhsa_float_round_mode_32 0
		.amdhsa_float_round_mode_16_64 0
		.amdhsa_float_denorm_mode_32 3
		.amdhsa_float_denorm_mode_16_64 3
		.amdhsa_dx10_clamp 1
		.amdhsa_ieee_mode 1
		.amdhsa_fp16_overflow 0
		.amdhsa_workgroup_processor_mode 1
		.amdhsa_memory_ordered 1
		.amdhsa_forward_progress 0
		.amdhsa_shared_vgpr_count 0
		.amdhsa_exception_fp_ieee_invalid_op 0
		.amdhsa_exception_fp_denorm_src 0
		.amdhsa_exception_fp_ieee_div_zero 0
		.amdhsa_exception_fp_ieee_overflow 0
		.amdhsa_exception_fp_ieee_underflow 0
		.amdhsa_exception_fp_ieee_inexact 0
		.amdhsa_exception_int_div_zero 0
	.end_amdhsa_kernel
	.section	.text._ZN7rocprim17ROCPRIM_400000_NS6detail17trampoline_kernelINS0_14default_configENS1_25partition_config_selectorILNS1_17partition_subalgoE9EllbEEZZNS1_14partition_implILS5_9ELb0ES3_jPlS8_PNS0_10empty_typeENS0_5tupleIJS8_S9_EEENSB_IJS8_SA_EEENS0_18inequality_wrapperIZN2at6native12_GLOBAL__N_124unique_dim_cuda_templateIfEESt5tupleIJNSF_6TensorESK_SK_EERKSK_lbbbEUlllE0_EEPmJS9_EEE10hipError_tPvRmT3_T4_T5_T6_T7_T9_mT8_P12ihipStream_tbDpT10_ENKUlT_T0_E_clISt17integral_constantIbLb1EES19_IbLb0EEEEDaS15_S16_EUlS15_E_NS1_11comp_targetILNS1_3genE2ELNS1_11target_archE906ELNS1_3gpuE6ELNS1_3repE0EEENS1_30default_config_static_selectorELNS0_4arch9wavefront6targetE0EEEvT1_,"axG",@progbits,_ZN7rocprim17ROCPRIM_400000_NS6detail17trampoline_kernelINS0_14default_configENS1_25partition_config_selectorILNS1_17partition_subalgoE9EllbEEZZNS1_14partition_implILS5_9ELb0ES3_jPlS8_PNS0_10empty_typeENS0_5tupleIJS8_S9_EEENSB_IJS8_SA_EEENS0_18inequality_wrapperIZN2at6native12_GLOBAL__N_124unique_dim_cuda_templateIfEESt5tupleIJNSF_6TensorESK_SK_EERKSK_lbbbEUlllE0_EEPmJS9_EEE10hipError_tPvRmT3_T4_T5_T6_T7_T9_mT8_P12ihipStream_tbDpT10_ENKUlT_T0_E_clISt17integral_constantIbLb1EES19_IbLb0EEEEDaS15_S16_EUlS15_E_NS1_11comp_targetILNS1_3genE2ELNS1_11target_archE906ELNS1_3gpuE6ELNS1_3repE0EEENS1_30default_config_static_selectorELNS0_4arch9wavefront6targetE0EEEvT1_,comdat
.Lfunc_end981:
	.size	_ZN7rocprim17ROCPRIM_400000_NS6detail17trampoline_kernelINS0_14default_configENS1_25partition_config_selectorILNS1_17partition_subalgoE9EllbEEZZNS1_14partition_implILS5_9ELb0ES3_jPlS8_PNS0_10empty_typeENS0_5tupleIJS8_S9_EEENSB_IJS8_SA_EEENS0_18inequality_wrapperIZN2at6native12_GLOBAL__N_124unique_dim_cuda_templateIfEESt5tupleIJNSF_6TensorESK_SK_EERKSK_lbbbEUlllE0_EEPmJS9_EEE10hipError_tPvRmT3_T4_T5_T6_T7_T9_mT8_P12ihipStream_tbDpT10_ENKUlT_T0_E_clISt17integral_constantIbLb1EES19_IbLb0EEEEDaS15_S16_EUlS15_E_NS1_11comp_targetILNS1_3genE2ELNS1_11target_archE906ELNS1_3gpuE6ELNS1_3repE0EEENS1_30default_config_static_selectorELNS0_4arch9wavefront6targetE0EEEvT1_, .Lfunc_end981-_ZN7rocprim17ROCPRIM_400000_NS6detail17trampoline_kernelINS0_14default_configENS1_25partition_config_selectorILNS1_17partition_subalgoE9EllbEEZZNS1_14partition_implILS5_9ELb0ES3_jPlS8_PNS0_10empty_typeENS0_5tupleIJS8_S9_EEENSB_IJS8_SA_EEENS0_18inequality_wrapperIZN2at6native12_GLOBAL__N_124unique_dim_cuda_templateIfEESt5tupleIJNSF_6TensorESK_SK_EERKSK_lbbbEUlllE0_EEPmJS9_EEE10hipError_tPvRmT3_T4_T5_T6_T7_T9_mT8_P12ihipStream_tbDpT10_ENKUlT_T0_E_clISt17integral_constantIbLb1EES19_IbLb0EEEEDaS15_S16_EUlS15_E_NS1_11comp_targetILNS1_3genE2ELNS1_11target_archE906ELNS1_3gpuE6ELNS1_3repE0EEENS1_30default_config_static_selectorELNS0_4arch9wavefront6targetE0EEEvT1_
                                        ; -- End function
	.section	.AMDGPU.csdata,"",@progbits
; Kernel info:
; codeLenInByte = 0
; NumSgprs: 0
; NumVgprs: 0
; ScratchSize: 0
; MemoryBound: 0
; FloatMode: 240
; IeeeMode: 1
; LDSByteSize: 0 bytes/workgroup (compile time only)
; SGPRBlocks: 0
; VGPRBlocks: 0
; NumSGPRsForWavesPerEU: 1
; NumVGPRsForWavesPerEU: 1
; Occupancy: 15
; WaveLimiterHint : 0
; COMPUTE_PGM_RSRC2:SCRATCH_EN: 0
; COMPUTE_PGM_RSRC2:USER_SGPR: 15
; COMPUTE_PGM_RSRC2:TRAP_HANDLER: 0
; COMPUTE_PGM_RSRC2:TGID_X_EN: 1
; COMPUTE_PGM_RSRC2:TGID_Y_EN: 0
; COMPUTE_PGM_RSRC2:TGID_Z_EN: 0
; COMPUTE_PGM_RSRC2:TIDIG_COMP_CNT: 0
	.section	.text._ZN7rocprim17ROCPRIM_400000_NS6detail17trampoline_kernelINS0_14default_configENS1_25partition_config_selectorILNS1_17partition_subalgoE9EllbEEZZNS1_14partition_implILS5_9ELb0ES3_jPlS8_PNS0_10empty_typeENS0_5tupleIJS8_S9_EEENSB_IJS8_SA_EEENS0_18inequality_wrapperIZN2at6native12_GLOBAL__N_124unique_dim_cuda_templateIfEESt5tupleIJNSF_6TensorESK_SK_EERKSK_lbbbEUlllE0_EEPmJS9_EEE10hipError_tPvRmT3_T4_T5_T6_T7_T9_mT8_P12ihipStream_tbDpT10_ENKUlT_T0_E_clISt17integral_constantIbLb1EES19_IbLb0EEEEDaS15_S16_EUlS15_E_NS1_11comp_targetILNS1_3genE10ELNS1_11target_archE1200ELNS1_3gpuE4ELNS1_3repE0EEENS1_30default_config_static_selectorELNS0_4arch9wavefront6targetE0EEEvT1_,"axG",@progbits,_ZN7rocprim17ROCPRIM_400000_NS6detail17trampoline_kernelINS0_14default_configENS1_25partition_config_selectorILNS1_17partition_subalgoE9EllbEEZZNS1_14partition_implILS5_9ELb0ES3_jPlS8_PNS0_10empty_typeENS0_5tupleIJS8_S9_EEENSB_IJS8_SA_EEENS0_18inequality_wrapperIZN2at6native12_GLOBAL__N_124unique_dim_cuda_templateIfEESt5tupleIJNSF_6TensorESK_SK_EERKSK_lbbbEUlllE0_EEPmJS9_EEE10hipError_tPvRmT3_T4_T5_T6_T7_T9_mT8_P12ihipStream_tbDpT10_ENKUlT_T0_E_clISt17integral_constantIbLb1EES19_IbLb0EEEEDaS15_S16_EUlS15_E_NS1_11comp_targetILNS1_3genE10ELNS1_11target_archE1200ELNS1_3gpuE4ELNS1_3repE0EEENS1_30default_config_static_selectorELNS0_4arch9wavefront6targetE0EEEvT1_,comdat
	.globl	_ZN7rocprim17ROCPRIM_400000_NS6detail17trampoline_kernelINS0_14default_configENS1_25partition_config_selectorILNS1_17partition_subalgoE9EllbEEZZNS1_14partition_implILS5_9ELb0ES3_jPlS8_PNS0_10empty_typeENS0_5tupleIJS8_S9_EEENSB_IJS8_SA_EEENS0_18inequality_wrapperIZN2at6native12_GLOBAL__N_124unique_dim_cuda_templateIfEESt5tupleIJNSF_6TensorESK_SK_EERKSK_lbbbEUlllE0_EEPmJS9_EEE10hipError_tPvRmT3_T4_T5_T6_T7_T9_mT8_P12ihipStream_tbDpT10_ENKUlT_T0_E_clISt17integral_constantIbLb1EES19_IbLb0EEEEDaS15_S16_EUlS15_E_NS1_11comp_targetILNS1_3genE10ELNS1_11target_archE1200ELNS1_3gpuE4ELNS1_3repE0EEENS1_30default_config_static_selectorELNS0_4arch9wavefront6targetE0EEEvT1_ ; -- Begin function _ZN7rocprim17ROCPRIM_400000_NS6detail17trampoline_kernelINS0_14default_configENS1_25partition_config_selectorILNS1_17partition_subalgoE9EllbEEZZNS1_14partition_implILS5_9ELb0ES3_jPlS8_PNS0_10empty_typeENS0_5tupleIJS8_S9_EEENSB_IJS8_SA_EEENS0_18inequality_wrapperIZN2at6native12_GLOBAL__N_124unique_dim_cuda_templateIfEESt5tupleIJNSF_6TensorESK_SK_EERKSK_lbbbEUlllE0_EEPmJS9_EEE10hipError_tPvRmT3_T4_T5_T6_T7_T9_mT8_P12ihipStream_tbDpT10_ENKUlT_T0_E_clISt17integral_constantIbLb1EES19_IbLb0EEEEDaS15_S16_EUlS15_E_NS1_11comp_targetILNS1_3genE10ELNS1_11target_archE1200ELNS1_3gpuE4ELNS1_3repE0EEENS1_30default_config_static_selectorELNS0_4arch9wavefront6targetE0EEEvT1_
	.p2align	8
	.type	_ZN7rocprim17ROCPRIM_400000_NS6detail17trampoline_kernelINS0_14default_configENS1_25partition_config_selectorILNS1_17partition_subalgoE9EllbEEZZNS1_14partition_implILS5_9ELb0ES3_jPlS8_PNS0_10empty_typeENS0_5tupleIJS8_S9_EEENSB_IJS8_SA_EEENS0_18inequality_wrapperIZN2at6native12_GLOBAL__N_124unique_dim_cuda_templateIfEESt5tupleIJNSF_6TensorESK_SK_EERKSK_lbbbEUlllE0_EEPmJS9_EEE10hipError_tPvRmT3_T4_T5_T6_T7_T9_mT8_P12ihipStream_tbDpT10_ENKUlT_T0_E_clISt17integral_constantIbLb1EES19_IbLb0EEEEDaS15_S16_EUlS15_E_NS1_11comp_targetILNS1_3genE10ELNS1_11target_archE1200ELNS1_3gpuE4ELNS1_3repE0EEENS1_30default_config_static_selectorELNS0_4arch9wavefront6targetE0EEEvT1_,@function
_ZN7rocprim17ROCPRIM_400000_NS6detail17trampoline_kernelINS0_14default_configENS1_25partition_config_selectorILNS1_17partition_subalgoE9EllbEEZZNS1_14partition_implILS5_9ELb0ES3_jPlS8_PNS0_10empty_typeENS0_5tupleIJS8_S9_EEENSB_IJS8_SA_EEENS0_18inequality_wrapperIZN2at6native12_GLOBAL__N_124unique_dim_cuda_templateIfEESt5tupleIJNSF_6TensorESK_SK_EERKSK_lbbbEUlllE0_EEPmJS9_EEE10hipError_tPvRmT3_T4_T5_T6_T7_T9_mT8_P12ihipStream_tbDpT10_ENKUlT_T0_E_clISt17integral_constantIbLb1EES19_IbLb0EEEEDaS15_S16_EUlS15_E_NS1_11comp_targetILNS1_3genE10ELNS1_11target_archE1200ELNS1_3gpuE4ELNS1_3repE0EEENS1_30default_config_static_selectorELNS0_4arch9wavefront6targetE0EEEvT1_: ; @_ZN7rocprim17ROCPRIM_400000_NS6detail17trampoline_kernelINS0_14default_configENS1_25partition_config_selectorILNS1_17partition_subalgoE9EllbEEZZNS1_14partition_implILS5_9ELb0ES3_jPlS8_PNS0_10empty_typeENS0_5tupleIJS8_S9_EEENSB_IJS8_SA_EEENS0_18inequality_wrapperIZN2at6native12_GLOBAL__N_124unique_dim_cuda_templateIfEESt5tupleIJNSF_6TensorESK_SK_EERKSK_lbbbEUlllE0_EEPmJS9_EEE10hipError_tPvRmT3_T4_T5_T6_T7_T9_mT8_P12ihipStream_tbDpT10_ENKUlT_T0_E_clISt17integral_constantIbLb1EES19_IbLb0EEEEDaS15_S16_EUlS15_E_NS1_11comp_targetILNS1_3genE10ELNS1_11target_archE1200ELNS1_3gpuE4ELNS1_3repE0EEENS1_30default_config_static_selectorELNS0_4arch9wavefront6targetE0EEEvT1_
; %bb.0:
	.section	.rodata,"a",@progbits
	.p2align	6, 0x0
	.amdhsa_kernel _ZN7rocprim17ROCPRIM_400000_NS6detail17trampoline_kernelINS0_14default_configENS1_25partition_config_selectorILNS1_17partition_subalgoE9EllbEEZZNS1_14partition_implILS5_9ELb0ES3_jPlS8_PNS0_10empty_typeENS0_5tupleIJS8_S9_EEENSB_IJS8_SA_EEENS0_18inequality_wrapperIZN2at6native12_GLOBAL__N_124unique_dim_cuda_templateIfEESt5tupleIJNSF_6TensorESK_SK_EERKSK_lbbbEUlllE0_EEPmJS9_EEE10hipError_tPvRmT3_T4_T5_T6_T7_T9_mT8_P12ihipStream_tbDpT10_ENKUlT_T0_E_clISt17integral_constantIbLb1EES19_IbLb0EEEEDaS15_S16_EUlS15_E_NS1_11comp_targetILNS1_3genE10ELNS1_11target_archE1200ELNS1_3gpuE4ELNS1_3repE0EEENS1_30default_config_static_selectorELNS0_4arch9wavefront6targetE0EEEvT1_
		.amdhsa_group_segment_fixed_size 0
		.amdhsa_private_segment_fixed_size 0
		.amdhsa_kernarg_size 120
		.amdhsa_user_sgpr_count 15
		.amdhsa_user_sgpr_dispatch_ptr 0
		.amdhsa_user_sgpr_queue_ptr 0
		.amdhsa_user_sgpr_kernarg_segment_ptr 1
		.amdhsa_user_sgpr_dispatch_id 0
		.amdhsa_user_sgpr_private_segment_size 0
		.amdhsa_wavefront_size32 1
		.amdhsa_uses_dynamic_stack 0
		.amdhsa_enable_private_segment 0
		.amdhsa_system_sgpr_workgroup_id_x 1
		.amdhsa_system_sgpr_workgroup_id_y 0
		.amdhsa_system_sgpr_workgroup_id_z 0
		.amdhsa_system_sgpr_workgroup_info 0
		.amdhsa_system_vgpr_workitem_id 0
		.amdhsa_next_free_vgpr 1
		.amdhsa_next_free_sgpr 1
		.amdhsa_reserve_vcc 0
		.amdhsa_float_round_mode_32 0
		.amdhsa_float_round_mode_16_64 0
		.amdhsa_float_denorm_mode_32 3
		.amdhsa_float_denorm_mode_16_64 3
		.amdhsa_dx10_clamp 1
		.amdhsa_ieee_mode 1
		.amdhsa_fp16_overflow 0
		.amdhsa_workgroup_processor_mode 1
		.amdhsa_memory_ordered 1
		.amdhsa_forward_progress 0
		.amdhsa_shared_vgpr_count 0
		.amdhsa_exception_fp_ieee_invalid_op 0
		.amdhsa_exception_fp_denorm_src 0
		.amdhsa_exception_fp_ieee_div_zero 0
		.amdhsa_exception_fp_ieee_overflow 0
		.amdhsa_exception_fp_ieee_underflow 0
		.amdhsa_exception_fp_ieee_inexact 0
		.amdhsa_exception_int_div_zero 0
	.end_amdhsa_kernel
	.section	.text._ZN7rocprim17ROCPRIM_400000_NS6detail17trampoline_kernelINS0_14default_configENS1_25partition_config_selectorILNS1_17partition_subalgoE9EllbEEZZNS1_14partition_implILS5_9ELb0ES3_jPlS8_PNS0_10empty_typeENS0_5tupleIJS8_S9_EEENSB_IJS8_SA_EEENS0_18inequality_wrapperIZN2at6native12_GLOBAL__N_124unique_dim_cuda_templateIfEESt5tupleIJNSF_6TensorESK_SK_EERKSK_lbbbEUlllE0_EEPmJS9_EEE10hipError_tPvRmT3_T4_T5_T6_T7_T9_mT8_P12ihipStream_tbDpT10_ENKUlT_T0_E_clISt17integral_constantIbLb1EES19_IbLb0EEEEDaS15_S16_EUlS15_E_NS1_11comp_targetILNS1_3genE10ELNS1_11target_archE1200ELNS1_3gpuE4ELNS1_3repE0EEENS1_30default_config_static_selectorELNS0_4arch9wavefront6targetE0EEEvT1_,"axG",@progbits,_ZN7rocprim17ROCPRIM_400000_NS6detail17trampoline_kernelINS0_14default_configENS1_25partition_config_selectorILNS1_17partition_subalgoE9EllbEEZZNS1_14partition_implILS5_9ELb0ES3_jPlS8_PNS0_10empty_typeENS0_5tupleIJS8_S9_EEENSB_IJS8_SA_EEENS0_18inequality_wrapperIZN2at6native12_GLOBAL__N_124unique_dim_cuda_templateIfEESt5tupleIJNSF_6TensorESK_SK_EERKSK_lbbbEUlllE0_EEPmJS9_EEE10hipError_tPvRmT3_T4_T5_T6_T7_T9_mT8_P12ihipStream_tbDpT10_ENKUlT_T0_E_clISt17integral_constantIbLb1EES19_IbLb0EEEEDaS15_S16_EUlS15_E_NS1_11comp_targetILNS1_3genE10ELNS1_11target_archE1200ELNS1_3gpuE4ELNS1_3repE0EEENS1_30default_config_static_selectorELNS0_4arch9wavefront6targetE0EEEvT1_,comdat
.Lfunc_end982:
	.size	_ZN7rocprim17ROCPRIM_400000_NS6detail17trampoline_kernelINS0_14default_configENS1_25partition_config_selectorILNS1_17partition_subalgoE9EllbEEZZNS1_14partition_implILS5_9ELb0ES3_jPlS8_PNS0_10empty_typeENS0_5tupleIJS8_S9_EEENSB_IJS8_SA_EEENS0_18inequality_wrapperIZN2at6native12_GLOBAL__N_124unique_dim_cuda_templateIfEESt5tupleIJNSF_6TensorESK_SK_EERKSK_lbbbEUlllE0_EEPmJS9_EEE10hipError_tPvRmT3_T4_T5_T6_T7_T9_mT8_P12ihipStream_tbDpT10_ENKUlT_T0_E_clISt17integral_constantIbLb1EES19_IbLb0EEEEDaS15_S16_EUlS15_E_NS1_11comp_targetILNS1_3genE10ELNS1_11target_archE1200ELNS1_3gpuE4ELNS1_3repE0EEENS1_30default_config_static_selectorELNS0_4arch9wavefront6targetE0EEEvT1_, .Lfunc_end982-_ZN7rocprim17ROCPRIM_400000_NS6detail17trampoline_kernelINS0_14default_configENS1_25partition_config_selectorILNS1_17partition_subalgoE9EllbEEZZNS1_14partition_implILS5_9ELb0ES3_jPlS8_PNS0_10empty_typeENS0_5tupleIJS8_S9_EEENSB_IJS8_SA_EEENS0_18inequality_wrapperIZN2at6native12_GLOBAL__N_124unique_dim_cuda_templateIfEESt5tupleIJNSF_6TensorESK_SK_EERKSK_lbbbEUlllE0_EEPmJS9_EEE10hipError_tPvRmT3_T4_T5_T6_T7_T9_mT8_P12ihipStream_tbDpT10_ENKUlT_T0_E_clISt17integral_constantIbLb1EES19_IbLb0EEEEDaS15_S16_EUlS15_E_NS1_11comp_targetILNS1_3genE10ELNS1_11target_archE1200ELNS1_3gpuE4ELNS1_3repE0EEENS1_30default_config_static_selectorELNS0_4arch9wavefront6targetE0EEEvT1_
                                        ; -- End function
	.section	.AMDGPU.csdata,"",@progbits
; Kernel info:
; codeLenInByte = 0
; NumSgprs: 0
; NumVgprs: 0
; ScratchSize: 0
; MemoryBound: 0
; FloatMode: 240
; IeeeMode: 1
; LDSByteSize: 0 bytes/workgroup (compile time only)
; SGPRBlocks: 0
; VGPRBlocks: 0
; NumSGPRsForWavesPerEU: 1
; NumVGPRsForWavesPerEU: 1
; Occupancy: 15
; WaveLimiterHint : 0
; COMPUTE_PGM_RSRC2:SCRATCH_EN: 0
; COMPUTE_PGM_RSRC2:USER_SGPR: 15
; COMPUTE_PGM_RSRC2:TRAP_HANDLER: 0
; COMPUTE_PGM_RSRC2:TGID_X_EN: 1
; COMPUTE_PGM_RSRC2:TGID_Y_EN: 0
; COMPUTE_PGM_RSRC2:TGID_Z_EN: 0
; COMPUTE_PGM_RSRC2:TIDIG_COMP_CNT: 0
	.section	.text._ZN7rocprim17ROCPRIM_400000_NS6detail17trampoline_kernelINS0_14default_configENS1_25partition_config_selectorILNS1_17partition_subalgoE9EllbEEZZNS1_14partition_implILS5_9ELb0ES3_jPlS8_PNS0_10empty_typeENS0_5tupleIJS8_S9_EEENSB_IJS8_SA_EEENS0_18inequality_wrapperIZN2at6native12_GLOBAL__N_124unique_dim_cuda_templateIfEESt5tupleIJNSF_6TensorESK_SK_EERKSK_lbbbEUlllE0_EEPmJS9_EEE10hipError_tPvRmT3_T4_T5_T6_T7_T9_mT8_P12ihipStream_tbDpT10_ENKUlT_T0_E_clISt17integral_constantIbLb1EES19_IbLb0EEEEDaS15_S16_EUlS15_E_NS1_11comp_targetILNS1_3genE9ELNS1_11target_archE1100ELNS1_3gpuE3ELNS1_3repE0EEENS1_30default_config_static_selectorELNS0_4arch9wavefront6targetE0EEEvT1_,"axG",@progbits,_ZN7rocprim17ROCPRIM_400000_NS6detail17trampoline_kernelINS0_14default_configENS1_25partition_config_selectorILNS1_17partition_subalgoE9EllbEEZZNS1_14partition_implILS5_9ELb0ES3_jPlS8_PNS0_10empty_typeENS0_5tupleIJS8_S9_EEENSB_IJS8_SA_EEENS0_18inequality_wrapperIZN2at6native12_GLOBAL__N_124unique_dim_cuda_templateIfEESt5tupleIJNSF_6TensorESK_SK_EERKSK_lbbbEUlllE0_EEPmJS9_EEE10hipError_tPvRmT3_T4_T5_T6_T7_T9_mT8_P12ihipStream_tbDpT10_ENKUlT_T0_E_clISt17integral_constantIbLb1EES19_IbLb0EEEEDaS15_S16_EUlS15_E_NS1_11comp_targetILNS1_3genE9ELNS1_11target_archE1100ELNS1_3gpuE3ELNS1_3repE0EEENS1_30default_config_static_selectorELNS0_4arch9wavefront6targetE0EEEvT1_,comdat
	.globl	_ZN7rocprim17ROCPRIM_400000_NS6detail17trampoline_kernelINS0_14default_configENS1_25partition_config_selectorILNS1_17partition_subalgoE9EllbEEZZNS1_14partition_implILS5_9ELb0ES3_jPlS8_PNS0_10empty_typeENS0_5tupleIJS8_S9_EEENSB_IJS8_SA_EEENS0_18inequality_wrapperIZN2at6native12_GLOBAL__N_124unique_dim_cuda_templateIfEESt5tupleIJNSF_6TensorESK_SK_EERKSK_lbbbEUlllE0_EEPmJS9_EEE10hipError_tPvRmT3_T4_T5_T6_T7_T9_mT8_P12ihipStream_tbDpT10_ENKUlT_T0_E_clISt17integral_constantIbLb1EES19_IbLb0EEEEDaS15_S16_EUlS15_E_NS1_11comp_targetILNS1_3genE9ELNS1_11target_archE1100ELNS1_3gpuE3ELNS1_3repE0EEENS1_30default_config_static_selectorELNS0_4arch9wavefront6targetE0EEEvT1_ ; -- Begin function _ZN7rocprim17ROCPRIM_400000_NS6detail17trampoline_kernelINS0_14default_configENS1_25partition_config_selectorILNS1_17partition_subalgoE9EllbEEZZNS1_14partition_implILS5_9ELb0ES3_jPlS8_PNS0_10empty_typeENS0_5tupleIJS8_S9_EEENSB_IJS8_SA_EEENS0_18inequality_wrapperIZN2at6native12_GLOBAL__N_124unique_dim_cuda_templateIfEESt5tupleIJNSF_6TensorESK_SK_EERKSK_lbbbEUlllE0_EEPmJS9_EEE10hipError_tPvRmT3_T4_T5_T6_T7_T9_mT8_P12ihipStream_tbDpT10_ENKUlT_T0_E_clISt17integral_constantIbLb1EES19_IbLb0EEEEDaS15_S16_EUlS15_E_NS1_11comp_targetILNS1_3genE9ELNS1_11target_archE1100ELNS1_3gpuE3ELNS1_3repE0EEENS1_30default_config_static_selectorELNS0_4arch9wavefront6targetE0EEEvT1_
	.p2align	8
	.type	_ZN7rocprim17ROCPRIM_400000_NS6detail17trampoline_kernelINS0_14default_configENS1_25partition_config_selectorILNS1_17partition_subalgoE9EllbEEZZNS1_14partition_implILS5_9ELb0ES3_jPlS8_PNS0_10empty_typeENS0_5tupleIJS8_S9_EEENSB_IJS8_SA_EEENS0_18inequality_wrapperIZN2at6native12_GLOBAL__N_124unique_dim_cuda_templateIfEESt5tupleIJNSF_6TensorESK_SK_EERKSK_lbbbEUlllE0_EEPmJS9_EEE10hipError_tPvRmT3_T4_T5_T6_T7_T9_mT8_P12ihipStream_tbDpT10_ENKUlT_T0_E_clISt17integral_constantIbLb1EES19_IbLb0EEEEDaS15_S16_EUlS15_E_NS1_11comp_targetILNS1_3genE9ELNS1_11target_archE1100ELNS1_3gpuE3ELNS1_3repE0EEENS1_30default_config_static_selectorELNS0_4arch9wavefront6targetE0EEEvT1_,@function
_ZN7rocprim17ROCPRIM_400000_NS6detail17trampoline_kernelINS0_14default_configENS1_25partition_config_selectorILNS1_17partition_subalgoE9EllbEEZZNS1_14partition_implILS5_9ELb0ES3_jPlS8_PNS0_10empty_typeENS0_5tupleIJS8_S9_EEENSB_IJS8_SA_EEENS0_18inequality_wrapperIZN2at6native12_GLOBAL__N_124unique_dim_cuda_templateIfEESt5tupleIJNSF_6TensorESK_SK_EERKSK_lbbbEUlllE0_EEPmJS9_EEE10hipError_tPvRmT3_T4_T5_T6_T7_T9_mT8_P12ihipStream_tbDpT10_ENKUlT_T0_E_clISt17integral_constantIbLb1EES19_IbLb0EEEEDaS15_S16_EUlS15_E_NS1_11comp_targetILNS1_3genE9ELNS1_11target_archE1100ELNS1_3gpuE3ELNS1_3repE0EEENS1_30default_config_static_selectorELNS0_4arch9wavefront6targetE0EEEvT1_: ; @_ZN7rocprim17ROCPRIM_400000_NS6detail17trampoline_kernelINS0_14default_configENS1_25partition_config_selectorILNS1_17partition_subalgoE9EllbEEZZNS1_14partition_implILS5_9ELb0ES3_jPlS8_PNS0_10empty_typeENS0_5tupleIJS8_S9_EEENSB_IJS8_SA_EEENS0_18inequality_wrapperIZN2at6native12_GLOBAL__N_124unique_dim_cuda_templateIfEESt5tupleIJNSF_6TensorESK_SK_EERKSK_lbbbEUlllE0_EEPmJS9_EEE10hipError_tPvRmT3_T4_T5_T6_T7_T9_mT8_P12ihipStream_tbDpT10_ENKUlT_T0_E_clISt17integral_constantIbLb1EES19_IbLb0EEEEDaS15_S16_EUlS15_E_NS1_11comp_targetILNS1_3genE9ELNS1_11target_archE1100ELNS1_3gpuE3ELNS1_3repE0EEENS1_30default_config_static_selectorELNS0_4arch9wavefront6targetE0EEEvT1_
; %bb.0:
	s_clause 0x3
	s_load_b128 s[4:7], s[0:1], 0x8
	s_load_b32 s8, s[0:1], 0x70
	s_load_b256 s[16:23], s[0:1], 0x40
	s_load_b64 s[24:25], s[0:1], 0x18
	s_mov_b32 s3, 0
	v_lshlrev_b32_e32 v55, 3, v0
	v_lshrrev_b32_e32 v33, 2, v0
	v_or_b32_e32 v38, 0x200, v0
	v_or_b32_e32 v36, 0x400, v0
	;; [unrolled: 1-line block ×7, first 2 shown]
	s_waitcnt lgkmcnt(0)
	s_lshl_b64 s[26:27], s[6:7], 3
	s_delay_alu instid0(SALU_CYCLE_1)
	s_add_u32 s9, s4, s26
	s_addc_u32 s10, s5, s27
	s_add_i32 s11, s8, -1
	s_load_b64 s[12:13], s[18:19], 0x0
	s_lshl_b32 s4, s11, 12
	s_lshl_b32 s5, s8, 12
	s_add_i32 s4, s6, s4
	s_lshl_b32 s2, s15, 12
	s_sub_i32 s28, s20, s4
	s_add_u32 s4, s6, s5
	s_addc_u32 s5, s7, 0
	s_cmp_eq_u32 s15, s11
	v_cmp_ge_u64_e64 s4, s[4:5], s[20:21]
	s_cselect_b32 s14, -1, 0
	s_lshl_b64 s[18:19], s[2:3], 3
	s_mov_b32 s3, -1
	s_delay_alu instid0(VALU_DEP_1) | instskip(NEXT) | instid1(SALU_CYCLE_1)
	s_and_b32 s21, s14, s4
	s_xor_b32 s20, s21, -1
	s_add_u32 s4, s9, s18
	s_addc_u32 s5, s10, s19
	s_and_b32 vcc_lo, exec_lo, s20
	s_cbranch_vccz .LBB983_2
; %bb.1:
	v_add_co_u32 v9, s2, s4, v55
	s_delay_alu instid0(VALU_DEP_1)
	v_add_co_ci_u32_e64 v10, null, s5, 0, s2
	global_load_b64 v[1:2], v55, s[4:5]
	v_add_co_u32 v3, vcc_lo, v9, 0x2000
	v_add_co_ci_u32_e32 v4, vcc_lo, 0, v10, vcc_lo
	v_add_co_u32 v5, vcc_lo, v9, 0x4000
	v_add_co_ci_u32_e32 v6, vcc_lo, 0, v10, vcc_lo
	;; [unrolled: 2-line block ×4, first 2 shown]
	s_clause 0x6
	global_load_b64 v[11:12], v[3:4], off offset:-4096
	global_load_b64 v[3:4], v[3:4], off
	global_load_b64 v[13:14], v[5:6], off offset:-4096
	global_load_b64 v[5:6], v[5:6], off
	;; [unrolled: 2-line block ×3, first 2 shown]
	global_load_b64 v[9:10], v[9:10], off
	v_lshrrev_b32_e32 v18, 2, v38
	v_lshrrev_b32_e32 v19, 2, v36
	;; [unrolled: 1-line block ×4, first 2 shown]
	v_and_b32_e32 v17, 0x78, v33
	v_lshrrev_b32_e32 v22, 2, v37
	v_lshrrev_b32_e32 v23, 2, v34
	;; [unrolled: 1-line block ×3, first 2 shown]
	v_and_b32_e32 v18, 0xf8, v18
	v_and_b32_e32 v19, 0x178, v19
	v_and_b32_e32 v20, 0x1f8, v20
	v_and_b32_e32 v21, 0x278, v21
	v_add_nc_u32_e32 v17, v17, v55
	v_and_b32_e32 v22, 0x2f8, v22
	v_and_b32_e32 v23, 0x378, v23
	;; [unrolled: 1-line block ×3, first 2 shown]
	v_add_nc_u32_e32 v18, v18, v55
	v_add_nc_u32_e32 v19, v19, v55
	;; [unrolled: 1-line block ×4, first 2 shown]
	s_mov_b32 s3, 0
	v_add_nc_u32_e32 v22, v22, v55
	v_add_nc_u32_e32 v23, v23, v55
	;; [unrolled: 1-line block ×3, first 2 shown]
	s_waitcnt vmcnt(7)
	ds_store_b64 v17, v[1:2]
	s_waitcnt vmcnt(6)
	ds_store_b64 v18, v[11:12] offset:4096
	s_waitcnt vmcnt(5)
	ds_store_b64 v19, v[3:4] offset:8192
	;; [unrolled: 2-line block ×7, first 2 shown]
	s_waitcnt lgkmcnt(0)
	s_barrier
.LBB983_2:
	s_load_b128 s[8:11], s[0:1], 0x60
	v_cmp_gt_u32_e64 s2, s28, v0
	s_and_not1_b32 vcc_lo, exec_lo, s3
	s_cbranch_vccnz .LBB983_20
; %bb.3:
                                        ; implicit-def: $vgpr1_vgpr2_vgpr3_vgpr4_vgpr5_vgpr6_vgpr7_vgpr8_vgpr9_vgpr10_vgpr11_vgpr12_vgpr13_vgpr14_vgpr15_vgpr16
	s_delay_alu instid0(VALU_DEP_1)
	s_and_saveexec_b32 s3, s2
	s_cbranch_execz .LBB983_11
; %bb.4:
	global_load_b64 v[1:2], v55, s[4:5]
	s_or_b32 exec_lo, exec_lo, s3
	s_delay_alu instid0(SALU_CYCLE_1)
	s_mov_b32 s2, exec_lo
	v_cmpx_gt_u32_e64 s28, v38
	s_cbranch_execnz .LBB983_12
.LBB983_5:
	s_or_b32 exec_lo, exec_lo, s2
	s_delay_alu instid0(SALU_CYCLE_1)
	s_mov_b32 s2, exec_lo
	v_cmpx_gt_u32_e64 s28, v36
	s_cbranch_execz .LBB983_13
.LBB983_6:
	v_lshlrev_b32_e32 v5, 3, v36
	global_load_b64 v[5:6], v5, s[4:5]
	s_or_b32 exec_lo, exec_lo, s2
	s_delay_alu instid0(SALU_CYCLE_1)
	s_mov_b32 s2, exec_lo
	v_cmpx_gt_u32_e64 s28, v40
	s_cbranch_execnz .LBB983_14
.LBB983_7:
	s_or_b32 exec_lo, exec_lo, s2
	s_delay_alu instid0(SALU_CYCLE_1)
	s_mov_b32 s2, exec_lo
	v_cmpx_gt_u32_e64 s28, v39
	s_cbranch_execz .LBB983_15
.LBB983_8:
	v_lshlrev_b32_e32 v9, 3, v39
	global_load_b64 v[9:10], v9, s[4:5]
	s_or_b32 exec_lo, exec_lo, s2
	s_delay_alu instid0(SALU_CYCLE_1)
	s_mov_b32 s2, exec_lo
	v_cmpx_gt_u32_e64 s28, v37
	s_cbranch_execnz .LBB983_16
.LBB983_9:
	s_or_b32 exec_lo, exec_lo, s2
	s_delay_alu instid0(SALU_CYCLE_1)
	s_mov_b32 s2, exec_lo
	v_cmpx_gt_u32_e64 s28, v34
	s_cbranch_execz .LBB983_17
.LBB983_10:
	v_lshlrev_b32_e32 v13, 3, v34
	global_load_b64 v[13:14], v13, s[4:5]
	s_or_b32 exec_lo, exec_lo, s2
	s_delay_alu instid0(SALU_CYCLE_1)
	s_mov_b32 s2, exec_lo
	v_cmpx_gt_u32_e64 s28, v35
	s_cbranch_execnz .LBB983_18
	s_branch .LBB983_19
.LBB983_11:
	s_or_b32 exec_lo, exec_lo, s3
	s_delay_alu instid0(SALU_CYCLE_1)
	s_mov_b32 s2, exec_lo
	v_cmpx_gt_u32_e64 s28, v38
	s_cbranch_execz .LBB983_5
.LBB983_12:
	v_lshlrev_b32_e32 v3, 3, v38
	global_load_b64 v[3:4], v3, s[4:5]
	s_or_b32 exec_lo, exec_lo, s2
	s_delay_alu instid0(SALU_CYCLE_1)
	s_mov_b32 s2, exec_lo
	v_cmpx_gt_u32_e64 s28, v36
	s_cbranch_execnz .LBB983_6
.LBB983_13:
	s_or_b32 exec_lo, exec_lo, s2
	s_delay_alu instid0(SALU_CYCLE_1)
	s_mov_b32 s2, exec_lo
	v_cmpx_gt_u32_e64 s28, v40
	s_cbranch_execz .LBB983_7
.LBB983_14:
	v_lshlrev_b32_e32 v7, 3, v40
	global_load_b64 v[7:8], v7, s[4:5]
	s_or_b32 exec_lo, exec_lo, s2
	s_delay_alu instid0(SALU_CYCLE_1)
	s_mov_b32 s2, exec_lo
	v_cmpx_gt_u32_e64 s28, v39
	s_cbranch_execnz .LBB983_8
.LBB983_15:
	s_or_b32 exec_lo, exec_lo, s2
	s_delay_alu instid0(SALU_CYCLE_1)
	s_mov_b32 s2, exec_lo
	v_cmpx_gt_u32_e64 s28, v37
	s_cbranch_execz .LBB983_9
.LBB983_16:
	v_lshlrev_b32_e32 v11, 3, v37
	global_load_b64 v[11:12], v11, s[4:5]
	s_or_b32 exec_lo, exec_lo, s2
	s_delay_alu instid0(SALU_CYCLE_1)
	s_mov_b32 s2, exec_lo
	v_cmpx_gt_u32_e64 s28, v34
	s_cbranch_execnz .LBB983_10
.LBB983_17:
	s_or_b32 exec_lo, exec_lo, s2
	s_delay_alu instid0(SALU_CYCLE_1)
	s_mov_b32 s2, exec_lo
	v_cmpx_gt_u32_e64 s28, v35
	s_cbranch_execz .LBB983_19
.LBB983_18:
	v_lshlrev_b32_e32 v15, 3, v35
	global_load_b64 v[15:16], v15, s[4:5]
.LBB983_19:
	s_or_b32 exec_lo, exec_lo, s2
	v_lshrrev_b32_e32 v17, 2, v38
	v_lshrrev_b32_e32 v18, 2, v36
	v_lshrrev_b32_e32 v20, 2, v40
	v_lshrrev_b32_e32 v21, 2, v39
	v_and_b32_e32 v19, 0x78, v33
	v_lshrrev_b32_e32 v22, 2, v37
	v_lshrrev_b32_e32 v23, 2, v34
	;; [unrolled: 1-line block ×3, first 2 shown]
	v_and_b32_e32 v17, 0xf8, v17
	v_and_b32_e32 v18, 0x1f8, v18
	;; [unrolled: 1-line block ×4, first 2 shown]
	v_add_nc_u32_e32 v19, v19, v55
	v_and_b32_e32 v22, 0x3f8, v22
	v_and_b32_e32 v23, 0x3f8, v23
	;; [unrolled: 1-line block ×3, first 2 shown]
	v_add_nc_u32_e32 v17, v17, v55
	v_add_nc_u32_e32 v18, v18, v55
	;; [unrolled: 1-line block ×7, first 2 shown]
	s_waitcnt vmcnt(0)
	ds_store_b64 v19, v[1:2]
	ds_store_b64 v17, v[3:4] offset:4096
	ds_store_b64 v18, v[5:6] offset:8192
	;; [unrolled: 1-line block ×7, first 2 shown]
	s_waitcnt lgkmcnt(0)
	s_barrier
.LBB983_20:
	v_add_lshl_u32 v41, v33, v55, 3
	s_waitcnt lgkmcnt(0)
	buffer_gl0_inv
	s_add_u32 s2, s24, s26
	s_addc_u32 s3, s25, s27
	s_add_u32 s2, s2, s18
	ds_load_2addr_b64 v[29:32], v41 offset1:1
	ds_load_2addr_b64 v[25:28], v41 offset0:2 offset1:3
	ds_load_2addr_b64 v[21:24], v41 offset0:4 offset1:5
	;; [unrolled: 1-line block ×3, first 2 shown]
	s_addc_u32 s3, s3, s19
	s_and_b32 vcc_lo, exec_lo, s20
	s_mov_b32 s18, -1
	s_waitcnt lgkmcnt(0)
	s_barrier
	buffer_gl0_inv
	s_cbranch_vccz .LBB983_22
; %bb.21:
	v_add_co_u32 v9, s18, s2, v55
	s_delay_alu instid0(VALU_DEP_1)
	v_add_co_ci_u32_e64 v10, null, s3, 0, s18
	global_load_b64 v[1:2], v55, s[2:3]
	v_add_co_u32 v3, vcc_lo, v9, 0x2000
	v_add_co_ci_u32_e32 v4, vcc_lo, 0, v10, vcc_lo
	v_add_co_u32 v5, vcc_lo, v9, 0x4000
	v_add_co_ci_u32_e32 v6, vcc_lo, 0, v10, vcc_lo
	;; [unrolled: 2-line block ×4, first 2 shown]
	s_clause 0x6
	global_load_b64 v[11:12], v[3:4], off offset:-4096
	global_load_b64 v[3:4], v[3:4], off
	global_load_b64 v[13:14], v[5:6], off offset:-4096
	global_load_b64 v[5:6], v[5:6], off
	;; [unrolled: 2-line block ×3, first 2 shown]
	global_load_b64 v[9:10], v[9:10], off
	v_lshrrev_b32_e32 v43, 2, v38
	v_lshrrev_b32_e32 v44, 2, v36
	;; [unrolled: 1-line block ×4, first 2 shown]
	v_and_b32_e32 v42, 0x78, v33
	v_lshrrev_b32_e32 v47, 2, v37
	v_lshrrev_b32_e32 v48, 2, v34
	;; [unrolled: 1-line block ×3, first 2 shown]
	v_and_b32_e32 v43, 0xf8, v43
	v_and_b32_e32 v44, 0x178, v44
	;; [unrolled: 1-line block ×4, first 2 shown]
	v_add_nc_u32_e32 v42, v42, v55
	v_and_b32_e32 v47, 0x2f8, v47
	v_and_b32_e32 v48, 0x378, v48
	;; [unrolled: 1-line block ×3, first 2 shown]
	v_add_nc_u32_e32 v43, v43, v55
	v_add_nc_u32_e32 v44, v44, v55
	;; [unrolled: 1-line block ×4, first 2 shown]
	s_mov_b32 s18, 0
	v_add_nc_u32_e32 v47, v47, v55
	v_add_nc_u32_e32 v48, v48, v55
	;; [unrolled: 1-line block ×3, first 2 shown]
	s_waitcnt vmcnt(7)
	ds_store_b64 v42, v[1:2]
	s_waitcnt vmcnt(6)
	ds_store_b64 v43, v[11:12] offset:4096
	s_waitcnt vmcnt(5)
	ds_store_b64 v44, v[3:4] offset:8192
	;; [unrolled: 2-line block ×7, first 2 shown]
	s_waitcnt lgkmcnt(0)
	s_barrier
.LBB983_22:
	s_and_not1_b32 vcc_lo, exec_lo, s18
	s_cbranch_vccnz .LBB983_40
; %bb.23:
	s_mov_b32 s18, exec_lo
                                        ; implicit-def: $vgpr1_vgpr2
	v_cmpx_gt_u32_e64 s28, v0
	s_cbranch_execz .LBB983_25
; %bb.24:
	global_load_b64 v[1:2], v55, s[2:3]
.LBB983_25:
	s_or_b32 exec_lo, exec_lo, s18
	s_delay_alu instid0(SALU_CYCLE_1)
	s_mov_b32 s18, exec_lo
                                        ; implicit-def: $vgpr3_vgpr4
	v_cmpx_gt_u32_e64 s28, v38
	s_cbranch_execz .LBB983_27
; %bb.26:
	v_lshlrev_b32_e32 v3, 3, v38
	global_load_b64 v[3:4], v3, s[2:3]
.LBB983_27:
	s_or_b32 exec_lo, exec_lo, s18
	s_delay_alu instid0(SALU_CYCLE_1)
	s_mov_b32 s18, exec_lo
                                        ; implicit-def: $vgpr5_vgpr6
	v_cmpx_gt_u32_e64 s28, v36
	s_cbranch_execz .LBB983_29
; %bb.28:
	v_lshlrev_b32_e32 v5, 3, v36
	global_load_b64 v[5:6], v5, s[2:3]
.LBB983_29:
	s_or_b32 exec_lo, exec_lo, s18
	s_delay_alu instid0(SALU_CYCLE_1)
	s_mov_b32 s18, exec_lo
                                        ; implicit-def: $vgpr7_vgpr8
	v_cmpx_gt_u32_e64 s28, v40
	s_cbranch_execz .LBB983_31
; %bb.30:
	v_lshlrev_b32_e32 v7, 3, v40
	global_load_b64 v[7:8], v7, s[2:3]
.LBB983_31:
	s_or_b32 exec_lo, exec_lo, s18
	s_delay_alu instid0(SALU_CYCLE_1)
	s_mov_b32 s18, exec_lo
                                        ; implicit-def: $vgpr9_vgpr10
	v_cmpx_gt_u32_e64 s28, v39
	s_cbranch_execz .LBB983_33
; %bb.32:
	v_lshlrev_b32_e32 v9, 3, v39
	global_load_b64 v[9:10], v9, s[2:3]
.LBB983_33:
	s_or_b32 exec_lo, exec_lo, s18
	s_delay_alu instid0(SALU_CYCLE_1)
	s_mov_b32 s18, exec_lo
                                        ; implicit-def: $vgpr11_vgpr12
	v_cmpx_gt_u32_e64 s28, v37
	s_cbranch_execz .LBB983_35
; %bb.34:
	v_lshlrev_b32_e32 v11, 3, v37
	global_load_b64 v[11:12], v11, s[2:3]
.LBB983_35:
	s_or_b32 exec_lo, exec_lo, s18
	s_delay_alu instid0(SALU_CYCLE_1)
	s_mov_b32 s18, exec_lo
                                        ; implicit-def: $vgpr13_vgpr14
	v_cmpx_gt_u32_e64 s28, v34
	s_cbranch_execz .LBB983_37
; %bb.36:
	v_lshlrev_b32_e32 v13, 3, v34
	global_load_b64 v[13:14], v13, s[2:3]
.LBB983_37:
	s_or_b32 exec_lo, exec_lo, s18
	s_delay_alu instid0(SALU_CYCLE_1)
	s_mov_b32 s18, exec_lo
                                        ; implicit-def: $vgpr15_vgpr16
	v_cmpx_gt_u32_e64 s28, v35
	s_cbranch_execz .LBB983_39
; %bb.38:
	v_lshlrev_b32_e32 v15, 3, v35
	global_load_b64 v[15:16], v15, s[2:3]
.LBB983_39:
	s_or_b32 exec_lo, exec_lo, s18
	v_lshrrev_b32_e32 v38, 2, v38
	v_lshrrev_b32_e32 v36, 2, v36
	;; [unrolled: 1-line block ×4, first 2 shown]
	v_and_b32_e32 v33, 0x78, v33
	v_lshrrev_b32_e32 v37, 2, v37
	v_lshrrev_b32_e32 v34, 2, v34
	;; [unrolled: 1-line block ×3, first 2 shown]
	v_and_b32_e32 v38, 0xf8, v38
	v_and_b32_e32 v36, 0x1f8, v36
	;; [unrolled: 1-line block ×4, first 2 shown]
	v_add_nc_u32_e32 v33, v33, v55
	v_and_b32_e32 v37, 0x3f8, v37
	v_and_b32_e32 v34, 0x3f8, v34
	;; [unrolled: 1-line block ×3, first 2 shown]
	v_add_nc_u32_e32 v38, v38, v55
	v_add_nc_u32_e32 v36, v36, v55
	;; [unrolled: 1-line block ×7, first 2 shown]
	s_waitcnt vmcnt(0)
	ds_store_b64 v33, v[1:2]
	ds_store_b64 v38, v[3:4] offset:4096
	ds_store_b64 v36, v[5:6] offset:8192
	;; [unrolled: 1-line block ×7, first 2 shown]
	s_waitcnt lgkmcnt(0)
	s_barrier
.LBB983_40:
	buffer_gl0_inv
	ds_load_2addr_b64 v[13:16], v41 offset1:1
	ds_load_2addr_b64 v[9:12], v41 offset0:2 offset1:3
	ds_load_2addr_b64 v[5:8], v41 offset0:4 offset1:5
	;; [unrolled: 1-line block ×3, first 2 shown]
	s_cmp_lg_u32 s15, 0
	v_cmp_gt_i64_e64 s25, s[22:23], 0
	s_cselect_b32 s24, -1, 0
	s_cmp_lg_u64 s[6:7], 0
	s_mov_b32 s3, 0
	s_cselect_b32 s2, -1, 0
	s_waitcnt lgkmcnt(0)
	s_or_b32 s2, s24, s2
	s_barrier
	s_and_b32 vcc_lo, exec_lo, s2
	buffer_gl0_inv
	s_cbranch_vccz .LBB983_49
; %bb.41:
	s_add_u32 s2, s4, -8
	s_addc_u32 s3, s5, -1
	v_cndmask_b32_e64 v41, 0, 1, s25
	s_load_b64 s[4:5], s[2:3], 0x0
	s_and_b32 vcc_lo, exec_lo, s20
	ds_store_b64 v55, v[19:20]
	v_cmp_ne_u32_e64 s2, 1, v41
	s_cbranch_vccz .LBB983_50
; %bb.42:
	v_mul_lo_u32 v35, v18, s22
	v_mul_lo_u32 v36, v17, s23
	v_mad_u64_u32 v[33:34], null, v17, s22, 0
	s_mov_b32 s3, 0
	s_and_b32 vcc_lo, exec_lo, s2
	s_mov_b32 s26, 0
	s_delay_alu instid0(VALU_DEP_1) | instskip(NEXT) | instid1(VALU_DEP_1)
	v_add3_u32 v34, v34, v36, v35
	v_lshlrev_b64 v[33:34], 2, v[33:34]
	s_cbranch_vccnz .LBB983_53
; %bb.43:
	v_mul_lo_u32 v37, v20, s22
	v_mul_lo_u32 v38, v19, s23
	v_mad_u64_u32 v[35:36], null, v19, s22, 0
	s_mov_b32 s26, -1
	s_mov_b32 s27, exec_lo
	s_delay_alu instid0(VALU_DEP_1) | instskip(SKIP_2) | instid1(VALU_DEP_3)
	v_add3_u32 v36, v36, v38, v37
	v_add_co_u32 v37, vcc_lo, s8, v33
	v_add_co_ci_u32_e32 v38, vcc_lo, s9, v34, vcc_lo
	v_lshlrev_b64 v[35:36], 2, v[35:36]
	s_delay_alu instid0(VALU_DEP_1) | instskip(NEXT) | instid1(VALU_DEP_2)
	v_add_co_u32 v35, vcc_lo, s8, v35
	v_add_co_ci_u32_e32 v36, vcc_lo, s9, v36, vcc_lo
	s_clause 0x1
	global_load_b32 v39, v[37:38], off
	global_load_b32 v40, v[35:36], off
	s_waitcnt vmcnt(0)
	v_cmpx_eq_f32_e32 v39, v40
	s_cbranch_execz .LBB983_52
; %bb.44:
	v_add_co_u32 v35, vcc_lo, v35, 4
	v_add_co_ci_u32_e32 v36, vcc_lo, 0, v36, vcc_lo
	v_add_co_u32 v37, vcc_lo, v37, 4
	v_add_co_ci_u32_e32 v38, vcc_lo, 0, v38, vcc_lo
	s_add_u32 s6, s22, -1
	s_addc_u32 s7, s23, -1
	s_mov_b64 s[18:19], 0
	s_mov_b32 s26, 0
                                        ; implicit-def: $sgpr29
	s_set_inst_prefetch_distance 0x1
	s_branch .LBB983_47
	.p2align	6
.LBB983_45:                             ;   in Loop: Header=BB983_47 Depth=1
	global_load_b32 v39, v[37:38], off
	global_load_b32 v40, v[35:36], off
	v_add_co_u32 v35, vcc_lo, v35, 4
	v_add_co_ci_u32_e32 v36, vcc_lo, 0, v36, vcc_lo
	v_add_co_u32 v37, s2, v37, 4
	s_delay_alu instid0(VALU_DEP_1)
	v_add_co_ci_u32_e64 v38, s2, 0, v38, s2
	s_add_u32 s18, s18, 1
	s_addc_u32 s19, s19, 0
	s_and_not1_b32 s2, s29, exec_lo
	s_waitcnt vmcnt(0)
	v_cmp_neq_f32_e32 vcc_lo, v39, v40
	s_and_b32 s29, vcc_lo, exec_lo
	s_delay_alu instid0(SALU_CYCLE_1)
	s_or_b32 s29, s2, s29
.LBB983_46:                             ;   in Loop: Header=BB983_47 Depth=1
	v_dual_mov_b32 v40, s19 :: v_dual_mov_b32 v39, s18
	s_and_b32 s2, exec_lo, s29
	s_delay_alu instid0(SALU_CYCLE_1) | instskip(NEXT) | instid1(SALU_CYCLE_1)
	s_or_b32 s26, s2, s26
	s_and_not1_b32 exec_lo, exec_lo, s26
	s_cbranch_execz .LBB983_51
.LBB983_47:                             ; =>This Inner Loop Header: Depth=1
	s_or_b32 s29, s29, exec_lo
	s_cmp_eq_u64 s[6:7], s[18:19]
	s_cbranch_scc0 .LBB983_45
; %bb.48:                               ;   in Loop: Header=BB983_47 Depth=1
	s_mov_b64 s[18:19], s[22:23]
                                        ; implicit-def: $vgpr35_vgpr36
                                        ; implicit-def: $vgpr37_vgpr38
	s_branch .LBB983_46
.LBB983_49:
                                        ; implicit-def: $sgpr2
                                        ; implicit-def: $vgpr34
	s_branch .LBB983_211
.LBB983_50:
                                        ; implicit-def: $sgpr2
                                        ; implicit-def: $vgpr34
	s_cbranch_execnz .LBB983_119
	s_branch .LBB983_210
.LBB983_51:
	s_set_inst_prefetch_distance 0x2
	s_or_b32 exec_lo, exec_lo, s26
	v_cmp_gt_i64_e32 vcc_lo, s[22:23], v[39:40]
	s_or_not1_b32 s26, vcc_lo, exec_lo
.LBB983_52:
	s_or_b32 exec_lo, exec_lo, s27
.LBB983_53:
	v_mul_lo_u32 v37, v24, s22
	v_mul_lo_u32 v38, v23, s23
	v_mad_u64_u32 v[35:36], null, v23, s22, 0
	s_and_not1_b32 vcc_lo, exec_lo, s25
	s_delay_alu instid0(VALU_DEP_1) | instskip(NEXT) | instid1(VALU_DEP_1)
	v_add3_u32 v36, v36, v38, v37
	v_lshlrev_b64 v[35:36], 2, v[35:36]
	s_cbranch_vccnz .LBB983_62
; %bb.54:
	s_delay_alu instid0(VALU_DEP_1) | instskip(NEXT) | instid1(VALU_DEP_2)
	v_add_co_u32 v37, vcc_lo, s8, v35
	v_add_co_ci_u32_e32 v38, vcc_lo, s9, v36, vcc_lo
	v_add_co_u32 v33, vcc_lo, s8, v33
	v_add_co_ci_u32_e32 v34, vcc_lo, s9, v34, vcc_lo
	s_mov_b32 s3, -1
	s_clause 0x1
	global_load_b32 v39, v[37:38], off
	global_load_b32 v40, v[33:34], off
	s_mov_b32 s27, exec_lo
	s_waitcnt vmcnt(0)
	v_cmpx_eq_f32_e32 v39, v40
	s_cbranch_execz .LBB983_61
; %bb.55:
	v_add_co_u32 v33, vcc_lo, v33, 4
	v_add_co_ci_u32_e32 v34, vcc_lo, 0, v34, vcc_lo
	v_add_co_u32 v37, vcc_lo, v37, 4
	v_add_co_ci_u32_e32 v38, vcc_lo, 0, v38, vcc_lo
	s_add_u32 s6, s22, -1
	s_addc_u32 s7, s23, -1
	s_mov_b64 s[18:19], 0
	s_mov_b32 s3, 0
                                        ; implicit-def: $sgpr29
	s_set_inst_prefetch_distance 0x1
	s_branch .LBB983_58
	.p2align	6
.LBB983_56:                             ;   in Loop: Header=BB983_58 Depth=1
	global_load_b32 v39, v[37:38], off
	global_load_b32 v40, v[33:34], off
	v_add_co_u32 v33, vcc_lo, v33, 4
	v_add_co_ci_u32_e32 v34, vcc_lo, 0, v34, vcc_lo
	v_add_co_u32 v37, s2, v37, 4
	s_delay_alu instid0(VALU_DEP_1)
	v_add_co_ci_u32_e64 v38, s2, 0, v38, s2
	s_add_u32 s18, s18, 1
	s_addc_u32 s19, s19, 0
	s_and_not1_b32 s2, s29, exec_lo
	s_waitcnt vmcnt(0)
	v_cmp_neq_f32_e32 vcc_lo, v39, v40
	s_and_b32 s29, vcc_lo, exec_lo
	s_delay_alu instid0(SALU_CYCLE_1)
	s_or_b32 s29, s2, s29
.LBB983_57:                             ;   in Loop: Header=BB983_58 Depth=1
	v_dual_mov_b32 v40, s19 :: v_dual_mov_b32 v39, s18
	s_and_b32 s2, exec_lo, s29
	s_delay_alu instid0(SALU_CYCLE_1) | instskip(NEXT) | instid1(SALU_CYCLE_1)
	s_or_b32 s3, s2, s3
	s_and_not1_b32 exec_lo, exec_lo, s3
	s_cbranch_execz .LBB983_60
.LBB983_58:                             ; =>This Inner Loop Header: Depth=1
	s_or_b32 s29, s29, exec_lo
	s_cmp_eq_u64 s[6:7], s[18:19]
	s_cbranch_scc0 .LBB983_56
; %bb.59:                               ;   in Loop: Header=BB983_58 Depth=1
	s_mov_b64 s[18:19], s[22:23]
                                        ; implicit-def: $vgpr33_vgpr34
                                        ; implicit-def: $vgpr37_vgpr38
	s_branch .LBB983_57
.LBB983_60:
	s_set_inst_prefetch_distance 0x2
	s_or_b32 exec_lo, exec_lo, s3
	v_cmp_gt_i64_e32 vcc_lo, s[22:23], v[39:40]
	s_or_not1_b32 s3, vcc_lo, exec_lo
.LBB983_61:
	s_or_b32 exec_lo, exec_lo, s27
.LBB983_62:
	v_mul_lo_u32 v37, v22, s22
	v_mul_lo_u32 v38, v21, s23
	v_mad_u64_u32 v[33:34], null, v21, s22, 0
	s_mov_b32 s27, 0
	s_and_not1_b32 vcc_lo, exec_lo, s25
	s_mov_b32 s29, 0
	s_delay_alu instid0(VALU_DEP_1) | instskip(NEXT) | instid1(VALU_DEP_1)
	v_add3_u32 v34, v34, v38, v37
	v_lshlrev_b64 v[37:38], 2, v[33:34]
	s_cbranch_vccnz .LBB983_71
; %bb.63:
	s_delay_alu instid0(VALU_DEP_1) | instskip(NEXT) | instid1(VALU_DEP_2)
	v_add_co_u32 v39, vcc_lo, s8, v37
	v_add_co_ci_u32_e32 v40, vcc_lo, s9, v38, vcc_lo
	v_add_co_u32 v33, vcc_lo, s8, v35
	v_add_co_ci_u32_e32 v34, vcc_lo, s9, v36, vcc_lo
	s_mov_b32 s29, -1
	s_clause 0x1
	global_load_b32 v35, v[39:40], off
	global_load_b32 v36, v[33:34], off
	s_mov_b32 s30, exec_lo
	s_waitcnt vmcnt(0)
	v_cmpx_eq_f32_e32 v35, v36
	s_cbranch_execz .LBB983_70
; %bb.64:
	v_add_co_u32 v33, vcc_lo, v33, 4
	v_add_co_ci_u32_e32 v34, vcc_lo, 0, v34, vcc_lo
	v_add_co_u32 v35, vcc_lo, v39, 4
	v_add_co_ci_u32_e32 v36, vcc_lo, 0, v40, vcc_lo
	s_add_u32 s6, s22, -1
	s_addc_u32 s7, s23, -1
	s_mov_b64 s[18:19], 0
	s_mov_b32 s29, 0
                                        ; implicit-def: $sgpr31
	s_set_inst_prefetch_distance 0x1
	s_branch .LBB983_67
	.p2align	6
.LBB983_65:                             ;   in Loop: Header=BB983_67 Depth=1
	global_load_b32 v39, v[35:36], off
	global_load_b32 v40, v[33:34], off
	v_add_co_u32 v33, vcc_lo, v33, 4
	v_add_co_ci_u32_e32 v34, vcc_lo, 0, v34, vcc_lo
	v_add_co_u32 v35, s2, v35, 4
	s_delay_alu instid0(VALU_DEP_1)
	v_add_co_ci_u32_e64 v36, s2, 0, v36, s2
	s_add_u32 s18, s18, 1
	s_addc_u32 s19, s19, 0
	s_and_not1_b32 s2, s31, exec_lo
	s_waitcnt vmcnt(0)
	v_cmp_neq_f32_e32 vcc_lo, v39, v40
	s_and_b32 s31, vcc_lo, exec_lo
	s_delay_alu instid0(SALU_CYCLE_1)
	s_or_b32 s31, s2, s31
.LBB983_66:                             ;   in Loop: Header=BB983_67 Depth=1
	v_dual_mov_b32 v40, s19 :: v_dual_mov_b32 v39, s18
	s_and_b32 s2, exec_lo, s31
	s_delay_alu instid0(SALU_CYCLE_1) | instskip(NEXT) | instid1(SALU_CYCLE_1)
	s_or_b32 s29, s2, s29
	s_and_not1_b32 exec_lo, exec_lo, s29
	s_cbranch_execz .LBB983_69
.LBB983_67:                             ; =>This Inner Loop Header: Depth=1
	s_or_b32 s31, s31, exec_lo
	s_cmp_eq_u64 s[6:7], s[18:19]
	s_cbranch_scc0 .LBB983_65
; %bb.68:                               ;   in Loop: Header=BB983_67 Depth=1
	s_mov_b64 s[18:19], s[22:23]
                                        ; implicit-def: $vgpr33_vgpr34
                                        ; implicit-def: $vgpr35_vgpr36
	s_branch .LBB983_66
.LBB983_69:
	s_set_inst_prefetch_distance 0x2
	s_or_b32 exec_lo, exec_lo, s29
	v_cmp_gt_i64_e32 vcc_lo, s[22:23], v[39:40]
	s_or_not1_b32 s29, vcc_lo, exec_lo
.LBB983_70:
	s_or_b32 exec_lo, exec_lo, s30
.LBB983_71:
	v_mul_lo_u32 v35, v28, s22
	v_mul_lo_u32 v36, v27, s23
	v_mad_u64_u32 v[33:34], null, v27, s22, 0
	s_and_not1_b32 vcc_lo, exec_lo, s25
	s_delay_alu instid0(VALU_DEP_1) | instskip(NEXT) | instid1(VALU_DEP_1)
	v_add3_u32 v34, v34, v36, v35
	v_lshlrev_b64 v[33:34], 2, v[33:34]
	s_cbranch_vccnz .LBB983_80
; %bb.72:
	s_delay_alu instid0(VALU_DEP_1) | instskip(NEXT) | instid1(VALU_DEP_2)
	v_add_co_u32 v39, vcc_lo, s8, v33
	v_add_co_ci_u32_e32 v40, vcc_lo, s9, v34, vcc_lo
	v_add_co_u32 v35, vcc_lo, s8, v37
	v_add_co_ci_u32_e32 v36, vcc_lo, s9, v38, vcc_lo
	s_mov_b32 s27, -1
	s_clause 0x1
	global_load_b32 v37, v[39:40], off
	global_load_b32 v38, v[35:36], off
	s_mov_b32 s30, exec_lo
	s_waitcnt vmcnt(0)
	v_cmpx_eq_f32_e32 v37, v38
	s_cbranch_execz .LBB983_79
; %bb.73:
	v_add_co_u32 v35, vcc_lo, v35, 4
	v_add_co_ci_u32_e32 v36, vcc_lo, 0, v36, vcc_lo
	v_add_co_u32 v37, vcc_lo, v39, 4
	v_add_co_ci_u32_e32 v38, vcc_lo, 0, v40, vcc_lo
	s_add_u32 s6, s22, -1
	s_addc_u32 s7, s23, -1
	s_mov_b64 s[18:19], 0
	s_mov_b32 s27, 0
                                        ; implicit-def: $sgpr31
	s_set_inst_prefetch_distance 0x1
	s_branch .LBB983_76
	.p2align	6
.LBB983_74:                             ;   in Loop: Header=BB983_76 Depth=1
	global_load_b32 v39, v[37:38], off
	global_load_b32 v40, v[35:36], off
	v_add_co_u32 v35, vcc_lo, v35, 4
	v_add_co_ci_u32_e32 v36, vcc_lo, 0, v36, vcc_lo
	v_add_co_u32 v37, s2, v37, 4
	s_delay_alu instid0(VALU_DEP_1)
	v_add_co_ci_u32_e64 v38, s2, 0, v38, s2
	s_add_u32 s18, s18, 1
	s_addc_u32 s19, s19, 0
	s_and_not1_b32 s2, s31, exec_lo
	s_waitcnt vmcnt(0)
	v_cmp_neq_f32_e32 vcc_lo, v39, v40
	s_and_b32 s31, vcc_lo, exec_lo
	s_delay_alu instid0(SALU_CYCLE_1)
	s_or_b32 s31, s2, s31
.LBB983_75:                             ;   in Loop: Header=BB983_76 Depth=1
	v_dual_mov_b32 v40, s19 :: v_dual_mov_b32 v39, s18
	s_and_b32 s2, exec_lo, s31
	s_delay_alu instid0(SALU_CYCLE_1) | instskip(NEXT) | instid1(SALU_CYCLE_1)
	s_or_b32 s27, s2, s27
	s_and_not1_b32 exec_lo, exec_lo, s27
	s_cbranch_execz .LBB983_78
.LBB983_76:                             ; =>This Inner Loop Header: Depth=1
	s_or_b32 s31, s31, exec_lo
	s_cmp_eq_u64 s[6:7], s[18:19]
	s_cbranch_scc0 .LBB983_74
; %bb.77:                               ;   in Loop: Header=BB983_76 Depth=1
	s_mov_b64 s[18:19], s[22:23]
                                        ; implicit-def: $vgpr35_vgpr36
                                        ; implicit-def: $vgpr37_vgpr38
	s_branch .LBB983_75
.LBB983_78:
	s_set_inst_prefetch_distance 0x2
	s_or_b32 exec_lo, exec_lo, s27
	v_cmp_gt_i64_e32 vcc_lo, s[22:23], v[39:40]
	s_or_not1_b32 s27, vcc_lo, exec_lo
.LBB983_79:
	s_or_b32 exec_lo, exec_lo, s30
.LBB983_80:
	v_mul_lo_u32 v37, v26, s22
	v_mul_lo_u32 v38, v25, s23
	v_mad_u64_u32 v[35:36], null, v25, s22, 0
	s_mov_b32 s30, 0
	s_and_not1_b32 vcc_lo, exec_lo, s25
	s_mov_b32 s31, 0
	s_delay_alu instid0(VALU_DEP_1) | instskip(NEXT) | instid1(VALU_DEP_1)
	v_add3_u32 v36, v36, v38, v37
	v_lshlrev_b64 v[37:38], 2, v[35:36]
	s_cbranch_vccnz .LBB983_89
; %bb.81:
	s_delay_alu instid0(VALU_DEP_1) | instskip(NEXT) | instid1(VALU_DEP_2)
	v_add_co_u32 v35, vcc_lo, s8, v37
	v_add_co_ci_u32_e32 v36, vcc_lo, s9, v38, vcc_lo
	v_add_co_u32 v33, vcc_lo, s8, v33
	v_add_co_ci_u32_e32 v34, vcc_lo, s9, v34, vcc_lo
	s_mov_b32 s31, -1
	s_clause 0x1
	global_load_b32 v39, v[35:36], off
	global_load_b32 v40, v[33:34], off
	s_mov_b32 s33, exec_lo
	s_waitcnt vmcnt(0)
	v_cmpx_eq_f32_e32 v39, v40
	s_cbranch_execz .LBB983_88
; %bb.82:
	v_add_co_u32 v33, vcc_lo, v33, 4
	v_add_co_ci_u32_e32 v34, vcc_lo, 0, v34, vcc_lo
	v_add_co_u32 v35, vcc_lo, v35, 4
	v_add_co_ci_u32_e32 v36, vcc_lo, 0, v36, vcc_lo
	s_add_u32 s6, s22, -1
	s_addc_u32 s7, s23, -1
	s_mov_b64 s[18:19], 0
	s_mov_b32 s31, 0
                                        ; implicit-def: $sgpr34
	s_set_inst_prefetch_distance 0x1
	s_branch .LBB983_85
	.p2align	6
.LBB983_83:                             ;   in Loop: Header=BB983_85 Depth=1
	global_load_b32 v39, v[35:36], off
	global_load_b32 v40, v[33:34], off
	v_add_co_u32 v33, vcc_lo, v33, 4
	v_add_co_ci_u32_e32 v34, vcc_lo, 0, v34, vcc_lo
	v_add_co_u32 v35, s2, v35, 4
	s_delay_alu instid0(VALU_DEP_1)
	v_add_co_ci_u32_e64 v36, s2, 0, v36, s2
	s_add_u32 s18, s18, 1
	s_addc_u32 s19, s19, 0
	s_and_not1_b32 s2, s34, exec_lo
	s_waitcnt vmcnt(0)
	v_cmp_neq_f32_e32 vcc_lo, v39, v40
	s_and_b32 s34, vcc_lo, exec_lo
	s_delay_alu instid0(SALU_CYCLE_1)
	s_or_b32 s34, s2, s34
.LBB983_84:                             ;   in Loop: Header=BB983_85 Depth=1
	v_dual_mov_b32 v40, s19 :: v_dual_mov_b32 v39, s18
	s_and_b32 s2, exec_lo, s34
	s_delay_alu instid0(SALU_CYCLE_1) | instskip(NEXT) | instid1(SALU_CYCLE_1)
	s_or_b32 s31, s2, s31
	s_and_not1_b32 exec_lo, exec_lo, s31
	s_cbranch_execz .LBB983_87
.LBB983_85:                             ; =>This Inner Loop Header: Depth=1
	s_or_b32 s34, s34, exec_lo
	s_cmp_eq_u64 s[6:7], s[18:19]
	s_cbranch_scc0 .LBB983_83
; %bb.86:                               ;   in Loop: Header=BB983_85 Depth=1
	s_mov_b64 s[18:19], s[22:23]
                                        ; implicit-def: $vgpr33_vgpr34
                                        ; implicit-def: $vgpr35_vgpr36
	s_branch .LBB983_84
.LBB983_87:
	s_set_inst_prefetch_distance 0x2
	s_or_b32 exec_lo, exec_lo, s31
	v_cmp_gt_i64_e32 vcc_lo, s[22:23], v[39:40]
	s_or_not1_b32 s31, vcc_lo, exec_lo
.LBB983_88:
	s_or_b32 exec_lo, exec_lo, s33
.LBB983_89:
	v_mul_lo_u32 v35, v32, s22
	v_mul_lo_u32 v36, v31, s23
	v_mad_u64_u32 v[33:34], null, v31, s22, 0
	s_and_not1_b32 vcc_lo, exec_lo, s25
	s_delay_alu instid0(VALU_DEP_1) | instskip(NEXT) | instid1(VALU_DEP_1)
	v_add3_u32 v34, v34, v36, v35
	v_lshlrev_b64 v[35:36], 2, v[33:34]
	s_cbranch_vccnz .LBB983_98
; %bb.90:
	s_delay_alu instid0(VALU_DEP_1) | instskip(NEXT) | instid1(VALU_DEP_2)
	v_add_co_u32 v39, vcc_lo, s8, v35
	v_add_co_ci_u32_e32 v40, vcc_lo, s9, v36, vcc_lo
	v_add_co_u32 v33, vcc_lo, s8, v37
	v_add_co_ci_u32_e32 v34, vcc_lo, s9, v38, vcc_lo
	s_mov_b32 s30, -1
	s_clause 0x1
	global_load_b32 v37, v[39:40], off
	global_load_b32 v38, v[33:34], off
	s_mov_b32 s33, exec_lo
	s_waitcnt vmcnt(0)
	v_cmpx_eq_f32_e32 v37, v38
	s_cbranch_execz .LBB983_97
; %bb.91:
	v_add_co_u32 v33, vcc_lo, v33, 4
	v_add_co_ci_u32_e32 v34, vcc_lo, 0, v34, vcc_lo
	v_add_co_u32 v37, vcc_lo, v39, 4
	v_add_co_ci_u32_e32 v38, vcc_lo, 0, v40, vcc_lo
	s_add_u32 s6, s22, -1
	s_addc_u32 s7, s23, -1
	s_mov_b64 s[18:19], 0
	s_mov_b32 s30, 0
                                        ; implicit-def: $sgpr34
	s_set_inst_prefetch_distance 0x1
	s_branch .LBB983_94
	.p2align	6
.LBB983_92:                             ;   in Loop: Header=BB983_94 Depth=1
	global_load_b32 v39, v[37:38], off
	global_load_b32 v40, v[33:34], off
	v_add_co_u32 v33, vcc_lo, v33, 4
	v_add_co_ci_u32_e32 v34, vcc_lo, 0, v34, vcc_lo
	v_add_co_u32 v37, s2, v37, 4
	s_delay_alu instid0(VALU_DEP_1)
	v_add_co_ci_u32_e64 v38, s2, 0, v38, s2
	s_add_u32 s18, s18, 1
	s_addc_u32 s19, s19, 0
	s_and_not1_b32 s2, s34, exec_lo
	s_waitcnt vmcnt(0)
	v_cmp_neq_f32_e32 vcc_lo, v39, v40
	s_and_b32 s34, vcc_lo, exec_lo
	s_delay_alu instid0(SALU_CYCLE_1)
	s_or_b32 s34, s2, s34
.LBB983_93:                             ;   in Loop: Header=BB983_94 Depth=1
	v_dual_mov_b32 v40, s19 :: v_dual_mov_b32 v39, s18
	s_and_b32 s2, exec_lo, s34
	s_delay_alu instid0(SALU_CYCLE_1) | instskip(NEXT) | instid1(SALU_CYCLE_1)
	s_or_b32 s30, s2, s30
	s_and_not1_b32 exec_lo, exec_lo, s30
	s_cbranch_execz .LBB983_96
.LBB983_94:                             ; =>This Inner Loop Header: Depth=1
	s_or_b32 s34, s34, exec_lo
	s_cmp_eq_u64 s[6:7], s[18:19]
	s_cbranch_scc0 .LBB983_92
; %bb.95:                               ;   in Loop: Header=BB983_94 Depth=1
	s_mov_b64 s[18:19], s[22:23]
                                        ; implicit-def: $vgpr33_vgpr34
                                        ; implicit-def: $vgpr37_vgpr38
	s_branch .LBB983_93
.LBB983_96:
	s_set_inst_prefetch_distance 0x2
	s_or_b32 exec_lo, exec_lo, s30
	v_cmp_gt_i64_e32 vcc_lo, s[22:23], v[39:40]
	s_or_not1_b32 s30, vcc_lo, exec_lo
.LBB983_97:
	s_or_b32 exec_lo, exec_lo, s33
.LBB983_98:
	v_mul_lo_u32 v37, v30, s22
	v_mul_lo_u32 v38, v29, s23
	v_mad_u64_u32 v[33:34], null, v29, s22, 0
	s_and_not1_b32 vcc_lo, exec_lo, s25
	s_mov_b32 s2, 0
	s_delay_alu instid0(VALU_DEP_1) | instskip(NEXT) | instid1(VALU_DEP_1)
	v_add3_u32 v34, v34, v38, v37
	v_lshlrev_b64 v[33:34], 2, v[33:34]
	s_cbranch_vccnz .LBB983_107
; %bb.99:
	s_delay_alu instid0(VALU_DEP_1) | instskip(NEXT) | instid1(VALU_DEP_2)
	v_add_co_u32 v37, vcc_lo, s8, v33
	v_add_co_ci_u32_e32 v38, vcc_lo, s9, v34, vcc_lo
	v_add_co_u32 v35, vcc_lo, s8, v35
	v_add_co_ci_u32_e32 v36, vcc_lo, s9, v36, vcc_lo
	s_mov_b32 s2, -1
	s_clause 0x1
	global_load_b32 v39, v[37:38], off
	global_load_b32 v40, v[35:36], off
	s_mov_b32 s33, exec_lo
	s_waitcnt vmcnt(0)
	v_cmpx_eq_f32_e32 v39, v40
	s_cbranch_execz .LBB983_106
; %bb.100:
	v_add_co_u32 v35, vcc_lo, v35, 4
	v_add_co_ci_u32_e32 v36, vcc_lo, 0, v36, vcc_lo
	v_add_co_u32 v37, vcc_lo, v37, 4
	v_add_co_ci_u32_e32 v38, vcc_lo, 0, v38, vcc_lo
	s_add_u32 s6, s22, -1
	s_addc_u32 s7, s23, -1
	s_mov_b64 s[18:19], 0
	s_mov_b32 s34, 0
                                        ; implicit-def: $sgpr35
	s_set_inst_prefetch_distance 0x1
	s_branch .LBB983_103
	.p2align	6
.LBB983_101:                            ;   in Loop: Header=BB983_103 Depth=1
	global_load_b32 v39, v[37:38], off
	global_load_b32 v40, v[35:36], off
	v_add_co_u32 v35, vcc_lo, v35, 4
	v_add_co_ci_u32_e32 v36, vcc_lo, 0, v36, vcc_lo
	v_add_co_u32 v37, s2, v37, 4
	s_delay_alu instid0(VALU_DEP_1)
	v_add_co_ci_u32_e64 v38, s2, 0, v38, s2
	s_add_u32 s18, s18, 1
	s_addc_u32 s19, s19, 0
	s_and_not1_b32 s2, s35, exec_lo
	s_waitcnt vmcnt(0)
	v_cmp_neq_f32_e32 vcc_lo, v39, v40
	s_and_b32 s35, vcc_lo, exec_lo
	s_delay_alu instid0(SALU_CYCLE_1)
	s_or_b32 s35, s2, s35
.LBB983_102:                            ;   in Loop: Header=BB983_103 Depth=1
	v_dual_mov_b32 v40, s19 :: v_dual_mov_b32 v39, s18
	s_and_b32 s2, exec_lo, s35
	s_delay_alu instid0(SALU_CYCLE_1) | instskip(NEXT) | instid1(SALU_CYCLE_1)
	s_or_b32 s34, s2, s34
	s_and_not1_b32 exec_lo, exec_lo, s34
	s_cbranch_execz .LBB983_105
.LBB983_103:                            ; =>This Inner Loop Header: Depth=1
	s_or_b32 s35, s35, exec_lo
	s_cmp_eq_u64 s[6:7], s[18:19]
	s_cbranch_scc0 .LBB983_101
; %bb.104:                              ;   in Loop: Header=BB983_103 Depth=1
	s_mov_b64 s[18:19], s[22:23]
                                        ; implicit-def: $vgpr35_vgpr36
                                        ; implicit-def: $vgpr37_vgpr38
	s_branch .LBB983_102
.LBB983_105:
	s_set_inst_prefetch_distance 0x2
	s_or_b32 exec_lo, exec_lo, s34
	v_cmp_gt_i64_e32 vcc_lo, s[22:23], v[39:40]
	s_or_not1_b32 s2, vcc_lo, exec_lo
.LBB983_106:
	s_or_b32 exec_lo, exec_lo, s33
.LBB983_107:
	s_waitcnt lgkmcnt(0)
	v_dual_mov_b32 v36, s5 :: v_dual_mov_b32 v35, s4
	s_mov_b32 s6, exec_lo
	s_barrier
	buffer_gl0_inv
	v_cmpx_ne_u32_e32 0, v0
	s_cbranch_execz .LBB983_109
; %bb.108:
	v_add_nc_u32_e32 v35, -8, v55
	ds_load_b64 v[35:36], v35
.LBB983_109:
	s_or_b32 exec_lo, exec_lo, s6
	v_cndmask_b32_e64 v38, 0, 1, s31
	v_cndmask_b32_e64 v40, 0, 1, s29
	v_cndmask_b32_e64 v42, 0, 1, s26
	v_cndmask_b32_e64 v37, 0, 1, s30
	v_cndmask_b32_e64 v39, 0, 1, s27
	v_cndmask_b32_e64 v43, 0, 1, s2
	v_cndmask_b32_e64 v44, 0, 1, s3
	v_lshlrev_b16 v38, 8, v38
	v_lshlrev_b16 v40, 8, v40
	;; [unrolled: 1-line block ×4, first 2 shown]
	s_mov_b32 s3, 0
	v_or_b32_e32 v37, v37, v38
	v_or_b32_e32 v38, v39, v40
	v_or_b32_e32 v44, v44, v42
	v_and_b32_e32 v39, 0xffff, v43
	s_and_not1_b32 vcc_lo, exec_lo, s25
	v_lshlrev_b32_e32 v40, 16, v37
	v_and_b32_e32 v42, 0xffff, v38
	v_lshlrev_b32_e32 v43, 16, v44
	s_mov_b32 s2, 0
	s_cbranch_vccnz .LBB983_118
; %bb.110:
	s_waitcnt lgkmcnt(0)
	v_mul_lo_u32 v38, v36, s22
	v_mul_lo_u32 v44, v35, s23
	v_mad_u64_u32 v[36:37], null, v35, s22, 0
	s_mov_b32 s2, -1
	s_mov_b32 s26, exec_lo
	s_delay_alu instid0(VALU_DEP_1) | instskip(NEXT) | instid1(VALU_DEP_1)
	v_add3_u32 v37, v37, v44, v38
	v_lshlrev_b64 v[35:36], 2, v[36:37]
	s_delay_alu instid0(VALU_DEP_1) | instskip(NEXT) | instid1(VALU_DEP_2)
	v_add_co_u32 v35, vcc_lo, s8, v35
	v_add_co_ci_u32_e32 v36, vcc_lo, s9, v36, vcc_lo
	v_add_co_u32 v33, vcc_lo, s8, v33
	v_add_co_ci_u32_e32 v34, vcc_lo, s9, v34, vcc_lo
	s_clause 0x1
	global_load_b32 v37, v[35:36], off
	global_load_b32 v38, v[33:34], off
	s_waitcnt vmcnt(0)
	v_cmpx_eq_f32_e32 v37, v38
	s_cbranch_execz .LBB983_117
; %bb.111:
	v_add_co_u32 v33, vcc_lo, v33, 4
	v_add_co_ci_u32_e32 v34, vcc_lo, 0, v34, vcc_lo
	v_add_co_u32 v35, vcc_lo, v35, 4
	v_add_co_ci_u32_e32 v36, vcc_lo, 0, v36, vcc_lo
	s_add_u32 s6, s22, -1
	s_addc_u32 s7, s23, -1
	s_mov_b64 s[18:19], 0
	s_mov_b32 s27, 0
                                        ; implicit-def: $sgpr29
	s_set_inst_prefetch_distance 0x1
	s_branch .LBB983_114
	.p2align	6
.LBB983_112:                            ;   in Loop: Header=BB983_114 Depth=1
	global_load_b32 v37, v[35:36], off
	global_load_b32 v38, v[33:34], off
	v_add_co_u32 v33, vcc_lo, v33, 4
	v_add_co_ci_u32_e32 v34, vcc_lo, 0, v34, vcc_lo
	v_add_co_u32 v35, s2, v35, 4
	s_delay_alu instid0(VALU_DEP_1)
	v_add_co_ci_u32_e64 v36, s2, 0, v36, s2
	s_add_u32 s18, s18, 1
	s_addc_u32 s19, s19, 0
	s_and_not1_b32 s2, s29, exec_lo
	s_waitcnt vmcnt(0)
	v_cmp_neq_f32_e32 vcc_lo, v37, v38
	s_and_b32 s29, vcc_lo, exec_lo
	s_delay_alu instid0(SALU_CYCLE_1)
	s_or_b32 s29, s2, s29
.LBB983_113:                            ;   in Loop: Header=BB983_114 Depth=1
	v_dual_mov_b32 v38, s19 :: v_dual_mov_b32 v37, s18
	s_and_b32 s2, exec_lo, s29
	s_delay_alu instid0(SALU_CYCLE_1) | instskip(NEXT) | instid1(SALU_CYCLE_1)
	s_or_b32 s27, s2, s27
	s_and_not1_b32 exec_lo, exec_lo, s27
	s_cbranch_execz .LBB983_116
.LBB983_114:                            ; =>This Inner Loop Header: Depth=1
	s_or_b32 s29, s29, exec_lo
	s_cmp_eq_u64 s[6:7], s[18:19]
	s_cbranch_scc0 .LBB983_112
; %bb.115:                              ;   in Loop: Header=BB983_114 Depth=1
	s_mov_b64 s[18:19], s[22:23]
                                        ; implicit-def: $vgpr33_vgpr34
                                        ; implicit-def: $vgpr35_vgpr36
	s_branch .LBB983_113
.LBB983_116:
	s_set_inst_prefetch_distance 0x2
	s_or_b32 exec_lo, exec_lo, s27
	v_cmp_gt_i64_e32 vcc_lo, s[22:23], v[37:38]
	s_or_not1_b32 s2, vcc_lo, exec_lo
.LBB983_117:
	s_or_b32 exec_lo, exec_lo, s26
.LBB983_118:
	v_or_b32_e32 v33, v39, v40
	s_delay_alu instid0(VALU_DEP_2)
	v_or_b32_e32 v34, v42, v43
	s_and_b32 vcc_lo, exec_lo, s3
	s_cbranch_vccz .LBB983_210
.LBB983_119:
	v_or_b32_e32 v33, 7, v55
	s_mov_b32 s3, 0
	s_mov_b32 s26, 0
	s_mov_b32 s27, exec_lo
	s_delay_alu instid0(VALU_DEP_1)
	v_cmpx_gt_u32_e64 s28, v33
	s_cbranch_execz .LBB983_130
; %bb.120:
	s_and_not1_b32 vcc_lo, exec_lo, s25
	s_mov_b32 s2, 0
	s_cbranch_vccnz .LBB983_129
; %bb.121:
	v_mul_lo_u32 v37, v18, s22
	v_mul_lo_u32 v38, v17, s23
	v_mad_u64_u32 v[33:34], null, v17, s22, 0
	v_mul_lo_u32 v39, v20, s22
	v_mul_lo_u32 v40, v19, s23
	s_waitcnt lgkmcnt(0)
	v_mad_u64_u32 v[35:36], null, v19, s22, 0
	s_mov_b32 s2, -1
	s_mov_b32 s25, exec_lo
	s_delay_alu instid0(VALU_DEP_4) | instskip(NEXT) | instid1(VALU_DEP_2)
	v_add3_u32 v34, v34, v38, v37
	v_add3_u32 v36, v36, v40, v39
	s_delay_alu instid0(VALU_DEP_2) | instskip(NEXT) | instid1(VALU_DEP_2)
	v_lshlrev_b64 v[33:34], 2, v[33:34]
	v_lshlrev_b64 v[37:38], 2, v[35:36]
	s_delay_alu instid0(VALU_DEP_2) | instskip(NEXT) | instid1(VALU_DEP_3)
	v_add_co_u32 v35, vcc_lo, s8, v33
	v_add_co_ci_u32_e32 v36, vcc_lo, s9, v34, vcc_lo
	s_delay_alu instid0(VALU_DEP_3) | instskip(NEXT) | instid1(VALU_DEP_4)
	v_add_co_u32 v33, vcc_lo, s8, v37
	v_add_co_ci_u32_e32 v34, vcc_lo, s9, v38, vcc_lo
	s_clause 0x1
	global_load_b32 v37, v[35:36], off
	global_load_b32 v38, v[33:34], off
	s_waitcnt vmcnt(0)
	v_cmpx_eq_f32_e32 v37, v38
	s_cbranch_execz .LBB983_128
; %bb.122:
	v_add_co_u32 v33, vcc_lo, v33, 4
	v_add_co_ci_u32_e32 v34, vcc_lo, 0, v34, vcc_lo
	v_add_co_u32 v35, vcc_lo, v35, 4
	v_add_co_ci_u32_e32 v36, vcc_lo, 0, v36, vcc_lo
	s_add_u32 s6, s22, -1
	s_addc_u32 s7, s23, -1
	s_mov_b64 s[18:19], 0
                                        ; implicit-def: $sgpr29
	s_set_inst_prefetch_distance 0x1
	s_branch .LBB983_125
	.p2align	6
.LBB983_123:                            ;   in Loop: Header=BB983_125 Depth=1
	global_load_b32 v37, v[35:36], off
	global_load_b32 v38, v[33:34], off
	v_add_co_u32 v33, vcc_lo, v33, 4
	v_add_co_ci_u32_e32 v34, vcc_lo, 0, v34, vcc_lo
	v_add_co_u32 v35, s2, v35, 4
	s_delay_alu instid0(VALU_DEP_1)
	v_add_co_ci_u32_e64 v36, s2, 0, v36, s2
	s_add_u32 s18, s18, 1
	s_addc_u32 s19, s19, 0
	s_and_not1_b32 s2, s29, exec_lo
	s_waitcnt vmcnt(0)
	v_cmp_neq_f32_e32 vcc_lo, v37, v38
	s_and_b32 s29, vcc_lo, exec_lo
	s_delay_alu instid0(SALU_CYCLE_1)
	s_or_b32 s29, s2, s29
.LBB983_124:                            ;   in Loop: Header=BB983_125 Depth=1
	v_dual_mov_b32 v38, s19 :: v_dual_mov_b32 v37, s18
	s_and_b32 s2, exec_lo, s29
	s_delay_alu instid0(SALU_CYCLE_1) | instskip(NEXT) | instid1(SALU_CYCLE_1)
	s_or_b32 s26, s2, s26
	s_and_not1_b32 exec_lo, exec_lo, s26
	s_cbranch_execz .LBB983_127
.LBB983_125:                            ; =>This Inner Loop Header: Depth=1
	s_or_b32 s29, s29, exec_lo
	s_cmp_eq_u64 s[6:7], s[18:19]
	s_cbranch_scc0 .LBB983_123
; %bb.126:                              ;   in Loop: Header=BB983_125 Depth=1
	s_mov_b64 s[18:19], s[22:23]
                                        ; implicit-def: $vgpr33_vgpr34
                                        ; implicit-def: $vgpr35_vgpr36
	s_branch .LBB983_124
.LBB983_127:
	s_set_inst_prefetch_distance 0x2
	s_or_b32 exec_lo, exec_lo, s26
	v_cmp_gt_i64_e32 vcc_lo, s[22:23], v[37:38]
	s_or_not1_b32 s2, vcc_lo, exec_lo
.LBB983_128:
	s_or_b32 exec_lo, exec_lo, s25
.LBB983_129:
	s_delay_alu instid0(SALU_CYCLE_1)
	s_and_b32 s26, s2, exec_lo
.LBB983_130:
	s_or_b32 exec_lo, exec_lo, s27
	v_or_b32_e32 v33, 6, v55
	s_mov_b32 s25, exec_lo
	s_delay_alu instid0(VALU_DEP_1)
	v_cmpx_gt_u32_e64 s28, v33
	s_cbranch_execz .LBB983_141
; %bb.131:
	v_cmp_ne_u32_e32 vcc_lo, 1, v41
	s_mov_b32 s2, 0
	s_cbranch_vccnz .LBB983_140
; %bb.132:
	v_mul_lo_u32 v37, v24, s22
	v_mul_lo_u32 v38, v23, s23
	v_mad_u64_u32 v[33:34], null, v23, s22, 0
	v_mul_lo_u32 v39, v18, s22
	v_mul_lo_u32 v40, v17, s23
	s_waitcnt lgkmcnt(0)
	v_mad_u64_u32 v[35:36], null, v17, s22, 0
	s_mov_b32 s2, -1
	s_mov_b32 s3, exec_lo
	s_delay_alu instid0(VALU_DEP_4) | instskip(NEXT) | instid1(VALU_DEP_2)
	v_add3_u32 v34, v34, v38, v37
	v_add3_u32 v36, v36, v40, v39
	s_delay_alu instid0(VALU_DEP_2) | instskip(NEXT) | instid1(VALU_DEP_2)
	v_lshlrev_b64 v[33:34], 2, v[33:34]
	v_lshlrev_b64 v[37:38], 2, v[35:36]
	s_delay_alu instid0(VALU_DEP_2) | instskip(NEXT) | instid1(VALU_DEP_3)
	v_add_co_u32 v35, vcc_lo, s8, v33
	v_add_co_ci_u32_e32 v36, vcc_lo, s9, v34, vcc_lo
	s_delay_alu instid0(VALU_DEP_3) | instskip(NEXT) | instid1(VALU_DEP_4)
	v_add_co_u32 v33, vcc_lo, s8, v37
	v_add_co_ci_u32_e32 v34, vcc_lo, s9, v38, vcc_lo
	s_clause 0x1
	global_load_b32 v37, v[35:36], off
	global_load_b32 v38, v[33:34], off
	s_waitcnt vmcnt(0)
	v_cmpx_eq_f32_e32 v37, v38
	s_cbranch_execz .LBB983_139
; %bb.133:
	v_add_co_u32 v33, vcc_lo, v33, 4
	v_add_co_ci_u32_e32 v34, vcc_lo, 0, v34, vcc_lo
	v_add_co_u32 v35, vcc_lo, v35, 4
	v_add_co_ci_u32_e32 v36, vcc_lo, 0, v36, vcc_lo
	s_add_u32 s6, s22, -1
	s_addc_u32 s7, s23, -1
	s_mov_b64 s[18:19], 0
	s_mov_b32 s27, 0
                                        ; implicit-def: $sgpr29
	s_set_inst_prefetch_distance 0x1
	s_branch .LBB983_136
	.p2align	6
.LBB983_134:                            ;   in Loop: Header=BB983_136 Depth=1
	global_load_b32 v37, v[35:36], off
	global_load_b32 v38, v[33:34], off
	v_add_co_u32 v33, vcc_lo, v33, 4
	v_add_co_ci_u32_e32 v34, vcc_lo, 0, v34, vcc_lo
	v_add_co_u32 v35, s2, v35, 4
	s_delay_alu instid0(VALU_DEP_1)
	v_add_co_ci_u32_e64 v36, s2, 0, v36, s2
	s_add_u32 s18, s18, 1
	s_addc_u32 s19, s19, 0
	s_and_not1_b32 s2, s29, exec_lo
	s_waitcnt vmcnt(0)
	v_cmp_neq_f32_e32 vcc_lo, v37, v38
	s_and_b32 s29, vcc_lo, exec_lo
	s_delay_alu instid0(SALU_CYCLE_1)
	s_or_b32 s29, s2, s29
.LBB983_135:                            ;   in Loop: Header=BB983_136 Depth=1
	v_dual_mov_b32 v38, s19 :: v_dual_mov_b32 v37, s18
	s_and_b32 s2, exec_lo, s29
	s_delay_alu instid0(SALU_CYCLE_1) | instskip(NEXT) | instid1(SALU_CYCLE_1)
	s_or_b32 s27, s2, s27
	s_and_not1_b32 exec_lo, exec_lo, s27
	s_cbranch_execz .LBB983_138
.LBB983_136:                            ; =>This Inner Loop Header: Depth=1
	s_or_b32 s29, s29, exec_lo
	s_cmp_eq_u64 s[6:7], s[18:19]
	s_cbranch_scc0 .LBB983_134
; %bb.137:                              ;   in Loop: Header=BB983_136 Depth=1
	s_mov_b64 s[18:19], s[22:23]
                                        ; implicit-def: $vgpr33_vgpr34
                                        ; implicit-def: $vgpr35_vgpr36
	s_branch .LBB983_135
.LBB983_138:
	s_set_inst_prefetch_distance 0x2
	s_or_b32 exec_lo, exec_lo, s27
	v_cmp_gt_i64_e32 vcc_lo, s[22:23], v[37:38]
	s_or_not1_b32 s2, vcc_lo, exec_lo
.LBB983_139:
	s_or_b32 exec_lo, exec_lo, s3
.LBB983_140:
	s_delay_alu instid0(SALU_CYCLE_1)
	s_and_b32 s3, s2, exec_lo
.LBB983_141:
	s_or_b32 exec_lo, exec_lo, s25
	v_or_b32_e32 v33, 5, v55
	s_mov_b32 s27, 0
	s_mov_b32 s25, 0
	s_mov_b32 s29, exec_lo
	s_delay_alu instid0(VALU_DEP_1)
	v_cmpx_gt_u32_e64 s28, v33
	s_cbranch_execz .LBB983_152
; %bb.142:
	v_cmp_ne_u32_e32 vcc_lo, 1, v41
	s_mov_b32 s2, 0
	s_cbranch_vccnz .LBB983_151
; %bb.143:
	v_mul_lo_u32 v37, v22, s22
	v_mul_lo_u32 v38, v21, s23
	v_mad_u64_u32 v[33:34], null, v21, s22, 0
	v_mul_lo_u32 v39, v24, s22
	v_mul_lo_u32 v40, v23, s23
	s_waitcnt lgkmcnt(0)
	v_mad_u64_u32 v[35:36], null, v23, s22, 0
	s_mov_b32 s2, -1
	s_mov_b32 s25, exec_lo
	s_delay_alu instid0(VALU_DEP_4) | instskip(NEXT) | instid1(VALU_DEP_2)
	v_add3_u32 v34, v34, v38, v37
	v_add3_u32 v36, v36, v40, v39
	s_delay_alu instid0(VALU_DEP_2) | instskip(NEXT) | instid1(VALU_DEP_2)
	v_lshlrev_b64 v[33:34], 2, v[33:34]
	v_lshlrev_b64 v[37:38], 2, v[35:36]
	s_delay_alu instid0(VALU_DEP_2) | instskip(NEXT) | instid1(VALU_DEP_3)
	v_add_co_u32 v35, vcc_lo, s8, v33
	v_add_co_ci_u32_e32 v36, vcc_lo, s9, v34, vcc_lo
	s_delay_alu instid0(VALU_DEP_3) | instskip(NEXT) | instid1(VALU_DEP_4)
	v_add_co_u32 v33, vcc_lo, s8, v37
	v_add_co_ci_u32_e32 v34, vcc_lo, s9, v38, vcc_lo
	s_clause 0x1
	global_load_b32 v37, v[35:36], off
	global_load_b32 v38, v[33:34], off
	s_waitcnt vmcnt(0)
	v_cmpx_eq_f32_e32 v37, v38
	s_cbranch_execz .LBB983_150
; %bb.144:
	v_add_co_u32 v33, vcc_lo, v33, 4
	v_add_co_ci_u32_e32 v34, vcc_lo, 0, v34, vcc_lo
	v_add_co_u32 v35, vcc_lo, v35, 4
	v_add_co_ci_u32_e32 v36, vcc_lo, 0, v36, vcc_lo
	s_add_u32 s6, s22, -1
	s_addc_u32 s7, s23, -1
	s_mov_b64 s[18:19], 0
	s_mov_b32 s30, 0
                                        ; implicit-def: $sgpr31
	s_set_inst_prefetch_distance 0x1
	s_branch .LBB983_147
	.p2align	6
.LBB983_145:                            ;   in Loop: Header=BB983_147 Depth=1
	global_load_b32 v37, v[35:36], off
	global_load_b32 v38, v[33:34], off
	v_add_co_u32 v33, vcc_lo, v33, 4
	v_add_co_ci_u32_e32 v34, vcc_lo, 0, v34, vcc_lo
	v_add_co_u32 v35, s2, v35, 4
	s_delay_alu instid0(VALU_DEP_1)
	v_add_co_ci_u32_e64 v36, s2, 0, v36, s2
	s_add_u32 s18, s18, 1
	s_addc_u32 s19, s19, 0
	s_and_not1_b32 s2, s31, exec_lo
	s_waitcnt vmcnt(0)
	v_cmp_neq_f32_e32 vcc_lo, v37, v38
	s_and_b32 s31, vcc_lo, exec_lo
	s_delay_alu instid0(SALU_CYCLE_1)
	s_or_b32 s31, s2, s31
.LBB983_146:                            ;   in Loop: Header=BB983_147 Depth=1
	v_dual_mov_b32 v38, s19 :: v_dual_mov_b32 v37, s18
	s_and_b32 s2, exec_lo, s31
	s_delay_alu instid0(SALU_CYCLE_1) | instskip(NEXT) | instid1(SALU_CYCLE_1)
	s_or_b32 s30, s2, s30
	s_and_not1_b32 exec_lo, exec_lo, s30
	s_cbranch_execz .LBB983_149
.LBB983_147:                            ; =>This Inner Loop Header: Depth=1
	s_or_b32 s31, s31, exec_lo
	s_cmp_eq_u64 s[6:7], s[18:19]
	s_cbranch_scc0 .LBB983_145
; %bb.148:                              ;   in Loop: Header=BB983_147 Depth=1
	s_mov_b64 s[18:19], s[22:23]
                                        ; implicit-def: $vgpr33_vgpr34
                                        ; implicit-def: $vgpr35_vgpr36
	s_branch .LBB983_146
.LBB983_149:
	s_set_inst_prefetch_distance 0x2
	s_or_b32 exec_lo, exec_lo, s30
	v_cmp_gt_i64_e32 vcc_lo, s[22:23], v[37:38]
	s_or_not1_b32 s2, vcc_lo, exec_lo
.LBB983_150:
	s_or_b32 exec_lo, exec_lo, s25
.LBB983_151:
	s_delay_alu instid0(SALU_CYCLE_1)
	s_and_b32 s25, s2, exec_lo
.LBB983_152:
	s_or_b32 exec_lo, exec_lo, s29
	v_or_b32_e32 v33, 4, v55
	s_mov_b32 s29, exec_lo
	s_delay_alu instid0(VALU_DEP_1)
	v_cmpx_gt_u32_e64 s28, v33
	s_cbranch_execz .LBB983_163
; %bb.153:
	v_cmp_ne_u32_e32 vcc_lo, 1, v41
	s_mov_b32 s2, 0
	s_cbranch_vccnz .LBB983_162
; %bb.154:
	v_mul_lo_u32 v37, v28, s22
	v_mul_lo_u32 v38, v27, s23
	v_mad_u64_u32 v[33:34], null, v27, s22, 0
	v_mul_lo_u32 v39, v22, s22
	v_mul_lo_u32 v40, v21, s23
	s_waitcnt lgkmcnt(0)
	v_mad_u64_u32 v[35:36], null, v21, s22, 0
	s_mov_b32 s2, -1
	s_mov_b32 s27, exec_lo
	s_delay_alu instid0(VALU_DEP_4) | instskip(NEXT) | instid1(VALU_DEP_2)
	v_add3_u32 v34, v34, v38, v37
	v_add3_u32 v36, v36, v40, v39
	s_delay_alu instid0(VALU_DEP_2) | instskip(NEXT) | instid1(VALU_DEP_2)
	v_lshlrev_b64 v[33:34], 2, v[33:34]
	v_lshlrev_b64 v[37:38], 2, v[35:36]
	s_delay_alu instid0(VALU_DEP_2) | instskip(NEXT) | instid1(VALU_DEP_3)
	v_add_co_u32 v35, vcc_lo, s8, v33
	v_add_co_ci_u32_e32 v36, vcc_lo, s9, v34, vcc_lo
	s_delay_alu instid0(VALU_DEP_3) | instskip(NEXT) | instid1(VALU_DEP_4)
	v_add_co_u32 v33, vcc_lo, s8, v37
	v_add_co_ci_u32_e32 v34, vcc_lo, s9, v38, vcc_lo
	s_clause 0x1
	global_load_b32 v37, v[35:36], off
	global_load_b32 v38, v[33:34], off
	s_waitcnt vmcnt(0)
	v_cmpx_eq_f32_e32 v37, v38
	s_cbranch_execz .LBB983_161
; %bb.155:
	v_add_co_u32 v33, vcc_lo, v33, 4
	v_add_co_ci_u32_e32 v34, vcc_lo, 0, v34, vcc_lo
	v_add_co_u32 v35, vcc_lo, v35, 4
	v_add_co_ci_u32_e32 v36, vcc_lo, 0, v36, vcc_lo
	s_add_u32 s6, s22, -1
	s_addc_u32 s7, s23, -1
	s_mov_b64 s[18:19], 0
	s_mov_b32 s30, 0
                                        ; implicit-def: $sgpr31
	s_set_inst_prefetch_distance 0x1
	s_branch .LBB983_158
	.p2align	6
.LBB983_156:                            ;   in Loop: Header=BB983_158 Depth=1
	global_load_b32 v37, v[35:36], off
	global_load_b32 v38, v[33:34], off
	v_add_co_u32 v33, vcc_lo, v33, 4
	v_add_co_ci_u32_e32 v34, vcc_lo, 0, v34, vcc_lo
	v_add_co_u32 v35, s2, v35, 4
	s_delay_alu instid0(VALU_DEP_1)
	v_add_co_ci_u32_e64 v36, s2, 0, v36, s2
	s_add_u32 s18, s18, 1
	s_addc_u32 s19, s19, 0
	s_and_not1_b32 s2, s31, exec_lo
	s_waitcnt vmcnt(0)
	v_cmp_neq_f32_e32 vcc_lo, v37, v38
	s_and_b32 s31, vcc_lo, exec_lo
	s_delay_alu instid0(SALU_CYCLE_1)
	s_or_b32 s31, s2, s31
.LBB983_157:                            ;   in Loop: Header=BB983_158 Depth=1
	v_dual_mov_b32 v38, s19 :: v_dual_mov_b32 v37, s18
	s_and_b32 s2, exec_lo, s31
	s_delay_alu instid0(SALU_CYCLE_1) | instskip(NEXT) | instid1(SALU_CYCLE_1)
	s_or_b32 s30, s2, s30
	s_and_not1_b32 exec_lo, exec_lo, s30
	s_cbranch_execz .LBB983_160
.LBB983_158:                            ; =>This Inner Loop Header: Depth=1
	s_or_b32 s31, s31, exec_lo
	s_cmp_eq_u64 s[6:7], s[18:19]
	s_cbranch_scc0 .LBB983_156
; %bb.159:                              ;   in Loop: Header=BB983_158 Depth=1
	s_mov_b64 s[18:19], s[22:23]
                                        ; implicit-def: $vgpr33_vgpr34
                                        ; implicit-def: $vgpr35_vgpr36
	s_branch .LBB983_157
.LBB983_160:
	s_set_inst_prefetch_distance 0x2
	s_or_b32 exec_lo, exec_lo, s30
	v_cmp_gt_i64_e32 vcc_lo, s[22:23], v[37:38]
	s_or_not1_b32 s2, vcc_lo, exec_lo
.LBB983_161:
	s_or_b32 exec_lo, exec_lo, s27
.LBB983_162:
	s_delay_alu instid0(SALU_CYCLE_1)
	s_and_b32 s27, s2, exec_lo
.LBB983_163:
	s_or_b32 exec_lo, exec_lo, s29
	v_or_b32_e32 v33, 3, v55
	s_mov_b32 s30, 0
	s_mov_b32 s29, 0
	s_mov_b32 s31, exec_lo
	s_delay_alu instid0(VALU_DEP_1)
	v_cmpx_gt_u32_e64 s28, v33
	s_cbranch_execz .LBB983_174
; %bb.164:
	v_cmp_ne_u32_e32 vcc_lo, 1, v41
	s_mov_b32 s2, 0
	s_cbranch_vccnz .LBB983_173
; %bb.165:
	v_mul_lo_u32 v37, v26, s22
	v_mul_lo_u32 v38, v25, s23
	v_mad_u64_u32 v[33:34], null, v25, s22, 0
	v_mul_lo_u32 v39, v28, s22
	v_mul_lo_u32 v40, v27, s23
	s_waitcnt lgkmcnt(0)
	v_mad_u64_u32 v[35:36], null, v27, s22, 0
	s_mov_b32 s2, -1
	s_mov_b32 s29, exec_lo
	s_delay_alu instid0(VALU_DEP_4) | instskip(NEXT) | instid1(VALU_DEP_2)
	v_add3_u32 v34, v34, v38, v37
	v_add3_u32 v36, v36, v40, v39
	s_delay_alu instid0(VALU_DEP_2) | instskip(NEXT) | instid1(VALU_DEP_2)
	v_lshlrev_b64 v[33:34], 2, v[33:34]
	v_lshlrev_b64 v[37:38], 2, v[35:36]
	s_delay_alu instid0(VALU_DEP_2) | instskip(NEXT) | instid1(VALU_DEP_3)
	v_add_co_u32 v35, vcc_lo, s8, v33
	v_add_co_ci_u32_e32 v36, vcc_lo, s9, v34, vcc_lo
	s_delay_alu instid0(VALU_DEP_3) | instskip(NEXT) | instid1(VALU_DEP_4)
	v_add_co_u32 v33, vcc_lo, s8, v37
	v_add_co_ci_u32_e32 v34, vcc_lo, s9, v38, vcc_lo
	s_clause 0x1
	global_load_b32 v37, v[35:36], off
	global_load_b32 v38, v[33:34], off
	s_waitcnt vmcnt(0)
	v_cmpx_eq_f32_e32 v37, v38
	s_cbranch_execz .LBB983_172
; %bb.166:
	v_add_co_u32 v33, vcc_lo, v33, 4
	v_add_co_ci_u32_e32 v34, vcc_lo, 0, v34, vcc_lo
	v_add_co_u32 v35, vcc_lo, v35, 4
	v_add_co_ci_u32_e32 v36, vcc_lo, 0, v36, vcc_lo
	s_add_u32 s6, s22, -1
	s_addc_u32 s7, s23, -1
	s_mov_b64 s[18:19], 0
	s_mov_b32 s33, 0
                                        ; implicit-def: $sgpr34
	s_set_inst_prefetch_distance 0x1
	s_branch .LBB983_169
	.p2align	6
.LBB983_167:                            ;   in Loop: Header=BB983_169 Depth=1
	global_load_b32 v37, v[35:36], off
	global_load_b32 v38, v[33:34], off
	v_add_co_u32 v33, vcc_lo, v33, 4
	v_add_co_ci_u32_e32 v34, vcc_lo, 0, v34, vcc_lo
	v_add_co_u32 v35, s2, v35, 4
	s_delay_alu instid0(VALU_DEP_1)
	v_add_co_ci_u32_e64 v36, s2, 0, v36, s2
	s_add_u32 s18, s18, 1
	s_addc_u32 s19, s19, 0
	s_and_not1_b32 s2, s34, exec_lo
	s_waitcnt vmcnt(0)
	v_cmp_neq_f32_e32 vcc_lo, v37, v38
	s_and_b32 s34, vcc_lo, exec_lo
	s_delay_alu instid0(SALU_CYCLE_1)
	s_or_b32 s34, s2, s34
.LBB983_168:                            ;   in Loop: Header=BB983_169 Depth=1
	v_dual_mov_b32 v38, s19 :: v_dual_mov_b32 v37, s18
	s_and_b32 s2, exec_lo, s34
	s_delay_alu instid0(SALU_CYCLE_1) | instskip(NEXT) | instid1(SALU_CYCLE_1)
	s_or_b32 s33, s2, s33
	s_and_not1_b32 exec_lo, exec_lo, s33
	s_cbranch_execz .LBB983_171
.LBB983_169:                            ; =>This Inner Loop Header: Depth=1
	s_or_b32 s34, s34, exec_lo
	s_cmp_eq_u64 s[6:7], s[18:19]
	s_cbranch_scc0 .LBB983_167
; %bb.170:                              ;   in Loop: Header=BB983_169 Depth=1
	s_mov_b64 s[18:19], s[22:23]
                                        ; implicit-def: $vgpr33_vgpr34
                                        ; implicit-def: $vgpr35_vgpr36
	s_branch .LBB983_168
.LBB983_171:
	s_set_inst_prefetch_distance 0x2
	s_or_b32 exec_lo, exec_lo, s33
	v_cmp_gt_i64_e32 vcc_lo, s[22:23], v[37:38]
	s_or_not1_b32 s2, vcc_lo, exec_lo
.LBB983_172:
	s_or_b32 exec_lo, exec_lo, s29
.LBB983_173:
	s_delay_alu instid0(SALU_CYCLE_1)
	s_and_b32 s29, s2, exec_lo
.LBB983_174:
	s_or_b32 exec_lo, exec_lo, s31
	v_or_b32_e32 v33, 2, v55
	s_mov_b32 s31, exec_lo
	s_delay_alu instid0(VALU_DEP_1)
	v_cmpx_gt_u32_e64 s28, v33
	s_cbranch_execz .LBB983_185
; %bb.175:
	v_cmp_ne_u32_e32 vcc_lo, 1, v41
	s_mov_b32 s2, 0
	s_cbranch_vccnz .LBB983_184
; %bb.176:
	v_mul_lo_u32 v37, v32, s22
	v_mul_lo_u32 v38, v31, s23
	v_mad_u64_u32 v[33:34], null, v31, s22, 0
	v_mul_lo_u32 v39, v26, s22
	v_mul_lo_u32 v40, v25, s23
	s_waitcnt lgkmcnt(0)
	v_mad_u64_u32 v[35:36], null, v25, s22, 0
	s_mov_b32 s2, -1
	s_mov_b32 s30, exec_lo
	s_delay_alu instid0(VALU_DEP_4) | instskip(NEXT) | instid1(VALU_DEP_2)
	v_add3_u32 v34, v34, v38, v37
	v_add3_u32 v36, v36, v40, v39
	s_delay_alu instid0(VALU_DEP_2) | instskip(NEXT) | instid1(VALU_DEP_2)
	v_lshlrev_b64 v[33:34], 2, v[33:34]
	v_lshlrev_b64 v[37:38], 2, v[35:36]
	s_delay_alu instid0(VALU_DEP_2) | instskip(NEXT) | instid1(VALU_DEP_3)
	v_add_co_u32 v35, vcc_lo, s8, v33
	v_add_co_ci_u32_e32 v36, vcc_lo, s9, v34, vcc_lo
	s_delay_alu instid0(VALU_DEP_3) | instskip(NEXT) | instid1(VALU_DEP_4)
	v_add_co_u32 v33, vcc_lo, s8, v37
	v_add_co_ci_u32_e32 v34, vcc_lo, s9, v38, vcc_lo
	s_clause 0x1
	global_load_b32 v37, v[35:36], off
	global_load_b32 v38, v[33:34], off
	s_waitcnt vmcnt(0)
	v_cmpx_eq_f32_e32 v37, v38
	s_cbranch_execz .LBB983_183
; %bb.177:
	v_add_co_u32 v33, vcc_lo, v33, 4
	v_add_co_ci_u32_e32 v34, vcc_lo, 0, v34, vcc_lo
	v_add_co_u32 v35, vcc_lo, v35, 4
	v_add_co_ci_u32_e32 v36, vcc_lo, 0, v36, vcc_lo
	s_add_u32 s6, s22, -1
	s_addc_u32 s7, s23, -1
	s_mov_b64 s[18:19], 0
	s_mov_b32 s33, 0
                                        ; implicit-def: $sgpr34
	s_set_inst_prefetch_distance 0x1
	s_branch .LBB983_180
	.p2align	6
.LBB983_178:                            ;   in Loop: Header=BB983_180 Depth=1
	global_load_b32 v37, v[35:36], off
	global_load_b32 v38, v[33:34], off
	v_add_co_u32 v33, vcc_lo, v33, 4
	v_add_co_ci_u32_e32 v34, vcc_lo, 0, v34, vcc_lo
	v_add_co_u32 v35, s2, v35, 4
	s_delay_alu instid0(VALU_DEP_1)
	v_add_co_ci_u32_e64 v36, s2, 0, v36, s2
	s_add_u32 s18, s18, 1
	s_addc_u32 s19, s19, 0
	s_and_not1_b32 s2, s34, exec_lo
	s_waitcnt vmcnt(0)
	v_cmp_neq_f32_e32 vcc_lo, v37, v38
	s_and_b32 s34, vcc_lo, exec_lo
	s_delay_alu instid0(SALU_CYCLE_1)
	s_or_b32 s34, s2, s34
.LBB983_179:                            ;   in Loop: Header=BB983_180 Depth=1
	v_dual_mov_b32 v38, s19 :: v_dual_mov_b32 v37, s18
	s_and_b32 s2, exec_lo, s34
	s_delay_alu instid0(SALU_CYCLE_1) | instskip(NEXT) | instid1(SALU_CYCLE_1)
	s_or_b32 s33, s2, s33
	s_and_not1_b32 exec_lo, exec_lo, s33
	s_cbranch_execz .LBB983_182
.LBB983_180:                            ; =>This Inner Loop Header: Depth=1
	s_or_b32 s34, s34, exec_lo
	s_cmp_eq_u64 s[6:7], s[18:19]
	s_cbranch_scc0 .LBB983_178
; %bb.181:                              ;   in Loop: Header=BB983_180 Depth=1
	s_mov_b64 s[18:19], s[22:23]
                                        ; implicit-def: $vgpr33_vgpr34
                                        ; implicit-def: $vgpr35_vgpr36
	s_branch .LBB983_179
.LBB983_182:
	s_set_inst_prefetch_distance 0x2
	s_or_b32 exec_lo, exec_lo, s33
	v_cmp_gt_i64_e32 vcc_lo, s[22:23], v[37:38]
	s_or_not1_b32 s2, vcc_lo, exec_lo
.LBB983_183:
	s_or_b32 exec_lo, exec_lo, s30
.LBB983_184:
	s_delay_alu instid0(SALU_CYCLE_1)
	s_and_b32 s30, s2, exec_lo
.LBB983_185:
	s_or_b32 exec_lo, exec_lo, s31
	v_or_b32_e32 v33, 1, v55
	s_mov_b32 s2, 0
	s_mov_b32 s31, exec_lo
	s_delay_alu instid0(VALU_DEP_1)
	v_cmpx_gt_u32_e64 s28, v33
	s_cbranch_execz .LBB983_196
; %bb.186:
	v_cmp_ne_u32_e32 vcc_lo, 1, v41
	s_cbranch_vccnz .LBB983_195
; %bb.187:
	v_mul_lo_u32 v37, v30, s22
	v_mul_lo_u32 v38, v29, s23
	v_mad_u64_u32 v[33:34], null, v29, s22, 0
	v_mul_lo_u32 v39, v32, s22
	v_mul_lo_u32 v40, v31, s23
	s_waitcnt lgkmcnt(0)
	v_mad_u64_u32 v[35:36], null, v31, s22, 0
	s_mov_b32 s2, -1
	s_mov_b32 s33, exec_lo
	s_delay_alu instid0(VALU_DEP_4) | instskip(NEXT) | instid1(VALU_DEP_2)
	v_add3_u32 v34, v34, v38, v37
	v_add3_u32 v36, v36, v40, v39
	s_delay_alu instid0(VALU_DEP_2) | instskip(NEXT) | instid1(VALU_DEP_2)
	v_lshlrev_b64 v[33:34], 2, v[33:34]
	v_lshlrev_b64 v[37:38], 2, v[35:36]
	s_delay_alu instid0(VALU_DEP_2) | instskip(NEXT) | instid1(VALU_DEP_3)
	v_add_co_u32 v35, vcc_lo, s8, v33
	v_add_co_ci_u32_e32 v36, vcc_lo, s9, v34, vcc_lo
	s_delay_alu instid0(VALU_DEP_3) | instskip(NEXT) | instid1(VALU_DEP_4)
	v_add_co_u32 v33, vcc_lo, s8, v37
	v_add_co_ci_u32_e32 v34, vcc_lo, s9, v38, vcc_lo
	s_clause 0x1
	global_load_b32 v37, v[35:36], off
	global_load_b32 v38, v[33:34], off
	s_waitcnt vmcnt(0)
	v_cmpx_eq_f32_e32 v37, v38
	s_cbranch_execz .LBB983_194
; %bb.188:
	v_add_co_u32 v33, vcc_lo, v33, 4
	v_add_co_ci_u32_e32 v34, vcc_lo, 0, v34, vcc_lo
	v_add_co_u32 v35, vcc_lo, v35, 4
	v_add_co_ci_u32_e32 v36, vcc_lo, 0, v36, vcc_lo
	s_add_u32 s6, s22, -1
	s_addc_u32 s7, s23, -1
	s_mov_b64 s[18:19], 0
	s_mov_b32 s34, 0
                                        ; implicit-def: $sgpr35
	s_set_inst_prefetch_distance 0x1
	s_branch .LBB983_191
	.p2align	6
.LBB983_189:                            ;   in Loop: Header=BB983_191 Depth=1
	global_load_b32 v37, v[35:36], off
	global_load_b32 v38, v[33:34], off
	v_add_co_u32 v33, vcc_lo, v33, 4
	v_add_co_ci_u32_e32 v34, vcc_lo, 0, v34, vcc_lo
	v_add_co_u32 v35, s2, v35, 4
	s_delay_alu instid0(VALU_DEP_1)
	v_add_co_ci_u32_e64 v36, s2, 0, v36, s2
	s_add_u32 s18, s18, 1
	s_addc_u32 s19, s19, 0
	s_and_not1_b32 s2, s35, exec_lo
	s_waitcnt vmcnt(0)
	v_cmp_neq_f32_e32 vcc_lo, v37, v38
	s_and_b32 s35, vcc_lo, exec_lo
	s_delay_alu instid0(SALU_CYCLE_1)
	s_or_b32 s35, s2, s35
.LBB983_190:                            ;   in Loop: Header=BB983_191 Depth=1
	v_dual_mov_b32 v38, s19 :: v_dual_mov_b32 v37, s18
	s_and_b32 s2, exec_lo, s35
	s_delay_alu instid0(SALU_CYCLE_1) | instskip(NEXT) | instid1(SALU_CYCLE_1)
	s_or_b32 s34, s2, s34
	s_and_not1_b32 exec_lo, exec_lo, s34
	s_cbranch_execz .LBB983_193
.LBB983_191:                            ; =>This Inner Loop Header: Depth=1
	s_or_b32 s35, s35, exec_lo
	s_cmp_eq_u64 s[6:7], s[18:19]
	s_cbranch_scc0 .LBB983_189
; %bb.192:                              ;   in Loop: Header=BB983_191 Depth=1
	s_mov_b64 s[18:19], s[22:23]
                                        ; implicit-def: $vgpr33_vgpr34
                                        ; implicit-def: $vgpr35_vgpr36
	s_branch .LBB983_190
.LBB983_193:
	s_set_inst_prefetch_distance 0x2
	s_or_b32 exec_lo, exec_lo, s34
	v_cmp_gt_i64_e32 vcc_lo, s[22:23], v[37:38]
	s_or_not1_b32 s2, vcc_lo, exec_lo
.LBB983_194:
	s_or_b32 exec_lo, exec_lo, s33
.LBB983_195:
	s_delay_alu instid0(SALU_CYCLE_1)
	s_and_b32 s2, s2, exec_lo
.LBB983_196:
	s_or_b32 exec_lo, exec_lo, s31
	s_waitcnt lgkmcnt(0)
	v_dual_mov_b32 v34, s5 :: v_dual_mov_b32 v33, s4
	s_mov_b32 s4, exec_lo
	s_barrier
	buffer_gl0_inv
	v_cmpx_ne_u32_e32 0, v0
	s_cbranch_execz .LBB983_198
; %bb.197:
	v_add_nc_u32_e32 v33, -8, v55
	ds_load_b64 v[33:34], v33
.LBB983_198:
	s_or_b32 exec_lo, exec_lo, s4
	v_cndmask_b32_e64 v36, 0, 1, s29
	v_cndmask_b32_e64 v38, 0, 1, s25
	;; [unrolled: 1-line block ×7, first 2 shown]
	v_lshlrev_b16 v36, 8, v36
	v_lshlrev_b16 v38, 8, v38
	;; [unrolled: 1-line block ×3, first 2 shown]
	s_mov_b32 s2, 0
	v_lshlrev_b16 v42, 8, v42
	v_or_b32_e32 v35, v35, v36
	v_or_b32_e32 v36, v37, v38
	;; [unrolled: 1-line block ×3, first 2 shown]
	s_mov_b32 s3, exec_lo
	v_and_b32_e32 v39, 0xffff, v42
	v_lshlrev_b32_e32 v40, 16, v35
	v_and_b32_e32 v42, 0xffff, v36
	v_lshlrev_b32_e32 v43, 16, v37
	v_cmpx_gt_u32_e64 s28, v55
	s_cbranch_execz .LBB983_209
; %bb.199:
	v_cmp_ne_u32_e32 vcc_lo, 1, v41
	s_cbranch_vccnz .LBB983_208
; %bb.200:
	s_waitcnt lgkmcnt(0)
	v_mul_lo_u32 v38, v34, s22
	v_mul_lo_u32 v41, v33, s23
	v_mad_u64_u32 v[34:35], null, v33, s22, 0
	v_mul_lo_u32 v33, v30, s22
	v_mul_lo_u32 v44, v29, s23
	v_mad_u64_u32 v[36:37], null, v29, s22, 0
	s_mov_b32 s2, -1
	s_mov_b32 s18, exec_lo
	s_delay_alu instid0(VALU_DEP_4) | instskip(NEXT) | instid1(VALU_DEP_2)
	v_add3_u32 v35, v35, v41, v38
	v_add3_u32 v37, v37, v44, v33
	s_delay_alu instid0(VALU_DEP_2) | instskip(NEXT) | instid1(VALU_DEP_2)
	v_lshlrev_b64 v[33:34], 2, v[34:35]
	v_lshlrev_b64 v[37:38], 2, v[36:37]
	s_delay_alu instid0(VALU_DEP_2) | instskip(NEXT) | instid1(VALU_DEP_3)
	v_add_co_u32 v35, vcc_lo, s8, v33
	v_add_co_ci_u32_e32 v36, vcc_lo, s9, v34, vcc_lo
	s_delay_alu instid0(VALU_DEP_3) | instskip(NEXT) | instid1(VALU_DEP_4)
	v_add_co_u32 v33, vcc_lo, s8, v37
	v_add_co_ci_u32_e32 v34, vcc_lo, s9, v38, vcc_lo
	s_clause 0x1
	global_load_b32 v37, v[35:36], off
	global_load_b32 v38, v[33:34], off
	s_waitcnt vmcnt(0)
	v_cmpx_eq_f32_e32 v37, v38
	s_cbranch_execz .LBB983_207
; %bb.201:
	v_add_co_u32 v33, vcc_lo, v33, 4
	v_add_co_ci_u32_e32 v34, vcc_lo, 0, v34, vcc_lo
	v_add_co_u32 v35, vcc_lo, v35, 4
	v_add_co_ci_u32_e32 v36, vcc_lo, 0, v36, vcc_lo
	s_add_u32 s4, s22, -1
	s_addc_u32 s5, s23, -1
	s_mov_b64 s[6:7], 0
	s_mov_b32 s19, 0
                                        ; implicit-def: $sgpr25
	s_set_inst_prefetch_distance 0x1
	s_branch .LBB983_204
	.p2align	6
.LBB983_202:                            ;   in Loop: Header=BB983_204 Depth=1
	global_load_b32 v37, v[35:36], off
	global_load_b32 v38, v[33:34], off
	v_add_co_u32 v33, vcc_lo, v33, 4
	v_add_co_ci_u32_e32 v34, vcc_lo, 0, v34, vcc_lo
	v_add_co_u32 v35, s2, v35, 4
	s_delay_alu instid0(VALU_DEP_1)
	v_add_co_ci_u32_e64 v36, s2, 0, v36, s2
	s_add_u32 s6, s6, 1
	s_addc_u32 s7, s7, 0
	s_and_not1_b32 s2, s25, exec_lo
	s_waitcnt vmcnt(0)
	v_cmp_neq_f32_e32 vcc_lo, v37, v38
	s_and_b32 s25, vcc_lo, exec_lo
	s_delay_alu instid0(SALU_CYCLE_1)
	s_or_b32 s25, s2, s25
.LBB983_203:                            ;   in Loop: Header=BB983_204 Depth=1
	v_dual_mov_b32 v38, s7 :: v_dual_mov_b32 v37, s6
	s_and_b32 s2, exec_lo, s25
	s_delay_alu instid0(SALU_CYCLE_1) | instskip(NEXT) | instid1(SALU_CYCLE_1)
	s_or_b32 s19, s2, s19
	s_and_not1_b32 exec_lo, exec_lo, s19
	s_cbranch_execz .LBB983_206
.LBB983_204:                            ; =>This Inner Loop Header: Depth=1
	s_or_b32 s25, s25, exec_lo
	s_cmp_eq_u64 s[4:5], s[6:7]
	s_cbranch_scc0 .LBB983_202
; %bb.205:                              ;   in Loop: Header=BB983_204 Depth=1
	s_mov_b64 s[6:7], s[22:23]
                                        ; implicit-def: $vgpr33_vgpr34
                                        ; implicit-def: $vgpr35_vgpr36
	s_branch .LBB983_203
.LBB983_206:
	s_set_inst_prefetch_distance 0x2
	s_or_b32 exec_lo, exec_lo, s19
	v_cmp_gt_i64_e32 vcc_lo, s[22:23], v[37:38]
	s_or_not1_b32 s2, vcc_lo, exec_lo
.LBB983_207:
	s_or_b32 exec_lo, exec_lo, s18
.LBB983_208:
	s_delay_alu instid0(SALU_CYCLE_1)
	s_and_b32 s2, s2, exec_lo
.LBB983_209:
	s_or_b32 exec_lo, exec_lo, s3
	s_waitcnt lgkmcnt(0)
	v_or_b32_e32 v33, v39, v40
	v_or_b32_e32 v34, v42, v43
.LBB983_210:
	s_waitcnt lgkmcnt(0)
	s_mov_b32 s3, -1
	s_cbranch_execnz .LBB983_379
.LBB983_211:
	v_cmp_gt_i64_e64 s18, s[22:23], 0
	s_and_b32 vcc_lo, exec_lo, s20
	ds_store_b64 v55, v[19:20]
	s_cbranch_vccz .LBB983_219
; %bb.212:
	v_mul_lo_u32 v35, v18, s22
	v_mul_lo_u32 v36, v17, s23
	v_mad_u64_u32 v[33:34], null, v17, s22, 0
	s_mov_b32 s19, 0
	s_and_not1_b32 vcc_lo, exec_lo, s18
	s_mov_b32 s25, 0
	s_delay_alu instid0(VALU_DEP_1) | instskip(NEXT) | instid1(VALU_DEP_1)
	v_add3_u32 v34, v34, v36, v35
	v_lshlrev_b64 v[33:34], 2, v[33:34]
	s_cbranch_vccnz .LBB983_222
; %bb.213:
	v_mul_lo_u32 v37, v20, s22
	v_mul_lo_u32 v38, v19, s23
	v_mad_u64_u32 v[35:36], null, v19, s22, 0
	s_mov_b32 s25, -1
	s_mov_b32 s26, exec_lo
	s_delay_alu instid0(VALU_DEP_1) | instskip(SKIP_2) | instid1(VALU_DEP_3)
	v_add3_u32 v36, v36, v38, v37
	v_add_co_u32 v37, vcc_lo, s8, v33
	v_add_co_ci_u32_e32 v38, vcc_lo, s9, v34, vcc_lo
	v_lshlrev_b64 v[35:36], 2, v[35:36]
	s_delay_alu instid0(VALU_DEP_1) | instskip(NEXT) | instid1(VALU_DEP_2)
	v_add_co_u32 v35, vcc_lo, s8, v35
	v_add_co_ci_u32_e32 v36, vcc_lo, s9, v36, vcc_lo
	s_clause 0x1
	global_load_b32 v39, v[37:38], off
	global_load_b32 v40, v[35:36], off
	s_waitcnt vmcnt(0)
	v_cmpx_eq_f32_e32 v39, v40
	s_cbranch_execz .LBB983_221
; %bb.214:
	v_add_co_u32 v35, vcc_lo, v35, 4
	v_add_co_ci_u32_e32 v36, vcc_lo, 0, v36, vcc_lo
	v_add_co_u32 v37, vcc_lo, v37, 4
	v_add_co_ci_u32_e32 v38, vcc_lo, 0, v38, vcc_lo
	s_add_u32 s4, s22, -1
	s_addc_u32 s5, s23, -1
	s_mov_b64 s[6:7], 0
	s_mov_b32 s25, 0
                                        ; implicit-def: $sgpr27
	s_set_inst_prefetch_distance 0x1
	s_branch .LBB983_217
	.p2align	6
.LBB983_215:                            ;   in Loop: Header=BB983_217 Depth=1
	global_load_b32 v39, v[37:38], off
	global_load_b32 v40, v[35:36], off
	v_add_co_u32 v35, vcc_lo, v35, 4
	v_add_co_ci_u32_e32 v36, vcc_lo, 0, v36, vcc_lo
	v_add_co_u32 v37, s2, v37, 4
	s_delay_alu instid0(VALU_DEP_1)
	v_add_co_ci_u32_e64 v38, s2, 0, v38, s2
	s_add_u32 s6, s6, 1
	s_addc_u32 s7, s7, 0
	s_and_not1_b32 s2, s27, exec_lo
	s_waitcnt vmcnt(0)
	v_cmp_neq_f32_e32 vcc_lo, v39, v40
	s_and_b32 s27, vcc_lo, exec_lo
	s_delay_alu instid0(SALU_CYCLE_1)
	s_or_b32 s27, s2, s27
.LBB983_216:                            ;   in Loop: Header=BB983_217 Depth=1
	v_dual_mov_b32 v40, s7 :: v_dual_mov_b32 v39, s6
	s_and_b32 s2, exec_lo, s27
	s_delay_alu instid0(SALU_CYCLE_1) | instskip(NEXT) | instid1(SALU_CYCLE_1)
	s_or_b32 s25, s2, s25
	s_and_not1_b32 exec_lo, exec_lo, s25
	s_cbranch_execz .LBB983_220
.LBB983_217:                            ; =>This Inner Loop Header: Depth=1
	s_or_b32 s27, s27, exec_lo
	s_cmp_eq_u64 s[4:5], s[6:7]
	s_cbranch_scc0 .LBB983_215
; %bb.218:                              ;   in Loop: Header=BB983_217 Depth=1
	s_mov_b64 s[6:7], s[22:23]
                                        ; implicit-def: $vgpr35_vgpr36
                                        ; implicit-def: $vgpr37_vgpr38
	s_branch .LBB983_216
.LBB983_219:
                                        ; implicit-def: $sgpr2
                                        ; implicit-def: $vgpr34
	s_cbranch_execnz .LBB983_288
	s_branch .LBB983_379
.LBB983_220:
	s_set_inst_prefetch_distance 0x2
	s_or_b32 exec_lo, exec_lo, s25
	v_cmp_gt_i64_e32 vcc_lo, s[22:23], v[39:40]
	s_or_not1_b32 s25, vcc_lo, exec_lo
.LBB983_221:
	s_or_b32 exec_lo, exec_lo, s26
.LBB983_222:
	v_mul_lo_u32 v37, v24, s22
	v_mul_lo_u32 v38, v23, s23
	v_mad_u64_u32 v[35:36], null, v23, s22, 0
	s_and_not1_b32 vcc_lo, exec_lo, s18
	s_delay_alu instid0(VALU_DEP_1) | instskip(NEXT) | instid1(VALU_DEP_1)
	v_add3_u32 v36, v36, v38, v37
	v_lshlrev_b64 v[35:36], 2, v[35:36]
	s_cbranch_vccnz .LBB983_231
; %bb.223:
	s_delay_alu instid0(VALU_DEP_1) | instskip(NEXT) | instid1(VALU_DEP_2)
	v_add_co_u32 v37, vcc_lo, s8, v35
	v_add_co_ci_u32_e32 v38, vcc_lo, s9, v36, vcc_lo
	v_add_co_u32 v33, vcc_lo, s8, v33
	v_add_co_ci_u32_e32 v34, vcc_lo, s9, v34, vcc_lo
	s_mov_b32 s19, -1
	s_clause 0x1
	global_load_b32 v39, v[37:38], off
	global_load_b32 v40, v[33:34], off
	s_mov_b32 s26, exec_lo
	s_waitcnt vmcnt(0)
	v_cmpx_eq_f32_e32 v39, v40
	s_cbranch_execz .LBB983_230
; %bb.224:
	v_add_co_u32 v33, vcc_lo, v33, 4
	v_add_co_ci_u32_e32 v34, vcc_lo, 0, v34, vcc_lo
	v_add_co_u32 v37, vcc_lo, v37, 4
	v_add_co_ci_u32_e32 v38, vcc_lo, 0, v38, vcc_lo
	s_add_u32 s4, s22, -1
	s_addc_u32 s5, s23, -1
	s_mov_b64 s[6:7], 0
	s_mov_b32 s19, 0
                                        ; implicit-def: $sgpr27
	s_set_inst_prefetch_distance 0x1
	s_branch .LBB983_227
	.p2align	6
.LBB983_225:                            ;   in Loop: Header=BB983_227 Depth=1
	global_load_b32 v39, v[37:38], off
	global_load_b32 v40, v[33:34], off
	v_add_co_u32 v33, vcc_lo, v33, 4
	v_add_co_ci_u32_e32 v34, vcc_lo, 0, v34, vcc_lo
	v_add_co_u32 v37, s2, v37, 4
	s_delay_alu instid0(VALU_DEP_1)
	v_add_co_ci_u32_e64 v38, s2, 0, v38, s2
	s_add_u32 s6, s6, 1
	s_addc_u32 s7, s7, 0
	s_and_not1_b32 s2, s27, exec_lo
	s_waitcnt vmcnt(0)
	v_cmp_neq_f32_e32 vcc_lo, v39, v40
	s_and_b32 s27, vcc_lo, exec_lo
	s_delay_alu instid0(SALU_CYCLE_1)
	s_or_b32 s27, s2, s27
.LBB983_226:                            ;   in Loop: Header=BB983_227 Depth=1
	v_dual_mov_b32 v40, s7 :: v_dual_mov_b32 v39, s6
	s_and_b32 s2, exec_lo, s27
	s_delay_alu instid0(SALU_CYCLE_1) | instskip(NEXT) | instid1(SALU_CYCLE_1)
	s_or_b32 s19, s2, s19
	s_and_not1_b32 exec_lo, exec_lo, s19
	s_cbranch_execz .LBB983_229
.LBB983_227:                            ; =>This Inner Loop Header: Depth=1
	s_or_b32 s27, s27, exec_lo
	s_cmp_eq_u64 s[4:5], s[6:7]
	s_cbranch_scc0 .LBB983_225
; %bb.228:                              ;   in Loop: Header=BB983_227 Depth=1
	s_mov_b64 s[6:7], s[22:23]
                                        ; implicit-def: $vgpr33_vgpr34
                                        ; implicit-def: $vgpr37_vgpr38
	s_branch .LBB983_226
.LBB983_229:
	s_set_inst_prefetch_distance 0x2
	s_or_b32 exec_lo, exec_lo, s19
	v_cmp_gt_i64_e32 vcc_lo, s[22:23], v[39:40]
	s_or_not1_b32 s19, vcc_lo, exec_lo
.LBB983_230:
	s_or_b32 exec_lo, exec_lo, s26
.LBB983_231:
	v_mul_lo_u32 v37, v22, s22
	v_mul_lo_u32 v38, v21, s23
	v_mad_u64_u32 v[33:34], null, v21, s22, 0
	s_mov_b32 s26, 0
	s_and_not1_b32 vcc_lo, exec_lo, s18
	s_mov_b32 s27, 0
	s_delay_alu instid0(VALU_DEP_1) | instskip(NEXT) | instid1(VALU_DEP_1)
	v_add3_u32 v34, v34, v38, v37
	v_lshlrev_b64 v[37:38], 2, v[33:34]
	s_cbranch_vccnz .LBB983_240
; %bb.232:
	s_delay_alu instid0(VALU_DEP_1) | instskip(NEXT) | instid1(VALU_DEP_2)
	v_add_co_u32 v39, vcc_lo, s8, v37
	v_add_co_ci_u32_e32 v40, vcc_lo, s9, v38, vcc_lo
	v_add_co_u32 v33, vcc_lo, s8, v35
	v_add_co_ci_u32_e32 v34, vcc_lo, s9, v36, vcc_lo
	s_mov_b32 s27, -1
	s_clause 0x1
	global_load_b32 v35, v[39:40], off
	global_load_b32 v36, v[33:34], off
	s_mov_b32 s29, exec_lo
	s_waitcnt vmcnt(0)
	v_cmpx_eq_f32_e32 v35, v36
	s_cbranch_execz .LBB983_239
; %bb.233:
	v_add_co_u32 v33, vcc_lo, v33, 4
	v_add_co_ci_u32_e32 v34, vcc_lo, 0, v34, vcc_lo
	v_add_co_u32 v35, vcc_lo, v39, 4
	v_add_co_ci_u32_e32 v36, vcc_lo, 0, v40, vcc_lo
	s_add_u32 s4, s22, -1
	s_addc_u32 s5, s23, -1
	s_mov_b64 s[6:7], 0
	s_mov_b32 s27, 0
                                        ; implicit-def: $sgpr30
	s_set_inst_prefetch_distance 0x1
	s_branch .LBB983_236
	.p2align	6
.LBB983_234:                            ;   in Loop: Header=BB983_236 Depth=1
	global_load_b32 v39, v[35:36], off
	global_load_b32 v40, v[33:34], off
	v_add_co_u32 v33, vcc_lo, v33, 4
	v_add_co_ci_u32_e32 v34, vcc_lo, 0, v34, vcc_lo
	v_add_co_u32 v35, s2, v35, 4
	s_delay_alu instid0(VALU_DEP_1)
	v_add_co_ci_u32_e64 v36, s2, 0, v36, s2
	s_add_u32 s6, s6, 1
	s_addc_u32 s7, s7, 0
	s_and_not1_b32 s2, s30, exec_lo
	s_waitcnt vmcnt(0)
	v_cmp_neq_f32_e32 vcc_lo, v39, v40
	s_and_b32 s30, vcc_lo, exec_lo
	s_delay_alu instid0(SALU_CYCLE_1)
	s_or_b32 s30, s2, s30
.LBB983_235:                            ;   in Loop: Header=BB983_236 Depth=1
	v_dual_mov_b32 v40, s7 :: v_dual_mov_b32 v39, s6
	s_and_b32 s2, exec_lo, s30
	s_delay_alu instid0(SALU_CYCLE_1) | instskip(NEXT) | instid1(SALU_CYCLE_1)
	s_or_b32 s27, s2, s27
	s_and_not1_b32 exec_lo, exec_lo, s27
	s_cbranch_execz .LBB983_238
.LBB983_236:                            ; =>This Inner Loop Header: Depth=1
	s_or_b32 s30, s30, exec_lo
	s_cmp_eq_u64 s[4:5], s[6:7]
	s_cbranch_scc0 .LBB983_234
; %bb.237:                              ;   in Loop: Header=BB983_236 Depth=1
	s_mov_b64 s[6:7], s[22:23]
                                        ; implicit-def: $vgpr33_vgpr34
                                        ; implicit-def: $vgpr35_vgpr36
	s_branch .LBB983_235
.LBB983_238:
	s_set_inst_prefetch_distance 0x2
	s_or_b32 exec_lo, exec_lo, s27
	v_cmp_gt_i64_e32 vcc_lo, s[22:23], v[39:40]
	s_or_not1_b32 s27, vcc_lo, exec_lo
.LBB983_239:
	s_or_b32 exec_lo, exec_lo, s29
.LBB983_240:
	v_mul_lo_u32 v35, v28, s22
	v_mul_lo_u32 v36, v27, s23
	v_mad_u64_u32 v[33:34], null, v27, s22, 0
	s_and_not1_b32 vcc_lo, exec_lo, s18
	s_delay_alu instid0(VALU_DEP_1) | instskip(NEXT) | instid1(VALU_DEP_1)
	v_add3_u32 v34, v34, v36, v35
	v_lshlrev_b64 v[33:34], 2, v[33:34]
	s_cbranch_vccnz .LBB983_249
; %bb.241:
	s_delay_alu instid0(VALU_DEP_1) | instskip(NEXT) | instid1(VALU_DEP_2)
	v_add_co_u32 v39, vcc_lo, s8, v33
	v_add_co_ci_u32_e32 v40, vcc_lo, s9, v34, vcc_lo
	v_add_co_u32 v35, vcc_lo, s8, v37
	v_add_co_ci_u32_e32 v36, vcc_lo, s9, v38, vcc_lo
	s_mov_b32 s26, -1
	s_clause 0x1
	global_load_b32 v37, v[39:40], off
	global_load_b32 v38, v[35:36], off
	s_mov_b32 s29, exec_lo
	s_waitcnt vmcnt(0)
	v_cmpx_eq_f32_e32 v37, v38
	s_cbranch_execz .LBB983_248
; %bb.242:
	v_add_co_u32 v35, vcc_lo, v35, 4
	v_add_co_ci_u32_e32 v36, vcc_lo, 0, v36, vcc_lo
	v_add_co_u32 v37, vcc_lo, v39, 4
	v_add_co_ci_u32_e32 v38, vcc_lo, 0, v40, vcc_lo
	s_add_u32 s4, s22, -1
	s_addc_u32 s5, s23, -1
	s_mov_b64 s[6:7], 0
	s_mov_b32 s26, 0
                                        ; implicit-def: $sgpr30
	s_set_inst_prefetch_distance 0x1
	s_branch .LBB983_245
	.p2align	6
.LBB983_243:                            ;   in Loop: Header=BB983_245 Depth=1
	global_load_b32 v39, v[37:38], off
	global_load_b32 v40, v[35:36], off
	v_add_co_u32 v35, vcc_lo, v35, 4
	v_add_co_ci_u32_e32 v36, vcc_lo, 0, v36, vcc_lo
	v_add_co_u32 v37, s2, v37, 4
	s_delay_alu instid0(VALU_DEP_1)
	v_add_co_ci_u32_e64 v38, s2, 0, v38, s2
	s_add_u32 s6, s6, 1
	s_addc_u32 s7, s7, 0
	s_and_not1_b32 s2, s30, exec_lo
	s_waitcnt vmcnt(0)
	v_cmp_neq_f32_e32 vcc_lo, v39, v40
	s_and_b32 s30, vcc_lo, exec_lo
	s_delay_alu instid0(SALU_CYCLE_1)
	s_or_b32 s30, s2, s30
.LBB983_244:                            ;   in Loop: Header=BB983_245 Depth=1
	v_dual_mov_b32 v40, s7 :: v_dual_mov_b32 v39, s6
	s_and_b32 s2, exec_lo, s30
	s_delay_alu instid0(SALU_CYCLE_1) | instskip(NEXT) | instid1(SALU_CYCLE_1)
	s_or_b32 s26, s2, s26
	s_and_not1_b32 exec_lo, exec_lo, s26
	s_cbranch_execz .LBB983_247
.LBB983_245:                            ; =>This Inner Loop Header: Depth=1
	s_or_b32 s30, s30, exec_lo
	s_cmp_eq_u64 s[4:5], s[6:7]
	s_cbranch_scc0 .LBB983_243
; %bb.246:                              ;   in Loop: Header=BB983_245 Depth=1
	s_mov_b64 s[6:7], s[22:23]
                                        ; implicit-def: $vgpr35_vgpr36
                                        ; implicit-def: $vgpr37_vgpr38
	s_branch .LBB983_244
.LBB983_247:
	s_set_inst_prefetch_distance 0x2
	s_or_b32 exec_lo, exec_lo, s26
	v_cmp_gt_i64_e32 vcc_lo, s[22:23], v[39:40]
	s_or_not1_b32 s26, vcc_lo, exec_lo
.LBB983_248:
	s_or_b32 exec_lo, exec_lo, s29
.LBB983_249:
	v_mul_lo_u32 v37, v26, s22
	v_mul_lo_u32 v38, v25, s23
	v_mad_u64_u32 v[35:36], null, v25, s22, 0
	s_mov_b32 s29, 0
	s_and_not1_b32 vcc_lo, exec_lo, s18
	s_mov_b32 s30, 0
	s_delay_alu instid0(VALU_DEP_1) | instskip(NEXT) | instid1(VALU_DEP_1)
	v_add3_u32 v36, v36, v38, v37
	v_lshlrev_b64 v[35:36], 2, v[35:36]
	s_cbranch_vccnz .LBB983_258
; %bb.250:
	s_delay_alu instid0(VALU_DEP_1) | instskip(NEXT) | instid1(VALU_DEP_2)
	v_add_co_u32 v37, vcc_lo, s8, v35
	v_add_co_ci_u32_e32 v38, vcc_lo, s9, v36, vcc_lo
	v_add_co_u32 v33, vcc_lo, s8, v33
	v_add_co_ci_u32_e32 v34, vcc_lo, s9, v34, vcc_lo
	s_mov_b32 s30, -1
	s_clause 0x1
	global_load_b32 v39, v[37:38], off
	global_load_b32 v40, v[33:34], off
	s_mov_b32 s31, exec_lo
	s_waitcnt vmcnt(0)
	v_cmpx_eq_f32_e32 v39, v40
	s_cbranch_execz .LBB983_257
; %bb.251:
	v_add_co_u32 v33, vcc_lo, v33, 4
	v_add_co_ci_u32_e32 v34, vcc_lo, 0, v34, vcc_lo
	v_add_co_u32 v37, vcc_lo, v37, 4
	v_add_co_ci_u32_e32 v38, vcc_lo, 0, v38, vcc_lo
	s_add_u32 s4, s22, -1
	s_addc_u32 s5, s23, -1
	s_mov_b64 s[6:7], 0
	s_mov_b32 s30, 0
                                        ; implicit-def: $sgpr33
	s_set_inst_prefetch_distance 0x1
	s_branch .LBB983_254
	.p2align	6
.LBB983_252:                            ;   in Loop: Header=BB983_254 Depth=1
	global_load_b32 v39, v[37:38], off
	global_load_b32 v40, v[33:34], off
	v_add_co_u32 v33, vcc_lo, v33, 4
	v_add_co_ci_u32_e32 v34, vcc_lo, 0, v34, vcc_lo
	v_add_co_u32 v37, s2, v37, 4
	s_delay_alu instid0(VALU_DEP_1)
	v_add_co_ci_u32_e64 v38, s2, 0, v38, s2
	s_add_u32 s6, s6, 1
	s_addc_u32 s7, s7, 0
	s_and_not1_b32 s2, s33, exec_lo
	s_waitcnt vmcnt(0)
	v_cmp_neq_f32_e32 vcc_lo, v39, v40
	s_and_b32 s33, vcc_lo, exec_lo
	s_delay_alu instid0(SALU_CYCLE_1)
	s_or_b32 s33, s2, s33
.LBB983_253:                            ;   in Loop: Header=BB983_254 Depth=1
	v_dual_mov_b32 v40, s7 :: v_dual_mov_b32 v39, s6
	s_and_b32 s2, exec_lo, s33
	s_delay_alu instid0(SALU_CYCLE_1) | instskip(NEXT) | instid1(SALU_CYCLE_1)
	s_or_b32 s30, s2, s30
	s_and_not1_b32 exec_lo, exec_lo, s30
	s_cbranch_execz .LBB983_256
.LBB983_254:                            ; =>This Inner Loop Header: Depth=1
	s_or_b32 s33, s33, exec_lo
	s_cmp_eq_u64 s[4:5], s[6:7]
	s_cbranch_scc0 .LBB983_252
; %bb.255:                              ;   in Loop: Header=BB983_254 Depth=1
	s_mov_b64 s[6:7], s[22:23]
                                        ; implicit-def: $vgpr33_vgpr34
                                        ; implicit-def: $vgpr37_vgpr38
	s_branch .LBB983_253
.LBB983_256:
	s_set_inst_prefetch_distance 0x2
	s_or_b32 exec_lo, exec_lo, s30
	v_cmp_gt_i64_e32 vcc_lo, s[22:23], v[39:40]
	s_or_not1_b32 s30, vcc_lo, exec_lo
.LBB983_257:
	s_or_b32 exec_lo, exec_lo, s31
.LBB983_258:
	v_mul_lo_u32 v37, v32, s22
	v_mul_lo_u32 v38, v31, s23
	v_mad_u64_u32 v[33:34], null, v31, s22, 0
	s_and_not1_b32 vcc_lo, exec_lo, s18
	s_delay_alu instid0(VALU_DEP_1) | instskip(NEXT) | instid1(VALU_DEP_1)
	v_add3_u32 v34, v34, v38, v37
	v_lshlrev_b64 v[33:34], 2, v[33:34]
	s_cbranch_vccnz .LBB983_267
; %bb.259:
	s_delay_alu instid0(VALU_DEP_1) | instskip(NEXT) | instid1(VALU_DEP_2)
	v_add_co_u32 v37, vcc_lo, s8, v33
	v_add_co_ci_u32_e32 v38, vcc_lo, s9, v34, vcc_lo
	v_add_co_u32 v35, vcc_lo, s8, v35
	v_add_co_ci_u32_e32 v36, vcc_lo, s9, v36, vcc_lo
	s_mov_b32 s29, -1
	s_clause 0x1
	global_load_b32 v39, v[37:38], off
	global_load_b32 v40, v[35:36], off
	s_mov_b32 s31, exec_lo
	s_waitcnt vmcnt(0)
	v_cmpx_eq_f32_e32 v39, v40
	s_cbranch_execz .LBB983_266
; %bb.260:
	v_add_co_u32 v35, vcc_lo, v35, 4
	v_add_co_ci_u32_e32 v36, vcc_lo, 0, v36, vcc_lo
	v_add_co_u32 v37, vcc_lo, v37, 4
	v_add_co_ci_u32_e32 v38, vcc_lo, 0, v38, vcc_lo
	s_add_u32 s4, s22, -1
	s_addc_u32 s5, s23, -1
	s_mov_b64 s[6:7], 0
	s_mov_b32 s29, 0
                                        ; implicit-def: $sgpr33
	s_set_inst_prefetch_distance 0x1
	s_branch .LBB983_263
	.p2align	6
.LBB983_261:                            ;   in Loop: Header=BB983_263 Depth=1
	global_load_b32 v39, v[37:38], off
	global_load_b32 v40, v[35:36], off
	v_add_co_u32 v35, vcc_lo, v35, 4
	v_add_co_ci_u32_e32 v36, vcc_lo, 0, v36, vcc_lo
	v_add_co_u32 v37, s2, v37, 4
	s_delay_alu instid0(VALU_DEP_1)
	v_add_co_ci_u32_e64 v38, s2, 0, v38, s2
	s_add_u32 s6, s6, 1
	s_addc_u32 s7, s7, 0
	s_and_not1_b32 s2, s33, exec_lo
	s_waitcnt vmcnt(0)
	v_cmp_neq_f32_e32 vcc_lo, v39, v40
	s_and_b32 s33, vcc_lo, exec_lo
	s_delay_alu instid0(SALU_CYCLE_1)
	s_or_b32 s33, s2, s33
.LBB983_262:                            ;   in Loop: Header=BB983_263 Depth=1
	v_dual_mov_b32 v40, s7 :: v_dual_mov_b32 v39, s6
	s_and_b32 s2, exec_lo, s33
	s_delay_alu instid0(SALU_CYCLE_1) | instskip(NEXT) | instid1(SALU_CYCLE_1)
	s_or_b32 s29, s2, s29
	s_and_not1_b32 exec_lo, exec_lo, s29
	s_cbranch_execz .LBB983_265
.LBB983_263:                            ; =>This Inner Loop Header: Depth=1
	s_or_b32 s33, s33, exec_lo
	s_cmp_eq_u64 s[4:5], s[6:7]
	s_cbranch_scc0 .LBB983_261
; %bb.264:                              ;   in Loop: Header=BB983_263 Depth=1
	s_mov_b64 s[6:7], s[22:23]
                                        ; implicit-def: $vgpr35_vgpr36
                                        ; implicit-def: $vgpr37_vgpr38
	s_branch .LBB983_262
.LBB983_265:
	s_set_inst_prefetch_distance 0x2
	s_or_b32 exec_lo, exec_lo, s29
	v_cmp_gt_i64_e32 vcc_lo, s[22:23], v[39:40]
	s_or_not1_b32 s29, vcc_lo, exec_lo
.LBB983_266:
	s_or_b32 exec_lo, exec_lo, s31
.LBB983_267:
	v_mul_lo_u32 v37, v30, s22
	v_mul_lo_u32 v38, v29, s23
	v_mad_u64_u32 v[35:36], null, v29, s22, 0
	s_and_not1_b32 vcc_lo, exec_lo, s18
	s_mov_b32 s2, 0
	s_delay_alu instid0(VALU_DEP_1)
	v_add3_u32 v36, v36, v38, v37
	s_cbranch_vccnz .LBB983_276
; %bb.268:
	s_delay_alu instid0(VALU_DEP_1) | instskip(SKIP_2) | instid1(VALU_DEP_1)
	v_lshlrev_b64 v[37:38], 2, v[35:36]
	s_mov_b32 s2, -1
	s_mov_b32 s31, exec_lo
	v_add_co_u32 v37, vcc_lo, s8, v37
	s_delay_alu instid0(VALU_DEP_2)
	v_add_co_ci_u32_e32 v38, vcc_lo, s9, v38, vcc_lo
	v_add_co_u32 v33, vcc_lo, s8, v33
	v_add_co_ci_u32_e32 v34, vcc_lo, s9, v34, vcc_lo
	s_clause 0x1
	global_load_b32 v39, v[37:38], off
	global_load_b32 v40, v[33:34], off
	s_waitcnt vmcnt(0)
	v_cmpx_eq_f32_e32 v39, v40
	s_cbranch_execz .LBB983_275
; %bb.269:
	v_add_co_u32 v33, vcc_lo, v33, 4
	v_add_co_ci_u32_e32 v34, vcc_lo, 0, v34, vcc_lo
	v_add_co_u32 v37, vcc_lo, v37, 4
	v_add_co_ci_u32_e32 v38, vcc_lo, 0, v38, vcc_lo
	s_add_u32 s4, s22, -1
	s_addc_u32 s5, s23, -1
	s_mov_b64 s[6:7], 0
	s_mov_b32 s33, 0
                                        ; implicit-def: $sgpr34
	s_set_inst_prefetch_distance 0x1
	s_branch .LBB983_272
	.p2align	6
.LBB983_270:                            ;   in Loop: Header=BB983_272 Depth=1
	global_load_b32 v39, v[37:38], off
	global_load_b32 v40, v[33:34], off
	v_add_co_u32 v33, vcc_lo, v33, 4
	v_add_co_ci_u32_e32 v34, vcc_lo, 0, v34, vcc_lo
	v_add_co_u32 v37, s2, v37, 4
	s_delay_alu instid0(VALU_DEP_1)
	v_add_co_ci_u32_e64 v38, s2, 0, v38, s2
	s_add_u32 s6, s6, 1
	s_addc_u32 s7, s7, 0
	s_and_not1_b32 s2, s34, exec_lo
	s_waitcnt vmcnt(0)
	v_cmp_neq_f32_e32 vcc_lo, v39, v40
	s_and_b32 s34, vcc_lo, exec_lo
	s_delay_alu instid0(SALU_CYCLE_1)
	s_or_b32 s34, s2, s34
.LBB983_271:                            ;   in Loop: Header=BB983_272 Depth=1
	v_dual_mov_b32 v40, s7 :: v_dual_mov_b32 v39, s6
	s_and_b32 s2, exec_lo, s34
	s_delay_alu instid0(SALU_CYCLE_1) | instskip(NEXT) | instid1(SALU_CYCLE_1)
	s_or_b32 s33, s2, s33
	s_and_not1_b32 exec_lo, exec_lo, s33
	s_cbranch_execz .LBB983_274
.LBB983_272:                            ; =>This Inner Loop Header: Depth=1
	s_or_b32 s34, s34, exec_lo
	s_cmp_eq_u64 s[4:5], s[6:7]
	s_cbranch_scc0 .LBB983_270
; %bb.273:                              ;   in Loop: Header=BB983_272 Depth=1
	s_mov_b64 s[6:7], s[22:23]
                                        ; implicit-def: $vgpr33_vgpr34
                                        ; implicit-def: $vgpr37_vgpr38
	s_branch .LBB983_271
.LBB983_274:
	s_set_inst_prefetch_distance 0x2
	s_or_b32 exec_lo, exec_lo, s33
	v_cmp_gt_i64_e32 vcc_lo, s[22:23], v[39:40]
	s_or_not1_b32 s2, vcc_lo, exec_lo
.LBB983_275:
	s_or_b32 exec_lo, exec_lo, s31
.LBB983_276:
	v_cndmask_b32_e64 v34, 0, 1, s30
	v_cndmask_b32_e64 v37, 0, 1, s27
	v_cndmask_b32_e64 v38, 0, 1, s25
	v_cndmask_b32_e64 v39, 0, 1, s2
	v_cndmask_b32_e64 v33, 0, 1, s29
	v_cndmask_b32_e64 v40, 0, 1, s26
	v_cndmask_b32_e64 v41, 0, 1, s19
	v_lshlrev_b16 v37, 8, v37
	v_lshlrev_b16 v38, 8, v38
	;; [unrolled: 1-line block ×4, first 2 shown]
	s_waitcnt lgkmcnt(0)
	v_or_b32_e32 v37, v40, v37
	v_or_b32_e32 v38, v41, v38
	;; [unrolled: 1-line block ×4, first 2 shown]
	s_barrier
	v_and_b32_e32 v34, 0xffff, v37
	v_lshlrev_b32_e32 v37, 16, v38
	v_and_b32_e32 v38, 0xffff, v39
	v_lshlrev_b32_e32 v33, 16, v33
	buffer_gl0_inv
                                        ; implicit-def: $sgpr2
	s_mov_b32 s4, exec_lo
	v_or_b32_e32 v34, v34, v37
	v_or_b32_e32 v33, v38, v33
	v_cmpx_ne_u32_e32 0, v0
	s_xor_b32 s19, exec_lo, s4
	s_cbranch_execz .LBB983_287
; %bb.277:
	s_and_not1_b32 vcc_lo, exec_lo, s18
	s_mov_b32 s2, 0
	s_cbranch_vccnz .LBB983_286
; %bb.278:
	v_add_nc_u32_e32 v37, -8, v55
	v_lshlrev_b64 v[35:36], 2, v[35:36]
	s_mov_b32 s2, -1
	s_mov_b32 s25, exec_lo
	ds_load_b64 v[37:38], v37
	s_waitcnt lgkmcnt(0)
	v_mul_lo_u32 v40, v38, s22
	v_mul_lo_u32 v41, v37, s23
	v_mad_u64_u32 v[38:39], null, v37, s22, 0
	s_delay_alu instid0(VALU_DEP_1) | instskip(NEXT) | instid1(VALU_DEP_1)
	v_add3_u32 v39, v39, v41, v40
	v_lshlrev_b64 v[37:38], 2, v[38:39]
	s_delay_alu instid0(VALU_DEP_1) | instskip(NEXT) | instid1(VALU_DEP_2)
	v_add_co_u32 v37, vcc_lo, s8, v37
	v_add_co_ci_u32_e32 v38, vcc_lo, s9, v38, vcc_lo
	v_add_co_u32 v35, vcc_lo, s8, v35
	v_add_co_ci_u32_e32 v36, vcc_lo, s9, v36, vcc_lo
	s_clause 0x1
	global_load_b32 v39, v[37:38], off
	global_load_b32 v40, v[35:36], off
	s_waitcnt vmcnt(0)
	v_cmpx_eq_f32_e32 v39, v40
	s_cbranch_execz .LBB983_285
; %bb.279:
	v_add_co_u32 v35, vcc_lo, v35, 4
	v_add_co_ci_u32_e32 v36, vcc_lo, 0, v36, vcc_lo
	v_add_co_u32 v37, vcc_lo, v37, 4
	v_add_co_ci_u32_e32 v38, vcc_lo, 0, v38, vcc_lo
	s_add_u32 s4, s22, -1
	s_addc_u32 s5, s23, -1
	s_mov_b64 s[6:7], 0
	s_mov_b32 s26, 0
                                        ; implicit-def: $sgpr27
	s_set_inst_prefetch_distance 0x1
	s_branch .LBB983_282
	.p2align	6
.LBB983_280:                            ;   in Loop: Header=BB983_282 Depth=1
	global_load_b32 v39, v[37:38], off
	global_load_b32 v40, v[35:36], off
	v_add_co_u32 v35, vcc_lo, v35, 4
	v_add_co_ci_u32_e32 v36, vcc_lo, 0, v36, vcc_lo
	v_add_co_u32 v37, s2, v37, 4
	s_delay_alu instid0(VALU_DEP_1)
	v_add_co_ci_u32_e64 v38, s2, 0, v38, s2
	s_add_u32 s6, s6, 1
	s_addc_u32 s7, s7, 0
	s_and_not1_b32 s2, s27, exec_lo
	s_waitcnt vmcnt(0)
	v_cmp_neq_f32_e32 vcc_lo, v39, v40
	s_and_b32 s27, vcc_lo, exec_lo
	s_delay_alu instid0(SALU_CYCLE_1)
	s_or_b32 s27, s2, s27
.LBB983_281:                            ;   in Loop: Header=BB983_282 Depth=1
	v_dual_mov_b32 v40, s7 :: v_dual_mov_b32 v39, s6
	s_and_b32 s2, exec_lo, s27
	s_delay_alu instid0(SALU_CYCLE_1) | instskip(NEXT) | instid1(SALU_CYCLE_1)
	s_or_b32 s26, s2, s26
	s_and_not1_b32 exec_lo, exec_lo, s26
	s_cbranch_execz .LBB983_284
.LBB983_282:                            ; =>This Inner Loop Header: Depth=1
	s_or_b32 s27, s27, exec_lo
	s_cmp_eq_u64 s[4:5], s[6:7]
	s_cbranch_scc0 .LBB983_280
; %bb.283:                              ;   in Loop: Header=BB983_282 Depth=1
	s_mov_b64 s[6:7], s[22:23]
                                        ; implicit-def: $vgpr35_vgpr36
                                        ; implicit-def: $vgpr37_vgpr38
	s_branch .LBB983_281
.LBB983_284:
	s_set_inst_prefetch_distance 0x2
	s_or_b32 exec_lo, exec_lo, s26
	v_cmp_gt_i64_e32 vcc_lo, s[22:23], v[39:40]
	s_or_not1_b32 s2, vcc_lo, exec_lo
.LBB983_285:
	s_or_b32 exec_lo, exec_lo, s25
.LBB983_286:
	s_delay_alu instid0(SALU_CYCLE_1)
	s_and_b32 s2, s2, exec_lo
	s_or_b32 s3, s3, exec_lo
.LBB983_287:
	s_or_b32 exec_lo, exec_lo, s19
	s_branch .LBB983_379
.LBB983_288:
	v_or_b32_e32 v33, 7, v55
	s_mov_b32 s19, 0
	s_mov_b32 s25, 0
	s_mov_b32 s26, exec_lo
	s_delay_alu instid0(VALU_DEP_1)
	v_cmpx_gt_u32_e64 s28, v33
	s_cbranch_execz .LBB983_299
; %bb.289:
	s_and_not1_b32 vcc_lo, exec_lo, s18
	s_mov_b32 s2, 0
	s_cbranch_vccnz .LBB983_298
; %bb.290:
	v_mul_lo_u32 v37, v18, s22
	v_mul_lo_u32 v38, v17, s23
	v_mad_u64_u32 v[33:34], null, v17, s22, 0
	v_mul_lo_u32 v39, v20, s22
	v_mul_lo_u32 v40, v19, s23
	v_mad_u64_u32 v[35:36], null, v19, s22, 0
	s_mov_b32 s2, -1
	s_mov_b32 s25, exec_lo
	s_delay_alu instid0(VALU_DEP_4) | instskip(NEXT) | instid1(VALU_DEP_2)
	v_add3_u32 v34, v34, v38, v37
	v_add3_u32 v36, v36, v40, v39
	s_delay_alu instid0(VALU_DEP_2) | instskip(NEXT) | instid1(VALU_DEP_2)
	v_lshlrev_b64 v[33:34], 2, v[33:34]
	v_lshlrev_b64 v[37:38], 2, v[35:36]
	s_delay_alu instid0(VALU_DEP_2) | instskip(NEXT) | instid1(VALU_DEP_3)
	v_add_co_u32 v35, vcc_lo, s8, v33
	v_add_co_ci_u32_e32 v36, vcc_lo, s9, v34, vcc_lo
	s_delay_alu instid0(VALU_DEP_3) | instskip(NEXT) | instid1(VALU_DEP_4)
	v_add_co_u32 v33, vcc_lo, s8, v37
	v_add_co_ci_u32_e32 v34, vcc_lo, s9, v38, vcc_lo
	s_clause 0x1
	global_load_b32 v37, v[35:36], off
	global_load_b32 v38, v[33:34], off
	s_waitcnt vmcnt(0)
	v_cmpx_eq_f32_e32 v37, v38
	s_cbranch_execz .LBB983_297
; %bb.291:
	v_add_co_u32 v33, vcc_lo, v33, 4
	v_add_co_ci_u32_e32 v34, vcc_lo, 0, v34, vcc_lo
	v_add_co_u32 v35, vcc_lo, v35, 4
	v_add_co_ci_u32_e32 v36, vcc_lo, 0, v36, vcc_lo
	s_add_u32 s4, s22, -1
	s_addc_u32 s5, s23, -1
	s_mov_b64 s[6:7], 0
	s_mov_b32 s27, 0
                                        ; implicit-def: $sgpr29
	s_set_inst_prefetch_distance 0x1
	s_branch .LBB983_294
	.p2align	6
.LBB983_292:                            ;   in Loop: Header=BB983_294 Depth=1
	global_load_b32 v37, v[35:36], off
	global_load_b32 v38, v[33:34], off
	v_add_co_u32 v33, vcc_lo, v33, 4
	v_add_co_ci_u32_e32 v34, vcc_lo, 0, v34, vcc_lo
	v_add_co_u32 v35, s2, v35, 4
	s_delay_alu instid0(VALU_DEP_1)
	v_add_co_ci_u32_e64 v36, s2, 0, v36, s2
	s_add_u32 s6, s6, 1
	s_addc_u32 s7, s7, 0
	s_and_not1_b32 s2, s29, exec_lo
	s_waitcnt vmcnt(0)
	v_cmp_neq_f32_e32 vcc_lo, v37, v38
	s_and_b32 s29, vcc_lo, exec_lo
	s_delay_alu instid0(SALU_CYCLE_1)
	s_or_b32 s29, s2, s29
.LBB983_293:                            ;   in Loop: Header=BB983_294 Depth=1
	v_dual_mov_b32 v38, s7 :: v_dual_mov_b32 v37, s6
	s_and_b32 s2, exec_lo, s29
	s_delay_alu instid0(SALU_CYCLE_1) | instskip(NEXT) | instid1(SALU_CYCLE_1)
	s_or_b32 s27, s2, s27
	s_and_not1_b32 exec_lo, exec_lo, s27
	s_cbranch_execz .LBB983_296
.LBB983_294:                            ; =>This Inner Loop Header: Depth=1
	s_or_b32 s29, s29, exec_lo
	s_cmp_eq_u64 s[4:5], s[6:7]
	s_cbranch_scc0 .LBB983_292
; %bb.295:                              ;   in Loop: Header=BB983_294 Depth=1
	s_mov_b64 s[6:7], s[22:23]
                                        ; implicit-def: $vgpr33_vgpr34
                                        ; implicit-def: $vgpr35_vgpr36
	s_branch .LBB983_293
.LBB983_296:
	s_set_inst_prefetch_distance 0x2
	s_or_b32 exec_lo, exec_lo, s27
	v_cmp_gt_i64_e32 vcc_lo, s[22:23], v[37:38]
	s_or_not1_b32 s2, vcc_lo, exec_lo
.LBB983_297:
	s_or_b32 exec_lo, exec_lo, s25
.LBB983_298:
	s_delay_alu instid0(SALU_CYCLE_1)
	s_and_b32 s25, s2, exec_lo
.LBB983_299:
	s_or_b32 exec_lo, exec_lo, s26
	v_or_b32_e32 v33, 6, v55
	s_mov_b32 s26, exec_lo
	s_delay_alu instid0(VALU_DEP_1)
	v_cmpx_gt_u32_e64 s28, v33
	s_cbranch_execz .LBB983_310
; %bb.300:
	s_and_not1_b32 vcc_lo, exec_lo, s18
	s_mov_b32 s2, 0
	s_cbranch_vccnz .LBB983_309
; %bb.301:
	v_mul_lo_u32 v37, v24, s22
	v_mul_lo_u32 v38, v23, s23
	v_mad_u64_u32 v[33:34], null, v23, s22, 0
	v_mul_lo_u32 v39, v18, s22
	v_mul_lo_u32 v40, v17, s23
	v_mad_u64_u32 v[35:36], null, v17, s22, 0
	s_mov_b32 s2, -1
	s_mov_b32 s19, exec_lo
	s_delay_alu instid0(VALU_DEP_4) | instskip(NEXT) | instid1(VALU_DEP_2)
	v_add3_u32 v34, v34, v38, v37
	v_add3_u32 v36, v36, v40, v39
	s_delay_alu instid0(VALU_DEP_2) | instskip(NEXT) | instid1(VALU_DEP_2)
	v_lshlrev_b64 v[33:34], 2, v[33:34]
	v_lshlrev_b64 v[37:38], 2, v[35:36]
	s_delay_alu instid0(VALU_DEP_2) | instskip(NEXT) | instid1(VALU_DEP_3)
	v_add_co_u32 v35, vcc_lo, s8, v33
	v_add_co_ci_u32_e32 v36, vcc_lo, s9, v34, vcc_lo
	s_delay_alu instid0(VALU_DEP_3) | instskip(NEXT) | instid1(VALU_DEP_4)
	v_add_co_u32 v33, vcc_lo, s8, v37
	v_add_co_ci_u32_e32 v34, vcc_lo, s9, v38, vcc_lo
	s_clause 0x1
	global_load_b32 v37, v[35:36], off
	global_load_b32 v38, v[33:34], off
	s_waitcnt vmcnt(0)
	v_cmpx_eq_f32_e32 v37, v38
	s_cbranch_execz .LBB983_308
; %bb.302:
	v_add_co_u32 v33, vcc_lo, v33, 4
	v_add_co_ci_u32_e32 v34, vcc_lo, 0, v34, vcc_lo
	v_add_co_u32 v35, vcc_lo, v35, 4
	v_add_co_ci_u32_e32 v36, vcc_lo, 0, v36, vcc_lo
	s_add_u32 s4, s22, -1
	s_addc_u32 s5, s23, -1
	s_mov_b64 s[6:7], 0
	s_mov_b32 s27, 0
                                        ; implicit-def: $sgpr29
	s_set_inst_prefetch_distance 0x1
	s_branch .LBB983_305
	.p2align	6
.LBB983_303:                            ;   in Loop: Header=BB983_305 Depth=1
	global_load_b32 v37, v[35:36], off
	global_load_b32 v38, v[33:34], off
	v_add_co_u32 v33, vcc_lo, v33, 4
	v_add_co_ci_u32_e32 v34, vcc_lo, 0, v34, vcc_lo
	v_add_co_u32 v35, s2, v35, 4
	s_delay_alu instid0(VALU_DEP_1)
	v_add_co_ci_u32_e64 v36, s2, 0, v36, s2
	s_add_u32 s6, s6, 1
	s_addc_u32 s7, s7, 0
	s_and_not1_b32 s2, s29, exec_lo
	s_waitcnt vmcnt(0)
	v_cmp_neq_f32_e32 vcc_lo, v37, v38
	s_and_b32 s29, vcc_lo, exec_lo
	s_delay_alu instid0(SALU_CYCLE_1)
	s_or_b32 s29, s2, s29
.LBB983_304:                            ;   in Loop: Header=BB983_305 Depth=1
	v_dual_mov_b32 v38, s7 :: v_dual_mov_b32 v37, s6
	s_and_b32 s2, exec_lo, s29
	s_delay_alu instid0(SALU_CYCLE_1) | instskip(NEXT) | instid1(SALU_CYCLE_1)
	s_or_b32 s27, s2, s27
	s_and_not1_b32 exec_lo, exec_lo, s27
	s_cbranch_execz .LBB983_307
.LBB983_305:                            ; =>This Inner Loop Header: Depth=1
	s_or_b32 s29, s29, exec_lo
	s_cmp_eq_u64 s[4:5], s[6:7]
	s_cbranch_scc0 .LBB983_303
; %bb.306:                              ;   in Loop: Header=BB983_305 Depth=1
	s_mov_b64 s[6:7], s[22:23]
                                        ; implicit-def: $vgpr33_vgpr34
                                        ; implicit-def: $vgpr35_vgpr36
	s_branch .LBB983_304
.LBB983_307:
	s_set_inst_prefetch_distance 0x2
	s_or_b32 exec_lo, exec_lo, s27
	v_cmp_gt_i64_e32 vcc_lo, s[22:23], v[37:38]
	s_or_not1_b32 s2, vcc_lo, exec_lo
.LBB983_308:
	s_or_b32 exec_lo, exec_lo, s19
.LBB983_309:
	s_delay_alu instid0(SALU_CYCLE_1)
	s_and_b32 s19, s2, exec_lo
.LBB983_310:
	s_or_b32 exec_lo, exec_lo, s26
	v_or_b32_e32 v33, 5, v55
	s_mov_b32 s26, 0
	s_mov_b32 s27, 0
	s_mov_b32 s29, exec_lo
	s_delay_alu instid0(VALU_DEP_1)
	v_cmpx_gt_u32_e64 s28, v33
	s_cbranch_execz .LBB983_321
; %bb.311:
	s_and_not1_b32 vcc_lo, exec_lo, s18
	s_mov_b32 s2, 0
	s_cbranch_vccnz .LBB983_320
; %bb.312:
	v_mul_lo_u32 v37, v22, s22
	v_mul_lo_u32 v38, v21, s23
	v_mad_u64_u32 v[33:34], null, v21, s22, 0
	v_mul_lo_u32 v39, v24, s22
	v_mul_lo_u32 v40, v23, s23
	v_mad_u64_u32 v[35:36], null, v23, s22, 0
	s_mov_b32 s2, -1
	s_mov_b32 s27, exec_lo
	s_delay_alu instid0(VALU_DEP_4) | instskip(NEXT) | instid1(VALU_DEP_2)
	v_add3_u32 v34, v34, v38, v37
	v_add3_u32 v36, v36, v40, v39
	s_delay_alu instid0(VALU_DEP_2) | instskip(NEXT) | instid1(VALU_DEP_2)
	v_lshlrev_b64 v[33:34], 2, v[33:34]
	v_lshlrev_b64 v[37:38], 2, v[35:36]
	s_delay_alu instid0(VALU_DEP_2) | instskip(NEXT) | instid1(VALU_DEP_3)
	v_add_co_u32 v35, vcc_lo, s8, v33
	v_add_co_ci_u32_e32 v36, vcc_lo, s9, v34, vcc_lo
	s_delay_alu instid0(VALU_DEP_3) | instskip(NEXT) | instid1(VALU_DEP_4)
	v_add_co_u32 v33, vcc_lo, s8, v37
	v_add_co_ci_u32_e32 v34, vcc_lo, s9, v38, vcc_lo
	s_clause 0x1
	global_load_b32 v37, v[35:36], off
	global_load_b32 v38, v[33:34], off
	s_waitcnt vmcnt(0)
	v_cmpx_eq_f32_e32 v37, v38
	s_cbranch_execz .LBB983_319
; %bb.313:
	v_add_co_u32 v33, vcc_lo, v33, 4
	v_add_co_ci_u32_e32 v34, vcc_lo, 0, v34, vcc_lo
	v_add_co_u32 v35, vcc_lo, v35, 4
	v_add_co_ci_u32_e32 v36, vcc_lo, 0, v36, vcc_lo
	s_add_u32 s4, s22, -1
	s_addc_u32 s5, s23, -1
	s_mov_b64 s[6:7], 0
	s_mov_b32 s30, 0
                                        ; implicit-def: $sgpr31
	s_set_inst_prefetch_distance 0x1
	s_branch .LBB983_316
	.p2align	6
.LBB983_314:                            ;   in Loop: Header=BB983_316 Depth=1
	global_load_b32 v37, v[35:36], off
	global_load_b32 v38, v[33:34], off
	v_add_co_u32 v33, vcc_lo, v33, 4
	v_add_co_ci_u32_e32 v34, vcc_lo, 0, v34, vcc_lo
	v_add_co_u32 v35, s2, v35, 4
	s_delay_alu instid0(VALU_DEP_1)
	v_add_co_ci_u32_e64 v36, s2, 0, v36, s2
	s_add_u32 s6, s6, 1
	s_addc_u32 s7, s7, 0
	s_and_not1_b32 s2, s31, exec_lo
	s_waitcnt vmcnt(0)
	v_cmp_neq_f32_e32 vcc_lo, v37, v38
	s_and_b32 s31, vcc_lo, exec_lo
	s_delay_alu instid0(SALU_CYCLE_1)
	s_or_b32 s31, s2, s31
.LBB983_315:                            ;   in Loop: Header=BB983_316 Depth=1
	v_dual_mov_b32 v38, s7 :: v_dual_mov_b32 v37, s6
	s_and_b32 s2, exec_lo, s31
	s_delay_alu instid0(SALU_CYCLE_1) | instskip(NEXT) | instid1(SALU_CYCLE_1)
	s_or_b32 s30, s2, s30
	s_and_not1_b32 exec_lo, exec_lo, s30
	s_cbranch_execz .LBB983_318
.LBB983_316:                            ; =>This Inner Loop Header: Depth=1
	s_or_b32 s31, s31, exec_lo
	s_cmp_eq_u64 s[4:5], s[6:7]
	s_cbranch_scc0 .LBB983_314
; %bb.317:                              ;   in Loop: Header=BB983_316 Depth=1
	s_mov_b64 s[6:7], s[22:23]
                                        ; implicit-def: $vgpr33_vgpr34
                                        ; implicit-def: $vgpr35_vgpr36
	s_branch .LBB983_315
.LBB983_318:
	s_set_inst_prefetch_distance 0x2
	s_or_b32 exec_lo, exec_lo, s30
	v_cmp_gt_i64_e32 vcc_lo, s[22:23], v[37:38]
	s_or_not1_b32 s2, vcc_lo, exec_lo
.LBB983_319:
	s_or_b32 exec_lo, exec_lo, s27
.LBB983_320:
	s_delay_alu instid0(SALU_CYCLE_1)
	s_and_b32 s27, s2, exec_lo
.LBB983_321:
	s_or_b32 exec_lo, exec_lo, s29
	v_or_b32_e32 v33, 4, v55
	s_mov_b32 s29, exec_lo
	s_delay_alu instid0(VALU_DEP_1)
	v_cmpx_gt_u32_e64 s28, v33
	s_cbranch_execz .LBB983_332
; %bb.322:
	s_and_not1_b32 vcc_lo, exec_lo, s18
	s_mov_b32 s2, 0
	s_cbranch_vccnz .LBB983_331
; %bb.323:
	v_mul_lo_u32 v37, v28, s22
	v_mul_lo_u32 v38, v27, s23
	v_mad_u64_u32 v[33:34], null, v27, s22, 0
	v_mul_lo_u32 v39, v22, s22
	v_mul_lo_u32 v40, v21, s23
	v_mad_u64_u32 v[35:36], null, v21, s22, 0
	s_mov_b32 s2, -1
	s_mov_b32 s26, exec_lo
	s_delay_alu instid0(VALU_DEP_4) | instskip(NEXT) | instid1(VALU_DEP_2)
	v_add3_u32 v34, v34, v38, v37
	v_add3_u32 v36, v36, v40, v39
	s_delay_alu instid0(VALU_DEP_2) | instskip(NEXT) | instid1(VALU_DEP_2)
	v_lshlrev_b64 v[33:34], 2, v[33:34]
	v_lshlrev_b64 v[37:38], 2, v[35:36]
	s_delay_alu instid0(VALU_DEP_2) | instskip(NEXT) | instid1(VALU_DEP_3)
	v_add_co_u32 v35, vcc_lo, s8, v33
	v_add_co_ci_u32_e32 v36, vcc_lo, s9, v34, vcc_lo
	s_delay_alu instid0(VALU_DEP_3) | instskip(NEXT) | instid1(VALU_DEP_4)
	v_add_co_u32 v33, vcc_lo, s8, v37
	v_add_co_ci_u32_e32 v34, vcc_lo, s9, v38, vcc_lo
	s_clause 0x1
	global_load_b32 v37, v[35:36], off
	global_load_b32 v38, v[33:34], off
	s_waitcnt vmcnt(0)
	v_cmpx_eq_f32_e32 v37, v38
	s_cbranch_execz .LBB983_330
; %bb.324:
	v_add_co_u32 v33, vcc_lo, v33, 4
	v_add_co_ci_u32_e32 v34, vcc_lo, 0, v34, vcc_lo
	v_add_co_u32 v35, vcc_lo, v35, 4
	v_add_co_ci_u32_e32 v36, vcc_lo, 0, v36, vcc_lo
	s_add_u32 s4, s22, -1
	s_addc_u32 s5, s23, -1
	s_mov_b64 s[6:7], 0
	s_mov_b32 s30, 0
                                        ; implicit-def: $sgpr31
	s_set_inst_prefetch_distance 0x1
	s_branch .LBB983_327
	.p2align	6
.LBB983_325:                            ;   in Loop: Header=BB983_327 Depth=1
	global_load_b32 v37, v[35:36], off
	global_load_b32 v38, v[33:34], off
	v_add_co_u32 v33, vcc_lo, v33, 4
	v_add_co_ci_u32_e32 v34, vcc_lo, 0, v34, vcc_lo
	v_add_co_u32 v35, s2, v35, 4
	s_delay_alu instid0(VALU_DEP_1)
	v_add_co_ci_u32_e64 v36, s2, 0, v36, s2
	s_add_u32 s6, s6, 1
	s_addc_u32 s7, s7, 0
	s_and_not1_b32 s2, s31, exec_lo
	s_waitcnt vmcnt(0)
	v_cmp_neq_f32_e32 vcc_lo, v37, v38
	s_and_b32 s31, vcc_lo, exec_lo
	s_delay_alu instid0(SALU_CYCLE_1)
	s_or_b32 s31, s2, s31
.LBB983_326:                            ;   in Loop: Header=BB983_327 Depth=1
	v_dual_mov_b32 v38, s7 :: v_dual_mov_b32 v37, s6
	s_and_b32 s2, exec_lo, s31
	s_delay_alu instid0(SALU_CYCLE_1) | instskip(NEXT) | instid1(SALU_CYCLE_1)
	s_or_b32 s30, s2, s30
	s_and_not1_b32 exec_lo, exec_lo, s30
	s_cbranch_execz .LBB983_329
.LBB983_327:                            ; =>This Inner Loop Header: Depth=1
	s_or_b32 s31, s31, exec_lo
	s_cmp_eq_u64 s[4:5], s[6:7]
	s_cbranch_scc0 .LBB983_325
; %bb.328:                              ;   in Loop: Header=BB983_327 Depth=1
	s_mov_b64 s[6:7], s[22:23]
                                        ; implicit-def: $vgpr33_vgpr34
                                        ; implicit-def: $vgpr35_vgpr36
	s_branch .LBB983_326
.LBB983_329:
	s_set_inst_prefetch_distance 0x2
	s_or_b32 exec_lo, exec_lo, s30
	v_cmp_gt_i64_e32 vcc_lo, s[22:23], v[37:38]
	s_or_not1_b32 s2, vcc_lo, exec_lo
.LBB983_330:
	s_or_b32 exec_lo, exec_lo, s26
.LBB983_331:
	s_delay_alu instid0(SALU_CYCLE_1)
	s_and_b32 s26, s2, exec_lo
.LBB983_332:
	s_or_b32 exec_lo, exec_lo, s29
	v_or_b32_e32 v33, 3, v55
	s_mov_b32 s30, 0
	s_mov_b32 s29, 0
	s_mov_b32 s31, exec_lo
	s_delay_alu instid0(VALU_DEP_1)
	v_cmpx_gt_u32_e64 s28, v33
	s_cbranch_execz .LBB983_343
; %bb.333:
	s_and_not1_b32 vcc_lo, exec_lo, s18
	s_mov_b32 s2, 0
	s_cbranch_vccnz .LBB983_342
; %bb.334:
	v_mul_lo_u32 v37, v26, s22
	v_mul_lo_u32 v38, v25, s23
	v_mad_u64_u32 v[33:34], null, v25, s22, 0
	v_mul_lo_u32 v39, v28, s22
	v_mul_lo_u32 v40, v27, s23
	v_mad_u64_u32 v[35:36], null, v27, s22, 0
	s_mov_b32 s2, -1
	s_mov_b32 s29, exec_lo
	s_delay_alu instid0(VALU_DEP_4) | instskip(NEXT) | instid1(VALU_DEP_2)
	v_add3_u32 v34, v34, v38, v37
	v_add3_u32 v36, v36, v40, v39
	s_delay_alu instid0(VALU_DEP_2) | instskip(NEXT) | instid1(VALU_DEP_2)
	v_lshlrev_b64 v[33:34], 2, v[33:34]
	v_lshlrev_b64 v[37:38], 2, v[35:36]
	s_delay_alu instid0(VALU_DEP_2) | instskip(NEXT) | instid1(VALU_DEP_3)
	v_add_co_u32 v35, vcc_lo, s8, v33
	v_add_co_ci_u32_e32 v36, vcc_lo, s9, v34, vcc_lo
	s_delay_alu instid0(VALU_DEP_3) | instskip(NEXT) | instid1(VALU_DEP_4)
	v_add_co_u32 v33, vcc_lo, s8, v37
	v_add_co_ci_u32_e32 v34, vcc_lo, s9, v38, vcc_lo
	s_clause 0x1
	global_load_b32 v37, v[35:36], off
	global_load_b32 v38, v[33:34], off
	s_waitcnt vmcnt(0)
	v_cmpx_eq_f32_e32 v37, v38
	s_cbranch_execz .LBB983_341
; %bb.335:
	v_add_co_u32 v33, vcc_lo, v33, 4
	v_add_co_ci_u32_e32 v34, vcc_lo, 0, v34, vcc_lo
	v_add_co_u32 v35, vcc_lo, v35, 4
	v_add_co_ci_u32_e32 v36, vcc_lo, 0, v36, vcc_lo
	s_add_u32 s4, s22, -1
	s_addc_u32 s5, s23, -1
	s_mov_b64 s[6:7], 0
	s_mov_b32 s33, 0
                                        ; implicit-def: $sgpr34
	s_set_inst_prefetch_distance 0x1
	s_branch .LBB983_338
	.p2align	6
.LBB983_336:                            ;   in Loop: Header=BB983_338 Depth=1
	global_load_b32 v37, v[35:36], off
	global_load_b32 v38, v[33:34], off
	v_add_co_u32 v33, vcc_lo, v33, 4
	v_add_co_ci_u32_e32 v34, vcc_lo, 0, v34, vcc_lo
	v_add_co_u32 v35, s2, v35, 4
	s_delay_alu instid0(VALU_DEP_1)
	v_add_co_ci_u32_e64 v36, s2, 0, v36, s2
	s_add_u32 s6, s6, 1
	s_addc_u32 s7, s7, 0
	s_and_not1_b32 s2, s34, exec_lo
	s_waitcnt vmcnt(0)
	v_cmp_neq_f32_e32 vcc_lo, v37, v38
	s_and_b32 s34, vcc_lo, exec_lo
	s_delay_alu instid0(SALU_CYCLE_1)
	s_or_b32 s34, s2, s34
.LBB983_337:                            ;   in Loop: Header=BB983_338 Depth=1
	v_dual_mov_b32 v38, s7 :: v_dual_mov_b32 v37, s6
	s_and_b32 s2, exec_lo, s34
	s_delay_alu instid0(SALU_CYCLE_1) | instskip(NEXT) | instid1(SALU_CYCLE_1)
	s_or_b32 s33, s2, s33
	s_and_not1_b32 exec_lo, exec_lo, s33
	s_cbranch_execz .LBB983_340
.LBB983_338:                            ; =>This Inner Loop Header: Depth=1
	s_or_b32 s34, s34, exec_lo
	s_cmp_eq_u64 s[4:5], s[6:7]
	s_cbranch_scc0 .LBB983_336
; %bb.339:                              ;   in Loop: Header=BB983_338 Depth=1
	s_mov_b64 s[6:7], s[22:23]
                                        ; implicit-def: $vgpr33_vgpr34
                                        ; implicit-def: $vgpr35_vgpr36
	s_branch .LBB983_337
.LBB983_340:
	s_set_inst_prefetch_distance 0x2
	s_or_b32 exec_lo, exec_lo, s33
	v_cmp_gt_i64_e32 vcc_lo, s[22:23], v[37:38]
	s_or_not1_b32 s2, vcc_lo, exec_lo
.LBB983_341:
	s_or_b32 exec_lo, exec_lo, s29
.LBB983_342:
	s_delay_alu instid0(SALU_CYCLE_1)
	s_and_b32 s29, s2, exec_lo
.LBB983_343:
	s_or_b32 exec_lo, exec_lo, s31
	v_or_b32_e32 v33, 2, v55
	s_mov_b32 s31, exec_lo
	s_delay_alu instid0(VALU_DEP_1)
	v_cmpx_gt_u32_e64 s28, v33
	s_cbranch_execz .LBB983_354
; %bb.344:
	s_and_not1_b32 vcc_lo, exec_lo, s18
	s_mov_b32 s2, 0
	s_cbranch_vccnz .LBB983_353
; %bb.345:
	v_mul_lo_u32 v37, v32, s22
	v_mul_lo_u32 v38, v31, s23
	v_mad_u64_u32 v[33:34], null, v31, s22, 0
	v_mul_lo_u32 v39, v26, s22
	v_mul_lo_u32 v40, v25, s23
	v_mad_u64_u32 v[35:36], null, v25, s22, 0
	s_mov_b32 s2, -1
	s_mov_b32 s30, exec_lo
	s_delay_alu instid0(VALU_DEP_4) | instskip(NEXT) | instid1(VALU_DEP_2)
	v_add3_u32 v34, v34, v38, v37
	v_add3_u32 v36, v36, v40, v39
	s_delay_alu instid0(VALU_DEP_2) | instskip(NEXT) | instid1(VALU_DEP_2)
	v_lshlrev_b64 v[33:34], 2, v[33:34]
	v_lshlrev_b64 v[37:38], 2, v[35:36]
	s_delay_alu instid0(VALU_DEP_2) | instskip(NEXT) | instid1(VALU_DEP_3)
	v_add_co_u32 v35, vcc_lo, s8, v33
	v_add_co_ci_u32_e32 v36, vcc_lo, s9, v34, vcc_lo
	s_delay_alu instid0(VALU_DEP_3) | instskip(NEXT) | instid1(VALU_DEP_4)
	v_add_co_u32 v33, vcc_lo, s8, v37
	v_add_co_ci_u32_e32 v34, vcc_lo, s9, v38, vcc_lo
	s_clause 0x1
	global_load_b32 v37, v[35:36], off
	global_load_b32 v38, v[33:34], off
	s_waitcnt vmcnt(0)
	v_cmpx_eq_f32_e32 v37, v38
	s_cbranch_execz .LBB983_352
; %bb.346:
	v_add_co_u32 v33, vcc_lo, v33, 4
	v_add_co_ci_u32_e32 v34, vcc_lo, 0, v34, vcc_lo
	v_add_co_u32 v35, vcc_lo, v35, 4
	v_add_co_ci_u32_e32 v36, vcc_lo, 0, v36, vcc_lo
	s_add_u32 s4, s22, -1
	s_addc_u32 s5, s23, -1
	s_mov_b64 s[6:7], 0
	s_mov_b32 s33, 0
                                        ; implicit-def: $sgpr34
	s_set_inst_prefetch_distance 0x1
	s_branch .LBB983_349
	.p2align	6
.LBB983_347:                            ;   in Loop: Header=BB983_349 Depth=1
	global_load_b32 v37, v[35:36], off
	global_load_b32 v38, v[33:34], off
	v_add_co_u32 v33, vcc_lo, v33, 4
	v_add_co_ci_u32_e32 v34, vcc_lo, 0, v34, vcc_lo
	v_add_co_u32 v35, s2, v35, 4
	s_delay_alu instid0(VALU_DEP_1)
	v_add_co_ci_u32_e64 v36, s2, 0, v36, s2
	s_add_u32 s6, s6, 1
	s_addc_u32 s7, s7, 0
	s_and_not1_b32 s2, s34, exec_lo
	s_waitcnt vmcnt(0)
	v_cmp_neq_f32_e32 vcc_lo, v37, v38
	s_and_b32 s34, vcc_lo, exec_lo
	s_delay_alu instid0(SALU_CYCLE_1)
	s_or_b32 s34, s2, s34
.LBB983_348:                            ;   in Loop: Header=BB983_349 Depth=1
	v_dual_mov_b32 v38, s7 :: v_dual_mov_b32 v37, s6
	s_and_b32 s2, exec_lo, s34
	s_delay_alu instid0(SALU_CYCLE_1) | instskip(NEXT) | instid1(SALU_CYCLE_1)
	s_or_b32 s33, s2, s33
	s_and_not1_b32 exec_lo, exec_lo, s33
	s_cbranch_execz .LBB983_351
.LBB983_349:                            ; =>This Inner Loop Header: Depth=1
	s_or_b32 s34, s34, exec_lo
	s_cmp_eq_u64 s[4:5], s[6:7]
	s_cbranch_scc0 .LBB983_347
; %bb.350:                              ;   in Loop: Header=BB983_349 Depth=1
	s_mov_b64 s[6:7], s[22:23]
                                        ; implicit-def: $vgpr33_vgpr34
                                        ; implicit-def: $vgpr35_vgpr36
	s_branch .LBB983_348
.LBB983_351:
	s_set_inst_prefetch_distance 0x2
	s_or_b32 exec_lo, exec_lo, s33
	v_cmp_gt_i64_e32 vcc_lo, s[22:23], v[37:38]
	s_or_not1_b32 s2, vcc_lo, exec_lo
.LBB983_352:
	s_or_b32 exec_lo, exec_lo, s30
.LBB983_353:
	s_delay_alu instid0(SALU_CYCLE_1)
	s_and_b32 s30, s2, exec_lo
.LBB983_354:
	s_or_b32 exec_lo, exec_lo, s31
	v_or_b32_e32 v33, 1, v55
	s_mov_b32 s2, 0
	s_mov_b32 s31, exec_lo
	s_delay_alu instid0(VALU_DEP_1)
	v_cmpx_gt_u32_e64 s28, v33
	s_cbranch_execz .LBB983_365
; %bb.355:
	s_and_not1_b32 vcc_lo, exec_lo, s18
	s_cbranch_vccnz .LBB983_364
; %bb.356:
	v_mul_lo_u32 v37, v30, s22
	v_mul_lo_u32 v38, v29, s23
	v_mad_u64_u32 v[33:34], null, v29, s22, 0
	v_mul_lo_u32 v39, v32, s22
	v_mul_lo_u32 v40, v31, s23
	v_mad_u64_u32 v[35:36], null, v31, s22, 0
	s_mov_b32 s2, -1
	s_mov_b32 s33, exec_lo
	s_delay_alu instid0(VALU_DEP_4) | instskip(NEXT) | instid1(VALU_DEP_2)
	v_add3_u32 v34, v34, v38, v37
	v_add3_u32 v36, v36, v40, v39
	s_delay_alu instid0(VALU_DEP_2) | instskip(NEXT) | instid1(VALU_DEP_2)
	v_lshlrev_b64 v[33:34], 2, v[33:34]
	v_lshlrev_b64 v[37:38], 2, v[35:36]
	s_delay_alu instid0(VALU_DEP_2) | instskip(NEXT) | instid1(VALU_DEP_3)
	v_add_co_u32 v35, vcc_lo, s8, v33
	v_add_co_ci_u32_e32 v36, vcc_lo, s9, v34, vcc_lo
	s_delay_alu instid0(VALU_DEP_3) | instskip(NEXT) | instid1(VALU_DEP_4)
	v_add_co_u32 v33, vcc_lo, s8, v37
	v_add_co_ci_u32_e32 v34, vcc_lo, s9, v38, vcc_lo
	s_clause 0x1
	global_load_b32 v37, v[35:36], off
	global_load_b32 v38, v[33:34], off
	s_waitcnt vmcnt(0)
	v_cmpx_eq_f32_e32 v37, v38
	s_cbranch_execz .LBB983_363
; %bb.357:
	v_add_co_u32 v33, vcc_lo, v33, 4
	v_add_co_ci_u32_e32 v34, vcc_lo, 0, v34, vcc_lo
	v_add_co_u32 v35, vcc_lo, v35, 4
	v_add_co_ci_u32_e32 v36, vcc_lo, 0, v36, vcc_lo
	s_add_u32 s4, s22, -1
	s_addc_u32 s5, s23, -1
	s_mov_b64 s[6:7], 0
	s_mov_b32 s34, 0
                                        ; implicit-def: $sgpr35
	s_set_inst_prefetch_distance 0x1
	s_branch .LBB983_360
	.p2align	6
.LBB983_358:                            ;   in Loop: Header=BB983_360 Depth=1
	global_load_b32 v37, v[35:36], off
	global_load_b32 v38, v[33:34], off
	v_add_co_u32 v33, vcc_lo, v33, 4
	v_add_co_ci_u32_e32 v34, vcc_lo, 0, v34, vcc_lo
	v_add_co_u32 v35, s2, v35, 4
	s_delay_alu instid0(VALU_DEP_1)
	v_add_co_ci_u32_e64 v36, s2, 0, v36, s2
	s_add_u32 s6, s6, 1
	s_addc_u32 s7, s7, 0
	s_and_not1_b32 s2, s35, exec_lo
	s_waitcnt vmcnt(0)
	v_cmp_neq_f32_e32 vcc_lo, v37, v38
	s_and_b32 s35, vcc_lo, exec_lo
	s_delay_alu instid0(SALU_CYCLE_1)
	s_or_b32 s35, s2, s35
.LBB983_359:                            ;   in Loop: Header=BB983_360 Depth=1
	v_dual_mov_b32 v38, s7 :: v_dual_mov_b32 v37, s6
	s_and_b32 s2, exec_lo, s35
	s_delay_alu instid0(SALU_CYCLE_1) | instskip(NEXT) | instid1(SALU_CYCLE_1)
	s_or_b32 s34, s2, s34
	s_and_not1_b32 exec_lo, exec_lo, s34
	s_cbranch_execz .LBB983_362
.LBB983_360:                            ; =>This Inner Loop Header: Depth=1
	s_or_b32 s35, s35, exec_lo
	s_cmp_eq_u64 s[4:5], s[6:7]
	s_cbranch_scc0 .LBB983_358
; %bb.361:                              ;   in Loop: Header=BB983_360 Depth=1
	s_mov_b64 s[6:7], s[22:23]
                                        ; implicit-def: $vgpr33_vgpr34
                                        ; implicit-def: $vgpr35_vgpr36
	s_branch .LBB983_359
.LBB983_362:
	s_set_inst_prefetch_distance 0x2
	s_or_b32 exec_lo, exec_lo, s34
	v_cmp_gt_i64_e32 vcc_lo, s[22:23], v[37:38]
	s_or_not1_b32 s2, vcc_lo, exec_lo
.LBB983_363:
	s_or_b32 exec_lo, exec_lo, s33
.LBB983_364:
	s_delay_alu instid0(SALU_CYCLE_1)
	s_and_b32 s2, s2, exec_lo
.LBB983_365:
	s_or_b32 exec_lo, exec_lo, s31
	v_cndmask_b32_e64 v34, 0, 1, s29
	v_cndmask_b32_e64 v35, 0, 1, s27
	;; [unrolled: 1-line block ×7, first 2 shown]
	v_lshlrev_b16 v35, 8, v35
	v_lshlrev_b16 v36, 8, v36
	;; [unrolled: 1-line block ×4, first 2 shown]
	s_mov_b32 s19, exec_lo
	v_or_b32_e32 v35, v38, v35
	v_or_b32_e32 v36, v39, v36
	;; [unrolled: 1-line block ×4, first 2 shown]
	s_waitcnt lgkmcnt(0)
	v_and_b32_e32 v34, 0xffff, v35
	v_lshlrev_b32_e32 v35, 16, v36
	v_and_b32_e32 v36, 0xffff, v37
	v_lshlrev_b32_e32 v33, 16, v33
	s_barrier
	buffer_gl0_inv
	v_or_b32_e32 v34, v34, v35
                                        ; implicit-def: $sgpr2
	v_or_b32_e32 v33, v36, v33
	v_cmpx_ne_u32_e32 0, v0
	s_cbranch_execz .LBB983_378
; %bb.366:
	s_mov_b32 s2, 0
	s_mov_b32 s25, exec_lo
	v_cmpx_gt_u32_e64 s28, v55
	s_cbranch_execz .LBB983_377
; %bb.367:
	s_and_not1_b32 vcc_lo, exec_lo, s18
	s_cbranch_vccnz .LBB983_376
; %bb.368:
	v_add_nc_u32_e32 v35, -8, v55
	v_mul_lo_u32 v42, v29, s23
	v_mad_u64_u32 v[38:39], null, v29, s22, 0
	s_mov_b32 s2, -1
	ds_load_b64 v[35:36], v35
	s_waitcnt lgkmcnt(0)
	v_mul_lo_u32 v40, v36, s22
	v_mul_lo_u32 v41, v35, s23
	v_mad_u64_u32 v[36:37], null, v35, s22, 0
	v_mul_lo_u32 v35, v30, s22
	s_delay_alu instid0(VALU_DEP_2) | instskip(NEXT) | instid1(VALU_DEP_2)
	v_add3_u32 v37, v37, v41, v40
	v_add3_u32 v39, v39, v42, v35
	s_delay_alu instid0(VALU_DEP_2) | instskip(NEXT) | instid1(VALU_DEP_2)
	v_lshlrev_b64 v[35:36], 2, v[36:37]
	v_lshlrev_b64 v[39:40], 2, v[38:39]
	s_delay_alu instid0(VALU_DEP_2) | instskip(NEXT) | instid1(VALU_DEP_3)
	v_add_co_u32 v37, vcc_lo, s8, v35
	v_add_co_ci_u32_e32 v38, vcc_lo, s9, v36, vcc_lo
	s_delay_alu instid0(VALU_DEP_3) | instskip(NEXT) | instid1(VALU_DEP_4)
	v_add_co_u32 v35, vcc_lo, s8, v39
	v_add_co_ci_u32_e32 v36, vcc_lo, s9, v40, vcc_lo
	s_clause 0x1
	global_load_b32 v39, v[37:38], off
	global_load_b32 v40, v[35:36], off
	s_mov_b32 s8, exec_lo
	s_waitcnt vmcnt(0)
	v_cmpx_eq_f32_e32 v39, v40
	s_cbranch_execz .LBB983_375
; %bb.369:
	v_add_co_u32 v35, vcc_lo, v35, 4
	v_add_co_ci_u32_e32 v36, vcc_lo, 0, v36, vcc_lo
	v_add_co_u32 v37, vcc_lo, v37, 4
	v_add_co_ci_u32_e32 v38, vcc_lo, 0, v38, vcc_lo
	s_add_u32 s4, s22, -1
	s_addc_u32 s5, s23, -1
	s_mov_b64 s[6:7], 0
	s_mov_b32 s9, 0
                                        ; implicit-def: $sgpr18
	s_set_inst_prefetch_distance 0x1
	s_branch .LBB983_372
	.p2align	6
.LBB983_370:                            ;   in Loop: Header=BB983_372 Depth=1
	global_load_b32 v39, v[37:38], off
	global_load_b32 v40, v[35:36], off
	v_add_co_u32 v35, vcc_lo, v35, 4
	v_add_co_ci_u32_e32 v36, vcc_lo, 0, v36, vcc_lo
	v_add_co_u32 v37, s2, v37, 4
	s_delay_alu instid0(VALU_DEP_1)
	v_add_co_ci_u32_e64 v38, s2, 0, v38, s2
	s_add_u32 s6, s6, 1
	s_addc_u32 s7, s7, 0
	s_and_not1_b32 s2, s18, exec_lo
	s_waitcnt vmcnt(0)
	v_cmp_neq_f32_e32 vcc_lo, v39, v40
	s_and_b32 s18, vcc_lo, exec_lo
	s_delay_alu instid0(SALU_CYCLE_1)
	s_or_b32 s18, s2, s18
.LBB983_371:                            ;   in Loop: Header=BB983_372 Depth=1
	v_dual_mov_b32 v40, s7 :: v_dual_mov_b32 v39, s6
	s_and_b32 s2, exec_lo, s18
	s_delay_alu instid0(SALU_CYCLE_1) | instskip(NEXT) | instid1(SALU_CYCLE_1)
	s_or_b32 s9, s2, s9
	s_and_not1_b32 exec_lo, exec_lo, s9
	s_cbranch_execz .LBB983_374
.LBB983_372:                            ; =>This Inner Loop Header: Depth=1
	s_or_b32 s18, s18, exec_lo
	s_cmp_eq_u64 s[4:5], s[6:7]
	s_cbranch_scc0 .LBB983_370
; %bb.373:                              ;   in Loop: Header=BB983_372 Depth=1
	s_mov_b64 s[6:7], s[22:23]
                                        ; implicit-def: $vgpr35_vgpr36
                                        ; implicit-def: $vgpr37_vgpr38
	s_branch .LBB983_371
.LBB983_374:
	s_set_inst_prefetch_distance 0x2
	s_or_b32 exec_lo, exec_lo, s9
	v_cmp_gt_i64_e32 vcc_lo, s[22:23], v[39:40]
	s_or_not1_b32 s2, vcc_lo, exec_lo
.LBB983_375:
	s_or_b32 exec_lo, exec_lo, s8
.LBB983_376:
	s_delay_alu instid0(SALU_CYCLE_1)
	s_and_b32 s2, s2, exec_lo
.LBB983_377:
	s_or_b32 exec_lo, exec_lo, s25
	s_delay_alu instid0(SALU_CYCLE_1)
	s_and_b32 s2, s2, exec_lo
	s_or_b32 s3, s3, exec_lo
.LBB983_378:
	s_or_b32 exec_lo, exec_lo, s19
.LBB983_379:
	s_and_saveexec_b32 s4, s3
; %bb.380:
	v_and_b32_e32 v35, 0xffffff00, v33
	v_cndmask_b32_e64 v36, 0, 1, s2
	s_delay_alu instid0(VALU_DEP_1) | instskip(NEXT) | instid1(VALU_DEP_1)
	v_or_b32_e32 v35, v36, v35
	v_and_b32_e32 v35, 0xffff, v35
	s_delay_alu instid0(VALU_DEP_1)
	v_and_or_b32 v33, 0xffff0000, v33, v35
; %bb.381:
	s_or_b32 exec_lo, exec_lo, s4
	s_delay_alu instid0(SALU_CYCLE_1)
	s_and_not1_b32 vcc_lo, exec_lo, s21
	s_cbranch_vccnz .LBB983_383
; %bb.382:
	v_cmp_gt_u32_e32 vcc_lo, s28, v55
	v_or_b32_e32 v36, 1, v55
	v_and_b32_e32 v37, 0xffffff00, v34
	v_or_b32_e32 v38, 2, v55
	v_cndmask_b32_e32 v35, 0, v33, vcc_lo
	s_delay_alu instid0(VALU_DEP_4) | instskip(SKIP_1) | instid1(VALU_DEP_4)
	v_cmp_gt_u32_e32 vcc_lo, s28, v36
	v_or_b32_e32 v36, 4, v55
	v_cmp_gt_u32_e64 s2, s28, v38
	v_or_b32_e32 v38, 3, v55
	v_and_b32_e32 v35, 0xff, v35
	s_delay_alu instid0(VALU_DEP_2) | instskip(NEXT) | instid1(VALU_DEP_2)
	v_cmp_gt_u32_e64 s3, s28, v38
	v_cndmask_b32_e32 v35, v35, v33, vcc_lo
	v_cmp_gt_u32_e32 vcc_lo, s28, v36
	v_cndmask_b32_e32 v36, v37, v34, vcc_lo
	v_or_b32_e32 v37, 5, v55
	s_delay_alu instid0(VALU_DEP_2) | instskip(SKIP_1) | instid1(VALU_DEP_1)
	v_and_b32_e32 v36, 0xffff00ff, v36
	v_and_b32_e32 v35, 0xffff, v35
	v_cndmask_b32_e64 v35, v35, v33, s2
	s_delay_alu instid0(VALU_DEP_4) | instskip(SKIP_1) | instid1(VALU_DEP_3)
	v_cmp_gt_u32_e64 s2, s28, v37
	v_or_b32_e32 v37, 6, v55
	v_and_b32_e32 v35, 0xffffff, v35
	s_delay_alu instid0(VALU_DEP_3) | instskip(NEXT) | instid1(VALU_DEP_2)
	v_cndmask_b32_e64 v36, v36, v34, s2
	v_cndmask_b32_e64 v35, v35, v33, s3
	s_delay_alu instid0(VALU_DEP_1) | instskip(SKIP_2) | instid1(VALU_DEP_3)
	v_dual_cndmask_b32 v35, v35, v33 :: v_dual_and_b32 v36, 0xff00ffff, v36
	v_cmp_gt_u32_e32 vcc_lo, s28, v37
	v_or_b32_e32 v37, 7, v55
	v_cndmask_b32_e64 v35, v35, v33, s2
	s_delay_alu instid0(VALU_DEP_1) | instskip(NEXT) | instid1(VALU_DEP_1)
	v_dual_cndmask_b32 v36, v36, v34 :: v_dual_cndmask_b32 v35, v35, v33
	v_and_b32_e32 v36, 0xffffff, v36
	s_delay_alu instid0(VALU_DEP_4) | instskip(NEXT) | instid1(VALU_DEP_2)
	v_cmp_gt_u32_e32 vcc_lo, s28, v37
	v_dual_cndmask_b32 v34, v36, v34 :: v_dual_cndmask_b32 v33, v35, v33
.LBB983_383:
	s_delay_alu instid0(VALU_DEP_1) | instskip(NEXT) | instid1(VALU_DEP_2)
	v_and_b32_e32 v42, 0xff, v33
	v_alignbit_b32 v35, v34, v33, 24
	v_bfe_u32 v44, v33, 8, 8
	v_bfe_u32 v46, v33, 16, 8
	v_and_b32_e32 v50, 0xff, v34
	v_bfe_u32 v52, v34, 8, 8
	v_and_b32_e32 v48, 0xff, v35
	v_add_nc_u32_e32 v35, v44, v42
	v_mbcnt_lo_u32_b32 v57, -1, 0
	v_bfe_u32 v54, v34, 16, 8
	v_lshrrev_b32_e32 v56, 24, v34
	v_lshrrev_b32_e32 v58, 5, v0
	v_add3_u32 v35, v35, v46, v48
	v_and_b32_e32 v36, 15, v57
	v_and_b32_e32 v37, 16, v57
	s_and_b32 vcc_lo, exec_lo, s24
	s_mov_b32 s9, -1
	v_add3_u32 v35, v35, v50, v52
	v_cmp_eq_u32_e64 s4, 0, v36
	v_cmp_lt_u32_e64 s2, 1, v36
	v_cmp_lt_u32_e64 s5, 3, v36
	;; [unrolled: 1-line block ×3, first 2 shown]
	v_add3_u32 v59, v35, v54, v56
	v_or_b32_e32 v35, 31, v0
	v_cmp_eq_u32_e64 s7, 0, v37
	s_waitcnt lgkmcnt(0)
	s_barrier
	buffer_gl0_inv
	v_cmp_eq_u32_e64 s6, v35, v0
	s_cbranch_vccz .LBB983_414
; %bb.384:
	v_mov_b32_dpp v35, v59 row_shr:1 row_mask:0xf bank_mask:0xf
	s_delay_alu instid0(VALU_DEP_1) | instskip(NEXT) | instid1(VALU_DEP_1)
	v_cndmask_b32_e64 v35, v35, 0, s4
	v_add_nc_u32_e32 v35, v35, v59
	s_delay_alu instid0(VALU_DEP_1) | instskip(NEXT) | instid1(VALU_DEP_1)
	v_mov_b32_dpp v36, v35 row_shr:2 row_mask:0xf bank_mask:0xf
	v_cndmask_b32_e64 v36, 0, v36, s2
	s_delay_alu instid0(VALU_DEP_1) | instskip(NEXT) | instid1(VALU_DEP_1)
	v_add_nc_u32_e32 v35, v35, v36
	v_mov_b32_dpp v36, v35 row_shr:4 row_mask:0xf bank_mask:0xf
	s_delay_alu instid0(VALU_DEP_1) | instskip(NEXT) | instid1(VALU_DEP_1)
	v_cndmask_b32_e64 v36, 0, v36, s5
	v_add_nc_u32_e32 v35, v35, v36
	s_delay_alu instid0(VALU_DEP_1) | instskip(NEXT) | instid1(VALU_DEP_1)
	v_mov_b32_dpp v36, v35 row_shr:8 row_mask:0xf bank_mask:0xf
	v_cndmask_b32_e64 v36, 0, v36, s3
	s_delay_alu instid0(VALU_DEP_1) | instskip(SKIP_3) | instid1(VALU_DEP_1)
	v_add_nc_u32_e32 v35, v35, v36
	ds_swizzle_b32 v36, v35 offset:swizzle(BROADCAST,32,15)
	s_waitcnt lgkmcnt(0)
	v_cndmask_b32_e64 v36, v36, 0, s7
	v_add_nc_u32_e32 v35, v35, v36
	s_and_saveexec_b32 s8, s6
	s_cbranch_execz .LBB983_386
; %bb.385:
	v_lshlrev_b32_e32 v36, 2, v58
	ds_store_b32 v36, v35
.LBB983_386:
	s_or_b32 exec_lo, exec_lo, s8
	s_delay_alu instid0(SALU_CYCLE_1)
	s_mov_b32 s8, exec_lo
	s_waitcnt lgkmcnt(0)
	s_barrier
	buffer_gl0_inv
	v_cmpx_gt_u32_e32 16, v0
	s_cbranch_execz .LBB983_388
; %bb.387:
	v_lshlrev_b32_e32 v36, 2, v0
	ds_load_b32 v37, v36
	s_waitcnt lgkmcnt(0)
	v_mov_b32_dpp v38, v37 row_shr:1 row_mask:0xf bank_mask:0xf
	s_delay_alu instid0(VALU_DEP_1) | instskip(NEXT) | instid1(VALU_DEP_1)
	v_cndmask_b32_e64 v38, v38, 0, s4
	v_add_nc_u32_e32 v37, v38, v37
	s_delay_alu instid0(VALU_DEP_1) | instskip(NEXT) | instid1(VALU_DEP_1)
	v_mov_b32_dpp v38, v37 row_shr:2 row_mask:0xf bank_mask:0xf
	v_cndmask_b32_e64 v38, 0, v38, s2
	s_delay_alu instid0(VALU_DEP_1) | instskip(NEXT) | instid1(VALU_DEP_1)
	v_add_nc_u32_e32 v37, v37, v38
	v_mov_b32_dpp v38, v37 row_shr:4 row_mask:0xf bank_mask:0xf
	s_delay_alu instid0(VALU_DEP_1) | instskip(NEXT) | instid1(VALU_DEP_1)
	v_cndmask_b32_e64 v38, 0, v38, s5
	v_add_nc_u32_e32 v37, v37, v38
	s_delay_alu instid0(VALU_DEP_1) | instskip(NEXT) | instid1(VALU_DEP_1)
	v_mov_b32_dpp v38, v37 row_shr:8 row_mask:0xf bank_mask:0xf
	v_cndmask_b32_e64 v38, 0, v38, s3
	s_delay_alu instid0(VALU_DEP_1)
	v_add_nc_u32_e32 v37, v37, v38
	ds_store_b32 v36, v37
.LBB983_388:
	s_or_b32 exec_lo, exec_lo, s8
	v_cmp_gt_u32_e32 vcc_lo, 32, v0
	s_mov_b32 s9, exec_lo
	s_waitcnt lgkmcnt(0)
	s_barrier
	buffer_gl0_inv
                                        ; implicit-def: $vgpr43
	v_cmpx_lt_u32_e32 31, v0
	s_cbranch_execz .LBB983_390
; %bb.389:
	v_lshl_add_u32 v36, v58, 2, -4
	ds_load_b32 v43, v36
	s_waitcnt lgkmcnt(0)
	v_add_nc_u32_e32 v35, v43, v35
.LBB983_390:
	s_or_b32 exec_lo, exec_lo, s9
	v_add_nc_u32_e32 v36, -1, v57
	s_delay_alu instid0(VALU_DEP_1) | instskip(NEXT) | instid1(VALU_DEP_1)
	v_cmp_gt_i32_e64 s8, 0, v36
	v_cndmask_b32_e64 v36, v36, v57, s8
	v_cmp_eq_u32_e64 s8, 0, v57
	s_delay_alu instid0(VALU_DEP_2)
	v_lshlrev_b32_e32 v36, 2, v36
	ds_bpermute_b32 v45, v36, v35
	s_and_saveexec_b32 s9, vcc_lo
	s_cbranch_execz .LBB983_413
; %bb.391:
	v_mov_b32_e32 v38, 0
	ds_load_b32 v35, v38 offset:60
	s_and_saveexec_b32 s18, s8
	s_cbranch_execz .LBB983_393
; %bb.392:
	s_add_i32 s22, s15, 32
	s_mov_b32 s23, 0
	v_mov_b32_e32 v36, 1
	s_lshl_b64 s[22:23], s[22:23], 3
	s_delay_alu instid0(SALU_CYCLE_1)
	s_add_u32 s22, s10, s22
	s_addc_u32 s23, s11, s23
	s_waitcnt lgkmcnt(0)
	global_store_b64 v38, v[35:36], s[22:23]
.LBB983_393:
	s_or_b32 exec_lo, exec_lo, s18
	v_xad_u32 v36, v57, -1, s15
	s_mov_b32 s19, 0
	s_mov_b32 s18, exec_lo
	s_delay_alu instid0(VALU_DEP_1) | instskip(NEXT) | instid1(VALU_DEP_1)
	v_add_nc_u32_e32 v37, 32, v36
	v_lshlrev_b64 v[37:38], 3, v[37:38]
	s_delay_alu instid0(VALU_DEP_1) | instskip(NEXT) | instid1(VALU_DEP_2)
	v_add_co_u32 v40, vcc_lo, s10, v37
	v_add_co_ci_u32_e32 v41, vcc_lo, s11, v38, vcc_lo
	global_load_b64 v[38:39], v[40:41], off glc
	s_waitcnt vmcnt(0)
	v_and_b32_e32 v37, 0xff, v39
	s_delay_alu instid0(VALU_DEP_1)
	v_cmpx_eq_u16_e32 0, v37
	s_cbranch_execz .LBB983_399
; %bb.394:
	s_mov_b32 s21, 1
	.p2align	6
.LBB983_395:                            ; =>This Loop Header: Depth=1
                                        ;     Child Loop BB983_396 Depth 2
	s_delay_alu instid0(SALU_CYCLE_1)
	s_max_u32 s22, s21, 1
.LBB983_396:                            ;   Parent Loop BB983_395 Depth=1
                                        ; =>  This Inner Loop Header: Depth=2
	s_delay_alu instid0(SALU_CYCLE_1)
	s_add_i32 s22, s22, -1
	s_sleep 1
	s_cmp_eq_u32 s22, 0
	s_cbranch_scc0 .LBB983_396
; %bb.397:                              ;   in Loop: Header=BB983_395 Depth=1
	global_load_b64 v[38:39], v[40:41], off glc
	s_cmp_lt_u32 s21, 32
	s_cselect_b32 s22, -1, 0
	s_delay_alu instid0(SALU_CYCLE_1) | instskip(SKIP_3) | instid1(VALU_DEP_1)
	s_cmp_lg_u32 s22, 0
	s_addc_u32 s21, s21, 0
	s_waitcnt vmcnt(0)
	v_and_b32_e32 v37, 0xff, v39
	v_cmp_ne_u16_e32 vcc_lo, 0, v37
	s_or_b32 s19, vcc_lo, s19
	s_delay_alu instid0(SALU_CYCLE_1)
	s_and_not1_b32 exec_lo, exec_lo, s19
	s_cbranch_execnz .LBB983_395
; %bb.398:
	s_or_b32 exec_lo, exec_lo, s19
.LBB983_399:
	s_delay_alu instid0(SALU_CYCLE_1)
	s_or_b32 exec_lo, exec_lo, s18
	v_cmp_ne_u32_e32 vcc_lo, 31, v57
	v_lshlrev_b32_e64 v49, v57, -1
	v_add_nc_u32_e32 v53, 2, v57
	v_add_nc_u32_e32 v62, 4, v57
	;; [unrolled: 1-line block ×3, first 2 shown]
	v_add_co_ci_u32_e32 v37, vcc_lo, 0, v57, vcc_lo
	v_add_nc_u32_e32 v66, 16, v57
	s_delay_alu instid0(VALU_DEP_2)
	v_lshlrev_b32_e32 v47, 2, v37
	v_and_b32_e32 v37, 0xff, v39
	ds_bpermute_b32 v40, v47, v38
	v_cmp_eq_u16_e32 vcc_lo, 2, v37
	v_and_or_b32 v37, vcc_lo, v49, 0x80000000
	v_cmp_gt_u32_e32 vcc_lo, 30, v57
	s_delay_alu instid0(VALU_DEP_2) | instskip(SKIP_1) | instid1(VALU_DEP_2)
	v_ctz_i32_b32_e32 v37, v37
	v_cndmask_b32_e64 v41, 0, 1, vcc_lo
	v_cmp_lt_u32_e32 vcc_lo, v57, v37
	s_waitcnt lgkmcnt(0)
	s_delay_alu instid0(VALU_DEP_2) | instskip(NEXT) | instid1(VALU_DEP_1)
	v_dual_cndmask_b32 v40, 0, v40 :: v_dual_lshlrev_b32 v41, 1, v41
	v_add_lshl_u32 v51, v41, v57, 2
	v_cmp_gt_u32_e32 vcc_lo, 28, v57
	s_delay_alu instid0(VALU_DEP_3) | instskip(SKIP_4) | instid1(VALU_DEP_1)
	v_add_nc_u32_e32 v38, v40, v38
	v_cndmask_b32_e64 v41, 0, 1, vcc_lo
	v_cmp_le_u32_e32 vcc_lo, v53, v37
	ds_bpermute_b32 v40, v51, v38
	v_lshlrev_b32_e32 v41, 2, v41
	v_add_lshl_u32 v60, v41, v57, 2
	s_waitcnt lgkmcnt(0)
	v_cndmask_b32_e32 v40, 0, v40, vcc_lo
	v_cmp_gt_u32_e32 vcc_lo, 24, v57
	s_delay_alu instid0(VALU_DEP_2) | instskip(SKIP_4) | instid1(VALU_DEP_1)
	v_add_nc_u32_e32 v38, v38, v40
	v_cndmask_b32_e64 v41, 0, 1, vcc_lo
	v_cmp_le_u32_e32 vcc_lo, v62, v37
	ds_bpermute_b32 v40, v60, v38
	v_lshlrev_b32_e32 v41, 3, v41
	v_add_lshl_u32 v63, v41, v57, 2
	s_waitcnt lgkmcnt(0)
	v_cndmask_b32_e32 v40, 0, v40, vcc_lo
	v_cmp_gt_u32_e32 vcc_lo, 16, v57
	s_delay_alu instid0(VALU_DEP_2) | instskip(SKIP_4) | instid1(VALU_DEP_1)
	v_add_nc_u32_e32 v38, v38, v40
	v_cndmask_b32_e64 v41, 0, 1, vcc_lo
	v_cmp_le_u32_e32 vcc_lo, v64, v37
	ds_bpermute_b32 v40, v63, v38
	v_lshlrev_b32_e32 v41, 4, v41
	v_add_lshl_u32 v65, v41, v57, 2
	s_waitcnt lgkmcnt(0)
	v_cndmask_b32_e32 v40, 0, v40, vcc_lo
	v_cmp_le_u32_e32 vcc_lo, v66, v37
	s_delay_alu instid0(VALU_DEP_2) | instskip(SKIP_3) | instid1(VALU_DEP_1)
	v_add_nc_u32_e32 v38, v38, v40
	ds_bpermute_b32 v40, v65, v38
	s_waitcnt lgkmcnt(0)
	v_cndmask_b32_e32 v37, 0, v40, vcc_lo
	v_dual_mov_b32 v37, 0 :: v_dual_add_nc_u32 v38, v38, v37
	s_branch .LBB983_401
.LBB983_400:                            ;   in Loop: Header=BB983_401 Depth=1
	s_or_b32 exec_lo, exec_lo, s18
	ds_bpermute_b32 v41, v47, v38
	v_and_b32_e32 v40, 0xff, v39
	v_subrev_nc_u32_e32 v36, 32, v36
	s_delay_alu instid0(VALU_DEP_2) | instskip(SKIP_1) | instid1(VALU_DEP_1)
	v_cmp_eq_u16_e32 vcc_lo, 2, v40
	v_and_or_b32 v40, vcc_lo, v49, 0x80000000
	v_ctz_i32_b32_e32 v40, v40
	s_delay_alu instid0(VALU_DEP_1) | instskip(SKIP_3) | instid1(VALU_DEP_2)
	v_cmp_lt_u32_e32 vcc_lo, v57, v40
	s_waitcnt lgkmcnt(0)
	v_cndmask_b32_e32 v41, 0, v41, vcc_lo
	v_cmp_le_u32_e32 vcc_lo, v53, v40
	v_add_nc_u32_e32 v38, v41, v38
	ds_bpermute_b32 v41, v51, v38
	s_waitcnt lgkmcnt(0)
	v_cndmask_b32_e32 v41, 0, v41, vcc_lo
	v_cmp_le_u32_e32 vcc_lo, v62, v40
	s_delay_alu instid0(VALU_DEP_2) | instskip(SKIP_4) | instid1(VALU_DEP_2)
	v_add_nc_u32_e32 v38, v38, v41
	ds_bpermute_b32 v41, v60, v38
	s_waitcnt lgkmcnt(0)
	v_cndmask_b32_e32 v41, 0, v41, vcc_lo
	v_cmp_le_u32_e32 vcc_lo, v64, v40
	v_add_nc_u32_e32 v38, v38, v41
	ds_bpermute_b32 v41, v63, v38
	s_waitcnt lgkmcnt(0)
	v_cndmask_b32_e32 v41, 0, v41, vcc_lo
	v_cmp_le_u32_e32 vcc_lo, v66, v40
	s_delay_alu instid0(VALU_DEP_2) | instskip(SKIP_3) | instid1(VALU_DEP_1)
	v_add_nc_u32_e32 v38, v38, v41
	ds_bpermute_b32 v41, v65, v38
	s_waitcnt lgkmcnt(0)
	v_cndmask_b32_e32 v40, 0, v41, vcc_lo
	v_add3_u32 v38, v40, v61, v38
.LBB983_401:                            ; =>This Loop Header: Depth=1
                                        ;     Child Loop BB983_404 Depth 2
                                        ;       Child Loop BB983_405 Depth 3
	v_and_b32_e32 v39, 0xff, v39
	s_delay_alu instid0(VALU_DEP_2) | instskip(NEXT) | instid1(VALU_DEP_2)
	v_mov_b32_e32 v61, v38
	v_cmp_ne_u16_e32 vcc_lo, 2, v39
	v_cndmask_b32_e64 v39, 0, 1, vcc_lo
	;;#ASMSTART
	;;#ASMEND
	s_delay_alu instid0(VALU_DEP_1)
	v_cmp_ne_u32_e32 vcc_lo, 0, v39
	s_cmp_lg_u32 vcc_lo, exec_lo
	s_cbranch_scc1 .LBB983_408
; %bb.402:                              ;   in Loop: Header=BB983_401 Depth=1
	v_lshlrev_b64 v[38:39], 3, v[36:37]
	s_mov_b32 s18, exec_lo
	s_delay_alu instid0(VALU_DEP_1) | instskip(NEXT) | instid1(VALU_DEP_2)
	v_add_co_u32 v40, vcc_lo, s10, v38
	v_add_co_ci_u32_e32 v41, vcc_lo, s11, v39, vcc_lo
	global_load_b64 v[38:39], v[40:41], off glc
	s_waitcnt vmcnt(0)
	v_and_b32_e32 v67, 0xff, v39
	s_delay_alu instid0(VALU_DEP_1)
	v_cmpx_eq_u16_e32 0, v67
	s_cbranch_execz .LBB983_400
; %bb.403:                              ;   in Loop: Header=BB983_401 Depth=1
	s_mov_b32 s21, 1
	s_mov_b32 s19, 0
	.p2align	6
.LBB983_404:                            ;   Parent Loop BB983_401 Depth=1
                                        ; =>  This Loop Header: Depth=2
                                        ;       Child Loop BB983_405 Depth 3
	s_max_u32 s22, s21, 1
.LBB983_405:                            ;   Parent Loop BB983_401 Depth=1
                                        ;     Parent Loop BB983_404 Depth=2
                                        ; =>    This Inner Loop Header: Depth=3
	s_delay_alu instid0(SALU_CYCLE_1)
	s_add_i32 s22, s22, -1
	s_sleep 1
	s_cmp_eq_u32 s22, 0
	s_cbranch_scc0 .LBB983_405
; %bb.406:                              ;   in Loop: Header=BB983_404 Depth=2
	global_load_b64 v[38:39], v[40:41], off glc
	s_cmp_lt_u32 s21, 32
	s_cselect_b32 s22, -1, 0
	s_delay_alu instid0(SALU_CYCLE_1) | instskip(SKIP_3) | instid1(VALU_DEP_1)
	s_cmp_lg_u32 s22, 0
	s_addc_u32 s21, s21, 0
	s_waitcnt vmcnt(0)
	v_and_b32_e32 v67, 0xff, v39
	v_cmp_ne_u16_e32 vcc_lo, 0, v67
	s_or_b32 s19, vcc_lo, s19
	s_delay_alu instid0(SALU_CYCLE_1)
	s_and_not1_b32 exec_lo, exec_lo, s19
	s_cbranch_execnz .LBB983_404
; %bb.407:                              ;   in Loop: Header=BB983_401 Depth=1
	s_or_b32 exec_lo, exec_lo, s19
	s_branch .LBB983_400
.LBB983_408:                            ;   in Loop: Header=BB983_401 Depth=1
                                        ; implicit-def: $vgpr38
                                        ; implicit-def: $vgpr39
	s_cbranch_execz .LBB983_401
; %bb.409:
	s_and_saveexec_b32 s18, s8
	s_cbranch_execz .LBB983_411
; %bb.410:
	s_add_i32 s22, s15, 32
	s_mov_b32 s23, 0
	v_dual_mov_b32 v37, 2 :: v_dual_add_nc_u32 v36, v61, v35
	s_lshl_b64 s[22:23], s[22:23], 3
	v_mov_b32_e32 v38, 0
	v_add_nc_u32_e64 v39, 0x8400, 0
	s_add_u32 s22, s10, s22
	s_addc_u32 s23, s11, s23
	global_store_b64 v38, v[36:37], s[22:23]
	ds_store_2addr_b32 v39, v35, v61 offset1:2
.LBB983_411:
	s_or_b32 exec_lo, exec_lo, s18
	v_cmp_eq_u32_e32 vcc_lo, 0, v0
	s_and_b32 exec_lo, exec_lo, vcc_lo
	s_cbranch_execz .LBB983_413
; %bb.412:
	v_mov_b32_e32 v35, 0
	ds_store_b32 v35, v61 offset:60
.LBB983_413:
	s_or_b32 exec_lo, exec_lo, s9
	s_waitcnt lgkmcnt(0)
	v_cndmask_b32_e64 v36, v45, v43, s8
	v_cmp_ne_u32_e32 vcc_lo, 0, v0
	v_mov_b32_e32 v35, 0
	s_waitcnt_vscnt null, 0x0
	s_barrier
	buffer_gl0_inv
	v_cndmask_b32_e32 v36, 0, v36, vcc_lo
	ds_load_b32 v35, v35 offset:60
	s_waitcnt lgkmcnt(0)
	s_barrier
	buffer_gl0_inv
	v_add_nc_u32_e32 v53, v35, v36
	v_add_nc_u32_e64 v35, 0x8400, 0
	s_delay_alu instid0(VALU_DEP_2) | instskip(SKIP_2) | instid1(VALU_DEP_1)
	v_add_nc_u32_e32 v51, v53, v42
	ds_load_2addr_b32 v[35:36], v35 offset1:2
	v_add_nc_u32_e32 v49, v51, v44
	v_add_nc_u32_e32 v47, v49, v46
	s_delay_alu instid0(VALU_DEP_1) | instskip(NEXT) | instid1(VALU_DEP_1)
	v_add_nc_u32_e32 v45, v47, v48
	v_add_nc_u32_e32 v43, v45, v50
	s_waitcnt lgkmcnt(0)
	v_readfirstlane_b32 s8, v36
	s_delay_alu instid0(VALU_DEP_2) | instskip(NEXT) | instid1(VALU_DEP_1)
	v_add_nc_u32_e32 v41, v43, v52
	v_add_nc_u32_e32 v39, v41, v54
	v_lshrrev_b64 v[37:38], 24, v[33:34]
	s_branch .LBB983_424
.LBB983_414:
                                        ; implicit-def: $vgpr39
                                        ; implicit-def: $vgpr41
                                        ; implicit-def: $vgpr43
                                        ; implicit-def: $vgpr45
                                        ; implicit-def: $vgpr47
                                        ; implicit-def: $vgpr49
                                        ; implicit-def: $vgpr51
                                        ; implicit-def: $vgpr53
                                        ; implicit-def: $sgpr8
                                        ; implicit-def: $vgpr35
	v_lshrrev_b64 v[37:38], 24, v[33:34]
	s_and_b32 vcc_lo, exec_lo, s9
	s_cbranch_vccz .LBB983_424
; %bb.415:
	v_mov_b32_dpp v35, v59 row_shr:1 row_mask:0xf bank_mask:0xf
	s_delay_alu instid0(VALU_DEP_1) | instskip(NEXT) | instid1(VALU_DEP_1)
	v_cndmask_b32_e64 v35, v35, 0, s4
	v_add_nc_u32_e32 v35, v35, v59
	s_delay_alu instid0(VALU_DEP_1) | instskip(NEXT) | instid1(VALU_DEP_1)
	v_mov_b32_dpp v36, v35 row_shr:2 row_mask:0xf bank_mask:0xf
	v_cndmask_b32_e64 v36, 0, v36, s2
	s_delay_alu instid0(VALU_DEP_1) | instskip(NEXT) | instid1(VALU_DEP_1)
	v_add_nc_u32_e32 v35, v35, v36
	v_mov_b32_dpp v36, v35 row_shr:4 row_mask:0xf bank_mask:0xf
	s_delay_alu instid0(VALU_DEP_1) | instskip(NEXT) | instid1(VALU_DEP_1)
	v_cndmask_b32_e64 v36, 0, v36, s5
	v_add_nc_u32_e32 v35, v35, v36
	s_delay_alu instid0(VALU_DEP_1) | instskip(NEXT) | instid1(VALU_DEP_1)
	v_mov_b32_dpp v36, v35 row_shr:8 row_mask:0xf bank_mask:0xf
	v_cndmask_b32_e64 v36, 0, v36, s3
	s_delay_alu instid0(VALU_DEP_1) | instskip(SKIP_3) | instid1(VALU_DEP_1)
	v_add_nc_u32_e32 v35, v35, v36
	ds_swizzle_b32 v36, v35 offset:swizzle(BROADCAST,32,15)
	s_waitcnt lgkmcnt(0)
	v_cndmask_b32_e64 v36, v36, 0, s7
	v_add_nc_u32_e32 v35, v35, v36
	s_and_saveexec_b32 s7, s6
	s_cbranch_execz .LBB983_417
; %bb.416:
	v_lshlrev_b32_e32 v36, 2, v58
	ds_store_b32 v36, v35
.LBB983_417:
	s_or_b32 exec_lo, exec_lo, s7
	s_delay_alu instid0(SALU_CYCLE_1)
	s_mov_b32 s6, exec_lo
	s_waitcnt lgkmcnt(0)
	s_barrier
	buffer_gl0_inv
	v_cmpx_gt_u32_e32 16, v0
	s_cbranch_execz .LBB983_419
; %bb.418:
	v_lshlrev_b32_e32 v36, 2, v0
	ds_load_b32 v38, v36
	s_waitcnt lgkmcnt(0)
	v_mov_b32_dpp v39, v38 row_shr:1 row_mask:0xf bank_mask:0xf
	s_delay_alu instid0(VALU_DEP_1) | instskip(NEXT) | instid1(VALU_DEP_1)
	v_cndmask_b32_e64 v39, v39, 0, s4
	v_add_nc_u32_e32 v38, v39, v38
	s_delay_alu instid0(VALU_DEP_1) | instskip(NEXT) | instid1(VALU_DEP_1)
	v_mov_b32_dpp v39, v38 row_shr:2 row_mask:0xf bank_mask:0xf
	v_cndmask_b32_e64 v39, 0, v39, s2
	s_delay_alu instid0(VALU_DEP_1) | instskip(NEXT) | instid1(VALU_DEP_1)
	v_add_nc_u32_e32 v38, v38, v39
	v_mov_b32_dpp v39, v38 row_shr:4 row_mask:0xf bank_mask:0xf
	s_delay_alu instid0(VALU_DEP_1) | instskip(NEXT) | instid1(VALU_DEP_1)
	v_cndmask_b32_e64 v39, 0, v39, s5
	v_add_nc_u32_e32 v38, v38, v39
	s_delay_alu instid0(VALU_DEP_1) | instskip(NEXT) | instid1(VALU_DEP_1)
	v_mov_b32_dpp v39, v38 row_shr:8 row_mask:0xf bank_mask:0xf
	v_cndmask_b32_e64 v39, 0, v39, s3
	s_delay_alu instid0(VALU_DEP_1)
	v_add_nc_u32_e32 v38, v38, v39
	ds_store_b32 v36, v38
.LBB983_419:
	s_or_b32 exec_lo, exec_lo, s6
	v_mov_b32_e32 v36, 0
	v_mov_b32_e32 v38, 0
	s_mov_b32 s2, exec_lo
	s_waitcnt lgkmcnt(0)
	s_barrier
	buffer_gl0_inv
	v_cmpx_lt_u32_e32 31, v0
	s_cbranch_execz .LBB983_421
; %bb.420:
	v_lshl_add_u32 v38, v58, 2, -4
	ds_load_b32 v38, v38
.LBB983_421:
	s_or_b32 exec_lo, exec_lo, s2
	v_add_nc_u32_e32 v39, -1, v57
	s_waitcnt lgkmcnt(0)
	v_add_nc_u32_e32 v35, v38, v35
	s_mov_b32 s8, 0
	s_delay_alu instid0(VALU_DEP_2) | instskip(SKIP_2) | instid1(VALU_DEP_2)
	v_cmp_gt_i32_e32 vcc_lo, 0, v39
	v_cndmask_b32_e32 v39, v39, v57, vcc_lo
	v_cmp_eq_u32_e32 vcc_lo, 0, v0
	v_lshlrev_b32_e32 v39, 2, v39
	ds_bpermute_b32 v39, v39, v35
	ds_load_b32 v35, v36 offset:60
	s_and_saveexec_b32 s2, vcc_lo
	s_cbranch_execz .LBB983_423
; %bb.422:
	v_mov_b32_e32 v40, 0
	v_mov_b32_e32 v36, 2
	s_waitcnt lgkmcnt(0)
	global_store_b64 v40, v[35:36], s[10:11] offset:256
.LBB983_423:
	s_or_b32 exec_lo, exec_lo, s2
	v_cmp_eq_u32_e64 s2, 0, v57
	s_waitcnt lgkmcnt(0)
	s_waitcnt_vscnt null, 0x0
	s_barrier
	buffer_gl0_inv
	v_cndmask_b32_e64 v36, v39, v38, s2
	s_delay_alu instid0(VALU_DEP_1) | instskip(NEXT) | instid1(VALU_DEP_1)
	v_cndmask_b32_e64 v53, v36, 0, vcc_lo
	v_add_nc_u32_e32 v51, v53, v42
	s_delay_alu instid0(VALU_DEP_1) | instskip(NEXT) | instid1(VALU_DEP_1)
	v_add_nc_u32_e32 v49, v51, v44
	v_add_nc_u32_e32 v47, v49, v46
	s_delay_alu instid0(VALU_DEP_1) | instskip(NEXT) | instid1(VALU_DEP_1)
	v_add_nc_u32_e32 v45, v47, v48
	;; [unrolled: 3-line block ×3, first 2 shown]
	v_add_nc_u32_e32 v39, v41, v54
.LBB983_424:
	s_load_b128 s[4:7], s[0:1], 0x28
	v_add_nc_u32_e32 v59, s8, v35
	v_cmp_gt_u32_e64 s0, 0x201, v35
	v_lshrrev_b32_e32 v58, 8, v33
	v_lshrrev_b32_e32 v57, 16, v33
	;; [unrolled: 1-line block ×4, first 2 shown]
	v_cmp_lt_u32_e64 s1, v53, v59
	s_and_b32 vcc_lo, exec_lo, s0
	s_mov_b32 s2, -1
	s_cbranch_vccz .LBB983_450
; %bb.425:
	s_delay_alu instid0(VALU_DEP_1) | instskip(NEXT) | instid1(SALU_CYCLE_1)
	s_or_b32 s2, s20, s1
	s_and_saveexec_b32 s1, s2
	s_cbranch_execz .LBB983_428
; %bb.426:
	v_and_b32_e32 v40, 1, v33
	s_delay_alu instid0(VALU_DEP_1)
	v_cmp_eq_u32_e32 vcc_lo, 1, v40
	s_and_b32 exec_lo, exec_lo, vcc_lo
	s_cbranch_execz .LBB983_428
; %bb.427:
	v_mov_b32_e32 v54, 0
	s_lshl_b64 s[2:3], s[12:13], 3
	s_waitcnt lgkmcnt(0)
	s_add_u32 s2, s4, s2
	s_addc_u32 s3, s5, s3
	v_lshlrev_b64 v[60:61], 3, v[53:54]
	s_delay_alu instid0(VALU_DEP_1) | instskip(NEXT) | instid1(VALU_DEP_2)
	v_add_co_u32 v60, vcc_lo, s2, v60
	v_add_co_ci_u32_e32 v61, vcc_lo, s3, v61, vcc_lo
	global_store_b64 v[60:61], v[29:30], off
.LBB983_428:
	s_or_b32 exec_lo, exec_lo, s1
	v_cmp_lt_u32_e32 vcc_lo, v51, v59
	s_or_b32 s2, s20, vcc_lo
	s_delay_alu instid0(SALU_CYCLE_1)
	s_and_saveexec_b32 s1, s2
	s_cbranch_execz .LBB983_431
; %bb.429:
	v_and_b32_e32 v40, 1, v58
	s_delay_alu instid0(VALU_DEP_1)
	v_cmp_eq_u32_e32 vcc_lo, 1, v40
	s_and_b32 exec_lo, exec_lo, vcc_lo
	s_cbranch_execz .LBB983_431
; %bb.430:
	v_mov_b32_e32 v52, 0
	s_lshl_b64 s[2:3], s[12:13], 3
	s_waitcnt lgkmcnt(0)
	s_add_u32 s2, s4, s2
	s_addc_u32 s3, s5, s3
	v_lshlrev_b64 v[60:61], 3, v[51:52]
	s_delay_alu instid0(VALU_DEP_1) | instskip(NEXT) | instid1(VALU_DEP_2)
	v_add_co_u32 v60, vcc_lo, s2, v60
	v_add_co_ci_u32_e32 v61, vcc_lo, s3, v61, vcc_lo
	global_store_b64 v[60:61], v[31:32], off
.LBB983_431:
	s_or_b32 exec_lo, exec_lo, s1
	v_cmp_lt_u32_e32 vcc_lo, v49, v59
	s_or_b32 s2, s20, vcc_lo
	s_delay_alu instid0(SALU_CYCLE_1)
	;; [unrolled: 24-line block ×7, first 2 shown]
	s_and_saveexec_b32 s1, s2
	s_cbranch_execz .LBB983_449
; %bb.447:
	v_and_b32_e32 v40, 1, v56
	s_delay_alu instid0(VALU_DEP_1)
	v_cmp_eq_u32_e32 vcc_lo, 1, v40
	s_and_b32 exec_lo, exec_lo, vcc_lo
	s_cbranch_execz .LBB983_449
; %bb.448:
	v_mov_b32_e32 v40, 0
	s_lshl_b64 s[2:3], s[12:13], 3
	s_waitcnt lgkmcnt(0)
	s_add_u32 s2, s4, s2
	s_addc_u32 s3, s5, s3
	v_lshlrev_b64 v[60:61], 3, v[39:40]
	s_delay_alu instid0(VALU_DEP_1) | instskip(NEXT) | instid1(VALU_DEP_2)
	v_add_co_u32 v60, vcc_lo, s2, v60
	v_add_co_ci_u32_e32 v61, vcc_lo, s3, v61, vcc_lo
	global_store_b64 v[60:61], v[19:20], off
.LBB983_449:
	s_or_b32 exec_lo, exec_lo, s1
	s_mov_b32 s2, 0
.LBB983_450:
	v_and_b32_e32 v33, 1, v33
	s_and_b32 vcc_lo, exec_lo, s2
	s_delay_alu instid0(VALU_DEP_1)
	v_cmp_eq_u32_e64 s1, 1, v33
	s_cbranch_vccz .LBB983_471
; %bb.451:
	s_delay_alu instid0(VALU_DEP_1)
	s_and_saveexec_b32 s2, s1
	s_cbranch_execz .LBB983_453
; %bb.452:
	v_subrev_nc_u32_e32 v40, s8, v53
	s_delay_alu instid0(VALU_DEP_1)
	v_lshlrev_b32_e32 v40, 3, v40
	ds_store_b64 v40, v[29:30]
.LBB983_453:
	s_or_b32 exec_lo, exec_lo, s2
	v_and_b32_e32 v29, 1, v58
	s_mov_b32 s1, exec_lo
	s_delay_alu instid0(VALU_DEP_1)
	v_cmpx_eq_u32_e32 1, v29
	s_cbranch_execz .LBB983_455
; %bb.454:
	v_subrev_nc_u32_e32 v29, s8, v51
	s_delay_alu instid0(VALU_DEP_1)
	v_lshlrev_b32_e32 v29, 3, v29
	ds_store_b64 v29, v[31:32]
.LBB983_455:
	s_or_b32 exec_lo, exec_lo, s1
	v_and_b32_e32 v29, 1, v57
	s_mov_b32 s1, exec_lo
	s_delay_alu instid0(VALU_DEP_1)
	v_cmpx_eq_u32_e32 1, v29
	;; [unrolled: 12-line block ×7, first 2 shown]
	s_cbranch_execz .LBB983_467
; %bb.466:
	v_subrev_nc_u32_e32 v17, s8, v39
	s_delay_alu instid0(VALU_DEP_1)
	v_lshlrev_b32_e32 v17, 3, v17
	ds_store_b64 v17, v[19:20]
.LBB983_467:
	s_or_b32 exec_lo, exec_lo, s1
	s_delay_alu instid0(SALU_CYCLE_1)
	s_mov_b32 s2, exec_lo
	s_waitcnt lgkmcnt(0)
	s_waitcnt_vscnt null, 0x0
	s_barrier
	buffer_gl0_inv
	v_cmpx_lt_u32_e64 v0, v35
	s_cbranch_execz .LBB983_470
; %bb.468:
	s_mov_b32 s9, 0
	s_lshl_b64 s[10:11], s[12:13], 3
	s_lshl_b64 s[18:19], s[8:9], 3
	v_dual_mov_b32 v19, v55 :: v_dual_mov_b32 v20, v0
	s_add_u32 s1, s10, s18
	s_addc_u32 s3, s11, s19
	s_add_u32 s1, s4, s1
	s_addc_u32 s3, s5, s3
	v_add_co_u32 v17, s1, s1, v55
	s_delay_alu instid0(VALU_DEP_1)
	v_add_co_ci_u32_e64 v18, null, s3, 0, s1
	.p2align	6
.LBB983_469:                            ; =>This Inner Loop Header: Depth=1
	ds_load_b64 v[21:22], v19
	v_add_nc_u32_e32 v20, 0x200, v20
	v_add_nc_u32_e32 v19, 0x1000, v19
	s_delay_alu instid0(VALU_DEP_2) | instskip(SKIP_4) | instid1(VALU_DEP_1)
	v_cmp_ge_u32_e32 vcc_lo, v20, v35
	s_or_b32 s9, vcc_lo, s9
	s_waitcnt lgkmcnt(0)
	global_store_b64 v[17:18], v[21:22], off
	v_add_co_u32 v17, s1, 0x1000, v17
	v_add_co_ci_u32_e64 v18, s1, 0, v18, s1
	s_and_not1_b32 exec_lo, exec_lo, s9
	s_cbranch_execnz .LBB983_469
.LBB983_470:
	s_or_b32 exec_lo, exec_lo, s2
.LBB983_471:
	s_delay_alu instid0(SALU_CYCLE_1)
	s_and_b32 vcc_lo, exec_lo, s0
	s_mov_b32 s0, -1
	s_waitcnt lgkmcnt(0)
	s_waitcnt_vscnt null, 0x0
	s_barrier
	buffer_gl0_inv
	s_cbranch_vccz .LBB983_499
; %bb.472:
	v_cmp_lt_u32_e32 vcc_lo, v53, v59
	s_or_b32 s1, s20, vcc_lo
	s_delay_alu instid0(SALU_CYCLE_1)
	s_and_saveexec_b32 s0, s1
	s_cbranch_execz .LBB983_475
; %bb.473:
	v_cmp_eq_u32_e32 vcc_lo, 1, v33
	s_and_b32 exec_lo, exec_lo, vcc_lo
	s_cbranch_execz .LBB983_475
; %bb.474:
	v_mov_b32_e32 v54, 0
	s_lshl_b64 s[2:3], s[12:13], 3
	s_delay_alu instid0(SALU_CYCLE_1) | instskip(SKIP_1) | instid1(VALU_DEP_1)
	s_add_u32 s1, s6, s2
	s_addc_u32 s2, s7, s3
	v_lshlrev_b64 v[17:18], 3, v[53:54]
	s_delay_alu instid0(VALU_DEP_1) | instskip(NEXT) | instid1(VALU_DEP_2)
	v_add_co_u32 v17, vcc_lo, s1, v17
	v_add_co_ci_u32_e32 v18, vcc_lo, s2, v18, vcc_lo
	global_store_b64 v[17:18], v[13:14], off
.LBB983_475:
	s_or_b32 exec_lo, exec_lo, s0
	v_cmp_lt_u32_e32 vcc_lo, v51, v59
	s_or_b32 s1, s20, vcc_lo
	s_delay_alu instid0(SALU_CYCLE_1)
	s_and_saveexec_b32 s0, s1
	s_cbranch_execz .LBB983_478
; %bb.476:
	v_and_b32_e32 v17, 1, v58
	s_delay_alu instid0(VALU_DEP_1)
	v_cmp_eq_u32_e32 vcc_lo, 1, v17
	s_and_b32 exec_lo, exec_lo, vcc_lo
	s_cbranch_execz .LBB983_478
; %bb.477:
	v_mov_b32_e32 v52, 0
	s_lshl_b64 s[2:3], s[12:13], 3
	s_delay_alu instid0(SALU_CYCLE_1) | instskip(SKIP_1) | instid1(VALU_DEP_1)
	s_add_u32 s1, s6, s2
	s_addc_u32 s2, s7, s3
	v_lshlrev_b64 v[17:18], 3, v[51:52]
	s_delay_alu instid0(VALU_DEP_1) | instskip(NEXT) | instid1(VALU_DEP_2)
	v_add_co_u32 v17, vcc_lo, s1, v17
	v_add_co_ci_u32_e32 v18, vcc_lo, s2, v18, vcc_lo
	global_store_b64 v[17:18], v[15:16], off
.LBB983_478:
	s_or_b32 exec_lo, exec_lo, s0
	v_cmp_lt_u32_e32 vcc_lo, v49, v59
	s_or_b32 s1, s20, vcc_lo
	s_delay_alu instid0(SALU_CYCLE_1)
	s_and_saveexec_b32 s0, s1
	s_cbranch_execz .LBB983_481
; %bb.479:
	v_and_b32_e32 v17, 1, v57
	s_delay_alu instid0(VALU_DEP_1)
	v_cmp_eq_u32_e32 vcc_lo, 1, v17
	s_and_b32 exec_lo, exec_lo, vcc_lo
	s_cbranch_execz .LBB983_481
; %bb.480:
	v_mov_b32_e32 v50, 0
	s_lshl_b64 s[2:3], s[12:13], 3
	s_delay_alu instid0(SALU_CYCLE_1) | instskip(SKIP_1) | instid1(VALU_DEP_1)
	s_add_u32 s1, s6, s2
	s_addc_u32 s2, s7, s3
	v_lshlrev_b64 v[17:18], 3, v[49:50]
	s_delay_alu instid0(VALU_DEP_1) | instskip(NEXT) | instid1(VALU_DEP_2)
	v_add_co_u32 v17, vcc_lo, s1, v17
	v_add_co_ci_u32_e32 v18, vcc_lo, s2, v18, vcc_lo
	global_store_b64 v[17:18], v[9:10], off
.LBB983_481:
	;; [unrolled: 24-line block ×7, first 2 shown]
	s_or_b32 exec_lo, exec_lo, s0
.LBB983_497:
	v_cmp_eq_u32_e32 vcc_lo, 0, v0
	s_and_b32 s0, vcc_lo, s14
	s_delay_alu instid0(SALU_CYCLE_1)
	s_and_saveexec_b32 s1, s0
	s_cbranch_execz .LBB983_520
.LBB983_498:
	v_add_co_u32 v0, s0, s12, v35
	s_delay_alu instid0(VALU_DEP_1) | instskip(SKIP_1) | instid1(VALU_DEP_3)
	v_add_co_ci_u32_e64 v1, null, s13, 0, s0
	v_mov_b32_e32 v2, 0
	v_add_co_u32 v0, vcc_lo, v0, s8
	s_delay_alu instid0(VALU_DEP_3)
	v_add_co_ci_u32_e32 v1, vcc_lo, 0, v1, vcc_lo
	global_store_b64 v2, v[0:1], s[16:17]
	s_nop 0
	s_sendmsg sendmsg(MSG_DEALLOC_VGPRS)
	s_endpgm
.LBB983_499:
	s_and_b32 vcc_lo, exec_lo, s0
	s_cbranch_vccz .LBB983_497
; %bb.500:
	s_mov_b32 s0, exec_lo
	v_cmpx_eq_u32_e32 1, v33
	s_cbranch_execz .LBB983_502
; %bb.501:
	v_subrev_nc_u32_e32 v17, s8, v53
	s_delay_alu instid0(VALU_DEP_1)
	v_lshlrev_b32_e32 v17, 3, v17
	ds_store_b64 v17, v[13:14]
.LBB983_502:
	s_or_b32 exec_lo, exec_lo, s0
	v_and_b32_e32 v13, 1, v58
	s_mov_b32 s0, exec_lo
	s_delay_alu instid0(VALU_DEP_1)
	v_cmpx_eq_u32_e32 1, v13
	s_cbranch_execz .LBB983_504
; %bb.503:
	v_subrev_nc_u32_e32 v13, s8, v51
	s_delay_alu instid0(VALU_DEP_1)
	v_lshlrev_b32_e32 v13, 3, v13
	ds_store_b64 v13, v[15:16]
.LBB983_504:
	s_or_b32 exec_lo, exec_lo, s0
	v_and_b32_e32 v13, 1, v57
	s_mov_b32 s0, exec_lo
	s_delay_alu instid0(VALU_DEP_1)
	;; [unrolled: 12-line block ×7, first 2 shown]
	v_cmpx_eq_u32_e32 1, v1
	s_cbranch_execz .LBB983_516
; %bb.515:
	v_subrev_nc_u32_e32 v1, s8, v39
	s_delay_alu instid0(VALU_DEP_1)
	v_lshlrev_b32_e32 v1, 3, v1
	ds_store_b64 v1, v[3:4]
.LBB983_516:
	s_or_b32 exec_lo, exec_lo, s0
	s_delay_alu instid0(SALU_CYCLE_1)
	s_mov_b32 s1, exec_lo
	s_waitcnt lgkmcnt(0)
	s_waitcnt_vscnt null, 0x0
	s_barrier
	buffer_gl0_inv
	v_cmpx_lt_u32_e64 v0, v35
	s_cbranch_execz .LBB983_519
; %bb.517:
	s_mov_b32 s9, 0
	s_lshl_b64 s[2:3], s[12:13], 3
	s_lshl_b64 s[4:5], s[8:9], 3
	v_mov_b32_e32 v3, v0
	s_add_u32 s0, s2, s4
	s_addc_u32 s2, s3, s5
	s_add_u32 s0, s6, s0
	s_addc_u32 s2, s7, s2
	v_add_co_u32 v1, s0, s0, v55
	s_delay_alu instid0(VALU_DEP_1)
	v_add_co_ci_u32_e64 v2, null, s2, 0, s0
	.p2align	6
.LBB983_518:                            ; =>This Inner Loop Header: Depth=1
	ds_load_b64 v[4:5], v55
	v_add_nc_u32_e32 v3, 0x200, v3
	v_add_nc_u32_e32 v55, 0x1000, v55
	s_delay_alu instid0(VALU_DEP_2) | instskip(SKIP_4) | instid1(VALU_DEP_1)
	v_cmp_ge_u32_e32 vcc_lo, v3, v35
	s_or_b32 s9, vcc_lo, s9
	s_waitcnt lgkmcnt(0)
	global_store_b64 v[1:2], v[4:5], off
	v_add_co_u32 v1, s0, 0x1000, v1
	v_add_co_ci_u32_e64 v2, s0, 0, v2, s0
	s_and_not1_b32 exec_lo, exec_lo, s9
	s_cbranch_execnz .LBB983_518
.LBB983_519:
	s_or_b32 exec_lo, exec_lo, s1
	v_cmp_eq_u32_e32 vcc_lo, 0, v0
	s_and_b32 s0, vcc_lo, s14
	s_delay_alu instid0(SALU_CYCLE_1)
	s_and_saveexec_b32 s1, s0
	s_cbranch_execnz .LBB983_498
.LBB983_520:
	s_nop 0
	s_sendmsg sendmsg(MSG_DEALLOC_VGPRS)
	s_endpgm
	.section	.rodata,"a",@progbits
	.p2align	6, 0x0
	.amdhsa_kernel _ZN7rocprim17ROCPRIM_400000_NS6detail17trampoline_kernelINS0_14default_configENS1_25partition_config_selectorILNS1_17partition_subalgoE9EllbEEZZNS1_14partition_implILS5_9ELb0ES3_jPlS8_PNS0_10empty_typeENS0_5tupleIJS8_S9_EEENSB_IJS8_SA_EEENS0_18inequality_wrapperIZN2at6native12_GLOBAL__N_124unique_dim_cuda_templateIfEESt5tupleIJNSF_6TensorESK_SK_EERKSK_lbbbEUlllE0_EEPmJS9_EEE10hipError_tPvRmT3_T4_T5_T6_T7_T9_mT8_P12ihipStream_tbDpT10_ENKUlT_T0_E_clISt17integral_constantIbLb1EES19_IbLb0EEEEDaS15_S16_EUlS15_E_NS1_11comp_targetILNS1_3genE9ELNS1_11target_archE1100ELNS1_3gpuE3ELNS1_3repE0EEENS1_30default_config_static_selectorELNS0_4arch9wavefront6targetE0EEEvT1_
		.amdhsa_group_segment_fixed_size 33804
		.amdhsa_private_segment_fixed_size 0
		.amdhsa_kernarg_size 120
		.amdhsa_user_sgpr_count 15
		.amdhsa_user_sgpr_dispatch_ptr 0
		.amdhsa_user_sgpr_queue_ptr 0
		.amdhsa_user_sgpr_kernarg_segment_ptr 1
		.amdhsa_user_sgpr_dispatch_id 0
		.amdhsa_user_sgpr_private_segment_size 0
		.amdhsa_wavefront_size32 1
		.amdhsa_uses_dynamic_stack 0
		.amdhsa_enable_private_segment 0
		.amdhsa_system_sgpr_workgroup_id_x 1
		.amdhsa_system_sgpr_workgroup_id_y 0
		.amdhsa_system_sgpr_workgroup_id_z 0
		.amdhsa_system_sgpr_workgroup_info 0
		.amdhsa_system_vgpr_workitem_id 0
		.amdhsa_next_free_vgpr 68
		.amdhsa_next_free_sgpr 36
		.amdhsa_reserve_vcc 1
		.amdhsa_float_round_mode_32 0
		.amdhsa_float_round_mode_16_64 0
		.amdhsa_float_denorm_mode_32 3
		.amdhsa_float_denorm_mode_16_64 3
		.amdhsa_dx10_clamp 1
		.amdhsa_ieee_mode 1
		.amdhsa_fp16_overflow 0
		.amdhsa_workgroup_processor_mode 1
		.amdhsa_memory_ordered 1
		.amdhsa_forward_progress 0
		.amdhsa_shared_vgpr_count 0
		.amdhsa_exception_fp_ieee_invalid_op 0
		.amdhsa_exception_fp_denorm_src 0
		.amdhsa_exception_fp_ieee_div_zero 0
		.amdhsa_exception_fp_ieee_overflow 0
		.amdhsa_exception_fp_ieee_underflow 0
		.amdhsa_exception_fp_ieee_inexact 0
		.amdhsa_exception_int_div_zero 0
	.end_amdhsa_kernel
	.section	.text._ZN7rocprim17ROCPRIM_400000_NS6detail17trampoline_kernelINS0_14default_configENS1_25partition_config_selectorILNS1_17partition_subalgoE9EllbEEZZNS1_14partition_implILS5_9ELb0ES3_jPlS8_PNS0_10empty_typeENS0_5tupleIJS8_S9_EEENSB_IJS8_SA_EEENS0_18inequality_wrapperIZN2at6native12_GLOBAL__N_124unique_dim_cuda_templateIfEESt5tupleIJNSF_6TensorESK_SK_EERKSK_lbbbEUlllE0_EEPmJS9_EEE10hipError_tPvRmT3_T4_T5_T6_T7_T9_mT8_P12ihipStream_tbDpT10_ENKUlT_T0_E_clISt17integral_constantIbLb1EES19_IbLb0EEEEDaS15_S16_EUlS15_E_NS1_11comp_targetILNS1_3genE9ELNS1_11target_archE1100ELNS1_3gpuE3ELNS1_3repE0EEENS1_30default_config_static_selectorELNS0_4arch9wavefront6targetE0EEEvT1_,"axG",@progbits,_ZN7rocprim17ROCPRIM_400000_NS6detail17trampoline_kernelINS0_14default_configENS1_25partition_config_selectorILNS1_17partition_subalgoE9EllbEEZZNS1_14partition_implILS5_9ELb0ES3_jPlS8_PNS0_10empty_typeENS0_5tupleIJS8_S9_EEENSB_IJS8_SA_EEENS0_18inequality_wrapperIZN2at6native12_GLOBAL__N_124unique_dim_cuda_templateIfEESt5tupleIJNSF_6TensorESK_SK_EERKSK_lbbbEUlllE0_EEPmJS9_EEE10hipError_tPvRmT3_T4_T5_T6_T7_T9_mT8_P12ihipStream_tbDpT10_ENKUlT_T0_E_clISt17integral_constantIbLb1EES19_IbLb0EEEEDaS15_S16_EUlS15_E_NS1_11comp_targetILNS1_3genE9ELNS1_11target_archE1100ELNS1_3gpuE3ELNS1_3repE0EEENS1_30default_config_static_selectorELNS0_4arch9wavefront6targetE0EEEvT1_,comdat
.Lfunc_end983:
	.size	_ZN7rocprim17ROCPRIM_400000_NS6detail17trampoline_kernelINS0_14default_configENS1_25partition_config_selectorILNS1_17partition_subalgoE9EllbEEZZNS1_14partition_implILS5_9ELb0ES3_jPlS8_PNS0_10empty_typeENS0_5tupleIJS8_S9_EEENSB_IJS8_SA_EEENS0_18inequality_wrapperIZN2at6native12_GLOBAL__N_124unique_dim_cuda_templateIfEESt5tupleIJNSF_6TensorESK_SK_EERKSK_lbbbEUlllE0_EEPmJS9_EEE10hipError_tPvRmT3_T4_T5_T6_T7_T9_mT8_P12ihipStream_tbDpT10_ENKUlT_T0_E_clISt17integral_constantIbLb1EES19_IbLb0EEEEDaS15_S16_EUlS15_E_NS1_11comp_targetILNS1_3genE9ELNS1_11target_archE1100ELNS1_3gpuE3ELNS1_3repE0EEENS1_30default_config_static_selectorELNS0_4arch9wavefront6targetE0EEEvT1_, .Lfunc_end983-_ZN7rocprim17ROCPRIM_400000_NS6detail17trampoline_kernelINS0_14default_configENS1_25partition_config_selectorILNS1_17partition_subalgoE9EllbEEZZNS1_14partition_implILS5_9ELb0ES3_jPlS8_PNS0_10empty_typeENS0_5tupleIJS8_S9_EEENSB_IJS8_SA_EEENS0_18inequality_wrapperIZN2at6native12_GLOBAL__N_124unique_dim_cuda_templateIfEESt5tupleIJNSF_6TensorESK_SK_EERKSK_lbbbEUlllE0_EEPmJS9_EEE10hipError_tPvRmT3_T4_T5_T6_T7_T9_mT8_P12ihipStream_tbDpT10_ENKUlT_T0_E_clISt17integral_constantIbLb1EES19_IbLb0EEEEDaS15_S16_EUlS15_E_NS1_11comp_targetILNS1_3genE9ELNS1_11target_archE1100ELNS1_3gpuE3ELNS1_3repE0EEENS1_30default_config_static_selectorELNS0_4arch9wavefront6targetE0EEEvT1_
                                        ; -- End function
	.section	.AMDGPU.csdata,"",@progbits
; Kernel info:
; codeLenInByte = 20460
; NumSgprs: 38
; NumVgprs: 68
; ScratchSize: 0
; MemoryBound: 0
; FloatMode: 240
; IeeeMode: 1
; LDSByteSize: 33804 bytes/workgroup (compile time only)
; SGPRBlocks: 4
; VGPRBlocks: 8
; NumSGPRsForWavesPerEU: 38
; NumVGPRsForWavesPerEU: 68
; Occupancy: 12
; WaveLimiterHint : 1
; COMPUTE_PGM_RSRC2:SCRATCH_EN: 0
; COMPUTE_PGM_RSRC2:USER_SGPR: 15
; COMPUTE_PGM_RSRC2:TRAP_HANDLER: 0
; COMPUTE_PGM_RSRC2:TGID_X_EN: 1
; COMPUTE_PGM_RSRC2:TGID_Y_EN: 0
; COMPUTE_PGM_RSRC2:TGID_Z_EN: 0
; COMPUTE_PGM_RSRC2:TIDIG_COMP_CNT: 0
	.section	.text._ZN7rocprim17ROCPRIM_400000_NS6detail17trampoline_kernelINS0_14default_configENS1_25partition_config_selectorILNS1_17partition_subalgoE9EllbEEZZNS1_14partition_implILS5_9ELb0ES3_jPlS8_PNS0_10empty_typeENS0_5tupleIJS8_S9_EEENSB_IJS8_SA_EEENS0_18inequality_wrapperIZN2at6native12_GLOBAL__N_124unique_dim_cuda_templateIfEESt5tupleIJNSF_6TensorESK_SK_EERKSK_lbbbEUlllE0_EEPmJS9_EEE10hipError_tPvRmT3_T4_T5_T6_T7_T9_mT8_P12ihipStream_tbDpT10_ENKUlT_T0_E_clISt17integral_constantIbLb1EES19_IbLb0EEEEDaS15_S16_EUlS15_E_NS1_11comp_targetILNS1_3genE8ELNS1_11target_archE1030ELNS1_3gpuE2ELNS1_3repE0EEENS1_30default_config_static_selectorELNS0_4arch9wavefront6targetE0EEEvT1_,"axG",@progbits,_ZN7rocprim17ROCPRIM_400000_NS6detail17trampoline_kernelINS0_14default_configENS1_25partition_config_selectorILNS1_17partition_subalgoE9EllbEEZZNS1_14partition_implILS5_9ELb0ES3_jPlS8_PNS0_10empty_typeENS0_5tupleIJS8_S9_EEENSB_IJS8_SA_EEENS0_18inequality_wrapperIZN2at6native12_GLOBAL__N_124unique_dim_cuda_templateIfEESt5tupleIJNSF_6TensorESK_SK_EERKSK_lbbbEUlllE0_EEPmJS9_EEE10hipError_tPvRmT3_T4_T5_T6_T7_T9_mT8_P12ihipStream_tbDpT10_ENKUlT_T0_E_clISt17integral_constantIbLb1EES19_IbLb0EEEEDaS15_S16_EUlS15_E_NS1_11comp_targetILNS1_3genE8ELNS1_11target_archE1030ELNS1_3gpuE2ELNS1_3repE0EEENS1_30default_config_static_selectorELNS0_4arch9wavefront6targetE0EEEvT1_,comdat
	.globl	_ZN7rocprim17ROCPRIM_400000_NS6detail17trampoline_kernelINS0_14default_configENS1_25partition_config_selectorILNS1_17partition_subalgoE9EllbEEZZNS1_14partition_implILS5_9ELb0ES3_jPlS8_PNS0_10empty_typeENS0_5tupleIJS8_S9_EEENSB_IJS8_SA_EEENS0_18inequality_wrapperIZN2at6native12_GLOBAL__N_124unique_dim_cuda_templateIfEESt5tupleIJNSF_6TensorESK_SK_EERKSK_lbbbEUlllE0_EEPmJS9_EEE10hipError_tPvRmT3_T4_T5_T6_T7_T9_mT8_P12ihipStream_tbDpT10_ENKUlT_T0_E_clISt17integral_constantIbLb1EES19_IbLb0EEEEDaS15_S16_EUlS15_E_NS1_11comp_targetILNS1_3genE8ELNS1_11target_archE1030ELNS1_3gpuE2ELNS1_3repE0EEENS1_30default_config_static_selectorELNS0_4arch9wavefront6targetE0EEEvT1_ ; -- Begin function _ZN7rocprim17ROCPRIM_400000_NS6detail17trampoline_kernelINS0_14default_configENS1_25partition_config_selectorILNS1_17partition_subalgoE9EllbEEZZNS1_14partition_implILS5_9ELb0ES3_jPlS8_PNS0_10empty_typeENS0_5tupleIJS8_S9_EEENSB_IJS8_SA_EEENS0_18inequality_wrapperIZN2at6native12_GLOBAL__N_124unique_dim_cuda_templateIfEESt5tupleIJNSF_6TensorESK_SK_EERKSK_lbbbEUlllE0_EEPmJS9_EEE10hipError_tPvRmT3_T4_T5_T6_T7_T9_mT8_P12ihipStream_tbDpT10_ENKUlT_T0_E_clISt17integral_constantIbLb1EES19_IbLb0EEEEDaS15_S16_EUlS15_E_NS1_11comp_targetILNS1_3genE8ELNS1_11target_archE1030ELNS1_3gpuE2ELNS1_3repE0EEENS1_30default_config_static_selectorELNS0_4arch9wavefront6targetE0EEEvT1_
	.p2align	8
	.type	_ZN7rocprim17ROCPRIM_400000_NS6detail17trampoline_kernelINS0_14default_configENS1_25partition_config_selectorILNS1_17partition_subalgoE9EllbEEZZNS1_14partition_implILS5_9ELb0ES3_jPlS8_PNS0_10empty_typeENS0_5tupleIJS8_S9_EEENSB_IJS8_SA_EEENS0_18inequality_wrapperIZN2at6native12_GLOBAL__N_124unique_dim_cuda_templateIfEESt5tupleIJNSF_6TensorESK_SK_EERKSK_lbbbEUlllE0_EEPmJS9_EEE10hipError_tPvRmT3_T4_T5_T6_T7_T9_mT8_P12ihipStream_tbDpT10_ENKUlT_T0_E_clISt17integral_constantIbLb1EES19_IbLb0EEEEDaS15_S16_EUlS15_E_NS1_11comp_targetILNS1_3genE8ELNS1_11target_archE1030ELNS1_3gpuE2ELNS1_3repE0EEENS1_30default_config_static_selectorELNS0_4arch9wavefront6targetE0EEEvT1_,@function
_ZN7rocprim17ROCPRIM_400000_NS6detail17trampoline_kernelINS0_14default_configENS1_25partition_config_selectorILNS1_17partition_subalgoE9EllbEEZZNS1_14partition_implILS5_9ELb0ES3_jPlS8_PNS0_10empty_typeENS0_5tupleIJS8_S9_EEENSB_IJS8_SA_EEENS0_18inequality_wrapperIZN2at6native12_GLOBAL__N_124unique_dim_cuda_templateIfEESt5tupleIJNSF_6TensorESK_SK_EERKSK_lbbbEUlllE0_EEPmJS9_EEE10hipError_tPvRmT3_T4_T5_T6_T7_T9_mT8_P12ihipStream_tbDpT10_ENKUlT_T0_E_clISt17integral_constantIbLb1EES19_IbLb0EEEEDaS15_S16_EUlS15_E_NS1_11comp_targetILNS1_3genE8ELNS1_11target_archE1030ELNS1_3gpuE2ELNS1_3repE0EEENS1_30default_config_static_selectorELNS0_4arch9wavefront6targetE0EEEvT1_: ; @_ZN7rocprim17ROCPRIM_400000_NS6detail17trampoline_kernelINS0_14default_configENS1_25partition_config_selectorILNS1_17partition_subalgoE9EllbEEZZNS1_14partition_implILS5_9ELb0ES3_jPlS8_PNS0_10empty_typeENS0_5tupleIJS8_S9_EEENSB_IJS8_SA_EEENS0_18inequality_wrapperIZN2at6native12_GLOBAL__N_124unique_dim_cuda_templateIfEESt5tupleIJNSF_6TensorESK_SK_EERKSK_lbbbEUlllE0_EEPmJS9_EEE10hipError_tPvRmT3_T4_T5_T6_T7_T9_mT8_P12ihipStream_tbDpT10_ENKUlT_T0_E_clISt17integral_constantIbLb1EES19_IbLb0EEEEDaS15_S16_EUlS15_E_NS1_11comp_targetILNS1_3genE8ELNS1_11target_archE1030ELNS1_3gpuE2ELNS1_3repE0EEENS1_30default_config_static_selectorELNS0_4arch9wavefront6targetE0EEEvT1_
; %bb.0:
	.section	.rodata,"a",@progbits
	.p2align	6, 0x0
	.amdhsa_kernel _ZN7rocprim17ROCPRIM_400000_NS6detail17trampoline_kernelINS0_14default_configENS1_25partition_config_selectorILNS1_17partition_subalgoE9EllbEEZZNS1_14partition_implILS5_9ELb0ES3_jPlS8_PNS0_10empty_typeENS0_5tupleIJS8_S9_EEENSB_IJS8_SA_EEENS0_18inequality_wrapperIZN2at6native12_GLOBAL__N_124unique_dim_cuda_templateIfEESt5tupleIJNSF_6TensorESK_SK_EERKSK_lbbbEUlllE0_EEPmJS9_EEE10hipError_tPvRmT3_T4_T5_T6_T7_T9_mT8_P12ihipStream_tbDpT10_ENKUlT_T0_E_clISt17integral_constantIbLb1EES19_IbLb0EEEEDaS15_S16_EUlS15_E_NS1_11comp_targetILNS1_3genE8ELNS1_11target_archE1030ELNS1_3gpuE2ELNS1_3repE0EEENS1_30default_config_static_selectorELNS0_4arch9wavefront6targetE0EEEvT1_
		.amdhsa_group_segment_fixed_size 0
		.amdhsa_private_segment_fixed_size 0
		.amdhsa_kernarg_size 120
		.amdhsa_user_sgpr_count 15
		.amdhsa_user_sgpr_dispatch_ptr 0
		.amdhsa_user_sgpr_queue_ptr 0
		.amdhsa_user_sgpr_kernarg_segment_ptr 1
		.amdhsa_user_sgpr_dispatch_id 0
		.amdhsa_user_sgpr_private_segment_size 0
		.amdhsa_wavefront_size32 1
		.amdhsa_uses_dynamic_stack 0
		.amdhsa_enable_private_segment 0
		.amdhsa_system_sgpr_workgroup_id_x 1
		.amdhsa_system_sgpr_workgroup_id_y 0
		.amdhsa_system_sgpr_workgroup_id_z 0
		.amdhsa_system_sgpr_workgroup_info 0
		.amdhsa_system_vgpr_workitem_id 0
		.amdhsa_next_free_vgpr 1
		.amdhsa_next_free_sgpr 1
		.amdhsa_reserve_vcc 0
		.amdhsa_float_round_mode_32 0
		.amdhsa_float_round_mode_16_64 0
		.amdhsa_float_denorm_mode_32 3
		.amdhsa_float_denorm_mode_16_64 3
		.amdhsa_dx10_clamp 1
		.amdhsa_ieee_mode 1
		.amdhsa_fp16_overflow 0
		.amdhsa_workgroup_processor_mode 1
		.amdhsa_memory_ordered 1
		.amdhsa_forward_progress 0
		.amdhsa_shared_vgpr_count 0
		.amdhsa_exception_fp_ieee_invalid_op 0
		.amdhsa_exception_fp_denorm_src 0
		.amdhsa_exception_fp_ieee_div_zero 0
		.amdhsa_exception_fp_ieee_overflow 0
		.amdhsa_exception_fp_ieee_underflow 0
		.amdhsa_exception_fp_ieee_inexact 0
		.amdhsa_exception_int_div_zero 0
	.end_amdhsa_kernel
	.section	.text._ZN7rocprim17ROCPRIM_400000_NS6detail17trampoline_kernelINS0_14default_configENS1_25partition_config_selectorILNS1_17partition_subalgoE9EllbEEZZNS1_14partition_implILS5_9ELb0ES3_jPlS8_PNS0_10empty_typeENS0_5tupleIJS8_S9_EEENSB_IJS8_SA_EEENS0_18inequality_wrapperIZN2at6native12_GLOBAL__N_124unique_dim_cuda_templateIfEESt5tupleIJNSF_6TensorESK_SK_EERKSK_lbbbEUlllE0_EEPmJS9_EEE10hipError_tPvRmT3_T4_T5_T6_T7_T9_mT8_P12ihipStream_tbDpT10_ENKUlT_T0_E_clISt17integral_constantIbLb1EES19_IbLb0EEEEDaS15_S16_EUlS15_E_NS1_11comp_targetILNS1_3genE8ELNS1_11target_archE1030ELNS1_3gpuE2ELNS1_3repE0EEENS1_30default_config_static_selectorELNS0_4arch9wavefront6targetE0EEEvT1_,"axG",@progbits,_ZN7rocprim17ROCPRIM_400000_NS6detail17trampoline_kernelINS0_14default_configENS1_25partition_config_selectorILNS1_17partition_subalgoE9EllbEEZZNS1_14partition_implILS5_9ELb0ES3_jPlS8_PNS0_10empty_typeENS0_5tupleIJS8_S9_EEENSB_IJS8_SA_EEENS0_18inequality_wrapperIZN2at6native12_GLOBAL__N_124unique_dim_cuda_templateIfEESt5tupleIJNSF_6TensorESK_SK_EERKSK_lbbbEUlllE0_EEPmJS9_EEE10hipError_tPvRmT3_T4_T5_T6_T7_T9_mT8_P12ihipStream_tbDpT10_ENKUlT_T0_E_clISt17integral_constantIbLb1EES19_IbLb0EEEEDaS15_S16_EUlS15_E_NS1_11comp_targetILNS1_3genE8ELNS1_11target_archE1030ELNS1_3gpuE2ELNS1_3repE0EEENS1_30default_config_static_selectorELNS0_4arch9wavefront6targetE0EEEvT1_,comdat
.Lfunc_end984:
	.size	_ZN7rocprim17ROCPRIM_400000_NS6detail17trampoline_kernelINS0_14default_configENS1_25partition_config_selectorILNS1_17partition_subalgoE9EllbEEZZNS1_14partition_implILS5_9ELb0ES3_jPlS8_PNS0_10empty_typeENS0_5tupleIJS8_S9_EEENSB_IJS8_SA_EEENS0_18inequality_wrapperIZN2at6native12_GLOBAL__N_124unique_dim_cuda_templateIfEESt5tupleIJNSF_6TensorESK_SK_EERKSK_lbbbEUlllE0_EEPmJS9_EEE10hipError_tPvRmT3_T4_T5_T6_T7_T9_mT8_P12ihipStream_tbDpT10_ENKUlT_T0_E_clISt17integral_constantIbLb1EES19_IbLb0EEEEDaS15_S16_EUlS15_E_NS1_11comp_targetILNS1_3genE8ELNS1_11target_archE1030ELNS1_3gpuE2ELNS1_3repE0EEENS1_30default_config_static_selectorELNS0_4arch9wavefront6targetE0EEEvT1_, .Lfunc_end984-_ZN7rocprim17ROCPRIM_400000_NS6detail17trampoline_kernelINS0_14default_configENS1_25partition_config_selectorILNS1_17partition_subalgoE9EllbEEZZNS1_14partition_implILS5_9ELb0ES3_jPlS8_PNS0_10empty_typeENS0_5tupleIJS8_S9_EEENSB_IJS8_SA_EEENS0_18inequality_wrapperIZN2at6native12_GLOBAL__N_124unique_dim_cuda_templateIfEESt5tupleIJNSF_6TensorESK_SK_EERKSK_lbbbEUlllE0_EEPmJS9_EEE10hipError_tPvRmT3_T4_T5_T6_T7_T9_mT8_P12ihipStream_tbDpT10_ENKUlT_T0_E_clISt17integral_constantIbLb1EES19_IbLb0EEEEDaS15_S16_EUlS15_E_NS1_11comp_targetILNS1_3genE8ELNS1_11target_archE1030ELNS1_3gpuE2ELNS1_3repE0EEENS1_30default_config_static_selectorELNS0_4arch9wavefront6targetE0EEEvT1_
                                        ; -- End function
	.section	.AMDGPU.csdata,"",@progbits
; Kernel info:
; codeLenInByte = 0
; NumSgprs: 0
; NumVgprs: 0
; ScratchSize: 0
; MemoryBound: 0
; FloatMode: 240
; IeeeMode: 1
; LDSByteSize: 0 bytes/workgroup (compile time only)
; SGPRBlocks: 0
; VGPRBlocks: 0
; NumSGPRsForWavesPerEU: 1
; NumVGPRsForWavesPerEU: 1
; Occupancy: 16
; WaveLimiterHint : 0
; COMPUTE_PGM_RSRC2:SCRATCH_EN: 0
; COMPUTE_PGM_RSRC2:USER_SGPR: 15
; COMPUTE_PGM_RSRC2:TRAP_HANDLER: 0
; COMPUTE_PGM_RSRC2:TGID_X_EN: 1
; COMPUTE_PGM_RSRC2:TGID_Y_EN: 0
; COMPUTE_PGM_RSRC2:TGID_Z_EN: 0
; COMPUTE_PGM_RSRC2:TIDIG_COMP_CNT: 0
	.section	.text._ZN7rocprim17ROCPRIM_400000_NS6detail17trampoline_kernelINS0_14default_configENS1_25partition_config_selectorILNS1_17partition_subalgoE9EllbEEZZNS1_14partition_implILS5_9ELb0ES3_jPlS8_PNS0_10empty_typeENS0_5tupleIJS8_S9_EEENSB_IJS8_SA_EEENS0_18inequality_wrapperIZN2at6native12_GLOBAL__N_124unique_dim_cuda_templateIfEESt5tupleIJNSF_6TensorESK_SK_EERKSK_lbbbEUlllE0_EEPmJS9_EEE10hipError_tPvRmT3_T4_T5_T6_T7_T9_mT8_P12ihipStream_tbDpT10_ENKUlT_T0_E_clISt17integral_constantIbLb0EES19_IbLb1EEEEDaS15_S16_EUlS15_E_NS1_11comp_targetILNS1_3genE0ELNS1_11target_archE4294967295ELNS1_3gpuE0ELNS1_3repE0EEENS1_30default_config_static_selectorELNS0_4arch9wavefront6targetE0EEEvT1_,"axG",@progbits,_ZN7rocprim17ROCPRIM_400000_NS6detail17trampoline_kernelINS0_14default_configENS1_25partition_config_selectorILNS1_17partition_subalgoE9EllbEEZZNS1_14partition_implILS5_9ELb0ES3_jPlS8_PNS0_10empty_typeENS0_5tupleIJS8_S9_EEENSB_IJS8_SA_EEENS0_18inequality_wrapperIZN2at6native12_GLOBAL__N_124unique_dim_cuda_templateIfEESt5tupleIJNSF_6TensorESK_SK_EERKSK_lbbbEUlllE0_EEPmJS9_EEE10hipError_tPvRmT3_T4_T5_T6_T7_T9_mT8_P12ihipStream_tbDpT10_ENKUlT_T0_E_clISt17integral_constantIbLb0EES19_IbLb1EEEEDaS15_S16_EUlS15_E_NS1_11comp_targetILNS1_3genE0ELNS1_11target_archE4294967295ELNS1_3gpuE0ELNS1_3repE0EEENS1_30default_config_static_selectorELNS0_4arch9wavefront6targetE0EEEvT1_,comdat
	.globl	_ZN7rocprim17ROCPRIM_400000_NS6detail17trampoline_kernelINS0_14default_configENS1_25partition_config_selectorILNS1_17partition_subalgoE9EllbEEZZNS1_14partition_implILS5_9ELb0ES3_jPlS8_PNS0_10empty_typeENS0_5tupleIJS8_S9_EEENSB_IJS8_SA_EEENS0_18inequality_wrapperIZN2at6native12_GLOBAL__N_124unique_dim_cuda_templateIfEESt5tupleIJNSF_6TensorESK_SK_EERKSK_lbbbEUlllE0_EEPmJS9_EEE10hipError_tPvRmT3_T4_T5_T6_T7_T9_mT8_P12ihipStream_tbDpT10_ENKUlT_T0_E_clISt17integral_constantIbLb0EES19_IbLb1EEEEDaS15_S16_EUlS15_E_NS1_11comp_targetILNS1_3genE0ELNS1_11target_archE4294967295ELNS1_3gpuE0ELNS1_3repE0EEENS1_30default_config_static_selectorELNS0_4arch9wavefront6targetE0EEEvT1_ ; -- Begin function _ZN7rocprim17ROCPRIM_400000_NS6detail17trampoline_kernelINS0_14default_configENS1_25partition_config_selectorILNS1_17partition_subalgoE9EllbEEZZNS1_14partition_implILS5_9ELb0ES3_jPlS8_PNS0_10empty_typeENS0_5tupleIJS8_S9_EEENSB_IJS8_SA_EEENS0_18inequality_wrapperIZN2at6native12_GLOBAL__N_124unique_dim_cuda_templateIfEESt5tupleIJNSF_6TensorESK_SK_EERKSK_lbbbEUlllE0_EEPmJS9_EEE10hipError_tPvRmT3_T4_T5_T6_T7_T9_mT8_P12ihipStream_tbDpT10_ENKUlT_T0_E_clISt17integral_constantIbLb0EES19_IbLb1EEEEDaS15_S16_EUlS15_E_NS1_11comp_targetILNS1_3genE0ELNS1_11target_archE4294967295ELNS1_3gpuE0ELNS1_3repE0EEENS1_30default_config_static_selectorELNS0_4arch9wavefront6targetE0EEEvT1_
	.p2align	8
	.type	_ZN7rocprim17ROCPRIM_400000_NS6detail17trampoline_kernelINS0_14default_configENS1_25partition_config_selectorILNS1_17partition_subalgoE9EllbEEZZNS1_14partition_implILS5_9ELb0ES3_jPlS8_PNS0_10empty_typeENS0_5tupleIJS8_S9_EEENSB_IJS8_SA_EEENS0_18inequality_wrapperIZN2at6native12_GLOBAL__N_124unique_dim_cuda_templateIfEESt5tupleIJNSF_6TensorESK_SK_EERKSK_lbbbEUlllE0_EEPmJS9_EEE10hipError_tPvRmT3_T4_T5_T6_T7_T9_mT8_P12ihipStream_tbDpT10_ENKUlT_T0_E_clISt17integral_constantIbLb0EES19_IbLb1EEEEDaS15_S16_EUlS15_E_NS1_11comp_targetILNS1_3genE0ELNS1_11target_archE4294967295ELNS1_3gpuE0ELNS1_3repE0EEENS1_30default_config_static_selectorELNS0_4arch9wavefront6targetE0EEEvT1_,@function
_ZN7rocprim17ROCPRIM_400000_NS6detail17trampoline_kernelINS0_14default_configENS1_25partition_config_selectorILNS1_17partition_subalgoE9EllbEEZZNS1_14partition_implILS5_9ELb0ES3_jPlS8_PNS0_10empty_typeENS0_5tupleIJS8_S9_EEENSB_IJS8_SA_EEENS0_18inequality_wrapperIZN2at6native12_GLOBAL__N_124unique_dim_cuda_templateIfEESt5tupleIJNSF_6TensorESK_SK_EERKSK_lbbbEUlllE0_EEPmJS9_EEE10hipError_tPvRmT3_T4_T5_T6_T7_T9_mT8_P12ihipStream_tbDpT10_ENKUlT_T0_E_clISt17integral_constantIbLb0EES19_IbLb1EEEEDaS15_S16_EUlS15_E_NS1_11comp_targetILNS1_3genE0ELNS1_11target_archE4294967295ELNS1_3gpuE0ELNS1_3repE0EEENS1_30default_config_static_selectorELNS0_4arch9wavefront6targetE0EEEvT1_: ; @_ZN7rocprim17ROCPRIM_400000_NS6detail17trampoline_kernelINS0_14default_configENS1_25partition_config_selectorILNS1_17partition_subalgoE9EllbEEZZNS1_14partition_implILS5_9ELb0ES3_jPlS8_PNS0_10empty_typeENS0_5tupleIJS8_S9_EEENSB_IJS8_SA_EEENS0_18inequality_wrapperIZN2at6native12_GLOBAL__N_124unique_dim_cuda_templateIfEESt5tupleIJNSF_6TensorESK_SK_EERKSK_lbbbEUlllE0_EEPmJS9_EEE10hipError_tPvRmT3_T4_T5_T6_T7_T9_mT8_P12ihipStream_tbDpT10_ENKUlT_T0_E_clISt17integral_constantIbLb0EES19_IbLb1EEEEDaS15_S16_EUlS15_E_NS1_11comp_targetILNS1_3genE0ELNS1_11target_archE4294967295ELNS1_3gpuE0ELNS1_3repE0EEENS1_30default_config_static_selectorELNS0_4arch9wavefront6targetE0EEEvT1_
; %bb.0:
	.section	.rodata,"a",@progbits
	.p2align	6, 0x0
	.amdhsa_kernel _ZN7rocprim17ROCPRIM_400000_NS6detail17trampoline_kernelINS0_14default_configENS1_25partition_config_selectorILNS1_17partition_subalgoE9EllbEEZZNS1_14partition_implILS5_9ELb0ES3_jPlS8_PNS0_10empty_typeENS0_5tupleIJS8_S9_EEENSB_IJS8_SA_EEENS0_18inequality_wrapperIZN2at6native12_GLOBAL__N_124unique_dim_cuda_templateIfEESt5tupleIJNSF_6TensorESK_SK_EERKSK_lbbbEUlllE0_EEPmJS9_EEE10hipError_tPvRmT3_T4_T5_T6_T7_T9_mT8_P12ihipStream_tbDpT10_ENKUlT_T0_E_clISt17integral_constantIbLb0EES19_IbLb1EEEEDaS15_S16_EUlS15_E_NS1_11comp_targetILNS1_3genE0ELNS1_11target_archE4294967295ELNS1_3gpuE0ELNS1_3repE0EEENS1_30default_config_static_selectorELNS0_4arch9wavefront6targetE0EEEvT1_
		.amdhsa_group_segment_fixed_size 0
		.amdhsa_private_segment_fixed_size 0
		.amdhsa_kernarg_size 136
		.amdhsa_user_sgpr_count 15
		.amdhsa_user_sgpr_dispatch_ptr 0
		.amdhsa_user_sgpr_queue_ptr 0
		.amdhsa_user_sgpr_kernarg_segment_ptr 1
		.amdhsa_user_sgpr_dispatch_id 0
		.amdhsa_user_sgpr_private_segment_size 0
		.amdhsa_wavefront_size32 1
		.amdhsa_uses_dynamic_stack 0
		.amdhsa_enable_private_segment 0
		.amdhsa_system_sgpr_workgroup_id_x 1
		.amdhsa_system_sgpr_workgroup_id_y 0
		.amdhsa_system_sgpr_workgroup_id_z 0
		.amdhsa_system_sgpr_workgroup_info 0
		.amdhsa_system_vgpr_workitem_id 0
		.amdhsa_next_free_vgpr 1
		.amdhsa_next_free_sgpr 1
		.amdhsa_reserve_vcc 0
		.amdhsa_float_round_mode_32 0
		.amdhsa_float_round_mode_16_64 0
		.amdhsa_float_denorm_mode_32 3
		.amdhsa_float_denorm_mode_16_64 3
		.amdhsa_dx10_clamp 1
		.amdhsa_ieee_mode 1
		.amdhsa_fp16_overflow 0
		.amdhsa_workgroup_processor_mode 1
		.amdhsa_memory_ordered 1
		.amdhsa_forward_progress 0
		.amdhsa_shared_vgpr_count 0
		.amdhsa_exception_fp_ieee_invalid_op 0
		.amdhsa_exception_fp_denorm_src 0
		.amdhsa_exception_fp_ieee_div_zero 0
		.amdhsa_exception_fp_ieee_overflow 0
		.amdhsa_exception_fp_ieee_underflow 0
		.amdhsa_exception_fp_ieee_inexact 0
		.amdhsa_exception_int_div_zero 0
	.end_amdhsa_kernel
	.section	.text._ZN7rocprim17ROCPRIM_400000_NS6detail17trampoline_kernelINS0_14default_configENS1_25partition_config_selectorILNS1_17partition_subalgoE9EllbEEZZNS1_14partition_implILS5_9ELb0ES3_jPlS8_PNS0_10empty_typeENS0_5tupleIJS8_S9_EEENSB_IJS8_SA_EEENS0_18inequality_wrapperIZN2at6native12_GLOBAL__N_124unique_dim_cuda_templateIfEESt5tupleIJNSF_6TensorESK_SK_EERKSK_lbbbEUlllE0_EEPmJS9_EEE10hipError_tPvRmT3_T4_T5_T6_T7_T9_mT8_P12ihipStream_tbDpT10_ENKUlT_T0_E_clISt17integral_constantIbLb0EES19_IbLb1EEEEDaS15_S16_EUlS15_E_NS1_11comp_targetILNS1_3genE0ELNS1_11target_archE4294967295ELNS1_3gpuE0ELNS1_3repE0EEENS1_30default_config_static_selectorELNS0_4arch9wavefront6targetE0EEEvT1_,"axG",@progbits,_ZN7rocprim17ROCPRIM_400000_NS6detail17trampoline_kernelINS0_14default_configENS1_25partition_config_selectorILNS1_17partition_subalgoE9EllbEEZZNS1_14partition_implILS5_9ELb0ES3_jPlS8_PNS0_10empty_typeENS0_5tupleIJS8_S9_EEENSB_IJS8_SA_EEENS0_18inequality_wrapperIZN2at6native12_GLOBAL__N_124unique_dim_cuda_templateIfEESt5tupleIJNSF_6TensorESK_SK_EERKSK_lbbbEUlllE0_EEPmJS9_EEE10hipError_tPvRmT3_T4_T5_T6_T7_T9_mT8_P12ihipStream_tbDpT10_ENKUlT_T0_E_clISt17integral_constantIbLb0EES19_IbLb1EEEEDaS15_S16_EUlS15_E_NS1_11comp_targetILNS1_3genE0ELNS1_11target_archE4294967295ELNS1_3gpuE0ELNS1_3repE0EEENS1_30default_config_static_selectorELNS0_4arch9wavefront6targetE0EEEvT1_,comdat
.Lfunc_end985:
	.size	_ZN7rocprim17ROCPRIM_400000_NS6detail17trampoline_kernelINS0_14default_configENS1_25partition_config_selectorILNS1_17partition_subalgoE9EllbEEZZNS1_14partition_implILS5_9ELb0ES3_jPlS8_PNS0_10empty_typeENS0_5tupleIJS8_S9_EEENSB_IJS8_SA_EEENS0_18inequality_wrapperIZN2at6native12_GLOBAL__N_124unique_dim_cuda_templateIfEESt5tupleIJNSF_6TensorESK_SK_EERKSK_lbbbEUlllE0_EEPmJS9_EEE10hipError_tPvRmT3_T4_T5_T6_T7_T9_mT8_P12ihipStream_tbDpT10_ENKUlT_T0_E_clISt17integral_constantIbLb0EES19_IbLb1EEEEDaS15_S16_EUlS15_E_NS1_11comp_targetILNS1_3genE0ELNS1_11target_archE4294967295ELNS1_3gpuE0ELNS1_3repE0EEENS1_30default_config_static_selectorELNS0_4arch9wavefront6targetE0EEEvT1_, .Lfunc_end985-_ZN7rocprim17ROCPRIM_400000_NS6detail17trampoline_kernelINS0_14default_configENS1_25partition_config_selectorILNS1_17partition_subalgoE9EllbEEZZNS1_14partition_implILS5_9ELb0ES3_jPlS8_PNS0_10empty_typeENS0_5tupleIJS8_S9_EEENSB_IJS8_SA_EEENS0_18inequality_wrapperIZN2at6native12_GLOBAL__N_124unique_dim_cuda_templateIfEESt5tupleIJNSF_6TensorESK_SK_EERKSK_lbbbEUlllE0_EEPmJS9_EEE10hipError_tPvRmT3_T4_T5_T6_T7_T9_mT8_P12ihipStream_tbDpT10_ENKUlT_T0_E_clISt17integral_constantIbLb0EES19_IbLb1EEEEDaS15_S16_EUlS15_E_NS1_11comp_targetILNS1_3genE0ELNS1_11target_archE4294967295ELNS1_3gpuE0ELNS1_3repE0EEENS1_30default_config_static_selectorELNS0_4arch9wavefront6targetE0EEEvT1_
                                        ; -- End function
	.section	.AMDGPU.csdata,"",@progbits
; Kernel info:
; codeLenInByte = 0
; NumSgprs: 0
; NumVgprs: 0
; ScratchSize: 0
; MemoryBound: 0
; FloatMode: 240
; IeeeMode: 1
; LDSByteSize: 0 bytes/workgroup (compile time only)
; SGPRBlocks: 0
; VGPRBlocks: 0
; NumSGPRsForWavesPerEU: 1
; NumVGPRsForWavesPerEU: 1
; Occupancy: 16
; WaveLimiterHint : 0
; COMPUTE_PGM_RSRC2:SCRATCH_EN: 0
; COMPUTE_PGM_RSRC2:USER_SGPR: 15
; COMPUTE_PGM_RSRC2:TRAP_HANDLER: 0
; COMPUTE_PGM_RSRC2:TGID_X_EN: 1
; COMPUTE_PGM_RSRC2:TGID_Y_EN: 0
; COMPUTE_PGM_RSRC2:TGID_Z_EN: 0
; COMPUTE_PGM_RSRC2:TIDIG_COMP_CNT: 0
	.section	.text._ZN7rocprim17ROCPRIM_400000_NS6detail17trampoline_kernelINS0_14default_configENS1_25partition_config_selectorILNS1_17partition_subalgoE9EllbEEZZNS1_14partition_implILS5_9ELb0ES3_jPlS8_PNS0_10empty_typeENS0_5tupleIJS8_S9_EEENSB_IJS8_SA_EEENS0_18inequality_wrapperIZN2at6native12_GLOBAL__N_124unique_dim_cuda_templateIfEESt5tupleIJNSF_6TensorESK_SK_EERKSK_lbbbEUlllE0_EEPmJS9_EEE10hipError_tPvRmT3_T4_T5_T6_T7_T9_mT8_P12ihipStream_tbDpT10_ENKUlT_T0_E_clISt17integral_constantIbLb0EES19_IbLb1EEEEDaS15_S16_EUlS15_E_NS1_11comp_targetILNS1_3genE5ELNS1_11target_archE942ELNS1_3gpuE9ELNS1_3repE0EEENS1_30default_config_static_selectorELNS0_4arch9wavefront6targetE0EEEvT1_,"axG",@progbits,_ZN7rocprim17ROCPRIM_400000_NS6detail17trampoline_kernelINS0_14default_configENS1_25partition_config_selectorILNS1_17partition_subalgoE9EllbEEZZNS1_14partition_implILS5_9ELb0ES3_jPlS8_PNS0_10empty_typeENS0_5tupleIJS8_S9_EEENSB_IJS8_SA_EEENS0_18inequality_wrapperIZN2at6native12_GLOBAL__N_124unique_dim_cuda_templateIfEESt5tupleIJNSF_6TensorESK_SK_EERKSK_lbbbEUlllE0_EEPmJS9_EEE10hipError_tPvRmT3_T4_T5_T6_T7_T9_mT8_P12ihipStream_tbDpT10_ENKUlT_T0_E_clISt17integral_constantIbLb0EES19_IbLb1EEEEDaS15_S16_EUlS15_E_NS1_11comp_targetILNS1_3genE5ELNS1_11target_archE942ELNS1_3gpuE9ELNS1_3repE0EEENS1_30default_config_static_selectorELNS0_4arch9wavefront6targetE0EEEvT1_,comdat
	.globl	_ZN7rocprim17ROCPRIM_400000_NS6detail17trampoline_kernelINS0_14default_configENS1_25partition_config_selectorILNS1_17partition_subalgoE9EllbEEZZNS1_14partition_implILS5_9ELb0ES3_jPlS8_PNS0_10empty_typeENS0_5tupleIJS8_S9_EEENSB_IJS8_SA_EEENS0_18inequality_wrapperIZN2at6native12_GLOBAL__N_124unique_dim_cuda_templateIfEESt5tupleIJNSF_6TensorESK_SK_EERKSK_lbbbEUlllE0_EEPmJS9_EEE10hipError_tPvRmT3_T4_T5_T6_T7_T9_mT8_P12ihipStream_tbDpT10_ENKUlT_T0_E_clISt17integral_constantIbLb0EES19_IbLb1EEEEDaS15_S16_EUlS15_E_NS1_11comp_targetILNS1_3genE5ELNS1_11target_archE942ELNS1_3gpuE9ELNS1_3repE0EEENS1_30default_config_static_selectorELNS0_4arch9wavefront6targetE0EEEvT1_ ; -- Begin function _ZN7rocprim17ROCPRIM_400000_NS6detail17trampoline_kernelINS0_14default_configENS1_25partition_config_selectorILNS1_17partition_subalgoE9EllbEEZZNS1_14partition_implILS5_9ELb0ES3_jPlS8_PNS0_10empty_typeENS0_5tupleIJS8_S9_EEENSB_IJS8_SA_EEENS0_18inequality_wrapperIZN2at6native12_GLOBAL__N_124unique_dim_cuda_templateIfEESt5tupleIJNSF_6TensorESK_SK_EERKSK_lbbbEUlllE0_EEPmJS9_EEE10hipError_tPvRmT3_T4_T5_T6_T7_T9_mT8_P12ihipStream_tbDpT10_ENKUlT_T0_E_clISt17integral_constantIbLb0EES19_IbLb1EEEEDaS15_S16_EUlS15_E_NS1_11comp_targetILNS1_3genE5ELNS1_11target_archE942ELNS1_3gpuE9ELNS1_3repE0EEENS1_30default_config_static_selectorELNS0_4arch9wavefront6targetE0EEEvT1_
	.p2align	8
	.type	_ZN7rocprim17ROCPRIM_400000_NS6detail17trampoline_kernelINS0_14default_configENS1_25partition_config_selectorILNS1_17partition_subalgoE9EllbEEZZNS1_14partition_implILS5_9ELb0ES3_jPlS8_PNS0_10empty_typeENS0_5tupleIJS8_S9_EEENSB_IJS8_SA_EEENS0_18inequality_wrapperIZN2at6native12_GLOBAL__N_124unique_dim_cuda_templateIfEESt5tupleIJNSF_6TensorESK_SK_EERKSK_lbbbEUlllE0_EEPmJS9_EEE10hipError_tPvRmT3_T4_T5_T6_T7_T9_mT8_P12ihipStream_tbDpT10_ENKUlT_T0_E_clISt17integral_constantIbLb0EES19_IbLb1EEEEDaS15_S16_EUlS15_E_NS1_11comp_targetILNS1_3genE5ELNS1_11target_archE942ELNS1_3gpuE9ELNS1_3repE0EEENS1_30default_config_static_selectorELNS0_4arch9wavefront6targetE0EEEvT1_,@function
_ZN7rocprim17ROCPRIM_400000_NS6detail17trampoline_kernelINS0_14default_configENS1_25partition_config_selectorILNS1_17partition_subalgoE9EllbEEZZNS1_14partition_implILS5_9ELb0ES3_jPlS8_PNS0_10empty_typeENS0_5tupleIJS8_S9_EEENSB_IJS8_SA_EEENS0_18inequality_wrapperIZN2at6native12_GLOBAL__N_124unique_dim_cuda_templateIfEESt5tupleIJNSF_6TensorESK_SK_EERKSK_lbbbEUlllE0_EEPmJS9_EEE10hipError_tPvRmT3_T4_T5_T6_T7_T9_mT8_P12ihipStream_tbDpT10_ENKUlT_T0_E_clISt17integral_constantIbLb0EES19_IbLb1EEEEDaS15_S16_EUlS15_E_NS1_11comp_targetILNS1_3genE5ELNS1_11target_archE942ELNS1_3gpuE9ELNS1_3repE0EEENS1_30default_config_static_selectorELNS0_4arch9wavefront6targetE0EEEvT1_: ; @_ZN7rocprim17ROCPRIM_400000_NS6detail17trampoline_kernelINS0_14default_configENS1_25partition_config_selectorILNS1_17partition_subalgoE9EllbEEZZNS1_14partition_implILS5_9ELb0ES3_jPlS8_PNS0_10empty_typeENS0_5tupleIJS8_S9_EEENSB_IJS8_SA_EEENS0_18inequality_wrapperIZN2at6native12_GLOBAL__N_124unique_dim_cuda_templateIfEESt5tupleIJNSF_6TensorESK_SK_EERKSK_lbbbEUlllE0_EEPmJS9_EEE10hipError_tPvRmT3_T4_T5_T6_T7_T9_mT8_P12ihipStream_tbDpT10_ENKUlT_T0_E_clISt17integral_constantIbLb0EES19_IbLb1EEEEDaS15_S16_EUlS15_E_NS1_11comp_targetILNS1_3genE5ELNS1_11target_archE942ELNS1_3gpuE9ELNS1_3repE0EEENS1_30default_config_static_selectorELNS0_4arch9wavefront6targetE0EEEvT1_
; %bb.0:
	.section	.rodata,"a",@progbits
	.p2align	6, 0x0
	.amdhsa_kernel _ZN7rocprim17ROCPRIM_400000_NS6detail17trampoline_kernelINS0_14default_configENS1_25partition_config_selectorILNS1_17partition_subalgoE9EllbEEZZNS1_14partition_implILS5_9ELb0ES3_jPlS8_PNS0_10empty_typeENS0_5tupleIJS8_S9_EEENSB_IJS8_SA_EEENS0_18inequality_wrapperIZN2at6native12_GLOBAL__N_124unique_dim_cuda_templateIfEESt5tupleIJNSF_6TensorESK_SK_EERKSK_lbbbEUlllE0_EEPmJS9_EEE10hipError_tPvRmT3_T4_T5_T6_T7_T9_mT8_P12ihipStream_tbDpT10_ENKUlT_T0_E_clISt17integral_constantIbLb0EES19_IbLb1EEEEDaS15_S16_EUlS15_E_NS1_11comp_targetILNS1_3genE5ELNS1_11target_archE942ELNS1_3gpuE9ELNS1_3repE0EEENS1_30default_config_static_selectorELNS0_4arch9wavefront6targetE0EEEvT1_
		.amdhsa_group_segment_fixed_size 0
		.amdhsa_private_segment_fixed_size 0
		.amdhsa_kernarg_size 136
		.amdhsa_user_sgpr_count 15
		.amdhsa_user_sgpr_dispatch_ptr 0
		.amdhsa_user_sgpr_queue_ptr 0
		.amdhsa_user_sgpr_kernarg_segment_ptr 1
		.amdhsa_user_sgpr_dispatch_id 0
		.amdhsa_user_sgpr_private_segment_size 0
		.amdhsa_wavefront_size32 1
		.amdhsa_uses_dynamic_stack 0
		.amdhsa_enable_private_segment 0
		.amdhsa_system_sgpr_workgroup_id_x 1
		.amdhsa_system_sgpr_workgroup_id_y 0
		.amdhsa_system_sgpr_workgroup_id_z 0
		.amdhsa_system_sgpr_workgroup_info 0
		.amdhsa_system_vgpr_workitem_id 0
		.amdhsa_next_free_vgpr 1
		.amdhsa_next_free_sgpr 1
		.amdhsa_reserve_vcc 0
		.amdhsa_float_round_mode_32 0
		.amdhsa_float_round_mode_16_64 0
		.amdhsa_float_denorm_mode_32 3
		.amdhsa_float_denorm_mode_16_64 3
		.amdhsa_dx10_clamp 1
		.amdhsa_ieee_mode 1
		.amdhsa_fp16_overflow 0
		.amdhsa_workgroup_processor_mode 1
		.amdhsa_memory_ordered 1
		.amdhsa_forward_progress 0
		.amdhsa_shared_vgpr_count 0
		.amdhsa_exception_fp_ieee_invalid_op 0
		.amdhsa_exception_fp_denorm_src 0
		.amdhsa_exception_fp_ieee_div_zero 0
		.amdhsa_exception_fp_ieee_overflow 0
		.amdhsa_exception_fp_ieee_underflow 0
		.amdhsa_exception_fp_ieee_inexact 0
		.amdhsa_exception_int_div_zero 0
	.end_amdhsa_kernel
	.section	.text._ZN7rocprim17ROCPRIM_400000_NS6detail17trampoline_kernelINS0_14default_configENS1_25partition_config_selectorILNS1_17partition_subalgoE9EllbEEZZNS1_14partition_implILS5_9ELb0ES3_jPlS8_PNS0_10empty_typeENS0_5tupleIJS8_S9_EEENSB_IJS8_SA_EEENS0_18inequality_wrapperIZN2at6native12_GLOBAL__N_124unique_dim_cuda_templateIfEESt5tupleIJNSF_6TensorESK_SK_EERKSK_lbbbEUlllE0_EEPmJS9_EEE10hipError_tPvRmT3_T4_T5_T6_T7_T9_mT8_P12ihipStream_tbDpT10_ENKUlT_T0_E_clISt17integral_constantIbLb0EES19_IbLb1EEEEDaS15_S16_EUlS15_E_NS1_11comp_targetILNS1_3genE5ELNS1_11target_archE942ELNS1_3gpuE9ELNS1_3repE0EEENS1_30default_config_static_selectorELNS0_4arch9wavefront6targetE0EEEvT1_,"axG",@progbits,_ZN7rocprim17ROCPRIM_400000_NS6detail17trampoline_kernelINS0_14default_configENS1_25partition_config_selectorILNS1_17partition_subalgoE9EllbEEZZNS1_14partition_implILS5_9ELb0ES3_jPlS8_PNS0_10empty_typeENS0_5tupleIJS8_S9_EEENSB_IJS8_SA_EEENS0_18inequality_wrapperIZN2at6native12_GLOBAL__N_124unique_dim_cuda_templateIfEESt5tupleIJNSF_6TensorESK_SK_EERKSK_lbbbEUlllE0_EEPmJS9_EEE10hipError_tPvRmT3_T4_T5_T6_T7_T9_mT8_P12ihipStream_tbDpT10_ENKUlT_T0_E_clISt17integral_constantIbLb0EES19_IbLb1EEEEDaS15_S16_EUlS15_E_NS1_11comp_targetILNS1_3genE5ELNS1_11target_archE942ELNS1_3gpuE9ELNS1_3repE0EEENS1_30default_config_static_selectorELNS0_4arch9wavefront6targetE0EEEvT1_,comdat
.Lfunc_end986:
	.size	_ZN7rocprim17ROCPRIM_400000_NS6detail17trampoline_kernelINS0_14default_configENS1_25partition_config_selectorILNS1_17partition_subalgoE9EllbEEZZNS1_14partition_implILS5_9ELb0ES3_jPlS8_PNS0_10empty_typeENS0_5tupleIJS8_S9_EEENSB_IJS8_SA_EEENS0_18inequality_wrapperIZN2at6native12_GLOBAL__N_124unique_dim_cuda_templateIfEESt5tupleIJNSF_6TensorESK_SK_EERKSK_lbbbEUlllE0_EEPmJS9_EEE10hipError_tPvRmT3_T4_T5_T6_T7_T9_mT8_P12ihipStream_tbDpT10_ENKUlT_T0_E_clISt17integral_constantIbLb0EES19_IbLb1EEEEDaS15_S16_EUlS15_E_NS1_11comp_targetILNS1_3genE5ELNS1_11target_archE942ELNS1_3gpuE9ELNS1_3repE0EEENS1_30default_config_static_selectorELNS0_4arch9wavefront6targetE0EEEvT1_, .Lfunc_end986-_ZN7rocprim17ROCPRIM_400000_NS6detail17trampoline_kernelINS0_14default_configENS1_25partition_config_selectorILNS1_17partition_subalgoE9EllbEEZZNS1_14partition_implILS5_9ELb0ES3_jPlS8_PNS0_10empty_typeENS0_5tupleIJS8_S9_EEENSB_IJS8_SA_EEENS0_18inequality_wrapperIZN2at6native12_GLOBAL__N_124unique_dim_cuda_templateIfEESt5tupleIJNSF_6TensorESK_SK_EERKSK_lbbbEUlllE0_EEPmJS9_EEE10hipError_tPvRmT3_T4_T5_T6_T7_T9_mT8_P12ihipStream_tbDpT10_ENKUlT_T0_E_clISt17integral_constantIbLb0EES19_IbLb1EEEEDaS15_S16_EUlS15_E_NS1_11comp_targetILNS1_3genE5ELNS1_11target_archE942ELNS1_3gpuE9ELNS1_3repE0EEENS1_30default_config_static_selectorELNS0_4arch9wavefront6targetE0EEEvT1_
                                        ; -- End function
	.section	.AMDGPU.csdata,"",@progbits
; Kernel info:
; codeLenInByte = 0
; NumSgprs: 0
; NumVgprs: 0
; ScratchSize: 0
; MemoryBound: 0
; FloatMode: 240
; IeeeMode: 1
; LDSByteSize: 0 bytes/workgroup (compile time only)
; SGPRBlocks: 0
; VGPRBlocks: 0
; NumSGPRsForWavesPerEU: 1
; NumVGPRsForWavesPerEU: 1
; Occupancy: 16
; WaveLimiterHint : 0
; COMPUTE_PGM_RSRC2:SCRATCH_EN: 0
; COMPUTE_PGM_RSRC2:USER_SGPR: 15
; COMPUTE_PGM_RSRC2:TRAP_HANDLER: 0
; COMPUTE_PGM_RSRC2:TGID_X_EN: 1
; COMPUTE_PGM_RSRC2:TGID_Y_EN: 0
; COMPUTE_PGM_RSRC2:TGID_Z_EN: 0
; COMPUTE_PGM_RSRC2:TIDIG_COMP_CNT: 0
	.section	.text._ZN7rocprim17ROCPRIM_400000_NS6detail17trampoline_kernelINS0_14default_configENS1_25partition_config_selectorILNS1_17partition_subalgoE9EllbEEZZNS1_14partition_implILS5_9ELb0ES3_jPlS8_PNS0_10empty_typeENS0_5tupleIJS8_S9_EEENSB_IJS8_SA_EEENS0_18inequality_wrapperIZN2at6native12_GLOBAL__N_124unique_dim_cuda_templateIfEESt5tupleIJNSF_6TensorESK_SK_EERKSK_lbbbEUlllE0_EEPmJS9_EEE10hipError_tPvRmT3_T4_T5_T6_T7_T9_mT8_P12ihipStream_tbDpT10_ENKUlT_T0_E_clISt17integral_constantIbLb0EES19_IbLb1EEEEDaS15_S16_EUlS15_E_NS1_11comp_targetILNS1_3genE4ELNS1_11target_archE910ELNS1_3gpuE8ELNS1_3repE0EEENS1_30default_config_static_selectorELNS0_4arch9wavefront6targetE0EEEvT1_,"axG",@progbits,_ZN7rocprim17ROCPRIM_400000_NS6detail17trampoline_kernelINS0_14default_configENS1_25partition_config_selectorILNS1_17partition_subalgoE9EllbEEZZNS1_14partition_implILS5_9ELb0ES3_jPlS8_PNS0_10empty_typeENS0_5tupleIJS8_S9_EEENSB_IJS8_SA_EEENS0_18inequality_wrapperIZN2at6native12_GLOBAL__N_124unique_dim_cuda_templateIfEESt5tupleIJNSF_6TensorESK_SK_EERKSK_lbbbEUlllE0_EEPmJS9_EEE10hipError_tPvRmT3_T4_T5_T6_T7_T9_mT8_P12ihipStream_tbDpT10_ENKUlT_T0_E_clISt17integral_constantIbLb0EES19_IbLb1EEEEDaS15_S16_EUlS15_E_NS1_11comp_targetILNS1_3genE4ELNS1_11target_archE910ELNS1_3gpuE8ELNS1_3repE0EEENS1_30default_config_static_selectorELNS0_4arch9wavefront6targetE0EEEvT1_,comdat
	.globl	_ZN7rocprim17ROCPRIM_400000_NS6detail17trampoline_kernelINS0_14default_configENS1_25partition_config_selectorILNS1_17partition_subalgoE9EllbEEZZNS1_14partition_implILS5_9ELb0ES3_jPlS8_PNS0_10empty_typeENS0_5tupleIJS8_S9_EEENSB_IJS8_SA_EEENS0_18inequality_wrapperIZN2at6native12_GLOBAL__N_124unique_dim_cuda_templateIfEESt5tupleIJNSF_6TensorESK_SK_EERKSK_lbbbEUlllE0_EEPmJS9_EEE10hipError_tPvRmT3_T4_T5_T6_T7_T9_mT8_P12ihipStream_tbDpT10_ENKUlT_T0_E_clISt17integral_constantIbLb0EES19_IbLb1EEEEDaS15_S16_EUlS15_E_NS1_11comp_targetILNS1_3genE4ELNS1_11target_archE910ELNS1_3gpuE8ELNS1_3repE0EEENS1_30default_config_static_selectorELNS0_4arch9wavefront6targetE0EEEvT1_ ; -- Begin function _ZN7rocprim17ROCPRIM_400000_NS6detail17trampoline_kernelINS0_14default_configENS1_25partition_config_selectorILNS1_17partition_subalgoE9EllbEEZZNS1_14partition_implILS5_9ELb0ES3_jPlS8_PNS0_10empty_typeENS0_5tupleIJS8_S9_EEENSB_IJS8_SA_EEENS0_18inequality_wrapperIZN2at6native12_GLOBAL__N_124unique_dim_cuda_templateIfEESt5tupleIJNSF_6TensorESK_SK_EERKSK_lbbbEUlllE0_EEPmJS9_EEE10hipError_tPvRmT3_T4_T5_T6_T7_T9_mT8_P12ihipStream_tbDpT10_ENKUlT_T0_E_clISt17integral_constantIbLb0EES19_IbLb1EEEEDaS15_S16_EUlS15_E_NS1_11comp_targetILNS1_3genE4ELNS1_11target_archE910ELNS1_3gpuE8ELNS1_3repE0EEENS1_30default_config_static_selectorELNS0_4arch9wavefront6targetE0EEEvT1_
	.p2align	8
	.type	_ZN7rocprim17ROCPRIM_400000_NS6detail17trampoline_kernelINS0_14default_configENS1_25partition_config_selectorILNS1_17partition_subalgoE9EllbEEZZNS1_14partition_implILS5_9ELb0ES3_jPlS8_PNS0_10empty_typeENS0_5tupleIJS8_S9_EEENSB_IJS8_SA_EEENS0_18inequality_wrapperIZN2at6native12_GLOBAL__N_124unique_dim_cuda_templateIfEESt5tupleIJNSF_6TensorESK_SK_EERKSK_lbbbEUlllE0_EEPmJS9_EEE10hipError_tPvRmT3_T4_T5_T6_T7_T9_mT8_P12ihipStream_tbDpT10_ENKUlT_T0_E_clISt17integral_constantIbLb0EES19_IbLb1EEEEDaS15_S16_EUlS15_E_NS1_11comp_targetILNS1_3genE4ELNS1_11target_archE910ELNS1_3gpuE8ELNS1_3repE0EEENS1_30default_config_static_selectorELNS0_4arch9wavefront6targetE0EEEvT1_,@function
_ZN7rocprim17ROCPRIM_400000_NS6detail17trampoline_kernelINS0_14default_configENS1_25partition_config_selectorILNS1_17partition_subalgoE9EllbEEZZNS1_14partition_implILS5_9ELb0ES3_jPlS8_PNS0_10empty_typeENS0_5tupleIJS8_S9_EEENSB_IJS8_SA_EEENS0_18inequality_wrapperIZN2at6native12_GLOBAL__N_124unique_dim_cuda_templateIfEESt5tupleIJNSF_6TensorESK_SK_EERKSK_lbbbEUlllE0_EEPmJS9_EEE10hipError_tPvRmT3_T4_T5_T6_T7_T9_mT8_P12ihipStream_tbDpT10_ENKUlT_T0_E_clISt17integral_constantIbLb0EES19_IbLb1EEEEDaS15_S16_EUlS15_E_NS1_11comp_targetILNS1_3genE4ELNS1_11target_archE910ELNS1_3gpuE8ELNS1_3repE0EEENS1_30default_config_static_selectorELNS0_4arch9wavefront6targetE0EEEvT1_: ; @_ZN7rocprim17ROCPRIM_400000_NS6detail17trampoline_kernelINS0_14default_configENS1_25partition_config_selectorILNS1_17partition_subalgoE9EllbEEZZNS1_14partition_implILS5_9ELb0ES3_jPlS8_PNS0_10empty_typeENS0_5tupleIJS8_S9_EEENSB_IJS8_SA_EEENS0_18inequality_wrapperIZN2at6native12_GLOBAL__N_124unique_dim_cuda_templateIfEESt5tupleIJNSF_6TensorESK_SK_EERKSK_lbbbEUlllE0_EEPmJS9_EEE10hipError_tPvRmT3_T4_T5_T6_T7_T9_mT8_P12ihipStream_tbDpT10_ENKUlT_T0_E_clISt17integral_constantIbLb0EES19_IbLb1EEEEDaS15_S16_EUlS15_E_NS1_11comp_targetILNS1_3genE4ELNS1_11target_archE910ELNS1_3gpuE8ELNS1_3repE0EEENS1_30default_config_static_selectorELNS0_4arch9wavefront6targetE0EEEvT1_
; %bb.0:
	.section	.rodata,"a",@progbits
	.p2align	6, 0x0
	.amdhsa_kernel _ZN7rocprim17ROCPRIM_400000_NS6detail17trampoline_kernelINS0_14default_configENS1_25partition_config_selectorILNS1_17partition_subalgoE9EllbEEZZNS1_14partition_implILS5_9ELb0ES3_jPlS8_PNS0_10empty_typeENS0_5tupleIJS8_S9_EEENSB_IJS8_SA_EEENS0_18inequality_wrapperIZN2at6native12_GLOBAL__N_124unique_dim_cuda_templateIfEESt5tupleIJNSF_6TensorESK_SK_EERKSK_lbbbEUlllE0_EEPmJS9_EEE10hipError_tPvRmT3_T4_T5_T6_T7_T9_mT8_P12ihipStream_tbDpT10_ENKUlT_T0_E_clISt17integral_constantIbLb0EES19_IbLb1EEEEDaS15_S16_EUlS15_E_NS1_11comp_targetILNS1_3genE4ELNS1_11target_archE910ELNS1_3gpuE8ELNS1_3repE0EEENS1_30default_config_static_selectorELNS0_4arch9wavefront6targetE0EEEvT1_
		.amdhsa_group_segment_fixed_size 0
		.amdhsa_private_segment_fixed_size 0
		.amdhsa_kernarg_size 136
		.amdhsa_user_sgpr_count 15
		.amdhsa_user_sgpr_dispatch_ptr 0
		.amdhsa_user_sgpr_queue_ptr 0
		.amdhsa_user_sgpr_kernarg_segment_ptr 1
		.amdhsa_user_sgpr_dispatch_id 0
		.amdhsa_user_sgpr_private_segment_size 0
		.amdhsa_wavefront_size32 1
		.amdhsa_uses_dynamic_stack 0
		.amdhsa_enable_private_segment 0
		.amdhsa_system_sgpr_workgroup_id_x 1
		.amdhsa_system_sgpr_workgroup_id_y 0
		.amdhsa_system_sgpr_workgroup_id_z 0
		.amdhsa_system_sgpr_workgroup_info 0
		.amdhsa_system_vgpr_workitem_id 0
		.amdhsa_next_free_vgpr 1
		.amdhsa_next_free_sgpr 1
		.amdhsa_reserve_vcc 0
		.amdhsa_float_round_mode_32 0
		.amdhsa_float_round_mode_16_64 0
		.amdhsa_float_denorm_mode_32 3
		.amdhsa_float_denorm_mode_16_64 3
		.amdhsa_dx10_clamp 1
		.amdhsa_ieee_mode 1
		.amdhsa_fp16_overflow 0
		.amdhsa_workgroup_processor_mode 1
		.amdhsa_memory_ordered 1
		.amdhsa_forward_progress 0
		.amdhsa_shared_vgpr_count 0
		.amdhsa_exception_fp_ieee_invalid_op 0
		.amdhsa_exception_fp_denorm_src 0
		.amdhsa_exception_fp_ieee_div_zero 0
		.amdhsa_exception_fp_ieee_overflow 0
		.amdhsa_exception_fp_ieee_underflow 0
		.amdhsa_exception_fp_ieee_inexact 0
		.amdhsa_exception_int_div_zero 0
	.end_amdhsa_kernel
	.section	.text._ZN7rocprim17ROCPRIM_400000_NS6detail17trampoline_kernelINS0_14default_configENS1_25partition_config_selectorILNS1_17partition_subalgoE9EllbEEZZNS1_14partition_implILS5_9ELb0ES3_jPlS8_PNS0_10empty_typeENS0_5tupleIJS8_S9_EEENSB_IJS8_SA_EEENS0_18inequality_wrapperIZN2at6native12_GLOBAL__N_124unique_dim_cuda_templateIfEESt5tupleIJNSF_6TensorESK_SK_EERKSK_lbbbEUlllE0_EEPmJS9_EEE10hipError_tPvRmT3_T4_T5_T6_T7_T9_mT8_P12ihipStream_tbDpT10_ENKUlT_T0_E_clISt17integral_constantIbLb0EES19_IbLb1EEEEDaS15_S16_EUlS15_E_NS1_11comp_targetILNS1_3genE4ELNS1_11target_archE910ELNS1_3gpuE8ELNS1_3repE0EEENS1_30default_config_static_selectorELNS0_4arch9wavefront6targetE0EEEvT1_,"axG",@progbits,_ZN7rocprim17ROCPRIM_400000_NS6detail17trampoline_kernelINS0_14default_configENS1_25partition_config_selectorILNS1_17partition_subalgoE9EllbEEZZNS1_14partition_implILS5_9ELb0ES3_jPlS8_PNS0_10empty_typeENS0_5tupleIJS8_S9_EEENSB_IJS8_SA_EEENS0_18inequality_wrapperIZN2at6native12_GLOBAL__N_124unique_dim_cuda_templateIfEESt5tupleIJNSF_6TensorESK_SK_EERKSK_lbbbEUlllE0_EEPmJS9_EEE10hipError_tPvRmT3_T4_T5_T6_T7_T9_mT8_P12ihipStream_tbDpT10_ENKUlT_T0_E_clISt17integral_constantIbLb0EES19_IbLb1EEEEDaS15_S16_EUlS15_E_NS1_11comp_targetILNS1_3genE4ELNS1_11target_archE910ELNS1_3gpuE8ELNS1_3repE0EEENS1_30default_config_static_selectorELNS0_4arch9wavefront6targetE0EEEvT1_,comdat
.Lfunc_end987:
	.size	_ZN7rocprim17ROCPRIM_400000_NS6detail17trampoline_kernelINS0_14default_configENS1_25partition_config_selectorILNS1_17partition_subalgoE9EllbEEZZNS1_14partition_implILS5_9ELb0ES3_jPlS8_PNS0_10empty_typeENS0_5tupleIJS8_S9_EEENSB_IJS8_SA_EEENS0_18inequality_wrapperIZN2at6native12_GLOBAL__N_124unique_dim_cuda_templateIfEESt5tupleIJNSF_6TensorESK_SK_EERKSK_lbbbEUlllE0_EEPmJS9_EEE10hipError_tPvRmT3_T4_T5_T6_T7_T9_mT8_P12ihipStream_tbDpT10_ENKUlT_T0_E_clISt17integral_constantIbLb0EES19_IbLb1EEEEDaS15_S16_EUlS15_E_NS1_11comp_targetILNS1_3genE4ELNS1_11target_archE910ELNS1_3gpuE8ELNS1_3repE0EEENS1_30default_config_static_selectorELNS0_4arch9wavefront6targetE0EEEvT1_, .Lfunc_end987-_ZN7rocprim17ROCPRIM_400000_NS6detail17trampoline_kernelINS0_14default_configENS1_25partition_config_selectorILNS1_17partition_subalgoE9EllbEEZZNS1_14partition_implILS5_9ELb0ES3_jPlS8_PNS0_10empty_typeENS0_5tupleIJS8_S9_EEENSB_IJS8_SA_EEENS0_18inequality_wrapperIZN2at6native12_GLOBAL__N_124unique_dim_cuda_templateIfEESt5tupleIJNSF_6TensorESK_SK_EERKSK_lbbbEUlllE0_EEPmJS9_EEE10hipError_tPvRmT3_T4_T5_T6_T7_T9_mT8_P12ihipStream_tbDpT10_ENKUlT_T0_E_clISt17integral_constantIbLb0EES19_IbLb1EEEEDaS15_S16_EUlS15_E_NS1_11comp_targetILNS1_3genE4ELNS1_11target_archE910ELNS1_3gpuE8ELNS1_3repE0EEENS1_30default_config_static_selectorELNS0_4arch9wavefront6targetE0EEEvT1_
                                        ; -- End function
	.section	.AMDGPU.csdata,"",@progbits
; Kernel info:
; codeLenInByte = 0
; NumSgprs: 0
; NumVgprs: 0
; ScratchSize: 0
; MemoryBound: 0
; FloatMode: 240
; IeeeMode: 1
; LDSByteSize: 0 bytes/workgroup (compile time only)
; SGPRBlocks: 0
; VGPRBlocks: 0
; NumSGPRsForWavesPerEU: 1
; NumVGPRsForWavesPerEU: 1
; Occupancy: 16
; WaveLimiterHint : 0
; COMPUTE_PGM_RSRC2:SCRATCH_EN: 0
; COMPUTE_PGM_RSRC2:USER_SGPR: 15
; COMPUTE_PGM_RSRC2:TRAP_HANDLER: 0
; COMPUTE_PGM_RSRC2:TGID_X_EN: 1
; COMPUTE_PGM_RSRC2:TGID_Y_EN: 0
; COMPUTE_PGM_RSRC2:TGID_Z_EN: 0
; COMPUTE_PGM_RSRC2:TIDIG_COMP_CNT: 0
	.section	.text._ZN7rocprim17ROCPRIM_400000_NS6detail17trampoline_kernelINS0_14default_configENS1_25partition_config_selectorILNS1_17partition_subalgoE9EllbEEZZNS1_14partition_implILS5_9ELb0ES3_jPlS8_PNS0_10empty_typeENS0_5tupleIJS8_S9_EEENSB_IJS8_SA_EEENS0_18inequality_wrapperIZN2at6native12_GLOBAL__N_124unique_dim_cuda_templateIfEESt5tupleIJNSF_6TensorESK_SK_EERKSK_lbbbEUlllE0_EEPmJS9_EEE10hipError_tPvRmT3_T4_T5_T6_T7_T9_mT8_P12ihipStream_tbDpT10_ENKUlT_T0_E_clISt17integral_constantIbLb0EES19_IbLb1EEEEDaS15_S16_EUlS15_E_NS1_11comp_targetILNS1_3genE3ELNS1_11target_archE908ELNS1_3gpuE7ELNS1_3repE0EEENS1_30default_config_static_selectorELNS0_4arch9wavefront6targetE0EEEvT1_,"axG",@progbits,_ZN7rocprim17ROCPRIM_400000_NS6detail17trampoline_kernelINS0_14default_configENS1_25partition_config_selectorILNS1_17partition_subalgoE9EllbEEZZNS1_14partition_implILS5_9ELb0ES3_jPlS8_PNS0_10empty_typeENS0_5tupleIJS8_S9_EEENSB_IJS8_SA_EEENS0_18inequality_wrapperIZN2at6native12_GLOBAL__N_124unique_dim_cuda_templateIfEESt5tupleIJNSF_6TensorESK_SK_EERKSK_lbbbEUlllE0_EEPmJS9_EEE10hipError_tPvRmT3_T4_T5_T6_T7_T9_mT8_P12ihipStream_tbDpT10_ENKUlT_T0_E_clISt17integral_constantIbLb0EES19_IbLb1EEEEDaS15_S16_EUlS15_E_NS1_11comp_targetILNS1_3genE3ELNS1_11target_archE908ELNS1_3gpuE7ELNS1_3repE0EEENS1_30default_config_static_selectorELNS0_4arch9wavefront6targetE0EEEvT1_,comdat
	.globl	_ZN7rocprim17ROCPRIM_400000_NS6detail17trampoline_kernelINS0_14default_configENS1_25partition_config_selectorILNS1_17partition_subalgoE9EllbEEZZNS1_14partition_implILS5_9ELb0ES3_jPlS8_PNS0_10empty_typeENS0_5tupleIJS8_S9_EEENSB_IJS8_SA_EEENS0_18inequality_wrapperIZN2at6native12_GLOBAL__N_124unique_dim_cuda_templateIfEESt5tupleIJNSF_6TensorESK_SK_EERKSK_lbbbEUlllE0_EEPmJS9_EEE10hipError_tPvRmT3_T4_T5_T6_T7_T9_mT8_P12ihipStream_tbDpT10_ENKUlT_T0_E_clISt17integral_constantIbLb0EES19_IbLb1EEEEDaS15_S16_EUlS15_E_NS1_11comp_targetILNS1_3genE3ELNS1_11target_archE908ELNS1_3gpuE7ELNS1_3repE0EEENS1_30default_config_static_selectorELNS0_4arch9wavefront6targetE0EEEvT1_ ; -- Begin function _ZN7rocprim17ROCPRIM_400000_NS6detail17trampoline_kernelINS0_14default_configENS1_25partition_config_selectorILNS1_17partition_subalgoE9EllbEEZZNS1_14partition_implILS5_9ELb0ES3_jPlS8_PNS0_10empty_typeENS0_5tupleIJS8_S9_EEENSB_IJS8_SA_EEENS0_18inequality_wrapperIZN2at6native12_GLOBAL__N_124unique_dim_cuda_templateIfEESt5tupleIJNSF_6TensorESK_SK_EERKSK_lbbbEUlllE0_EEPmJS9_EEE10hipError_tPvRmT3_T4_T5_T6_T7_T9_mT8_P12ihipStream_tbDpT10_ENKUlT_T0_E_clISt17integral_constantIbLb0EES19_IbLb1EEEEDaS15_S16_EUlS15_E_NS1_11comp_targetILNS1_3genE3ELNS1_11target_archE908ELNS1_3gpuE7ELNS1_3repE0EEENS1_30default_config_static_selectorELNS0_4arch9wavefront6targetE0EEEvT1_
	.p2align	8
	.type	_ZN7rocprim17ROCPRIM_400000_NS6detail17trampoline_kernelINS0_14default_configENS1_25partition_config_selectorILNS1_17partition_subalgoE9EllbEEZZNS1_14partition_implILS5_9ELb0ES3_jPlS8_PNS0_10empty_typeENS0_5tupleIJS8_S9_EEENSB_IJS8_SA_EEENS0_18inequality_wrapperIZN2at6native12_GLOBAL__N_124unique_dim_cuda_templateIfEESt5tupleIJNSF_6TensorESK_SK_EERKSK_lbbbEUlllE0_EEPmJS9_EEE10hipError_tPvRmT3_T4_T5_T6_T7_T9_mT8_P12ihipStream_tbDpT10_ENKUlT_T0_E_clISt17integral_constantIbLb0EES19_IbLb1EEEEDaS15_S16_EUlS15_E_NS1_11comp_targetILNS1_3genE3ELNS1_11target_archE908ELNS1_3gpuE7ELNS1_3repE0EEENS1_30default_config_static_selectorELNS0_4arch9wavefront6targetE0EEEvT1_,@function
_ZN7rocprim17ROCPRIM_400000_NS6detail17trampoline_kernelINS0_14default_configENS1_25partition_config_selectorILNS1_17partition_subalgoE9EllbEEZZNS1_14partition_implILS5_9ELb0ES3_jPlS8_PNS0_10empty_typeENS0_5tupleIJS8_S9_EEENSB_IJS8_SA_EEENS0_18inequality_wrapperIZN2at6native12_GLOBAL__N_124unique_dim_cuda_templateIfEESt5tupleIJNSF_6TensorESK_SK_EERKSK_lbbbEUlllE0_EEPmJS9_EEE10hipError_tPvRmT3_T4_T5_T6_T7_T9_mT8_P12ihipStream_tbDpT10_ENKUlT_T0_E_clISt17integral_constantIbLb0EES19_IbLb1EEEEDaS15_S16_EUlS15_E_NS1_11comp_targetILNS1_3genE3ELNS1_11target_archE908ELNS1_3gpuE7ELNS1_3repE0EEENS1_30default_config_static_selectorELNS0_4arch9wavefront6targetE0EEEvT1_: ; @_ZN7rocprim17ROCPRIM_400000_NS6detail17trampoline_kernelINS0_14default_configENS1_25partition_config_selectorILNS1_17partition_subalgoE9EllbEEZZNS1_14partition_implILS5_9ELb0ES3_jPlS8_PNS0_10empty_typeENS0_5tupleIJS8_S9_EEENSB_IJS8_SA_EEENS0_18inequality_wrapperIZN2at6native12_GLOBAL__N_124unique_dim_cuda_templateIfEESt5tupleIJNSF_6TensorESK_SK_EERKSK_lbbbEUlllE0_EEPmJS9_EEE10hipError_tPvRmT3_T4_T5_T6_T7_T9_mT8_P12ihipStream_tbDpT10_ENKUlT_T0_E_clISt17integral_constantIbLb0EES19_IbLb1EEEEDaS15_S16_EUlS15_E_NS1_11comp_targetILNS1_3genE3ELNS1_11target_archE908ELNS1_3gpuE7ELNS1_3repE0EEENS1_30default_config_static_selectorELNS0_4arch9wavefront6targetE0EEEvT1_
; %bb.0:
	.section	.rodata,"a",@progbits
	.p2align	6, 0x0
	.amdhsa_kernel _ZN7rocprim17ROCPRIM_400000_NS6detail17trampoline_kernelINS0_14default_configENS1_25partition_config_selectorILNS1_17partition_subalgoE9EllbEEZZNS1_14partition_implILS5_9ELb0ES3_jPlS8_PNS0_10empty_typeENS0_5tupleIJS8_S9_EEENSB_IJS8_SA_EEENS0_18inequality_wrapperIZN2at6native12_GLOBAL__N_124unique_dim_cuda_templateIfEESt5tupleIJNSF_6TensorESK_SK_EERKSK_lbbbEUlllE0_EEPmJS9_EEE10hipError_tPvRmT3_T4_T5_T6_T7_T9_mT8_P12ihipStream_tbDpT10_ENKUlT_T0_E_clISt17integral_constantIbLb0EES19_IbLb1EEEEDaS15_S16_EUlS15_E_NS1_11comp_targetILNS1_3genE3ELNS1_11target_archE908ELNS1_3gpuE7ELNS1_3repE0EEENS1_30default_config_static_selectorELNS0_4arch9wavefront6targetE0EEEvT1_
		.amdhsa_group_segment_fixed_size 0
		.amdhsa_private_segment_fixed_size 0
		.amdhsa_kernarg_size 136
		.amdhsa_user_sgpr_count 15
		.amdhsa_user_sgpr_dispatch_ptr 0
		.amdhsa_user_sgpr_queue_ptr 0
		.amdhsa_user_sgpr_kernarg_segment_ptr 1
		.amdhsa_user_sgpr_dispatch_id 0
		.amdhsa_user_sgpr_private_segment_size 0
		.amdhsa_wavefront_size32 1
		.amdhsa_uses_dynamic_stack 0
		.amdhsa_enable_private_segment 0
		.amdhsa_system_sgpr_workgroup_id_x 1
		.amdhsa_system_sgpr_workgroup_id_y 0
		.amdhsa_system_sgpr_workgroup_id_z 0
		.amdhsa_system_sgpr_workgroup_info 0
		.amdhsa_system_vgpr_workitem_id 0
		.amdhsa_next_free_vgpr 1
		.amdhsa_next_free_sgpr 1
		.amdhsa_reserve_vcc 0
		.amdhsa_float_round_mode_32 0
		.amdhsa_float_round_mode_16_64 0
		.amdhsa_float_denorm_mode_32 3
		.amdhsa_float_denorm_mode_16_64 3
		.amdhsa_dx10_clamp 1
		.amdhsa_ieee_mode 1
		.amdhsa_fp16_overflow 0
		.amdhsa_workgroup_processor_mode 1
		.amdhsa_memory_ordered 1
		.amdhsa_forward_progress 0
		.amdhsa_shared_vgpr_count 0
		.amdhsa_exception_fp_ieee_invalid_op 0
		.amdhsa_exception_fp_denorm_src 0
		.amdhsa_exception_fp_ieee_div_zero 0
		.amdhsa_exception_fp_ieee_overflow 0
		.amdhsa_exception_fp_ieee_underflow 0
		.amdhsa_exception_fp_ieee_inexact 0
		.amdhsa_exception_int_div_zero 0
	.end_amdhsa_kernel
	.section	.text._ZN7rocprim17ROCPRIM_400000_NS6detail17trampoline_kernelINS0_14default_configENS1_25partition_config_selectorILNS1_17partition_subalgoE9EllbEEZZNS1_14partition_implILS5_9ELb0ES3_jPlS8_PNS0_10empty_typeENS0_5tupleIJS8_S9_EEENSB_IJS8_SA_EEENS0_18inequality_wrapperIZN2at6native12_GLOBAL__N_124unique_dim_cuda_templateIfEESt5tupleIJNSF_6TensorESK_SK_EERKSK_lbbbEUlllE0_EEPmJS9_EEE10hipError_tPvRmT3_T4_T5_T6_T7_T9_mT8_P12ihipStream_tbDpT10_ENKUlT_T0_E_clISt17integral_constantIbLb0EES19_IbLb1EEEEDaS15_S16_EUlS15_E_NS1_11comp_targetILNS1_3genE3ELNS1_11target_archE908ELNS1_3gpuE7ELNS1_3repE0EEENS1_30default_config_static_selectorELNS0_4arch9wavefront6targetE0EEEvT1_,"axG",@progbits,_ZN7rocprim17ROCPRIM_400000_NS6detail17trampoline_kernelINS0_14default_configENS1_25partition_config_selectorILNS1_17partition_subalgoE9EllbEEZZNS1_14partition_implILS5_9ELb0ES3_jPlS8_PNS0_10empty_typeENS0_5tupleIJS8_S9_EEENSB_IJS8_SA_EEENS0_18inequality_wrapperIZN2at6native12_GLOBAL__N_124unique_dim_cuda_templateIfEESt5tupleIJNSF_6TensorESK_SK_EERKSK_lbbbEUlllE0_EEPmJS9_EEE10hipError_tPvRmT3_T4_T5_T6_T7_T9_mT8_P12ihipStream_tbDpT10_ENKUlT_T0_E_clISt17integral_constantIbLb0EES19_IbLb1EEEEDaS15_S16_EUlS15_E_NS1_11comp_targetILNS1_3genE3ELNS1_11target_archE908ELNS1_3gpuE7ELNS1_3repE0EEENS1_30default_config_static_selectorELNS0_4arch9wavefront6targetE0EEEvT1_,comdat
.Lfunc_end988:
	.size	_ZN7rocprim17ROCPRIM_400000_NS6detail17trampoline_kernelINS0_14default_configENS1_25partition_config_selectorILNS1_17partition_subalgoE9EllbEEZZNS1_14partition_implILS5_9ELb0ES3_jPlS8_PNS0_10empty_typeENS0_5tupleIJS8_S9_EEENSB_IJS8_SA_EEENS0_18inequality_wrapperIZN2at6native12_GLOBAL__N_124unique_dim_cuda_templateIfEESt5tupleIJNSF_6TensorESK_SK_EERKSK_lbbbEUlllE0_EEPmJS9_EEE10hipError_tPvRmT3_T4_T5_T6_T7_T9_mT8_P12ihipStream_tbDpT10_ENKUlT_T0_E_clISt17integral_constantIbLb0EES19_IbLb1EEEEDaS15_S16_EUlS15_E_NS1_11comp_targetILNS1_3genE3ELNS1_11target_archE908ELNS1_3gpuE7ELNS1_3repE0EEENS1_30default_config_static_selectorELNS0_4arch9wavefront6targetE0EEEvT1_, .Lfunc_end988-_ZN7rocprim17ROCPRIM_400000_NS6detail17trampoline_kernelINS0_14default_configENS1_25partition_config_selectorILNS1_17partition_subalgoE9EllbEEZZNS1_14partition_implILS5_9ELb0ES3_jPlS8_PNS0_10empty_typeENS0_5tupleIJS8_S9_EEENSB_IJS8_SA_EEENS0_18inequality_wrapperIZN2at6native12_GLOBAL__N_124unique_dim_cuda_templateIfEESt5tupleIJNSF_6TensorESK_SK_EERKSK_lbbbEUlllE0_EEPmJS9_EEE10hipError_tPvRmT3_T4_T5_T6_T7_T9_mT8_P12ihipStream_tbDpT10_ENKUlT_T0_E_clISt17integral_constantIbLb0EES19_IbLb1EEEEDaS15_S16_EUlS15_E_NS1_11comp_targetILNS1_3genE3ELNS1_11target_archE908ELNS1_3gpuE7ELNS1_3repE0EEENS1_30default_config_static_selectorELNS0_4arch9wavefront6targetE0EEEvT1_
                                        ; -- End function
	.section	.AMDGPU.csdata,"",@progbits
; Kernel info:
; codeLenInByte = 0
; NumSgprs: 0
; NumVgprs: 0
; ScratchSize: 0
; MemoryBound: 0
; FloatMode: 240
; IeeeMode: 1
; LDSByteSize: 0 bytes/workgroup (compile time only)
; SGPRBlocks: 0
; VGPRBlocks: 0
; NumSGPRsForWavesPerEU: 1
; NumVGPRsForWavesPerEU: 1
; Occupancy: 16
; WaveLimiterHint : 0
; COMPUTE_PGM_RSRC2:SCRATCH_EN: 0
; COMPUTE_PGM_RSRC2:USER_SGPR: 15
; COMPUTE_PGM_RSRC2:TRAP_HANDLER: 0
; COMPUTE_PGM_RSRC2:TGID_X_EN: 1
; COMPUTE_PGM_RSRC2:TGID_Y_EN: 0
; COMPUTE_PGM_RSRC2:TGID_Z_EN: 0
; COMPUTE_PGM_RSRC2:TIDIG_COMP_CNT: 0
	.section	.text._ZN7rocprim17ROCPRIM_400000_NS6detail17trampoline_kernelINS0_14default_configENS1_25partition_config_selectorILNS1_17partition_subalgoE9EllbEEZZNS1_14partition_implILS5_9ELb0ES3_jPlS8_PNS0_10empty_typeENS0_5tupleIJS8_S9_EEENSB_IJS8_SA_EEENS0_18inequality_wrapperIZN2at6native12_GLOBAL__N_124unique_dim_cuda_templateIfEESt5tupleIJNSF_6TensorESK_SK_EERKSK_lbbbEUlllE0_EEPmJS9_EEE10hipError_tPvRmT3_T4_T5_T6_T7_T9_mT8_P12ihipStream_tbDpT10_ENKUlT_T0_E_clISt17integral_constantIbLb0EES19_IbLb1EEEEDaS15_S16_EUlS15_E_NS1_11comp_targetILNS1_3genE2ELNS1_11target_archE906ELNS1_3gpuE6ELNS1_3repE0EEENS1_30default_config_static_selectorELNS0_4arch9wavefront6targetE0EEEvT1_,"axG",@progbits,_ZN7rocprim17ROCPRIM_400000_NS6detail17trampoline_kernelINS0_14default_configENS1_25partition_config_selectorILNS1_17partition_subalgoE9EllbEEZZNS1_14partition_implILS5_9ELb0ES3_jPlS8_PNS0_10empty_typeENS0_5tupleIJS8_S9_EEENSB_IJS8_SA_EEENS0_18inequality_wrapperIZN2at6native12_GLOBAL__N_124unique_dim_cuda_templateIfEESt5tupleIJNSF_6TensorESK_SK_EERKSK_lbbbEUlllE0_EEPmJS9_EEE10hipError_tPvRmT3_T4_T5_T6_T7_T9_mT8_P12ihipStream_tbDpT10_ENKUlT_T0_E_clISt17integral_constantIbLb0EES19_IbLb1EEEEDaS15_S16_EUlS15_E_NS1_11comp_targetILNS1_3genE2ELNS1_11target_archE906ELNS1_3gpuE6ELNS1_3repE0EEENS1_30default_config_static_selectorELNS0_4arch9wavefront6targetE0EEEvT1_,comdat
	.globl	_ZN7rocprim17ROCPRIM_400000_NS6detail17trampoline_kernelINS0_14default_configENS1_25partition_config_selectorILNS1_17partition_subalgoE9EllbEEZZNS1_14partition_implILS5_9ELb0ES3_jPlS8_PNS0_10empty_typeENS0_5tupleIJS8_S9_EEENSB_IJS8_SA_EEENS0_18inequality_wrapperIZN2at6native12_GLOBAL__N_124unique_dim_cuda_templateIfEESt5tupleIJNSF_6TensorESK_SK_EERKSK_lbbbEUlllE0_EEPmJS9_EEE10hipError_tPvRmT3_T4_T5_T6_T7_T9_mT8_P12ihipStream_tbDpT10_ENKUlT_T0_E_clISt17integral_constantIbLb0EES19_IbLb1EEEEDaS15_S16_EUlS15_E_NS1_11comp_targetILNS1_3genE2ELNS1_11target_archE906ELNS1_3gpuE6ELNS1_3repE0EEENS1_30default_config_static_selectorELNS0_4arch9wavefront6targetE0EEEvT1_ ; -- Begin function _ZN7rocprim17ROCPRIM_400000_NS6detail17trampoline_kernelINS0_14default_configENS1_25partition_config_selectorILNS1_17partition_subalgoE9EllbEEZZNS1_14partition_implILS5_9ELb0ES3_jPlS8_PNS0_10empty_typeENS0_5tupleIJS8_S9_EEENSB_IJS8_SA_EEENS0_18inequality_wrapperIZN2at6native12_GLOBAL__N_124unique_dim_cuda_templateIfEESt5tupleIJNSF_6TensorESK_SK_EERKSK_lbbbEUlllE0_EEPmJS9_EEE10hipError_tPvRmT3_T4_T5_T6_T7_T9_mT8_P12ihipStream_tbDpT10_ENKUlT_T0_E_clISt17integral_constantIbLb0EES19_IbLb1EEEEDaS15_S16_EUlS15_E_NS1_11comp_targetILNS1_3genE2ELNS1_11target_archE906ELNS1_3gpuE6ELNS1_3repE0EEENS1_30default_config_static_selectorELNS0_4arch9wavefront6targetE0EEEvT1_
	.p2align	8
	.type	_ZN7rocprim17ROCPRIM_400000_NS6detail17trampoline_kernelINS0_14default_configENS1_25partition_config_selectorILNS1_17partition_subalgoE9EllbEEZZNS1_14partition_implILS5_9ELb0ES3_jPlS8_PNS0_10empty_typeENS0_5tupleIJS8_S9_EEENSB_IJS8_SA_EEENS0_18inequality_wrapperIZN2at6native12_GLOBAL__N_124unique_dim_cuda_templateIfEESt5tupleIJNSF_6TensorESK_SK_EERKSK_lbbbEUlllE0_EEPmJS9_EEE10hipError_tPvRmT3_T4_T5_T6_T7_T9_mT8_P12ihipStream_tbDpT10_ENKUlT_T0_E_clISt17integral_constantIbLb0EES19_IbLb1EEEEDaS15_S16_EUlS15_E_NS1_11comp_targetILNS1_3genE2ELNS1_11target_archE906ELNS1_3gpuE6ELNS1_3repE0EEENS1_30default_config_static_selectorELNS0_4arch9wavefront6targetE0EEEvT1_,@function
_ZN7rocprim17ROCPRIM_400000_NS6detail17trampoline_kernelINS0_14default_configENS1_25partition_config_selectorILNS1_17partition_subalgoE9EllbEEZZNS1_14partition_implILS5_9ELb0ES3_jPlS8_PNS0_10empty_typeENS0_5tupleIJS8_S9_EEENSB_IJS8_SA_EEENS0_18inequality_wrapperIZN2at6native12_GLOBAL__N_124unique_dim_cuda_templateIfEESt5tupleIJNSF_6TensorESK_SK_EERKSK_lbbbEUlllE0_EEPmJS9_EEE10hipError_tPvRmT3_T4_T5_T6_T7_T9_mT8_P12ihipStream_tbDpT10_ENKUlT_T0_E_clISt17integral_constantIbLb0EES19_IbLb1EEEEDaS15_S16_EUlS15_E_NS1_11comp_targetILNS1_3genE2ELNS1_11target_archE906ELNS1_3gpuE6ELNS1_3repE0EEENS1_30default_config_static_selectorELNS0_4arch9wavefront6targetE0EEEvT1_: ; @_ZN7rocprim17ROCPRIM_400000_NS6detail17trampoline_kernelINS0_14default_configENS1_25partition_config_selectorILNS1_17partition_subalgoE9EllbEEZZNS1_14partition_implILS5_9ELb0ES3_jPlS8_PNS0_10empty_typeENS0_5tupleIJS8_S9_EEENSB_IJS8_SA_EEENS0_18inequality_wrapperIZN2at6native12_GLOBAL__N_124unique_dim_cuda_templateIfEESt5tupleIJNSF_6TensorESK_SK_EERKSK_lbbbEUlllE0_EEPmJS9_EEE10hipError_tPvRmT3_T4_T5_T6_T7_T9_mT8_P12ihipStream_tbDpT10_ENKUlT_T0_E_clISt17integral_constantIbLb0EES19_IbLb1EEEEDaS15_S16_EUlS15_E_NS1_11comp_targetILNS1_3genE2ELNS1_11target_archE906ELNS1_3gpuE6ELNS1_3repE0EEENS1_30default_config_static_selectorELNS0_4arch9wavefront6targetE0EEEvT1_
; %bb.0:
	.section	.rodata,"a",@progbits
	.p2align	6, 0x0
	.amdhsa_kernel _ZN7rocprim17ROCPRIM_400000_NS6detail17trampoline_kernelINS0_14default_configENS1_25partition_config_selectorILNS1_17partition_subalgoE9EllbEEZZNS1_14partition_implILS5_9ELb0ES3_jPlS8_PNS0_10empty_typeENS0_5tupleIJS8_S9_EEENSB_IJS8_SA_EEENS0_18inequality_wrapperIZN2at6native12_GLOBAL__N_124unique_dim_cuda_templateIfEESt5tupleIJNSF_6TensorESK_SK_EERKSK_lbbbEUlllE0_EEPmJS9_EEE10hipError_tPvRmT3_T4_T5_T6_T7_T9_mT8_P12ihipStream_tbDpT10_ENKUlT_T0_E_clISt17integral_constantIbLb0EES19_IbLb1EEEEDaS15_S16_EUlS15_E_NS1_11comp_targetILNS1_3genE2ELNS1_11target_archE906ELNS1_3gpuE6ELNS1_3repE0EEENS1_30default_config_static_selectorELNS0_4arch9wavefront6targetE0EEEvT1_
		.amdhsa_group_segment_fixed_size 0
		.amdhsa_private_segment_fixed_size 0
		.amdhsa_kernarg_size 136
		.amdhsa_user_sgpr_count 15
		.amdhsa_user_sgpr_dispatch_ptr 0
		.amdhsa_user_sgpr_queue_ptr 0
		.amdhsa_user_sgpr_kernarg_segment_ptr 1
		.amdhsa_user_sgpr_dispatch_id 0
		.amdhsa_user_sgpr_private_segment_size 0
		.amdhsa_wavefront_size32 1
		.amdhsa_uses_dynamic_stack 0
		.amdhsa_enable_private_segment 0
		.amdhsa_system_sgpr_workgroup_id_x 1
		.amdhsa_system_sgpr_workgroup_id_y 0
		.amdhsa_system_sgpr_workgroup_id_z 0
		.amdhsa_system_sgpr_workgroup_info 0
		.amdhsa_system_vgpr_workitem_id 0
		.amdhsa_next_free_vgpr 1
		.amdhsa_next_free_sgpr 1
		.amdhsa_reserve_vcc 0
		.amdhsa_float_round_mode_32 0
		.amdhsa_float_round_mode_16_64 0
		.amdhsa_float_denorm_mode_32 3
		.amdhsa_float_denorm_mode_16_64 3
		.amdhsa_dx10_clamp 1
		.amdhsa_ieee_mode 1
		.amdhsa_fp16_overflow 0
		.amdhsa_workgroup_processor_mode 1
		.amdhsa_memory_ordered 1
		.amdhsa_forward_progress 0
		.amdhsa_shared_vgpr_count 0
		.amdhsa_exception_fp_ieee_invalid_op 0
		.amdhsa_exception_fp_denorm_src 0
		.amdhsa_exception_fp_ieee_div_zero 0
		.amdhsa_exception_fp_ieee_overflow 0
		.amdhsa_exception_fp_ieee_underflow 0
		.amdhsa_exception_fp_ieee_inexact 0
		.amdhsa_exception_int_div_zero 0
	.end_amdhsa_kernel
	.section	.text._ZN7rocprim17ROCPRIM_400000_NS6detail17trampoline_kernelINS0_14default_configENS1_25partition_config_selectorILNS1_17partition_subalgoE9EllbEEZZNS1_14partition_implILS5_9ELb0ES3_jPlS8_PNS0_10empty_typeENS0_5tupleIJS8_S9_EEENSB_IJS8_SA_EEENS0_18inequality_wrapperIZN2at6native12_GLOBAL__N_124unique_dim_cuda_templateIfEESt5tupleIJNSF_6TensorESK_SK_EERKSK_lbbbEUlllE0_EEPmJS9_EEE10hipError_tPvRmT3_T4_T5_T6_T7_T9_mT8_P12ihipStream_tbDpT10_ENKUlT_T0_E_clISt17integral_constantIbLb0EES19_IbLb1EEEEDaS15_S16_EUlS15_E_NS1_11comp_targetILNS1_3genE2ELNS1_11target_archE906ELNS1_3gpuE6ELNS1_3repE0EEENS1_30default_config_static_selectorELNS0_4arch9wavefront6targetE0EEEvT1_,"axG",@progbits,_ZN7rocprim17ROCPRIM_400000_NS6detail17trampoline_kernelINS0_14default_configENS1_25partition_config_selectorILNS1_17partition_subalgoE9EllbEEZZNS1_14partition_implILS5_9ELb0ES3_jPlS8_PNS0_10empty_typeENS0_5tupleIJS8_S9_EEENSB_IJS8_SA_EEENS0_18inequality_wrapperIZN2at6native12_GLOBAL__N_124unique_dim_cuda_templateIfEESt5tupleIJNSF_6TensorESK_SK_EERKSK_lbbbEUlllE0_EEPmJS9_EEE10hipError_tPvRmT3_T4_T5_T6_T7_T9_mT8_P12ihipStream_tbDpT10_ENKUlT_T0_E_clISt17integral_constantIbLb0EES19_IbLb1EEEEDaS15_S16_EUlS15_E_NS1_11comp_targetILNS1_3genE2ELNS1_11target_archE906ELNS1_3gpuE6ELNS1_3repE0EEENS1_30default_config_static_selectorELNS0_4arch9wavefront6targetE0EEEvT1_,comdat
.Lfunc_end989:
	.size	_ZN7rocprim17ROCPRIM_400000_NS6detail17trampoline_kernelINS0_14default_configENS1_25partition_config_selectorILNS1_17partition_subalgoE9EllbEEZZNS1_14partition_implILS5_9ELb0ES3_jPlS8_PNS0_10empty_typeENS0_5tupleIJS8_S9_EEENSB_IJS8_SA_EEENS0_18inequality_wrapperIZN2at6native12_GLOBAL__N_124unique_dim_cuda_templateIfEESt5tupleIJNSF_6TensorESK_SK_EERKSK_lbbbEUlllE0_EEPmJS9_EEE10hipError_tPvRmT3_T4_T5_T6_T7_T9_mT8_P12ihipStream_tbDpT10_ENKUlT_T0_E_clISt17integral_constantIbLb0EES19_IbLb1EEEEDaS15_S16_EUlS15_E_NS1_11comp_targetILNS1_3genE2ELNS1_11target_archE906ELNS1_3gpuE6ELNS1_3repE0EEENS1_30default_config_static_selectorELNS0_4arch9wavefront6targetE0EEEvT1_, .Lfunc_end989-_ZN7rocprim17ROCPRIM_400000_NS6detail17trampoline_kernelINS0_14default_configENS1_25partition_config_selectorILNS1_17partition_subalgoE9EllbEEZZNS1_14partition_implILS5_9ELb0ES3_jPlS8_PNS0_10empty_typeENS0_5tupleIJS8_S9_EEENSB_IJS8_SA_EEENS0_18inequality_wrapperIZN2at6native12_GLOBAL__N_124unique_dim_cuda_templateIfEESt5tupleIJNSF_6TensorESK_SK_EERKSK_lbbbEUlllE0_EEPmJS9_EEE10hipError_tPvRmT3_T4_T5_T6_T7_T9_mT8_P12ihipStream_tbDpT10_ENKUlT_T0_E_clISt17integral_constantIbLb0EES19_IbLb1EEEEDaS15_S16_EUlS15_E_NS1_11comp_targetILNS1_3genE2ELNS1_11target_archE906ELNS1_3gpuE6ELNS1_3repE0EEENS1_30default_config_static_selectorELNS0_4arch9wavefront6targetE0EEEvT1_
                                        ; -- End function
	.section	.AMDGPU.csdata,"",@progbits
; Kernel info:
; codeLenInByte = 0
; NumSgprs: 0
; NumVgprs: 0
; ScratchSize: 0
; MemoryBound: 0
; FloatMode: 240
; IeeeMode: 1
; LDSByteSize: 0 bytes/workgroup (compile time only)
; SGPRBlocks: 0
; VGPRBlocks: 0
; NumSGPRsForWavesPerEU: 1
; NumVGPRsForWavesPerEU: 1
; Occupancy: 15
; WaveLimiterHint : 0
; COMPUTE_PGM_RSRC2:SCRATCH_EN: 0
; COMPUTE_PGM_RSRC2:USER_SGPR: 15
; COMPUTE_PGM_RSRC2:TRAP_HANDLER: 0
; COMPUTE_PGM_RSRC2:TGID_X_EN: 1
; COMPUTE_PGM_RSRC2:TGID_Y_EN: 0
; COMPUTE_PGM_RSRC2:TGID_Z_EN: 0
; COMPUTE_PGM_RSRC2:TIDIG_COMP_CNT: 0
	.section	.text._ZN7rocprim17ROCPRIM_400000_NS6detail17trampoline_kernelINS0_14default_configENS1_25partition_config_selectorILNS1_17partition_subalgoE9EllbEEZZNS1_14partition_implILS5_9ELb0ES3_jPlS8_PNS0_10empty_typeENS0_5tupleIJS8_S9_EEENSB_IJS8_SA_EEENS0_18inequality_wrapperIZN2at6native12_GLOBAL__N_124unique_dim_cuda_templateIfEESt5tupleIJNSF_6TensorESK_SK_EERKSK_lbbbEUlllE0_EEPmJS9_EEE10hipError_tPvRmT3_T4_T5_T6_T7_T9_mT8_P12ihipStream_tbDpT10_ENKUlT_T0_E_clISt17integral_constantIbLb0EES19_IbLb1EEEEDaS15_S16_EUlS15_E_NS1_11comp_targetILNS1_3genE10ELNS1_11target_archE1200ELNS1_3gpuE4ELNS1_3repE0EEENS1_30default_config_static_selectorELNS0_4arch9wavefront6targetE0EEEvT1_,"axG",@progbits,_ZN7rocprim17ROCPRIM_400000_NS6detail17trampoline_kernelINS0_14default_configENS1_25partition_config_selectorILNS1_17partition_subalgoE9EllbEEZZNS1_14partition_implILS5_9ELb0ES3_jPlS8_PNS0_10empty_typeENS0_5tupleIJS8_S9_EEENSB_IJS8_SA_EEENS0_18inequality_wrapperIZN2at6native12_GLOBAL__N_124unique_dim_cuda_templateIfEESt5tupleIJNSF_6TensorESK_SK_EERKSK_lbbbEUlllE0_EEPmJS9_EEE10hipError_tPvRmT3_T4_T5_T6_T7_T9_mT8_P12ihipStream_tbDpT10_ENKUlT_T0_E_clISt17integral_constantIbLb0EES19_IbLb1EEEEDaS15_S16_EUlS15_E_NS1_11comp_targetILNS1_3genE10ELNS1_11target_archE1200ELNS1_3gpuE4ELNS1_3repE0EEENS1_30default_config_static_selectorELNS0_4arch9wavefront6targetE0EEEvT1_,comdat
	.globl	_ZN7rocprim17ROCPRIM_400000_NS6detail17trampoline_kernelINS0_14default_configENS1_25partition_config_selectorILNS1_17partition_subalgoE9EllbEEZZNS1_14partition_implILS5_9ELb0ES3_jPlS8_PNS0_10empty_typeENS0_5tupleIJS8_S9_EEENSB_IJS8_SA_EEENS0_18inequality_wrapperIZN2at6native12_GLOBAL__N_124unique_dim_cuda_templateIfEESt5tupleIJNSF_6TensorESK_SK_EERKSK_lbbbEUlllE0_EEPmJS9_EEE10hipError_tPvRmT3_T4_T5_T6_T7_T9_mT8_P12ihipStream_tbDpT10_ENKUlT_T0_E_clISt17integral_constantIbLb0EES19_IbLb1EEEEDaS15_S16_EUlS15_E_NS1_11comp_targetILNS1_3genE10ELNS1_11target_archE1200ELNS1_3gpuE4ELNS1_3repE0EEENS1_30default_config_static_selectorELNS0_4arch9wavefront6targetE0EEEvT1_ ; -- Begin function _ZN7rocprim17ROCPRIM_400000_NS6detail17trampoline_kernelINS0_14default_configENS1_25partition_config_selectorILNS1_17partition_subalgoE9EllbEEZZNS1_14partition_implILS5_9ELb0ES3_jPlS8_PNS0_10empty_typeENS0_5tupleIJS8_S9_EEENSB_IJS8_SA_EEENS0_18inequality_wrapperIZN2at6native12_GLOBAL__N_124unique_dim_cuda_templateIfEESt5tupleIJNSF_6TensorESK_SK_EERKSK_lbbbEUlllE0_EEPmJS9_EEE10hipError_tPvRmT3_T4_T5_T6_T7_T9_mT8_P12ihipStream_tbDpT10_ENKUlT_T0_E_clISt17integral_constantIbLb0EES19_IbLb1EEEEDaS15_S16_EUlS15_E_NS1_11comp_targetILNS1_3genE10ELNS1_11target_archE1200ELNS1_3gpuE4ELNS1_3repE0EEENS1_30default_config_static_selectorELNS0_4arch9wavefront6targetE0EEEvT1_
	.p2align	8
	.type	_ZN7rocprim17ROCPRIM_400000_NS6detail17trampoline_kernelINS0_14default_configENS1_25partition_config_selectorILNS1_17partition_subalgoE9EllbEEZZNS1_14partition_implILS5_9ELb0ES3_jPlS8_PNS0_10empty_typeENS0_5tupleIJS8_S9_EEENSB_IJS8_SA_EEENS0_18inequality_wrapperIZN2at6native12_GLOBAL__N_124unique_dim_cuda_templateIfEESt5tupleIJNSF_6TensorESK_SK_EERKSK_lbbbEUlllE0_EEPmJS9_EEE10hipError_tPvRmT3_T4_T5_T6_T7_T9_mT8_P12ihipStream_tbDpT10_ENKUlT_T0_E_clISt17integral_constantIbLb0EES19_IbLb1EEEEDaS15_S16_EUlS15_E_NS1_11comp_targetILNS1_3genE10ELNS1_11target_archE1200ELNS1_3gpuE4ELNS1_3repE0EEENS1_30default_config_static_selectorELNS0_4arch9wavefront6targetE0EEEvT1_,@function
_ZN7rocprim17ROCPRIM_400000_NS6detail17trampoline_kernelINS0_14default_configENS1_25partition_config_selectorILNS1_17partition_subalgoE9EllbEEZZNS1_14partition_implILS5_9ELb0ES3_jPlS8_PNS0_10empty_typeENS0_5tupleIJS8_S9_EEENSB_IJS8_SA_EEENS0_18inequality_wrapperIZN2at6native12_GLOBAL__N_124unique_dim_cuda_templateIfEESt5tupleIJNSF_6TensorESK_SK_EERKSK_lbbbEUlllE0_EEPmJS9_EEE10hipError_tPvRmT3_T4_T5_T6_T7_T9_mT8_P12ihipStream_tbDpT10_ENKUlT_T0_E_clISt17integral_constantIbLb0EES19_IbLb1EEEEDaS15_S16_EUlS15_E_NS1_11comp_targetILNS1_3genE10ELNS1_11target_archE1200ELNS1_3gpuE4ELNS1_3repE0EEENS1_30default_config_static_selectorELNS0_4arch9wavefront6targetE0EEEvT1_: ; @_ZN7rocprim17ROCPRIM_400000_NS6detail17trampoline_kernelINS0_14default_configENS1_25partition_config_selectorILNS1_17partition_subalgoE9EllbEEZZNS1_14partition_implILS5_9ELb0ES3_jPlS8_PNS0_10empty_typeENS0_5tupleIJS8_S9_EEENSB_IJS8_SA_EEENS0_18inequality_wrapperIZN2at6native12_GLOBAL__N_124unique_dim_cuda_templateIfEESt5tupleIJNSF_6TensorESK_SK_EERKSK_lbbbEUlllE0_EEPmJS9_EEE10hipError_tPvRmT3_T4_T5_T6_T7_T9_mT8_P12ihipStream_tbDpT10_ENKUlT_T0_E_clISt17integral_constantIbLb0EES19_IbLb1EEEEDaS15_S16_EUlS15_E_NS1_11comp_targetILNS1_3genE10ELNS1_11target_archE1200ELNS1_3gpuE4ELNS1_3repE0EEENS1_30default_config_static_selectorELNS0_4arch9wavefront6targetE0EEEvT1_
; %bb.0:
	.section	.rodata,"a",@progbits
	.p2align	6, 0x0
	.amdhsa_kernel _ZN7rocprim17ROCPRIM_400000_NS6detail17trampoline_kernelINS0_14default_configENS1_25partition_config_selectorILNS1_17partition_subalgoE9EllbEEZZNS1_14partition_implILS5_9ELb0ES3_jPlS8_PNS0_10empty_typeENS0_5tupleIJS8_S9_EEENSB_IJS8_SA_EEENS0_18inequality_wrapperIZN2at6native12_GLOBAL__N_124unique_dim_cuda_templateIfEESt5tupleIJNSF_6TensorESK_SK_EERKSK_lbbbEUlllE0_EEPmJS9_EEE10hipError_tPvRmT3_T4_T5_T6_T7_T9_mT8_P12ihipStream_tbDpT10_ENKUlT_T0_E_clISt17integral_constantIbLb0EES19_IbLb1EEEEDaS15_S16_EUlS15_E_NS1_11comp_targetILNS1_3genE10ELNS1_11target_archE1200ELNS1_3gpuE4ELNS1_3repE0EEENS1_30default_config_static_selectorELNS0_4arch9wavefront6targetE0EEEvT1_
		.amdhsa_group_segment_fixed_size 0
		.amdhsa_private_segment_fixed_size 0
		.amdhsa_kernarg_size 136
		.amdhsa_user_sgpr_count 15
		.amdhsa_user_sgpr_dispatch_ptr 0
		.amdhsa_user_sgpr_queue_ptr 0
		.amdhsa_user_sgpr_kernarg_segment_ptr 1
		.amdhsa_user_sgpr_dispatch_id 0
		.amdhsa_user_sgpr_private_segment_size 0
		.amdhsa_wavefront_size32 1
		.amdhsa_uses_dynamic_stack 0
		.amdhsa_enable_private_segment 0
		.amdhsa_system_sgpr_workgroup_id_x 1
		.amdhsa_system_sgpr_workgroup_id_y 0
		.amdhsa_system_sgpr_workgroup_id_z 0
		.amdhsa_system_sgpr_workgroup_info 0
		.amdhsa_system_vgpr_workitem_id 0
		.amdhsa_next_free_vgpr 1
		.amdhsa_next_free_sgpr 1
		.amdhsa_reserve_vcc 0
		.amdhsa_float_round_mode_32 0
		.amdhsa_float_round_mode_16_64 0
		.amdhsa_float_denorm_mode_32 3
		.amdhsa_float_denorm_mode_16_64 3
		.amdhsa_dx10_clamp 1
		.amdhsa_ieee_mode 1
		.amdhsa_fp16_overflow 0
		.amdhsa_workgroup_processor_mode 1
		.amdhsa_memory_ordered 1
		.amdhsa_forward_progress 0
		.amdhsa_shared_vgpr_count 0
		.amdhsa_exception_fp_ieee_invalid_op 0
		.amdhsa_exception_fp_denorm_src 0
		.amdhsa_exception_fp_ieee_div_zero 0
		.amdhsa_exception_fp_ieee_overflow 0
		.amdhsa_exception_fp_ieee_underflow 0
		.amdhsa_exception_fp_ieee_inexact 0
		.amdhsa_exception_int_div_zero 0
	.end_amdhsa_kernel
	.section	.text._ZN7rocprim17ROCPRIM_400000_NS6detail17trampoline_kernelINS0_14default_configENS1_25partition_config_selectorILNS1_17partition_subalgoE9EllbEEZZNS1_14partition_implILS5_9ELb0ES3_jPlS8_PNS0_10empty_typeENS0_5tupleIJS8_S9_EEENSB_IJS8_SA_EEENS0_18inequality_wrapperIZN2at6native12_GLOBAL__N_124unique_dim_cuda_templateIfEESt5tupleIJNSF_6TensorESK_SK_EERKSK_lbbbEUlllE0_EEPmJS9_EEE10hipError_tPvRmT3_T4_T5_T6_T7_T9_mT8_P12ihipStream_tbDpT10_ENKUlT_T0_E_clISt17integral_constantIbLb0EES19_IbLb1EEEEDaS15_S16_EUlS15_E_NS1_11comp_targetILNS1_3genE10ELNS1_11target_archE1200ELNS1_3gpuE4ELNS1_3repE0EEENS1_30default_config_static_selectorELNS0_4arch9wavefront6targetE0EEEvT1_,"axG",@progbits,_ZN7rocprim17ROCPRIM_400000_NS6detail17trampoline_kernelINS0_14default_configENS1_25partition_config_selectorILNS1_17partition_subalgoE9EllbEEZZNS1_14partition_implILS5_9ELb0ES3_jPlS8_PNS0_10empty_typeENS0_5tupleIJS8_S9_EEENSB_IJS8_SA_EEENS0_18inequality_wrapperIZN2at6native12_GLOBAL__N_124unique_dim_cuda_templateIfEESt5tupleIJNSF_6TensorESK_SK_EERKSK_lbbbEUlllE0_EEPmJS9_EEE10hipError_tPvRmT3_T4_T5_T6_T7_T9_mT8_P12ihipStream_tbDpT10_ENKUlT_T0_E_clISt17integral_constantIbLb0EES19_IbLb1EEEEDaS15_S16_EUlS15_E_NS1_11comp_targetILNS1_3genE10ELNS1_11target_archE1200ELNS1_3gpuE4ELNS1_3repE0EEENS1_30default_config_static_selectorELNS0_4arch9wavefront6targetE0EEEvT1_,comdat
.Lfunc_end990:
	.size	_ZN7rocprim17ROCPRIM_400000_NS6detail17trampoline_kernelINS0_14default_configENS1_25partition_config_selectorILNS1_17partition_subalgoE9EllbEEZZNS1_14partition_implILS5_9ELb0ES3_jPlS8_PNS0_10empty_typeENS0_5tupleIJS8_S9_EEENSB_IJS8_SA_EEENS0_18inequality_wrapperIZN2at6native12_GLOBAL__N_124unique_dim_cuda_templateIfEESt5tupleIJNSF_6TensorESK_SK_EERKSK_lbbbEUlllE0_EEPmJS9_EEE10hipError_tPvRmT3_T4_T5_T6_T7_T9_mT8_P12ihipStream_tbDpT10_ENKUlT_T0_E_clISt17integral_constantIbLb0EES19_IbLb1EEEEDaS15_S16_EUlS15_E_NS1_11comp_targetILNS1_3genE10ELNS1_11target_archE1200ELNS1_3gpuE4ELNS1_3repE0EEENS1_30default_config_static_selectorELNS0_4arch9wavefront6targetE0EEEvT1_, .Lfunc_end990-_ZN7rocprim17ROCPRIM_400000_NS6detail17trampoline_kernelINS0_14default_configENS1_25partition_config_selectorILNS1_17partition_subalgoE9EllbEEZZNS1_14partition_implILS5_9ELb0ES3_jPlS8_PNS0_10empty_typeENS0_5tupleIJS8_S9_EEENSB_IJS8_SA_EEENS0_18inequality_wrapperIZN2at6native12_GLOBAL__N_124unique_dim_cuda_templateIfEESt5tupleIJNSF_6TensorESK_SK_EERKSK_lbbbEUlllE0_EEPmJS9_EEE10hipError_tPvRmT3_T4_T5_T6_T7_T9_mT8_P12ihipStream_tbDpT10_ENKUlT_T0_E_clISt17integral_constantIbLb0EES19_IbLb1EEEEDaS15_S16_EUlS15_E_NS1_11comp_targetILNS1_3genE10ELNS1_11target_archE1200ELNS1_3gpuE4ELNS1_3repE0EEENS1_30default_config_static_selectorELNS0_4arch9wavefront6targetE0EEEvT1_
                                        ; -- End function
	.section	.AMDGPU.csdata,"",@progbits
; Kernel info:
; codeLenInByte = 0
; NumSgprs: 0
; NumVgprs: 0
; ScratchSize: 0
; MemoryBound: 0
; FloatMode: 240
; IeeeMode: 1
; LDSByteSize: 0 bytes/workgroup (compile time only)
; SGPRBlocks: 0
; VGPRBlocks: 0
; NumSGPRsForWavesPerEU: 1
; NumVGPRsForWavesPerEU: 1
; Occupancy: 15
; WaveLimiterHint : 0
; COMPUTE_PGM_RSRC2:SCRATCH_EN: 0
; COMPUTE_PGM_RSRC2:USER_SGPR: 15
; COMPUTE_PGM_RSRC2:TRAP_HANDLER: 0
; COMPUTE_PGM_RSRC2:TGID_X_EN: 1
; COMPUTE_PGM_RSRC2:TGID_Y_EN: 0
; COMPUTE_PGM_RSRC2:TGID_Z_EN: 0
; COMPUTE_PGM_RSRC2:TIDIG_COMP_CNT: 0
	.section	.text._ZN7rocprim17ROCPRIM_400000_NS6detail17trampoline_kernelINS0_14default_configENS1_25partition_config_selectorILNS1_17partition_subalgoE9EllbEEZZNS1_14partition_implILS5_9ELb0ES3_jPlS8_PNS0_10empty_typeENS0_5tupleIJS8_S9_EEENSB_IJS8_SA_EEENS0_18inequality_wrapperIZN2at6native12_GLOBAL__N_124unique_dim_cuda_templateIfEESt5tupleIJNSF_6TensorESK_SK_EERKSK_lbbbEUlllE0_EEPmJS9_EEE10hipError_tPvRmT3_T4_T5_T6_T7_T9_mT8_P12ihipStream_tbDpT10_ENKUlT_T0_E_clISt17integral_constantIbLb0EES19_IbLb1EEEEDaS15_S16_EUlS15_E_NS1_11comp_targetILNS1_3genE9ELNS1_11target_archE1100ELNS1_3gpuE3ELNS1_3repE0EEENS1_30default_config_static_selectorELNS0_4arch9wavefront6targetE0EEEvT1_,"axG",@progbits,_ZN7rocprim17ROCPRIM_400000_NS6detail17trampoline_kernelINS0_14default_configENS1_25partition_config_selectorILNS1_17partition_subalgoE9EllbEEZZNS1_14partition_implILS5_9ELb0ES3_jPlS8_PNS0_10empty_typeENS0_5tupleIJS8_S9_EEENSB_IJS8_SA_EEENS0_18inequality_wrapperIZN2at6native12_GLOBAL__N_124unique_dim_cuda_templateIfEESt5tupleIJNSF_6TensorESK_SK_EERKSK_lbbbEUlllE0_EEPmJS9_EEE10hipError_tPvRmT3_T4_T5_T6_T7_T9_mT8_P12ihipStream_tbDpT10_ENKUlT_T0_E_clISt17integral_constantIbLb0EES19_IbLb1EEEEDaS15_S16_EUlS15_E_NS1_11comp_targetILNS1_3genE9ELNS1_11target_archE1100ELNS1_3gpuE3ELNS1_3repE0EEENS1_30default_config_static_selectorELNS0_4arch9wavefront6targetE0EEEvT1_,comdat
	.globl	_ZN7rocprim17ROCPRIM_400000_NS6detail17trampoline_kernelINS0_14default_configENS1_25partition_config_selectorILNS1_17partition_subalgoE9EllbEEZZNS1_14partition_implILS5_9ELb0ES3_jPlS8_PNS0_10empty_typeENS0_5tupleIJS8_S9_EEENSB_IJS8_SA_EEENS0_18inequality_wrapperIZN2at6native12_GLOBAL__N_124unique_dim_cuda_templateIfEESt5tupleIJNSF_6TensorESK_SK_EERKSK_lbbbEUlllE0_EEPmJS9_EEE10hipError_tPvRmT3_T4_T5_T6_T7_T9_mT8_P12ihipStream_tbDpT10_ENKUlT_T0_E_clISt17integral_constantIbLb0EES19_IbLb1EEEEDaS15_S16_EUlS15_E_NS1_11comp_targetILNS1_3genE9ELNS1_11target_archE1100ELNS1_3gpuE3ELNS1_3repE0EEENS1_30default_config_static_selectorELNS0_4arch9wavefront6targetE0EEEvT1_ ; -- Begin function _ZN7rocprim17ROCPRIM_400000_NS6detail17trampoline_kernelINS0_14default_configENS1_25partition_config_selectorILNS1_17partition_subalgoE9EllbEEZZNS1_14partition_implILS5_9ELb0ES3_jPlS8_PNS0_10empty_typeENS0_5tupleIJS8_S9_EEENSB_IJS8_SA_EEENS0_18inequality_wrapperIZN2at6native12_GLOBAL__N_124unique_dim_cuda_templateIfEESt5tupleIJNSF_6TensorESK_SK_EERKSK_lbbbEUlllE0_EEPmJS9_EEE10hipError_tPvRmT3_T4_T5_T6_T7_T9_mT8_P12ihipStream_tbDpT10_ENKUlT_T0_E_clISt17integral_constantIbLb0EES19_IbLb1EEEEDaS15_S16_EUlS15_E_NS1_11comp_targetILNS1_3genE9ELNS1_11target_archE1100ELNS1_3gpuE3ELNS1_3repE0EEENS1_30default_config_static_selectorELNS0_4arch9wavefront6targetE0EEEvT1_
	.p2align	8
	.type	_ZN7rocprim17ROCPRIM_400000_NS6detail17trampoline_kernelINS0_14default_configENS1_25partition_config_selectorILNS1_17partition_subalgoE9EllbEEZZNS1_14partition_implILS5_9ELb0ES3_jPlS8_PNS0_10empty_typeENS0_5tupleIJS8_S9_EEENSB_IJS8_SA_EEENS0_18inequality_wrapperIZN2at6native12_GLOBAL__N_124unique_dim_cuda_templateIfEESt5tupleIJNSF_6TensorESK_SK_EERKSK_lbbbEUlllE0_EEPmJS9_EEE10hipError_tPvRmT3_T4_T5_T6_T7_T9_mT8_P12ihipStream_tbDpT10_ENKUlT_T0_E_clISt17integral_constantIbLb0EES19_IbLb1EEEEDaS15_S16_EUlS15_E_NS1_11comp_targetILNS1_3genE9ELNS1_11target_archE1100ELNS1_3gpuE3ELNS1_3repE0EEENS1_30default_config_static_selectorELNS0_4arch9wavefront6targetE0EEEvT1_,@function
_ZN7rocprim17ROCPRIM_400000_NS6detail17trampoline_kernelINS0_14default_configENS1_25partition_config_selectorILNS1_17partition_subalgoE9EllbEEZZNS1_14partition_implILS5_9ELb0ES3_jPlS8_PNS0_10empty_typeENS0_5tupleIJS8_S9_EEENSB_IJS8_SA_EEENS0_18inequality_wrapperIZN2at6native12_GLOBAL__N_124unique_dim_cuda_templateIfEESt5tupleIJNSF_6TensorESK_SK_EERKSK_lbbbEUlllE0_EEPmJS9_EEE10hipError_tPvRmT3_T4_T5_T6_T7_T9_mT8_P12ihipStream_tbDpT10_ENKUlT_T0_E_clISt17integral_constantIbLb0EES19_IbLb1EEEEDaS15_S16_EUlS15_E_NS1_11comp_targetILNS1_3genE9ELNS1_11target_archE1100ELNS1_3gpuE3ELNS1_3repE0EEENS1_30default_config_static_selectorELNS0_4arch9wavefront6targetE0EEEvT1_: ; @_ZN7rocprim17ROCPRIM_400000_NS6detail17trampoline_kernelINS0_14default_configENS1_25partition_config_selectorILNS1_17partition_subalgoE9EllbEEZZNS1_14partition_implILS5_9ELb0ES3_jPlS8_PNS0_10empty_typeENS0_5tupleIJS8_S9_EEENSB_IJS8_SA_EEENS0_18inequality_wrapperIZN2at6native12_GLOBAL__N_124unique_dim_cuda_templateIfEESt5tupleIJNSF_6TensorESK_SK_EERKSK_lbbbEUlllE0_EEPmJS9_EEE10hipError_tPvRmT3_T4_T5_T6_T7_T9_mT8_P12ihipStream_tbDpT10_ENKUlT_T0_E_clISt17integral_constantIbLb0EES19_IbLb1EEEEDaS15_S16_EUlS15_E_NS1_11comp_targetILNS1_3genE9ELNS1_11target_archE1100ELNS1_3gpuE3ELNS1_3repE0EEENS1_30default_config_static_selectorELNS0_4arch9wavefront6targetE0EEEvT1_
; %bb.0:
	s_clause 0x3
	s_load_b128 s[4:7], s[0:1], 0x8
	s_load_b64 s[24:25], s[0:1], 0x18
	s_load_b256 s[8:15], s[0:1], 0x40
	s_load_b128 s[20:23], s[0:1], 0x60
	v_cmp_ne_u32_e64 s3, 0, v0
	v_cmp_eq_u32_e64 s2, 0, v0
	s_delay_alu instid0(VALU_DEP_1)
	s_and_saveexec_b32 s16, s2
	s_cbranch_execz .LBB991_4
; %bb.1:
	s_mov_b32 s18, exec_lo
	s_mov_b32 s17, exec_lo
	v_mbcnt_lo_u32_b32 v1, s18, 0
                                        ; implicit-def: $vgpr2
	s_delay_alu instid0(VALU_DEP_1)
	v_cmpx_eq_u32_e32 0, v1
	s_cbranch_execz .LBB991_3
; %bb.2:
	s_load_b64 s[26:27], s[0:1], 0x78
	s_bcnt1_i32_b32 s18, s18
	s_delay_alu instid0(SALU_CYCLE_1)
	v_dual_mov_b32 v2, 0 :: v_dual_mov_b32 v3, s18
	s_waitcnt lgkmcnt(0)
	global_atomic_add_u32 v2, v2, v3, s[26:27] glc
.LBB991_3:
	s_or_b32 exec_lo, exec_lo, s17
	s_waitcnt vmcnt(0)
	v_readfirstlane_b32 s17, v2
	s_delay_alu instid0(VALU_DEP_1)
	v_dual_mov_b32 v2, 0 :: v_dual_add_nc_u32 v1, s17, v1
	ds_store_b32 v2, v1
.LBB991_4:
	s_or_b32 exec_lo, exec_lo, s16
	v_mov_b32_e32 v1, 0
	s_clause 0x1
	s_load_b128 s[16:19], s[0:1], 0x28
	s_load_b32 s0, s[0:1], 0x70
	s_waitcnt lgkmcnt(0)
	s_barrier
	buffer_gl0_inv
	ds_load_b32 v3, v1
	s_waitcnt lgkmcnt(0)
	s_barrier
	buffer_gl0_inv
	global_load_b64 v[1:2], v1, s[10:11]
	s_lshl_b64 s[26:27], s[6:7], 3
	s_mov_b32 s1, 0
	s_add_u32 s10, s4, s26
	s_addc_u32 s11, s5, s27
	v_lshlrev_b32_e32 v55, 3, v0
	v_lshrrev_b32_e32 v34, 2, v0
	v_or_b32_e32 v39, 0x200, v0
	v_or_b32_e32 v38, 0x400, v0
	;; [unrolled: 1-line block ×5, first 2 shown]
	s_add_i32 s28, s0, -1
	s_lshl_b32 s5, s0, 12
	s_lshl_b32 s4, s28, 12
	v_or_b32_e32 v33, 0xc00, v0
	v_readfirstlane_b32 s30, v3
	s_add_i32 s4, s6, s4
	v_or_b32_e32 v36, 0xe00, v0
	s_sub_i32 s31, s12, s4
	s_delay_alu instid0(VALU_DEP_2)
	s_lshl_b32 s0, s30, 12
	s_add_u32 s4, s6, s5
	s_addc_u32 s5, s7, 0
	s_cmp_eq_u32 s30, s28
	v_cmp_ge_u64_e64 s4, s[4:5], s[12:13]
	s_cselect_b32 s28, -1, 0
	s_lshl_b64 s[12:13], s[0:1], 3
	s_mov_b32 s1, -1
	s_delay_alu instid0(VALU_DEP_1) | instskip(NEXT) | instid1(SALU_CYCLE_1)
	s_and_b32 s33, s4, s28
	s_xor_b32 s29, s33, -1
	s_add_u32 s4, s10, s12
	s_addc_u32 s5, s11, s13
	s_and_b32 vcc_lo, exec_lo, s29
	s_waitcnt vmcnt(0)
	v_readfirstlane_b32 s10, v1
	v_readfirstlane_b32 s11, v2
	s_cbranch_vccz .LBB991_6
; %bb.5:
	v_add_co_u32 v9, s0, s4, v55
	s_delay_alu instid0(VALU_DEP_1)
	v_add_co_ci_u32_e64 v10, null, s5, 0, s0
	global_load_b64 v[1:2], v55, s[4:5]
	v_add_co_u32 v3, vcc_lo, v9, 0x2000
	v_add_co_ci_u32_e32 v4, vcc_lo, 0, v10, vcc_lo
	v_add_co_u32 v5, vcc_lo, v9, 0x4000
	v_add_co_ci_u32_e32 v6, vcc_lo, 0, v10, vcc_lo
	;; [unrolled: 2-line block ×4, first 2 shown]
	s_clause 0x6
	global_load_b64 v[11:12], v[3:4], off offset:-4096
	global_load_b64 v[3:4], v[3:4], off
	global_load_b64 v[13:14], v[5:6], off offset:-4096
	global_load_b64 v[5:6], v[5:6], off
	;; [unrolled: 2-line block ×3, first 2 shown]
	global_load_b64 v[9:10], v[9:10], off
	v_lshrrev_b32_e32 v18, 2, v39
	v_lshrrev_b32_e32 v19, 2, v38
	;; [unrolled: 1-line block ×4, first 2 shown]
	v_and_b32_e32 v17, 0x78, v34
	v_lshrrev_b32_e32 v22, 2, v35
	v_lshrrev_b32_e32 v23, 2, v33
	;; [unrolled: 1-line block ×3, first 2 shown]
	v_and_b32_e32 v18, 0xf8, v18
	v_and_b32_e32 v19, 0x178, v19
	;; [unrolled: 1-line block ×4, first 2 shown]
	v_add_nc_u32_e32 v17, v17, v55
	v_and_b32_e32 v22, 0x2f8, v22
	v_and_b32_e32 v23, 0x378, v23
	;; [unrolled: 1-line block ×3, first 2 shown]
	v_add_nc_u32_e32 v18, v18, v55
	v_add_nc_u32_e32 v19, v19, v55
	v_add_nc_u32_e32 v20, v20, v55
	v_add_nc_u32_e32 v21, v21, v55
	s_mov_b32 s1, 0
	v_add_nc_u32_e32 v22, v22, v55
	v_add_nc_u32_e32 v23, v23, v55
	;; [unrolled: 1-line block ×3, first 2 shown]
	s_waitcnt vmcnt(7)
	ds_store_b64 v17, v[1:2]
	s_waitcnt vmcnt(6)
	ds_store_b64 v18, v[11:12] offset:4096
	s_waitcnt vmcnt(5)
	ds_store_b64 v19, v[3:4] offset:8192
	;; [unrolled: 2-line block ×7, first 2 shown]
	s_waitcnt lgkmcnt(0)
	s_barrier
.LBB991_6:
	v_cmp_gt_u32_e64 s0, s31, v0
	s_and_not1_b32 vcc_lo, exec_lo, s1
	s_cbranch_vccnz .LBB991_24
; %bb.7:
                                        ; implicit-def: $vgpr1_vgpr2_vgpr3_vgpr4_vgpr5_vgpr6_vgpr7_vgpr8_vgpr9_vgpr10_vgpr11_vgpr12_vgpr13_vgpr14_vgpr15_vgpr16
	s_delay_alu instid0(VALU_DEP_1)
	s_and_saveexec_b32 s1, s0
	s_cbranch_execz .LBB991_15
; %bb.8:
	global_load_b64 v[1:2], v55, s[4:5]
	s_or_b32 exec_lo, exec_lo, s1
	s_delay_alu instid0(SALU_CYCLE_1)
	s_mov_b32 s0, exec_lo
	v_cmpx_gt_u32_e64 s31, v39
	s_cbranch_execnz .LBB991_16
.LBB991_9:
	s_or_b32 exec_lo, exec_lo, s0
	s_delay_alu instid0(SALU_CYCLE_1)
	s_mov_b32 s0, exec_lo
	v_cmpx_gt_u32_e64 s31, v38
	s_cbranch_execz .LBB991_17
.LBB991_10:
	v_lshlrev_b32_e32 v5, 3, v38
	global_load_b64 v[5:6], v5, s[4:5]
	s_or_b32 exec_lo, exec_lo, s0
	s_delay_alu instid0(SALU_CYCLE_1)
	s_mov_b32 s0, exec_lo
	v_cmpx_gt_u32_e64 s31, v40
	s_cbranch_execnz .LBB991_18
.LBB991_11:
	s_or_b32 exec_lo, exec_lo, s0
	s_delay_alu instid0(SALU_CYCLE_1)
	s_mov_b32 s0, exec_lo
	v_cmpx_gt_u32_e64 s31, v37
	s_cbranch_execz .LBB991_19
.LBB991_12:
	v_lshlrev_b32_e32 v9, 3, v37
	global_load_b64 v[9:10], v9, s[4:5]
	s_or_b32 exec_lo, exec_lo, s0
	s_delay_alu instid0(SALU_CYCLE_1)
	s_mov_b32 s0, exec_lo
	v_cmpx_gt_u32_e64 s31, v35
	s_cbranch_execnz .LBB991_20
.LBB991_13:
	s_or_b32 exec_lo, exec_lo, s0
	s_delay_alu instid0(SALU_CYCLE_1)
	s_mov_b32 s0, exec_lo
	v_cmpx_gt_u32_e64 s31, v33
	s_cbranch_execz .LBB991_21
.LBB991_14:
	v_lshlrev_b32_e32 v13, 3, v33
	global_load_b64 v[13:14], v13, s[4:5]
	s_or_b32 exec_lo, exec_lo, s0
	s_delay_alu instid0(SALU_CYCLE_1)
	s_mov_b32 s0, exec_lo
	v_cmpx_gt_u32_e64 s31, v36
	s_cbranch_execnz .LBB991_22
	s_branch .LBB991_23
.LBB991_15:
	s_or_b32 exec_lo, exec_lo, s1
	s_delay_alu instid0(SALU_CYCLE_1)
	s_mov_b32 s0, exec_lo
	v_cmpx_gt_u32_e64 s31, v39
	s_cbranch_execz .LBB991_9
.LBB991_16:
	v_lshlrev_b32_e32 v3, 3, v39
	global_load_b64 v[3:4], v3, s[4:5]
	s_or_b32 exec_lo, exec_lo, s0
	s_delay_alu instid0(SALU_CYCLE_1)
	s_mov_b32 s0, exec_lo
	v_cmpx_gt_u32_e64 s31, v38
	s_cbranch_execnz .LBB991_10
.LBB991_17:
	s_or_b32 exec_lo, exec_lo, s0
	s_delay_alu instid0(SALU_CYCLE_1)
	s_mov_b32 s0, exec_lo
	v_cmpx_gt_u32_e64 s31, v40
	s_cbranch_execz .LBB991_11
.LBB991_18:
	v_lshlrev_b32_e32 v7, 3, v40
	global_load_b64 v[7:8], v7, s[4:5]
	s_or_b32 exec_lo, exec_lo, s0
	s_delay_alu instid0(SALU_CYCLE_1)
	s_mov_b32 s0, exec_lo
	v_cmpx_gt_u32_e64 s31, v37
	s_cbranch_execnz .LBB991_12
.LBB991_19:
	s_or_b32 exec_lo, exec_lo, s0
	s_delay_alu instid0(SALU_CYCLE_1)
	s_mov_b32 s0, exec_lo
	v_cmpx_gt_u32_e64 s31, v35
	s_cbranch_execz .LBB991_13
.LBB991_20:
	v_lshlrev_b32_e32 v11, 3, v35
	global_load_b64 v[11:12], v11, s[4:5]
	s_or_b32 exec_lo, exec_lo, s0
	s_delay_alu instid0(SALU_CYCLE_1)
	s_mov_b32 s0, exec_lo
	v_cmpx_gt_u32_e64 s31, v33
	s_cbranch_execnz .LBB991_14
.LBB991_21:
	s_or_b32 exec_lo, exec_lo, s0
	s_delay_alu instid0(SALU_CYCLE_1)
	s_mov_b32 s0, exec_lo
	v_cmpx_gt_u32_e64 s31, v36
	s_cbranch_execz .LBB991_23
.LBB991_22:
	v_lshlrev_b32_e32 v15, 3, v36
	global_load_b64 v[15:16], v15, s[4:5]
.LBB991_23:
	s_or_b32 exec_lo, exec_lo, s0
	v_lshrrev_b32_e32 v17, 2, v39
	v_lshrrev_b32_e32 v18, 2, v38
	;; [unrolled: 1-line block ×4, first 2 shown]
	v_and_b32_e32 v19, 0x78, v34
	v_lshrrev_b32_e32 v22, 2, v35
	v_lshrrev_b32_e32 v23, 2, v33
	;; [unrolled: 1-line block ×3, first 2 shown]
	v_and_b32_e32 v17, 0xf8, v17
	v_and_b32_e32 v18, 0x1f8, v18
	;; [unrolled: 1-line block ×4, first 2 shown]
	v_add_nc_u32_e32 v19, v19, v55
	v_and_b32_e32 v22, 0x3f8, v22
	v_and_b32_e32 v23, 0x3f8, v23
	;; [unrolled: 1-line block ×3, first 2 shown]
	v_add_nc_u32_e32 v17, v17, v55
	v_add_nc_u32_e32 v18, v18, v55
	;; [unrolled: 1-line block ×7, first 2 shown]
	s_waitcnt vmcnt(0)
	ds_store_b64 v19, v[1:2]
	ds_store_b64 v17, v[3:4] offset:4096
	ds_store_b64 v18, v[5:6] offset:8192
	;; [unrolled: 1-line block ×7, first 2 shown]
	s_waitcnt lgkmcnt(0)
	s_barrier
.LBB991_24:
	v_add_lshl_u32 v41, v34, v55, 3
	buffer_gl0_inv
	s_add_u32 s0, s24, s26
	s_addc_u32 s1, s25, s27
	s_add_u32 s0, s0, s12
	ds_load_2addr_b64 v[29:32], v41 offset1:1
	ds_load_2addr_b64 v[25:28], v41 offset0:2 offset1:3
	ds_load_2addr_b64 v[21:24], v41 offset0:4 offset1:5
	;; [unrolled: 1-line block ×3, first 2 shown]
	s_addc_u32 s1, s1, s13
	s_and_b32 vcc_lo, exec_lo, s29
	s_mov_b32 s12, -1
	s_waitcnt lgkmcnt(0)
	s_barrier
	buffer_gl0_inv
	s_cbranch_vccz .LBB991_26
; %bb.25:
	v_add_co_u32 v9, s12, s0, v55
	s_delay_alu instid0(VALU_DEP_1)
	v_add_co_ci_u32_e64 v10, null, s1, 0, s12
	global_load_b64 v[1:2], v55, s[0:1]
	v_add_co_u32 v3, vcc_lo, v9, 0x2000
	v_add_co_ci_u32_e32 v4, vcc_lo, 0, v10, vcc_lo
	v_add_co_u32 v5, vcc_lo, v9, 0x4000
	v_add_co_ci_u32_e32 v6, vcc_lo, 0, v10, vcc_lo
	;; [unrolled: 2-line block ×4, first 2 shown]
	s_clause 0x6
	global_load_b64 v[11:12], v[3:4], off offset:-4096
	global_load_b64 v[3:4], v[3:4], off
	global_load_b64 v[13:14], v[5:6], off offset:-4096
	global_load_b64 v[5:6], v[5:6], off
	;; [unrolled: 2-line block ×3, first 2 shown]
	global_load_b64 v[9:10], v[9:10], off
	v_lshrrev_b32_e32 v43, 2, v39
	v_lshrrev_b32_e32 v44, 2, v38
	;; [unrolled: 1-line block ×4, first 2 shown]
	v_and_b32_e32 v42, 0x78, v34
	v_lshrrev_b32_e32 v47, 2, v35
	v_lshrrev_b32_e32 v48, 2, v33
	;; [unrolled: 1-line block ×3, first 2 shown]
	v_and_b32_e32 v43, 0xf8, v43
	v_and_b32_e32 v44, 0x178, v44
	;; [unrolled: 1-line block ×4, first 2 shown]
	v_add_nc_u32_e32 v42, v42, v55
	v_and_b32_e32 v47, 0x2f8, v47
	v_and_b32_e32 v48, 0x378, v48
	;; [unrolled: 1-line block ×3, first 2 shown]
	v_add_nc_u32_e32 v43, v43, v55
	v_add_nc_u32_e32 v44, v44, v55
	;; [unrolled: 1-line block ×4, first 2 shown]
	s_mov_b32 s12, 0
	v_add_nc_u32_e32 v47, v47, v55
	v_add_nc_u32_e32 v48, v48, v55
	;; [unrolled: 1-line block ×3, first 2 shown]
	s_waitcnt vmcnt(7)
	ds_store_b64 v42, v[1:2]
	s_waitcnt vmcnt(6)
	ds_store_b64 v43, v[11:12] offset:4096
	s_waitcnt vmcnt(5)
	ds_store_b64 v44, v[3:4] offset:8192
	;; [unrolled: 2-line block ×7, first 2 shown]
	s_waitcnt lgkmcnt(0)
	s_barrier
.LBB991_26:
	s_and_not1_b32 vcc_lo, exec_lo, s12
	s_cbranch_vccnz .LBB991_44
; %bb.27:
	s_mov_b32 s12, exec_lo
                                        ; implicit-def: $vgpr1_vgpr2
	v_cmpx_gt_u32_e64 s31, v0
	s_cbranch_execz .LBB991_29
; %bb.28:
	global_load_b64 v[1:2], v55, s[0:1]
.LBB991_29:
	s_or_b32 exec_lo, exec_lo, s12
	s_delay_alu instid0(SALU_CYCLE_1)
	s_mov_b32 s12, exec_lo
                                        ; implicit-def: $vgpr3_vgpr4
	v_cmpx_gt_u32_e64 s31, v39
	s_cbranch_execz .LBB991_31
; %bb.30:
	v_lshlrev_b32_e32 v3, 3, v39
	global_load_b64 v[3:4], v3, s[0:1]
.LBB991_31:
	s_or_b32 exec_lo, exec_lo, s12
	s_delay_alu instid0(SALU_CYCLE_1)
	s_mov_b32 s12, exec_lo
                                        ; implicit-def: $vgpr5_vgpr6
	v_cmpx_gt_u32_e64 s31, v38
	s_cbranch_execz .LBB991_33
; %bb.32:
	v_lshlrev_b32_e32 v5, 3, v38
	global_load_b64 v[5:6], v5, s[0:1]
.LBB991_33:
	s_or_b32 exec_lo, exec_lo, s12
	s_delay_alu instid0(SALU_CYCLE_1)
	s_mov_b32 s12, exec_lo
                                        ; implicit-def: $vgpr7_vgpr8
	v_cmpx_gt_u32_e64 s31, v40
	s_cbranch_execz .LBB991_35
; %bb.34:
	v_lshlrev_b32_e32 v7, 3, v40
	global_load_b64 v[7:8], v7, s[0:1]
.LBB991_35:
	s_or_b32 exec_lo, exec_lo, s12
	s_delay_alu instid0(SALU_CYCLE_1)
	s_mov_b32 s12, exec_lo
                                        ; implicit-def: $vgpr9_vgpr10
	v_cmpx_gt_u32_e64 s31, v37
	s_cbranch_execz .LBB991_37
; %bb.36:
	v_lshlrev_b32_e32 v9, 3, v37
	global_load_b64 v[9:10], v9, s[0:1]
.LBB991_37:
	s_or_b32 exec_lo, exec_lo, s12
	s_delay_alu instid0(SALU_CYCLE_1)
	s_mov_b32 s12, exec_lo
                                        ; implicit-def: $vgpr11_vgpr12
	v_cmpx_gt_u32_e64 s31, v35
	s_cbranch_execz .LBB991_39
; %bb.38:
	v_lshlrev_b32_e32 v11, 3, v35
	global_load_b64 v[11:12], v11, s[0:1]
.LBB991_39:
	s_or_b32 exec_lo, exec_lo, s12
	s_delay_alu instid0(SALU_CYCLE_1)
	s_mov_b32 s12, exec_lo
                                        ; implicit-def: $vgpr13_vgpr14
	v_cmpx_gt_u32_e64 s31, v33
	s_cbranch_execz .LBB991_41
; %bb.40:
	v_lshlrev_b32_e32 v13, 3, v33
	global_load_b64 v[13:14], v13, s[0:1]
.LBB991_41:
	s_or_b32 exec_lo, exec_lo, s12
	s_delay_alu instid0(SALU_CYCLE_1)
	s_mov_b32 s12, exec_lo
                                        ; implicit-def: $vgpr15_vgpr16
	v_cmpx_gt_u32_e64 s31, v36
	s_cbranch_execz .LBB991_43
; %bb.42:
	v_lshlrev_b32_e32 v15, 3, v36
	global_load_b64 v[15:16], v15, s[0:1]
.LBB991_43:
	s_or_b32 exec_lo, exec_lo, s12
	v_lshrrev_b32_e32 v39, 2, v39
	v_lshrrev_b32_e32 v38, 2, v38
	;; [unrolled: 1-line block ×4, first 2 shown]
	v_and_b32_e32 v34, 0x78, v34
	v_lshrrev_b32_e32 v35, 2, v35
	v_lshrrev_b32_e32 v33, 2, v33
	;; [unrolled: 1-line block ×3, first 2 shown]
	v_and_b32_e32 v39, 0xf8, v39
	v_and_b32_e32 v38, 0x1f8, v38
	;; [unrolled: 1-line block ×4, first 2 shown]
	v_add_nc_u32_e32 v34, v34, v55
	v_and_b32_e32 v35, 0x3f8, v35
	v_and_b32_e32 v33, 0x3f8, v33
	v_and_b32_e32 v36, 0x3f8, v36
	v_add_nc_u32_e32 v39, v39, v55
	v_add_nc_u32_e32 v38, v38, v55
	;; [unrolled: 1-line block ×7, first 2 shown]
	s_waitcnt vmcnt(0)
	ds_store_b64 v34, v[1:2]
	ds_store_b64 v39, v[3:4] offset:4096
	ds_store_b64 v38, v[5:6] offset:8192
	;; [unrolled: 1-line block ×7, first 2 shown]
	s_waitcnt lgkmcnt(0)
	s_barrier
.LBB991_44:
	buffer_gl0_inv
	ds_load_2addr_b64 v[13:16], v41 offset1:1
	ds_load_2addr_b64 v[9:12], v41 offset0:2 offset1:3
	ds_load_2addr_b64 v[5:8], v41 offset0:4 offset1:5
	;; [unrolled: 1-line block ×3, first 2 shown]
	s_cmp_lg_u32 s30, 0
	v_cmp_gt_i64_e64 s13, s[14:15], 0
	s_cselect_b32 s12, -1, 0
	s_cmp_lg_u64 s[6:7], 0
	s_mov_b32 s1, 0
	s_cselect_b32 s0, -1, 0
	s_waitcnt lgkmcnt(0)
	s_or_b32 s0, s0, s12
	s_barrier
	s_and_b32 vcc_lo, exec_lo, s0
	buffer_gl0_inv
	s_cbranch_vccz .LBB991_53
; %bb.45:
	v_mov_b32_e32 v33, 0
	v_cndmask_b32_e64 v43, 0, 1, s13
	s_and_b32 vcc_lo, exec_lo, s29
	ds_store_b64 v55, v[19:20]
	global_load_b64 v[33:34], v33, s[4:5] offset:-8
	v_cmp_ne_u32_e64 s0, 1, v43
	s_cbranch_vccz .LBB991_54
; %bb.46:
	v_mul_lo_u32 v37, v18, s14
	v_mul_lo_u32 v38, v17, s15
	v_mad_u64_u32 v[35:36], null, v17, s14, 0
	s_and_b32 vcc_lo, exec_lo, s0
	s_mov_b32 s24, 0
	s_delay_alu instid0(VALU_DEP_1) | instskip(NEXT) | instid1(VALU_DEP_1)
	v_add3_u32 v36, v36, v38, v37
	v_lshlrev_b64 v[35:36], 2, v[35:36]
	s_cbranch_vccnz .LBB991_57
; %bb.47:
	v_mul_lo_u32 v39, v20, s14
	v_mul_lo_u32 v40, v19, s15
	v_mad_u64_u32 v[37:38], null, v19, s14, 0
	s_mov_b32 s24, -1
	s_mov_b32 s25, exec_lo
	s_delay_alu instid0(VALU_DEP_1) | instskip(SKIP_2) | instid1(VALU_DEP_3)
	v_add3_u32 v38, v38, v40, v39
	v_add_co_u32 v39, vcc_lo, s20, v35
	v_add_co_ci_u32_e32 v40, vcc_lo, s21, v36, vcc_lo
	v_lshlrev_b64 v[37:38], 2, v[37:38]
	s_delay_alu instid0(VALU_DEP_1) | instskip(NEXT) | instid1(VALU_DEP_2)
	v_add_co_u32 v37, vcc_lo, s20, v37
	v_add_co_ci_u32_e32 v38, vcc_lo, s21, v38, vcc_lo
	s_clause 0x1
	global_load_b32 v41, v[39:40], off
	global_load_b32 v42, v[37:38], off
	s_waitcnt vmcnt(0)
	v_cmpx_eq_f32_e32 v41, v42
	s_cbranch_execz .LBB991_56
; %bb.48:
	v_add_co_u32 v37, vcc_lo, v37, 4
	v_add_co_ci_u32_e32 v38, vcc_lo, 0, v38, vcc_lo
	v_add_co_u32 v39, vcc_lo, v39, 4
	v_add_co_ci_u32_e32 v40, vcc_lo, 0, v40, vcc_lo
	s_add_u32 s4, s14, -1
	s_addc_u32 s5, s15, -1
	s_mov_b64 s[6:7], 0
	s_mov_b32 s24, 0
                                        ; implicit-def: $sgpr26
	s_set_inst_prefetch_distance 0x1
	s_branch .LBB991_51
	.p2align	6
.LBB991_49:                             ;   in Loop: Header=BB991_51 Depth=1
	global_load_b32 v41, v[39:40], off
	global_load_b32 v42, v[37:38], off
	v_add_co_u32 v37, vcc_lo, v37, 4
	v_add_co_ci_u32_e32 v38, vcc_lo, 0, v38, vcc_lo
	v_add_co_u32 v39, s0, v39, 4
	s_delay_alu instid0(VALU_DEP_1)
	v_add_co_ci_u32_e64 v40, s0, 0, v40, s0
	s_add_u32 s6, s6, 1
	s_addc_u32 s7, s7, 0
	s_and_not1_b32 s0, s26, exec_lo
	s_waitcnt vmcnt(0)
	v_cmp_neq_f32_e32 vcc_lo, v41, v42
	s_and_b32 s26, vcc_lo, exec_lo
	s_delay_alu instid0(SALU_CYCLE_1)
	s_or_b32 s26, s0, s26
.LBB991_50:                             ;   in Loop: Header=BB991_51 Depth=1
	v_dual_mov_b32 v42, s7 :: v_dual_mov_b32 v41, s6
	s_and_b32 s0, exec_lo, s26
	s_delay_alu instid0(SALU_CYCLE_1) | instskip(NEXT) | instid1(SALU_CYCLE_1)
	s_or_b32 s24, s0, s24
	s_and_not1_b32 exec_lo, exec_lo, s24
	s_cbranch_execz .LBB991_55
.LBB991_51:                             ; =>This Inner Loop Header: Depth=1
	s_or_b32 s26, s26, exec_lo
	s_cmp_eq_u64 s[4:5], s[6:7]
	s_cbranch_scc0 .LBB991_49
; %bb.52:                               ;   in Loop: Header=BB991_51 Depth=1
	s_mov_b64 s[6:7], s[14:15]
                                        ; implicit-def: $vgpr37_vgpr38
                                        ; implicit-def: $vgpr39_vgpr40
	s_branch .LBB991_50
.LBB991_53:
                                        ; implicit-def: $sgpr0
                                        ; implicit-def: $vgpr36
	s_branch .LBB991_215
.LBB991_54:
                                        ; implicit-def: $sgpr0
                                        ; implicit-def: $vgpr36
	s_cbranch_execnz .LBB991_123
	s_branch .LBB991_214
.LBB991_55:
	s_set_inst_prefetch_distance 0x2
	s_or_b32 exec_lo, exec_lo, s24
	v_cmp_gt_i64_e32 vcc_lo, s[14:15], v[41:42]
	s_or_not1_b32 s24, vcc_lo, exec_lo
.LBB991_56:
	s_or_b32 exec_lo, exec_lo, s25
.LBB991_57:
	v_mul_lo_u32 v39, v24, s14
	v_mul_lo_u32 v40, v23, s15
	v_mad_u64_u32 v[37:38], null, v23, s14, 0
	s_and_not1_b32 vcc_lo, exec_lo, s13
	s_delay_alu instid0(VALU_DEP_1) | instskip(NEXT) | instid1(VALU_DEP_1)
	v_add3_u32 v38, v38, v40, v39
	v_lshlrev_b64 v[37:38], 2, v[37:38]
	s_cbranch_vccnz .LBB991_66
; %bb.58:
	s_delay_alu instid0(VALU_DEP_1) | instskip(NEXT) | instid1(VALU_DEP_2)
	v_add_co_u32 v39, vcc_lo, s20, v37
	v_add_co_ci_u32_e32 v40, vcc_lo, s21, v38, vcc_lo
	v_add_co_u32 v35, vcc_lo, s20, v35
	v_add_co_ci_u32_e32 v36, vcc_lo, s21, v36, vcc_lo
	s_mov_b32 s1, -1
	s_clause 0x1
	global_load_b32 v41, v[39:40], off
	global_load_b32 v42, v[35:36], off
	s_mov_b32 s25, exec_lo
	s_waitcnt vmcnt(0)
	v_cmpx_eq_f32_e32 v41, v42
	s_cbranch_execz .LBB991_65
; %bb.59:
	v_add_co_u32 v35, vcc_lo, v35, 4
	v_add_co_ci_u32_e32 v36, vcc_lo, 0, v36, vcc_lo
	v_add_co_u32 v39, vcc_lo, v39, 4
	v_add_co_ci_u32_e32 v40, vcc_lo, 0, v40, vcc_lo
	s_add_u32 s4, s14, -1
	s_addc_u32 s5, s15, -1
	s_mov_b64 s[6:7], 0
	s_mov_b32 s1, 0
                                        ; implicit-def: $sgpr26
	s_set_inst_prefetch_distance 0x1
	s_branch .LBB991_62
	.p2align	6
.LBB991_60:                             ;   in Loop: Header=BB991_62 Depth=1
	global_load_b32 v41, v[39:40], off
	global_load_b32 v42, v[35:36], off
	v_add_co_u32 v35, vcc_lo, v35, 4
	v_add_co_ci_u32_e32 v36, vcc_lo, 0, v36, vcc_lo
	v_add_co_u32 v39, s0, v39, 4
	s_delay_alu instid0(VALU_DEP_1)
	v_add_co_ci_u32_e64 v40, s0, 0, v40, s0
	s_add_u32 s6, s6, 1
	s_addc_u32 s7, s7, 0
	s_and_not1_b32 s0, s26, exec_lo
	s_waitcnt vmcnt(0)
	v_cmp_neq_f32_e32 vcc_lo, v41, v42
	s_and_b32 s26, vcc_lo, exec_lo
	s_delay_alu instid0(SALU_CYCLE_1)
	s_or_b32 s26, s0, s26
.LBB991_61:                             ;   in Loop: Header=BB991_62 Depth=1
	v_dual_mov_b32 v42, s7 :: v_dual_mov_b32 v41, s6
	s_and_b32 s0, exec_lo, s26
	s_delay_alu instid0(SALU_CYCLE_1) | instskip(NEXT) | instid1(SALU_CYCLE_1)
	s_or_b32 s1, s0, s1
	s_and_not1_b32 exec_lo, exec_lo, s1
	s_cbranch_execz .LBB991_64
.LBB991_62:                             ; =>This Inner Loop Header: Depth=1
	s_or_b32 s26, s26, exec_lo
	s_cmp_eq_u64 s[4:5], s[6:7]
	s_cbranch_scc0 .LBB991_60
; %bb.63:                               ;   in Loop: Header=BB991_62 Depth=1
	s_mov_b64 s[6:7], s[14:15]
                                        ; implicit-def: $vgpr35_vgpr36
                                        ; implicit-def: $vgpr39_vgpr40
	s_branch .LBB991_61
.LBB991_64:
	s_set_inst_prefetch_distance 0x2
	s_or_b32 exec_lo, exec_lo, s1
	v_cmp_gt_i64_e32 vcc_lo, s[14:15], v[41:42]
	s_or_not1_b32 s1, vcc_lo, exec_lo
.LBB991_65:
	s_or_b32 exec_lo, exec_lo, s25
.LBB991_66:
	v_mul_lo_u32 v39, v22, s14
	v_mul_lo_u32 v40, v21, s15
	v_mad_u64_u32 v[35:36], null, v21, s14, 0
	s_mov_b32 s25, 0
	s_and_not1_b32 vcc_lo, exec_lo, s13
	s_mov_b32 s26, 0
	s_delay_alu instid0(VALU_DEP_1) | instskip(NEXT) | instid1(VALU_DEP_1)
	v_add3_u32 v36, v36, v40, v39
	v_lshlrev_b64 v[39:40], 2, v[35:36]
	s_cbranch_vccnz .LBB991_75
; %bb.67:
	s_delay_alu instid0(VALU_DEP_1) | instskip(NEXT) | instid1(VALU_DEP_2)
	v_add_co_u32 v41, vcc_lo, s20, v39
	v_add_co_ci_u32_e32 v42, vcc_lo, s21, v40, vcc_lo
	v_add_co_u32 v35, vcc_lo, s20, v37
	v_add_co_ci_u32_e32 v36, vcc_lo, s21, v38, vcc_lo
	s_mov_b32 s26, -1
	s_clause 0x1
	global_load_b32 v37, v[41:42], off
	global_load_b32 v38, v[35:36], off
	s_mov_b32 s27, exec_lo
	s_waitcnt vmcnt(0)
	v_cmpx_eq_f32_e32 v37, v38
	s_cbranch_execz .LBB991_74
; %bb.68:
	v_add_co_u32 v35, vcc_lo, v35, 4
	v_add_co_ci_u32_e32 v36, vcc_lo, 0, v36, vcc_lo
	v_add_co_u32 v37, vcc_lo, v41, 4
	v_add_co_ci_u32_e32 v38, vcc_lo, 0, v42, vcc_lo
	s_add_u32 s4, s14, -1
	s_addc_u32 s5, s15, -1
	s_mov_b64 s[6:7], 0
	s_mov_b32 s26, 0
                                        ; implicit-def: $sgpr34
	s_set_inst_prefetch_distance 0x1
	s_branch .LBB991_71
	.p2align	6
.LBB991_69:                             ;   in Loop: Header=BB991_71 Depth=1
	global_load_b32 v41, v[37:38], off
	global_load_b32 v42, v[35:36], off
	v_add_co_u32 v35, vcc_lo, v35, 4
	v_add_co_ci_u32_e32 v36, vcc_lo, 0, v36, vcc_lo
	v_add_co_u32 v37, s0, v37, 4
	s_delay_alu instid0(VALU_DEP_1)
	v_add_co_ci_u32_e64 v38, s0, 0, v38, s0
	s_add_u32 s6, s6, 1
	s_addc_u32 s7, s7, 0
	s_and_not1_b32 s0, s34, exec_lo
	s_waitcnt vmcnt(0)
	v_cmp_neq_f32_e32 vcc_lo, v41, v42
	s_and_b32 s34, vcc_lo, exec_lo
	s_delay_alu instid0(SALU_CYCLE_1)
	s_or_b32 s34, s0, s34
.LBB991_70:                             ;   in Loop: Header=BB991_71 Depth=1
	v_dual_mov_b32 v42, s7 :: v_dual_mov_b32 v41, s6
	s_and_b32 s0, exec_lo, s34
	s_delay_alu instid0(SALU_CYCLE_1) | instskip(NEXT) | instid1(SALU_CYCLE_1)
	s_or_b32 s26, s0, s26
	s_and_not1_b32 exec_lo, exec_lo, s26
	s_cbranch_execz .LBB991_73
.LBB991_71:                             ; =>This Inner Loop Header: Depth=1
	s_or_b32 s34, s34, exec_lo
	s_cmp_eq_u64 s[4:5], s[6:7]
	s_cbranch_scc0 .LBB991_69
; %bb.72:                               ;   in Loop: Header=BB991_71 Depth=1
	s_mov_b64 s[6:7], s[14:15]
                                        ; implicit-def: $vgpr35_vgpr36
                                        ; implicit-def: $vgpr37_vgpr38
	s_branch .LBB991_70
.LBB991_73:
	s_set_inst_prefetch_distance 0x2
	s_or_b32 exec_lo, exec_lo, s26
	v_cmp_gt_i64_e32 vcc_lo, s[14:15], v[41:42]
	s_or_not1_b32 s26, vcc_lo, exec_lo
.LBB991_74:
	s_or_b32 exec_lo, exec_lo, s27
.LBB991_75:
	v_mul_lo_u32 v37, v28, s14
	v_mul_lo_u32 v38, v27, s15
	v_mad_u64_u32 v[35:36], null, v27, s14, 0
	s_and_not1_b32 vcc_lo, exec_lo, s13
	s_delay_alu instid0(VALU_DEP_1) | instskip(NEXT) | instid1(VALU_DEP_1)
	v_add3_u32 v36, v36, v38, v37
	v_lshlrev_b64 v[35:36], 2, v[35:36]
	s_cbranch_vccnz .LBB991_84
; %bb.76:
	s_delay_alu instid0(VALU_DEP_1) | instskip(NEXT) | instid1(VALU_DEP_2)
	v_add_co_u32 v41, vcc_lo, s20, v35
	v_add_co_ci_u32_e32 v42, vcc_lo, s21, v36, vcc_lo
	v_add_co_u32 v37, vcc_lo, s20, v39
	v_add_co_ci_u32_e32 v38, vcc_lo, s21, v40, vcc_lo
	s_mov_b32 s25, -1
	s_clause 0x1
	global_load_b32 v39, v[41:42], off
	global_load_b32 v40, v[37:38], off
	s_mov_b32 s27, exec_lo
	s_waitcnt vmcnt(0)
	v_cmpx_eq_f32_e32 v39, v40
	s_cbranch_execz .LBB991_83
; %bb.77:
	v_add_co_u32 v37, vcc_lo, v37, 4
	v_add_co_ci_u32_e32 v38, vcc_lo, 0, v38, vcc_lo
	v_add_co_u32 v39, vcc_lo, v41, 4
	v_add_co_ci_u32_e32 v40, vcc_lo, 0, v42, vcc_lo
	s_add_u32 s4, s14, -1
	s_addc_u32 s5, s15, -1
	s_mov_b64 s[6:7], 0
	s_mov_b32 s25, 0
                                        ; implicit-def: $sgpr34
	s_set_inst_prefetch_distance 0x1
	s_branch .LBB991_80
	.p2align	6
.LBB991_78:                             ;   in Loop: Header=BB991_80 Depth=1
	global_load_b32 v41, v[39:40], off
	global_load_b32 v42, v[37:38], off
	v_add_co_u32 v37, vcc_lo, v37, 4
	v_add_co_ci_u32_e32 v38, vcc_lo, 0, v38, vcc_lo
	v_add_co_u32 v39, s0, v39, 4
	s_delay_alu instid0(VALU_DEP_1)
	v_add_co_ci_u32_e64 v40, s0, 0, v40, s0
	s_add_u32 s6, s6, 1
	s_addc_u32 s7, s7, 0
	s_and_not1_b32 s0, s34, exec_lo
	s_waitcnt vmcnt(0)
	v_cmp_neq_f32_e32 vcc_lo, v41, v42
	s_and_b32 s34, vcc_lo, exec_lo
	s_delay_alu instid0(SALU_CYCLE_1)
	s_or_b32 s34, s0, s34
.LBB991_79:                             ;   in Loop: Header=BB991_80 Depth=1
	v_dual_mov_b32 v42, s7 :: v_dual_mov_b32 v41, s6
	s_and_b32 s0, exec_lo, s34
	s_delay_alu instid0(SALU_CYCLE_1) | instskip(NEXT) | instid1(SALU_CYCLE_1)
	s_or_b32 s25, s0, s25
	s_and_not1_b32 exec_lo, exec_lo, s25
	s_cbranch_execz .LBB991_82
.LBB991_80:                             ; =>This Inner Loop Header: Depth=1
	s_or_b32 s34, s34, exec_lo
	s_cmp_eq_u64 s[4:5], s[6:7]
	s_cbranch_scc0 .LBB991_78
; %bb.81:                               ;   in Loop: Header=BB991_80 Depth=1
	s_mov_b64 s[6:7], s[14:15]
                                        ; implicit-def: $vgpr37_vgpr38
                                        ; implicit-def: $vgpr39_vgpr40
	s_branch .LBB991_79
.LBB991_82:
	s_set_inst_prefetch_distance 0x2
	s_or_b32 exec_lo, exec_lo, s25
	v_cmp_gt_i64_e32 vcc_lo, s[14:15], v[41:42]
	s_or_not1_b32 s25, vcc_lo, exec_lo
.LBB991_83:
	s_or_b32 exec_lo, exec_lo, s27
.LBB991_84:
	v_mul_lo_u32 v39, v26, s14
	v_mul_lo_u32 v40, v25, s15
	v_mad_u64_u32 v[37:38], null, v25, s14, 0
	s_mov_b32 s27, 0
	s_and_not1_b32 vcc_lo, exec_lo, s13
	s_mov_b32 s34, 0
	s_delay_alu instid0(VALU_DEP_1) | instskip(NEXT) | instid1(VALU_DEP_1)
	v_add3_u32 v38, v38, v40, v39
	v_lshlrev_b64 v[39:40], 2, v[37:38]
	s_cbranch_vccnz .LBB991_93
; %bb.85:
	s_delay_alu instid0(VALU_DEP_1) | instskip(NEXT) | instid1(VALU_DEP_2)
	v_add_co_u32 v37, vcc_lo, s20, v39
	v_add_co_ci_u32_e32 v38, vcc_lo, s21, v40, vcc_lo
	v_add_co_u32 v35, vcc_lo, s20, v35
	v_add_co_ci_u32_e32 v36, vcc_lo, s21, v36, vcc_lo
	s_mov_b32 s34, -1
	s_clause 0x1
	global_load_b32 v41, v[37:38], off
	global_load_b32 v42, v[35:36], off
	s_mov_b32 s35, exec_lo
	s_waitcnt vmcnt(0)
	v_cmpx_eq_f32_e32 v41, v42
	s_cbranch_execz .LBB991_92
; %bb.86:
	v_add_co_u32 v35, vcc_lo, v35, 4
	v_add_co_ci_u32_e32 v36, vcc_lo, 0, v36, vcc_lo
	v_add_co_u32 v37, vcc_lo, v37, 4
	v_add_co_ci_u32_e32 v38, vcc_lo, 0, v38, vcc_lo
	s_add_u32 s4, s14, -1
	s_addc_u32 s5, s15, -1
	s_mov_b64 s[6:7], 0
	s_mov_b32 s34, 0
                                        ; implicit-def: $sgpr36
	s_set_inst_prefetch_distance 0x1
	s_branch .LBB991_89
	.p2align	6
.LBB991_87:                             ;   in Loop: Header=BB991_89 Depth=1
	global_load_b32 v41, v[37:38], off
	global_load_b32 v42, v[35:36], off
	v_add_co_u32 v35, vcc_lo, v35, 4
	v_add_co_ci_u32_e32 v36, vcc_lo, 0, v36, vcc_lo
	v_add_co_u32 v37, s0, v37, 4
	s_delay_alu instid0(VALU_DEP_1)
	v_add_co_ci_u32_e64 v38, s0, 0, v38, s0
	s_add_u32 s6, s6, 1
	s_addc_u32 s7, s7, 0
	s_and_not1_b32 s0, s36, exec_lo
	s_waitcnt vmcnt(0)
	v_cmp_neq_f32_e32 vcc_lo, v41, v42
	s_and_b32 s36, vcc_lo, exec_lo
	s_delay_alu instid0(SALU_CYCLE_1)
	s_or_b32 s36, s0, s36
.LBB991_88:                             ;   in Loop: Header=BB991_89 Depth=1
	v_dual_mov_b32 v42, s7 :: v_dual_mov_b32 v41, s6
	s_and_b32 s0, exec_lo, s36
	s_delay_alu instid0(SALU_CYCLE_1) | instskip(NEXT) | instid1(SALU_CYCLE_1)
	s_or_b32 s34, s0, s34
	s_and_not1_b32 exec_lo, exec_lo, s34
	s_cbranch_execz .LBB991_91
.LBB991_89:                             ; =>This Inner Loop Header: Depth=1
	s_or_b32 s36, s36, exec_lo
	s_cmp_eq_u64 s[4:5], s[6:7]
	s_cbranch_scc0 .LBB991_87
; %bb.90:                               ;   in Loop: Header=BB991_89 Depth=1
	s_mov_b64 s[6:7], s[14:15]
                                        ; implicit-def: $vgpr35_vgpr36
                                        ; implicit-def: $vgpr37_vgpr38
	s_branch .LBB991_88
.LBB991_91:
	s_set_inst_prefetch_distance 0x2
	s_or_b32 exec_lo, exec_lo, s34
	v_cmp_gt_i64_e32 vcc_lo, s[14:15], v[41:42]
	s_or_not1_b32 s34, vcc_lo, exec_lo
.LBB991_92:
	s_or_b32 exec_lo, exec_lo, s35
.LBB991_93:
	v_mul_lo_u32 v37, v32, s14
	v_mul_lo_u32 v38, v31, s15
	v_mad_u64_u32 v[35:36], null, v31, s14, 0
	s_and_not1_b32 vcc_lo, exec_lo, s13
	s_delay_alu instid0(VALU_DEP_1) | instskip(NEXT) | instid1(VALU_DEP_1)
	v_add3_u32 v36, v36, v38, v37
	v_lshlrev_b64 v[37:38], 2, v[35:36]
	s_cbranch_vccnz .LBB991_102
; %bb.94:
	s_delay_alu instid0(VALU_DEP_1) | instskip(NEXT) | instid1(VALU_DEP_2)
	v_add_co_u32 v41, vcc_lo, s20, v37
	v_add_co_ci_u32_e32 v42, vcc_lo, s21, v38, vcc_lo
	v_add_co_u32 v35, vcc_lo, s20, v39
	v_add_co_ci_u32_e32 v36, vcc_lo, s21, v40, vcc_lo
	s_mov_b32 s27, -1
	s_clause 0x1
	global_load_b32 v39, v[41:42], off
	global_load_b32 v40, v[35:36], off
	s_mov_b32 s35, exec_lo
	s_waitcnt vmcnt(0)
	v_cmpx_eq_f32_e32 v39, v40
	s_cbranch_execz .LBB991_101
; %bb.95:
	v_add_co_u32 v35, vcc_lo, v35, 4
	v_add_co_ci_u32_e32 v36, vcc_lo, 0, v36, vcc_lo
	v_add_co_u32 v39, vcc_lo, v41, 4
	v_add_co_ci_u32_e32 v40, vcc_lo, 0, v42, vcc_lo
	s_add_u32 s4, s14, -1
	s_addc_u32 s5, s15, -1
	s_mov_b64 s[6:7], 0
	s_mov_b32 s27, 0
                                        ; implicit-def: $sgpr36
	s_set_inst_prefetch_distance 0x1
	s_branch .LBB991_98
	.p2align	6
.LBB991_96:                             ;   in Loop: Header=BB991_98 Depth=1
	global_load_b32 v41, v[39:40], off
	global_load_b32 v42, v[35:36], off
	v_add_co_u32 v35, vcc_lo, v35, 4
	v_add_co_ci_u32_e32 v36, vcc_lo, 0, v36, vcc_lo
	v_add_co_u32 v39, s0, v39, 4
	s_delay_alu instid0(VALU_DEP_1)
	v_add_co_ci_u32_e64 v40, s0, 0, v40, s0
	s_add_u32 s6, s6, 1
	s_addc_u32 s7, s7, 0
	s_and_not1_b32 s0, s36, exec_lo
	s_waitcnt vmcnt(0)
	v_cmp_neq_f32_e32 vcc_lo, v41, v42
	s_and_b32 s36, vcc_lo, exec_lo
	s_delay_alu instid0(SALU_CYCLE_1)
	s_or_b32 s36, s0, s36
.LBB991_97:                             ;   in Loop: Header=BB991_98 Depth=1
	v_dual_mov_b32 v42, s7 :: v_dual_mov_b32 v41, s6
	s_and_b32 s0, exec_lo, s36
	s_delay_alu instid0(SALU_CYCLE_1) | instskip(NEXT) | instid1(SALU_CYCLE_1)
	s_or_b32 s27, s0, s27
	s_and_not1_b32 exec_lo, exec_lo, s27
	s_cbranch_execz .LBB991_100
.LBB991_98:                             ; =>This Inner Loop Header: Depth=1
	s_or_b32 s36, s36, exec_lo
	s_cmp_eq_u64 s[4:5], s[6:7]
	s_cbranch_scc0 .LBB991_96
; %bb.99:                               ;   in Loop: Header=BB991_98 Depth=1
	s_mov_b64 s[6:7], s[14:15]
                                        ; implicit-def: $vgpr35_vgpr36
                                        ; implicit-def: $vgpr39_vgpr40
	s_branch .LBB991_97
.LBB991_100:
	s_set_inst_prefetch_distance 0x2
	s_or_b32 exec_lo, exec_lo, s27
	v_cmp_gt_i64_e32 vcc_lo, s[14:15], v[41:42]
	s_or_not1_b32 s27, vcc_lo, exec_lo
.LBB991_101:
	s_or_b32 exec_lo, exec_lo, s35
.LBB991_102:
	v_mul_lo_u32 v39, v30, s14
	v_mul_lo_u32 v40, v29, s15
	v_mad_u64_u32 v[35:36], null, v29, s14, 0
	s_and_not1_b32 vcc_lo, exec_lo, s13
	s_mov_b32 s0, 0
	s_delay_alu instid0(VALU_DEP_1) | instskip(NEXT) | instid1(VALU_DEP_1)
	v_add3_u32 v36, v36, v40, v39
	v_lshlrev_b64 v[35:36], 2, v[35:36]
	s_cbranch_vccnz .LBB991_111
; %bb.103:
	s_delay_alu instid0(VALU_DEP_1) | instskip(NEXT) | instid1(VALU_DEP_2)
	v_add_co_u32 v39, vcc_lo, s20, v35
	v_add_co_ci_u32_e32 v40, vcc_lo, s21, v36, vcc_lo
	v_add_co_u32 v37, vcc_lo, s20, v37
	v_add_co_ci_u32_e32 v38, vcc_lo, s21, v38, vcc_lo
	s_mov_b32 s0, -1
	s_clause 0x1
	global_load_b32 v41, v[39:40], off
	global_load_b32 v42, v[37:38], off
	s_mov_b32 s35, exec_lo
	s_waitcnt vmcnt(0)
	v_cmpx_eq_f32_e32 v41, v42
	s_cbranch_execz .LBB991_110
; %bb.104:
	v_add_co_u32 v37, vcc_lo, v37, 4
	v_add_co_ci_u32_e32 v38, vcc_lo, 0, v38, vcc_lo
	v_add_co_u32 v39, vcc_lo, v39, 4
	v_add_co_ci_u32_e32 v40, vcc_lo, 0, v40, vcc_lo
	s_add_u32 s4, s14, -1
	s_addc_u32 s5, s15, -1
	s_mov_b64 s[6:7], 0
	s_mov_b32 s36, 0
                                        ; implicit-def: $sgpr37
	s_set_inst_prefetch_distance 0x1
	s_branch .LBB991_107
	.p2align	6
.LBB991_105:                            ;   in Loop: Header=BB991_107 Depth=1
	global_load_b32 v41, v[39:40], off
	global_load_b32 v42, v[37:38], off
	v_add_co_u32 v37, vcc_lo, v37, 4
	v_add_co_ci_u32_e32 v38, vcc_lo, 0, v38, vcc_lo
	v_add_co_u32 v39, s0, v39, 4
	s_delay_alu instid0(VALU_DEP_1)
	v_add_co_ci_u32_e64 v40, s0, 0, v40, s0
	s_add_u32 s6, s6, 1
	s_addc_u32 s7, s7, 0
	s_and_not1_b32 s0, s37, exec_lo
	s_waitcnt vmcnt(0)
	v_cmp_neq_f32_e32 vcc_lo, v41, v42
	s_and_b32 s37, vcc_lo, exec_lo
	s_delay_alu instid0(SALU_CYCLE_1)
	s_or_b32 s37, s0, s37
.LBB991_106:                            ;   in Loop: Header=BB991_107 Depth=1
	v_dual_mov_b32 v42, s7 :: v_dual_mov_b32 v41, s6
	s_and_b32 s0, exec_lo, s37
	s_delay_alu instid0(SALU_CYCLE_1) | instskip(NEXT) | instid1(SALU_CYCLE_1)
	s_or_b32 s36, s0, s36
	s_and_not1_b32 exec_lo, exec_lo, s36
	s_cbranch_execz .LBB991_109
.LBB991_107:                            ; =>This Inner Loop Header: Depth=1
	s_or_b32 s37, s37, exec_lo
	s_cmp_eq_u64 s[4:5], s[6:7]
	s_cbranch_scc0 .LBB991_105
; %bb.108:                              ;   in Loop: Header=BB991_107 Depth=1
	s_mov_b64 s[6:7], s[14:15]
                                        ; implicit-def: $vgpr37_vgpr38
                                        ; implicit-def: $vgpr39_vgpr40
	s_branch .LBB991_106
.LBB991_109:
	s_set_inst_prefetch_distance 0x2
	s_or_b32 exec_lo, exec_lo, s36
	v_cmp_gt_i64_e32 vcc_lo, s[14:15], v[41:42]
	s_or_not1_b32 s0, vcc_lo, exec_lo
.LBB991_110:
	s_or_b32 exec_lo, exec_lo, s35
.LBB991_111:
	s_waitcnt vmcnt(0)
	v_dual_mov_b32 v38, v34 :: v_dual_mov_b32 v37, v33
	s_waitcnt lgkmcnt(0)
	s_barrier
	buffer_gl0_inv
	s_and_saveexec_b32 s4, s3
	s_cbranch_execz .LBB991_113
; %bb.112:
	v_add_nc_u32_e32 v37, -8, v55
	ds_load_b64 v[37:38], v37
.LBB991_113:
	s_or_b32 exec_lo, exec_lo, s4
	v_cndmask_b32_e64 v40, 0, 1, s34
	v_cndmask_b32_e64 v42, 0, 1, s26
	;; [unrolled: 1-line block ×7, first 2 shown]
	v_lshlrev_b16 v40, 8, v40
	v_lshlrev_b16 v42, 8, v42
	;; [unrolled: 1-line block ×4, first 2 shown]
	s_mov_b32 s1, 0
	v_or_b32_e32 v39, v39, v40
	v_or_b32_e32 v40, v41, v42
	;; [unrolled: 1-line block ×3, first 2 shown]
	v_and_b32_e32 v41, 0xffff, v45
	s_and_not1_b32 vcc_lo, exec_lo, s13
	v_lshlrev_b32_e32 v42, 16, v39
	v_and_b32_e32 v44, 0xffff, v40
	v_lshlrev_b32_e32 v45, 16, v46
	s_mov_b32 s0, 0
	s_cbranch_vccnz .LBB991_122
; %bb.114:
	s_waitcnt lgkmcnt(0)
	v_mul_lo_u32 v40, v38, s14
	v_mul_lo_u32 v46, v37, s15
	v_mad_u64_u32 v[38:39], null, v37, s14, 0
	s_mov_b32 s0, -1
	s_mov_b32 s24, exec_lo
	s_delay_alu instid0(VALU_DEP_1) | instskip(NEXT) | instid1(VALU_DEP_1)
	v_add3_u32 v39, v39, v46, v40
	v_lshlrev_b64 v[37:38], 2, v[38:39]
	s_delay_alu instid0(VALU_DEP_1) | instskip(NEXT) | instid1(VALU_DEP_2)
	v_add_co_u32 v37, vcc_lo, s20, v37
	v_add_co_ci_u32_e32 v38, vcc_lo, s21, v38, vcc_lo
	v_add_co_u32 v35, vcc_lo, s20, v35
	v_add_co_ci_u32_e32 v36, vcc_lo, s21, v36, vcc_lo
	s_clause 0x1
	global_load_b32 v39, v[37:38], off
	global_load_b32 v40, v[35:36], off
	s_waitcnt vmcnt(0)
	v_cmpx_eq_f32_e32 v39, v40
	s_cbranch_execz .LBB991_121
; %bb.115:
	v_add_co_u32 v35, vcc_lo, v35, 4
	v_add_co_ci_u32_e32 v36, vcc_lo, 0, v36, vcc_lo
	v_add_co_u32 v37, vcc_lo, v37, 4
	v_add_co_ci_u32_e32 v38, vcc_lo, 0, v38, vcc_lo
	s_add_u32 s4, s14, -1
	s_addc_u32 s5, s15, -1
	s_mov_b64 s[6:7], 0
	s_mov_b32 s25, 0
                                        ; implicit-def: $sgpr26
	s_set_inst_prefetch_distance 0x1
	s_branch .LBB991_118
	.p2align	6
.LBB991_116:                            ;   in Loop: Header=BB991_118 Depth=1
	global_load_b32 v39, v[37:38], off
	global_load_b32 v40, v[35:36], off
	v_add_co_u32 v35, vcc_lo, v35, 4
	v_add_co_ci_u32_e32 v36, vcc_lo, 0, v36, vcc_lo
	v_add_co_u32 v37, s0, v37, 4
	s_delay_alu instid0(VALU_DEP_1)
	v_add_co_ci_u32_e64 v38, s0, 0, v38, s0
	s_add_u32 s6, s6, 1
	s_addc_u32 s7, s7, 0
	s_and_not1_b32 s0, s26, exec_lo
	s_waitcnt vmcnt(0)
	v_cmp_neq_f32_e32 vcc_lo, v39, v40
	s_and_b32 s26, vcc_lo, exec_lo
	s_delay_alu instid0(SALU_CYCLE_1)
	s_or_b32 s26, s0, s26
.LBB991_117:                            ;   in Loop: Header=BB991_118 Depth=1
	v_dual_mov_b32 v40, s7 :: v_dual_mov_b32 v39, s6
	s_and_b32 s0, exec_lo, s26
	s_delay_alu instid0(SALU_CYCLE_1) | instskip(NEXT) | instid1(SALU_CYCLE_1)
	s_or_b32 s25, s0, s25
	s_and_not1_b32 exec_lo, exec_lo, s25
	s_cbranch_execz .LBB991_120
.LBB991_118:                            ; =>This Inner Loop Header: Depth=1
	s_or_b32 s26, s26, exec_lo
	s_cmp_eq_u64 s[4:5], s[6:7]
	s_cbranch_scc0 .LBB991_116
; %bb.119:                              ;   in Loop: Header=BB991_118 Depth=1
	s_mov_b64 s[6:7], s[14:15]
                                        ; implicit-def: $vgpr35_vgpr36
                                        ; implicit-def: $vgpr37_vgpr38
	s_branch .LBB991_117
.LBB991_120:
	s_set_inst_prefetch_distance 0x2
	s_or_b32 exec_lo, exec_lo, s25
	v_cmp_gt_i64_e32 vcc_lo, s[14:15], v[39:40]
	s_or_not1_b32 s0, vcc_lo, exec_lo
.LBB991_121:
	s_or_b32 exec_lo, exec_lo, s24
.LBB991_122:
	v_or_b32_e32 v35, v41, v42
	s_delay_alu instid0(VALU_DEP_2)
	v_or_b32_e32 v36, v44, v45
	s_and_b32 vcc_lo, exec_lo, s1
	s_cbranch_vccz .LBB991_214
.LBB991_123:
	v_or_b32_e32 v35, 7, v55
	s_mov_b32 s1, 0
	s_mov_b32 s24, 0
	s_mov_b32 s25, exec_lo
	s_delay_alu instid0(VALU_DEP_1)
	v_cmpx_gt_u32_e64 s31, v35
	s_cbranch_execz .LBB991_134
; %bb.124:
	s_and_not1_b32 vcc_lo, exec_lo, s13
	s_mov_b32 s0, 0
	s_cbranch_vccnz .LBB991_133
; %bb.125:
	v_mul_lo_u32 v39, v18, s14
	v_mul_lo_u32 v40, v17, s15
	v_mad_u64_u32 v[35:36], null, v17, s14, 0
	v_mul_lo_u32 v41, v20, s14
	v_mul_lo_u32 v42, v19, s15
	s_waitcnt lgkmcnt(0)
	v_mad_u64_u32 v[37:38], null, v19, s14, 0
	s_mov_b32 s0, -1
	s_mov_b32 s13, exec_lo
	s_delay_alu instid0(VALU_DEP_4) | instskip(NEXT) | instid1(VALU_DEP_2)
	v_add3_u32 v36, v36, v40, v39
	v_add3_u32 v38, v38, v42, v41
	s_delay_alu instid0(VALU_DEP_2) | instskip(NEXT) | instid1(VALU_DEP_2)
	v_lshlrev_b64 v[35:36], 2, v[35:36]
	v_lshlrev_b64 v[39:40], 2, v[37:38]
	s_delay_alu instid0(VALU_DEP_2) | instskip(NEXT) | instid1(VALU_DEP_3)
	v_add_co_u32 v37, vcc_lo, s20, v35
	v_add_co_ci_u32_e32 v38, vcc_lo, s21, v36, vcc_lo
	s_delay_alu instid0(VALU_DEP_3) | instskip(NEXT) | instid1(VALU_DEP_4)
	v_add_co_u32 v35, vcc_lo, s20, v39
	v_add_co_ci_u32_e32 v36, vcc_lo, s21, v40, vcc_lo
	s_clause 0x1
	global_load_b32 v39, v[37:38], off
	global_load_b32 v40, v[35:36], off
	s_waitcnt vmcnt(0)
	v_cmpx_eq_f32_e32 v39, v40
	s_cbranch_execz .LBB991_132
; %bb.126:
	v_add_co_u32 v35, vcc_lo, v35, 4
	v_add_co_ci_u32_e32 v36, vcc_lo, 0, v36, vcc_lo
	v_add_co_u32 v37, vcc_lo, v37, 4
	v_add_co_ci_u32_e32 v38, vcc_lo, 0, v38, vcc_lo
	s_add_u32 s4, s14, -1
	s_addc_u32 s5, s15, -1
	s_mov_b64 s[6:7], 0
                                        ; implicit-def: $sgpr26
	s_set_inst_prefetch_distance 0x1
	s_branch .LBB991_129
	.p2align	6
.LBB991_127:                            ;   in Loop: Header=BB991_129 Depth=1
	global_load_b32 v39, v[37:38], off
	global_load_b32 v40, v[35:36], off
	v_add_co_u32 v35, vcc_lo, v35, 4
	v_add_co_ci_u32_e32 v36, vcc_lo, 0, v36, vcc_lo
	v_add_co_u32 v37, s0, v37, 4
	s_delay_alu instid0(VALU_DEP_1)
	v_add_co_ci_u32_e64 v38, s0, 0, v38, s0
	s_add_u32 s6, s6, 1
	s_addc_u32 s7, s7, 0
	s_and_not1_b32 s0, s26, exec_lo
	s_waitcnt vmcnt(0)
	v_cmp_neq_f32_e32 vcc_lo, v39, v40
	s_and_b32 s26, vcc_lo, exec_lo
	s_delay_alu instid0(SALU_CYCLE_1)
	s_or_b32 s26, s0, s26
.LBB991_128:                            ;   in Loop: Header=BB991_129 Depth=1
	v_dual_mov_b32 v40, s7 :: v_dual_mov_b32 v39, s6
	s_and_b32 s0, exec_lo, s26
	s_delay_alu instid0(SALU_CYCLE_1) | instskip(NEXT) | instid1(SALU_CYCLE_1)
	s_or_b32 s24, s0, s24
	s_and_not1_b32 exec_lo, exec_lo, s24
	s_cbranch_execz .LBB991_131
.LBB991_129:                            ; =>This Inner Loop Header: Depth=1
	s_or_b32 s26, s26, exec_lo
	s_cmp_eq_u64 s[4:5], s[6:7]
	s_cbranch_scc0 .LBB991_127
; %bb.130:                              ;   in Loop: Header=BB991_129 Depth=1
	s_mov_b64 s[6:7], s[14:15]
                                        ; implicit-def: $vgpr35_vgpr36
                                        ; implicit-def: $vgpr37_vgpr38
	s_branch .LBB991_128
.LBB991_131:
	s_set_inst_prefetch_distance 0x2
	s_or_b32 exec_lo, exec_lo, s24
	v_cmp_gt_i64_e32 vcc_lo, s[14:15], v[39:40]
	s_or_not1_b32 s0, vcc_lo, exec_lo
.LBB991_132:
	s_or_b32 exec_lo, exec_lo, s13
.LBB991_133:
	s_delay_alu instid0(SALU_CYCLE_1)
	s_and_b32 s24, s0, exec_lo
.LBB991_134:
	s_or_b32 exec_lo, exec_lo, s25
	v_or_b32_e32 v35, 6, v55
	s_mov_b32 s13, exec_lo
	s_delay_alu instid0(VALU_DEP_1)
	v_cmpx_gt_u32_e64 s31, v35
	s_cbranch_execz .LBB991_145
; %bb.135:
	v_cmp_ne_u32_e32 vcc_lo, 1, v43
	s_mov_b32 s0, 0
	s_cbranch_vccnz .LBB991_144
; %bb.136:
	v_mul_lo_u32 v39, v24, s14
	v_mul_lo_u32 v40, v23, s15
	v_mad_u64_u32 v[35:36], null, v23, s14, 0
	v_mul_lo_u32 v41, v18, s14
	v_mul_lo_u32 v42, v17, s15
	s_waitcnt lgkmcnt(0)
	v_mad_u64_u32 v[37:38], null, v17, s14, 0
	s_mov_b32 s0, -1
	s_mov_b32 s1, exec_lo
	s_delay_alu instid0(VALU_DEP_4) | instskip(NEXT) | instid1(VALU_DEP_2)
	v_add3_u32 v36, v36, v40, v39
	v_add3_u32 v38, v38, v42, v41
	s_delay_alu instid0(VALU_DEP_2) | instskip(NEXT) | instid1(VALU_DEP_2)
	v_lshlrev_b64 v[35:36], 2, v[35:36]
	v_lshlrev_b64 v[39:40], 2, v[37:38]
	s_delay_alu instid0(VALU_DEP_2) | instskip(NEXT) | instid1(VALU_DEP_3)
	v_add_co_u32 v37, vcc_lo, s20, v35
	v_add_co_ci_u32_e32 v38, vcc_lo, s21, v36, vcc_lo
	s_delay_alu instid0(VALU_DEP_3) | instskip(NEXT) | instid1(VALU_DEP_4)
	v_add_co_u32 v35, vcc_lo, s20, v39
	v_add_co_ci_u32_e32 v36, vcc_lo, s21, v40, vcc_lo
	s_clause 0x1
	global_load_b32 v39, v[37:38], off
	global_load_b32 v40, v[35:36], off
	s_waitcnt vmcnt(0)
	v_cmpx_eq_f32_e32 v39, v40
	s_cbranch_execz .LBB991_143
; %bb.137:
	v_add_co_u32 v35, vcc_lo, v35, 4
	v_add_co_ci_u32_e32 v36, vcc_lo, 0, v36, vcc_lo
	v_add_co_u32 v37, vcc_lo, v37, 4
	v_add_co_ci_u32_e32 v38, vcc_lo, 0, v38, vcc_lo
	s_add_u32 s4, s14, -1
	s_addc_u32 s5, s15, -1
	s_mov_b64 s[6:7], 0
	s_mov_b32 s25, 0
                                        ; implicit-def: $sgpr26
	s_set_inst_prefetch_distance 0x1
	s_branch .LBB991_140
	.p2align	6
.LBB991_138:                            ;   in Loop: Header=BB991_140 Depth=1
	global_load_b32 v39, v[37:38], off
	global_load_b32 v40, v[35:36], off
	v_add_co_u32 v35, vcc_lo, v35, 4
	v_add_co_ci_u32_e32 v36, vcc_lo, 0, v36, vcc_lo
	v_add_co_u32 v37, s0, v37, 4
	s_delay_alu instid0(VALU_DEP_1)
	v_add_co_ci_u32_e64 v38, s0, 0, v38, s0
	s_add_u32 s6, s6, 1
	s_addc_u32 s7, s7, 0
	s_and_not1_b32 s0, s26, exec_lo
	s_waitcnt vmcnt(0)
	v_cmp_neq_f32_e32 vcc_lo, v39, v40
	s_and_b32 s26, vcc_lo, exec_lo
	s_delay_alu instid0(SALU_CYCLE_1)
	s_or_b32 s26, s0, s26
.LBB991_139:                            ;   in Loop: Header=BB991_140 Depth=1
	v_dual_mov_b32 v40, s7 :: v_dual_mov_b32 v39, s6
	s_and_b32 s0, exec_lo, s26
	s_delay_alu instid0(SALU_CYCLE_1) | instskip(NEXT) | instid1(SALU_CYCLE_1)
	s_or_b32 s25, s0, s25
	s_and_not1_b32 exec_lo, exec_lo, s25
	s_cbranch_execz .LBB991_142
.LBB991_140:                            ; =>This Inner Loop Header: Depth=1
	s_or_b32 s26, s26, exec_lo
	s_cmp_eq_u64 s[4:5], s[6:7]
	s_cbranch_scc0 .LBB991_138
; %bb.141:                              ;   in Loop: Header=BB991_140 Depth=1
	s_mov_b64 s[6:7], s[14:15]
                                        ; implicit-def: $vgpr35_vgpr36
                                        ; implicit-def: $vgpr37_vgpr38
	s_branch .LBB991_139
.LBB991_142:
	s_set_inst_prefetch_distance 0x2
	s_or_b32 exec_lo, exec_lo, s25
	v_cmp_gt_i64_e32 vcc_lo, s[14:15], v[39:40]
	s_or_not1_b32 s0, vcc_lo, exec_lo
.LBB991_143:
	s_or_b32 exec_lo, exec_lo, s1
.LBB991_144:
	s_delay_alu instid0(SALU_CYCLE_1)
	s_and_b32 s1, s0, exec_lo
.LBB991_145:
	s_or_b32 exec_lo, exec_lo, s13
	v_or_b32_e32 v35, 5, v55
	s_mov_b32 s25, 0
	s_mov_b32 s13, 0
	s_mov_b32 s26, exec_lo
	s_delay_alu instid0(VALU_DEP_1)
	v_cmpx_gt_u32_e64 s31, v35
	s_cbranch_execz .LBB991_156
; %bb.146:
	v_cmp_ne_u32_e32 vcc_lo, 1, v43
	s_mov_b32 s0, 0
	s_cbranch_vccnz .LBB991_155
; %bb.147:
	v_mul_lo_u32 v39, v22, s14
	v_mul_lo_u32 v40, v21, s15
	v_mad_u64_u32 v[35:36], null, v21, s14, 0
	v_mul_lo_u32 v41, v24, s14
	v_mul_lo_u32 v42, v23, s15
	s_waitcnt lgkmcnt(0)
	v_mad_u64_u32 v[37:38], null, v23, s14, 0
	s_mov_b32 s0, -1
	s_mov_b32 s13, exec_lo
	s_delay_alu instid0(VALU_DEP_4) | instskip(NEXT) | instid1(VALU_DEP_2)
	v_add3_u32 v36, v36, v40, v39
	v_add3_u32 v38, v38, v42, v41
	s_delay_alu instid0(VALU_DEP_2) | instskip(NEXT) | instid1(VALU_DEP_2)
	v_lshlrev_b64 v[35:36], 2, v[35:36]
	v_lshlrev_b64 v[39:40], 2, v[37:38]
	s_delay_alu instid0(VALU_DEP_2) | instskip(NEXT) | instid1(VALU_DEP_3)
	v_add_co_u32 v37, vcc_lo, s20, v35
	v_add_co_ci_u32_e32 v38, vcc_lo, s21, v36, vcc_lo
	s_delay_alu instid0(VALU_DEP_3) | instskip(NEXT) | instid1(VALU_DEP_4)
	v_add_co_u32 v35, vcc_lo, s20, v39
	v_add_co_ci_u32_e32 v36, vcc_lo, s21, v40, vcc_lo
	s_clause 0x1
	global_load_b32 v39, v[37:38], off
	global_load_b32 v40, v[35:36], off
	s_waitcnt vmcnt(0)
	v_cmpx_eq_f32_e32 v39, v40
	s_cbranch_execz .LBB991_154
; %bb.148:
	v_add_co_u32 v35, vcc_lo, v35, 4
	v_add_co_ci_u32_e32 v36, vcc_lo, 0, v36, vcc_lo
	v_add_co_u32 v37, vcc_lo, v37, 4
	v_add_co_ci_u32_e32 v38, vcc_lo, 0, v38, vcc_lo
	s_add_u32 s4, s14, -1
	s_addc_u32 s5, s15, -1
	s_mov_b64 s[6:7], 0
	s_mov_b32 s27, 0
                                        ; implicit-def: $sgpr34
	s_set_inst_prefetch_distance 0x1
	s_branch .LBB991_151
	.p2align	6
.LBB991_149:                            ;   in Loop: Header=BB991_151 Depth=1
	global_load_b32 v39, v[37:38], off
	global_load_b32 v40, v[35:36], off
	v_add_co_u32 v35, vcc_lo, v35, 4
	v_add_co_ci_u32_e32 v36, vcc_lo, 0, v36, vcc_lo
	v_add_co_u32 v37, s0, v37, 4
	s_delay_alu instid0(VALU_DEP_1)
	v_add_co_ci_u32_e64 v38, s0, 0, v38, s0
	s_add_u32 s6, s6, 1
	s_addc_u32 s7, s7, 0
	s_and_not1_b32 s0, s34, exec_lo
	s_waitcnt vmcnt(0)
	v_cmp_neq_f32_e32 vcc_lo, v39, v40
	s_and_b32 s34, vcc_lo, exec_lo
	s_delay_alu instid0(SALU_CYCLE_1)
	s_or_b32 s34, s0, s34
.LBB991_150:                            ;   in Loop: Header=BB991_151 Depth=1
	v_dual_mov_b32 v40, s7 :: v_dual_mov_b32 v39, s6
	s_and_b32 s0, exec_lo, s34
	s_delay_alu instid0(SALU_CYCLE_1) | instskip(NEXT) | instid1(SALU_CYCLE_1)
	s_or_b32 s27, s0, s27
	s_and_not1_b32 exec_lo, exec_lo, s27
	s_cbranch_execz .LBB991_153
.LBB991_151:                            ; =>This Inner Loop Header: Depth=1
	s_or_b32 s34, s34, exec_lo
	s_cmp_eq_u64 s[4:5], s[6:7]
	s_cbranch_scc0 .LBB991_149
; %bb.152:                              ;   in Loop: Header=BB991_151 Depth=1
	s_mov_b64 s[6:7], s[14:15]
                                        ; implicit-def: $vgpr35_vgpr36
                                        ; implicit-def: $vgpr37_vgpr38
	s_branch .LBB991_150
.LBB991_153:
	s_set_inst_prefetch_distance 0x2
	s_or_b32 exec_lo, exec_lo, s27
	v_cmp_gt_i64_e32 vcc_lo, s[14:15], v[39:40]
	s_or_not1_b32 s0, vcc_lo, exec_lo
.LBB991_154:
	s_or_b32 exec_lo, exec_lo, s13
.LBB991_155:
	s_delay_alu instid0(SALU_CYCLE_1)
	s_and_b32 s13, s0, exec_lo
.LBB991_156:
	s_or_b32 exec_lo, exec_lo, s26
	v_or_b32_e32 v35, 4, v55
	s_mov_b32 s26, exec_lo
	s_delay_alu instid0(VALU_DEP_1)
	v_cmpx_gt_u32_e64 s31, v35
	s_cbranch_execz .LBB991_167
; %bb.157:
	v_cmp_ne_u32_e32 vcc_lo, 1, v43
	s_mov_b32 s0, 0
	s_cbranch_vccnz .LBB991_166
; %bb.158:
	v_mul_lo_u32 v39, v28, s14
	v_mul_lo_u32 v40, v27, s15
	v_mad_u64_u32 v[35:36], null, v27, s14, 0
	v_mul_lo_u32 v41, v22, s14
	v_mul_lo_u32 v42, v21, s15
	s_waitcnt lgkmcnt(0)
	v_mad_u64_u32 v[37:38], null, v21, s14, 0
	s_mov_b32 s0, -1
	s_mov_b32 s25, exec_lo
	s_delay_alu instid0(VALU_DEP_4) | instskip(NEXT) | instid1(VALU_DEP_2)
	v_add3_u32 v36, v36, v40, v39
	v_add3_u32 v38, v38, v42, v41
	s_delay_alu instid0(VALU_DEP_2) | instskip(NEXT) | instid1(VALU_DEP_2)
	v_lshlrev_b64 v[35:36], 2, v[35:36]
	v_lshlrev_b64 v[39:40], 2, v[37:38]
	s_delay_alu instid0(VALU_DEP_2) | instskip(NEXT) | instid1(VALU_DEP_3)
	v_add_co_u32 v37, vcc_lo, s20, v35
	v_add_co_ci_u32_e32 v38, vcc_lo, s21, v36, vcc_lo
	s_delay_alu instid0(VALU_DEP_3) | instskip(NEXT) | instid1(VALU_DEP_4)
	v_add_co_u32 v35, vcc_lo, s20, v39
	v_add_co_ci_u32_e32 v36, vcc_lo, s21, v40, vcc_lo
	s_clause 0x1
	global_load_b32 v39, v[37:38], off
	global_load_b32 v40, v[35:36], off
	s_waitcnt vmcnt(0)
	v_cmpx_eq_f32_e32 v39, v40
	s_cbranch_execz .LBB991_165
; %bb.159:
	v_add_co_u32 v35, vcc_lo, v35, 4
	v_add_co_ci_u32_e32 v36, vcc_lo, 0, v36, vcc_lo
	v_add_co_u32 v37, vcc_lo, v37, 4
	v_add_co_ci_u32_e32 v38, vcc_lo, 0, v38, vcc_lo
	s_add_u32 s4, s14, -1
	s_addc_u32 s5, s15, -1
	s_mov_b64 s[6:7], 0
	s_mov_b32 s27, 0
                                        ; implicit-def: $sgpr34
	s_set_inst_prefetch_distance 0x1
	s_branch .LBB991_162
	.p2align	6
.LBB991_160:                            ;   in Loop: Header=BB991_162 Depth=1
	global_load_b32 v39, v[37:38], off
	global_load_b32 v40, v[35:36], off
	v_add_co_u32 v35, vcc_lo, v35, 4
	v_add_co_ci_u32_e32 v36, vcc_lo, 0, v36, vcc_lo
	v_add_co_u32 v37, s0, v37, 4
	s_delay_alu instid0(VALU_DEP_1)
	v_add_co_ci_u32_e64 v38, s0, 0, v38, s0
	s_add_u32 s6, s6, 1
	s_addc_u32 s7, s7, 0
	s_and_not1_b32 s0, s34, exec_lo
	s_waitcnt vmcnt(0)
	v_cmp_neq_f32_e32 vcc_lo, v39, v40
	s_and_b32 s34, vcc_lo, exec_lo
	s_delay_alu instid0(SALU_CYCLE_1)
	s_or_b32 s34, s0, s34
.LBB991_161:                            ;   in Loop: Header=BB991_162 Depth=1
	v_dual_mov_b32 v40, s7 :: v_dual_mov_b32 v39, s6
	s_and_b32 s0, exec_lo, s34
	s_delay_alu instid0(SALU_CYCLE_1) | instskip(NEXT) | instid1(SALU_CYCLE_1)
	s_or_b32 s27, s0, s27
	s_and_not1_b32 exec_lo, exec_lo, s27
	s_cbranch_execz .LBB991_164
.LBB991_162:                            ; =>This Inner Loop Header: Depth=1
	s_or_b32 s34, s34, exec_lo
	s_cmp_eq_u64 s[4:5], s[6:7]
	s_cbranch_scc0 .LBB991_160
; %bb.163:                              ;   in Loop: Header=BB991_162 Depth=1
	s_mov_b64 s[6:7], s[14:15]
                                        ; implicit-def: $vgpr35_vgpr36
                                        ; implicit-def: $vgpr37_vgpr38
	s_branch .LBB991_161
.LBB991_164:
	s_set_inst_prefetch_distance 0x2
	s_or_b32 exec_lo, exec_lo, s27
	v_cmp_gt_i64_e32 vcc_lo, s[14:15], v[39:40]
	s_or_not1_b32 s0, vcc_lo, exec_lo
.LBB991_165:
	s_or_b32 exec_lo, exec_lo, s25
.LBB991_166:
	s_delay_alu instid0(SALU_CYCLE_1)
	s_and_b32 s25, s0, exec_lo
.LBB991_167:
	s_or_b32 exec_lo, exec_lo, s26
	v_or_b32_e32 v35, 3, v55
	s_mov_b32 s27, 0
	s_mov_b32 s26, 0
	s_mov_b32 s34, exec_lo
	s_delay_alu instid0(VALU_DEP_1)
	v_cmpx_gt_u32_e64 s31, v35
	s_cbranch_execz .LBB991_178
; %bb.168:
	v_cmp_ne_u32_e32 vcc_lo, 1, v43
	s_mov_b32 s0, 0
	s_cbranch_vccnz .LBB991_177
; %bb.169:
	v_mul_lo_u32 v39, v26, s14
	v_mul_lo_u32 v40, v25, s15
	v_mad_u64_u32 v[35:36], null, v25, s14, 0
	v_mul_lo_u32 v41, v28, s14
	v_mul_lo_u32 v42, v27, s15
	s_waitcnt lgkmcnt(0)
	v_mad_u64_u32 v[37:38], null, v27, s14, 0
	s_mov_b32 s0, -1
	s_mov_b32 s26, exec_lo
	s_delay_alu instid0(VALU_DEP_4) | instskip(NEXT) | instid1(VALU_DEP_2)
	v_add3_u32 v36, v36, v40, v39
	v_add3_u32 v38, v38, v42, v41
	s_delay_alu instid0(VALU_DEP_2) | instskip(NEXT) | instid1(VALU_DEP_2)
	v_lshlrev_b64 v[35:36], 2, v[35:36]
	v_lshlrev_b64 v[39:40], 2, v[37:38]
	s_delay_alu instid0(VALU_DEP_2) | instskip(NEXT) | instid1(VALU_DEP_3)
	v_add_co_u32 v37, vcc_lo, s20, v35
	v_add_co_ci_u32_e32 v38, vcc_lo, s21, v36, vcc_lo
	s_delay_alu instid0(VALU_DEP_3) | instskip(NEXT) | instid1(VALU_DEP_4)
	v_add_co_u32 v35, vcc_lo, s20, v39
	v_add_co_ci_u32_e32 v36, vcc_lo, s21, v40, vcc_lo
	s_clause 0x1
	global_load_b32 v39, v[37:38], off
	global_load_b32 v40, v[35:36], off
	s_waitcnt vmcnt(0)
	v_cmpx_eq_f32_e32 v39, v40
	s_cbranch_execz .LBB991_176
; %bb.170:
	v_add_co_u32 v35, vcc_lo, v35, 4
	v_add_co_ci_u32_e32 v36, vcc_lo, 0, v36, vcc_lo
	v_add_co_u32 v37, vcc_lo, v37, 4
	v_add_co_ci_u32_e32 v38, vcc_lo, 0, v38, vcc_lo
	s_add_u32 s4, s14, -1
	s_addc_u32 s5, s15, -1
	s_mov_b64 s[6:7], 0
	s_mov_b32 s35, 0
                                        ; implicit-def: $sgpr36
	s_set_inst_prefetch_distance 0x1
	s_branch .LBB991_173
	.p2align	6
.LBB991_171:                            ;   in Loop: Header=BB991_173 Depth=1
	global_load_b32 v39, v[37:38], off
	global_load_b32 v40, v[35:36], off
	v_add_co_u32 v35, vcc_lo, v35, 4
	v_add_co_ci_u32_e32 v36, vcc_lo, 0, v36, vcc_lo
	v_add_co_u32 v37, s0, v37, 4
	s_delay_alu instid0(VALU_DEP_1)
	v_add_co_ci_u32_e64 v38, s0, 0, v38, s0
	s_add_u32 s6, s6, 1
	s_addc_u32 s7, s7, 0
	s_and_not1_b32 s0, s36, exec_lo
	s_waitcnt vmcnt(0)
	v_cmp_neq_f32_e32 vcc_lo, v39, v40
	s_and_b32 s36, vcc_lo, exec_lo
	s_delay_alu instid0(SALU_CYCLE_1)
	s_or_b32 s36, s0, s36
.LBB991_172:                            ;   in Loop: Header=BB991_173 Depth=1
	v_dual_mov_b32 v40, s7 :: v_dual_mov_b32 v39, s6
	s_and_b32 s0, exec_lo, s36
	s_delay_alu instid0(SALU_CYCLE_1) | instskip(NEXT) | instid1(SALU_CYCLE_1)
	s_or_b32 s35, s0, s35
	s_and_not1_b32 exec_lo, exec_lo, s35
	s_cbranch_execz .LBB991_175
.LBB991_173:                            ; =>This Inner Loop Header: Depth=1
	s_or_b32 s36, s36, exec_lo
	s_cmp_eq_u64 s[4:5], s[6:7]
	s_cbranch_scc0 .LBB991_171
; %bb.174:                              ;   in Loop: Header=BB991_173 Depth=1
	s_mov_b64 s[6:7], s[14:15]
                                        ; implicit-def: $vgpr35_vgpr36
                                        ; implicit-def: $vgpr37_vgpr38
	s_branch .LBB991_172
.LBB991_175:
	s_set_inst_prefetch_distance 0x2
	s_or_b32 exec_lo, exec_lo, s35
	v_cmp_gt_i64_e32 vcc_lo, s[14:15], v[39:40]
	s_or_not1_b32 s0, vcc_lo, exec_lo
.LBB991_176:
	s_or_b32 exec_lo, exec_lo, s26
.LBB991_177:
	s_delay_alu instid0(SALU_CYCLE_1)
	s_and_b32 s26, s0, exec_lo
.LBB991_178:
	s_or_b32 exec_lo, exec_lo, s34
	v_or_b32_e32 v35, 2, v55
	s_mov_b32 s34, exec_lo
	s_delay_alu instid0(VALU_DEP_1)
	v_cmpx_gt_u32_e64 s31, v35
	s_cbranch_execz .LBB991_189
; %bb.179:
	v_cmp_ne_u32_e32 vcc_lo, 1, v43
	s_mov_b32 s0, 0
	s_cbranch_vccnz .LBB991_188
; %bb.180:
	v_mul_lo_u32 v39, v32, s14
	v_mul_lo_u32 v40, v31, s15
	v_mad_u64_u32 v[35:36], null, v31, s14, 0
	v_mul_lo_u32 v41, v26, s14
	v_mul_lo_u32 v42, v25, s15
	s_waitcnt lgkmcnt(0)
	v_mad_u64_u32 v[37:38], null, v25, s14, 0
	s_mov_b32 s0, -1
	s_mov_b32 s27, exec_lo
	s_delay_alu instid0(VALU_DEP_4) | instskip(NEXT) | instid1(VALU_DEP_2)
	v_add3_u32 v36, v36, v40, v39
	v_add3_u32 v38, v38, v42, v41
	s_delay_alu instid0(VALU_DEP_2) | instskip(NEXT) | instid1(VALU_DEP_2)
	v_lshlrev_b64 v[35:36], 2, v[35:36]
	v_lshlrev_b64 v[39:40], 2, v[37:38]
	s_delay_alu instid0(VALU_DEP_2) | instskip(NEXT) | instid1(VALU_DEP_3)
	v_add_co_u32 v37, vcc_lo, s20, v35
	v_add_co_ci_u32_e32 v38, vcc_lo, s21, v36, vcc_lo
	s_delay_alu instid0(VALU_DEP_3) | instskip(NEXT) | instid1(VALU_DEP_4)
	v_add_co_u32 v35, vcc_lo, s20, v39
	v_add_co_ci_u32_e32 v36, vcc_lo, s21, v40, vcc_lo
	s_clause 0x1
	global_load_b32 v39, v[37:38], off
	global_load_b32 v40, v[35:36], off
	s_waitcnt vmcnt(0)
	v_cmpx_eq_f32_e32 v39, v40
	s_cbranch_execz .LBB991_187
; %bb.181:
	v_add_co_u32 v35, vcc_lo, v35, 4
	v_add_co_ci_u32_e32 v36, vcc_lo, 0, v36, vcc_lo
	v_add_co_u32 v37, vcc_lo, v37, 4
	v_add_co_ci_u32_e32 v38, vcc_lo, 0, v38, vcc_lo
	s_add_u32 s4, s14, -1
	s_addc_u32 s5, s15, -1
	s_mov_b64 s[6:7], 0
	s_mov_b32 s35, 0
                                        ; implicit-def: $sgpr36
	s_set_inst_prefetch_distance 0x1
	s_branch .LBB991_184
	.p2align	6
.LBB991_182:                            ;   in Loop: Header=BB991_184 Depth=1
	global_load_b32 v39, v[37:38], off
	global_load_b32 v40, v[35:36], off
	v_add_co_u32 v35, vcc_lo, v35, 4
	v_add_co_ci_u32_e32 v36, vcc_lo, 0, v36, vcc_lo
	v_add_co_u32 v37, s0, v37, 4
	s_delay_alu instid0(VALU_DEP_1)
	v_add_co_ci_u32_e64 v38, s0, 0, v38, s0
	s_add_u32 s6, s6, 1
	s_addc_u32 s7, s7, 0
	s_and_not1_b32 s0, s36, exec_lo
	s_waitcnt vmcnt(0)
	v_cmp_neq_f32_e32 vcc_lo, v39, v40
	s_and_b32 s36, vcc_lo, exec_lo
	s_delay_alu instid0(SALU_CYCLE_1)
	s_or_b32 s36, s0, s36
.LBB991_183:                            ;   in Loop: Header=BB991_184 Depth=1
	v_dual_mov_b32 v40, s7 :: v_dual_mov_b32 v39, s6
	s_and_b32 s0, exec_lo, s36
	s_delay_alu instid0(SALU_CYCLE_1) | instskip(NEXT) | instid1(SALU_CYCLE_1)
	s_or_b32 s35, s0, s35
	s_and_not1_b32 exec_lo, exec_lo, s35
	s_cbranch_execz .LBB991_186
.LBB991_184:                            ; =>This Inner Loop Header: Depth=1
	s_or_b32 s36, s36, exec_lo
	s_cmp_eq_u64 s[4:5], s[6:7]
	s_cbranch_scc0 .LBB991_182
; %bb.185:                              ;   in Loop: Header=BB991_184 Depth=1
	s_mov_b64 s[6:7], s[14:15]
                                        ; implicit-def: $vgpr35_vgpr36
                                        ; implicit-def: $vgpr37_vgpr38
	s_branch .LBB991_183
.LBB991_186:
	s_set_inst_prefetch_distance 0x2
	s_or_b32 exec_lo, exec_lo, s35
	v_cmp_gt_i64_e32 vcc_lo, s[14:15], v[39:40]
	s_or_not1_b32 s0, vcc_lo, exec_lo
.LBB991_187:
	s_or_b32 exec_lo, exec_lo, s27
.LBB991_188:
	s_delay_alu instid0(SALU_CYCLE_1)
	s_and_b32 s27, s0, exec_lo
.LBB991_189:
	s_or_b32 exec_lo, exec_lo, s34
	v_or_b32_e32 v35, 1, v55
	s_mov_b32 s0, 0
	s_mov_b32 s34, exec_lo
	s_delay_alu instid0(VALU_DEP_1)
	v_cmpx_gt_u32_e64 s31, v35
	s_cbranch_execz .LBB991_200
; %bb.190:
	v_cmp_ne_u32_e32 vcc_lo, 1, v43
	s_cbranch_vccnz .LBB991_199
; %bb.191:
	v_mul_lo_u32 v39, v30, s14
	v_mul_lo_u32 v40, v29, s15
	v_mad_u64_u32 v[35:36], null, v29, s14, 0
	v_mul_lo_u32 v41, v32, s14
	v_mul_lo_u32 v42, v31, s15
	s_waitcnt lgkmcnt(0)
	v_mad_u64_u32 v[37:38], null, v31, s14, 0
	s_mov_b32 s0, -1
	s_mov_b32 s35, exec_lo
	s_delay_alu instid0(VALU_DEP_4) | instskip(NEXT) | instid1(VALU_DEP_2)
	v_add3_u32 v36, v36, v40, v39
	v_add3_u32 v38, v38, v42, v41
	s_delay_alu instid0(VALU_DEP_2) | instskip(NEXT) | instid1(VALU_DEP_2)
	v_lshlrev_b64 v[35:36], 2, v[35:36]
	v_lshlrev_b64 v[39:40], 2, v[37:38]
	s_delay_alu instid0(VALU_DEP_2) | instskip(NEXT) | instid1(VALU_DEP_3)
	v_add_co_u32 v37, vcc_lo, s20, v35
	v_add_co_ci_u32_e32 v38, vcc_lo, s21, v36, vcc_lo
	s_delay_alu instid0(VALU_DEP_3) | instskip(NEXT) | instid1(VALU_DEP_4)
	v_add_co_u32 v35, vcc_lo, s20, v39
	v_add_co_ci_u32_e32 v36, vcc_lo, s21, v40, vcc_lo
	s_clause 0x1
	global_load_b32 v39, v[37:38], off
	global_load_b32 v40, v[35:36], off
	s_waitcnt vmcnt(0)
	v_cmpx_eq_f32_e32 v39, v40
	s_cbranch_execz .LBB991_198
; %bb.192:
	v_add_co_u32 v35, vcc_lo, v35, 4
	v_add_co_ci_u32_e32 v36, vcc_lo, 0, v36, vcc_lo
	v_add_co_u32 v37, vcc_lo, v37, 4
	v_add_co_ci_u32_e32 v38, vcc_lo, 0, v38, vcc_lo
	s_add_u32 s4, s14, -1
	s_addc_u32 s5, s15, -1
	s_mov_b64 s[6:7], 0
	s_mov_b32 s36, 0
                                        ; implicit-def: $sgpr37
	s_set_inst_prefetch_distance 0x1
	s_branch .LBB991_195
	.p2align	6
.LBB991_193:                            ;   in Loop: Header=BB991_195 Depth=1
	global_load_b32 v39, v[37:38], off
	global_load_b32 v40, v[35:36], off
	v_add_co_u32 v35, vcc_lo, v35, 4
	v_add_co_ci_u32_e32 v36, vcc_lo, 0, v36, vcc_lo
	v_add_co_u32 v37, s0, v37, 4
	s_delay_alu instid0(VALU_DEP_1)
	v_add_co_ci_u32_e64 v38, s0, 0, v38, s0
	s_add_u32 s6, s6, 1
	s_addc_u32 s7, s7, 0
	s_and_not1_b32 s0, s37, exec_lo
	s_waitcnt vmcnt(0)
	v_cmp_neq_f32_e32 vcc_lo, v39, v40
	s_and_b32 s37, vcc_lo, exec_lo
	s_delay_alu instid0(SALU_CYCLE_1)
	s_or_b32 s37, s0, s37
.LBB991_194:                            ;   in Loop: Header=BB991_195 Depth=1
	v_dual_mov_b32 v40, s7 :: v_dual_mov_b32 v39, s6
	s_and_b32 s0, exec_lo, s37
	s_delay_alu instid0(SALU_CYCLE_1) | instskip(NEXT) | instid1(SALU_CYCLE_1)
	s_or_b32 s36, s0, s36
	s_and_not1_b32 exec_lo, exec_lo, s36
	s_cbranch_execz .LBB991_197
.LBB991_195:                            ; =>This Inner Loop Header: Depth=1
	s_or_b32 s37, s37, exec_lo
	s_cmp_eq_u64 s[4:5], s[6:7]
	s_cbranch_scc0 .LBB991_193
; %bb.196:                              ;   in Loop: Header=BB991_195 Depth=1
	s_mov_b64 s[6:7], s[14:15]
                                        ; implicit-def: $vgpr35_vgpr36
                                        ; implicit-def: $vgpr37_vgpr38
	s_branch .LBB991_194
.LBB991_197:
	s_set_inst_prefetch_distance 0x2
	s_or_b32 exec_lo, exec_lo, s36
	v_cmp_gt_i64_e32 vcc_lo, s[14:15], v[39:40]
	s_or_not1_b32 s0, vcc_lo, exec_lo
.LBB991_198:
	s_or_b32 exec_lo, exec_lo, s35
.LBB991_199:
	s_delay_alu instid0(SALU_CYCLE_1)
	s_and_b32 s0, s0, exec_lo
.LBB991_200:
	s_or_b32 exec_lo, exec_lo, s34
	s_waitcnt vmcnt(0) lgkmcnt(0)
	s_barrier
	buffer_gl0_inv
	s_and_saveexec_b32 s4, s3
	s_cbranch_execz .LBB991_202
; %bb.201:
	v_add_nc_u32_e32 v33, -8, v55
	ds_load_b64 v[33:34], v33
.LBB991_202:
	s_or_b32 exec_lo, exec_lo, s4
	v_cndmask_b32_e64 v36, 0, 1, s26
	v_cndmask_b32_e64 v38, 0, 1, s13
	;; [unrolled: 1-line block ×7, first 2 shown]
	v_lshlrev_b16 v36, 8, v36
	v_lshlrev_b16 v38, 8, v38
	;; [unrolled: 1-line block ×3, first 2 shown]
	s_mov_b32 s0, 0
	v_lshlrev_b16 v41, 8, v41
	v_or_b32_e32 v35, v35, v36
	v_or_b32_e32 v36, v37, v38
	;; [unrolled: 1-line block ×3, first 2 shown]
	s_mov_b32 s1, exec_lo
	v_and_b32_e32 v39, 0xffff, v41
	v_lshlrev_b32_e32 v40, 16, v35
	v_and_b32_e32 v41, 0xffff, v36
	v_lshlrev_b32_e32 v42, 16, v37
	v_cmpx_gt_u32_e64 s31, v55
	s_cbranch_execz .LBB991_213
; %bb.203:
	v_cmp_ne_u32_e32 vcc_lo, 1, v43
	s_cbranch_vccnz .LBB991_212
; %bb.204:
	s_waitcnt lgkmcnt(0)
	v_mul_lo_u32 v38, v34, s14
	v_mul_lo_u32 v43, v33, s15
	v_mad_u64_u32 v[34:35], null, v33, s14, 0
	v_mul_lo_u32 v33, v30, s14
	v_mul_lo_u32 v44, v29, s15
	v_mad_u64_u32 v[36:37], null, v29, s14, 0
	s_mov_b32 s0, -1
	s_mov_b32 s13, exec_lo
	s_delay_alu instid0(VALU_DEP_4) | instskip(NEXT) | instid1(VALU_DEP_2)
	v_add3_u32 v35, v35, v43, v38
	v_add3_u32 v37, v37, v44, v33
	s_delay_alu instid0(VALU_DEP_2) | instskip(NEXT) | instid1(VALU_DEP_2)
	v_lshlrev_b64 v[33:34], 2, v[34:35]
	v_lshlrev_b64 v[37:38], 2, v[36:37]
	s_delay_alu instid0(VALU_DEP_2) | instskip(NEXT) | instid1(VALU_DEP_3)
	v_add_co_u32 v35, vcc_lo, s20, v33
	v_add_co_ci_u32_e32 v36, vcc_lo, s21, v34, vcc_lo
	s_delay_alu instid0(VALU_DEP_3) | instskip(NEXT) | instid1(VALU_DEP_4)
	v_add_co_u32 v33, vcc_lo, s20, v37
	v_add_co_ci_u32_e32 v34, vcc_lo, s21, v38, vcc_lo
	s_clause 0x1
	global_load_b32 v37, v[35:36], off
	global_load_b32 v38, v[33:34], off
	s_waitcnt vmcnt(0)
	v_cmpx_eq_f32_e32 v37, v38
	s_cbranch_execz .LBB991_211
; %bb.205:
	v_add_co_u32 v33, vcc_lo, v33, 4
	v_add_co_ci_u32_e32 v34, vcc_lo, 0, v34, vcc_lo
	v_add_co_u32 v35, vcc_lo, v35, 4
	v_add_co_ci_u32_e32 v36, vcc_lo, 0, v36, vcc_lo
	s_add_u32 s4, s14, -1
	s_addc_u32 s5, s15, -1
	s_mov_b64 s[6:7], 0
	s_mov_b32 s24, 0
                                        ; implicit-def: $sgpr25
	s_set_inst_prefetch_distance 0x1
	s_branch .LBB991_208
	.p2align	6
.LBB991_206:                            ;   in Loop: Header=BB991_208 Depth=1
	global_load_b32 v37, v[35:36], off
	global_load_b32 v38, v[33:34], off
	v_add_co_u32 v33, vcc_lo, v33, 4
	v_add_co_ci_u32_e32 v34, vcc_lo, 0, v34, vcc_lo
	v_add_co_u32 v35, s0, v35, 4
	s_delay_alu instid0(VALU_DEP_1)
	v_add_co_ci_u32_e64 v36, s0, 0, v36, s0
	s_add_u32 s6, s6, 1
	s_addc_u32 s7, s7, 0
	s_and_not1_b32 s0, s25, exec_lo
	s_waitcnt vmcnt(0)
	v_cmp_neq_f32_e32 vcc_lo, v37, v38
	s_and_b32 s25, vcc_lo, exec_lo
	s_delay_alu instid0(SALU_CYCLE_1)
	s_or_b32 s25, s0, s25
.LBB991_207:                            ;   in Loop: Header=BB991_208 Depth=1
	v_dual_mov_b32 v38, s7 :: v_dual_mov_b32 v37, s6
	s_and_b32 s0, exec_lo, s25
	s_delay_alu instid0(SALU_CYCLE_1) | instskip(NEXT) | instid1(SALU_CYCLE_1)
	s_or_b32 s24, s0, s24
	s_and_not1_b32 exec_lo, exec_lo, s24
	s_cbranch_execz .LBB991_210
.LBB991_208:                            ; =>This Inner Loop Header: Depth=1
	s_or_b32 s25, s25, exec_lo
	s_cmp_eq_u64 s[4:5], s[6:7]
	s_cbranch_scc0 .LBB991_206
; %bb.209:                              ;   in Loop: Header=BB991_208 Depth=1
	s_mov_b64 s[6:7], s[14:15]
                                        ; implicit-def: $vgpr33_vgpr34
                                        ; implicit-def: $vgpr35_vgpr36
	s_branch .LBB991_207
.LBB991_210:
	s_set_inst_prefetch_distance 0x2
	s_or_b32 exec_lo, exec_lo, s24
	v_cmp_gt_i64_e32 vcc_lo, s[14:15], v[37:38]
	s_or_not1_b32 s0, vcc_lo, exec_lo
.LBB991_211:
	s_or_b32 exec_lo, exec_lo, s13
.LBB991_212:
	s_delay_alu instid0(SALU_CYCLE_1)
	s_and_b32 s0, s0, exec_lo
.LBB991_213:
	s_or_b32 exec_lo, exec_lo, s1
	v_or_b32_e32 v35, v39, v40
	v_or_b32_e32 v36, v41, v42
.LBB991_214:
	s_mov_b32 s1, -1
	s_cbranch_execnz .LBB991_383
.LBB991_215:
	v_cmp_gt_i64_e64 s13, s[14:15], 0
	s_and_b32 vcc_lo, exec_lo, s29
	ds_store_b64 v55, v[19:20]
	s_cbranch_vccz .LBB991_223
; %bb.216:
	v_mul_lo_u32 v35, v18, s14
	v_mul_lo_u32 v36, v17, s15
	s_waitcnt vmcnt(0) lgkmcnt(1)
	v_mad_u64_u32 v[33:34], null, v17, s14, 0
	s_mov_b32 s24, 0
	s_and_not1_b32 vcc_lo, exec_lo, s13
	s_mov_b32 s25, 0
	s_delay_alu instid0(VALU_DEP_1) | instskip(NEXT) | instid1(VALU_DEP_1)
	v_add3_u32 v34, v34, v36, v35
	v_lshlrev_b64 v[33:34], 2, v[33:34]
	s_cbranch_vccnz .LBB991_226
; %bb.217:
	v_mul_lo_u32 v37, v20, s14
	v_mul_lo_u32 v38, v19, s15
	v_mad_u64_u32 v[35:36], null, v19, s14, 0
	s_mov_b32 s25, -1
	s_mov_b32 s26, exec_lo
	s_delay_alu instid0(VALU_DEP_1) | instskip(SKIP_2) | instid1(VALU_DEP_3)
	v_add3_u32 v36, v36, v38, v37
	v_add_co_u32 v37, vcc_lo, s20, v33
	v_add_co_ci_u32_e32 v38, vcc_lo, s21, v34, vcc_lo
	v_lshlrev_b64 v[35:36], 2, v[35:36]
	s_delay_alu instid0(VALU_DEP_1) | instskip(NEXT) | instid1(VALU_DEP_2)
	v_add_co_u32 v35, vcc_lo, s20, v35
	v_add_co_ci_u32_e32 v36, vcc_lo, s21, v36, vcc_lo
	s_clause 0x1
	global_load_b32 v39, v[37:38], off
	global_load_b32 v40, v[35:36], off
	s_waitcnt vmcnt(0)
	v_cmpx_eq_f32_e32 v39, v40
	s_cbranch_execz .LBB991_225
; %bb.218:
	v_add_co_u32 v35, vcc_lo, v35, 4
	v_add_co_ci_u32_e32 v36, vcc_lo, 0, v36, vcc_lo
	v_add_co_u32 v37, vcc_lo, v37, 4
	v_add_co_ci_u32_e32 v38, vcc_lo, 0, v38, vcc_lo
	s_add_u32 s4, s14, -1
	s_addc_u32 s5, s15, -1
	s_mov_b64 s[6:7], 0
	s_mov_b32 s25, 0
                                        ; implicit-def: $sgpr27
	s_set_inst_prefetch_distance 0x1
	s_branch .LBB991_221
	.p2align	6
.LBB991_219:                            ;   in Loop: Header=BB991_221 Depth=1
	global_load_b32 v39, v[37:38], off
	global_load_b32 v40, v[35:36], off
	v_add_co_u32 v35, vcc_lo, v35, 4
	v_add_co_ci_u32_e32 v36, vcc_lo, 0, v36, vcc_lo
	v_add_co_u32 v37, s0, v37, 4
	s_delay_alu instid0(VALU_DEP_1)
	v_add_co_ci_u32_e64 v38, s0, 0, v38, s0
	s_add_u32 s6, s6, 1
	s_addc_u32 s7, s7, 0
	s_and_not1_b32 s0, s27, exec_lo
	s_waitcnt vmcnt(0)
	v_cmp_neq_f32_e32 vcc_lo, v39, v40
	s_and_b32 s27, vcc_lo, exec_lo
	s_delay_alu instid0(SALU_CYCLE_1)
	s_or_b32 s27, s0, s27
.LBB991_220:                            ;   in Loop: Header=BB991_221 Depth=1
	v_dual_mov_b32 v40, s7 :: v_dual_mov_b32 v39, s6
	s_and_b32 s0, exec_lo, s27
	s_delay_alu instid0(SALU_CYCLE_1) | instskip(NEXT) | instid1(SALU_CYCLE_1)
	s_or_b32 s25, s0, s25
	s_and_not1_b32 exec_lo, exec_lo, s25
	s_cbranch_execz .LBB991_224
.LBB991_221:                            ; =>This Inner Loop Header: Depth=1
	s_or_b32 s27, s27, exec_lo
	s_cmp_eq_u64 s[4:5], s[6:7]
	s_cbranch_scc0 .LBB991_219
; %bb.222:                              ;   in Loop: Header=BB991_221 Depth=1
	s_mov_b64 s[6:7], s[14:15]
                                        ; implicit-def: $vgpr35_vgpr36
                                        ; implicit-def: $vgpr37_vgpr38
	s_branch .LBB991_220
.LBB991_223:
                                        ; implicit-def: $sgpr0
                                        ; implicit-def: $vgpr36
	s_cbranch_execnz .LBB991_292
	s_branch .LBB991_383
.LBB991_224:
	s_set_inst_prefetch_distance 0x2
	s_or_b32 exec_lo, exec_lo, s25
	v_cmp_gt_i64_e32 vcc_lo, s[14:15], v[39:40]
	s_or_not1_b32 s25, vcc_lo, exec_lo
.LBB991_225:
	s_or_b32 exec_lo, exec_lo, s26
.LBB991_226:
	v_mul_lo_u32 v37, v24, s14
	v_mul_lo_u32 v38, v23, s15
	v_mad_u64_u32 v[35:36], null, v23, s14, 0
	s_and_not1_b32 vcc_lo, exec_lo, s13
	s_delay_alu instid0(VALU_DEP_1) | instskip(NEXT) | instid1(VALU_DEP_1)
	v_add3_u32 v36, v36, v38, v37
	v_lshlrev_b64 v[35:36], 2, v[35:36]
	s_cbranch_vccnz .LBB991_235
; %bb.227:
	s_delay_alu instid0(VALU_DEP_1) | instskip(NEXT) | instid1(VALU_DEP_2)
	v_add_co_u32 v37, vcc_lo, s20, v35
	v_add_co_ci_u32_e32 v38, vcc_lo, s21, v36, vcc_lo
	v_add_co_u32 v33, vcc_lo, s20, v33
	v_add_co_ci_u32_e32 v34, vcc_lo, s21, v34, vcc_lo
	s_mov_b32 s24, -1
	s_clause 0x1
	global_load_b32 v39, v[37:38], off
	global_load_b32 v40, v[33:34], off
	s_mov_b32 s26, exec_lo
	s_waitcnt vmcnt(0)
	v_cmpx_eq_f32_e32 v39, v40
	s_cbranch_execz .LBB991_234
; %bb.228:
	v_add_co_u32 v33, vcc_lo, v33, 4
	v_add_co_ci_u32_e32 v34, vcc_lo, 0, v34, vcc_lo
	v_add_co_u32 v37, vcc_lo, v37, 4
	v_add_co_ci_u32_e32 v38, vcc_lo, 0, v38, vcc_lo
	s_add_u32 s4, s14, -1
	s_addc_u32 s5, s15, -1
	s_mov_b64 s[6:7], 0
	s_mov_b32 s24, 0
                                        ; implicit-def: $sgpr27
	s_set_inst_prefetch_distance 0x1
	s_branch .LBB991_231
	.p2align	6
.LBB991_229:                            ;   in Loop: Header=BB991_231 Depth=1
	global_load_b32 v39, v[37:38], off
	global_load_b32 v40, v[33:34], off
	v_add_co_u32 v33, vcc_lo, v33, 4
	v_add_co_ci_u32_e32 v34, vcc_lo, 0, v34, vcc_lo
	v_add_co_u32 v37, s0, v37, 4
	s_delay_alu instid0(VALU_DEP_1)
	v_add_co_ci_u32_e64 v38, s0, 0, v38, s0
	s_add_u32 s6, s6, 1
	s_addc_u32 s7, s7, 0
	s_and_not1_b32 s0, s27, exec_lo
	s_waitcnt vmcnt(0)
	v_cmp_neq_f32_e32 vcc_lo, v39, v40
	s_and_b32 s27, vcc_lo, exec_lo
	s_delay_alu instid0(SALU_CYCLE_1)
	s_or_b32 s27, s0, s27
.LBB991_230:                            ;   in Loop: Header=BB991_231 Depth=1
	v_dual_mov_b32 v40, s7 :: v_dual_mov_b32 v39, s6
	s_and_b32 s0, exec_lo, s27
	s_delay_alu instid0(SALU_CYCLE_1) | instskip(NEXT) | instid1(SALU_CYCLE_1)
	s_or_b32 s24, s0, s24
	s_and_not1_b32 exec_lo, exec_lo, s24
	s_cbranch_execz .LBB991_233
.LBB991_231:                            ; =>This Inner Loop Header: Depth=1
	s_or_b32 s27, s27, exec_lo
	s_cmp_eq_u64 s[4:5], s[6:7]
	s_cbranch_scc0 .LBB991_229
; %bb.232:                              ;   in Loop: Header=BB991_231 Depth=1
	s_mov_b64 s[6:7], s[14:15]
                                        ; implicit-def: $vgpr33_vgpr34
                                        ; implicit-def: $vgpr37_vgpr38
	s_branch .LBB991_230
.LBB991_233:
	s_set_inst_prefetch_distance 0x2
	s_or_b32 exec_lo, exec_lo, s24
	v_cmp_gt_i64_e32 vcc_lo, s[14:15], v[39:40]
	s_or_not1_b32 s24, vcc_lo, exec_lo
.LBB991_234:
	s_or_b32 exec_lo, exec_lo, s26
.LBB991_235:
	v_mul_lo_u32 v37, v22, s14
	v_mul_lo_u32 v38, v21, s15
	v_mad_u64_u32 v[33:34], null, v21, s14, 0
	s_mov_b32 s26, 0
	s_and_not1_b32 vcc_lo, exec_lo, s13
	s_mov_b32 s27, 0
	s_delay_alu instid0(VALU_DEP_1) | instskip(NEXT) | instid1(VALU_DEP_1)
	v_add3_u32 v34, v34, v38, v37
	v_lshlrev_b64 v[37:38], 2, v[33:34]
	s_cbranch_vccnz .LBB991_244
; %bb.236:
	s_delay_alu instid0(VALU_DEP_1) | instskip(NEXT) | instid1(VALU_DEP_2)
	v_add_co_u32 v39, vcc_lo, s20, v37
	v_add_co_ci_u32_e32 v40, vcc_lo, s21, v38, vcc_lo
	v_add_co_u32 v33, vcc_lo, s20, v35
	v_add_co_ci_u32_e32 v34, vcc_lo, s21, v36, vcc_lo
	s_mov_b32 s27, -1
	s_clause 0x1
	global_load_b32 v35, v[39:40], off
	global_load_b32 v36, v[33:34], off
	s_mov_b32 s34, exec_lo
	s_waitcnt vmcnt(0)
	v_cmpx_eq_f32_e32 v35, v36
	s_cbranch_execz .LBB991_243
; %bb.237:
	v_add_co_u32 v33, vcc_lo, v33, 4
	v_add_co_ci_u32_e32 v34, vcc_lo, 0, v34, vcc_lo
	v_add_co_u32 v35, vcc_lo, v39, 4
	v_add_co_ci_u32_e32 v36, vcc_lo, 0, v40, vcc_lo
	s_add_u32 s4, s14, -1
	s_addc_u32 s5, s15, -1
	s_mov_b64 s[6:7], 0
	s_mov_b32 s27, 0
                                        ; implicit-def: $sgpr35
	s_set_inst_prefetch_distance 0x1
	s_branch .LBB991_240
	.p2align	6
.LBB991_238:                            ;   in Loop: Header=BB991_240 Depth=1
	global_load_b32 v39, v[35:36], off
	global_load_b32 v40, v[33:34], off
	v_add_co_u32 v33, vcc_lo, v33, 4
	v_add_co_ci_u32_e32 v34, vcc_lo, 0, v34, vcc_lo
	v_add_co_u32 v35, s0, v35, 4
	s_delay_alu instid0(VALU_DEP_1)
	v_add_co_ci_u32_e64 v36, s0, 0, v36, s0
	s_add_u32 s6, s6, 1
	s_addc_u32 s7, s7, 0
	s_and_not1_b32 s0, s35, exec_lo
	s_waitcnt vmcnt(0)
	v_cmp_neq_f32_e32 vcc_lo, v39, v40
	s_and_b32 s35, vcc_lo, exec_lo
	s_delay_alu instid0(SALU_CYCLE_1)
	s_or_b32 s35, s0, s35
.LBB991_239:                            ;   in Loop: Header=BB991_240 Depth=1
	v_dual_mov_b32 v40, s7 :: v_dual_mov_b32 v39, s6
	s_and_b32 s0, exec_lo, s35
	s_delay_alu instid0(SALU_CYCLE_1) | instskip(NEXT) | instid1(SALU_CYCLE_1)
	s_or_b32 s27, s0, s27
	s_and_not1_b32 exec_lo, exec_lo, s27
	s_cbranch_execz .LBB991_242
.LBB991_240:                            ; =>This Inner Loop Header: Depth=1
	s_or_b32 s35, s35, exec_lo
	s_cmp_eq_u64 s[4:5], s[6:7]
	s_cbranch_scc0 .LBB991_238
; %bb.241:                              ;   in Loop: Header=BB991_240 Depth=1
	s_mov_b64 s[6:7], s[14:15]
                                        ; implicit-def: $vgpr33_vgpr34
                                        ; implicit-def: $vgpr35_vgpr36
	s_branch .LBB991_239
.LBB991_242:
	s_set_inst_prefetch_distance 0x2
	s_or_b32 exec_lo, exec_lo, s27
	v_cmp_gt_i64_e32 vcc_lo, s[14:15], v[39:40]
	s_or_not1_b32 s27, vcc_lo, exec_lo
.LBB991_243:
	s_or_b32 exec_lo, exec_lo, s34
.LBB991_244:
	v_mul_lo_u32 v35, v28, s14
	v_mul_lo_u32 v36, v27, s15
	v_mad_u64_u32 v[33:34], null, v27, s14, 0
	s_and_not1_b32 vcc_lo, exec_lo, s13
	s_delay_alu instid0(VALU_DEP_1) | instskip(NEXT) | instid1(VALU_DEP_1)
	v_add3_u32 v34, v34, v36, v35
	v_lshlrev_b64 v[33:34], 2, v[33:34]
	s_cbranch_vccnz .LBB991_253
; %bb.245:
	s_delay_alu instid0(VALU_DEP_1) | instskip(NEXT) | instid1(VALU_DEP_2)
	v_add_co_u32 v39, vcc_lo, s20, v33
	v_add_co_ci_u32_e32 v40, vcc_lo, s21, v34, vcc_lo
	v_add_co_u32 v35, vcc_lo, s20, v37
	v_add_co_ci_u32_e32 v36, vcc_lo, s21, v38, vcc_lo
	s_mov_b32 s26, -1
	s_clause 0x1
	global_load_b32 v37, v[39:40], off
	global_load_b32 v38, v[35:36], off
	s_mov_b32 s34, exec_lo
	s_waitcnt vmcnt(0)
	v_cmpx_eq_f32_e32 v37, v38
	s_cbranch_execz .LBB991_252
; %bb.246:
	v_add_co_u32 v35, vcc_lo, v35, 4
	v_add_co_ci_u32_e32 v36, vcc_lo, 0, v36, vcc_lo
	v_add_co_u32 v37, vcc_lo, v39, 4
	v_add_co_ci_u32_e32 v38, vcc_lo, 0, v40, vcc_lo
	s_add_u32 s4, s14, -1
	s_addc_u32 s5, s15, -1
	s_mov_b64 s[6:7], 0
	s_mov_b32 s26, 0
                                        ; implicit-def: $sgpr35
	s_set_inst_prefetch_distance 0x1
	s_branch .LBB991_249
	.p2align	6
.LBB991_247:                            ;   in Loop: Header=BB991_249 Depth=1
	global_load_b32 v39, v[37:38], off
	global_load_b32 v40, v[35:36], off
	v_add_co_u32 v35, vcc_lo, v35, 4
	v_add_co_ci_u32_e32 v36, vcc_lo, 0, v36, vcc_lo
	v_add_co_u32 v37, s0, v37, 4
	s_delay_alu instid0(VALU_DEP_1)
	v_add_co_ci_u32_e64 v38, s0, 0, v38, s0
	s_add_u32 s6, s6, 1
	s_addc_u32 s7, s7, 0
	s_and_not1_b32 s0, s35, exec_lo
	s_waitcnt vmcnt(0)
	v_cmp_neq_f32_e32 vcc_lo, v39, v40
	s_and_b32 s35, vcc_lo, exec_lo
	s_delay_alu instid0(SALU_CYCLE_1)
	s_or_b32 s35, s0, s35
.LBB991_248:                            ;   in Loop: Header=BB991_249 Depth=1
	v_dual_mov_b32 v40, s7 :: v_dual_mov_b32 v39, s6
	s_and_b32 s0, exec_lo, s35
	s_delay_alu instid0(SALU_CYCLE_1) | instskip(NEXT) | instid1(SALU_CYCLE_1)
	s_or_b32 s26, s0, s26
	s_and_not1_b32 exec_lo, exec_lo, s26
	s_cbranch_execz .LBB991_251
.LBB991_249:                            ; =>This Inner Loop Header: Depth=1
	s_or_b32 s35, s35, exec_lo
	s_cmp_eq_u64 s[4:5], s[6:7]
	s_cbranch_scc0 .LBB991_247
; %bb.250:                              ;   in Loop: Header=BB991_249 Depth=1
	s_mov_b64 s[6:7], s[14:15]
                                        ; implicit-def: $vgpr35_vgpr36
                                        ; implicit-def: $vgpr37_vgpr38
	s_branch .LBB991_248
.LBB991_251:
	s_set_inst_prefetch_distance 0x2
	s_or_b32 exec_lo, exec_lo, s26
	v_cmp_gt_i64_e32 vcc_lo, s[14:15], v[39:40]
	s_or_not1_b32 s26, vcc_lo, exec_lo
.LBB991_252:
	s_or_b32 exec_lo, exec_lo, s34
.LBB991_253:
	v_mul_lo_u32 v37, v26, s14
	v_mul_lo_u32 v38, v25, s15
	v_mad_u64_u32 v[35:36], null, v25, s14, 0
	s_mov_b32 s34, 0
	s_and_not1_b32 vcc_lo, exec_lo, s13
	s_mov_b32 s35, 0
	s_delay_alu instid0(VALU_DEP_1) | instskip(NEXT) | instid1(VALU_DEP_1)
	v_add3_u32 v36, v36, v38, v37
	v_lshlrev_b64 v[37:38], 2, v[35:36]
	s_cbranch_vccnz .LBB991_262
; %bb.254:
	s_delay_alu instid0(VALU_DEP_1) | instskip(NEXT) | instid1(VALU_DEP_2)
	v_add_co_u32 v35, vcc_lo, s20, v37
	v_add_co_ci_u32_e32 v36, vcc_lo, s21, v38, vcc_lo
	v_add_co_u32 v33, vcc_lo, s20, v33
	v_add_co_ci_u32_e32 v34, vcc_lo, s21, v34, vcc_lo
	s_mov_b32 s35, -1
	s_clause 0x1
	global_load_b32 v39, v[35:36], off
	global_load_b32 v40, v[33:34], off
	s_mov_b32 s36, exec_lo
	s_waitcnt vmcnt(0)
	v_cmpx_eq_f32_e32 v39, v40
	s_cbranch_execz .LBB991_261
; %bb.255:
	v_add_co_u32 v33, vcc_lo, v33, 4
	v_add_co_ci_u32_e32 v34, vcc_lo, 0, v34, vcc_lo
	v_add_co_u32 v35, vcc_lo, v35, 4
	v_add_co_ci_u32_e32 v36, vcc_lo, 0, v36, vcc_lo
	s_add_u32 s4, s14, -1
	s_addc_u32 s5, s15, -1
	s_mov_b64 s[6:7], 0
	s_mov_b32 s35, 0
                                        ; implicit-def: $sgpr37
	s_set_inst_prefetch_distance 0x1
	s_branch .LBB991_258
	.p2align	6
.LBB991_256:                            ;   in Loop: Header=BB991_258 Depth=1
	global_load_b32 v39, v[35:36], off
	global_load_b32 v40, v[33:34], off
	v_add_co_u32 v33, vcc_lo, v33, 4
	v_add_co_ci_u32_e32 v34, vcc_lo, 0, v34, vcc_lo
	v_add_co_u32 v35, s0, v35, 4
	s_delay_alu instid0(VALU_DEP_1)
	v_add_co_ci_u32_e64 v36, s0, 0, v36, s0
	s_add_u32 s6, s6, 1
	s_addc_u32 s7, s7, 0
	s_and_not1_b32 s0, s37, exec_lo
	s_waitcnt vmcnt(0)
	v_cmp_neq_f32_e32 vcc_lo, v39, v40
	s_and_b32 s37, vcc_lo, exec_lo
	s_delay_alu instid0(SALU_CYCLE_1)
	s_or_b32 s37, s0, s37
.LBB991_257:                            ;   in Loop: Header=BB991_258 Depth=1
	v_dual_mov_b32 v40, s7 :: v_dual_mov_b32 v39, s6
	s_and_b32 s0, exec_lo, s37
	s_delay_alu instid0(SALU_CYCLE_1) | instskip(NEXT) | instid1(SALU_CYCLE_1)
	s_or_b32 s35, s0, s35
	s_and_not1_b32 exec_lo, exec_lo, s35
	s_cbranch_execz .LBB991_260
.LBB991_258:                            ; =>This Inner Loop Header: Depth=1
	s_or_b32 s37, s37, exec_lo
	s_cmp_eq_u64 s[4:5], s[6:7]
	s_cbranch_scc0 .LBB991_256
; %bb.259:                              ;   in Loop: Header=BB991_258 Depth=1
	s_mov_b64 s[6:7], s[14:15]
                                        ; implicit-def: $vgpr33_vgpr34
                                        ; implicit-def: $vgpr35_vgpr36
	s_branch .LBB991_257
.LBB991_260:
	s_set_inst_prefetch_distance 0x2
	s_or_b32 exec_lo, exec_lo, s35
	v_cmp_gt_i64_e32 vcc_lo, s[14:15], v[39:40]
	s_or_not1_b32 s35, vcc_lo, exec_lo
.LBB991_261:
	s_or_b32 exec_lo, exec_lo, s36
.LBB991_262:
	v_mul_lo_u32 v35, v32, s14
	v_mul_lo_u32 v36, v31, s15
	v_mad_u64_u32 v[33:34], null, v31, s14, 0
	s_and_not1_b32 vcc_lo, exec_lo, s13
	s_delay_alu instid0(VALU_DEP_1) | instskip(NEXT) | instid1(VALU_DEP_1)
	v_add3_u32 v34, v34, v36, v35
	v_lshlrev_b64 v[35:36], 2, v[33:34]
	s_cbranch_vccnz .LBB991_271
; %bb.263:
	s_delay_alu instid0(VALU_DEP_1) | instskip(NEXT) | instid1(VALU_DEP_2)
	v_add_co_u32 v39, vcc_lo, s20, v35
	v_add_co_ci_u32_e32 v40, vcc_lo, s21, v36, vcc_lo
	v_add_co_u32 v33, vcc_lo, s20, v37
	v_add_co_ci_u32_e32 v34, vcc_lo, s21, v38, vcc_lo
	s_mov_b32 s34, -1
	s_clause 0x1
	global_load_b32 v37, v[39:40], off
	global_load_b32 v38, v[33:34], off
	s_mov_b32 s36, exec_lo
	s_waitcnt vmcnt(0)
	v_cmpx_eq_f32_e32 v37, v38
	s_cbranch_execz .LBB991_270
; %bb.264:
	v_add_co_u32 v33, vcc_lo, v33, 4
	v_add_co_ci_u32_e32 v34, vcc_lo, 0, v34, vcc_lo
	v_add_co_u32 v37, vcc_lo, v39, 4
	v_add_co_ci_u32_e32 v38, vcc_lo, 0, v40, vcc_lo
	s_add_u32 s4, s14, -1
	s_addc_u32 s5, s15, -1
	s_mov_b64 s[6:7], 0
	s_mov_b32 s34, 0
                                        ; implicit-def: $sgpr37
	s_set_inst_prefetch_distance 0x1
	s_branch .LBB991_267
	.p2align	6
.LBB991_265:                            ;   in Loop: Header=BB991_267 Depth=1
	global_load_b32 v39, v[37:38], off
	global_load_b32 v40, v[33:34], off
	v_add_co_u32 v33, vcc_lo, v33, 4
	v_add_co_ci_u32_e32 v34, vcc_lo, 0, v34, vcc_lo
	v_add_co_u32 v37, s0, v37, 4
	s_delay_alu instid0(VALU_DEP_1)
	v_add_co_ci_u32_e64 v38, s0, 0, v38, s0
	s_add_u32 s6, s6, 1
	s_addc_u32 s7, s7, 0
	s_and_not1_b32 s0, s37, exec_lo
	s_waitcnt vmcnt(0)
	v_cmp_neq_f32_e32 vcc_lo, v39, v40
	s_and_b32 s37, vcc_lo, exec_lo
	s_delay_alu instid0(SALU_CYCLE_1)
	s_or_b32 s37, s0, s37
.LBB991_266:                            ;   in Loop: Header=BB991_267 Depth=1
	v_dual_mov_b32 v40, s7 :: v_dual_mov_b32 v39, s6
	s_and_b32 s0, exec_lo, s37
	s_delay_alu instid0(SALU_CYCLE_1) | instskip(NEXT) | instid1(SALU_CYCLE_1)
	s_or_b32 s34, s0, s34
	s_and_not1_b32 exec_lo, exec_lo, s34
	s_cbranch_execz .LBB991_269
.LBB991_267:                            ; =>This Inner Loop Header: Depth=1
	s_or_b32 s37, s37, exec_lo
	s_cmp_eq_u64 s[4:5], s[6:7]
	s_cbranch_scc0 .LBB991_265
; %bb.268:                              ;   in Loop: Header=BB991_267 Depth=1
	s_mov_b64 s[6:7], s[14:15]
                                        ; implicit-def: $vgpr33_vgpr34
                                        ; implicit-def: $vgpr37_vgpr38
	s_branch .LBB991_266
.LBB991_269:
	s_set_inst_prefetch_distance 0x2
	s_or_b32 exec_lo, exec_lo, s34
	v_cmp_gt_i64_e32 vcc_lo, s[14:15], v[39:40]
	s_or_not1_b32 s34, vcc_lo, exec_lo
.LBB991_270:
	s_or_b32 exec_lo, exec_lo, s36
.LBB991_271:
	v_mul_lo_u32 v37, v30, s14
	v_mul_lo_u32 v38, v29, s15
	v_mad_u64_u32 v[33:34], null, v29, s14, 0
	s_and_not1_b32 vcc_lo, exec_lo, s13
	s_mov_b32 s0, 0
	s_delay_alu instid0(VALU_DEP_1)
	v_add3_u32 v34, v34, v38, v37
	s_cbranch_vccnz .LBB991_280
; %bb.272:
	s_delay_alu instid0(VALU_DEP_1) | instskip(SKIP_2) | instid1(VALU_DEP_1)
	v_lshlrev_b64 v[37:38], 2, v[33:34]
	s_mov_b32 s0, -1
	s_mov_b32 s36, exec_lo
	v_add_co_u32 v37, vcc_lo, s20, v37
	s_delay_alu instid0(VALU_DEP_2)
	v_add_co_ci_u32_e32 v38, vcc_lo, s21, v38, vcc_lo
	v_add_co_u32 v35, vcc_lo, s20, v35
	v_add_co_ci_u32_e32 v36, vcc_lo, s21, v36, vcc_lo
	s_clause 0x1
	global_load_b32 v39, v[37:38], off
	global_load_b32 v40, v[35:36], off
	s_waitcnt vmcnt(0)
	v_cmpx_eq_f32_e32 v39, v40
	s_cbranch_execz .LBB991_279
; %bb.273:
	v_add_co_u32 v35, vcc_lo, v35, 4
	v_add_co_ci_u32_e32 v36, vcc_lo, 0, v36, vcc_lo
	v_add_co_u32 v37, vcc_lo, v37, 4
	v_add_co_ci_u32_e32 v38, vcc_lo, 0, v38, vcc_lo
	s_add_u32 s4, s14, -1
	s_addc_u32 s5, s15, -1
	s_mov_b64 s[6:7], 0
	s_mov_b32 s37, 0
                                        ; implicit-def: $sgpr38
	s_set_inst_prefetch_distance 0x1
	s_branch .LBB991_276
	.p2align	6
.LBB991_274:                            ;   in Loop: Header=BB991_276 Depth=1
	global_load_b32 v39, v[37:38], off
	global_load_b32 v40, v[35:36], off
	v_add_co_u32 v35, vcc_lo, v35, 4
	v_add_co_ci_u32_e32 v36, vcc_lo, 0, v36, vcc_lo
	v_add_co_u32 v37, s0, v37, 4
	s_delay_alu instid0(VALU_DEP_1)
	v_add_co_ci_u32_e64 v38, s0, 0, v38, s0
	s_add_u32 s6, s6, 1
	s_addc_u32 s7, s7, 0
	s_and_not1_b32 s0, s38, exec_lo
	s_waitcnt vmcnt(0)
	v_cmp_neq_f32_e32 vcc_lo, v39, v40
	s_and_b32 s38, vcc_lo, exec_lo
	s_delay_alu instid0(SALU_CYCLE_1)
	s_or_b32 s38, s0, s38
.LBB991_275:                            ;   in Loop: Header=BB991_276 Depth=1
	v_dual_mov_b32 v40, s7 :: v_dual_mov_b32 v39, s6
	s_and_b32 s0, exec_lo, s38
	s_delay_alu instid0(SALU_CYCLE_1) | instskip(NEXT) | instid1(SALU_CYCLE_1)
	s_or_b32 s37, s0, s37
	s_and_not1_b32 exec_lo, exec_lo, s37
	s_cbranch_execz .LBB991_278
.LBB991_276:                            ; =>This Inner Loop Header: Depth=1
	s_or_b32 s38, s38, exec_lo
	s_cmp_eq_u64 s[4:5], s[6:7]
	s_cbranch_scc0 .LBB991_274
; %bb.277:                              ;   in Loop: Header=BB991_276 Depth=1
	s_mov_b64 s[6:7], s[14:15]
                                        ; implicit-def: $vgpr35_vgpr36
                                        ; implicit-def: $vgpr37_vgpr38
	s_branch .LBB991_275
.LBB991_278:
	s_set_inst_prefetch_distance 0x2
	s_or_b32 exec_lo, exec_lo, s37
	v_cmp_gt_i64_e32 vcc_lo, s[14:15], v[39:40]
	s_or_not1_b32 s0, vcc_lo, exec_lo
.LBB991_279:
	s_or_b32 exec_lo, exec_lo, s36
.LBB991_280:
	v_cndmask_b32_e64 v36, 0, 1, s35
	v_cndmask_b32_e64 v37, 0, 1, s27
	v_cndmask_b32_e64 v38, 0, 1, s25
	v_cndmask_b32_e64 v39, 0, 1, s0
	v_cndmask_b32_e64 v35, 0, 1, s34
	v_cndmask_b32_e64 v40, 0, 1, s26
	v_cndmask_b32_e64 v41, 0, 1, s24
	v_lshlrev_b16 v37, 8, v37
	v_lshlrev_b16 v38, 8, v38
	v_lshlrev_b16 v39, 8, v39
	v_lshlrev_b16 v36, 8, v36
	s_waitcnt lgkmcnt(0)
	v_or_b32_e32 v37, v40, v37
	v_or_b32_e32 v38, v41, v38
	;; [unrolled: 1-line block ×4, first 2 shown]
	s_barrier
	v_and_b32_e32 v36, 0xffff, v37
	v_lshlrev_b32_e32 v37, 16, v38
	v_and_b32_e32 v38, 0xffff, v39
	v_lshlrev_b32_e32 v35, 16, v35
	buffer_gl0_inv
                                        ; implicit-def: $sgpr0
	v_or_b32_e32 v36, v36, v37
	v_or_b32_e32 v35, v38, v35
	s_and_saveexec_b32 s4, s3
	s_delay_alu instid0(SALU_CYCLE_1)
	s_xor_b32 s24, exec_lo, s4
	s_cbranch_execz .LBB991_291
; %bb.281:
	s_and_not1_b32 vcc_lo, exec_lo, s13
	s_mov_b32 s0, 0
	s_cbranch_vccnz .LBB991_290
; %bb.282:
	v_add_nc_u32_e32 v37, -8, v55
	v_lshlrev_b64 v[33:34], 2, v[33:34]
	s_mov_b32 s0, -1
	s_mov_b32 s25, exec_lo
	ds_load_b64 v[37:38], v37
	s_waitcnt lgkmcnt(0)
	v_mul_lo_u32 v40, v38, s14
	v_mul_lo_u32 v41, v37, s15
	v_mad_u64_u32 v[38:39], null, v37, s14, 0
	s_delay_alu instid0(VALU_DEP_1) | instskip(NEXT) | instid1(VALU_DEP_1)
	v_add3_u32 v39, v39, v41, v40
	v_lshlrev_b64 v[37:38], 2, v[38:39]
	s_delay_alu instid0(VALU_DEP_1) | instskip(NEXT) | instid1(VALU_DEP_2)
	v_add_co_u32 v37, vcc_lo, s20, v37
	v_add_co_ci_u32_e32 v38, vcc_lo, s21, v38, vcc_lo
	v_add_co_u32 v33, vcc_lo, s20, v33
	v_add_co_ci_u32_e32 v34, vcc_lo, s21, v34, vcc_lo
	s_clause 0x1
	global_load_b32 v39, v[37:38], off
	global_load_b32 v40, v[33:34], off
	s_waitcnt vmcnt(0)
	v_cmpx_eq_f32_e32 v39, v40
	s_cbranch_execz .LBB991_289
; %bb.283:
	v_add_co_u32 v33, vcc_lo, v33, 4
	v_add_co_ci_u32_e32 v34, vcc_lo, 0, v34, vcc_lo
	v_add_co_u32 v37, vcc_lo, v37, 4
	v_add_co_ci_u32_e32 v38, vcc_lo, 0, v38, vcc_lo
	s_add_u32 s4, s14, -1
	s_addc_u32 s5, s15, -1
	s_mov_b64 s[6:7], 0
	s_mov_b32 s26, 0
                                        ; implicit-def: $sgpr27
	s_set_inst_prefetch_distance 0x1
	s_branch .LBB991_286
	.p2align	6
.LBB991_284:                            ;   in Loop: Header=BB991_286 Depth=1
	global_load_b32 v39, v[37:38], off
	global_load_b32 v40, v[33:34], off
	v_add_co_u32 v33, vcc_lo, v33, 4
	v_add_co_ci_u32_e32 v34, vcc_lo, 0, v34, vcc_lo
	v_add_co_u32 v37, s0, v37, 4
	s_delay_alu instid0(VALU_DEP_1)
	v_add_co_ci_u32_e64 v38, s0, 0, v38, s0
	s_add_u32 s6, s6, 1
	s_addc_u32 s7, s7, 0
	s_and_not1_b32 s0, s27, exec_lo
	s_waitcnt vmcnt(0)
	v_cmp_neq_f32_e32 vcc_lo, v39, v40
	s_and_b32 s27, vcc_lo, exec_lo
	s_delay_alu instid0(SALU_CYCLE_1)
	s_or_b32 s27, s0, s27
.LBB991_285:                            ;   in Loop: Header=BB991_286 Depth=1
	v_dual_mov_b32 v40, s7 :: v_dual_mov_b32 v39, s6
	s_and_b32 s0, exec_lo, s27
	s_delay_alu instid0(SALU_CYCLE_1) | instskip(NEXT) | instid1(SALU_CYCLE_1)
	s_or_b32 s26, s0, s26
	s_and_not1_b32 exec_lo, exec_lo, s26
	s_cbranch_execz .LBB991_288
.LBB991_286:                            ; =>This Inner Loop Header: Depth=1
	s_or_b32 s27, s27, exec_lo
	s_cmp_eq_u64 s[4:5], s[6:7]
	s_cbranch_scc0 .LBB991_284
; %bb.287:                              ;   in Loop: Header=BB991_286 Depth=1
	s_mov_b64 s[6:7], s[14:15]
                                        ; implicit-def: $vgpr33_vgpr34
                                        ; implicit-def: $vgpr37_vgpr38
	s_branch .LBB991_285
.LBB991_288:
	s_set_inst_prefetch_distance 0x2
	s_or_b32 exec_lo, exec_lo, s26
	v_cmp_gt_i64_e32 vcc_lo, s[14:15], v[39:40]
	s_or_not1_b32 s0, vcc_lo, exec_lo
.LBB991_289:
	s_or_b32 exec_lo, exec_lo, s25
.LBB991_290:
	s_delay_alu instid0(SALU_CYCLE_1)
	s_and_b32 s0, s0, exec_lo
	s_or_b32 s1, s1, exec_lo
.LBB991_291:
	s_or_b32 exec_lo, exec_lo, s24
	s_branch .LBB991_383
.LBB991_292:
	s_waitcnt vmcnt(0) lgkmcnt(1)
	v_or_b32_e32 v33, 7, v55
	s_mov_b32 s24, 0
	s_mov_b32 s25, 0
	s_mov_b32 s26, exec_lo
	s_delay_alu instid0(VALU_DEP_1)
	v_cmpx_gt_u32_e64 s31, v33
	s_cbranch_execz .LBB991_303
; %bb.293:
	s_and_not1_b32 vcc_lo, exec_lo, s13
	s_mov_b32 s0, 0
	s_cbranch_vccnz .LBB991_302
; %bb.294:
	v_mul_lo_u32 v37, v18, s14
	v_mul_lo_u32 v38, v17, s15
	v_mad_u64_u32 v[33:34], null, v17, s14, 0
	v_mul_lo_u32 v39, v20, s14
	v_mul_lo_u32 v40, v19, s15
	v_mad_u64_u32 v[35:36], null, v19, s14, 0
	s_mov_b32 s0, -1
	s_mov_b32 s25, exec_lo
	s_delay_alu instid0(VALU_DEP_4) | instskip(NEXT) | instid1(VALU_DEP_2)
	v_add3_u32 v34, v34, v38, v37
	v_add3_u32 v36, v36, v40, v39
	s_delay_alu instid0(VALU_DEP_2) | instskip(NEXT) | instid1(VALU_DEP_2)
	v_lshlrev_b64 v[33:34], 2, v[33:34]
	v_lshlrev_b64 v[37:38], 2, v[35:36]
	s_delay_alu instid0(VALU_DEP_2) | instskip(NEXT) | instid1(VALU_DEP_3)
	v_add_co_u32 v35, vcc_lo, s20, v33
	v_add_co_ci_u32_e32 v36, vcc_lo, s21, v34, vcc_lo
	s_delay_alu instid0(VALU_DEP_3) | instskip(NEXT) | instid1(VALU_DEP_4)
	v_add_co_u32 v33, vcc_lo, s20, v37
	v_add_co_ci_u32_e32 v34, vcc_lo, s21, v38, vcc_lo
	s_clause 0x1
	global_load_b32 v37, v[35:36], off
	global_load_b32 v38, v[33:34], off
	s_waitcnt vmcnt(0)
	v_cmpx_eq_f32_e32 v37, v38
	s_cbranch_execz .LBB991_301
; %bb.295:
	v_add_co_u32 v33, vcc_lo, v33, 4
	v_add_co_ci_u32_e32 v34, vcc_lo, 0, v34, vcc_lo
	v_add_co_u32 v35, vcc_lo, v35, 4
	v_add_co_ci_u32_e32 v36, vcc_lo, 0, v36, vcc_lo
	s_add_u32 s4, s14, -1
	s_addc_u32 s5, s15, -1
	s_mov_b64 s[6:7], 0
	s_mov_b32 s27, 0
                                        ; implicit-def: $sgpr34
	s_set_inst_prefetch_distance 0x1
	s_branch .LBB991_298
	.p2align	6
.LBB991_296:                            ;   in Loop: Header=BB991_298 Depth=1
	global_load_b32 v37, v[35:36], off
	global_load_b32 v38, v[33:34], off
	v_add_co_u32 v33, vcc_lo, v33, 4
	v_add_co_ci_u32_e32 v34, vcc_lo, 0, v34, vcc_lo
	v_add_co_u32 v35, s0, v35, 4
	s_delay_alu instid0(VALU_DEP_1)
	v_add_co_ci_u32_e64 v36, s0, 0, v36, s0
	s_add_u32 s6, s6, 1
	s_addc_u32 s7, s7, 0
	s_and_not1_b32 s0, s34, exec_lo
	s_waitcnt vmcnt(0)
	v_cmp_neq_f32_e32 vcc_lo, v37, v38
	s_and_b32 s34, vcc_lo, exec_lo
	s_delay_alu instid0(SALU_CYCLE_1)
	s_or_b32 s34, s0, s34
.LBB991_297:                            ;   in Loop: Header=BB991_298 Depth=1
	v_dual_mov_b32 v38, s7 :: v_dual_mov_b32 v37, s6
	s_and_b32 s0, exec_lo, s34
	s_delay_alu instid0(SALU_CYCLE_1) | instskip(NEXT) | instid1(SALU_CYCLE_1)
	s_or_b32 s27, s0, s27
	s_and_not1_b32 exec_lo, exec_lo, s27
	s_cbranch_execz .LBB991_300
.LBB991_298:                            ; =>This Inner Loop Header: Depth=1
	s_or_b32 s34, s34, exec_lo
	s_cmp_eq_u64 s[4:5], s[6:7]
	s_cbranch_scc0 .LBB991_296
; %bb.299:                              ;   in Loop: Header=BB991_298 Depth=1
	s_mov_b64 s[6:7], s[14:15]
                                        ; implicit-def: $vgpr33_vgpr34
                                        ; implicit-def: $vgpr35_vgpr36
	s_branch .LBB991_297
.LBB991_300:
	s_set_inst_prefetch_distance 0x2
	s_or_b32 exec_lo, exec_lo, s27
	v_cmp_gt_i64_e32 vcc_lo, s[14:15], v[37:38]
	s_or_not1_b32 s0, vcc_lo, exec_lo
.LBB991_301:
	s_or_b32 exec_lo, exec_lo, s25
.LBB991_302:
	s_delay_alu instid0(SALU_CYCLE_1)
	s_and_b32 s25, s0, exec_lo
.LBB991_303:
	s_or_b32 exec_lo, exec_lo, s26
	v_or_b32_e32 v33, 6, v55
	s_mov_b32 s26, exec_lo
	s_delay_alu instid0(VALU_DEP_1)
	v_cmpx_gt_u32_e64 s31, v33
	s_cbranch_execz .LBB991_314
; %bb.304:
	s_and_not1_b32 vcc_lo, exec_lo, s13
	s_mov_b32 s0, 0
	s_cbranch_vccnz .LBB991_313
; %bb.305:
	v_mul_lo_u32 v37, v24, s14
	v_mul_lo_u32 v38, v23, s15
	v_mad_u64_u32 v[33:34], null, v23, s14, 0
	v_mul_lo_u32 v39, v18, s14
	v_mul_lo_u32 v40, v17, s15
	v_mad_u64_u32 v[35:36], null, v17, s14, 0
	s_mov_b32 s0, -1
	s_mov_b32 s24, exec_lo
	s_delay_alu instid0(VALU_DEP_4) | instskip(NEXT) | instid1(VALU_DEP_2)
	v_add3_u32 v34, v34, v38, v37
	v_add3_u32 v36, v36, v40, v39
	s_delay_alu instid0(VALU_DEP_2) | instskip(NEXT) | instid1(VALU_DEP_2)
	v_lshlrev_b64 v[33:34], 2, v[33:34]
	v_lshlrev_b64 v[37:38], 2, v[35:36]
	s_delay_alu instid0(VALU_DEP_2) | instskip(NEXT) | instid1(VALU_DEP_3)
	v_add_co_u32 v35, vcc_lo, s20, v33
	v_add_co_ci_u32_e32 v36, vcc_lo, s21, v34, vcc_lo
	s_delay_alu instid0(VALU_DEP_3) | instskip(NEXT) | instid1(VALU_DEP_4)
	v_add_co_u32 v33, vcc_lo, s20, v37
	v_add_co_ci_u32_e32 v34, vcc_lo, s21, v38, vcc_lo
	s_clause 0x1
	global_load_b32 v37, v[35:36], off
	global_load_b32 v38, v[33:34], off
	s_waitcnt vmcnt(0)
	v_cmpx_eq_f32_e32 v37, v38
	s_cbranch_execz .LBB991_312
; %bb.306:
	v_add_co_u32 v33, vcc_lo, v33, 4
	v_add_co_ci_u32_e32 v34, vcc_lo, 0, v34, vcc_lo
	v_add_co_u32 v35, vcc_lo, v35, 4
	v_add_co_ci_u32_e32 v36, vcc_lo, 0, v36, vcc_lo
	s_add_u32 s4, s14, -1
	s_addc_u32 s5, s15, -1
	s_mov_b64 s[6:7], 0
	s_mov_b32 s27, 0
                                        ; implicit-def: $sgpr34
	s_set_inst_prefetch_distance 0x1
	s_branch .LBB991_309
	.p2align	6
.LBB991_307:                            ;   in Loop: Header=BB991_309 Depth=1
	global_load_b32 v37, v[35:36], off
	global_load_b32 v38, v[33:34], off
	v_add_co_u32 v33, vcc_lo, v33, 4
	v_add_co_ci_u32_e32 v34, vcc_lo, 0, v34, vcc_lo
	v_add_co_u32 v35, s0, v35, 4
	s_delay_alu instid0(VALU_DEP_1)
	v_add_co_ci_u32_e64 v36, s0, 0, v36, s0
	s_add_u32 s6, s6, 1
	s_addc_u32 s7, s7, 0
	s_and_not1_b32 s0, s34, exec_lo
	s_waitcnt vmcnt(0)
	v_cmp_neq_f32_e32 vcc_lo, v37, v38
	s_and_b32 s34, vcc_lo, exec_lo
	s_delay_alu instid0(SALU_CYCLE_1)
	s_or_b32 s34, s0, s34
.LBB991_308:                            ;   in Loop: Header=BB991_309 Depth=1
	v_dual_mov_b32 v38, s7 :: v_dual_mov_b32 v37, s6
	s_and_b32 s0, exec_lo, s34
	s_delay_alu instid0(SALU_CYCLE_1) | instskip(NEXT) | instid1(SALU_CYCLE_1)
	s_or_b32 s27, s0, s27
	s_and_not1_b32 exec_lo, exec_lo, s27
	s_cbranch_execz .LBB991_311
.LBB991_309:                            ; =>This Inner Loop Header: Depth=1
	s_or_b32 s34, s34, exec_lo
	s_cmp_eq_u64 s[4:5], s[6:7]
	s_cbranch_scc0 .LBB991_307
; %bb.310:                              ;   in Loop: Header=BB991_309 Depth=1
	s_mov_b64 s[6:7], s[14:15]
                                        ; implicit-def: $vgpr33_vgpr34
                                        ; implicit-def: $vgpr35_vgpr36
	s_branch .LBB991_308
.LBB991_311:
	s_set_inst_prefetch_distance 0x2
	s_or_b32 exec_lo, exec_lo, s27
	v_cmp_gt_i64_e32 vcc_lo, s[14:15], v[37:38]
	s_or_not1_b32 s0, vcc_lo, exec_lo
.LBB991_312:
	s_or_b32 exec_lo, exec_lo, s24
.LBB991_313:
	s_delay_alu instid0(SALU_CYCLE_1)
	s_and_b32 s24, s0, exec_lo
.LBB991_314:
	s_or_b32 exec_lo, exec_lo, s26
	v_or_b32_e32 v33, 5, v55
	s_mov_b32 s26, 0
	s_mov_b32 s27, 0
	s_mov_b32 s34, exec_lo
	s_delay_alu instid0(VALU_DEP_1)
	v_cmpx_gt_u32_e64 s31, v33
	s_cbranch_execz .LBB991_325
; %bb.315:
	s_and_not1_b32 vcc_lo, exec_lo, s13
	s_mov_b32 s0, 0
	s_cbranch_vccnz .LBB991_324
; %bb.316:
	v_mul_lo_u32 v37, v22, s14
	v_mul_lo_u32 v38, v21, s15
	v_mad_u64_u32 v[33:34], null, v21, s14, 0
	v_mul_lo_u32 v39, v24, s14
	v_mul_lo_u32 v40, v23, s15
	v_mad_u64_u32 v[35:36], null, v23, s14, 0
	s_mov_b32 s0, -1
	s_mov_b32 s27, exec_lo
	s_delay_alu instid0(VALU_DEP_4) | instskip(NEXT) | instid1(VALU_DEP_2)
	v_add3_u32 v34, v34, v38, v37
	v_add3_u32 v36, v36, v40, v39
	s_delay_alu instid0(VALU_DEP_2) | instskip(NEXT) | instid1(VALU_DEP_2)
	v_lshlrev_b64 v[33:34], 2, v[33:34]
	v_lshlrev_b64 v[37:38], 2, v[35:36]
	s_delay_alu instid0(VALU_DEP_2) | instskip(NEXT) | instid1(VALU_DEP_3)
	v_add_co_u32 v35, vcc_lo, s20, v33
	v_add_co_ci_u32_e32 v36, vcc_lo, s21, v34, vcc_lo
	s_delay_alu instid0(VALU_DEP_3) | instskip(NEXT) | instid1(VALU_DEP_4)
	v_add_co_u32 v33, vcc_lo, s20, v37
	v_add_co_ci_u32_e32 v34, vcc_lo, s21, v38, vcc_lo
	s_clause 0x1
	global_load_b32 v37, v[35:36], off
	global_load_b32 v38, v[33:34], off
	s_waitcnt vmcnt(0)
	v_cmpx_eq_f32_e32 v37, v38
	s_cbranch_execz .LBB991_323
; %bb.317:
	v_add_co_u32 v33, vcc_lo, v33, 4
	v_add_co_ci_u32_e32 v34, vcc_lo, 0, v34, vcc_lo
	v_add_co_u32 v35, vcc_lo, v35, 4
	v_add_co_ci_u32_e32 v36, vcc_lo, 0, v36, vcc_lo
	s_add_u32 s4, s14, -1
	s_addc_u32 s5, s15, -1
	s_mov_b64 s[6:7], 0
	s_mov_b32 s35, 0
                                        ; implicit-def: $sgpr36
	s_set_inst_prefetch_distance 0x1
	s_branch .LBB991_320
	.p2align	6
.LBB991_318:                            ;   in Loop: Header=BB991_320 Depth=1
	global_load_b32 v37, v[35:36], off
	global_load_b32 v38, v[33:34], off
	v_add_co_u32 v33, vcc_lo, v33, 4
	v_add_co_ci_u32_e32 v34, vcc_lo, 0, v34, vcc_lo
	v_add_co_u32 v35, s0, v35, 4
	s_delay_alu instid0(VALU_DEP_1)
	v_add_co_ci_u32_e64 v36, s0, 0, v36, s0
	s_add_u32 s6, s6, 1
	s_addc_u32 s7, s7, 0
	s_and_not1_b32 s0, s36, exec_lo
	s_waitcnt vmcnt(0)
	v_cmp_neq_f32_e32 vcc_lo, v37, v38
	s_and_b32 s36, vcc_lo, exec_lo
	s_delay_alu instid0(SALU_CYCLE_1)
	s_or_b32 s36, s0, s36
.LBB991_319:                            ;   in Loop: Header=BB991_320 Depth=1
	v_dual_mov_b32 v38, s7 :: v_dual_mov_b32 v37, s6
	s_and_b32 s0, exec_lo, s36
	s_delay_alu instid0(SALU_CYCLE_1) | instskip(NEXT) | instid1(SALU_CYCLE_1)
	s_or_b32 s35, s0, s35
	s_and_not1_b32 exec_lo, exec_lo, s35
	s_cbranch_execz .LBB991_322
.LBB991_320:                            ; =>This Inner Loop Header: Depth=1
	s_or_b32 s36, s36, exec_lo
	s_cmp_eq_u64 s[4:5], s[6:7]
	s_cbranch_scc0 .LBB991_318
; %bb.321:                              ;   in Loop: Header=BB991_320 Depth=1
	s_mov_b64 s[6:7], s[14:15]
                                        ; implicit-def: $vgpr33_vgpr34
                                        ; implicit-def: $vgpr35_vgpr36
	s_branch .LBB991_319
.LBB991_322:
	s_set_inst_prefetch_distance 0x2
	s_or_b32 exec_lo, exec_lo, s35
	v_cmp_gt_i64_e32 vcc_lo, s[14:15], v[37:38]
	s_or_not1_b32 s0, vcc_lo, exec_lo
.LBB991_323:
	s_or_b32 exec_lo, exec_lo, s27
.LBB991_324:
	s_delay_alu instid0(SALU_CYCLE_1)
	s_and_b32 s27, s0, exec_lo
.LBB991_325:
	s_or_b32 exec_lo, exec_lo, s34
	v_or_b32_e32 v33, 4, v55
	s_mov_b32 s34, exec_lo
	s_delay_alu instid0(VALU_DEP_1)
	v_cmpx_gt_u32_e64 s31, v33
	s_cbranch_execz .LBB991_336
; %bb.326:
	s_and_not1_b32 vcc_lo, exec_lo, s13
	s_mov_b32 s0, 0
	s_cbranch_vccnz .LBB991_335
; %bb.327:
	v_mul_lo_u32 v37, v28, s14
	v_mul_lo_u32 v38, v27, s15
	v_mad_u64_u32 v[33:34], null, v27, s14, 0
	v_mul_lo_u32 v39, v22, s14
	v_mul_lo_u32 v40, v21, s15
	v_mad_u64_u32 v[35:36], null, v21, s14, 0
	s_mov_b32 s0, -1
	s_mov_b32 s26, exec_lo
	s_delay_alu instid0(VALU_DEP_4) | instskip(NEXT) | instid1(VALU_DEP_2)
	v_add3_u32 v34, v34, v38, v37
	v_add3_u32 v36, v36, v40, v39
	s_delay_alu instid0(VALU_DEP_2) | instskip(NEXT) | instid1(VALU_DEP_2)
	v_lshlrev_b64 v[33:34], 2, v[33:34]
	v_lshlrev_b64 v[37:38], 2, v[35:36]
	s_delay_alu instid0(VALU_DEP_2) | instskip(NEXT) | instid1(VALU_DEP_3)
	v_add_co_u32 v35, vcc_lo, s20, v33
	v_add_co_ci_u32_e32 v36, vcc_lo, s21, v34, vcc_lo
	s_delay_alu instid0(VALU_DEP_3) | instskip(NEXT) | instid1(VALU_DEP_4)
	v_add_co_u32 v33, vcc_lo, s20, v37
	v_add_co_ci_u32_e32 v34, vcc_lo, s21, v38, vcc_lo
	s_clause 0x1
	global_load_b32 v37, v[35:36], off
	global_load_b32 v38, v[33:34], off
	s_waitcnt vmcnt(0)
	v_cmpx_eq_f32_e32 v37, v38
	s_cbranch_execz .LBB991_334
; %bb.328:
	v_add_co_u32 v33, vcc_lo, v33, 4
	v_add_co_ci_u32_e32 v34, vcc_lo, 0, v34, vcc_lo
	v_add_co_u32 v35, vcc_lo, v35, 4
	v_add_co_ci_u32_e32 v36, vcc_lo, 0, v36, vcc_lo
	s_add_u32 s4, s14, -1
	s_addc_u32 s5, s15, -1
	s_mov_b64 s[6:7], 0
	s_mov_b32 s35, 0
                                        ; implicit-def: $sgpr36
	s_set_inst_prefetch_distance 0x1
	s_branch .LBB991_331
	.p2align	6
.LBB991_329:                            ;   in Loop: Header=BB991_331 Depth=1
	global_load_b32 v37, v[35:36], off
	global_load_b32 v38, v[33:34], off
	v_add_co_u32 v33, vcc_lo, v33, 4
	v_add_co_ci_u32_e32 v34, vcc_lo, 0, v34, vcc_lo
	v_add_co_u32 v35, s0, v35, 4
	s_delay_alu instid0(VALU_DEP_1)
	v_add_co_ci_u32_e64 v36, s0, 0, v36, s0
	s_add_u32 s6, s6, 1
	s_addc_u32 s7, s7, 0
	s_and_not1_b32 s0, s36, exec_lo
	s_waitcnt vmcnt(0)
	v_cmp_neq_f32_e32 vcc_lo, v37, v38
	s_and_b32 s36, vcc_lo, exec_lo
	s_delay_alu instid0(SALU_CYCLE_1)
	s_or_b32 s36, s0, s36
.LBB991_330:                            ;   in Loop: Header=BB991_331 Depth=1
	v_dual_mov_b32 v38, s7 :: v_dual_mov_b32 v37, s6
	s_and_b32 s0, exec_lo, s36
	s_delay_alu instid0(SALU_CYCLE_1) | instskip(NEXT) | instid1(SALU_CYCLE_1)
	s_or_b32 s35, s0, s35
	s_and_not1_b32 exec_lo, exec_lo, s35
	s_cbranch_execz .LBB991_333
.LBB991_331:                            ; =>This Inner Loop Header: Depth=1
	s_or_b32 s36, s36, exec_lo
	s_cmp_eq_u64 s[4:5], s[6:7]
	s_cbranch_scc0 .LBB991_329
; %bb.332:                              ;   in Loop: Header=BB991_331 Depth=1
	s_mov_b64 s[6:7], s[14:15]
                                        ; implicit-def: $vgpr33_vgpr34
                                        ; implicit-def: $vgpr35_vgpr36
	s_branch .LBB991_330
.LBB991_333:
	s_set_inst_prefetch_distance 0x2
	s_or_b32 exec_lo, exec_lo, s35
	v_cmp_gt_i64_e32 vcc_lo, s[14:15], v[37:38]
	s_or_not1_b32 s0, vcc_lo, exec_lo
.LBB991_334:
	s_or_b32 exec_lo, exec_lo, s26
.LBB991_335:
	s_delay_alu instid0(SALU_CYCLE_1)
	s_and_b32 s26, s0, exec_lo
.LBB991_336:
	s_or_b32 exec_lo, exec_lo, s34
	v_or_b32_e32 v33, 3, v55
	s_mov_b32 s35, 0
	s_mov_b32 s34, 0
	s_mov_b32 s36, exec_lo
	s_delay_alu instid0(VALU_DEP_1)
	v_cmpx_gt_u32_e64 s31, v33
	s_cbranch_execz .LBB991_347
; %bb.337:
	s_and_not1_b32 vcc_lo, exec_lo, s13
	s_mov_b32 s0, 0
	s_cbranch_vccnz .LBB991_346
; %bb.338:
	v_mul_lo_u32 v37, v26, s14
	v_mul_lo_u32 v38, v25, s15
	v_mad_u64_u32 v[33:34], null, v25, s14, 0
	v_mul_lo_u32 v39, v28, s14
	v_mul_lo_u32 v40, v27, s15
	v_mad_u64_u32 v[35:36], null, v27, s14, 0
	s_mov_b32 s0, -1
	s_mov_b32 s34, exec_lo
	s_delay_alu instid0(VALU_DEP_4) | instskip(NEXT) | instid1(VALU_DEP_2)
	v_add3_u32 v34, v34, v38, v37
	v_add3_u32 v36, v36, v40, v39
	s_delay_alu instid0(VALU_DEP_2) | instskip(NEXT) | instid1(VALU_DEP_2)
	v_lshlrev_b64 v[33:34], 2, v[33:34]
	v_lshlrev_b64 v[37:38], 2, v[35:36]
	s_delay_alu instid0(VALU_DEP_2) | instskip(NEXT) | instid1(VALU_DEP_3)
	v_add_co_u32 v35, vcc_lo, s20, v33
	v_add_co_ci_u32_e32 v36, vcc_lo, s21, v34, vcc_lo
	s_delay_alu instid0(VALU_DEP_3) | instskip(NEXT) | instid1(VALU_DEP_4)
	v_add_co_u32 v33, vcc_lo, s20, v37
	v_add_co_ci_u32_e32 v34, vcc_lo, s21, v38, vcc_lo
	s_clause 0x1
	global_load_b32 v37, v[35:36], off
	global_load_b32 v38, v[33:34], off
	s_waitcnt vmcnt(0)
	v_cmpx_eq_f32_e32 v37, v38
	s_cbranch_execz .LBB991_345
; %bb.339:
	v_add_co_u32 v33, vcc_lo, v33, 4
	v_add_co_ci_u32_e32 v34, vcc_lo, 0, v34, vcc_lo
	v_add_co_u32 v35, vcc_lo, v35, 4
	v_add_co_ci_u32_e32 v36, vcc_lo, 0, v36, vcc_lo
	s_add_u32 s4, s14, -1
	s_addc_u32 s5, s15, -1
	s_mov_b64 s[6:7], 0
	s_mov_b32 s37, 0
                                        ; implicit-def: $sgpr38
	s_set_inst_prefetch_distance 0x1
	s_branch .LBB991_342
	.p2align	6
.LBB991_340:                            ;   in Loop: Header=BB991_342 Depth=1
	global_load_b32 v37, v[35:36], off
	global_load_b32 v38, v[33:34], off
	v_add_co_u32 v33, vcc_lo, v33, 4
	v_add_co_ci_u32_e32 v34, vcc_lo, 0, v34, vcc_lo
	v_add_co_u32 v35, s0, v35, 4
	s_delay_alu instid0(VALU_DEP_1)
	v_add_co_ci_u32_e64 v36, s0, 0, v36, s0
	s_add_u32 s6, s6, 1
	s_addc_u32 s7, s7, 0
	s_and_not1_b32 s0, s38, exec_lo
	s_waitcnt vmcnt(0)
	v_cmp_neq_f32_e32 vcc_lo, v37, v38
	s_and_b32 s38, vcc_lo, exec_lo
	s_delay_alu instid0(SALU_CYCLE_1)
	s_or_b32 s38, s0, s38
.LBB991_341:                            ;   in Loop: Header=BB991_342 Depth=1
	v_dual_mov_b32 v38, s7 :: v_dual_mov_b32 v37, s6
	s_and_b32 s0, exec_lo, s38
	s_delay_alu instid0(SALU_CYCLE_1) | instskip(NEXT) | instid1(SALU_CYCLE_1)
	s_or_b32 s37, s0, s37
	s_and_not1_b32 exec_lo, exec_lo, s37
	s_cbranch_execz .LBB991_344
.LBB991_342:                            ; =>This Inner Loop Header: Depth=1
	s_or_b32 s38, s38, exec_lo
	s_cmp_eq_u64 s[4:5], s[6:7]
	s_cbranch_scc0 .LBB991_340
; %bb.343:                              ;   in Loop: Header=BB991_342 Depth=1
	s_mov_b64 s[6:7], s[14:15]
                                        ; implicit-def: $vgpr33_vgpr34
                                        ; implicit-def: $vgpr35_vgpr36
	s_branch .LBB991_341
.LBB991_344:
	s_set_inst_prefetch_distance 0x2
	s_or_b32 exec_lo, exec_lo, s37
	v_cmp_gt_i64_e32 vcc_lo, s[14:15], v[37:38]
	s_or_not1_b32 s0, vcc_lo, exec_lo
.LBB991_345:
	s_or_b32 exec_lo, exec_lo, s34
.LBB991_346:
	s_delay_alu instid0(SALU_CYCLE_1)
	s_and_b32 s34, s0, exec_lo
.LBB991_347:
	s_or_b32 exec_lo, exec_lo, s36
	v_or_b32_e32 v33, 2, v55
	s_mov_b32 s36, exec_lo
	s_delay_alu instid0(VALU_DEP_1)
	v_cmpx_gt_u32_e64 s31, v33
	s_cbranch_execz .LBB991_358
; %bb.348:
	s_and_not1_b32 vcc_lo, exec_lo, s13
	s_mov_b32 s0, 0
	s_cbranch_vccnz .LBB991_357
; %bb.349:
	v_mul_lo_u32 v37, v32, s14
	v_mul_lo_u32 v38, v31, s15
	v_mad_u64_u32 v[33:34], null, v31, s14, 0
	v_mul_lo_u32 v39, v26, s14
	v_mul_lo_u32 v40, v25, s15
	v_mad_u64_u32 v[35:36], null, v25, s14, 0
	s_mov_b32 s0, -1
	s_mov_b32 s35, exec_lo
	s_delay_alu instid0(VALU_DEP_4) | instskip(NEXT) | instid1(VALU_DEP_2)
	v_add3_u32 v34, v34, v38, v37
	v_add3_u32 v36, v36, v40, v39
	s_delay_alu instid0(VALU_DEP_2) | instskip(NEXT) | instid1(VALU_DEP_2)
	v_lshlrev_b64 v[33:34], 2, v[33:34]
	v_lshlrev_b64 v[37:38], 2, v[35:36]
	s_delay_alu instid0(VALU_DEP_2) | instskip(NEXT) | instid1(VALU_DEP_3)
	v_add_co_u32 v35, vcc_lo, s20, v33
	v_add_co_ci_u32_e32 v36, vcc_lo, s21, v34, vcc_lo
	s_delay_alu instid0(VALU_DEP_3) | instskip(NEXT) | instid1(VALU_DEP_4)
	v_add_co_u32 v33, vcc_lo, s20, v37
	v_add_co_ci_u32_e32 v34, vcc_lo, s21, v38, vcc_lo
	s_clause 0x1
	global_load_b32 v37, v[35:36], off
	global_load_b32 v38, v[33:34], off
	s_waitcnt vmcnt(0)
	v_cmpx_eq_f32_e32 v37, v38
	s_cbranch_execz .LBB991_356
; %bb.350:
	v_add_co_u32 v33, vcc_lo, v33, 4
	v_add_co_ci_u32_e32 v34, vcc_lo, 0, v34, vcc_lo
	v_add_co_u32 v35, vcc_lo, v35, 4
	v_add_co_ci_u32_e32 v36, vcc_lo, 0, v36, vcc_lo
	s_add_u32 s4, s14, -1
	s_addc_u32 s5, s15, -1
	s_mov_b64 s[6:7], 0
	s_mov_b32 s37, 0
                                        ; implicit-def: $sgpr38
	s_set_inst_prefetch_distance 0x1
	s_branch .LBB991_353
	.p2align	6
.LBB991_351:                            ;   in Loop: Header=BB991_353 Depth=1
	global_load_b32 v37, v[35:36], off
	global_load_b32 v38, v[33:34], off
	v_add_co_u32 v33, vcc_lo, v33, 4
	v_add_co_ci_u32_e32 v34, vcc_lo, 0, v34, vcc_lo
	v_add_co_u32 v35, s0, v35, 4
	s_delay_alu instid0(VALU_DEP_1)
	v_add_co_ci_u32_e64 v36, s0, 0, v36, s0
	s_add_u32 s6, s6, 1
	s_addc_u32 s7, s7, 0
	s_and_not1_b32 s0, s38, exec_lo
	s_waitcnt vmcnt(0)
	v_cmp_neq_f32_e32 vcc_lo, v37, v38
	s_and_b32 s38, vcc_lo, exec_lo
	s_delay_alu instid0(SALU_CYCLE_1)
	s_or_b32 s38, s0, s38
.LBB991_352:                            ;   in Loop: Header=BB991_353 Depth=1
	v_dual_mov_b32 v38, s7 :: v_dual_mov_b32 v37, s6
	s_and_b32 s0, exec_lo, s38
	s_delay_alu instid0(SALU_CYCLE_1) | instskip(NEXT) | instid1(SALU_CYCLE_1)
	s_or_b32 s37, s0, s37
	s_and_not1_b32 exec_lo, exec_lo, s37
	s_cbranch_execz .LBB991_355
.LBB991_353:                            ; =>This Inner Loop Header: Depth=1
	s_or_b32 s38, s38, exec_lo
	s_cmp_eq_u64 s[4:5], s[6:7]
	s_cbranch_scc0 .LBB991_351
; %bb.354:                              ;   in Loop: Header=BB991_353 Depth=1
	s_mov_b64 s[6:7], s[14:15]
                                        ; implicit-def: $vgpr33_vgpr34
                                        ; implicit-def: $vgpr35_vgpr36
	s_branch .LBB991_352
.LBB991_355:
	s_set_inst_prefetch_distance 0x2
	s_or_b32 exec_lo, exec_lo, s37
	v_cmp_gt_i64_e32 vcc_lo, s[14:15], v[37:38]
	s_or_not1_b32 s0, vcc_lo, exec_lo
.LBB991_356:
	s_or_b32 exec_lo, exec_lo, s35
.LBB991_357:
	s_delay_alu instid0(SALU_CYCLE_1)
	s_and_b32 s35, s0, exec_lo
.LBB991_358:
	s_or_b32 exec_lo, exec_lo, s36
	v_or_b32_e32 v33, 1, v55
	s_mov_b32 s0, 0
	s_mov_b32 s36, exec_lo
	s_delay_alu instid0(VALU_DEP_1)
	v_cmpx_gt_u32_e64 s31, v33
	s_cbranch_execz .LBB991_369
; %bb.359:
	s_and_not1_b32 vcc_lo, exec_lo, s13
	s_cbranch_vccnz .LBB991_368
; %bb.360:
	v_mul_lo_u32 v37, v30, s14
	v_mul_lo_u32 v38, v29, s15
	v_mad_u64_u32 v[33:34], null, v29, s14, 0
	v_mul_lo_u32 v39, v32, s14
	v_mul_lo_u32 v40, v31, s15
	v_mad_u64_u32 v[35:36], null, v31, s14, 0
	s_mov_b32 s0, -1
	s_mov_b32 s37, exec_lo
	s_delay_alu instid0(VALU_DEP_4) | instskip(NEXT) | instid1(VALU_DEP_2)
	v_add3_u32 v34, v34, v38, v37
	v_add3_u32 v36, v36, v40, v39
	s_delay_alu instid0(VALU_DEP_2) | instskip(NEXT) | instid1(VALU_DEP_2)
	v_lshlrev_b64 v[33:34], 2, v[33:34]
	v_lshlrev_b64 v[37:38], 2, v[35:36]
	s_delay_alu instid0(VALU_DEP_2) | instskip(NEXT) | instid1(VALU_DEP_3)
	v_add_co_u32 v35, vcc_lo, s20, v33
	v_add_co_ci_u32_e32 v36, vcc_lo, s21, v34, vcc_lo
	s_delay_alu instid0(VALU_DEP_3) | instskip(NEXT) | instid1(VALU_DEP_4)
	v_add_co_u32 v33, vcc_lo, s20, v37
	v_add_co_ci_u32_e32 v34, vcc_lo, s21, v38, vcc_lo
	s_clause 0x1
	global_load_b32 v37, v[35:36], off
	global_load_b32 v38, v[33:34], off
	s_waitcnt vmcnt(0)
	v_cmpx_eq_f32_e32 v37, v38
	s_cbranch_execz .LBB991_367
; %bb.361:
	v_add_co_u32 v33, vcc_lo, v33, 4
	v_add_co_ci_u32_e32 v34, vcc_lo, 0, v34, vcc_lo
	v_add_co_u32 v35, vcc_lo, v35, 4
	v_add_co_ci_u32_e32 v36, vcc_lo, 0, v36, vcc_lo
	s_add_u32 s4, s14, -1
	s_addc_u32 s5, s15, -1
	s_mov_b64 s[6:7], 0
	s_mov_b32 s38, 0
                                        ; implicit-def: $sgpr39
	s_set_inst_prefetch_distance 0x1
	s_branch .LBB991_364
	.p2align	6
.LBB991_362:                            ;   in Loop: Header=BB991_364 Depth=1
	global_load_b32 v37, v[35:36], off
	global_load_b32 v38, v[33:34], off
	v_add_co_u32 v33, vcc_lo, v33, 4
	v_add_co_ci_u32_e32 v34, vcc_lo, 0, v34, vcc_lo
	v_add_co_u32 v35, s0, v35, 4
	s_delay_alu instid0(VALU_DEP_1)
	v_add_co_ci_u32_e64 v36, s0, 0, v36, s0
	s_add_u32 s6, s6, 1
	s_addc_u32 s7, s7, 0
	s_and_not1_b32 s0, s39, exec_lo
	s_waitcnt vmcnt(0)
	v_cmp_neq_f32_e32 vcc_lo, v37, v38
	s_and_b32 s39, vcc_lo, exec_lo
	s_delay_alu instid0(SALU_CYCLE_1)
	s_or_b32 s39, s0, s39
.LBB991_363:                            ;   in Loop: Header=BB991_364 Depth=1
	v_dual_mov_b32 v38, s7 :: v_dual_mov_b32 v37, s6
	s_and_b32 s0, exec_lo, s39
	s_delay_alu instid0(SALU_CYCLE_1) | instskip(NEXT) | instid1(SALU_CYCLE_1)
	s_or_b32 s38, s0, s38
	s_and_not1_b32 exec_lo, exec_lo, s38
	s_cbranch_execz .LBB991_366
.LBB991_364:                            ; =>This Inner Loop Header: Depth=1
	s_or_b32 s39, s39, exec_lo
	s_cmp_eq_u64 s[4:5], s[6:7]
	s_cbranch_scc0 .LBB991_362
; %bb.365:                              ;   in Loop: Header=BB991_364 Depth=1
	s_mov_b64 s[6:7], s[14:15]
                                        ; implicit-def: $vgpr33_vgpr34
                                        ; implicit-def: $vgpr35_vgpr36
	s_branch .LBB991_363
.LBB991_366:
	s_set_inst_prefetch_distance 0x2
	s_or_b32 exec_lo, exec_lo, s38
	v_cmp_gt_i64_e32 vcc_lo, s[14:15], v[37:38]
	s_or_not1_b32 s0, vcc_lo, exec_lo
.LBB991_367:
	s_or_b32 exec_lo, exec_lo, s37
.LBB991_368:
	s_delay_alu instid0(SALU_CYCLE_1)
	s_and_b32 s0, s0, exec_lo
.LBB991_369:
	s_or_b32 exec_lo, exec_lo, s36
	v_cndmask_b32_e64 v34, 0, 1, s34
	v_cndmask_b32_e64 v35, 0, 1, s27
	;; [unrolled: 1-line block ×7, first 2 shown]
	v_lshlrev_b16 v35, 8, v35
	v_lshlrev_b16 v36, 8, v36
	;; [unrolled: 1-line block ×4, first 2 shown]
	s_waitcnt lgkmcnt(0)
	v_or_b32_e32 v35, v38, v35
	v_or_b32_e32 v36, v39, v36
	v_or_b32_e32 v37, 1, v37
	v_or_b32_e32 v33, v33, v34
	s_barrier
	v_and_b32_e32 v34, 0xffff, v35
	v_lshlrev_b32_e32 v35, 16, v36
	v_and_b32_e32 v37, 0xffff, v37
	v_lshlrev_b32_e32 v33, 16, v33
	buffer_gl0_inv
                                        ; implicit-def: $sgpr0
	v_or_b32_e32 v36, v34, v35
	v_or_b32_e32 v35, v37, v33
	s_and_saveexec_b32 s24, s3
	s_cbranch_execz .LBB991_382
; %bb.370:
	s_mov_b32 s0, 0
	s_mov_b32 s3, exec_lo
	v_cmpx_gt_u32_e64 s31, v55
	s_cbranch_execz .LBB991_381
; %bb.371:
	s_and_not1_b32 vcc_lo, exec_lo, s13
	s_cbranch_vccnz .LBB991_380
; %bb.372:
	v_add_nc_u32_e32 v33, -8, v55
	v_mul_lo_u32 v41, v30, s14
	v_mul_lo_u32 v42, v29, s15
	s_mov_b32 s0, -1
	s_mov_b32 s13, exec_lo
	ds_load_b64 v[33:34], v33
	s_waitcnt lgkmcnt(0)
	v_mul_lo_u32 v39, v34, s14
	v_mul_lo_u32 v40, v33, s15
	v_mad_u64_u32 v[37:38], null, v33, s14, 0
	v_mad_u64_u32 v[33:34], null, v29, s14, 0
	s_delay_alu instid0(VALU_DEP_2) | instskip(NEXT) | instid1(VALU_DEP_2)
	v_add3_u32 v38, v38, v40, v39
	v_add3_u32 v34, v34, v42, v41
	s_delay_alu instid0(VALU_DEP_2) | instskip(NEXT) | instid1(VALU_DEP_2)
	v_lshlrev_b64 v[37:38], 2, v[37:38]
	v_lshlrev_b64 v[33:34], 2, v[33:34]
	s_delay_alu instid0(VALU_DEP_2) | instskip(NEXT) | instid1(VALU_DEP_3)
	v_add_co_u32 v37, vcc_lo, s20, v37
	v_add_co_ci_u32_e32 v38, vcc_lo, s21, v38, vcc_lo
	s_delay_alu instid0(VALU_DEP_3) | instskip(NEXT) | instid1(VALU_DEP_4)
	v_add_co_u32 v33, vcc_lo, s20, v33
	v_add_co_ci_u32_e32 v34, vcc_lo, s21, v34, vcc_lo
	s_clause 0x1
	global_load_b32 v39, v[37:38], off
	global_load_b32 v40, v[33:34], off
	s_waitcnt vmcnt(0)
	v_cmpx_eq_f32_e32 v39, v40
	s_cbranch_execz .LBB991_379
; %bb.373:
	v_add_co_u32 v33, vcc_lo, v33, 4
	v_add_co_ci_u32_e32 v34, vcc_lo, 0, v34, vcc_lo
	v_add_co_u32 v37, vcc_lo, v37, 4
	v_add_co_ci_u32_e32 v38, vcc_lo, 0, v38, vcc_lo
	s_add_u32 s4, s14, -1
	s_addc_u32 s5, s15, -1
	s_mov_b64 s[6:7], 0
	s_mov_b32 s20, 0
                                        ; implicit-def: $sgpr21
	s_set_inst_prefetch_distance 0x1
	s_branch .LBB991_376
	.p2align	6
.LBB991_374:                            ;   in Loop: Header=BB991_376 Depth=1
	global_load_b32 v39, v[37:38], off
	global_load_b32 v40, v[33:34], off
	v_add_co_u32 v33, vcc_lo, v33, 4
	v_add_co_ci_u32_e32 v34, vcc_lo, 0, v34, vcc_lo
	v_add_co_u32 v37, s0, v37, 4
	s_delay_alu instid0(VALU_DEP_1)
	v_add_co_ci_u32_e64 v38, s0, 0, v38, s0
	s_add_u32 s6, s6, 1
	s_addc_u32 s7, s7, 0
	s_and_not1_b32 s0, s21, exec_lo
	s_waitcnt vmcnt(0)
	v_cmp_neq_f32_e32 vcc_lo, v39, v40
	s_and_b32 s21, vcc_lo, exec_lo
	s_delay_alu instid0(SALU_CYCLE_1)
	s_or_b32 s21, s0, s21
.LBB991_375:                            ;   in Loop: Header=BB991_376 Depth=1
	v_dual_mov_b32 v40, s7 :: v_dual_mov_b32 v39, s6
	s_and_b32 s0, exec_lo, s21
	s_delay_alu instid0(SALU_CYCLE_1) | instskip(NEXT) | instid1(SALU_CYCLE_1)
	s_or_b32 s20, s0, s20
	s_and_not1_b32 exec_lo, exec_lo, s20
	s_cbranch_execz .LBB991_378
.LBB991_376:                            ; =>This Inner Loop Header: Depth=1
	s_or_b32 s21, s21, exec_lo
	s_cmp_eq_u64 s[4:5], s[6:7]
	s_cbranch_scc0 .LBB991_374
; %bb.377:                              ;   in Loop: Header=BB991_376 Depth=1
	s_mov_b64 s[6:7], s[14:15]
                                        ; implicit-def: $vgpr33_vgpr34
                                        ; implicit-def: $vgpr37_vgpr38
	s_branch .LBB991_375
.LBB991_378:
	s_set_inst_prefetch_distance 0x2
	s_or_b32 exec_lo, exec_lo, s20
	v_cmp_gt_i64_e32 vcc_lo, s[14:15], v[39:40]
	s_or_not1_b32 s0, vcc_lo, exec_lo
.LBB991_379:
	s_or_b32 exec_lo, exec_lo, s13
.LBB991_380:
	s_delay_alu instid0(SALU_CYCLE_1)
	s_and_b32 s0, s0, exec_lo
.LBB991_381:
	s_or_b32 exec_lo, exec_lo, s3
	s_delay_alu instid0(SALU_CYCLE_1)
	s_and_b32 s0, s0, exec_lo
	s_or_b32 s1, s1, exec_lo
.LBB991_382:
	s_or_b32 exec_lo, exec_lo, s24
.LBB991_383:
	s_and_saveexec_b32 s3, s1
	s_cbranch_execz .LBB991_385
; %bb.384:
	s_waitcnt vmcnt(0) lgkmcnt(0)
	v_and_b32_e32 v33, 0xffffff00, v35
	v_cndmask_b32_e64 v34, 0, 1, s0
	s_delay_alu instid0(VALU_DEP_1) | instskip(NEXT) | instid1(VALU_DEP_1)
	v_or_b32_e32 v33, v34, v33
	v_and_b32_e32 v33, 0xffff, v33
	s_delay_alu instid0(VALU_DEP_1)
	v_and_or_b32 v35, 0xffff0000, v35, v33
.LBB991_385:
	s_or_b32 exec_lo, exec_lo, s3
	s_delay_alu instid0(SALU_CYCLE_1)
	s_and_not1_b32 vcc_lo, exec_lo, s33
	s_cbranch_vccnz .LBB991_387
; %bb.386:
	v_cmp_gt_u32_e32 vcc_lo, s31, v55
	s_waitcnt vmcnt(0) lgkmcnt(0)
	v_or_b32_e32 v34, 1, v55
	v_and_b32_e32 v37, 0xffffff00, v36
	v_or_b32_e32 v38, 2, v55
	v_cndmask_b32_e32 v33, 0, v35, vcc_lo
	s_delay_alu instid0(VALU_DEP_4) | instskip(SKIP_1) | instid1(VALU_DEP_4)
	v_cmp_gt_u32_e32 vcc_lo, s31, v34
	v_or_b32_e32 v34, 4, v55
	v_cmp_gt_u32_e64 s0, s31, v38
	v_or_b32_e32 v38, 3, v55
	v_and_b32_e32 v33, 0xff, v33
	s_delay_alu instid0(VALU_DEP_2) | instskip(NEXT) | instid1(VALU_DEP_2)
	v_cmp_gt_u32_e64 s1, s31, v38
	v_cndmask_b32_e32 v33, v33, v35, vcc_lo
	v_cmp_gt_u32_e32 vcc_lo, s31, v34
	v_cndmask_b32_e32 v34, v37, v36, vcc_lo
	v_or_b32_e32 v37, 5, v55
	s_delay_alu instid0(VALU_DEP_2) | instskip(SKIP_1) | instid1(VALU_DEP_1)
	v_and_b32_e32 v34, 0xffff00ff, v34
	v_and_b32_e32 v33, 0xffff, v33
	v_cndmask_b32_e64 v33, v33, v35, s0
	s_delay_alu instid0(VALU_DEP_4) | instskip(SKIP_1) | instid1(VALU_DEP_3)
	v_cmp_gt_u32_e64 s0, s31, v37
	v_or_b32_e32 v37, 6, v55
	v_and_b32_e32 v33, 0xffffff, v33
	s_delay_alu instid0(VALU_DEP_3) | instskip(NEXT) | instid1(VALU_DEP_2)
	v_cndmask_b32_e64 v34, v34, v36, s0
	v_cndmask_b32_e64 v33, v33, v35, s1
	s_delay_alu instid0(VALU_DEP_1) | instskip(SKIP_2) | instid1(VALU_DEP_3)
	v_dual_cndmask_b32 v33, v33, v35 :: v_dual_and_b32 v34, 0xff00ffff, v34
	v_cmp_gt_u32_e32 vcc_lo, s31, v37
	v_or_b32_e32 v37, 7, v55
	v_cndmask_b32_e64 v33, v33, v35, s0
	s_delay_alu instid0(VALU_DEP_1) | instskip(NEXT) | instid1(VALU_DEP_1)
	v_dual_cndmask_b32 v34, v34, v36 :: v_dual_cndmask_b32 v33, v33, v35
	v_and_b32_e32 v34, 0xffffff, v34
	s_delay_alu instid0(VALU_DEP_4) | instskip(NEXT) | instid1(VALU_DEP_2)
	v_cmp_gt_u32_e32 vcc_lo, s31, v37
	v_dual_cndmask_b32 v36, v34, v36 :: v_dual_cndmask_b32 v35, v33, v35
.LBB991_387:
	s_delay_alu instid0(VALU_DEP_1) | instskip(SKIP_1) | instid1(VALU_DEP_2)
	v_and_b32_e32 v44, 0xff, v35
	s_waitcnt vmcnt(0) lgkmcnt(0)
	v_alignbit_b32 v33, v36, v35, 24
	v_bfe_u32 v46, v35, 8, 8
	v_bfe_u32 v48, v35, 16, 8
	v_and_b32_e32 v52, 0xff, v36
	v_bfe_u32 v54, v36, 8, 8
	v_and_b32_e32 v50, 0xff, v33
	v_add_nc_u32_e32 v33, v46, v44
	v_mbcnt_lo_u32_b32 v58, -1, 0
	v_bfe_u32 v57, v36, 16, 8
	v_lshrrev_b32_e32 v56, 24, v36
	v_lshrrev_b32_e32 v59, 5, v0
	v_add3_u32 v33, v33, v48, v50
	v_and_b32_e32 v34, 15, v58
	v_and_b32_e32 v37, 16, v58
	s_and_b32 vcc_lo, exec_lo, s12
	s_mov_b32 s7, -1
	v_add3_u32 v33, v33, v52, v54
	v_cmp_eq_u32_e64 s3, 0, v34
	v_cmp_lt_u32_e64 s0, 1, v34
	v_cmp_lt_u32_e64 s4, 3, v34
	;; [unrolled: 1-line block ×3, first 2 shown]
	v_add3_u32 v60, v33, v57, v56
	v_or_b32_e32 v33, 31, v0
	v_cmp_eq_u32_e64 s6, 0, v37
	s_barrier
	buffer_gl0_inv
	v_cmp_eq_u32_e64 s5, v33, v0
	s_cbranch_vccz .LBB991_413
; %bb.388:
	v_mov_b32_dpp v33, v60 row_shr:1 row_mask:0xf bank_mask:0xf
	s_delay_alu instid0(VALU_DEP_1) | instskip(NEXT) | instid1(VALU_DEP_1)
	v_cndmask_b32_e64 v33, v33, 0, s3
	v_add_nc_u32_e32 v33, v33, v60
	s_delay_alu instid0(VALU_DEP_1) | instskip(NEXT) | instid1(VALU_DEP_1)
	v_mov_b32_dpp v34, v33 row_shr:2 row_mask:0xf bank_mask:0xf
	v_cndmask_b32_e64 v34, 0, v34, s0
	s_delay_alu instid0(VALU_DEP_1) | instskip(NEXT) | instid1(VALU_DEP_1)
	v_add_nc_u32_e32 v33, v33, v34
	v_mov_b32_dpp v34, v33 row_shr:4 row_mask:0xf bank_mask:0xf
	s_delay_alu instid0(VALU_DEP_1) | instskip(NEXT) | instid1(VALU_DEP_1)
	v_cndmask_b32_e64 v34, 0, v34, s4
	v_add_nc_u32_e32 v33, v33, v34
	s_delay_alu instid0(VALU_DEP_1) | instskip(NEXT) | instid1(VALU_DEP_1)
	v_mov_b32_dpp v34, v33 row_shr:8 row_mask:0xf bank_mask:0xf
	v_cndmask_b32_e64 v34, 0, v34, s1
	s_delay_alu instid0(VALU_DEP_1) | instskip(SKIP_3) | instid1(VALU_DEP_1)
	v_add_nc_u32_e32 v33, v33, v34
	ds_swizzle_b32 v34, v33 offset:swizzle(BROADCAST,32,15)
	s_waitcnt lgkmcnt(0)
	v_cndmask_b32_e64 v34, v34, 0, s6
	v_add_nc_u32_e32 v33, v33, v34
	s_and_saveexec_b32 s7, s5
	s_cbranch_execz .LBB991_390
; %bb.389:
	v_lshlrev_b32_e32 v34, 2, v59
	ds_store_b32 v34, v33
.LBB991_390:
	s_or_b32 exec_lo, exec_lo, s7
	s_delay_alu instid0(SALU_CYCLE_1)
	s_mov_b32 s7, exec_lo
	s_waitcnt lgkmcnt(0)
	s_barrier
	buffer_gl0_inv
	v_cmpx_gt_u32_e32 16, v0
	s_cbranch_execz .LBB991_392
; %bb.391:
	v_lshlrev_b32_e32 v34, 2, v0
	ds_load_b32 v37, v34
	s_waitcnt lgkmcnt(0)
	v_mov_b32_dpp v38, v37 row_shr:1 row_mask:0xf bank_mask:0xf
	s_delay_alu instid0(VALU_DEP_1) | instskip(NEXT) | instid1(VALU_DEP_1)
	v_cndmask_b32_e64 v38, v38, 0, s3
	v_add_nc_u32_e32 v37, v38, v37
	s_delay_alu instid0(VALU_DEP_1) | instskip(NEXT) | instid1(VALU_DEP_1)
	v_mov_b32_dpp v38, v37 row_shr:2 row_mask:0xf bank_mask:0xf
	v_cndmask_b32_e64 v38, 0, v38, s0
	s_delay_alu instid0(VALU_DEP_1) | instskip(NEXT) | instid1(VALU_DEP_1)
	v_add_nc_u32_e32 v37, v37, v38
	v_mov_b32_dpp v38, v37 row_shr:4 row_mask:0xf bank_mask:0xf
	s_delay_alu instid0(VALU_DEP_1) | instskip(NEXT) | instid1(VALU_DEP_1)
	v_cndmask_b32_e64 v38, 0, v38, s4
	v_add_nc_u32_e32 v37, v37, v38
	s_delay_alu instid0(VALU_DEP_1) | instskip(NEXT) | instid1(VALU_DEP_1)
	v_mov_b32_dpp v38, v37 row_shr:8 row_mask:0xf bank_mask:0xf
	v_cndmask_b32_e64 v38, 0, v38, s1
	s_delay_alu instid0(VALU_DEP_1)
	v_add_nc_u32_e32 v37, v37, v38
	ds_store_b32 v34, v37
.LBB991_392:
	s_or_b32 exec_lo, exec_lo, s7
	v_cmp_gt_u32_e32 vcc_lo, 32, v0
	s_mov_b32 s12, exec_lo
	s_waitcnt lgkmcnt(0)
	s_barrier
	buffer_gl0_inv
                                        ; implicit-def: $vgpr43
	v_cmpx_lt_u32_e32 31, v0
	s_cbranch_execz .LBB991_394
; %bb.393:
	v_lshl_add_u32 v34, v59, 2, -4
	ds_load_b32 v43, v34
	s_waitcnt lgkmcnt(0)
	v_add_nc_u32_e32 v33, v43, v33
.LBB991_394:
	s_or_b32 exec_lo, exec_lo, s12
	v_add_nc_u32_e32 v34, -1, v58
	s_delay_alu instid0(VALU_DEP_1) | instskip(NEXT) | instid1(VALU_DEP_1)
	v_cmp_gt_i32_e64 s7, 0, v34
	v_cndmask_b32_e64 v34, v34, v58, s7
	v_cmp_eq_u32_e64 s7, 0, v58
	s_delay_alu instid0(VALU_DEP_2)
	v_lshlrev_b32_e32 v34, 2, v34
	ds_bpermute_b32 v45, v34, v33
	s_and_saveexec_b32 s12, vcc_lo
	s_cbranch_execz .LBB991_412
; %bb.395:
	v_mov_b32_e32 v39, 0
	ds_load_b32 v33, v39 offset:60
	s_and_saveexec_b32 s13, s7
	s_cbranch_execz .LBB991_397
; %bb.396:
	s_add_i32 s14, s30, 32
	s_mov_b32 s15, 0
	v_mov_b32_e32 v34, 1
	s_lshl_b64 s[14:15], s[14:15], 3
	s_delay_alu instid0(SALU_CYCLE_1)
	s_add_u32 s14, s22, s14
	s_addc_u32 s15, s23, s15
	s_waitcnt lgkmcnt(0)
	global_store_b64 v39, v[33:34], s[14:15]
.LBB991_397:
	s_or_b32 exec_lo, exec_lo, s13
	v_xad_u32 v37, v58, -1, s30
	s_mov_b32 s14, 0
	s_mov_b32 s13, exec_lo
	s_delay_alu instid0(VALU_DEP_1) | instskip(NEXT) | instid1(VALU_DEP_1)
	v_add_nc_u32_e32 v38, 32, v37
	v_lshlrev_b64 v[38:39], 3, v[38:39]
	s_delay_alu instid0(VALU_DEP_1) | instskip(NEXT) | instid1(VALU_DEP_2)
	v_add_co_u32 v41, vcc_lo, s22, v38
	v_add_co_ci_u32_e32 v42, vcc_lo, s23, v39, vcc_lo
	global_load_b64 v[39:40], v[41:42], off glc
	s_waitcnt vmcnt(0)
	v_and_b32_e32 v34, 0xff, v40
	s_delay_alu instid0(VALU_DEP_1)
	v_cmpx_eq_u16_e32 0, v34
	s_cbranch_execz .LBB991_400
.LBB991_398:                            ; =>This Inner Loop Header: Depth=1
	global_load_b64 v[39:40], v[41:42], off glc
	s_waitcnt vmcnt(0)
	v_and_b32_e32 v34, 0xff, v40
	s_delay_alu instid0(VALU_DEP_1) | instskip(SKIP_1) | instid1(SALU_CYCLE_1)
	v_cmp_ne_u16_e32 vcc_lo, 0, v34
	s_or_b32 s14, vcc_lo, s14
	s_and_not1_b32 exec_lo, exec_lo, s14
	s_cbranch_execnz .LBB991_398
; %bb.399:
	s_or_b32 exec_lo, exec_lo, s14
.LBB991_400:
	s_delay_alu instid0(SALU_CYCLE_1)
	s_or_b32 exec_lo, exec_lo, s13
	v_cmp_ne_u32_e32 vcc_lo, 31, v58
	v_and_b32_e32 v38, 0xff, v40
	v_lshlrev_b32_e64 v47, v58, -1
	v_add_nc_u32_e32 v51, 2, v58
	v_add_nc_u32_e32 v61, 4, v58
	v_add_co_ci_u32_e32 v34, vcc_lo, 0, v58, vcc_lo
	v_cmp_eq_u16_e32 vcc_lo, 2, v38
	v_add_nc_u32_e32 v64, 8, v58
	v_add_nc_u32_e32 v66, 16, v58
	v_and_or_b32 v38, vcc_lo, v47, 0x80000000
	v_cmp_gt_u32_e32 vcc_lo, 30, v58
	s_delay_alu instid0(VALU_DEP_2) | instskip(SKIP_1) | instid1(VALU_DEP_2)
	v_ctz_i32_b32_e32 v38, v38
	v_cndmask_b32_e64 v42, 0, 1, vcc_lo
	v_cmp_lt_u32_e32 vcc_lo, v58, v38
	v_lshlrev_b32_e32 v34, 2, v34
	s_delay_alu instid0(VALU_DEP_3)
	v_lshlrev_b32_e32 v42, 1, v42
	ds_bpermute_b32 v41, v34, v39
	v_add_lshl_u32 v49, v42, v58, 2
	s_waitcnt lgkmcnt(0)
	v_cndmask_b32_e32 v41, 0, v41, vcc_lo
	v_cmp_gt_u32_e32 vcc_lo, 28, v58
	s_delay_alu instid0(VALU_DEP_2) | instskip(SKIP_4) | instid1(VALU_DEP_1)
	v_add_nc_u32_e32 v39, v41, v39
	v_cndmask_b32_e64 v42, 0, 1, vcc_lo
	v_cmp_le_u32_e32 vcc_lo, v51, v38
	ds_bpermute_b32 v41, v49, v39
	v_lshlrev_b32_e32 v42, 2, v42
	v_add_lshl_u32 v53, v42, v58, 2
	s_waitcnt lgkmcnt(0)
	v_cndmask_b32_e32 v41, 0, v41, vcc_lo
	v_cmp_gt_u32_e32 vcc_lo, 24, v58
	s_delay_alu instid0(VALU_DEP_2) | instskip(SKIP_4) | instid1(VALU_DEP_1)
	v_add_nc_u32_e32 v39, v39, v41
	v_cndmask_b32_e64 v42, 0, 1, vcc_lo
	v_cmp_le_u32_e32 vcc_lo, v61, v38
	ds_bpermute_b32 v41, v53, v39
	v_lshlrev_b32_e32 v42, 3, v42
	;; [unrolled: 10-line block ×3, first 2 shown]
	v_add_lshl_u32 v65, v42, v58, 2
	s_waitcnt lgkmcnt(0)
	v_cndmask_b32_e32 v41, 0, v41, vcc_lo
	v_cmp_le_u32_e32 vcc_lo, v66, v38
	s_delay_alu instid0(VALU_DEP_2) | instskip(SKIP_3) | instid1(VALU_DEP_1)
	v_add_nc_u32_e32 v39, v39, v41
	ds_bpermute_b32 v41, v65, v39
	s_waitcnt lgkmcnt(0)
	v_cndmask_b32_e32 v38, 0, v41, vcc_lo
	v_dual_mov_b32 v38, 0 :: v_dual_add_nc_u32 v39, v39, v38
	s_branch .LBB991_402
.LBB991_401:                            ;   in Loop: Header=BB991_402 Depth=1
	s_or_b32 exec_lo, exec_lo, s13
	ds_bpermute_b32 v42, v34, v39
	v_and_b32_e32 v41, 0xff, v40
	v_subrev_nc_u32_e32 v37, 32, v37
	s_delay_alu instid0(VALU_DEP_2) | instskip(SKIP_1) | instid1(VALU_DEP_1)
	v_cmp_eq_u16_e32 vcc_lo, 2, v41
	v_and_or_b32 v41, vcc_lo, v47, 0x80000000
	v_ctz_i32_b32_e32 v41, v41
	s_delay_alu instid0(VALU_DEP_1) | instskip(SKIP_3) | instid1(VALU_DEP_2)
	v_cmp_lt_u32_e32 vcc_lo, v58, v41
	s_waitcnt lgkmcnt(0)
	v_cndmask_b32_e32 v42, 0, v42, vcc_lo
	v_cmp_le_u32_e32 vcc_lo, v51, v41
	v_add_nc_u32_e32 v39, v42, v39
	ds_bpermute_b32 v42, v49, v39
	s_waitcnt lgkmcnt(0)
	v_cndmask_b32_e32 v42, 0, v42, vcc_lo
	v_cmp_le_u32_e32 vcc_lo, v61, v41
	s_delay_alu instid0(VALU_DEP_2) | instskip(SKIP_4) | instid1(VALU_DEP_2)
	v_add_nc_u32_e32 v39, v39, v42
	ds_bpermute_b32 v42, v53, v39
	s_waitcnt lgkmcnt(0)
	v_cndmask_b32_e32 v42, 0, v42, vcc_lo
	v_cmp_le_u32_e32 vcc_lo, v64, v41
	v_add_nc_u32_e32 v39, v39, v42
	ds_bpermute_b32 v42, v63, v39
	s_waitcnt lgkmcnt(0)
	v_cndmask_b32_e32 v42, 0, v42, vcc_lo
	v_cmp_le_u32_e32 vcc_lo, v66, v41
	s_delay_alu instid0(VALU_DEP_2) | instskip(SKIP_3) | instid1(VALU_DEP_1)
	v_add_nc_u32_e32 v39, v39, v42
	ds_bpermute_b32 v42, v65, v39
	s_waitcnt lgkmcnt(0)
	v_cndmask_b32_e32 v41, 0, v42, vcc_lo
	v_add3_u32 v39, v41, v62, v39
.LBB991_402:                            ; =>This Loop Header: Depth=1
                                        ;     Child Loop BB991_405 Depth 2
	v_and_b32_e32 v40, 0xff, v40
	s_delay_alu instid0(VALU_DEP_2) | instskip(NEXT) | instid1(VALU_DEP_2)
	v_mov_b32_e32 v62, v39
	v_cmp_ne_u16_e32 vcc_lo, 2, v40
	v_cndmask_b32_e64 v40, 0, 1, vcc_lo
	;;#ASMSTART
	;;#ASMEND
	s_delay_alu instid0(VALU_DEP_1)
	v_cmp_ne_u32_e32 vcc_lo, 0, v40
	s_cmp_lg_u32 vcc_lo, exec_lo
	s_cbranch_scc1 .LBB991_407
; %bb.403:                              ;   in Loop: Header=BB991_402 Depth=1
	v_lshlrev_b64 v[39:40], 3, v[37:38]
	s_mov_b32 s13, exec_lo
	s_delay_alu instid0(VALU_DEP_1) | instskip(NEXT) | instid1(VALU_DEP_2)
	v_add_co_u32 v41, vcc_lo, s22, v39
	v_add_co_ci_u32_e32 v42, vcc_lo, s23, v40, vcc_lo
	global_load_b64 v[39:40], v[41:42], off glc
	s_waitcnt vmcnt(0)
	v_and_b32_e32 v67, 0xff, v40
	s_delay_alu instid0(VALU_DEP_1)
	v_cmpx_eq_u16_e32 0, v67
	s_cbranch_execz .LBB991_401
; %bb.404:                              ;   in Loop: Header=BB991_402 Depth=1
	s_mov_b32 s14, 0
.LBB991_405:                            ;   Parent Loop BB991_402 Depth=1
                                        ; =>  This Inner Loop Header: Depth=2
	global_load_b64 v[39:40], v[41:42], off glc
	s_waitcnt vmcnt(0)
	v_and_b32_e32 v67, 0xff, v40
	s_delay_alu instid0(VALU_DEP_1) | instskip(SKIP_1) | instid1(SALU_CYCLE_1)
	v_cmp_ne_u16_e32 vcc_lo, 0, v67
	s_or_b32 s14, vcc_lo, s14
	s_and_not1_b32 exec_lo, exec_lo, s14
	s_cbranch_execnz .LBB991_405
; %bb.406:                              ;   in Loop: Header=BB991_402 Depth=1
	s_or_b32 exec_lo, exec_lo, s14
	s_branch .LBB991_401
.LBB991_407:                            ;   in Loop: Header=BB991_402 Depth=1
                                        ; implicit-def: $vgpr39
                                        ; implicit-def: $vgpr40
	s_cbranch_execz .LBB991_402
; %bb.408:
	s_and_saveexec_b32 s13, s7
	s_cbranch_execz .LBB991_410
; %bb.409:
	s_add_i32 s14, s30, 32
	s_mov_b32 s15, 0
	v_dual_mov_b32 v38, 2 :: v_dual_add_nc_u32 v37, v62, v33
	s_lshl_b64 s[14:15], s[14:15], 3
	v_mov_b32_e32 v34, 0
	v_add_nc_u32_e64 v39, 0x8400, 0
	s_add_u32 s14, s22, s14
	s_addc_u32 s15, s23, s15
	global_store_b64 v34, v[37:38], s[14:15]
	ds_store_2addr_b32 v39, v33, v62 offset1:2
.LBB991_410:
	s_or_b32 exec_lo, exec_lo, s13
	s_delay_alu instid0(SALU_CYCLE_1)
	s_and_b32 exec_lo, exec_lo, s2
	s_cbranch_execz .LBB991_412
; %bb.411:
	v_mov_b32_e32 v33, 0
	ds_store_b32 v33, v62 offset:60
.LBB991_412:
	s_or_b32 exec_lo, exec_lo, s12
	v_mov_b32_e32 v33, 0
	s_waitcnt lgkmcnt(0)
	s_waitcnt_vscnt null, 0x0
	s_barrier
	buffer_gl0_inv
	v_cndmask_b32_e64 v34, v45, v43, s7
	ds_load_b32 v33, v33 offset:60
	s_waitcnt lgkmcnt(0)
	s_barrier
	buffer_gl0_inv
	v_cndmask_b32_e64 v34, v34, 0, s2
	s_delay_alu instid0(VALU_DEP_1) | instskip(SKIP_1) | instid1(VALU_DEP_2)
	v_add_nc_u32_e32 v53, v33, v34
	v_add_nc_u32_e64 v33, 0x8400, 0
	v_add_nc_u32_e32 v51, v53, v44
	ds_load_2addr_b32 v[33:34], v33 offset1:2
	v_add_nc_u32_e32 v49, v51, v46
	s_delay_alu instid0(VALU_DEP_1) | instskip(NEXT) | instid1(VALU_DEP_1)
	v_add_nc_u32_e32 v47, v49, v48
	v_add_nc_u32_e32 v45, v47, v50
	s_delay_alu instid0(VALU_DEP_1) | instskip(SKIP_2) | instid1(VALU_DEP_2)
	v_add_nc_u32_e32 v43, v45, v52
	s_waitcnt lgkmcnt(0)
	v_readfirstlane_b32 s12, v34
	v_add_nc_u32_e32 v41, v43, v54
	s_delay_alu instid0(VALU_DEP_1)
	v_add_nc_u32_e32 v39, v41, v57
	v_lshrrev_b64 v[37:38], 24, v[35:36]
	s_branch .LBB991_423
.LBB991_413:
                                        ; implicit-def: $vgpr39
                                        ; implicit-def: $vgpr41
                                        ; implicit-def: $vgpr43
                                        ; implicit-def: $vgpr45
                                        ; implicit-def: $vgpr47
                                        ; implicit-def: $vgpr49
                                        ; implicit-def: $vgpr51
                                        ; implicit-def: $vgpr53
                                        ; implicit-def: $sgpr12
                                        ; implicit-def: $vgpr33
	v_lshrrev_b64 v[37:38], 24, v[35:36]
	s_and_b32 vcc_lo, exec_lo, s7
	s_cbranch_vccz .LBB991_423
; %bb.414:
	v_mov_b32_dpp v33, v60 row_shr:1 row_mask:0xf bank_mask:0xf
	s_delay_alu instid0(VALU_DEP_1) | instskip(NEXT) | instid1(VALU_DEP_1)
	v_cndmask_b32_e64 v33, v33, 0, s3
	v_add_nc_u32_e32 v33, v33, v60
	s_delay_alu instid0(VALU_DEP_1) | instskip(NEXT) | instid1(VALU_DEP_1)
	v_mov_b32_dpp v34, v33 row_shr:2 row_mask:0xf bank_mask:0xf
	v_cndmask_b32_e64 v34, 0, v34, s0
	s_delay_alu instid0(VALU_DEP_1) | instskip(NEXT) | instid1(VALU_DEP_1)
	v_add_nc_u32_e32 v33, v33, v34
	v_mov_b32_dpp v34, v33 row_shr:4 row_mask:0xf bank_mask:0xf
	s_delay_alu instid0(VALU_DEP_1) | instskip(NEXT) | instid1(VALU_DEP_1)
	v_cndmask_b32_e64 v34, 0, v34, s4
	v_add_nc_u32_e32 v33, v33, v34
	s_delay_alu instid0(VALU_DEP_1) | instskip(NEXT) | instid1(VALU_DEP_1)
	v_mov_b32_dpp v34, v33 row_shr:8 row_mask:0xf bank_mask:0xf
	v_cndmask_b32_e64 v34, 0, v34, s1
	s_delay_alu instid0(VALU_DEP_1) | instskip(SKIP_3) | instid1(VALU_DEP_1)
	v_add_nc_u32_e32 v33, v33, v34
	ds_swizzle_b32 v34, v33 offset:swizzle(BROADCAST,32,15)
	s_waitcnt lgkmcnt(0)
	v_cndmask_b32_e64 v34, v34, 0, s6
	v_add_nc_u32_e32 v33, v33, v34
	s_and_saveexec_b32 s6, s5
	s_cbranch_execz .LBB991_416
; %bb.415:
	v_lshlrev_b32_e32 v34, 2, v59
	ds_store_b32 v34, v33
.LBB991_416:
	s_or_b32 exec_lo, exec_lo, s6
	s_delay_alu instid0(SALU_CYCLE_1)
	s_mov_b32 s5, exec_lo
	s_waitcnt lgkmcnt(0)
	s_barrier
	buffer_gl0_inv
	v_cmpx_gt_u32_e32 16, v0
	s_cbranch_execz .LBB991_418
; %bb.417:
	v_lshlrev_b32_e32 v34, 2, v0
	ds_load_b32 v38, v34
	s_waitcnt lgkmcnt(0)
	v_mov_b32_dpp v39, v38 row_shr:1 row_mask:0xf bank_mask:0xf
	s_delay_alu instid0(VALU_DEP_1) | instskip(NEXT) | instid1(VALU_DEP_1)
	v_cndmask_b32_e64 v39, v39, 0, s3
	v_add_nc_u32_e32 v38, v39, v38
	s_delay_alu instid0(VALU_DEP_1) | instskip(NEXT) | instid1(VALU_DEP_1)
	v_mov_b32_dpp v39, v38 row_shr:2 row_mask:0xf bank_mask:0xf
	v_cndmask_b32_e64 v39, 0, v39, s0
	s_delay_alu instid0(VALU_DEP_1) | instskip(NEXT) | instid1(VALU_DEP_1)
	v_add_nc_u32_e32 v38, v38, v39
	v_mov_b32_dpp v39, v38 row_shr:4 row_mask:0xf bank_mask:0xf
	s_delay_alu instid0(VALU_DEP_1) | instskip(NEXT) | instid1(VALU_DEP_1)
	v_cndmask_b32_e64 v39, 0, v39, s4
	v_add_nc_u32_e32 v38, v38, v39
	s_delay_alu instid0(VALU_DEP_1) | instskip(NEXT) | instid1(VALU_DEP_1)
	v_mov_b32_dpp v39, v38 row_shr:8 row_mask:0xf bank_mask:0xf
	v_cndmask_b32_e64 v39, 0, v39, s1
	s_delay_alu instid0(VALU_DEP_1)
	v_add_nc_u32_e32 v38, v38, v39
	ds_store_b32 v34, v38
.LBB991_418:
	s_or_b32 exec_lo, exec_lo, s5
	v_mov_b32_e32 v34, 0
	v_mov_b32_e32 v38, 0
	s_mov_b32 s0, exec_lo
	s_waitcnt lgkmcnt(0)
	s_barrier
	buffer_gl0_inv
	v_cmpx_lt_u32_e32 31, v0
	s_cbranch_execz .LBB991_420
; %bb.419:
	v_lshl_add_u32 v38, v59, 2, -4
	ds_load_b32 v38, v38
.LBB991_420:
	s_or_b32 exec_lo, exec_lo, s0
	v_add_nc_u32_e32 v39, -1, v58
	s_waitcnt lgkmcnt(0)
	v_add_nc_u32_e32 v33, v38, v33
	s_mov_b32 s12, 0
	s_delay_alu instid0(VALU_DEP_2) | instskip(SKIP_1) | instid1(VALU_DEP_1)
	v_cmp_gt_i32_e32 vcc_lo, 0, v39
	v_cndmask_b32_e32 v39, v39, v58, vcc_lo
	v_lshlrev_b32_e32 v39, 2, v39
	ds_bpermute_b32 v39, v39, v33
	ds_load_b32 v33, v34 offset:60
	s_and_saveexec_b32 s0, s2
	s_cbranch_execz .LBB991_422
; %bb.421:
	v_mov_b32_e32 v40, 0
	v_mov_b32_e32 v34, 2
	s_waitcnt lgkmcnt(0)
	global_store_b64 v40, v[33:34], s[22:23] offset:256
.LBB991_422:
	s_or_b32 exec_lo, exec_lo, s0
	v_cmp_eq_u32_e32 vcc_lo, 0, v58
	s_waitcnt lgkmcnt(0)
	s_waitcnt_vscnt null, 0x0
	s_barrier
	buffer_gl0_inv
	v_cndmask_b32_e32 v34, v39, v38, vcc_lo
	s_delay_alu instid0(VALU_DEP_1) | instskip(NEXT) | instid1(VALU_DEP_1)
	v_cndmask_b32_e64 v53, v34, 0, s2
	v_add_nc_u32_e32 v51, v53, v44
	s_delay_alu instid0(VALU_DEP_1) | instskip(NEXT) | instid1(VALU_DEP_1)
	v_add_nc_u32_e32 v49, v51, v46
	v_add_nc_u32_e32 v47, v49, v48
	s_delay_alu instid0(VALU_DEP_1) | instskip(NEXT) | instid1(VALU_DEP_1)
	v_add_nc_u32_e32 v45, v47, v50
	;; [unrolled: 3-line block ×3, first 2 shown]
	v_add_nc_u32_e32 v39, v41, v57
.LBB991_423:
	v_add_nc_u32_e32 v59, s12, v33
	v_cmp_gt_u32_e64 s0, 0x201, v33
	v_lshrrev_b32_e32 v58, 8, v35
	v_lshrrev_b32_e32 v57, 16, v35
	;; [unrolled: 1-line block ×4, first 2 shown]
	v_cmp_lt_u32_e64 s1, v53, v59
	s_and_b32 vcc_lo, exec_lo, s0
	s_mov_b32 s3, -1
	s_cbranch_vccz .LBB991_449
; %bb.424:
	s_delay_alu instid0(VALU_DEP_1) | instskip(NEXT) | instid1(SALU_CYCLE_1)
	s_or_b32 s3, s29, s1
	s_and_saveexec_b32 s1, s3
	s_cbranch_execz .LBB991_427
; %bb.425:
	v_and_b32_e32 v40, 1, v35
	s_delay_alu instid0(VALU_DEP_1)
	v_cmp_eq_u32_e32 vcc_lo, 1, v40
	s_and_b32 exec_lo, exec_lo, vcc_lo
	s_cbranch_execz .LBB991_427
; %bb.426:
	v_mov_b32_e32 v54, 0
	s_lshl_b64 s[4:5], s[10:11], 3
	s_delay_alu instid0(SALU_CYCLE_1) | instskip(SKIP_1) | instid1(VALU_DEP_1)
	s_add_u32 s3, s16, s4
	s_addc_u32 s4, s17, s5
	v_lshlrev_b64 v[60:61], 3, v[53:54]
	s_delay_alu instid0(VALU_DEP_1) | instskip(NEXT) | instid1(VALU_DEP_2)
	v_add_co_u32 v60, vcc_lo, s3, v60
	v_add_co_ci_u32_e32 v61, vcc_lo, s4, v61, vcc_lo
	global_store_b64 v[60:61], v[29:30], off
.LBB991_427:
	s_or_b32 exec_lo, exec_lo, s1
	v_cmp_lt_u32_e32 vcc_lo, v51, v59
	s_or_b32 s3, s29, vcc_lo
	s_delay_alu instid0(SALU_CYCLE_1)
	s_and_saveexec_b32 s1, s3
	s_cbranch_execz .LBB991_430
; %bb.428:
	v_and_b32_e32 v40, 1, v58
	s_delay_alu instid0(VALU_DEP_1)
	v_cmp_eq_u32_e32 vcc_lo, 1, v40
	s_and_b32 exec_lo, exec_lo, vcc_lo
	s_cbranch_execz .LBB991_430
; %bb.429:
	v_mov_b32_e32 v52, 0
	s_lshl_b64 s[4:5], s[10:11], 3
	s_delay_alu instid0(SALU_CYCLE_1) | instskip(SKIP_1) | instid1(VALU_DEP_1)
	s_add_u32 s3, s16, s4
	s_addc_u32 s4, s17, s5
	v_lshlrev_b64 v[60:61], 3, v[51:52]
	s_delay_alu instid0(VALU_DEP_1) | instskip(NEXT) | instid1(VALU_DEP_2)
	v_add_co_u32 v60, vcc_lo, s3, v60
	v_add_co_ci_u32_e32 v61, vcc_lo, s4, v61, vcc_lo
	global_store_b64 v[60:61], v[31:32], off
.LBB991_430:
	s_or_b32 exec_lo, exec_lo, s1
	v_cmp_lt_u32_e32 vcc_lo, v49, v59
	s_or_b32 s3, s29, vcc_lo
	s_delay_alu instid0(SALU_CYCLE_1)
	;; [unrolled: 24-line block ×7, first 2 shown]
	s_and_saveexec_b32 s1, s3
	s_cbranch_execz .LBB991_448
; %bb.446:
	v_and_b32_e32 v40, 1, v56
	s_delay_alu instid0(VALU_DEP_1)
	v_cmp_eq_u32_e32 vcc_lo, 1, v40
	s_and_b32 exec_lo, exec_lo, vcc_lo
	s_cbranch_execz .LBB991_448
; %bb.447:
	v_mov_b32_e32 v40, 0
	s_lshl_b64 s[4:5], s[10:11], 3
	s_delay_alu instid0(SALU_CYCLE_1) | instskip(SKIP_1) | instid1(VALU_DEP_1)
	s_add_u32 s3, s16, s4
	s_addc_u32 s4, s17, s5
	v_lshlrev_b64 v[60:61], 3, v[39:40]
	s_delay_alu instid0(VALU_DEP_1) | instskip(NEXT) | instid1(VALU_DEP_2)
	v_add_co_u32 v60, vcc_lo, s3, v60
	v_add_co_ci_u32_e32 v61, vcc_lo, s4, v61, vcc_lo
	global_store_b64 v[60:61], v[19:20], off
.LBB991_448:
	s_or_b32 exec_lo, exec_lo, s1
	s_mov_b32 s3, 0
.LBB991_449:
	v_and_b32_e32 v35, 1, v35
	s_and_b32 vcc_lo, exec_lo, s3
	s_delay_alu instid0(VALU_DEP_1)
	v_cmp_eq_u32_e64 s1, 1, v35
	s_cbranch_vccz .LBB991_470
; %bb.450:
	s_delay_alu instid0(VALU_DEP_1)
	s_and_saveexec_b32 s3, s1
	s_cbranch_execz .LBB991_452
; %bb.451:
	v_subrev_nc_u32_e32 v40, s12, v53
	s_delay_alu instid0(VALU_DEP_1)
	v_lshlrev_b32_e32 v40, 3, v40
	ds_store_b64 v40, v[29:30]
.LBB991_452:
	s_or_b32 exec_lo, exec_lo, s3
	v_and_b32_e32 v29, 1, v58
	s_mov_b32 s1, exec_lo
	s_delay_alu instid0(VALU_DEP_1)
	v_cmpx_eq_u32_e32 1, v29
	s_cbranch_execz .LBB991_454
; %bb.453:
	v_subrev_nc_u32_e32 v29, s12, v51
	s_delay_alu instid0(VALU_DEP_1)
	v_lshlrev_b32_e32 v29, 3, v29
	ds_store_b64 v29, v[31:32]
.LBB991_454:
	s_or_b32 exec_lo, exec_lo, s1
	v_and_b32_e32 v29, 1, v57
	s_mov_b32 s1, exec_lo
	s_delay_alu instid0(VALU_DEP_1)
	v_cmpx_eq_u32_e32 1, v29
	;; [unrolled: 12-line block ×7, first 2 shown]
	s_cbranch_execz .LBB991_466
; %bb.465:
	v_subrev_nc_u32_e32 v17, s12, v39
	s_delay_alu instid0(VALU_DEP_1)
	v_lshlrev_b32_e32 v17, 3, v17
	ds_store_b64 v17, v[19:20]
.LBB991_466:
	s_or_b32 exec_lo, exec_lo, s1
	s_delay_alu instid0(SALU_CYCLE_1)
	s_mov_b32 s3, exec_lo
	s_waitcnt lgkmcnt(0)
	s_waitcnt_vscnt null, 0x0
	s_barrier
	buffer_gl0_inv
	v_cmpx_lt_u32_e64 v0, v33
	s_cbranch_execz .LBB991_469
; %bb.467:
	s_mov_b32 s13, 0
	s_lshl_b64 s[4:5], s[10:11], 3
	s_lshl_b64 s[6:7], s[12:13], 3
	v_dual_mov_b32 v19, v55 :: v_dual_mov_b32 v20, v0
	s_add_u32 s1, s4, s6
	s_addc_u32 s4, s5, s7
	s_add_u32 s1, s16, s1
	s_addc_u32 s4, s17, s4
	v_add_co_u32 v17, s1, s1, v55
	s_delay_alu instid0(VALU_DEP_1)
	v_add_co_ci_u32_e64 v18, null, s4, 0, s1
	.p2align	6
.LBB991_468:                            ; =>This Inner Loop Header: Depth=1
	ds_load_b64 v[21:22], v19
	v_add_nc_u32_e32 v20, 0x200, v20
	v_add_nc_u32_e32 v19, 0x1000, v19
	s_delay_alu instid0(VALU_DEP_2) | instskip(SKIP_4) | instid1(VALU_DEP_1)
	v_cmp_ge_u32_e32 vcc_lo, v20, v33
	s_or_b32 s13, vcc_lo, s13
	s_waitcnt lgkmcnt(0)
	global_store_b64 v[17:18], v[21:22], off
	v_add_co_u32 v17, s1, 0x1000, v17
	v_add_co_ci_u32_e64 v18, s1, 0, v18, s1
	s_and_not1_b32 exec_lo, exec_lo, s13
	s_cbranch_execnz .LBB991_468
.LBB991_469:
	s_or_b32 exec_lo, exec_lo, s3
.LBB991_470:
	s_delay_alu instid0(SALU_CYCLE_1)
	s_and_b32 vcc_lo, exec_lo, s0
	s_mov_b32 s0, -1
	s_waitcnt_vscnt null, 0x0
	s_barrier
	buffer_gl0_inv
	s_cbranch_vccz .LBB991_498
; %bb.471:
	v_cmp_lt_u32_e32 vcc_lo, v53, v59
	s_or_b32 s1, s29, vcc_lo
	s_delay_alu instid0(SALU_CYCLE_1)
	s_and_saveexec_b32 s0, s1
	s_cbranch_execz .LBB991_474
; %bb.472:
	v_cmp_eq_u32_e32 vcc_lo, 1, v35
	s_and_b32 exec_lo, exec_lo, vcc_lo
	s_cbranch_execz .LBB991_474
; %bb.473:
	v_mov_b32_e32 v54, 0
	s_lshl_b64 s[4:5], s[10:11], 3
	s_delay_alu instid0(SALU_CYCLE_1) | instskip(SKIP_1) | instid1(VALU_DEP_1)
	s_add_u32 s1, s18, s4
	s_addc_u32 s3, s19, s5
	v_lshlrev_b64 v[17:18], 3, v[53:54]
	s_delay_alu instid0(VALU_DEP_1) | instskip(NEXT) | instid1(VALU_DEP_2)
	v_add_co_u32 v17, vcc_lo, s1, v17
	v_add_co_ci_u32_e32 v18, vcc_lo, s3, v18, vcc_lo
	global_store_b64 v[17:18], v[13:14], off
.LBB991_474:
	s_or_b32 exec_lo, exec_lo, s0
	v_cmp_lt_u32_e32 vcc_lo, v51, v59
	s_or_b32 s1, s29, vcc_lo
	s_delay_alu instid0(SALU_CYCLE_1)
	s_and_saveexec_b32 s0, s1
	s_cbranch_execz .LBB991_477
; %bb.475:
	v_and_b32_e32 v17, 1, v58
	s_delay_alu instid0(VALU_DEP_1)
	v_cmp_eq_u32_e32 vcc_lo, 1, v17
	s_and_b32 exec_lo, exec_lo, vcc_lo
	s_cbranch_execz .LBB991_477
; %bb.476:
	v_mov_b32_e32 v52, 0
	s_lshl_b64 s[4:5], s[10:11], 3
	s_delay_alu instid0(SALU_CYCLE_1) | instskip(SKIP_1) | instid1(VALU_DEP_1)
	s_add_u32 s1, s18, s4
	s_addc_u32 s3, s19, s5
	v_lshlrev_b64 v[17:18], 3, v[51:52]
	s_delay_alu instid0(VALU_DEP_1) | instskip(NEXT) | instid1(VALU_DEP_2)
	v_add_co_u32 v17, vcc_lo, s1, v17
	v_add_co_ci_u32_e32 v18, vcc_lo, s3, v18, vcc_lo
	global_store_b64 v[17:18], v[15:16], off
.LBB991_477:
	s_or_b32 exec_lo, exec_lo, s0
	v_cmp_lt_u32_e32 vcc_lo, v49, v59
	s_or_b32 s1, s29, vcc_lo
	s_delay_alu instid0(SALU_CYCLE_1)
	s_and_saveexec_b32 s0, s1
	s_cbranch_execz .LBB991_480
; %bb.478:
	v_and_b32_e32 v17, 1, v57
	s_delay_alu instid0(VALU_DEP_1)
	v_cmp_eq_u32_e32 vcc_lo, 1, v17
	s_and_b32 exec_lo, exec_lo, vcc_lo
	s_cbranch_execz .LBB991_480
; %bb.479:
	v_mov_b32_e32 v50, 0
	s_lshl_b64 s[4:5], s[10:11], 3
	s_delay_alu instid0(SALU_CYCLE_1) | instskip(SKIP_1) | instid1(VALU_DEP_1)
	s_add_u32 s1, s18, s4
	s_addc_u32 s3, s19, s5
	v_lshlrev_b64 v[17:18], 3, v[49:50]
	s_delay_alu instid0(VALU_DEP_1) | instskip(NEXT) | instid1(VALU_DEP_2)
	v_add_co_u32 v17, vcc_lo, s1, v17
	v_add_co_ci_u32_e32 v18, vcc_lo, s3, v18, vcc_lo
	global_store_b64 v[17:18], v[9:10], off
.LBB991_480:
	;; [unrolled: 24-line block ×7, first 2 shown]
	s_or_b32 exec_lo, exec_lo, s0
.LBB991_496:
	s_and_b32 s0, s2, s28
	s_delay_alu instid0(SALU_CYCLE_1)
	s_and_saveexec_b32 s1, s0
	s_cbranch_execz .LBB991_519
.LBB991_497:
	v_add_co_u32 v0, s0, s10, v33
	s_delay_alu instid0(VALU_DEP_1) | instskip(SKIP_1) | instid1(VALU_DEP_3)
	v_add_co_ci_u32_e64 v1, null, s11, 0, s0
	v_mov_b32_e32 v2, 0
	v_add_co_u32 v0, vcc_lo, v0, s12
	s_delay_alu instid0(VALU_DEP_3)
	v_add_co_ci_u32_e32 v1, vcc_lo, 0, v1, vcc_lo
	global_store_b64 v2, v[0:1], s[8:9]
	s_nop 0
	s_sendmsg sendmsg(MSG_DEALLOC_VGPRS)
	s_endpgm
.LBB991_498:
	s_and_b32 vcc_lo, exec_lo, s0
	s_cbranch_vccz .LBB991_496
; %bb.499:
	s_mov_b32 s0, exec_lo
	v_cmpx_eq_u32_e32 1, v35
	s_cbranch_execz .LBB991_501
; %bb.500:
	v_subrev_nc_u32_e32 v17, s12, v53
	s_delay_alu instid0(VALU_DEP_1)
	v_lshlrev_b32_e32 v17, 3, v17
	ds_store_b64 v17, v[13:14]
.LBB991_501:
	s_or_b32 exec_lo, exec_lo, s0
	v_and_b32_e32 v13, 1, v58
	s_mov_b32 s0, exec_lo
	s_delay_alu instid0(VALU_DEP_1)
	v_cmpx_eq_u32_e32 1, v13
	s_cbranch_execz .LBB991_503
; %bb.502:
	v_subrev_nc_u32_e32 v13, s12, v51
	s_delay_alu instid0(VALU_DEP_1)
	v_lshlrev_b32_e32 v13, 3, v13
	ds_store_b64 v13, v[15:16]
.LBB991_503:
	s_or_b32 exec_lo, exec_lo, s0
	v_and_b32_e32 v13, 1, v57
	s_mov_b32 s0, exec_lo
	s_delay_alu instid0(VALU_DEP_1)
	;; [unrolled: 12-line block ×7, first 2 shown]
	v_cmpx_eq_u32_e32 1, v1
	s_cbranch_execz .LBB991_515
; %bb.514:
	v_subrev_nc_u32_e32 v1, s12, v39
	s_delay_alu instid0(VALU_DEP_1)
	v_lshlrev_b32_e32 v1, 3, v1
	ds_store_b64 v1, v[3:4]
.LBB991_515:
	s_or_b32 exec_lo, exec_lo, s0
	s_delay_alu instid0(SALU_CYCLE_1)
	s_mov_b32 s1, exec_lo
	s_waitcnt lgkmcnt(0)
	s_waitcnt_vscnt null, 0x0
	s_barrier
	buffer_gl0_inv
	v_cmpx_lt_u32_e64 v0, v33
	s_cbranch_execz .LBB991_518
; %bb.516:
	s_mov_b32 s13, 0
	s_lshl_b64 s[4:5], s[10:11], 3
	s_lshl_b64 s[6:7], s[12:13], 3
	s_delay_alu instid0(SALU_CYCLE_1) | instskip(SKIP_4) | instid1(VALU_DEP_1)
	s_add_u32 s0, s4, s6
	s_addc_u32 s3, s5, s7
	s_add_u32 s0, s18, s0
	s_addc_u32 s3, s19, s3
	v_add_co_u32 v1, s0, s0, v55
	v_add_co_ci_u32_e64 v2, null, s3, 0, s0
	.p2align	6
.LBB991_517:                            ; =>This Inner Loop Header: Depth=1
	ds_load_b64 v[3:4], v55
	v_add_nc_u32_e32 v0, 0x200, v0
	v_add_nc_u32_e32 v55, 0x1000, v55
	s_delay_alu instid0(VALU_DEP_2) | instskip(SKIP_4) | instid1(VALU_DEP_1)
	v_cmp_ge_u32_e32 vcc_lo, v0, v33
	s_or_b32 s13, vcc_lo, s13
	s_waitcnt lgkmcnt(0)
	global_store_b64 v[1:2], v[3:4], off
	v_add_co_u32 v1, s0, 0x1000, v1
	v_add_co_ci_u32_e64 v2, s0, 0, v2, s0
	s_and_not1_b32 exec_lo, exec_lo, s13
	s_cbranch_execnz .LBB991_517
.LBB991_518:
	s_or_b32 exec_lo, exec_lo, s1
	s_and_b32 s0, s2, s28
	s_delay_alu instid0(SALU_CYCLE_1)
	s_and_saveexec_b32 s1, s0
	s_cbranch_execnz .LBB991_497
.LBB991_519:
	s_nop 0
	s_sendmsg sendmsg(MSG_DEALLOC_VGPRS)
	s_endpgm
	.section	.rodata,"a",@progbits
	.p2align	6, 0x0
	.amdhsa_kernel _ZN7rocprim17ROCPRIM_400000_NS6detail17trampoline_kernelINS0_14default_configENS1_25partition_config_selectorILNS1_17partition_subalgoE9EllbEEZZNS1_14partition_implILS5_9ELb0ES3_jPlS8_PNS0_10empty_typeENS0_5tupleIJS8_S9_EEENSB_IJS8_SA_EEENS0_18inequality_wrapperIZN2at6native12_GLOBAL__N_124unique_dim_cuda_templateIfEESt5tupleIJNSF_6TensorESK_SK_EERKSK_lbbbEUlllE0_EEPmJS9_EEE10hipError_tPvRmT3_T4_T5_T6_T7_T9_mT8_P12ihipStream_tbDpT10_ENKUlT_T0_E_clISt17integral_constantIbLb0EES19_IbLb1EEEEDaS15_S16_EUlS15_E_NS1_11comp_targetILNS1_3genE9ELNS1_11target_archE1100ELNS1_3gpuE3ELNS1_3repE0EEENS1_30default_config_static_selectorELNS0_4arch9wavefront6targetE0EEEvT1_
		.amdhsa_group_segment_fixed_size 33804
		.amdhsa_private_segment_fixed_size 0
		.amdhsa_kernarg_size 136
		.amdhsa_user_sgpr_count 15
		.amdhsa_user_sgpr_dispatch_ptr 0
		.amdhsa_user_sgpr_queue_ptr 0
		.amdhsa_user_sgpr_kernarg_segment_ptr 1
		.amdhsa_user_sgpr_dispatch_id 0
		.amdhsa_user_sgpr_private_segment_size 0
		.amdhsa_wavefront_size32 1
		.amdhsa_uses_dynamic_stack 0
		.amdhsa_enable_private_segment 0
		.amdhsa_system_sgpr_workgroup_id_x 1
		.amdhsa_system_sgpr_workgroup_id_y 0
		.amdhsa_system_sgpr_workgroup_id_z 0
		.amdhsa_system_sgpr_workgroup_info 0
		.amdhsa_system_vgpr_workitem_id 0
		.amdhsa_next_free_vgpr 68
		.amdhsa_next_free_sgpr 40
		.amdhsa_reserve_vcc 1
		.amdhsa_float_round_mode_32 0
		.amdhsa_float_round_mode_16_64 0
		.amdhsa_float_denorm_mode_32 3
		.amdhsa_float_denorm_mode_16_64 3
		.amdhsa_dx10_clamp 1
		.amdhsa_ieee_mode 1
		.amdhsa_fp16_overflow 0
		.amdhsa_workgroup_processor_mode 1
		.amdhsa_memory_ordered 1
		.amdhsa_forward_progress 0
		.amdhsa_shared_vgpr_count 0
		.amdhsa_exception_fp_ieee_invalid_op 0
		.amdhsa_exception_fp_denorm_src 0
		.amdhsa_exception_fp_ieee_div_zero 0
		.amdhsa_exception_fp_ieee_overflow 0
		.amdhsa_exception_fp_ieee_underflow 0
		.amdhsa_exception_fp_ieee_inexact 0
		.amdhsa_exception_int_div_zero 0
	.end_amdhsa_kernel
	.section	.text._ZN7rocprim17ROCPRIM_400000_NS6detail17trampoline_kernelINS0_14default_configENS1_25partition_config_selectorILNS1_17partition_subalgoE9EllbEEZZNS1_14partition_implILS5_9ELb0ES3_jPlS8_PNS0_10empty_typeENS0_5tupleIJS8_S9_EEENSB_IJS8_SA_EEENS0_18inequality_wrapperIZN2at6native12_GLOBAL__N_124unique_dim_cuda_templateIfEESt5tupleIJNSF_6TensorESK_SK_EERKSK_lbbbEUlllE0_EEPmJS9_EEE10hipError_tPvRmT3_T4_T5_T6_T7_T9_mT8_P12ihipStream_tbDpT10_ENKUlT_T0_E_clISt17integral_constantIbLb0EES19_IbLb1EEEEDaS15_S16_EUlS15_E_NS1_11comp_targetILNS1_3genE9ELNS1_11target_archE1100ELNS1_3gpuE3ELNS1_3repE0EEENS1_30default_config_static_selectorELNS0_4arch9wavefront6targetE0EEEvT1_,"axG",@progbits,_ZN7rocprim17ROCPRIM_400000_NS6detail17trampoline_kernelINS0_14default_configENS1_25partition_config_selectorILNS1_17partition_subalgoE9EllbEEZZNS1_14partition_implILS5_9ELb0ES3_jPlS8_PNS0_10empty_typeENS0_5tupleIJS8_S9_EEENSB_IJS8_SA_EEENS0_18inequality_wrapperIZN2at6native12_GLOBAL__N_124unique_dim_cuda_templateIfEESt5tupleIJNSF_6TensorESK_SK_EERKSK_lbbbEUlllE0_EEPmJS9_EEE10hipError_tPvRmT3_T4_T5_T6_T7_T9_mT8_P12ihipStream_tbDpT10_ENKUlT_T0_E_clISt17integral_constantIbLb0EES19_IbLb1EEEEDaS15_S16_EUlS15_E_NS1_11comp_targetILNS1_3genE9ELNS1_11target_archE1100ELNS1_3gpuE3ELNS1_3repE0EEENS1_30default_config_static_selectorELNS0_4arch9wavefront6targetE0EEEvT1_,comdat
.Lfunc_end991:
	.size	_ZN7rocprim17ROCPRIM_400000_NS6detail17trampoline_kernelINS0_14default_configENS1_25partition_config_selectorILNS1_17partition_subalgoE9EllbEEZZNS1_14partition_implILS5_9ELb0ES3_jPlS8_PNS0_10empty_typeENS0_5tupleIJS8_S9_EEENSB_IJS8_SA_EEENS0_18inequality_wrapperIZN2at6native12_GLOBAL__N_124unique_dim_cuda_templateIfEESt5tupleIJNSF_6TensorESK_SK_EERKSK_lbbbEUlllE0_EEPmJS9_EEE10hipError_tPvRmT3_T4_T5_T6_T7_T9_mT8_P12ihipStream_tbDpT10_ENKUlT_T0_E_clISt17integral_constantIbLb0EES19_IbLb1EEEEDaS15_S16_EUlS15_E_NS1_11comp_targetILNS1_3genE9ELNS1_11target_archE1100ELNS1_3gpuE3ELNS1_3repE0EEENS1_30default_config_static_selectorELNS0_4arch9wavefront6targetE0EEEvT1_, .Lfunc_end991-_ZN7rocprim17ROCPRIM_400000_NS6detail17trampoline_kernelINS0_14default_configENS1_25partition_config_selectorILNS1_17partition_subalgoE9EllbEEZZNS1_14partition_implILS5_9ELb0ES3_jPlS8_PNS0_10empty_typeENS0_5tupleIJS8_S9_EEENSB_IJS8_SA_EEENS0_18inequality_wrapperIZN2at6native12_GLOBAL__N_124unique_dim_cuda_templateIfEESt5tupleIJNSF_6TensorESK_SK_EERKSK_lbbbEUlllE0_EEPmJS9_EEE10hipError_tPvRmT3_T4_T5_T6_T7_T9_mT8_P12ihipStream_tbDpT10_ENKUlT_T0_E_clISt17integral_constantIbLb0EES19_IbLb1EEEEDaS15_S16_EUlS15_E_NS1_11comp_targetILNS1_3genE9ELNS1_11target_archE1100ELNS1_3gpuE3ELNS1_3repE0EEENS1_30default_config_static_selectorELNS0_4arch9wavefront6targetE0EEEvT1_
                                        ; -- End function
	.section	.AMDGPU.csdata,"",@progbits
; Kernel info:
; codeLenInByte = 20504
; NumSgprs: 42
; NumVgprs: 68
; ScratchSize: 0
; MemoryBound: 0
; FloatMode: 240
; IeeeMode: 1
; LDSByteSize: 33804 bytes/workgroup (compile time only)
; SGPRBlocks: 5
; VGPRBlocks: 8
; NumSGPRsForWavesPerEU: 42
; NumVGPRsForWavesPerEU: 68
; Occupancy: 12
; WaveLimiterHint : 1
; COMPUTE_PGM_RSRC2:SCRATCH_EN: 0
; COMPUTE_PGM_RSRC2:USER_SGPR: 15
; COMPUTE_PGM_RSRC2:TRAP_HANDLER: 0
; COMPUTE_PGM_RSRC2:TGID_X_EN: 1
; COMPUTE_PGM_RSRC2:TGID_Y_EN: 0
; COMPUTE_PGM_RSRC2:TGID_Z_EN: 0
; COMPUTE_PGM_RSRC2:TIDIG_COMP_CNT: 0
	.section	.text._ZN7rocprim17ROCPRIM_400000_NS6detail17trampoline_kernelINS0_14default_configENS1_25partition_config_selectorILNS1_17partition_subalgoE9EllbEEZZNS1_14partition_implILS5_9ELb0ES3_jPlS8_PNS0_10empty_typeENS0_5tupleIJS8_S9_EEENSB_IJS8_SA_EEENS0_18inequality_wrapperIZN2at6native12_GLOBAL__N_124unique_dim_cuda_templateIfEESt5tupleIJNSF_6TensorESK_SK_EERKSK_lbbbEUlllE0_EEPmJS9_EEE10hipError_tPvRmT3_T4_T5_T6_T7_T9_mT8_P12ihipStream_tbDpT10_ENKUlT_T0_E_clISt17integral_constantIbLb0EES19_IbLb1EEEEDaS15_S16_EUlS15_E_NS1_11comp_targetILNS1_3genE8ELNS1_11target_archE1030ELNS1_3gpuE2ELNS1_3repE0EEENS1_30default_config_static_selectorELNS0_4arch9wavefront6targetE0EEEvT1_,"axG",@progbits,_ZN7rocprim17ROCPRIM_400000_NS6detail17trampoline_kernelINS0_14default_configENS1_25partition_config_selectorILNS1_17partition_subalgoE9EllbEEZZNS1_14partition_implILS5_9ELb0ES3_jPlS8_PNS0_10empty_typeENS0_5tupleIJS8_S9_EEENSB_IJS8_SA_EEENS0_18inequality_wrapperIZN2at6native12_GLOBAL__N_124unique_dim_cuda_templateIfEESt5tupleIJNSF_6TensorESK_SK_EERKSK_lbbbEUlllE0_EEPmJS9_EEE10hipError_tPvRmT3_T4_T5_T6_T7_T9_mT8_P12ihipStream_tbDpT10_ENKUlT_T0_E_clISt17integral_constantIbLb0EES19_IbLb1EEEEDaS15_S16_EUlS15_E_NS1_11comp_targetILNS1_3genE8ELNS1_11target_archE1030ELNS1_3gpuE2ELNS1_3repE0EEENS1_30default_config_static_selectorELNS0_4arch9wavefront6targetE0EEEvT1_,comdat
	.globl	_ZN7rocprim17ROCPRIM_400000_NS6detail17trampoline_kernelINS0_14default_configENS1_25partition_config_selectorILNS1_17partition_subalgoE9EllbEEZZNS1_14partition_implILS5_9ELb0ES3_jPlS8_PNS0_10empty_typeENS0_5tupleIJS8_S9_EEENSB_IJS8_SA_EEENS0_18inequality_wrapperIZN2at6native12_GLOBAL__N_124unique_dim_cuda_templateIfEESt5tupleIJNSF_6TensorESK_SK_EERKSK_lbbbEUlllE0_EEPmJS9_EEE10hipError_tPvRmT3_T4_T5_T6_T7_T9_mT8_P12ihipStream_tbDpT10_ENKUlT_T0_E_clISt17integral_constantIbLb0EES19_IbLb1EEEEDaS15_S16_EUlS15_E_NS1_11comp_targetILNS1_3genE8ELNS1_11target_archE1030ELNS1_3gpuE2ELNS1_3repE0EEENS1_30default_config_static_selectorELNS0_4arch9wavefront6targetE0EEEvT1_ ; -- Begin function _ZN7rocprim17ROCPRIM_400000_NS6detail17trampoline_kernelINS0_14default_configENS1_25partition_config_selectorILNS1_17partition_subalgoE9EllbEEZZNS1_14partition_implILS5_9ELb0ES3_jPlS8_PNS0_10empty_typeENS0_5tupleIJS8_S9_EEENSB_IJS8_SA_EEENS0_18inequality_wrapperIZN2at6native12_GLOBAL__N_124unique_dim_cuda_templateIfEESt5tupleIJNSF_6TensorESK_SK_EERKSK_lbbbEUlllE0_EEPmJS9_EEE10hipError_tPvRmT3_T4_T5_T6_T7_T9_mT8_P12ihipStream_tbDpT10_ENKUlT_T0_E_clISt17integral_constantIbLb0EES19_IbLb1EEEEDaS15_S16_EUlS15_E_NS1_11comp_targetILNS1_3genE8ELNS1_11target_archE1030ELNS1_3gpuE2ELNS1_3repE0EEENS1_30default_config_static_selectorELNS0_4arch9wavefront6targetE0EEEvT1_
	.p2align	8
	.type	_ZN7rocprim17ROCPRIM_400000_NS6detail17trampoline_kernelINS0_14default_configENS1_25partition_config_selectorILNS1_17partition_subalgoE9EllbEEZZNS1_14partition_implILS5_9ELb0ES3_jPlS8_PNS0_10empty_typeENS0_5tupleIJS8_S9_EEENSB_IJS8_SA_EEENS0_18inequality_wrapperIZN2at6native12_GLOBAL__N_124unique_dim_cuda_templateIfEESt5tupleIJNSF_6TensorESK_SK_EERKSK_lbbbEUlllE0_EEPmJS9_EEE10hipError_tPvRmT3_T4_T5_T6_T7_T9_mT8_P12ihipStream_tbDpT10_ENKUlT_T0_E_clISt17integral_constantIbLb0EES19_IbLb1EEEEDaS15_S16_EUlS15_E_NS1_11comp_targetILNS1_3genE8ELNS1_11target_archE1030ELNS1_3gpuE2ELNS1_3repE0EEENS1_30default_config_static_selectorELNS0_4arch9wavefront6targetE0EEEvT1_,@function
_ZN7rocprim17ROCPRIM_400000_NS6detail17trampoline_kernelINS0_14default_configENS1_25partition_config_selectorILNS1_17partition_subalgoE9EllbEEZZNS1_14partition_implILS5_9ELb0ES3_jPlS8_PNS0_10empty_typeENS0_5tupleIJS8_S9_EEENSB_IJS8_SA_EEENS0_18inequality_wrapperIZN2at6native12_GLOBAL__N_124unique_dim_cuda_templateIfEESt5tupleIJNSF_6TensorESK_SK_EERKSK_lbbbEUlllE0_EEPmJS9_EEE10hipError_tPvRmT3_T4_T5_T6_T7_T9_mT8_P12ihipStream_tbDpT10_ENKUlT_T0_E_clISt17integral_constantIbLb0EES19_IbLb1EEEEDaS15_S16_EUlS15_E_NS1_11comp_targetILNS1_3genE8ELNS1_11target_archE1030ELNS1_3gpuE2ELNS1_3repE0EEENS1_30default_config_static_selectorELNS0_4arch9wavefront6targetE0EEEvT1_: ; @_ZN7rocprim17ROCPRIM_400000_NS6detail17trampoline_kernelINS0_14default_configENS1_25partition_config_selectorILNS1_17partition_subalgoE9EllbEEZZNS1_14partition_implILS5_9ELb0ES3_jPlS8_PNS0_10empty_typeENS0_5tupleIJS8_S9_EEENSB_IJS8_SA_EEENS0_18inequality_wrapperIZN2at6native12_GLOBAL__N_124unique_dim_cuda_templateIfEESt5tupleIJNSF_6TensorESK_SK_EERKSK_lbbbEUlllE0_EEPmJS9_EEE10hipError_tPvRmT3_T4_T5_T6_T7_T9_mT8_P12ihipStream_tbDpT10_ENKUlT_T0_E_clISt17integral_constantIbLb0EES19_IbLb1EEEEDaS15_S16_EUlS15_E_NS1_11comp_targetILNS1_3genE8ELNS1_11target_archE1030ELNS1_3gpuE2ELNS1_3repE0EEENS1_30default_config_static_selectorELNS0_4arch9wavefront6targetE0EEEvT1_
; %bb.0:
	.section	.rodata,"a",@progbits
	.p2align	6, 0x0
	.amdhsa_kernel _ZN7rocprim17ROCPRIM_400000_NS6detail17trampoline_kernelINS0_14default_configENS1_25partition_config_selectorILNS1_17partition_subalgoE9EllbEEZZNS1_14partition_implILS5_9ELb0ES3_jPlS8_PNS0_10empty_typeENS0_5tupleIJS8_S9_EEENSB_IJS8_SA_EEENS0_18inequality_wrapperIZN2at6native12_GLOBAL__N_124unique_dim_cuda_templateIfEESt5tupleIJNSF_6TensorESK_SK_EERKSK_lbbbEUlllE0_EEPmJS9_EEE10hipError_tPvRmT3_T4_T5_T6_T7_T9_mT8_P12ihipStream_tbDpT10_ENKUlT_T0_E_clISt17integral_constantIbLb0EES19_IbLb1EEEEDaS15_S16_EUlS15_E_NS1_11comp_targetILNS1_3genE8ELNS1_11target_archE1030ELNS1_3gpuE2ELNS1_3repE0EEENS1_30default_config_static_selectorELNS0_4arch9wavefront6targetE0EEEvT1_
		.amdhsa_group_segment_fixed_size 0
		.amdhsa_private_segment_fixed_size 0
		.amdhsa_kernarg_size 136
		.amdhsa_user_sgpr_count 15
		.amdhsa_user_sgpr_dispatch_ptr 0
		.amdhsa_user_sgpr_queue_ptr 0
		.amdhsa_user_sgpr_kernarg_segment_ptr 1
		.amdhsa_user_sgpr_dispatch_id 0
		.amdhsa_user_sgpr_private_segment_size 0
		.amdhsa_wavefront_size32 1
		.amdhsa_uses_dynamic_stack 0
		.amdhsa_enable_private_segment 0
		.amdhsa_system_sgpr_workgroup_id_x 1
		.amdhsa_system_sgpr_workgroup_id_y 0
		.amdhsa_system_sgpr_workgroup_id_z 0
		.amdhsa_system_sgpr_workgroup_info 0
		.amdhsa_system_vgpr_workitem_id 0
		.amdhsa_next_free_vgpr 1
		.amdhsa_next_free_sgpr 1
		.amdhsa_reserve_vcc 0
		.amdhsa_float_round_mode_32 0
		.amdhsa_float_round_mode_16_64 0
		.amdhsa_float_denorm_mode_32 3
		.amdhsa_float_denorm_mode_16_64 3
		.amdhsa_dx10_clamp 1
		.amdhsa_ieee_mode 1
		.amdhsa_fp16_overflow 0
		.amdhsa_workgroup_processor_mode 1
		.amdhsa_memory_ordered 1
		.amdhsa_forward_progress 0
		.amdhsa_shared_vgpr_count 0
		.amdhsa_exception_fp_ieee_invalid_op 0
		.amdhsa_exception_fp_denorm_src 0
		.amdhsa_exception_fp_ieee_div_zero 0
		.amdhsa_exception_fp_ieee_overflow 0
		.amdhsa_exception_fp_ieee_underflow 0
		.amdhsa_exception_fp_ieee_inexact 0
		.amdhsa_exception_int_div_zero 0
	.end_amdhsa_kernel
	.section	.text._ZN7rocprim17ROCPRIM_400000_NS6detail17trampoline_kernelINS0_14default_configENS1_25partition_config_selectorILNS1_17partition_subalgoE9EllbEEZZNS1_14partition_implILS5_9ELb0ES3_jPlS8_PNS0_10empty_typeENS0_5tupleIJS8_S9_EEENSB_IJS8_SA_EEENS0_18inequality_wrapperIZN2at6native12_GLOBAL__N_124unique_dim_cuda_templateIfEESt5tupleIJNSF_6TensorESK_SK_EERKSK_lbbbEUlllE0_EEPmJS9_EEE10hipError_tPvRmT3_T4_T5_T6_T7_T9_mT8_P12ihipStream_tbDpT10_ENKUlT_T0_E_clISt17integral_constantIbLb0EES19_IbLb1EEEEDaS15_S16_EUlS15_E_NS1_11comp_targetILNS1_3genE8ELNS1_11target_archE1030ELNS1_3gpuE2ELNS1_3repE0EEENS1_30default_config_static_selectorELNS0_4arch9wavefront6targetE0EEEvT1_,"axG",@progbits,_ZN7rocprim17ROCPRIM_400000_NS6detail17trampoline_kernelINS0_14default_configENS1_25partition_config_selectorILNS1_17partition_subalgoE9EllbEEZZNS1_14partition_implILS5_9ELb0ES3_jPlS8_PNS0_10empty_typeENS0_5tupleIJS8_S9_EEENSB_IJS8_SA_EEENS0_18inequality_wrapperIZN2at6native12_GLOBAL__N_124unique_dim_cuda_templateIfEESt5tupleIJNSF_6TensorESK_SK_EERKSK_lbbbEUlllE0_EEPmJS9_EEE10hipError_tPvRmT3_T4_T5_T6_T7_T9_mT8_P12ihipStream_tbDpT10_ENKUlT_T0_E_clISt17integral_constantIbLb0EES19_IbLb1EEEEDaS15_S16_EUlS15_E_NS1_11comp_targetILNS1_3genE8ELNS1_11target_archE1030ELNS1_3gpuE2ELNS1_3repE0EEENS1_30default_config_static_selectorELNS0_4arch9wavefront6targetE0EEEvT1_,comdat
.Lfunc_end992:
	.size	_ZN7rocprim17ROCPRIM_400000_NS6detail17trampoline_kernelINS0_14default_configENS1_25partition_config_selectorILNS1_17partition_subalgoE9EllbEEZZNS1_14partition_implILS5_9ELb0ES3_jPlS8_PNS0_10empty_typeENS0_5tupleIJS8_S9_EEENSB_IJS8_SA_EEENS0_18inequality_wrapperIZN2at6native12_GLOBAL__N_124unique_dim_cuda_templateIfEESt5tupleIJNSF_6TensorESK_SK_EERKSK_lbbbEUlllE0_EEPmJS9_EEE10hipError_tPvRmT3_T4_T5_T6_T7_T9_mT8_P12ihipStream_tbDpT10_ENKUlT_T0_E_clISt17integral_constantIbLb0EES19_IbLb1EEEEDaS15_S16_EUlS15_E_NS1_11comp_targetILNS1_3genE8ELNS1_11target_archE1030ELNS1_3gpuE2ELNS1_3repE0EEENS1_30default_config_static_selectorELNS0_4arch9wavefront6targetE0EEEvT1_, .Lfunc_end992-_ZN7rocprim17ROCPRIM_400000_NS6detail17trampoline_kernelINS0_14default_configENS1_25partition_config_selectorILNS1_17partition_subalgoE9EllbEEZZNS1_14partition_implILS5_9ELb0ES3_jPlS8_PNS0_10empty_typeENS0_5tupleIJS8_S9_EEENSB_IJS8_SA_EEENS0_18inequality_wrapperIZN2at6native12_GLOBAL__N_124unique_dim_cuda_templateIfEESt5tupleIJNSF_6TensorESK_SK_EERKSK_lbbbEUlllE0_EEPmJS9_EEE10hipError_tPvRmT3_T4_T5_T6_T7_T9_mT8_P12ihipStream_tbDpT10_ENKUlT_T0_E_clISt17integral_constantIbLb0EES19_IbLb1EEEEDaS15_S16_EUlS15_E_NS1_11comp_targetILNS1_3genE8ELNS1_11target_archE1030ELNS1_3gpuE2ELNS1_3repE0EEENS1_30default_config_static_selectorELNS0_4arch9wavefront6targetE0EEEvT1_
                                        ; -- End function
	.section	.AMDGPU.csdata,"",@progbits
; Kernel info:
; codeLenInByte = 0
; NumSgprs: 0
; NumVgprs: 0
; ScratchSize: 0
; MemoryBound: 0
; FloatMode: 240
; IeeeMode: 1
; LDSByteSize: 0 bytes/workgroup (compile time only)
; SGPRBlocks: 0
; VGPRBlocks: 0
; NumSGPRsForWavesPerEU: 1
; NumVGPRsForWavesPerEU: 1
; Occupancy: 16
; WaveLimiterHint : 0
; COMPUTE_PGM_RSRC2:SCRATCH_EN: 0
; COMPUTE_PGM_RSRC2:USER_SGPR: 15
; COMPUTE_PGM_RSRC2:TRAP_HANDLER: 0
; COMPUTE_PGM_RSRC2:TGID_X_EN: 1
; COMPUTE_PGM_RSRC2:TGID_Y_EN: 0
; COMPUTE_PGM_RSRC2:TGID_Z_EN: 0
; COMPUTE_PGM_RSRC2:TIDIG_COMP_CNT: 0
	.section	.text._ZN7rocprim17ROCPRIM_400000_NS6detail17trampoline_kernelINS0_14default_configENS1_37merge_sort_block_sort_config_selectorIlNS0_10empty_typeEEEZNS1_21merge_sort_block_sortIS3_PlS8_PS5_S9_ZN2at6native12_GLOBAL__N_124unique_dim_cuda_templateIbEESt5tupleIJNSA_6TensorESF_SF_EERKSF_lbbbEUlllE_EE10hipError_tT0_T1_T2_T3_mRjT4_P12ihipStream_tbNS1_7vsmem_tEEUlT_E_NS1_11comp_targetILNS1_3genE0ELNS1_11target_archE4294967295ELNS1_3gpuE0ELNS1_3repE0EEENS1_30default_config_static_selectorELNS0_4arch9wavefront6targetE0EEEvSM_,"axG",@progbits,_ZN7rocprim17ROCPRIM_400000_NS6detail17trampoline_kernelINS0_14default_configENS1_37merge_sort_block_sort_config_selectorIlNS0_10empty_typeEEEZNS1_21merge_sort_block_sortIS3_PlS8_PS5_S9_ZN2at6native12_GLOBAL__N_124unique_dim_cuda_templateIbEESt5tupleIJNSA_6TensorESF_SF_EERKSF_lbbbEUlllE_EE10hipError_tT0_T1_T2_T3_mRjT4_P12ihipStream_tbNS1_7vsmem_tEEUlT_E_NS1_11comp_targetILNS1_3genE0ELNS1_11target_archE4294967295ELNS1_3gpuE0ELNS1_3repE0EEENS1_30default_config_static_selectorELNS0_4arch9wavefront6targetE0EEEvSM_,comdat
	.globl	_ZN7rocprim17ROCPRIM_400000_NS6detail17trampoline_kernelINS0_14default_configENS1_37merge_sort_block_sort_config_selectorIlNS0_10empty_typeEEEZNS1_21merge_sort_block_sortIS3_PlS8_PS5_S9_ZN2at6native12_GLOBAL__N_124unique_dim_cuda_templateIbEESt5tupleIJNSA_6TensorESF_SF_EERKSF_lbbbEUlllE_EE10hipError_tT0_T1_T2_T3_mRjT4_P12ihipStream_tbNS1_7vsmem_tEEUlT_E_NS1_11comp_targetILNS1_3genE0ELNS1_11target_archE4294967295ELNS1_3gpuE0ELNS1_3repE0EEENS1_30default_config_static_selectorELNS0_4arch9wavefront6targetE0EEEvSM_ ; -- Begin function _ZN7rocprim17ROCPRIM_400000_NS6detail17trampoline_kernelINS0_14default_configENS1_37merge_sort_block_sort_config_selectorIlNS0_10empty_typeEEEZNS1_21merge_sort_block_sortIS3_PlS8_PS5_S9_ZN2at6native12_GLOBAL__N_124unique_dim_cuda_templateIbEESt5tupleIJNSA_6TensorESF_SF_EERKSF_lbbbEUlllE_EE10hipError_tT0_T1_T2_T3_mRjT4_P12ihipStream_tbNS1_7vsmem_tEEUlT_E_NS1_11comp_targetILNS1_3genE0ELNS1_11target_archE4294967295ELNS1_3gpuE0ELNS1_3repE0EEENS1_30default_config_static_selectorELNS0_4arch9wavefront6targetE0EEEvSM_
	.p2align	8
	.type	_ZN7rocprim17ROCPRIM_400000_NS6detail17trampoline_kernelINS0_14default_configENS1_37merge_sort_block_sort_config_selectorIlNS0_10empty_typeEEEZNS1_21merge_sort_block_sortIS3_PlS8_PS5_S9_ZN2at6native12_GLOBAL__N_124unique_dim_cuda_templateIbEESt5tupleIJNSA_6TensorESF_SF_EERKSF_lbbbEUlllE_EE10hipError_tT0_T1_T2_T3_mRjT4_P12ihipStream_tbNS1_7vsmem_tEEUlT_E_NS1_11comp_targetILNS1_3genE0ELNS1_11target_archE4294967295ELNS1_3gpuE0ELNS1_3repE0EEENS1_30default_config_static_selectorELNS0_4arch9wavefront6targetE0EEEvSM_,@function
_ZN7rocprim17ROCPRIM_400000_NS6detail17trampoline_kernelINS0_14default_configENS1_37merge_sort_block_sort_config_selectorIlNS0_10empty_typeEEEZNS1_21merge_sort_block_sortIS3_PlS8_PS5_S9_ZN2at6native12_GLOBAL__N_124unique_dim_cuda_templateIbEESt5tupleIJNSA_6TensorESF_SF_EERKSF_lbbbEUlllE_EE10hipError_tT0_T1_T2_T3_mRjT4_P12ihipStream_tbNS1_7vsmem_tEEUlT_E_NS1_11comp_targetILNS1_3genE0ELNS1_11target_archE4294967295ELNS1_3gpuE0ELNS1_3repE0EEENS1_30default_config_static_selectorELNS0_4arch9wavefront6targetE0EEEvSM_: ; @_ZN7rocprim17ROCPRIM_400000_NS6detail17trampoline_kernelINS0_14default_configENS1_37merge_sort_block_sort_config_selectorIlNS0_10empty_typeEEEZNS1_21merge_sort_block_sortIS3_PlS8_PS5_S9_ZN2at6native12_GLOBAL__N_124unique_dim_cuda_templateIbEESt5tupleIJNSA_6TensorESF_SF_EERKSF_lbbbEUlllE_EE10hipError_tT0_T1_T2_T3_mRjT4_P12ihipStream_tbNS1_7vsmem_tEEUlT_E_NS1_11comp_targetILNS1_3genE0ELNS1_11target_archE4294967295ELNS1_3gpuE0ELNS1_3repE0EEENS1_30default_config_static_selectorELNS0_4arch9wavefront6targetE0EEEvSM_
; %bb.0:
	.section	.rodata,"a",@progbits
	.p2align	6, 0x0
	.amdhsa_kernel _ZN7rocprim17ROCPRIM_400000_NS6detail17trampoline_kernelINS0_14default_configENS1_37merge_sort_block_sort_config_selectorIlNS0_10empty_typeEEEZNS1_21merge_sort_block_sortIS3_PlS8_PS5_S9_ZN2at6native12_GLOBAL__N_124unique_dim_cuda_templateIbEESt5tupleIJNSA_6TensorESF_SF_EERKSF_lbbbEUlllE_EE10hipError_tT0_T1_T2_T3_mRjT4_P12ihipStream_tbNS1_7vsmem_tEEUlT_E_NS1_11comp_targetILNS1_3genE0ELNS1_11target_archE4294967295ELNS1_3gpuE0ELNS1_3repE0EEENS1_30default_config_static_selectorELNS0_4arch9wavefront6targetE0EEEvSM_
		.amdhsa_group_segment_fixed_size 0
		.amdhsa_private_segment_fixed_size 0
		.amdhsa_kernarg_size 72
		.amdhsa_user_sgpr_count 15
		.amdhsa_user_sgpr_dispatch_ptr 0
		.amdhsa_user_sgpr_queue_ptr 0
		.amdhsa_user_sgpr_kernarg_segment_ptr 1
		.amdhsa_user_sgpr_dispatch_id 0
		.amdhsa_user_sgpr_private_segment_size 0
		.amdhsa_wavefront_size32 1
		.amdhsa_uses_dynamic_stack 0
		.amdhsa_enable_private_segment 0
		.amdhsa_system_sgpr_workgroup_id_x 1
		.amdhsa_system_sgpr_workgroup_id_y 0
		.amdhsa_system_sgpr_workgroup_id_z 0
		.amdhsa_system_sgpr_workgroup_info 0
		.amdhsa_system_vgpr_workitem_id 0
		.amdhsa_next_free_vgpr 1
		.amdhsa_next_free_sgpr 1
		.amdhsa_reserve_vcc 0
		.amdhsa_float_round_mode_32 0
		.amdhsa_float_round_mode_16_64 0
		.amdhsa_float_denorm_mode_32 3
		.amdhsa_float_denorm_mode_16_64 3
		.amdhsa_dx10_clamp 1
		.amdhsa_ieee_mode 1
		.amdhsa_fp16_overflow 0
		.amdhsa_workgroup_processor_mode 1
		.amdhsa_memory_ordered 1
		.amdhsa_forward_progress 0
		.amdhsa_shared_vgpr_count 0
		.amdhsa_exception_fp_ieee_invalid_op 0
		.amdhsa_exception_fp_denorm_src 0
		.amdhsa_exception_fp_ieee_div_zero 0
		.amdhsa_exception_fp_ieee_overflow 0
		.amdhsa_exception_fp_ieee_underflow 0
		.amdhsa_exception_fp_ieee_inexact 0
		.amdhsa_exception_int_div_zero 0
	.end_amdhsa_kernel
	.section	.text._ZN7rocprim17ROCPRIM_400000_NS6detail17trampoline_kernelINS0_14default_configENS1_37merge_sort_block_sort_config_selectorIlNS0_10empty_typeEEEZNS1_21merge_sort_block_sortIS3_PlS8_PS5_S9_ZN2at6native12_GLOBAL__N_124unique_dim_cuda_templateIbEESt5tupleIJNSA_6TensorESF_SF_EERKSF_lbbbEUlllE_EE10hipError_tT0_T1_T2_T3_mRjT4_P12ihipStream_tbNS1_7vsmem_tEEUlT_E_NS1_11comp_targetILNS1_3genE0ELNS1_11target_archE4294967295ELNS1_3gpuE0ELNS1_3repE0EEENS1_30default_config_static_selectorELNS0_4arch9wavefront6targetE0EEEvSM_,"axG",@progbits,_ZN7rocprim17ROCPRIM_400000_NS6detail17trampoline_kernelINS0_14default_configENS1_37merge_sort_block_sort_config_selectorIlNS0_10empty_typeEEEZNS1_21merge_sort_block_sortIS3_PlS8_PS5_S9_ZN2at6native12_GLOBAL__N_124unique_dim_cuda_templateIbEESt5tupleIJNSA_6TensorESF_SF_EERKSF_lbbbEUlllE_EE10hipError_tT0_T1_T2_T3_mRjT4_P12ihipStream_tbNS1_7vsmem_tEEUlT_E_NS1_11comp_targetILNS1_3genE0ELNS1_11target_archE4294967295ELNS1_3gpuE0ELNS1_3repE0EEENS1_30default_config_static_selectorELNS0_4arch9wavefront6targetE0EEEvSM_,comdat
.Lfunc_end993:
	.size	_ZN7rocprim17ROCPRIM_400000_NS6detail17trampoline_kernelINS0_14default_configENS1_37merge_sort_block_sort_config_selectorIlNS0_10empty_typeEEEZNS1_21merge_sort_block_sortIS3_PlS8_PS5_S9_ZN2at6native12_GLOBAL__N_124unique_dim_cuda_templateIbEESt5tupleIJNSA_6TensorESF_SF_EERKSF_lbbbEUlllE_EE10hipError_tT0_T1_T2_T3_mRjT4_P12ihipStream_tbNS1_7vsmem_tEEUlT_E_NS1_11comp_targetILNS1_3genE0ELNS1_11target_archE4294967295ELNS1_3gpuE0ELNS1_3repE0EEENS1_30default_config_static_selectorELNS0_4arch9wavefront6targetE0EEEvSM_, .Lfunc_end993-_ZN7rocprim17ROCPRIM_400000_NS6detail17trampoline_kernelINS0_14default_configENS1_37merge_sort_block_sort_config_selectorIlNS0_10empty_typeEEEZNS1_21merge_sort_block_sortIS3_PlS8_PS5_S9_ZN2at6native12_GLOBAL__N_124unique_dim_cuda_templateIbEESt5tupleIJNSA_6TensorESF_SF_EERKSF_lbbbEUlllE_EE10hipError_tT0_T1_T2_T3_mRjT4_P12ihipStream_tbNS1_7vsmem_tEEUlT_E_NS1_11comp_targetILNS1_3genE0ELNS1_11target_archE4294967295ELNS1_3gpuE0ELNS1_3repE0EEENS1_30default_config_static_selectorELNS0_4arch9wavefront6targetE0EEEvSM_
                                        ; -- End function
	.section	.AMDGPU.csdata,"",@progbits
; Kernel info:
; codeLenInByte = 0
; NumSgprs: 0
; NumVgprs: 0
; ScratchSize: 0
; MemoryBound: 0
; FloatMode: 240
; IeeeMode: 1
; LDSByteSize: 0 bytes/workgroup (compile time only)
; SGPRBlocks: 0
; VGPRBlocks: 0
; NumSGPRsForWavesPerEU: 1
; NumVGPRsForWavesPerEU: 1
; Occupancy: 16
; WaveLimiterHint : 0
; COMPUTE_PGM_RSRC2:SCRATCH_EN: 0
; COMPUTE_PGM_RSRC2:USER_SGPR: 15
; COMPUTE_PGM_RSRC2:TRAP_HANDLER: 0
; COMPUTE_PGM_RSRC2:TGID_X_EN: 1
; COMPUTE_PGM_RSRC2:TGID_Y_EN: 0
; COMPUTE_PGM_RSRC2:TGID_Z_EN: 0
; COMPUTE_PGM_RSRC2:TIDIG_COMP_CNT: 0
	.section	.text._ZN7rocprim17ROCPRIM_400000_NS6detail17trampoline_kernelINS0_14default_configENS1_37merge_sort_block_sort_config_selectorIlNS0_10empty_typeEEEZNS1_21merge_sort_block_sortIS3_PlS8_PS5_S9_ZN2at6native12_GLOBAL__N_124unique_dim_cuda_templateIbEESt5tupleIJNSA_6TensorESF_SF_EERKSF_lbbbEUlllE_EE10hipError_tT0_T1_T2_T3_mRjT4_P12ihipStream_tbNS1_7vsmem_tEEUlT_E_NS1_11comp_targetILNS1_3genE5ELNS1_11target_archE942ELNS1_3gpuE9ELNS1_3repE0EEENS1_30default_config_static_selectorELNS0_4arch9wavefront6targetE0EEEvSM_,"axG",@progbits,_ZN7rocprim17ROCPRIM_400000_NS6detail17trampoline_kernelINS0_14default_configENS1_37merge_sort_block_sort_config_selectorIlNS0_10empty_typeEEEZNS1_21merge_sort_block_sortIS3_PlS8_PS5_S9_ZN2at6native12_GLOBAL__N_124unique_dim_cuda_templateIbEESt5tupleIJNSA_6TensorESF_SF_EERKSF_lbbbEUlllE_EE10hipError_tT0_T1_T2_T3_mRjT4_P12ihipStream_tbNS1_7vsmem_tEEUlT_E_NS1_11comp_targetILNS1_3genE5ELNS1_11target_archE942ELNS1_3gpuE9ELNS1_3repE0EEENS1_30default_config_static_selectorELNS0_4arch9wavefront6targetE0EEEvSM_,comdat
	.globl	_ZN7rocprim17ROCPRIM_400000_NS6detail17trampoline_kernelINS0_14default_configENS1_37merge_sort_block_sort_config_selectorIlNS0_10empty_typeEEEZNS1_21merge_sort_block_sortIS3_PlS8_PS5_S9_ZN2at6native12_GLOBAL__N_124unique_dim_cuda_templateIbEESt5tupleIJNSA_6TensorESF_SF_EERKSF_lbbbEUlllE_EE10hipError_tT0_T1_T2_T3_mRjT4_P12ihipStream_tbNS1_7vsmem_tEEUlT_E_NS1_11comp_targetILNS1_3genE5ELNS1_11target_archE942ELNS1_3gpuE9ELNS1_3repE0EEENS1_30default_config_static_selectorELNS0_4arch9wavefront6targetE0EEEvSM_ ; -- Begin function _ZN7rocprim17ROCPRIM_400000_NS6detail17trampoline_kernelINS0_14default_configENS1_37merge_sort_block_sort_config_selectorIlNS0_10empty_typeEEEZNS1_21merge_sort_block_sortIS3_PlS8_PS5_S9_ZN2at6native12_GLOBAL__N_124unique_dim_cuda_templateIbEESt5tupleIJNSA_6TensorESF_SF_EERKSF_lbbbEUlllE_EE10hipError_tT0_T1_T2_T3_mRjT4_P12ihipStream_tbNS1_7vsmem_tEEUlT_E_NS1_11comp_targetILNS1_3genE5ELNS1_11target_archE942ELNS1_3gpuE9ELNS1_3repE0EEENS1_30default_config_static_selectorELNS0_4arch9wavefront6targetE0EEEvSM_
	.p2align	8
	.type	_ZN7rocprim17ROCPRIM_400000_NS6detail17trampoline_kernelINS0_14default_configENS1_37merge_sort_block_sort_config_selectorIlNS0_10empty_typeEEEZNS1_21merge_sort_block_sortIS3_PlS8_PS5_S9_ZN2at6native12_GLOBAL__N_124unique_dim_cuda_templateIbEESt5tupleIJNSA_6TensorESF_SF_EERKSF_lbbbEUlllE_EE10hipError_tT0_T1_T2_T3_mRjT4_P12ihipStream_tbNS1_7vsmem_tEEUlT_E_NS1_11comp_targetILNS1_3genE5ELNS1_11target_archE942ELNS1_3gpuE9ELNS1_3repE0EEENS1_30default_config_static_selectorELNS0_4arch9wavefront6targetE0EEEvSM_,@function
_ZN7rocprim17ROCPRIM_400000_NS6detail17trampoline_kernelINS0_14default_configENS1_37merge_sort_block_sort_config_selectorIlNS0_10empty_typeEEEZNS1_21merge_sort_block_sortIS3_PlS8_PS5_S9_ZN2at6native12_GLOBAL__N_124unique_dim_cuda_templateIbEESt5tupleIJNSA_6TensorESF_SF_EERKSF_lbbbEUlllE_EE10hipError_tT0_T1_T2_T3_mRjT4_P12ihipStream_tbNS1_7vsmem_tEEUlT_E_NS1_11comp_targetILNS1_3genE5ELNS1_11target_archE942ELNS1_3gpuE9ELNS1_3repE0EEENS1_30default_config_static_selectorELNS0_4arch9wavefront6targetE0EEEvSM_: ; @_ZN7rocprim17ROCPRIM_400000_NS6detail17trampoline_kernelINS0_14default_configENS1_37merge_sort_block_sort_config_selectorIlNS0_10empty_typeEEEZNS1_21merge_sort_block_sortIS3_PlS8_PS5_S9_ZN2at6native12_GLOBAL__N_124unique_dim_cuda_templateIbEESt5tupleIJNSA_6TensorESF_SF_EERKSF_lbbbEUlllE_EE10hipError_tT0_T1_T2_T3_mRjT4_P12ihipStream_tbNS1_7vsmem_tEEUlT_E_NS1_11comp_targetILNS1_3genE5ELNS1_11target_archE942ELNS1_3gpuE9ELNS1_3repE0EEENS1_30default_config_static_selectorELNS0_4arch9wavefront6targetE0EEEvSM_
; %bb.0:
	.section	.rodata,"a",@progbits
	.p2align	6, 0x0
	.amdhsa_kernel _ZN7rocprim17ROCPRIM_400000_NS6detail17trampoline_kernelINS0_14default_configENS1_37merge_sort_block_sort_config_selectorIlNS0_10empty_typeEEEZNS1_21merge_sort_block_sortIS3_PlS8_PS5_S9_ZN2at6native12_GLOBAL__N_124unique_dim_cuda_templateIbEESt5tupleIJNSA_6TensorESF_SF_EERKSF_lbbbEUlllE_EE10hipError_tT0_T1_T2_T3_mRjT4_P12ihipStream_tbNS1_7vsmem_tEEUlT_E_NS1_11comp_targetILNS1_3genE5ELNS1_11target_archE942ELNS1_3gpuE9ELNS1_3repE0EEENS1_30default_config_static_selectorELNS0_4arch9wavefront6targetE0EEEvSM_
		.amdhsa_group_segment_fixed_size 0
		.amdhsa_private_segment_fixed_size 0
		.amdhsa_kernarg_size 72
		.amdhsa_user_sgpr_count 15
		.amdhsa_user_sgpr_dispatch_ptr 0
		.amdhsa_user_sgpr_queue_ptr 0
		.amdhsa_user_sgpr_kernarg_segment_ptr 1
		.amdhsa_user_sgpr_dispatch_id 0
		.amdhsa_user_sgpr_private_segment_size 0
		.amdhsa_wavefront_size32 1
		.amdhsa_uses_dynamic_stack 0
		.amdhsa_enable_private_segment 0
		.amdhsa_system_sgpr_workgroup_id_x 1
		.amdhsa_system_sgpr_workgroup_id_y 0
		.amdhsa_system_sgpr_workgroup_id_z 0
		.amdhsa_system_sgpr_workgroup_info 0
		.amdhsa_system_vgpr_workitem_id 0
		.amdhsa_next_free_vgpr 1
		.amdhsa_next_free_sgpr 1
		.amdhsa_reserve_vcc 0
		.amdhsa_float_round_mode_32 0
		.amdhsa_float_round_mode_16_64 0
		.amdhsa_float_denorm_mode_32 3
		.amdhsa_float_denorm_mode_16_64 3
		.amdhsa_dx10_clamp 1
		.amdhsa_ieee_mode 1
		.amdhsa_fp16_overflow 0
		.amdhsa_workgroup_processor_mode 1
		.amdhsa_memory_ordered 1
		.amdhsa_forward_progress 0
		.amdhsa_shared_vgpr_count 0
		.amdhsa_exception_fp_ieee_invalid_op 0
		.amdhsa_exception_fp_denorm_src 0
		.amdhsa_exception_fp_ieee_div_zero 0
		.amdhsa_exception_fp_ieee_overflow 0
		.amdhsa_exception_fp_ieee_underflow 0
		.amdhsa_exception_fp_ieee_inexact 0
		.amdhsa_exception_int_div_zero 0
	.end_amdhsa_kernel
	.section	.text._ZN7rocprim17ROCPRIM_400000_NS6detail17trampoline_kernelINS0_14default_configENS1_37merge_sort_block_sort_config_selectorIlNS0_10empty_typeEEEZNS1_21merge_sort_block_sortIS3_PlS8_PS5_S9_ZN2at6native12_GLOBAL__N_124unique_dim_cuda_templateIbEESt5tupleIJNSA_6TensorESF_SF_EERKSF_lbbbEUlllE_EE10hipError_tT0_T1_T2_T3_mRjT4_P12ihipStream_tbNS1_7vsmem_tEEUlT_E_NS1_11comp_targetILNS1_3genE5ELNS1_11target_archE942ELNS1_3gpuE9ELNS1_3repE0EEENS1_30default_config_static_selectorELNS0_4arch9wavefront6targetE0EEEvSM_,"axG",@progbits,_ZN7rocprim17ROCPRIM_400000_NS6detail17trampoline_kernelINS0_14default_configENS1_37merge_sort_block_sort_config_selectorIlNS0_10empty_typeEEEZNS1_21merge_sort_block_sortIS3_PlS8_PS5_S9_ZN2at6native12_GLOBAL__N_124unique_dim_cuda_templateIbEESt5tupleIJNSA_6TensorESF_SF_EERKSF_lbbbEUlllE_EE10hipError_tT0_T1_T2_T3_mRjT4_P12ihipStream_tbNS1_7vsmem_tEEUlT_E_NS1_11comp_targetILNS1_3genE5ELNS1_11target_archE942ELNS1_3gpuE9ELNS1_3repE0EEENS1_30default_config_static_selectorELNS0_4arch9wavefront6targetE0EEEvSM_,comdat
.Lfunc_end994:
	.size	_ZN7rocprim17ROCPRIM_400000_NS6detail17trampoline_kernelINS0_14default_configENS1_37merge_sort_block_sort_config_selectorIlNS0_10empty_typeEEEZNS1_21merge_sort_block_sortIS3_PlS8_PS5_S9_ZN2at6native12_GLOBAL__N_124unique_dim_cuda_templateIbEESt5tupleIJNSA_6TensorESF_SF_EERKSF_lbbbEUlllE_EE10hipError_tT0_T1_T2_T3_mRjT4_P12ihipStream_tbNS1_7vsmem_tEEUlT_E_NS1_11comp_targetILNS1_3genE5ELNS1_11target_archE942ELNS1_3gpuE9ELNS1_3repE0EEENS1_30default_config_static_selectorELNS0_4arch9wavefront6targetE0EEEvSM_, .Lfunc_end994-_ZN7rocprim17ROCPRIM_400000_NS6detail17trampoline_kernelINS0_14default_configENS1_37merge_sort_block_sort_config_selectorIlNS0_10empty_typeEEEZNS1_21merge_sort_block_sortIS3_PlS8_PS5_S9_ZN2at6native12_GLOBAL__N_124unique_dim_cuda_templateIbEESt5tupleIJNSA_6TensorESF_SF_EERKSF_lbbbEUlllE_EE10hipError_tT0_T1_T2_T3_mRjT4_P12ihipStream_tbNS1_7vsmem_tEEUlT_E_NS1_11comp_targetILNS1_3genE5ELNS1_11target_archE942ELNS1_3gpuE9ELNS1_3repE0EEENS1_30default_config_static_selectorELNS0_4arch9wavefront6targetE0EEEvSM_
                                        ; -- End function
	.section	.AMDGPU.csdata,"",@progbits
; Kernel info:
; codeLenInByte = 0
; NumSgprs: 0
; NumVgprs: 0
; ScratchSize: 0
; MemoryBound: 0
; FloatMode: 240
; IeeeMode: 1
; LDSByteSize: 0 bytes/workgroup (compile time only)
; SGPRBlocks: 0
; VGPRBlocks: 0
; NumSGPRsForWavesPerEU: 1
; NumVGPRsForWavesPerEU: 1
; Occupancy: 16
; WaveLimiterHint : 0
; COMPUTE_PGM_RSRC2:SCRATCH_EN: 0
; COMPUTE_PGM_RSRC2:USER_SGPR: 15
; COMPUTE_PGM_RSRC2:TRAP_HANDLER: 0
; COMPUTE_PGM_RSRC2:TGID_X_EN: 1
; COMPUTE_PGM_RSRC2:TGID_Y_EN: 0
; COMPUTE_PGM_RSRC2:TGID_Z_EN: 0
; COMPUTE_PGM_RSRC2:TIDIG_COMP_CNT: 0
	.section	.text._ZN7rocprim17ROCPRIM_400000_NS6detail17trampoline_kernelINS0_14default_configENS1_37merge_sort_block_sort_config_selectorIlNS0_10empty_typeEEEZNS1_21merge_sort_block_sortIS3_PlS8_PS5_S9_ZN2at6native12_GLOBAL__N_124unique_dim_cuda_templateIbEESt5tupleIJNSA_6TensorESF_SF_EERKSF_lbbbEUlllE_EE10hipError_tT0_T1_T2_T3_mRjT4_P12ihipStream_tbNS1_7vsmem_tEEUlT_E_NS1_11comp_targetILNS1_3genE4ELNS1_11target_archE910ELNS1_3gpuE8ELNS1_3repE0EEENS1_30default_config_static_selectorELNS0_4arch9wavefront6targetE0EEEvSM_,"axG",@progbits,_ZN7rocprim17ROCPRIM_400000_NS6detail17trampoline_kernelINS0_14default_configENS1_37merge_sort_block_sort_config_selectorIlNS0_10empty_typeEEEZNS1_21merge_sort_block_sortIS3_PlS8_PS5_S9_ZN2at6native12_GLOBAL__N_124unique_dim_cuda_templateIbEESt5tupleIJNSA_6TensorESF_SF_EERKSF_lbbbEUlllE_EE10hipError_tT0_T1_T2_T3_mRjT4_P12ihipStream_tbNS1_7vsmem_tEEUlT_E_NS1_11comp_targetILNS1_3genE4ELNS1_11target_archE910ELNS1_3gpuE8ELNS1_3repE0EEENS1_30default_config_static_selectorELNS0_4arch9wavefront6targetE0EEEvSM_,comdat
	.globl	_ZN7rocprim17ROCPRIM_400000_NS6detail17trampoline_kernelINS0_14default_configENS1_37merge_sort_block_sort_config_selectorIlNS0_10empty_typeEEEZNS1_21merge_sort_block_sortIS3_PlS8_PS5_S9_ZN2at6native12_GLOBAL__N_124unique_dim_cuda_templateIbEESt5tupleIJNSA_6TensorESF_SF_EERKSF_lbbbEUlllE_EE10hipError_tT0_T1_T2_T3_mRjT4_P12ihipStream_tbNS1_7vsmem_tEEUlT_E_NS1_11comp_targetILNS1_3genE4ELNS1_11target_archE910ELNS1_3gpuE8ELNS1_3repE0EEENS1_30default_config_static_selectorELNS0_4arch9wavefront6targetE0EEEvSM_ ; -- Begin function _ZN7rocprim17ROCPRIM_400000_NS6detail17trampoline_kernelINS0_14default_configENS1_37merge_sort_block_sort_config_selectorIlNS0_10empty_typeEEEZNS1_21merge_sort_block_sortIS3_PlS8_PS5_S9_ZN2at6native12_GLOBAL__N_124unique_dim_cuda_templateIbEESt5tupleIJNSA_6TensorESF_SF_EERKSF_lbbbEUlllE_EE10hipError_tT0_T1_T2_T3_mRjT4_P12ihipStream_tbNS1_7vsmem_tEEUlT_E_NS1_11comp_targetILNS1_3genE4ELNS1_11target_archE910ELNS1_3gpuE8ELNS1_3repE0EEENS1_30default_config_static_selectorELNS0_4arch9wavefront6targetE0EEEvSM_
	.p2align	8
	.type	_ZN7rocprim17ROCPRIM_400000_NS6detail17trampoline_kernelINS0_14default_configENS1_37merge_sort_block_sort_config_selectorIlNS0_10empty_typeEEEZNS1_21merge_sort_block_sortIS3_PlS8_PS5_S9_ZN2at6native12_GLOBAL__N_124unique_dim_cuda_templateIbEESt5tupleIJNSA_6TensorESF_SF_EERKSF_lbbbEUlllE_EE10hipError_tT0_T1_T2_T3_mRjT4_P12ihipStream_tbNS1_7vsmem_tEEUlT_E_NS1_11comp_targetILNS1_3genE4ELNS1_11target_archE910ELNS1_3gpuE8ELNS1_3repE0EEENS1_30default_config_static_selectorELNS0_4arch9wavefront6targetE0EEEvSM_,@function
_ZN7rocprim17ROCPRIM_400000_NS6detail17trampoline_kernelINS0_14default_configENS1_37merge_sort_block_sort_config_selectorIlNS0_10empty_typeEEEZNS1_21merge_sort_block_sortIS3_PlS8_PS5_S9_ZN2at6native12_GLOBAL__N_124unique_dim_cuda_templateIbEESt5tupleIJNSA_6TensorESF_SF_EERKSF_lbbbEUlllE_EE10hipError_tT0_T1_T2_T3_mRjT4_P12ihipStream_tbNS1_7vsmem_tEEUlT_E_NS1_11comp_targetILNS1_3genE4ELNS1_11target_archE910ELNS1_3gpuE8ELNS1_3repE0EEENS1_30default_config_static_selectorELNS0_4arch9wavefront6targetE0EEEvSM_: ; @_ZN7rocprim17ROCPRIM_400000_NS6detail17trampoline_kernelINS0_14default_configENS1_37merge_sort_block_sort_config_selectorIlNS0_10empty_typeEEEZNS1_21merge_sort_block_sortIS3_PlS8_PS5_S9_ZN2at6native12_GLOBAL__N_124unique_dim_cuda_templateIbEESt5tupleIJNSA_6TensorESF_SF_EERKSF_lbbbEUlllE_EE10hipError_tT0_T1_T2_T3_mRjT4_P12ihipStream_tbNS1_7vsmem_tEEUlT_E_NS1_11comp_targetILNS1_3genE4ELNS1_11target_archE910ELNS1_3gpuE8ELNS1_3repE0EEENS1_30default_config_static_selectorELNS0_4arch9wavefront6targetE0EEEvSM_
; %bb.0:
	.section	.rodata,"a",@progbits
	.p2align	6, 0x0
	.amdhsa_kernel _ZN7rocprim17ROCPRIM_400000_NS6detail17trampoline_kernelINS0_14default_configENS1_37merge_sort_block_sort_config_selectorIlNS0_10empty_typeEEEZNS1_21merge_sort_block_sortIS3_PlS8_PS5_S9_ZN2at6native12_GLOBAL__N_124unique_dim_cuda_templateIbEESt5tupleIJNSA_6TensorESF_SF_EERKSF_lbbbEUlllE_EE10hipError_tT0_T1_T2_T3_mRjT4_P12ihipStream_tbNS1_7vsmem_tEEUlT_E_NS1_11comp_targetILNS1_3genE4ELNS1_11target_archE910ELNS1_3gpuE8ELNS1_3repE0EEENS1_30default_config_static_selectorELNS0_4arch9wavefront6targetE0EEEvSM_
		.amdhsa_group_segment_fixed_size 0
		.amdhsa_private_segment_fixed_size 0
		.amdhsa_kernarg_size 72
		.amdhsa_user_sgpr_count 15
		.amdhsa_user_sgpr_dispatch_ptr 0
		.amdhsa_user_sgpr_queue_ptr 0
		.amdhsa_user_sgpr_kernarg_segment_ptr 1
		.amdhsa_user_sgpr_dispatch_id 0
		.amdhsa_user_sgpr_private_segment_size 0
		.amdhsa_wavefront_size32 1
		.amdhsa_uses_dynamic_stack 0
		.amdhsa_enable_private_segment 0
		.amdhsa_system_sgpr_workgroup_id_x 1
		.amdhsa_system_sgpr_workgroup_id_y 0
		.amdhsa_system_sgpr_workgroup_id_z 0
		.amdhsa_system_sgpr_workgroup_info 0
		.amdhsa_system_vgpr_workitem_id 0
		.amdhsa_next_free_vgpr 1
		.amdhsa_next_free_sgpr 1
		.amdhsa_reserve_vcc 0
		.amdhsa_float_round_mode_32 0
		.amdhsa_float_round_mode_16_64 0
		.amdhsa_float_denorm_mode_32 3
		.amdhsa_float_denorm_mode_16_64 3
		.amdhsa_dx10_clamp 1
		.amdhsa_ieee_mode 1
		.amdhsa_fp16_overflow 0
		.amdhsa_workgroup_processor_mode 1
		.amdhsa_memory_ordered 1
		.amdhsa_forward_progress 0
		.amdhsa_shared_vgpr_count 0
		.amdhsa_exception_fp_ieee_invalid_op 0
		.amdhsa_exception_fp_denorm_src 0
		.amdhsa_exception_fp_ieee_div_zero 0
		.amdhsa_exception_fp_ieee_overflow 0
		.amdhsa_exception_fp_ieee_underflow 0
		.amdhsa_exception_fp_ieee_inexact 0
		.amdhsa_exception_int_div_zero 0
	.end_amdhsa_kernel
	.section	.text._ZN7rocprim17ROCPRIM_400000_NS6detail17trampoline_kernelINS0_14default_configENS1_37merge_sort_block_sort_config_selectorIlNS0_10empty_typeEEEZNS1_21merge_sort_block_sortIS3_PlS8_PS5_S9_ZN2at6native12_GLOBAL__N_124unique_dim_cuda_templateIbEESt5tupleIJNSA_6TensorESF_SF_EERKSF_lbbbEUlllE_EE10hipError_tT0_T1_T2_T3_mRjT4_P12ihipStream_tbNS1_7vsmem_tEEUlT_E_NS1_11comp_targetILNS1_3genE4ELNS1_11target_archE910ELNS1_3gpuE8ELNS1_3repE0EEENS1_30default_config_static_selectorELNS0_4arch9wavefront6targetE0EEEvSM_,"axG",@progbits,_ZN7rocprim17ROCPRIM_400000_NS6detail17trampoline_kernelINS0_14default_configENS1_37merge_sort_block_sort_config_selectorIlNS0_10empty_typeEEEZNS1_21merge_sort_block_sortIS3_PlS8_PS5_S9_ZN2at6native12_GLOBAL__N_124unique_dim_cuda_templateIbEESt5tupleIJNSA_6TensorESF_SF_EERKSF_lbbbEUlllE_EE10hipError_tT0_T1_T2_T3_mRjT4_P12ihipStream_tbNS1_7vsmem_tEEUlT_E_NS1_11comp_targetILNS1_3genE4ELNS1_11target_archE910ELNS1_3gpuE8ELNS1_3repE0EEENS1_30default_config_static_selectorELNS0_4arch9wavefront6targetE0EEEvSM_,comdat
.Lfunc_end995:
	.size	_ZN7rocprim17ROCPRIM_400000_NS6detail17trampoline_kernelINS0_14default_configENS1_37merge_sort_block_sort_config_selectorIlNS0_10empty_typeEEEZNS1_21merge_sort_block_sortIS3_PlS8_PS5_S9_ZN2at6native12_GLOBAL__N_124unique_dim_cuda_templateIbEESt5tupleIJNSA_6TensorESF_SF_EERKSF_lbbbEUlllE_EE10hipError_tT0_T1_T2_T3_mRjT4_P12ihipStream_tbNS1_7vsmem_tEEUlT_E_NS1_11comp_targetILNS1_3genE4ELNS1_11target_archE910ELNS1_3gpuE8ELNS1_3repE0EEENS1_30default_config_static_selectorELNS0_4arch9wavefront6targetE0EEEvSM_, .Lfunc_end995-_ZN7rocprim17ROCPRIM_400000_NS6detail17trampoline_kernelINS0_14default_configENS1_37merge_sort_block_sort_config_selectorIlNS0_10empty_typeEEEZNS1_21merge_sort_block_sortIS3_PlS8_PS5_S9_ZN2at6native12_GLOBAL__N_124unique_dim_cuda_templateIbEESt5tupleIJNSA_6TensorESF_SF_EERKSF_lbbbEUlllE_EE10hipError_tT0_T1_T2_T3_mRjT4_P12ihipStream_tbNS1_7vsmem_tEEUlT_E_NS1_11comp_targetILNS1_3genE4ELNS1_11target_archE910ELNS1_3gpuE8ELNS1_3repE0EEENS1_30default_config_static_selectorELNS0_4arch9wavefront6targetE0EEEvSM_
                                        ; -- End function
	.section	.AMDGPU.csdata,"",@progbits
; Kernel info:
; codeLenInByte = 0
; NumSgprs: 0
; NumVgprs: 0
; ScratchSize: 0
; MemoryBound: 0
; FloatMode: 240
; IeeeMode: 1
; LDSByteSize: 0 bytes/workgroup (compile time only)
; SGPRBlocks: 0
; VGPRBlocks: 0
; NumSGPRsForWavesPerEU: 1
; NumVGPRsForWavesPerEU: 1
; Occupancy: 16
; WaveLimiterHint : 0
; COMPUTE_PGM_RSRC2:SCRATCH_EN: 0
; COMPUTE_PGM_RSRC2:USER_SGPR: 15
; COMPUTE_PGM_RSRC2:TRAP_HANDLER: 0
; COMPUTE_PGM_RSRC2:TGID_X_EN: 1
; COMPUTE_PGM_RSRC2:TGID_Y_EN: 0
; COMPUTE_PGM_RSRC2:TGID_Z_EN: 0
; COMPUTE_PGM_RSRC2:TIDIG_COMP_CNT: 0
	.section	.text._ZN7rocprim17ROCPRIM_400000_NS6detail17trampoline_kernelINS0_14default_configENS1_37merge_sort_block_sort_config_selectorIlNS0_10empty_typeEEEZNS1_21merge_sort_block_sortIS3_PlS8_PS5_S9_ZN2at6native12_GLOBAL__N_124unique_dim_cuda_templateIbEESt5tupleIJNSA_6TensorESF_SF_EERKSF_lbbbEUlllE_EE10hipError_tT0_T1_T2_T3_mRjT4_P12ihipStream_tbNS1_7vsmem_tEEUlT_E_NS1_11comp_targetILNS1_3genE3ELNS1_11target_archE908ELNS1_3gpuE7ELNS1_3repE0EEENS1_30default_config_static_selectorELNS0_4arch9wavefront6targetE0EEEvSM_,"axG",@progbits,_ZN7rocprim17ROCPRIM_400000_NS6detail17trampoline_kernelINS0_14default_configENS1_37merge_sort_block_sort_config_selectorIlNS0_10empty_typeEEEZNS1_21merge_sort_block_sortIS3_PlS8_PS5_S9_ZN2at6native12_GLOBAL__N_124unique_dim_cuda_templateIbEESt5tupleIJNSA_6TensorESF_SF_EERKSF_lbbbEUlllE_EE10hipError_tT0_T1_T2_T3_mRjT4_P12ihipStream_tbNS1_7vsmem_tEEUlT_E_NS1_11comp_targetILNS1_3genE3ELNS1_11target_archE908ELNS1_3gpuE7ELNS1_3repE0EEENS1_30default_config_static_selectorELNS0_4arch9wavefront6targetE0EEEvSM_,comdat
	.globl	_ZN7rocprim17ROCPRIM_400000_NS6detail17trampoline_kernelINS0_14default_configENS1_37merge_sort_block_sort_config_selectorIlNS0_10empty_typeEEEZNS1_21merge_sort_block_sortIS3_PlS8_PS5_S9_ZN2at6native12_GLOBAL__N_124unique_dim_cuda_templateIbEESt5tupleIJNSA_6TensorESF_SF_EERKSF_lbbbEUlllE_EE10hipError_tT0_T1_T2_T3_mRjT4_P12ihipStream_tbNS1_7vsmem_tEEUlT_E_NS1_11comp_targetILNS1_3genE3ELNS1_11target_archE908ELNS1_3gpuE7ELNS1_3repE0EEENS1_30default_config_static_selectorELNS0_4arch9wavefront6targetE0EEEvSM_ ; -- Begin function _ZN7rocprim17ROCPRIM_400000_NS6detail17trampoline_kernelINS0_14default_configENS1_37merge_sort_block_sort_config_selectorIlNS0_10empty_typeEEEZNS1_21merge_sort_block_sortIS3_PlS8_PS5_S9_ZN2at6native12_GLOBAL__N_124unique_dim_cuda_templateIbEESt5tupleIJNSA_6TensorESF_SF_EERKSF_lbbbEUlllE_EE10hipError_tT0_T1_T2_T3_mRjT4_P12ihipStream_tbNS1_7vsmem_tEEUlT_E_NS1_11comp_targetILNS1_3genE3ELNS1_11target_archE908ELNS1_3gpuE7ELNS1_3repE0EEENS1_30default_config_static_selectorELNS0_4arch9wavefront6targetE0EEEvSM_
	.p2align	8
	.type	_ZN7rocprim17ROCPRIM_400000_NS6detail17trampoline_kernelINS0_14default_configENS1_37merge_sort_block_sort_config_selectorIlNS0_10empty_typeEEEZNS1_21merge_sort_block_sortIS3_PlS8_PS5_S9_ZN2at6native12_GLOBAL__N_124unique_dim_cuda_templateIbEESt5tupleIJNSA_6TensorESF_SF_EERKSF_lbbbEUlllE_EE10hipError_tT0_T1_T2_T3_mRjT4_P12ihipStream_tbNS1_7vsmem_tEEUlT_E_NS1_11comp_targetILNS1_3genE3ELNS1_11target_archE908ELNS1_3gpuE7ELNS1_3repE0EEENS1_30default_config_static_selectorELNS0_4arch9wavefront6targetE0EEEvSM_,@function
_ZN7rocprim17ROCPRIM_400000_NS6detail17trampoline_kernelINS0_14default_configENS1_37merge_sort_block_sort_config_selectorIlNS0_10empty_typeEEEZNS1_21merge_sort_block_sortIS3_PlS8_PS5_S9_ZN2at6native12_GLOBAL__N_124unique_dim_cuda_templateIbEESt5tupleIJNSA_6TensorESF_SF_EERKSF_lbbbEUlllE_EE10hipError_tT0_T1_T2_T3_mRjT4_P12ihipStream_tbNS1_7vsmem_tEEUlT_E_NS1_11comp_targetILNS1_3genE3ELNS1_11target_archE908ELNS1_3gpuE7ELNS1_3repE0EEENS1_30default_config_static_selectorELNS0_4arch9wavefront6targetE0EEEvSM_: ; @_ZN7rocprim17ROCPRIM_400000_NS6detail17trampoline_kernelINS0_14default_configENS1_37merge_sort_block_sort_config_selectorIlNS0_10empty_typeEEEZNS1_21merge_sort_block_sortIS3_PlS8_PS5_S9_ZN2at6native12_GLOBAL__N_124unique_dim_cuda_templateIbEESt5tupleIJNSA_6TensorESF_SF_EERKSF_lbbbEUlllE_EE10hipError_tT0_T1_T2_T3_mRjT4_P12ihipStream_tbNS1_7vsmem_tEEUlT_E_NS1_11comp_targetILNS1_3genE3ELNS1_11target_archE908ELNS1_3gpuE7ELNS1_3repE0EEENS1_30default_config_static_selectorELNS0_4arch9wavefront6targetE0EEEvSM_
; %bb.0:
	.section	.rodata,"a",@progbits
	.p2align	6, 0x0
	.amdhsa_kernel _ZN7rocprim17ROCPRIM_400000_NS6detail17trampoline_kernelINS0_14default_configENS1_37merge_sort_block_sort_config_selectorIlNS0_10empty_typeEEEZNS1_21merge_sort_block_sortIS3_PlS8_PS5_S9_ZN2at6native12_GLOBAL__N_124unique_dim_cuda_templateIbEESt5tupleIJNSA_6TensorESF_SF_EERKSF_lbbbEUlllE_EE10hipError_tT0_T1_T2_T3_mRjT4_P12ihipStream_tbNS1_7vsmem_tEEUlT_E_NS1_11comp_targetILNS1_3genE3ELNS1_11target_archE908ELNS1_3gpuE7ELNS1_3repE0EEENS1_30default_config_static_selectorELNS0_4arch9wavefront6targetE0EEEvSM_
		.amdhsa_group_segment_fixed_size 0
		.amdhsa_private_segment_fixed_size 0
		.amdhsa_kernarg_size 72
		.amdhsa_user_sgpr_count 15
		.amdhsa_user_sgpr_dispatch_ptr 0
		.amdhsa_user_sgpr_queue_ptr 0
		.amdhsa_user_sgpr_kernarg_segment_ptr 1
		.amdhsa_user_sgpr_dispatch_id 0
		.amdhsa_user_sgpr_private_segment_size 0
		.amdhsa_wavefront_size32 1
		.amdhsa_uses_dynamic_stack 0
		.amdhsa_enable_private_segment 0
		.amdhsa_system_sgpr_workgroup_id_x 1
		.amdhsa_system_sgpr_workgroup_id_y 0
		.amdhsa_system_sgpr_workgroup_id_z 0
		.amdhsa_system_sgpr_workgroup_info 0
		.amdhsa_system_vgpr_workitem_id 0
		.amdhsa_next_free_vgpr 1
		.amdhsa_next_free_sgpr 1
		.amdhsa_reserve_vcc 0
		.amdhsa_float_round_mode_32 0
		.amdhsa_float_round_mode_16_64 0
		.amdhsa_float_denorm_mode_32 3
		.amdhsa_float_denorm_mode_16_64 3
		.amdhsa_dx10_clamp 1
		.amdhsa_ieee_mode 1
		.amdhsa_fp16_overflow 0
		.amdhsa_workgroup_processor_mode 1
		.amdhsa_memory_ordered 1
		.amdhsa_forward_progress 0
		.amdhsa_shared_vgpr_count 0
		.amdhsa_exception_fp_ieee_invalid_op 0
		.amdhsa_exception_fp_denorm_src 0
		.amdhsa_exception_fp_ieee_div_zero 0
		.amdhsa_exception_fp_ieee_overflow 0
		.amdhsa_exception_fp_ieee_underflow 0
		.amdhsa_exception_fp_ieee_inexact 0
		.amdhsa_exception_int_div_zero 0
	.end_amdhsa_kernel
	.section	.text._ZN7rocprim17ROCPRIM_400000_NS6detail17trampoline_kernelINS0_14default_configENS1_37merge_sort_block_sort_config_selectorIlNS0_10empty_typeEEEZNS1_21merge_sort_block_sortIS3_PlS8_PS5_S9_ZN2at6native12_GLOBAL__N_124unique_dim_cuda_templateIbEESt5tupleIJNSA_6TensorESF_SF_EERKSF_lbbbEUlllE_EE10hipError_tT0_T1_T2_T3_mRjT4_P12ihipStream_tbNS1_7vsmem_tEEUlT_E_NS1_11comp_targetILNS1_3genE3ELNS1_11target_archE908ELNS1_3gpuE7ELNS1_3repE0EEENS1_30default_config_static_selectorELNS0_4arch9wavefront6targetE0EEEvSM_,"axG",@progbits,_ZN7rocprim17ROCPRIM_400000_NS6detail17trampoline_kernelINS0_14default_configENS1_37merge_sort_block_sort_config_selectorIlNS0_10empty_typeEEEZNS1_21merge_sort_block_sortIS3_PlS8_PS5_S9_ZN2at6native12_GLOBAL__N_124unique_dim_cuda_templateIbEESt5tupleIJNSA_6TensorESF_SF_EERKSF_lbbbEUlllE_EE10hipError_tT0_T1_T2_T3_mRjT4_P12ihipStream_tbNS1_7vsmem_tEEUlT_E_NS1_11comp_targetILNS1_3genE3ELNS1_11target_archE908ELNS1_3gpuE7ELNS1_3repE0EEENS1_30default_config_static_selectorELNS0_4arch9wavefront6targetE0EEEvSM_,comdat
.Lfunc_end996:
	.size	_ZN7rocprim17ROCPRIM_400000_NS6detail17trampoline_kernelINS0_14default_configENS1_37merge_sort_block_sort_config_selectorIlNS0_10empty_typeEEEZNS1_21merge_sort_block_sortIS3_PlS8_PS5_S9_ZN2at6native12_GLOBAL__N_124unique_dim_cuda_templateIbEESt5tupleIJNSA_6TensorESF_SF_EERKSF_lbbbEUlllE_EE10hipError_tT0_T1_T2_T3_mRjT4_P12ihipStream_tbNS1_7vsmem_tEEUlT_E_NS1_11comp_targetILNS1_3genE3ELNS1_11target_archE908ELNS1_3gpuE7ELNS1_3repE0EEENS1_30default_config_static_selectorELNS0_4arch9wavefront6targetE0EEEvSM_, .Lfunc_end996-_ZN7rocprim17ROCPRIM_400000_NS6detail17trampoline_kernelINS0_14default_configENS1_37merge_sort_block_sort_config_selectorIlNS0_10empty_typeEEEZNS1_21merge_sort_block_sortIS3_PlS8_PS5_S9_ZN2at6native12_GLOBAL__N_124unique_dim_cuda_templateIbEESt5tupleIJNSA_6TensorESF_SF_EERKSF_lbbbEUlllE_EE10hipError_tT0_T1_T2_T3_mRjT4_P12ihipStream_tbNS1_7vsmem_tEEUlT_E_NS1_11comp_targetILNS1_3genE3ELNS1_11target_archE908ELNS1_3gpuE7ELNS1_3repE0EEENS1_30default_config_static_selectorELNS0_4arch9wavefront6targetE0EEEvSM_
                                        ; -- End function
	.section	.AMDGPU.csdata,"",@progbits
; Kernel info:
; codeLenInByte = 0
; NumSgprs: 0
; NumVgprs: 0
; ScratchSize: 0
; MemoryBound: 0
; FloatMode: 240
; IeeeMode: 1
; LDSByteSize: 0 bytes/workgroup (compile time only)
; SGPRBlocks: 0
; VGPRBlocks: 0
; NumSGPRsForWavesPerEU: 1
; NumVGPRsForWavesPerEU: 1
; Occupancy: 16
; WaveLimiterHint : 0
; COMPUTE_PGM_RSRC2:SCRATCH_EN: 0
; COMPUTE_PGM_RSRC2:USER_SGPR: 15
; COMPUTE_PGM_RSRC2:TRAP_HANDLER: 0
; COMPUTE_PGM_RSRC2:TGID_X_EN: 1
; COMPUTE_PGM_RSRC2:TGID_Y_EN: 0
; COMPUTE_PGM_RSRC2:TGID_Z_EN: 0
; COMPUTE_PGM_RSRC2:TIDIG_COMP_CNT: 0
	.section	.text._ZN7rocprim17ROCPRIM_400000_NS6detail17trampoline_kernelINS0_14default_configENS1_37merge_sort_block_sort_config_selectorIlNS0_10empty_typeEEEZNS1_21merge_sort_block_sortIS3_PlS8_PS5_S9_ZN2at6native12_GLOBAL__N_124unique_dim_cuda_templateIbEESt5tupleIJNSA_6TensorESF_SF_EERKSF_lbbbEUlllE_EE10hipError_tT0_T1_T2_T3_mRjT4_P12ihipStream_tbNS1_7vsmem_tEEUlT_E_NS1_11comp_targetILNS1_3genE2ELNS1_11target_archE906ELNS1_3gpuE6ELNS1_3repE0EEENS1_30default_config_static_selectorELNS0_4arch9wavefront6targetE0EEEvSM_,"axG",@progbits,_ZN7rocprim17ROCPRIM_400000_NS6detail17trampoline_kernelINS0_14default_configENS1_37merge_sort_block_sort_config_selectorIlNS0_10empty_typeEEEZNS1_21merge_sort_block_sortIS3_PlS8_PS5_S9_ZN2at6native12_GLOBAL__N_124unique_dim_cuda_templateIbEESt5tupleIJNSA_6TensorESF_SF_EERKSF_lbbbEUlllE_EE10hipError_tT0_T1_T2_T3_mRjT4_P12ihipStream_tbNS1_7vsmem_tEEUlT_E_NS1_11comp_targetILNS1_3genE2ELNS1_11target_archE906ELNS1_3gpuE6ELNS1_3repE0EEENS1_30default_config_static_selectorELNS0_4arch9wavefront6targetE0EEEvSM_,comdat
	.globl	_ZN7rocprim17ROCPRIM_400000_NS6detail17trampoline_kernelINS0_14default_configENS1_37merge_sort_block_sort_config_selectorIlNS0_10empty_typeEEEZNS1_21merge_sort_block_sortIS3_PlS8_PS5_S9_ZN2at6native12_GLOBAL__N_124unique_dim_cuda_templateIbEESt5tupleIJNSA_6TensorESF_SF_EERKSF_lbbbEUlllE_EE10hipError_tT0_T1_T2_T3_mRjT4_P12ihipStream_tbNS1_7vsmem_tEEUlT_E_NS1_11comp_targetILNS1_3genE2ELNS1_11target_archE906ELNS1_3gpuE6ELNS1_3repE0EEENS1_30default_config_static_selectorELNS0_4arch9wavefront6targetE0EEEvSM_ ; -- Begin function _ZN7rocprim17ROCPRIM_400000_NS6detail17trampoline_kernelINS0_14default_configENS1_37merge_sort_block_sort_config_selectorIlNS0_10empty_typeEEEZNS1_21merge_sort_block_sortIS3_PlS8_PS5_S9_ZN2at6native12_GLOBAL__N_124unique_dim_cuda_templateIbEESt5tupleIJNSA_6TensorESF_SF_EERKSF_lbbbEUlllE_EE10hipError_tT0_T1_T2_T3_mRjT4_P12ihipStream_tbNS1_7vsmem_tEEUlT_E_NS1_11comp_targetILNS1_3genE2ELNS1_11target_archE906ELNS1_3gpuE6ELNS1_3repE0EEENS1_30default_config_static_selectorELNS0_4arch9wavefront6targetE0EEEvSM_
	.p2align	8
	.type	_ZN7rocprim17ROCPRIM_400000_NS6detail17trampoline_kernelINS0_14default_configENS1_37merge_sort_block_sort_config_selectorIlNS0_10empty_typeEEEZNS1_21merge_sort_block_sortIS3_PlS8_PS5_S9_ZN2at6native12_GLOBAL__N_124unique_dim_cuda_templateIbEESt5tupleIJNSA_6TensorESF_SF_EERKSF_lbbbEUlllE_EE10hipError_tT0_T1_T2_T3_mRjT4_P12ihipStream_tbNS1_7vsmem_tEEUlT_E_NS1_11comp_targetILNS1_3genE2ELNS1_11target_archE906ELNS1_3gpuE6ELNS1_3repE0EEENS1_30default_config_static_selectorELNS0_4arch9wavefront6targetE0EEEvSM_,@function
_ZN7rocprim17ROCPRIM_400000_NS6detail17trampoline_kernelINS0_14default_configENS1_37merge_sort_block_sort_config_selectorIlNS0_10empty_typeEEEZNS1_21merge_sort_block_sortIS3_PlS8_PS5_S9_ZN2at6native12_GLOBAL__N_124unique_dim_cuda_templateIbEESt5tupleIJNSA_6TensorESF_SF_EERKSF_lbbbEUlllE_EE10hipError_tT0_T1_T2_T3_mRjT4_P12ihipStream_tbNS1_7vsmem_tEEUlT_E_NS1_11comp_targetILNS1_3genE2ELNS1_11target_archE906ELNS1_3gpuE6ELNS1_3repE0EEENS1_30default_config_static_selectorELNS0_4arch9wavefront6targetE0EEEvSM_: ; @_ZN7rocprim17ROCPRIM_400000_NS6detail17trampoline_kernelINS0_14default_configENS1_37merge_sort_block_sort_config_selectorIlNS0_10empty_typeEEEZNS1_21merge_sort_block_sortIS3_PlS8_PS5_S9_ZN2at6native12_GLOBAL__N_124unique_dim_cuda_templateIbEESt5tupleIJNSA_6TensorESF_SF_EERKSF_lbbbEUlllE_EE10hipError_tT0_T1_T2_T3_mRjT4_P12ihipStream_tbNS1_7vsmem_tEEUlT_E_NS1_11comp_targetILNS1_3genE2ELNS1_11target_archE906ELNS1_3gpuE6ELNS1_3repE0EEENS1_30default_config_static_selectorELNS0_4arch9wavefront6targetE0EEEvSM_
; %bb.0:
	.section	.rodata,"a",@progbits
	.p2align	6, 0x0
	.amdhsa_kernel _ZN7rocprim17ROCPRIM_400000_NS6detail17trampoline_kernelINS0_14default_configENS1_37merge_sort_block_sort_config_selectorIlNS0_10empty_typeEEEZNS1_21merge_sort_block_sortIS3_PlS8_PS5_S9_ZN2at6native12_GLOBAL__N_124unique_dim_cuda_templateIbEESt5tupleIJNSA_6TensorESF_SF_EERKSF_lbbbEUlllE_EE10hipError_tT0_T1_T2_T3_mRjT4_P12ihipStream_tbNS1_7vsmem_tEEUlT_E_NS1_11comp_targetILNS1_3genE2ELNS1_11target_archE906ELNS1_3gpuE6ELNS1_3repE0EEENS1_30default_config_static_selectorELNS0_4arch9wavefront6targetE0EEEvSM_
		.amdhsa_group_segment_fixed_size 0
		.amdhsa_private_segment_fixed_size 0
		.amdhsa_kernarg_size 72
		.amdhsa_user_sgpr_count 15
		.amdhsa_user_sgpr_dispatch_ptr 0
		.amdhsa_user_sgpr_queue_ptr 0
		.amdhsa_user_sgpr_kernarg_segment_ptr 1
		.amdhsa_user_sgpr_dispatch_id 0
		.amdhsa_user_sgpr_private_segment_size 0
		.amdhsa_wavefront_size32 1
		.amdhsa_uses_dynamic_stack 0
		.amdhsa_enable_private_segment 0
		.amdhsa_system_sgpr_workgroup_id_x 1
		.amdhsa_system_sgpr_workgroup_id_y 0
		.amdhsa_system_sgpr_workgroup_id_z 0
		.amdhsa_system_sgpr_workgroup_info 0
		.amdhsa_system_vgpr_workitem_id 0
		.amdhsa_next_free_vgpr 1
		.amdhsa_next_free_sgpr 1
		.amdhsa_reserve_vcc 0
		.amdhsa_float_round_mode_32 0
		.amdhsa_float_round_mode_16_64 0
		.amdhsa_float_denorm_mode_32 3
		.amdhsa_float_denorm_mode_16_64 3
		.amdhsa_dx10_clamp 1
		.amdhsa_ieee_mode 1
		.amdhsa_fp16_overflow 0
		.amdhsa_workgroup_processor_mode 1
		.amdhsa_memory_ordered 1
		.amdhsa_forward_progress 0
		.amdhsa_shared_vgpr_count 0
		.amdhsa_exception_fp_ieee_invalid_op 0
		.amdhsa_exception_fp_denorm_src 0
		.amdhsa_exception_fp_ieee_div_zero 0
		.amdhsa_exception_fp_ieee_overflow 0
		.amdhsa_exception_fp_ieee_underflow 0
		.amdhsa_exception_fp_ieee_inexact 0
		.amdhsa_exception_int_div_zero 0
	.end_amdhsa_kernel
	.section	.text._ZN7rocprim17ROCPRIM_400000_NS6detail17trampoline_kernelINS0_14default_configENS1_37merge_sort_block_sort_config_selectorIlNS0_10empty_typeEEEZNS1_21merge_sort_block_sortIS3_PlS8_PS5_S9_ZN2at6native12_GLOBAL__N_124unique_dim_cuda_templateIbEESt5tupleIJNSA_6TensorESF_SF_EERKSF_lbbbEUlllE_EE10hipError_tT0_T1_T2_T3_mRjT4_P12ihipStream_tbNS1_7vsmem_tEEUlT_E_NS1_11comp_targetILNS1_3genE2ELNS1_11target_archE906ELNS1_3gpuE6ELNS1_3repE0EEENS1_30default_config_static_selectorELNS0_4arch9wavefront6targetE0EEEvSM_,"axG",@progbits,_ZN7rocprim17ROCPRIM_400000_NS6detail17trampoline_kernelINS0_14default_configENS1_37merge_sort_block_sort_config_selectorIlNS0_10empty_typeEEEZNS1_21merge_sort_block_sortIS3_PlS8_PS5_S9_ZN2at6native12_GLOBAL__N_124unique_dim_cuda_templateIbEESt5tupleIJNSA_6TensorESF_SF_EERKSF_lbbbEUlllE_EE10hipError_tT0_T1_T2_T3_mRjT4_P12ihipStream_tbNS1_7vsmem_tEEUlT_E_NS1_11comp_targetILNS1_3genE2ELNS1_11target_archE906ELNS1_3gpuE6ELNS1_3repE0EEENS1_30default_config_static_selectorELNS0_4arch9wavefront6targetE0EEEvSM_,comdat
.Lfunc_end997:
	.size	_ZN7rocprim17ROCPRIM_400000_NS6detail17trampoline_kernelINS0_14default_configENS1_37merge_sort_block_sort_config_selectorIlNS0_10empty_typeEEEZNS1_21merge_sort_block_sortIS3_PlS8_PS5_S9_ZN2at6native12_GLOBAL__N_124unique_dim_cuda_templateIbEESt5tupleIJNSA_6TensorESF_SF_EERKSF_lbbbEUlllE_EE10hipError_tT0_T1_T2_T3_mRjT4_P12ihipStream_tbNS1_7vsmem_tEEUlT_E_NS1_11comp_targetILNS1_3genE2ELNS1_11target_archE906ELNS1_3gpuE6ELNS1_3repE0EEENS1_30default_config_static_selectorELNS0_4arch9wavefront6targetE0EEEvSM_, .Lfunc_end997-_ZN7rocprim17ROCPRIM_400000_NS6detail17trampoline_kernelINS0_14default_configENS1_37merge_sort_block_sort_config_selectorIlNS0_10empty_typeEEEZNS1_21merge_sort_block_sortIS3_PlS8_PS5_S9_ZN2at6native12_GLOBAL__N_124unique_dim_cuda_templateIbEESt5tupleIJNSA_6TensorESF_SF_EERKSF_lbbbEUlllE_EE10hipError_tT0_T1_T2_T3_mRjT4_P12ihipStream_tbNS1_7vsmem_tEEUlT_E_NS1_11comp_targetILNS1_3genE2ELNS1_11target_archE906ELNS1_3gpuE6ELNS1_3repE0EEENS1_30default_config_static_selectorELNS0_4arch9wavefront6targetE0EEEvSM_
                                        ; -- End function
	.section	.AMDGPU.csdata,"",@progbits
; Kernel info:
; codeLenInByte = 0
; NumSgprs: 0
; NumVgprs: 0
; ScratchSize: 0
; MemoryBound: 0
; FloatMode: 240
; IeeeMode: 1
; LDSByteSize: 0 bytes/workgroup (compile time only)
; SGPRBlocks: 0
; VGPRBlocks: 0
; NumSGPRsForWavesPerEU: 1
; NumVGPRsForWavesPerEU: 1
; Occupancy: 16
; WaveLimiterHint : 0
; COMPUTE_PGM_RSRC2:SCRATCH_EN: 0
; COMPUTE_PGM_RSRC2:USER_SGPR: 15
; COMPUTE_PGM_RSRC2:TRAP_HANDLER: 0
; COMPUTE_PGM_RSRC2:TGID_X_EN: 1
; COMPUTE_PGM_RSRC2:TGID_Y_EN: 0
; COMPUTE_PGM_RSRC2:TGID_Z_EN: 0
; COMPUTE_PGM_RSRC2:TIDIG_COMP_CNT: 0
	.section	.text._ZN7rocprim17ROCPRIM_400000_NS6detail17trampoline_kernelINS0_14default_configENS1_37merge_sort_block_sort_config_selectorIlNS0_10empty_typeEEEZNS1_21merge_sort_block_sortIS3_PlS8_PS5_S9_ZN2at6native12_GLOBAL__N_124unique_dim_cuda_templateIbEESt5tupleIJNSA_6TensorESF_SF_EERKSF_lbbbEUlllE_EE10hipError_tT0_T1_T2_T3_mRjT4_P12ihipStream_tbNS1_7vsmem_tEEUlT_E_NS1_11comp_targetILNS1_3genE10ELNS1_11target_archE1201ELNS1_3gpuE5ELNS1_3repE0EEENS1_30default_config_static_selectorELNS0_4arch9wavefront6targetE0EEEvSM_,"axG",@progbits,_ZN7rocprim17ROCPRIM_400000_NS6detail17trampoline_kernelINS0_14default_configENS1_37merge_sort_block_sort_config_selectorIlNS0_10empty_typeEEEZNS1_21merge_sort_block_sortIS3_PlS8_PS5_S9_ZN2at6native12_GLOBAL__N_124unique_dim_cuda_templateIbEESt5tupleIJNSA_6TensorESF_SF_EERKSF_lbbbEUlllE_EE10hipError_tT0_T1_T2_T3_mRjT4_P12ihipStream_tbNS1_7vsmem_tEEUlT_E_NS1_11comp_targetILNS1_3genE10ELNS1_11target_archE1201ELNS1_3gpuE5ELNS1_3repE0EEENS1_30default_config_static_selectorELNS0_4arch9wavefront6targetE0EEEvSM_,comdat
	.globl	_ZN7rocprim17ROCPRIM_400000_NS6detail17trampoline_kernelINS0_14default_configENS1_37merge_sort_block_sort_config_selectorIlNS0_10empty_typeEEEZNS1_21merge_sort_block_sortIS3_PlS8_PS5_S9_ZN2at6native12_GLOBAL__N_124unique_dim_cuda_templateIbEESt5tupleIJNSA_6TensorESF_SF_EERKSF_lbbbEUlllE_EE10hipError_tT0_T1_T2_T3_mRjT4_P12ihipStream_tbNS1_7vsmem_tEEUlT_E_NS1_11comp_targetILNS1_3genE10ELNS1_11target_archE1201ELNS1_3gpuE5ELNS1_3repE0EEENS1_30default_config_static_selectorELNS0_4arch9wavefront6targetE0EEEvSM_ ; -- Begin function _ZN7rocprim17ROCPRIM_400000_NS6detail17trampoline_kernelINS0_14default_configENS1_37merge_sort_block_sort_config_selectorIlNS0_10empty_typeEEEZNS1_21merge_sort_block_sortIS3_PlS8_PS5_S9_ZN2at6native12_GLOBAL__N_124unique_dim_cuda_templateIbEESt5tupleIJNSA_6TensorESF_SF_EERKSF_lbbbEUlllE_EE10hipError_tT0_T1_T2_T3_mRjT4_P12ihipStream_tbNS1_7vsmem_tEEUlT_E_NS1_11comp_targetILNS1_3genE10ELNS1_11target_archE1201ELNS1_3gpuE5ELNS1_3repE0EEENS1_30default_config_static_selectorELNS0_4arch9wavefront6targetE0EEEvSM_
	.p2align	8
	.type	_ZN7rocprim17ROCPRIM_400000_NS6detail17trampoline_kernelINS0_14default_configENS1_37merge_sort_block_sort_config_selectorIlNS0_10empty_typeEEEZNS1_21merge_sort_block_sortIS3_PlS8_PS5_S9_ZN2at6native12_GLOBAL__N_124unique_dim_cuda_templateIbEESt5tupleIJNSA_6TensorESF_SF_EERKSF_lbbbEUlllE_EE10hipError_tT0_T1_T2_T3_mRjT4_P12ihipStream_tbNS1_7vsmem_tEEUlT_E_NS1_11comp_targetILNS1_3genE10ELNS1_11target_archE1201ELNS1_3gpuE5ELNS1_3repE0EEENS1_30default_config_static_selectorELNS0_4arch9wavefront6targetE0EEEvSM_,@function
_ZN7rocprim17ROCPRIM_400000_NS6detail17trampoline_kernelINS0_14default_configENS1_37merge_sort_block_sort_config_selectorIlNS0_10empty_typeEEEZNS1_21merge_sort_block_sortIS3_PlS8_PS5_S9_ZN2at6native12_GLOBAL__N_124unique_dim_cuda_templateIbEESt5tupleIJNSA_6TensorESF_SF_EERKSF_lbbbEUlllE_EE10hipError_tT0_T1_T2_T3_mRjT4_P12ihipStream_tbNS1_7vsmem_tEEUlT_E_NS1_11comp_targetILNS1_3genE10ELNS1_11target_archE1201ELNS1_3gpuE5ELNS1_3repE0EEENS1_30default_config_static_selectorELNS0_4arch9wavefront6targetE0EEEvSM_: ; @_ZN7rocprim17ROCPRIM_400000_NS6detail17trampoline_kernelINS0_14default_configENS1_37merge_sort_block_sort_config_selectorIlNS0_10empty_typeEEEZNS1_21merge_sort_block_sortIS3_PlS8_PS5_S9_ZN2at6native12_GLOBAL__N_124unique_dim_cuda_templateIbEESt5tupleIJNSA_6TensorESF_SF_EERKSF_lbbbEUlllE_EE10hipError_tT0_T1_T2_T3_mRjT4_P12ihipStream_tbNS1_7vsmem_tEEUlT_E_NS1_11comp_targetILNS1_3genE10ELNS1_11target_archE1201ELNS1_3gpuE5ELNS1_3repE0EEENS1_30default_config_static_selectorELNS0_4arch9wavefront6targetE0EEEvSM_
; %bb.0:
	.section	.rodata,"a",@progbits
	.p2align	6, 0x0
	.amdhsa_kernel _ZN7rocprim17ROCPRIM_400000_NS6detail17trampoline_kernelINS0_14default_configENS1_37merge_sort_block_sort_config_selectorIlNS0_10empty_typeEEEZNS1_21merge_sort_block_sortIS3_PlS8_PS5_S9_ZN2at6native12_GLOBAL__N_124unique_dim_cuda_templateIbEESt5tupleIJNSA_6TensorESF_SF_EERKSF_lbbbEUlllE_EE10hipError_tT0_T1_T2_T3_mRjT4_P12ihipStream_tbNS1_7vsmem_tEEUlT_E_NS1_11comp_targetILNS1_3genE10ELNS1_11target_archE1201ELNS1_3gpuE5ELNS1_3repE0EEENS1_30default_config_static_selectorELNS0_4arch9wavefront6targetE0EEEvSM_
		.amdhsa_group_segment_fixed_size 0
		.amdhsa_private_segment_fixed_size 0
		.amdhsa_kernarg_size 72
		.amdhsa_user_sgpr_count 15
		.amdhsa_user_sgpr_dispatch_ptr 0
		.amdhsa_user_sgpr_queue_ptr 0
		.amdhsa_user_sgpr_kernarg_segment_ptr 1
		.amdhsa_user_sgpr_dispatch_id 0
		.amdhsa_user_sgpr_private_segment_size 0
		.amdhsa_wavefront_size32 1
		.amdhsa_uses_dynamic_stack 0
		.amdhsa_enable_private_segment 0
		.amdhsa_system_sgpr_workgroup_id_x 1
		.amdhsa_system_sgpr_workgroup_id_y 0
		.amdhsa_system_sgpr_workgroup_id_z 0
		.amdhsa_system_sgpr_workgroup_info 0
		.amdhsa_system_vgpr_workitem_id 0
		.amdhsa_next_free_vgpr 1
		.amdhsa_next_free_sgpr 1
		.amdhsa_reserve_vcc 0
		.amdhsa_float_round_mode_32 0
		.amdhsa_float_round_mode_16_64 0
		.amdhsa_float_denorm_mode_32 3
		.amdhsa_float_denorm_mode_16_64 3
		.amdhsa_dx10_clamp 1
		.amdhsa_ieee_mode 1
		.amdhsa_fp16_overflow 0
		.amdhsa_workgroup_processor_mode 1
		.amdhsa_memory_ordered 1
		.amdhsa_forward_progress 0
		.amdhsa_shared_vgpr_count 0
		.amdhsa_exception_fp_ieee_invalid_op 0
		.amdhsa_exception_fp_denorm_src 0
		.amdhsa_exception_fp_ieee_div_zero 0
		.amdhsa_exception_fp_ieee_overflow 0
		.amdhsa_exception_fp_ieee_underflow 0
		.amdhsa_exception_fp_ieee_inexact 0
		.amdhsa_exception_int_div_zero 0
	.end_amdhsa_kernel
	.section	.text._ZN7rocprim17ROCPRIM_400000_NS6detail17trampoline_kernelINS0_14default_configENS1_37merge_sort_block_sort_config_selectorIlNS0_10empty_typeEEEZNS1_21merge_sort_block_sortIS3_PlS8_PS5_S9_ZN2at6native12_GLOBAL__N_124unique_dim_cuda_templateIbEESt5tupleIJNSA_6TensorESF_SF_EERKSF_lbbbEUlllE_EE10hipError_tT0_T1_T2_T3_mRjT4_P12ihipStream_tbNS1_7vsmem_tEEUlT_E_NS1_11comp_targetILNS1_3genE10ELNS1_11target_archE1201ELNS1_3gpuE5ELNS1_3repE0EEENS1_30default_config_static_selectorELNS0_4arch9wavefront6targetE0EEEvSM_,"axG",@progbits,_ZN7rocprim17ROCPRIM_400000_NS6detail17trampoline_kernelINS0_14default_configENS1_37merge_sort_block_sort_config_selectorIlNS0_10empty_typeEEEZNS1_21merge_sort_block_sortIS3_PlS8_PS5_S9_ZN2at6native12_GLOBAL__N_124unique_dim_cuda_templateIbEESt5tupleIJNSA_6TensorESF_SF_EERKSF_lbbbEUlllE_EE10hipError_tT0_T1_T2_T3_mRjT4_P12ihipStream_tbNS1_7vsmem_tEEUlT_E_NS1_11comp_targetILNS1_3genE10ELNS1_11target_archE1201ELNS1_3gpuE5ELNS1_3repE0EEENS1_30default_config_static_selectorELNS0_4arch9wavefront6targetE0EEEvSM_,comdat
.Lfunc_end998:
	.size	_ZN7rocprim17ROCPRIM_400000_NS6detail17trampoline_kernelINS0_14default_configENS1_37merge_sort_block_sort_config_selectorIlNS0_10empty_typeEEEZNS1_21merge_sort_block_sortIS3_PlS8_PS5_S9_ZN2at6native12_GLOBAL__N_124unique_dim_cuda_templateIbEESt5tupleIJNSA_6TensorESF_SF_EERKSF_lbbbEUlllE_EE10hipError_tT0_T1_T2_T3_mRjT4_P12ihipStream_tbNS1_7vsmem_tEEUlT_E_NS1_11comp_targetILNS1_3genE10ELNS1_11target_archE1201ELNS1_3gpuE5ELNS1_3repE0EEENS1_30default_config_static_selectorELNS0_4arch9wavefront6targetE0EEEvSM_, .Lfunc_end998-_ZN7rocprim17ROCPRIM_400000_NS6detail17trampoline_kernelINS0_14default_configENS1_37merge_sort_block_sort_config_selectorIlNS0_10empty_typeEEEZNS1_21merge_sort_block_sortIS3_PlS8_PS5_S9_ZN2at6native12_GLOBAL__N_124unique_dim_cuda_templateIbEESt5tupleIJNSA_6TensorESF_SF_EERKSF_lbbbEUlllE_EE10hipError_tT0_T1_T2_T3_mRjT4_P12ihipStream_tbNS1_7vsmem_tEEUlT_E_NS1_11comp_targetILNS1_3genE10ELNS1_11target_archE1201ELNS1_3gpuE5ELNS1_3repE0EEENS1_30default_config_static_selectorELNS0_4arch9wavefront6targetE0EEEvSM_
                                        ; -- End function
	.section	.AMDGPU.csdata,"",@progbits
; Kernel info:
; codeLenInByte = 0
; NumSgprs: 0
; NumVgprs: 0
; ScratchSize: 0
; MemoryBound: 0
; FloatMode: 240
; IeeeMode: 1
; LDSByteSize: 0 bytes/workgroup (compile time only)
; SGPRBlocks: 0
; VGPRBlocks: 0
; NumSGPRsForWavesPerEU: 1
; NumVGPRsForWavesPerEU: 1
; Occupancy: 16
; WaveLimiterHint : 0
; COMPUTE_PGM_RSRC2:SCRATCH_EN: 0
; COMPUTE_PGM_RSRC2:USER_SGPR: 15
; COMPUTE_PGM_RSRC2:TRAP_HANDLER: 0
; COMPUTE_PGM_RSRC2:TGID_X_EN: 1
; COMPUTE_PGM_RSRC2:TGID_Y_EN: 0
; COMPUTE_PGM_RSRC2:TGID_Z_EN: 0
; COMPUTE_PGM_RSRC2:TIDIG_COMP_CNT: 0
	.section	.text._ZN7rocprim17ROCPRIM_400000_NS6detail17trampoline_kernelINS0_14default_configENS1_37merge_sort_block_sort_config_selectorIlNS0_10empty_typeEEEZNS1_21merge_sort_block_sortIS3_PlS8_PS5_S9_ZN2at6native12_GLOBAL__N_124unique_dim_cuda_templateIbEESt5tupleIJNSA_6TensorESF_SF_EERKSF_lbbbEUlllE_EE10hipError_tT0_T1_T2_T3_mRjT4_P12ihipStream_tbNS1_7vsmem_tEEUlT_E_NS1_11comp_targetILNS1_3genE10ELNS1_11target_archE1200ELNS1_3gpuE4ELNS1_3repE0EEENS1_30default_config_static_selectorELNS0_4arch9wavefront6targetE0EEEvSM_,"axG",@progbits,_ZN7rocprim17ROCPRIM_400000_NS6detail17trampoline_kernelINS0_14default_configENS1_37merge_sort_block_sort_config_selectorIlNS0_10empty_typeEEEZNS1_21merge_sort_block_sortIS3_PlS8_PS5_S9_ZN2at6native12_GLOBAL__N_124unique_dim_cuda_templateIbEESt5tupleIJNSA_6TensorESF_SF_EERKSF_lbbbEUlllE_EE10hipError_tT0_T1_T2_T3_mRjT4_P12ihipStream_tbNS1_7vsmem_tEEUlT_E_NS1_11comp_targetILNS1_3genE10ELNS1_11target_archE1200ELNS1_3gpuE4ELNS1_3repE0EEENS1_30default_config_static_selectorELNS0_4arch9wavefront6targetE0EEEvSM_,comdat
	.globl	_ZN7rocprim17ROCPRIM_400000_NS6detail17trampoline_kernelINS0_14default_configENS1_37merge_sort_block_sort_config_selectorIlNS0_10empty_typeEEEZNS1_21merge_sort_block_sortIS3_PlS8_PS5_S9_ZN2at6native12_GLOBAL__N_124unique_dim_cuda_templateIbEESt5tupleIJNSA_6TensorESF_SF_EERKSF_lbbbEUlllE_EE10hipError_tT0_T1_T2_T3_mRjT4_P12ihipStream_tbNS1_7vsmem_tEEUlT_E_NS1_11comp_targetILNS1_3genE10ELNS1_11target_archE1200ELNS1_3gpuE4ELNS1_3repE0EEENS1_30default_config_static_selectorELNS0_4arch9wavefront6targetE0EEEvSM_ ; -- Begin function _ZN7rocprim17ROCPRIM_400000_NS6detail17trampoline_kernelINS0_14default_configENS1_37merge_sort_block_sort_config_selectorIlNS0_10empty_typeEEEZNS1_21merge_sort_block_sortIS3_PlS8_PS5_S9_ZN2at6native12_GLOBAL__N_124unique_dim_cuda_templateIbEESt5tupleIJNSA_6TensorESF_SF_EERKSF_lbbbEUlllE_EE10hipError_tT0_T1_T2_T3_mRjT4_P12ihipStream_tbNS1_7vsmem_tEEUlT_E_NS1_11comp_targetILNS1_3genE10ELNS1_11target_archE1200ELNS1_3gpuE4ELNS1_3repE0EEENS1_30default_config_static_selectorELNS0_4arch9wavefront6targetE0EEEvSM_
	.p2align	8
	.type	_ZN7rocprim17ROCPRIM_400000_NS6detail17trampoline_kernelINS0_14default_configENS1_37merge_sort_block_sort_config_selectorIlNS0_10empty_typeEEEZNS1_21merge_sort_block_sortIS3_PlS8_PS5_S9_ZN2at6native12_GLOBAL__N_124unique_dim_cuda_templateIbEESt5tupleIJNSA_6TensorESF_SF_EERKSF_lbbbEUlllE_EE10hipError_tT0_T1_T2_T3_mRjT4_P12ihipStream_tbNS1_7vsmem_tEEUlT_E_NS1_11comp_targetILNS1_3genE10ELNS1_11target_archE1200ELNS1_3gpuE4ELNS1_3repE0EEENS1_30default_config_static_selectorELNS0_4arch9wavefront6targetE0EEEvSM_,@function
_ZN7rocprim17ROCPRIM_400000_NS6detail17trampoline_kernelINS0_14default_configENS1_37merge_sort_block_sort_config_selectorIlNS0_10empty_typeEEEZNS1_21merge_sort_block_sortIS3_PlS8_PS5_S9_ZN2at6native12_GLOBAL__N_124unique_dim_cuda_templateIbEESt5tupleIJNSA_6TensorESF_SF_EERKSF_lbbbEUlllE_EE10hipError_tT0_T1_T2_T3_mRjT4_P12ihipStream_tbNS1_7vsmem_tEEUlT_E_NS1_11comp_targetILNS1_3genE10ELNS1_11target_archE1200ELNS1_3gpuE4ELNS1_3repE0EEENS1_30default_config_static_selectorELNS0_4arch9wavefront6targetE0EEEvSM_: ; @_ZN7rocprim17ROCPRIM_400000_NS6detail17trampoline_kernelINS0_14default_configENS1_37merge_sort_block_sort_config_selectorIlNS0_10empty_typeEEEZNS1_21merge_sort_block_sortIS3_PlS8_PS5_S9_ZN2at6native12_GLOBAL__N_124unique_dim_cuda_templateIbEESt5tupleIJNSA_6TensorESF_SF_EERKSF_lbbbEUlllE_EE10hipError_tT0_T1_T2_T3_mRjT4_P12ihipStream_tbNS1_7vsmem_tEEUlT_E_NS1_11comp_targetILNS1_3genE10ELNS1_11target_archE1200ELNS1_3gpuE4ELNS1_3repE0EEENS1_30default_config_static_selectorELNS0_4arch9wavefront6targetE0EEEvSM_
; %bb.0:
	.section	.rodata,"a",@progbits
	.p2align	6, 0x0
	.amdhsa_kernel _ZN7rocprim17ROCPRIM_400000_NS6detail17trampoline_kernelINS0_14default_configENS1_37merge_sort_block_sort_config_selectorIlNS0_10empty_typeEEEZNS1_21merge_sort_block_sortIS3_PlS8_PS5_S9_ZN2at6native12_GLOBAL__N_124unique_dim_cuda_templateIbEESt5tupleIJNSA_6TensorESF_SF_EERKSF_lbbbEUlllE_EE10hipError_tT0_T1_T2_T3_mRjT4_P12ihipStream_tbNS1_7vsmem_tEEUlT_E_NS1_11comp_targetILNS1_3genE10ELNS1_11target_archE1200ELNS1_3gpuE4ELNS1_3repE0EEENS1_30default_config_static_selectorELNS0_4arch9wavefront6targetE0EEEvSM_
		.amdhsa_group_segment_fixed_size 0
		.amdhsa_private_segment_fixed_size 0
		.amdhsa_kernarg_size 72
		.amdhsa_user_sgpr_count 15
		.amdhsa_user_sgpr_dispatch_ptr 0
		.amdhsa_user_sgpr_queue_ptr 0
		.amdhsa_user_sgpr_kernarg_segment_ptr 1
		.amdhsa_user_sgpr_dispatch_id 0
		.amdhsa_user_sgpr_private_segment_size 0
		.amdhsa_wavefront_size32 1
		.amdhsa_uses_dynamic_stack 0
		.amdhsa_enable_private_segment 0
		.amdhsa_system_sgpr_workgroup_id_x 1
		.amdhsa_system_sgpr_workgroup_id_y 0
		.amdhsa_system_sgpr_workgroup_id_z 0
		.amdhsa_system_sgpr_workgroup_info 0
		.amdhsa_system_vgpr_workitem_id 0
		.amdhsa_next_free_vgpr 1
		.amdhsa_next_free_sgpr 1
		.amdhsa_reserve_vcc 0
		.amdhsa_float_round_mode_32 0
		.amdhsa_float_round_mode_16_64 0
		.amdhsa_float_denorm_mode_32 3
		.amdhsa_float_denorm_mode_16_64 3
		.amdhsa_dx10_clamp 1
		.amdhsa_ieee_mode 1
		.amdhsa_fp16_overflow 0
		.amdhsa_workgroup_processor_mode 1
		.amdhsa_memory_ordered 1
		.amdhsa_forward_progress 0
		.amdhsa_shared_vgpr_count 0
		.amdhsa_exception_fp_ieee_invalid_op 0
		.amdhsa_exception_fp_denorm_src 0
		.amdhsa_exception_fp_ieee_div_zero 0
		.amdhsa_exception_fp_ieee_overflow 0
		.amdhsa_exception_fp_ieee_underflow 0
		.amdhsa_exception_fp_ieee_inexact 0
		.amdhsa_exception_int_div_zero 0
	.end_amdhsa_kernel
	.section	.text._ZN7rocprim17ROCPRIM_400000_NS6detail17trampoline_kernelINS0_14default_configENS1_37merge_sort_block_sort_config_selectorIlNS0_10empty_typeEEEZNS1_21merge_sort_block_sortIS3_PlS8_PS5_S9_ZN2at6native12_GLOBAL__N_124unique_dim_cuda_templateIbEESt5tupleIJNSA_6TensorESF_SF_EERKSF_lbbbEUlllE_EE10hipError_tT0_T1_T2_T3_mRjT4_P12ihipStream_tbNS1_7vsmem_tEEUlT_E_NS1_11comp_targetILNS1_3genE10ELNS1_11target_archE1200ELNS1_3gpuE4ELNS1_3repE0EEENS1_30default_config_static_selectorELNS0_4arch9wavefront6targetE0EEEvSM_,"axG",@progbits,_ZN7rocprim17ROCPRIM_400000_NS6detail17trampoline_kernelINS0_14default_configENS1_37merge_sort_block_sort_config_selectorIlNS0_10empty_typeEEEZNS1_21merge_sort_block_sortIS3_PlS8_PS5_S9_ZN2at6native12_GLOBAL__N_124unique_dim_cuda_templateIbEESt5tupleIJNSA_6TensorESF_SF_EERKSF_lbbbEUlllE_EE10hipError_tT0_T1_T2_T3_mRjT4_P12ihipStream_tbNS1_7vsmem_tEEUlT_E_NS1_11comp_targetILNS1_3genE10ELNS1_11target_archE1200ELNS1_3gpuE4ELNS1_3repE0EEENS1_30default_config_static_selectorELNS0_4arch9wavefront6targetE0EEEvSM_,comdat
.Lfunc_end999:
	.size	_ZN7rocprim17ROCPRIM_400000_NS6detail17trampoline_kernelINS0_14default_configENS1_37merge_sort_block_sort_config_selectorIlNS0_10empty_typeEEEZNS1_21merge_sort_block_sortIS3_PlS8_PS5_S9_ZN2at6native12_GLOBAL__N_124unique_dim_cuda_templateIbEESt5tupleIJNSA_6TensorESF_SF_EERKSF_lbbbEUlllE_EE10hipError_tT0_T1_T2_T3_mRjT4_P12ihipStream_tbNS1_7vsmem_tEEUlT_E_NS1_11comp_targetILNS1_3genE10ELNS1_11target_archE1200ELNS1_3gpuE4ELNS1_3repE0EEENS1_30default_config_static_selectorELNS0_4arch9wavefront6targetE0EEEvSM_, .Lfunc_end999-_ZN7rocprim17ROCPRIM_400000_NS6detail17trampoline_kernelINS0_14default_configENS1_37merge_sort_block_sort_config_selectorIlNS0_10empty_typeEEEZNS1_21merge_sort_block_sortIS3_PlS8_PS5_S9_ZN2at6native12_GLOBAL__N_124unique_dim_cuda_templateIbEESt5tupleIJNSA_6TensorESF_SF_EERKSF_lbbbEUlllE_EE10hipError_tT0_T1_T2_T3_mRjT4_P12ihipStream_tbNS1_7vsmem_tEEUlT_E_NS1_11comp_targetILNS1_3genE10ELNS1_11target_archE1200ELNS1_3gpuE4ELNS1_3repE0EEENS1_30default_config_static_selectorELNS0_4arch9wavefront6targetE0EEEvSM_
                                        ; -- End function
	.section	.AMDGPU.csdata,"",@progbits
; Kernel info:
; codeLenInByte = 0
; NumSgprs: 0
; NumVgprs: 0
; ScratchSize: 0
; MemoryBound: 0
; FloatMode: 240
; IeeeMode: 1
; LDSByteSize: 0 bytes/workgroup (compile time only)
; SGPRBlocks: 0
; VGPRBlocks: 0
; NumSGPRsForWavesPerEU: 1
; NumVGPRsForWavesPerEU: 1
; Occupancy: 16
; WaveLimiterHint : 0
; COMPUTE_PGM_RSRC2:SCRATCH_EN: 0
; COMPUTE_PGM_RSRC2:USER_SGPR: 15
; COMPUTE_PGM_RSRC2:TRAP_HANDLER: 0
; COMPUTE_PGM_RSRC2:TGID_X_EN: 1
; COMPUTE_PGM_RSRC2:TGID_Y_EN: 0
; COMPUTE_PGM_RSRC2:TGID_Z_EN: 0
; COMPUTE_PGM_RSRC2:TIDIG_COMP_CNT: 0
	.section	.text._ZN7rocprim17ROCPRIM_400000_NS6detail17trampoline_kernelINS0_14default_configENS1_37merge_sort_block_sort_config_selectorIlNS0_10empty_typeEEEZNS1_21merge_sort_block_sortIS3_PlS8_PS5_S9_ZN2at6native12_GLOBAL__N_124unique_dim_cuda_templateIbEESt5tupleIJNSA_6TensorESF_SF_EERKSF_lbbbEUlllE_EE10hipError_tT0_T1_T2_T3_mRjT4_P12ihipStream_tbNS1_7vsmem_tEEUlT_E_NS1_11comp_targetILNS1_3genE9ELNS1_11target_archE1100ELNS1_3gpuE3ELNS1_3repE0EEENS1_30default_config_static_selectorELNS0_4arch9wavefront6targetE0EEEvSM_,"axG",@progbits,_ZN7rocprim17ROCPRIM_400000_NS6detail17trampoline_kernelINS0_14default_configENS1_37merge_sort_block_sort_config_selectorIlNS0_10empty_typeEEEZNS1_21merge_sort_block_sortIS3_PlS8_PS5_S9_ZN2at6native12_GLOBAL__N_124unique_dim_cuda_templateIbEESt5tupleIJNSA_6TensorESF_SF_EERKSF_lbbbEUlllE_EE10hipError_tT0_T1_T2_T3_mRjT4_P12ihipStream_tbNS1_7vsmem_tEEUlT_E_NS1_11comp_targetILNS1_3genE9ELNS1_11target_archE1100ELNS1_3gpuE3ELNS1_3repE0EEENS1_30default_config_static_selectorELNS0_4arch9wavefront6targetE0EEEvSM_,comdat
	.globl	_ZN7rocprim17ROCPRIM_400000_NS6detail17trampoline_kernelINS0_14default_configENS1_37merge_sort_block_sort_config_selectorIlNS0_10empty_typeEEEZNS1_21merge_sort_block_sortIS3_PlS8_PS5_S9_ZN2at6native12_GLOBAL__N_124unique_dim_cuda_templateIbEESt5tupleIJNSA_6TensorESF_SF_EERKSF_lbbbEUlllE_EE10hipError_tT0_T1_T2_T3_mRjT4_P12ihipStream_tbNS1_7vsmem_tEEUlT_E_NS1_11comp_targetILNS1_3genE9ELNS1_11target_archE1100ELNS1_3gpuE3ELNS1_3repE0EEENS1_30default_config_static_selectorELNS0_4arch9wavefront6targetE0EEEvSM_ ; -- Begin function _ZN7rocprim17ROCPRIM_400000_NS6detail17trampoline_kernelINS0_14default_configENS1_37merge_sort_block_sort_config_selectorIlNS0_10empty_typeEEEZNS1_21merge_sort_block_sortIS3_PlS8_PS5_S9_ZN2at6native12_GLOBAL__N_124unique_dim_cuda_templateIbEESt5tupleIJNSA_6TensorESF_SF_EERKSF_lbbbEUlllE_EE10hipError_tT0_T1_T2_T3_mRjT4_P12ihipStream_tbNS1_7vsmem_tEEUlT_E_NS1_11comp_targetILNS1_3genE9ELNS1_11target_archE1100ELNS1_3gpuE3ELNS1_3repE0EEENS1_30default_config_static_selectorELNS0_4arch9wavefront6targetE0EEEvSM_
	.p2align	8
	.type	_ZN7rocprim17ROCPRIM_400000_NS6detail17trampoline_kernelINS0_14default_configENS1_37merge_sort_block_sort_config_selectorIlNS0_10empty_typeEEEZNS1_21merge_sort_block_sortIS3_PlS8_PS5_S9_ZN2at6native12_GLOBAL__N_124unique_dim_cuda_templateIbEESt5tupleIJNSA_6TensorESF_SF_EERKSF_lbbbEUlllE_EE10hipError_tT0_T1_T2_T3_mRjT4_P12ihipStream_tbNS1_7vsmem_tEEUlT_E_NS1_11comp_targetILNS1_3genE9ELNS1_11target_archE1100ELNS1_3gpuE3ELNS1_3repE0EEENS1_30default_config_static_selectorELNS0_4arch9wavefront6targetE0EEEvSM_,@function
_ZN7rocprim17ROCPRIM_400000_NS6detail17trampoline_kernelINS0_14default_configENS1_37merge_sort_block_sort_config_selectorIlNS0_10empty_typeEEEZNS1_21merge_sort_block_sortIS3_PlS8_PS5_S9_ZN2at6native12_GLOBAL__N_124unique_dim_cuda_templateIbEESt5tupleIJNSA_6TensorESF_SF_EERKSF_lbbbEUlllE_EE10hipError_tT0_T1_T2_T3_mRjT4_P12ihipStream_tbNS1_7vsmem_tEEUlT_E_NS1_11comp_targetILNS1_3genE9ELNS1_11target_archE1100ELNS1_3gpuE3ELNS1_3repE0EEENS1_30default_config_static_selectorELNS0_4arch9wavefront6targetE0EEEvSM_: ; @_ZN7rocprim17ROCPRIM_400000_NS6detail17trampoline_kernelINS0_14default_configENS1_37merge_sort_block_sort_config_selectorIlNS0_10empty_typeEEEZNS1_21merge_sort_block_sortIS3_PlS8_PS5_S9_ZN2at6native12_GLOBAL__N_124unique_dim_cuda_templateIbEESt5tupleIJNSA_6TensorESF_SF_EERKSF_lbbbEUlllE_EE10hipError_tT0_T1_T2_T3_mRjT4_P12ihipStream_tbNS1_7vsmem_tEEUlT_E_NS1_11comp_targetILNS1_3genE9ELNS1_11target_archE1100ELNS1_3gpuE3ELNS1_3repE0EEENS1_30default_config_static_selectorELNS0_4arch9wavefront6targetE0EEEvSM_
; %bb.0:
	s_clause 0x1
	s_load_b64 s[16:17], s[0:1], 0x48
	s_load_b32 s3, s[0:1], 0x0
	s_add_u32 s4, s0, 0x48
	s_addc_u32 s5, s1, 0
	s_waitcnt lgkmcnt(0)
	s_mul_i32 s2, s17, s15
	s_delay_alu instid0(SALU_CYCLE_1) | instskip(NEXT) | instid1(SALU_CYCLE_1)
	s_add_i32 s2, s2, s14
	s_mul_i32 s2, s2, s16
	s_delay_alu instid0(SALU_CYCLE_1) | instskip(NEXT) | instid1(SALU_CYCLE_1)
	s_add_i32 s2, s2, s13
	s_cmp_ge_u32 s2, s3
	s_cbranch_scc1 .LBB1000_726
; %bb.1:
	s_clause 0x2
	s_load_b64 s[18:19], s[0:1], 0x8
	s_load_b128 s[8:11], s[0:1], 0x38
	s_load_b128 s[20:23], s[0:1], 0x18
	v_and_b32_e32 v12, 0x3ff, v0
	s_mov_b32 s3, 0
	v_bfe_u32 v24, v0, 10, 10
	s_lshl_b64 s[0:1], s[2:3], 13
	v_bfe_u32 v25, v0, 20, 10
	v_lshlrev_b32_e32 v22, 3, v12
	v_lshrrev_b32_e32 v27, 2, v12
	v_add_nc_u32_e32 v30, 0x100, v12
	v_add_nc_u32_e32 v29, 0x200, v12
	v_add_nc_u32_e32 v28, 0x300, v12
	v_lshlrev_b32_e32 v23, 2, v12
	v_lshrrev_b32_e32 v26, 3, v12
	s_waitcnt lgkmcnt(0)
	s_lshr_b64 s[24:25], s[18:19], 10
	v_cmp_gt_i64_e64 s12, s[8:9], 0
	s_add_u32 s14, s20, s0
	s_addc_u32 s15, s21, s1
	s_add_u32 s6, s22, s0
	s_addc_u32 s7, s23, s1
	s_cmp_lg_u64 s[24:25], s[2:3]
	s_cbranch_scc0 .LBB1000_8
; %bb.2:
	v_add_co_u32 v0, s0, s14, v22
	s_delay_alu instid0(VALU_DEP_1) | instskip(SKIP_1) | instid1(VALU_DEP_3)
	v_add_co_ci_u32_e64 v1, null, s15, 0, s0
	v_lshrrev_b32_e32 v8, 2, v30
	v_add_co_u32 v0, vcc_lo, 0x1000, v0
	s_delay_alu instid0(VALU_DEP_3)
	v_add_co_ci_u32_e32 v1, vcc_lo, 0, v1, vcc_lo
	v_lshrrev_b32_e32 v9, 2, v29
	s_clause 0x3
	global_load_b64 v[2:3], v22, s[14:15]
	global_load_b64 v[4:5], v22, s[14:15] offset:2048
	global_load_b64 v[6:7], v[0:1], off
	global_load_b64 v[0:1], v[0:1], off offset:2048
	v_lshrrev_b32_e32 v10, 2, v28
	v_and_b32_e32 v11, 0xf8, v27
	v_dual_mov_b32 v13, 0 :: v_dual_and_b32 v8, 0x1f8, v8
	v_and_b32_e32 v9, 0x1f8, v9
	s_delay_alu instid0(VALU_DEP_4) | instskip(NEXT) | instid1(VALU_DEP_4)
	v_and_b32_e32 v10, 0x1f8, v10
	v_add_nc_u32_e32 v31, v11, v22
	v_add_lshl_u32 v35, v26, v23, 3
	v_add_nc_u32_e32 v34, v8, v22
	v_add_nc_u32_e32 v32, v9, v22
	;; [unrolled: 1-line block ×3, first 2 shown]
	v_cndmask_b32_e64 v36, 0, 1, s12
	s_waitcnt vmcnt(3)
	ds_store_b64 v31, v[2:3]
	s_waitcnt vmcnt(2)
	ds_store_b64 v34, v[4:5] offset:2048
	s_waitcnt vmcnt(1)
	ds_store_b64 v32, v[6:7] offset:4096
	;; [unrolled: 2-line block ×3, first 2 shown]
	s_waitcnt lgkmcnt(0)
	s_barrier
	buffer_gl0_inv
	ds_load_2addr_b64 v[8:11], v35 offset1:1
	ds_load_2addr_b64 v[4:7], v35 offset0:2 offset1:3
	s_waitcnt lgkmcnt(0)
	s_barrier
	buffer_gl0_inv
	s_load_b32 s0, s[4:5], 0xc
	v_dual_mov_b32 v3, v11 :: v_dual_mov_b32 v2, v10
	s_waitcnt lgkmcnt(0)
	s_lshr_b32 s17, s0, 16
	s_cmp_lt_u32 s13, s16
	v_mad_u32_u24 v1, v25, s17, v24
	s_cselect_b32 s0, 12, 18
	s_delay_alu instid0(SALU_CYCLE_1)
	s_add_u32 s0, s4, s0
	s_addc_u32 s1, s5, 0
	global_load_u16 v0, v13, s[0:1]
	s_mov_b32 s1, exec_lo
	s_waitcnt vmcnt(0)
	v_mul_lo_u32 v0, v1, v0
	v_mov_b32_e32 v1, v9
	s_delay_alu instid0(VALU_DEP_2) | instskip(SKIP_1) | instid1(VALU_DEP_2)
	v_add_lshl_u32 v37, v0, v12, 2
	v_mov_b32_e32 v0, v8
	v_cmpx_gt_u32_e32 0x400, v37
	s_cbranch_execz .LBB1000_60
; %bb.3:
	s_and_not1_b32 vcc_lo, exec_lo, s12
	s_cbranch_vccnz .LBB1000_14
; %bb.4:
	v_mad_u64_u32 v[14:15], null, v10, s8, s[10:11]
	v_mul_lo_u32 v18, v10, s9
	v_mul_lo_u32 v19, v11, s8
	v_mad_u64_u32 v[16:17], null, v8, s8, s[10:11]
	v_mul_lo_u32 v20, v8, s9
	v_mul_lo_u32 v21, v9, s8
	s_mov_b32 s19, 0
	s_mov_b64 s[20:21], s[8:9]
                                        ; implicit-def: $sgpr17
                                        ; implicit-def: $sgpr22
                                        ; implicit-def: $sgpr24
                                        ; implicit-def: $sgpr23
                                        ; implicit-def: $sgpr25
                                        ; implicit-def: $sgpr26
	s_delay_alu instid0(VALU_DEP_4) | instskip(NEXT) | instid1(VALU_DEP_2)
	v_add3_u32 v15, v19, v15, v18
	v_add3_u32 v17, v21, v17, v20
	s_branch .LBB1000_6
.LBB1000_5:                             ;   in Loop: Header=BB1000_6 Depth=1
	s_or_b32 exec_lo, exec_lo, s27
	s_delay_alu instid0(SALU_CYCLE_1) | instskip(NEXT) | instid1(SALU_CYCLE_1)
	s_and_b32 s27, exec_lo, s24
	s_or_b32 s19, s27, s19
	s_and_not1_b32 s26, s26, exec_lo
	s_and_b32 s27, s25, exec_lo
	s_and_not1_b32 s22, s22, exec_lo
	s_or_b32 s26, s26, s27
	s_and_b32 s27, s23, exec_lo
	s_and_not1_b32 s17, s17, exec_lo
	s_and_b32 s0, s0, exec_lo
	s_or_b32 s22, s22, s27
	s_or_b32 s17, s17, s0
	s_and_not1_b32 exec_lo, exec_lo, s19
	s_cbranch_execz .LBB1000_9
.LBB1000_6:                             ; =>This Inner Loop Header: Depth=1
	global_load_u8 v18, v[14:15], off
	global_load_u8 v19, v[16:17], off
	s_and_not1_b32 s25, s25, exec_lo
	s_or_b32 s23, s23, exec_lo
	s_or_b32 s24, s24, exec_lo
	s_waitcnt vmcnt(1)
	v_cmp_eq_u16_e32 vcc_lo, 0, v18
	s_waitcnt vmcnt(0)
	v_cmp_ne_u16_e64 s0, 0, v19
	s_delay_alu instid0(VALU_DEP_1)
	s_or_b32 s27, vcc_lo, s0
	s_and_b32 s28, vcc_lo, s0
	s_and_b32 s27, s27, s26
	s_xor_b32 s29, vcc_lo, s0
	s_or_b32 s0, s28, s27
	s_and_saveexec_b32 s27, s29
	s_cbranch_execz .LBB1000_5
; %bb.7:                                ;   in Loop: Header=BB1000_6 Depth=1
	s_add_u32 s20, s20, -1
	s_addc_u32 s21, s21, -1
	v_add_co_u32 v14, vcc_lo, v14, 1
	s_cmp_eq_u64 s[20:21], 0
	v_add_co_ci_u32_e32 v15, vcc_lo, 0, v15, vcc_lo
	v_add_co_u32 v16, vcc_lo, v16, 1
	s_cselect_b32 s26, -1, 0
	v_add_co_ci_u32_e32 v17, vcc_lo, 0, v17, vcc_lo
	s_and_not1_b32 s25, s25, exec_lo
	s_and_b32 s28, s0, exec_lo
	s_and_not1_b32 s24, s24, exec_lo
	s_and_b32 s26, s26, exec_lo
	s_or_b32 s25, s25, s28
	s_and_not1_b32 s23, s23, exec_lo
	s_or_b32 s24, s24, s26
                                        ; implicit-def: $sgpr26
	s_branch .LBB1000_5
.LBB1000_8:
	s_mov_b32 s12, s3
                                        ; implicit-def: $vgpr0_vgpr1
	s_cbranch_execnz .LBB1000_430
	s_branch .LBB1000_724
.LBB1000_9:
	s_or_b32 exec_lo, exec_lo, s19
	s_and_saveexec_b32 s0, s22
	s_delay_alu instid0(SALU_CYCLE_1)
	s_xor_b32 s0, exec_lo, s0
	s_cbranch_execz .LBB1000_13
; %bb.10:
	v_dual_mov_b32 v15, v11 :: v_dual_mov_b32 v14, v10
	s_and_saveexec_b32 s19, s17
; %bb.11:
	v_dual_mov_b32 v0, v10 :: v_dual_mov_b32 v1, v11
	v_dual_mov_b32 v2, v8 :: v_dual_mov_b32 v3, v9
	;; [unrolled: 1-line block ×4, first 2 shown]
; %bb.12:
	s_or_b32 exec_lo, exec_lo, s19
	s_delay_alu instid0(VALU_DEP_2)
	v_dual_mov_b32 v10, v14 :: v_dual_mov_b32 v11, v15
.LBB1000_13:
	s_or_b32 exec_lo, exec_lo, s0
.LBB1000_14:
	v_dual_mov_b32 v16, v6 :: v_dual_mov_b32 v17, v7
	v_dual_mov_b32 v14, v4 :: v_dual_mov_b32 v15, v5
	s_and_not1_b32 vcc_lo, exec_lo, s12
	s_cbranch_vccnz .LBB1000_24
; %bb.15:
	v_mad_u64_u32 v[18:19], null, v6, s8, s[10:11]
	v_mul_lo_u32 v38, v6, s9
	v_mul_lo_u32 v39, v7, s8
	v_mad_u64_u32 v[20:21], null, v4, s8, s[10:11]
	v_mul_lo_u32 v40, v4, s9
	v_mul_lo_u32 v41, v5, s8
	s_mov_b32 s19, 0
	s_mov_b64 s[20:21], s[8:9]
                                        ; implicit-def: $sgpr17
                                        ; implicit-def: $sgpr22
                                        ; implicit-def: $sgpr24
                                        ; implicit-def: $sgpr23
                                        ; implicit-def: $sgpr25
                                        ; implicit-def: $sgpr26
	s_delay_alu instid0(VALU_DEP_4) | instskip(NEXT) | instid1(VALU_DEP_2)
	v_add3_u32 v19, v39, v19, v38
	v_add3_u32 v21, v41, v21, v40
	s_branch .LBB1000_17
.LBB1000_16:                            ;   in Loop: Header=BB1000_17 Depth=1
	s_or_b32 exec_lo, exec_lo, s27
	s_delay_alu instid0(SALU_CYCLE_1) | instskip(NEXT) | instid1(SALU_CYCLE_1)
	s_and_b32 s27, exec_lo, s24
	s_or_b32 s19, s27, s19
	s_and_not1_b32 s26, s26, exec_lo
	s_and_b32 s27, s25, exec_lo
	s_and_not1_b32 s22, s22, exec_lo
	s_or_b32 s26, s26, s27
	s_and_b32 s27, s23, exec_lo
	s_and_not1_b32 s17, s17, exec_lo
	s_and_b32 s0, s0, exec_lo
	s_or_b32 s22, s22, s27
	s_or_b32 s17, s17, s0
	s_and_not1_b32 exec_lo, exec_lo, s19
	s_cbranch_execz .LBB1000_19
.LBB1000_17:                            ; =>This Inner Loop Header: Depth=1
	global_load_u8 v38, v[18:19], off
	global_load_u8 v39, v[20:21], off
	s_and_not1_b32 s25, s25, exec_lo
	s_or_b32 s23, s23, exec_lo
	s_or_b32 s24, s24, exec_lo
	s_waitcnt vmcnt(1)
	v_cmp_eq_u16_e32 vcc_lo, 0, v38
	s_waitcnt vmcnt(0)
	v_cmp_ne_u16_e64 s0, 0, v39
	s_delay_alu instid0(VALU_DEP_1)
	s_or_b32 s27, vcc_lo, s0
	s_and_b32 s28, vcc_lo, s0
	s_and_b32 s27, s27, s26
	s_xor_b32 s29, vcc_lo, s0
	s_or_b32 s0, s28, s27
	s_and_saveexec_b32 s27, s29
	s_cbranch_execz .LBB1000_16
; %bb.18:                               ;   in Loop: Header=BB1000_17 Depth=1
	s_add_u32 s20, s20, -1
	s_addc_u32 s21, s21, -1
	v_add_co_u32 v18, vcc_lo, v18, 1
	s_cmp_eq_u64 s[20:21], 0
	v_add_co_ci_u32_e32 v19, vcc_lo, 0, v19, vcc_lo
	v_add_co_u32 v20, vcc_lo, v20, 1
	s_cselect_b32 s26, -1, 0
	v_add_co_ci_u32_e32 v21, vcc_lo, 0, v21, vcc_lo
	s_and_not1_b32 s25, s25, exec_lo
	s_and_b32 s28, s0, exec_lo
	s_and_not1_b32 s24, s24, exec_lo
	s_and_b32 s26, s26, exec_lo
	s_or_b32 s25, s25, s28
	s_and_not1_b32 s23, s23, exec_lo
	s_or_b32 s24, s24, s26
                                        ; implicit-def: $sgpr26
	s_branch .LBB1000_16
.LBB1000_19:
	s_or_b32 exec_lo, exec_lo, s19
	s_and_saveexec_b32 s0, s22
	s_delay_alu instid0(SALU_CYCLE_1)
	s_xor_b32 s0, exec_lo, s0
	s_cbranch_execz .LBB1000_23
; %bb.20:
	s_and_saveexec_b32 s19, s17
; %bb.21:
	v_dual_mov_b32 v38, v0 :: v_dual_mov_b32 v39, v1
	v_dual_mov_b32 v40, v2 :: v_dual_mov_b32 v41, v3
	;; [unrolled: 1-line block ×11, first 2 shown]
; %bb.22:
	s_or_b32 exec_lo, exec_lo, s19
.LBB1000_23:
	s_delay_alu instid0(SALU_CYCLE_1)
	s_or_b32 exec_lo, exec_lo, s0
.LBB1000_24:
	s_delay_alu instid0(SALU_CYCLE_1)
	s_and_b32 vcc_lo, exec_lo, s12
	s_cbranch_vccz .LBB1000_34
; %bb.25:
	v_mad_u64_u32 v[18:19], null, v14, s8, s[10:11]
	v_mul_lo_u32 v38, v14, s9
	v_mul_lo_u32 v39, v15, s8
	v_mad_u64_u32 v[20:21], null, v10, s8, s[10:11]
	v_mul_lo_u32 v40, v10, s9
	v_mul_lo_u32 v41, v11, s8
	s_mov_b32 s17, 0
	s_mov_b64 s[20:21], s[8:9]
                                        ; implicit-def: $sgpr12
                                        ; implicit-def: $sgpr19
                                        ; implicit-def: $sgpr23
                                        ; implicit-def: $sgpr22
                                        ; implicit-def: $sgpr24
                                        ; implicit-def: $sgpr25
	s_delay_alu instid0(VALU_DEP_4) | instskip(NEXT) | instid1(VALU_DEP_2)
	v_add3_u32 v19, v39, v19, v38
	v_add3_u32 v21, v41, v21, v40
	s_branch .LBB1000_27
.LBB1000_26:                            ;   in Loop: Header=BB1000_27 Depth=1
	s_or_b32 exec_lo, exec_lo, s26
	s_delay_alu instid0(SALU_CYCLE_1) | instskip(NEXT) | instid1(SALU_CYCLE_1)
	s_and_b32 s26, exec_lo, s23
	s_or_b32 s17, s26, s17
	s_and_not1_b32 s25, s25, exec_lo
	s_and_b32 s26, s24, exec_lo
	s_and_not1_b32 s19, s19, exec_lo
	s_or_b32 s25, s25, s26
	s_and_b32 s26, s22, exec_lo
	s_and_not1_b32 s12, s12, exec_lo
	s_and_b32 s0, s0, exec_lo
	s_or_b32 s19, s19, s26
	s_or_b32 s12, s12, s0
	s_and_not1_b32 exec_lo, exec_lo, s17
	s_cbranch_execz .LBB1000_29
.LBB1000_27:                            ; =>This Inner Loop Header: Depth=1
	global_load_u8 v38, v[18:19], off
	global_load_u8 v39, v[20:21], off
	s_and_not1_b32 s24, s24, exec_lo
	s_or_b32 s22, s22, exec_lo
	s_or_b32 s23, s23, exec_lo
	s_waitcnt vmcnt(1)
	v_cmp_eq_u16_e32 vcc_lo, 0, v38
	s_waitcnt vmcnt(0)
	v_cmp_ne_u16_e64 s0, 0, v39
	s_delay_alu instid0(VALU_DEP_1)
	s_or_b32 s26, vcc_lo, s0
	s_and_b32 s27, vcc_lo, s0
	s_and_b32 s26, s26, s25
	s_xor_b32 s28, vcc_lo, s0
	s_or_b32 s0, s27, s26
	s_and_saveexec_b32 s26, s28
	s_cbranch_execz .LBB1000_26
; %bb.28:                               ;   in Loop: Header=BB1000_27 Depth=1
	s_add_u32 s20, s20, -1
	s_addc_u32 s21, s21, -1
	v_add_co_u32 v18, vcc_lo, v18, 1
	s_cmp_eq_u64 s[20:21], 0
	v_add_co_ci_u32_e32 v19, vcc_lo, 0, v19, vcc_lo
	v_add_co_u32 v20, vcc_lo, v20, 1
	s_cselect_b32 s25, -1, 0
	v_add_co_ci_u32_e32 v21, vcc_lo, 0, v21, vcc_lo
	s_and_not1_b32 s24, s24, exec_lo
	s_and_b32 s27, s0, exec_lo
	s_and_not1_b32 s23, s23, exec_lo
	s_and_b32 s25, s25, exec_lo
	s_or_b32 s24, s24, s27
	s_and_not1_b32 s22, s22, exec_lo
	s_or_b32 s23, s23, s25
                                        ; implicit-def: $sgpr25
	s_branch .LBB1000_26
.LBB1000_29:
	s_or_b32 exec_lo, exec_lo, s17
	s_and_saveexec_b32 s0, s19
	s_delay_alu instid0(SALU_CYCLE_1)
	s_xor_b32 s0, exec_lo, s0
	s_cbranch_execz .LBB1000_33
; %bb.30:
	v_dual_mov_b32 v19, v11 :: v_dual_mov_b32 v18, v10
	s_and_saveexec_b32 s17, s12
; %bb.31:
	v_dual_mov_b32 v2, v14 :: v_dual_mov_b32 v3, v15
	v_dual_mov_b32 v4, v10 :: v_dual_mov_b32 v5, v11
	;; [unrolled: 1-line block ×4, first 2 shown]
; %bb.32:
	s_or_b32 exec_lo, exec_lo, s17
	s_delay_alu instid0(VALU_DEP_2)
	v_dual_mov_b32 v10, v18 :: v_dual_mov_b32 v11, v19
.LBB1000_33:
	s_or_b32 exec_lo, exec_lo, s0
.LBB1000_34:
	v_cmp_ne_u32_e32 vcc_lo, 1, v36
	s_cbranch_vccnz .LBB1000_44
; %bb.35:
	s_delay_alu instid0(VALU_DEP_2)
	v_mad_u64_u32 v[18:19], null, v10, s8, s[10:11]
	v_mul_lo_u32 v38, v10, s9
	v_mul_lo_u32 v39, v11, s8
	v_mad_u64_u32 v[20:21], null, v8, s8, s[10:11]
	v_mul_lo_u32 v40, v8, s9
	v_mul_lo_u32 v41, v9, s8
	s_mov_b32 s17, 0
	s_mov_b64 s[20:21], s[8:9]
                                        ; implicit-def: $sgpr12
                                        ; implicit-def: $sgpr19
                                        ; implicit-def: $sgpr23
                                        ; implicit-def: $sgpr22
                                        ; implicit-def: $sgpr24
                                        ; implicit-def: $sgpr25
	s_delay_alu instid0(VALU_DEP_4) | instskip(NEXT) | instid1(VALU_DEP_2)
	v_add3_u32 v19, v39, v19, v38
	v_add3_u32 v21, v41, v21, v40
	s_branch .LBB1000_37
.LBB1000_36:                            ;   in Loop: Header=BB1000_37 Depth=1
	s_or_b32 exec_lo, exec_lo, s26
	s_delay_alu instid0(SALU_CYCLE_1) | instskip(NEXT) | instid1(SALU_CYCLE_1)
	s_and_b32 s26, exec_lo, s23
	s_or_b32 s17, s26, s17
	s_and_not1_b32 s25, s25, exec_lo
	s_and_b32 s26, s24, exec_lo
	s_and_not1_b32 s19, s19, exec_lo
	s_or_b32 s25, s25, s26
	s_and_b32 s26, s22, exec_lo
	s_and_not1_b32 s12, s12, exec_lo
	s_and_b32 s0, s0, exec_lo
	s_or_b32 s19, s19, s26
	s_or_b32 s12, s12, s0
	s_and_not1_b32 exec_lo, exec_lo, s17
	s_cbranch_execz .LBB1000_39
.LBB1000_37:                            ; =>This Inner Loop Header: Depth=1
	global_load_u8 v38, v[18:19], off
	global_load_u8 v39, v[20:21], off
	s_and_not1_b32 s24, s24, exec_lo
	s_or_b32 s22, s22, exec_lo
	s_or_b32 s23, s23, exec_lo
	s_waitcnt vmcnt(1)
	v_cmp_eq_u16_e32 vcc_lo, 0, v38
	s_waitcnt vmcnt(0)
	v_cmp_ne_u16_e64 s0, 0, v39
	s_delay_alu instid0(VALU_DEP_1)
	s_or_b32 s26, vcc_lo, s0
	s_and_b32 s27, vcc_lo, s0
	s_and_b32 s26, s26, s25
	s_xor_b32 s28, vcc_lo, s0
	s_or_b32 s0, s27, s26
	s_and_saveexec_b32 s26, s28
	s_cbranch_execz .LBB1000_36
; %bb.38:                               ;   in Loop: Header=BB1000_37 Depth=1
	s_add_u32 s20, s20, -1
	s_addc_u32 s21, s21, -1
	v_add_co_u32 v18, vcc_lo, v18, 1
	s_cmp_eq_u64 s[20:21], 0
	v_add_co_ci_u32_e32 v19, vcc_lo, 0, v19, vcc_lo
	v_add_co_u32 v20, vcc_lo, v20, 1
	s_cselect_b32 s25, -1, 0
	v_add_co_ci_u32_e32 v21, vcc_lo, 0, v21, vcc_lo
	s_and_not1_b32 s24, s24, exec_lo
	s_and_b32 s27, s0, exec_lo
	s_and_not1_b32 s23, s23, exec_lo
	s_and_b32 s25, s25, exec_lo
	s_or_b32 s24, s24, s27
	s_and_not1_b32 s22, s22, exec_lo
	s_or_b32 s23, s23, s25
                                        ; implicit-def: $sgpr25
	s_branch .LBB1000_36
.LBB1000_39:
	s_or_b32 exec_lo, exec_lo, s17
	s_and_saveexec_b32 s0, s19
	s_delay_alu instid0(SALU_CYCLE_1)
	s_xor_b32 s0, exec_lo, s0
	s_cbranch_execz .LBB1000_43
; %bb.40:
	v_dual_mov_b32 v19, v11 :: v_dual_mov_b32 v18, v10
	s_and_saveexec_b32 s17, s12
; %bb.41:
	v_dual_mov_b32 v0, v10 :: v_dual_mov_b32 v1, v11
	v_dual_mov_b32 v2, v8 :: v_dual_mov_b32 v3, v9
	;; [unrolled: 1-line block ×4, first 2 shown]
; %bb.42:
	s_or_b32 exec_lo, exec_lo, s17
	s_delay_alu instid0(VALU_DEP_2)
	v_dual_mov_b32 v10, v18 :: v_dual_mov_b32 v11, v19
.LBB1000_43:
	s_or_b32 exec_lo, exec_lo, s0
.LBB1000_44:
	v_cmp_ne_u32_e32 vcc_lo, 1, v36
	s_cbranch_vccnz .LBB1000_52
; %bb.45:
	v_mad_u64_u32 v[18:19], null, v16, s8, s[10:11]
	v_mul_lo_u32 v38, v16, s9
	v_mul_lo_u32 v39, v17, s8
	v_mad_u64_u32 v[20:21], null, v14, s8, s[10:11]
	v_mul_lo_u32 v40, v14, s9
	v_mul_lo_u32 v41, v15, s8
	s_mov_b32 s17, 0
	s_mov_b64 s[20:21], s[8:9]
                                        ; implicit-def: $sgpr12
                                        ; implicit-def: $sgpr19
                                        ; implicit-def: $sgpr23
                                        ; implicit-def: $sgpr22
                                        ; implicit-def: $sgpr24
                                        ; implicit-def: $sgpr25
	s_delay_alu instid0(VALU_DEP_4) | instskip(NEXT) | instid1(VALU_DEP_2)
	v_add3_u32 v19, v39, v19, v38
	v_add3_u32 v21, v41, v21, v40
	s_branch .LBB1000_47
.LBB1000_46:                            ;   in Loop: Header=BB1000_47 Depth=1
	s_or_b32 exec_lo, exec_lo, s26
	s_delay_alu instid0(SALU_CYCLE_1) | instskip(NEXT) | instid1(SALU_CYCLE_1)
	s_and_b32 s26, exec_lo, s23
	s_or_b32 s17, s26, s17
	s_and_not1_b32 s25, s25, exec_lo
	s_and_b32 s26, s24, exec_lo
	s_and_not1_b32 s19, s19, exec_lo
	s_or_b32 s25, s25, s26
	s_and_b32 s26, s22, exec_lo
	s_and_not1_b32 s12, s12, exec_lo
	s_and_b32 s0, s0, exec_lo
	s_or_b32 s19, s19, s26
	s_or_b32 s12, s12, s0
	s_and_not1_b32 exec_lo, exec_lo, s17
	s_cbranch_execz .LBB1000_49
.LBB1000_47:                            ; =>This Inner Loop Header: Depth=1
	global_load_u8 v38, v[18:19], off
	global_load_u8 v39, v[20:21], off
	s_and_not1_b32 s24, s24, exec_lo
	s_or_b32 s22, s22, exec_lo
	s_or_b32 s23, s23, exec_lo
	s_waitcnt vmcnt(1)
	v_cmp_eq_u16_e32 vcc_lo, 0, v38
	s_waitcnt vmcnt(0)
	v_cmp_ne_u16_e64 s0, 0, v39
	s_delay_alu instid0(VALU_DEP_1)
	s_or_b32 s26, vcc_lo, s0
	s_and_b32 s27, vcc_lo, s0
	s_and_b32 s26, s26, s25
	s_xor_b32 s28, vcc_lo, s0
	s_or_b32 s0, s27, s26
	s_and_saveexec_b32 s26, s28
	s_cbranch_execz .LBB1000_46
; %bb.48:                               ;   in Loop: Header=BB1000_47 Depth=1
	s_add_u32 s20, s20, -1
	s_addc_u32 s21, s21, -1
	v_add_co_u32 v18, vcc_lo, v18, 1
	s_cmp_eq_u64 s[20:21], 0
	v_add_co_ci_u32_e32 v19, vcc_lo, 0, v19, vcc_lo
	v_add_co_u32 v20, vcc_lo, v20, 1
	s_cselect_b32 s25, -1, 0
	v_add_co_ci_u32_e32 v21, vcc_lo, 0, v21, vcc_lo
	s_and_not1_b32 s24, s24, exec_lo
	s_and_b32 s27, s0, exec_lo
	s_and_not1_b32 s23, s23, exec_lo
	s_and_b32 s25, s25, exec_lo
	s_or_b32 s24, s24, s27
	s_and_not1_b32 s22, s22, exec_lo
	s_or_b32 s23, s23, s25
                                        ; implicit-def: $sgpr25
	s_branch .LBB1000_46
.LBB1000_49:
	s_or_b32 exec_lo, exec_lo, s17
	s_and_saveexec_b32 s0, s19
	s_delay_alu instid0(SALU_CYCLE_1)
	s_xor_b32 s0, exec_lo, s0
; %bb.50:
	v_cndmask_b32_e64 v7, v7, v15, s12
	v_cndmask_b32_e64 v6, v6, v14, s12
	;; [unrolled: 1-line block ×6, first 2 shown]
; %bb.51:
	s_or_b32 exec_lo, exec_lo, s0
.LBB1000_52:
	v_cmp_ne_u32_e32 vcc_lo, 1, v36
	s_cbranch_vccnz .LBB1000_60
; %bb.53:
	s_delay_alu instid0(VALU_DEP_2)
	v_mad_u64_u32 v[16:17], null, v14, s8, s[10:11]
	v_mul_lo_u32 v20, v14, s9
	v_mul_lo_u32 v21, v15, s8
	v_mad_u64_u32 v[18:19], null, v10, s8, s[10:11]
	v_mul_lo_u32 v38, v10, s9
	v_mul_lo_u32 v39, v11, s8
	s_mov_b32 s12, 0
	s_mov_b64 s[20:21], s[8:9]
                                        ; implicit-def: $sgpr17
                                        ; implicit-def: $sgpr19
                                        ; implicit-def: $sgpr23
                                        ; implicit-def: $sgpr22
                                        ; implicit-def: $sgpr24
                                        ; implicit-def: $sgpr25
	s_delay_alu instid0(VALU_DEP_4) | instskip(NEXT) | instid1(VALU_DEP_2)
	v_add3_u32 v17, v21, v17, v20
	v_add3_u32 v19, v39, v19, v38
	s_branch .LBB1000_55
.LBB1000_54:                            ;   in Loop: Header=BB1000_55 Depth=1
	s_or_b32 exec_lo, exec_lo, s26
	s_delay_alu instid0(SALU_CYCLE_1) | instskip(NEXT) | instid1(SALU_CYCLE_1)
	s_and_b32 s26, exec_lo, s23
	s_or_b32 s12, s26, s12
	s_and_not1_b32 s25, s25, exec_lo
	s_and_b32 s26, s24, exec_lo
	s_and_not1_b32 s19, s19, exec_lo
	s_or_b32 s25, s25, s26
	s_and_b32 s26, s22, exec_lo
	s_and_not1_b32 s17, s17, exec_lo
	s_and_b32 s0, s0, exec_lo
	s_or_b32 s19, s19, s26
	s_or_b32 s17, s17, s0
	s_and_not1_b32 exec_lo, exec_lo, s12
	s_cbranch_execz .LBB1000_57
.LBB1000_55:                            ; =>This Inner Loop Header: Depth=1
	global_load_u8 v20, v[16:17], off
	global_load_u8 v21, v[18:19], off
	s_and_not1_b32 s24, s24, exec_lo
	s_or_b32 s22, s22, exec_lo
	s_or_b32 s23, s23, exec_lo
	s_waitcnt vmcnt(1)
	v_cmp_eq_u16_e32 vcc_lo, 0, v20
	s_waitcnt vmcnt(0)
	v_cmp_ne_u16_e64 s0, 0, v21
	s_delay_alu instid0(VALU_DEP_1)
	s_or_b32 s26, vcc_lo, s0
	s_and_b32 s27, vcc_lo, s0
	s_and_b32 s26, s26, s25
	s_xor_b32 s28, vcc_lo, s0
	s_or_b32 s0, s27, s26
	s_and_saveexec_b32 s26, s28
	s_cbranch_execz .LBB1000_54
; %bb.56:                               ;   in Loop: Header=BB1000_55 Depth=1
	s_add_u32 s20, s20, -1
	s_addc_u32 s21, s21, -1
	v_add_co_u32 v16, vcc_lo, v16, 1
	s_cmp_eq_u64 s[20:21], 0
	v_add_co_ci_u32_e32 v17, vcc_lo, 0, v17, vcc_lo
	v_add_co_u32 v18, vcc_lo, v18, 1
	s_cselect_b32 s25, -1, 0
	v_add_co_ci_u32_e32 v19, vcc_lo, 0, v19, vcc_lo
	s_and_not1_b32 s24, s24, exec_lo
	s_and_b32 s27, s0, exec_lo
	s_and_not1_b32 s23, s23, exec_lo
	s_and_b32 s25, s25, exec_lo
	s_or_b32 s24, s24, s27
	s_and_not1_b32 s22, s22, exec_lo
	s_or_b32 s23, s23, s25
                                        ; implicit-def: $sgpr25
	s_branch .LBB1000_54
.LBB1000_57:
	s_or_b32 exec_lo, exec_lo, s12
	s_and_saveexec_b32 s0, s19
	s_delay_alu instid0(SALU_CYCLE_1)
	s_xor_b32 s0, exec_lo, s0
; %bb.58:
	v_cndmask_b32_e64 v5, v5, v11, s17
	v_cndmask_b32_e64 v4, v4, v10, s17
	;; [unrolled: 1-line block ×4, first 2 shown]
; %bb.59:
	s_or_b32 exec_lo, exec_lo, s0
.LBB1000_60:
	s_delay_alu instid0(SALU_CYCLE_1) | instskip(SKIP_4) | instid1(VALU_DEP_2)
	s_or_b32 exec_lo, exec_lo, s1
	v_mbcnt_lo_u32_b32 v11, -1, 0
	v_and_b32_e32 v10, 0xffffff80, v37
	s_mov_b32 s1, 0
	s_mov_b32 s12, exec_lo
	v_lshlrev_b32_e32 v16, 2, v11
	s_delay_alu instid0(VALU_DEP_2) | instskip(NEXT) | instid1(VALU_DEP_2)
	v_sub_nc_u32_e64 v15, 0x400, v10 clamp
	v_or_b32_e32 v14, 4, v16
	v_and_b32_e32 v17, 4, v16
	v_and_b32_e32 v37, 0x78, v16
	s_delay_alu instid0(VALU_DEP_3) | instskip(NEXT) | instid1(VALU_DEP_1)
	v_min_u32_e32 v18, v15, v14
	v_add_nc_u32_e32 v14, 4, v18
	s_delay_alu instid0(VALU_DEP_3) | instskip(NEXT) | instid1(VALU_DEP_2)
	v_sub_nc_u32_e32 v21, v18, v37
	v_min_u32_e32 v19, v15, v14
	v_lshlrev_b32_e32 v14, 3, v10
	v_mov_b32_e32 v10, v2
	v_min_u32_e32 v38, v15, v17
	s_delay_alu instid0(VALU_DEP_4) | instskip(NEXT) | instid1(VALU_DEP_4)
	v_sub_nc_u32_e32 v20, v19, v18
	v_lshl_or_b32 v17, v11, 5, v14
	v_mov_b32_e32 v11, v3
	s_delay_alu instid0(VALU_DEP_4)
	v_min_u32_e32 v39, v38, v21
	v_lshl_or_b32 v21, v37, 3, v14
	v_sub_nc_u32_e64 v20, v38, v20 clamp
	ds_store_b128 v17, v[8:11]
	ds_store_b128 v17, v[4:7] offset:16
	; wave barrier
	v_cmpx_lt_u32_e64 v20, v39
	s_cbranch_execz .LBB1000_71
; %bb.61:
	v_lshlrev_b32_e32 v8, 3, v18
	v_lshlrev_b32_e32 v9, 3, v38
	s_delay_alu instid0(VALU_DEP_1)
	v_add3_u32 v40, v14, v8, v9
	s_branch .LBB1000_64
.LBB1000_62:                            ;   in Loop: Header=BB1000_64 Depth=1
	s_set_inst_prefetch_distance 0x2
	s_or_b32 exec_lo, exec_lo, s17
.LBB1000_63:                            ;   in Loop: Header=BB1000_64 Depth=1
	s_delay_alu instid0(VALU_DEP_1) | instskip(SKIP_1) | instid1(VALU_DEP_2)
	v_add_nc_u32_e32 v8, 1, v41
	v_cndmask_b32_e64 v39, v39, v41, s19
	v_cndmask_b32_e64 v20, v8, v20, s19
	s_delay_alu instid0(VALU_DEP_1) | instskip(SKIP_1) | instid1(SALU_CYCLE_1)
	v_cmp_ge_u32_e32 vcc_lo, v20, v39
	s_or_b32 s1, vcc_lo, s1
	s_and_not1_b32 exec_lo, exec_lo, s1
	s_cbranch_execz .LBB1000_70
.LBB1000_64:                            ; =>This Loop Header: Depth=1
                                        ;     Child Loop BB1000_67 Depth 2
	v_add_nc_u32_e32 v8, v39, v20
	v_cmp_ne_u32_e32 vcc_lo, 1, v36
	s_delay_alu instid0(VALU_DEP_2)
	v_lshrrev_b32_e32 v41, 1, v8
	s_cbranch_vccnz .LBB1000_69
; %bb.65:                               ;   in Loop: Header=BB1000_64 Depth=1
	s_delay_alu instid0(VALU_DEP_1) | instskip(SKIP_3) | instid1(VALU_DEP_2)
	v_not_b32_e32 v8, v41
	v_lshl_add_u32 v9, v41, 3, v21
	s_mov_b32 s17, 0
	s_mov_b64 s[20:21], s[8:9]
                                        ; implicit-def: $sgpr19
                                        ; implicit-def: $sgpr22
                                        ; implicit-def: $sgpr23
                                        ; implicit-def: $sgpr24
                                        ; implicit-def: $sgpr25
	v_lshl_add_u32 v8, v8, 3, v40
	ds_load_b64 v[10:11], v8
	ds_load_b64 v[42:43], v9
	s_waitcnt lgkmcnt(1)
	v_mul_lo_u32 v44, v10, s9
	v_mul_lo_u32 v45, v11, s8
	v_mad_u64_u32 v[8:9], null, v10, s8, s[10:11]
	s_waitcnt lgkmcnt(0)
	v_mul_lo_u32 v46, v42, s9
	v_mul_lo_u32 v43, v43, s8
	v_mad_u64_u32 v[10:11], null, v42, s8, s[10:11]
	s_delay_alu instid0(VALU_DEP_4) | instskip(NEXT) | instid1(VALU_DEP_2)
	v_add3_u32 v9, v45, v9, v44
	v_add3_u32 v11, v43, v11, v46
	s_set_inst_prefetch_distance 0x1
	s_branch .LBB1000_67
	.p2align	6
.LBB1000_66:                            ;   in Loop: Header=BB1000_67 Depth=2
	s_or_b32 exec_lo, exec_lo, s0
	s_delay_alu instid0(SALU_CYCLE_1) | instskip(NEXT) | instid1(SALU_CYCLE_1)
	s_and_b32 s0, exec_lo, s22
	s_or_b32 s17, s0, s17
	s_and_not1_b32 s0, s25, exec_lo
	s_and_b32 s25, s23, exec_lo
	s_and_not1_b32 s19, s19, exec_lo
	s_and_b32 s26, s24, exec_lo
	s_or_b32 s25, s0, s25
	s_or_b32 s19, s19, s26
	s_and_not1_b32 exec_lo, exec_lo, s17
	s_cbranch_execz .LBB1000_62
.LBB1000_67:                            ;   Parent Loop BB1000_64 Depth=1
                                        ; =>  This Inner Loop Header: Depth=2
	global_load_u8 v42, v[8:9], off
	global_load_u8 v43, v[10:11], off
	s_and_not1_b32 s24, s24, exec_lo
	s_and_not1_b32 s23, s23, exec_lo
	s_or_b32 s22, s22, exec_lo
	s_waitcnt vmcnt(1)
	v_cmp_eq_u16_e32 vcc_lo, 0, v42
	s_waitcnt vmcnt(0)
	v_cmp_ne_u16_e64 s0, 0, v43
	s_delay_alu instid0(VALU_DEP_1) | instskip(SKIP_4) | instid1(SALU_CYCLE_1)
	s_or_b32 s26, vcc_lo, s0
	s_and_b32 s27, vcc_lo, s0
	s_and_b32 s26, s26, s25
	s_xor_b32 s28, vcc_lo, s0
	s_or_b32 s26, s27, s26
	s_and_b32 s27, s26, exec_lo
	s_delay_alu instid0(SALU_CYCLE_1)
	s_or_b32 s24, s24, s27
	s_and_saveexec_b32 s0, s28
	s_cbranch_execz .LBB1000_66
; %bb.68:                               ;   in Loop: Header=BB1000_67 Depth=2
	s_add_u32 s20, s20, -1
	s_addc_u32 s21, s21, -1
	v_add_co_u32 v8, vcc_lo, v8, 1
	s_cmp_eq_u64 s[20:21], 0
	v_add_co_ci_u32_e32 v9, vcc_lo, 0, v9, vcc_lo
	s_cselect_b32 s25, -1, 0
	v_add_co_u32 v10, vcc_lo, v10, 1
	s_and_not1_b32 s23, s23, exec_lo
	s_and_b32 s26, s26, exec_lo
	s_and_not1_b32 s22, s22, exec_lo
	s_and_b32 s25, s25, exec_lo
	v_add_co_ci_u32_e32 v11, vcc_lo, 0, v11, vcc_lo
	s_and_not1_b32 s24, s24, exec_lo
	s_or_b32 s23, s23, s26
	s_or_b32 s22, s22, s25
                                        ; implicit-def: $sgpr25
	s_branch .LBB1000_66
.LBB1000_69:                            ;   in Loop: Header=BB1000_64 Depth=1
	s_mov_b32 s19, 0
	s_branch .LBB1000_63
.LBB1000_70:
	s_or_b32 exec_lo, exec_lo, s1
.LBB1000_71:
	s_delay_alu instid0(SALU_CYCLE_1) | instskip(SKIP_3) | instid1(VALU_DEP_3)
	s_or_b32 exec_lo, exec_lo, s12
	v_add_nc_u32_e32 v9, v18, v38
	v_add_nc_u32_e32 v8, v20, v37
	v_cmp_lt_i64_e64 s12, s[8:9], 1
	v_sub_nc_u32_e32 v9, v9, v20
	s_delay_alu instid0(VALU_DEP_3) | instskip(NEXT) | instid1(VALU_DEP_2)
	v_cmp_le_u32_e32 vcc_lo, v8, v18
	v_cmp_le_u32_e64 s0, v9, v19
	s_delay_alu instid0(VALU_DEP_1) | instskip(NEXT) | instid1(SALU_CYCLE_1)
	s_or_b32 s0, vcc_lo, s0
	s_and_saveexec_b32 s17, s0
	s_cbranch_execz .LBB1000_107
; %bb.72:
	v_cmp_ge_u32_e32 vcc_lo, v8, v18
	s_mov_b32 s1, exec_lo
                                        ; implicit-def: $vgpr0_vgpr1
	v_cmpx_lt_u32_e64 v8, v18
	s_cbranch_execz .LBB1000_74
; %bb.73:
	v_lshl_add_u32 v0, v20, 3, v21
	ds_load_b64 v[0:1], v0
.LBB1000_74:
	s_or_b32 exec_lo, exec_lo, s1
	v_cmp_ge_u32_e64 s0, v9, v19
	s_mov_b32 s19, exec_lo
                                        ; implicit-def: $vgpr2_vgpr3
	v_cmpx_lt_u32_e64 v9, v19
	s_cbranch_execz .LBB1000_76
; %bb.75:
	v_lshl_add_u32 v2, v9, 3, v14
	ds_load_b64 v[2:3], v2
.LBB1000_76:
	s_or_b32 exec_lo, exec_lo, s19
	s_or_b32 s1, vcc_lo, s0
	s_xor_b32 s19, vcc_lo, -1
	s_or_b32 s1, s1, s12
	s_delay_alu instid0(SALU_CYCLE_1)
	s_xor_b32 s20, s1, -1
	s_or_b32 s1, s0, s19
	s_and_saveexec_b32 s19, s20
	s_cbranch_execz .LBB1000_82
; %bb.77:
	s_waitcnt lgkmcnt(0)
	v_mad_u64_u32 v[4:5], null, v2, s8, s[10:11]
	v_mul_lo_u32 v10, v2, s9
	v_mul_lo_u32 v11, v3, s8
	v_mad_u64_u32 v[6:7], null, v0, s8, s[10:11]
	v_mul_lo_u32 v20, v0, s9
	v_mul_lo_u32 v21, v1, s8
	s_mov_b32 s22, 0
	s_mov_b64 s[20:21], s[8:9]
                                        ; implicit-def: $sgpr23
                                        ; implicit-def: $sgpr24
                                        ; implicit-def: $sgpr25
                                        ; implicit-def: $sgpr26
                                        ; implicit-def: $sgpr27
	s_delay_alu instid0(VALU_DEP_4) | instskip(NEXT) | instid1(VALU_DEP_2)
	v_add3_u32 v5, v11, v5, v10
	v_add3_u32 v7, v21, v7, v20
	s_set_inst_prefetch_distance 0x1
	s_branch .LBB1000_79
	.p2align	6
.LBB1000_78:                            ;   in Loop: Header=BB1000_79 Depth=1
	s_or_b32 exec_lo, exec_lo, s0
	s_delay_alu instid0(SALU_CYCLE_1) | instskip(NEXT) | instid1(SALU_CYCLE_1)
	s_and_b32 s0, exec_lo, s24
	s_or_b32 s22, s0, s22
	s_and_not1_b32 s0, s27, exec_lo
	s_and_b32 s27, s26, exec_lo
	s_and_not1_b32 s23, s23, exec_lo
	s_and_b32 s28, s25, exec_lo
	s_or_b32 s27, s0, s27
	s_or_b32 s23, s23, s28
	s_and_not1_b32 exec_lo, exec_lo, s22
	s_cbranch_execz .LBB1000_81
.LBB1000_79:                            ; =>This Inner Loop Header: Depth=1
	global_load_u8 v10, v[4:5], off
	global_load_u8 v11, v[6:7], off
	s_and_not1_b32 s25, s25, exec_lo
	s_and_not1_b32 s26, s26, exec_lo
	s_or_b32 s24, s24, exec_lo
	s_waitcnt vmcnt(1)
	v_cmp_eq_u16_e32 vcc_lo, 0, v10
	s_waitcnt vmcnt(0)
	v_cmp_ne_u16_e64 s0, 0, v11
	s_delay_alu instid0(VALU_DEP_1) | instskip(SKIP_4) | instid1(SALU_CYCLE_1)
	s_or_b32 s28, vcc_lo, s0
	s_and_b32 s29, vcc_lo, s0
	s_and_b32 s28, s28, s27
	s_xor_b32 s30, vcc_lo, s0
	s_or_b32 s28, s29, s28
	s_and_b32 s29, s28, exec_lo
	s_delay_alu instid0(SALU_CYCLE_1)
	s_or_b32 s25, s25, s29
	s_and_saveexec_b32 s0, s30
	s_cbranch_execz .LBB1000_78
; %bb.80:                               ;   in Loop: Header=BB1000_79 Depth=1
	s_add_u32 s20, s20, -1
	s_addc_u32 s21, s21, -1
	v_add_co_u32 v4, vcc_lo, v4, 1
	s_cmp_eq_u64 s[20:21], 0
	v_add_co_ci_u32_e32 v5, vcc_lo, 0, v5, vcc_lo
	v_add_co_u32 v6, vcc_lo, v6, 1
	s_cselect_b32 s27, -1, 0
	v_add_co_ci_u32_e32 v7, vcc_lo, 0, v7, vcc_lo
	s_and_not1_b32 s26, s26, exec_lo
	s_and_b32 s28, s28, exec_lo
	s_and_not1_b32 s24, s24, exec_lo
	s_and_b32 s27, s27, exec_lo
	s_or_b32 s26, s26, s28
	s_and_not1_b32 s25, s25, exec_lo
	s_or_b32 s24, s24, s27
                                        ; implicit-def: $sgpr27
	s_branch .LBB1000_78
.LBB1000_81:
	s_set_inst_prefetch_distance 0x2
	s_or_b32 exec_lo, exec_lo, s22
	s_xor_b32 s0, s23, -1
	s_and_not1_b32 s1, s1, exec_lo
	s_and_b32 s0, s0, exec_lo
	s_delay_alu instid0(SALU_CYCLE_1)
	s_or_b32 s1, s1, s0
.LBB1000_82:
	s_or_b32 exec_lo, exec_lo, s19
	v_cndmask_b32_e64 v4, v9, v8, s1
	v_cndmask_b32_e64 v5, v19, v18, s1
	s_mov_b32 s19, -1
	s_mov_b32 s22, -1
	s_mov_b32 s23, exec_lo
	v_add_nc_u32_e32 v6, 1, v4
	v_add_nc_u32_e32 v4, -1, v5
	s_delay_alu instid0(VALU_DEP_2) | instskip(NEXT) | instid1(VALU_DEP_2)
	v_cndmask_b32_e64 v9, v6, v9, s1
	v_min_u32_e32 v4, v6, v4
	v_cndmask_b32_e64 v8, v8, v6, s1
	s_delay_alu instid0(VALU_DEP_2)
	v_lshl_add_u32 v4, v4, 3, v14
	ds_load_b64 v[4:5], v4
	s_waitcnt lgkmcnt(0)
	v_cndmask_b32_e64 v10, v5, v3, s1
	v_cndmask_b32_e64 v11, v4, v2, s1
	;; [unrolled: 1-line block ×4, first 2 shown]
	v_cmpx_lt_u32_e64 v9, v19
	s_cbranch_execz .LBB1000_90
; %bb.83:
	v_cmp_lt_u32_e64 s22, v8, v18
	s_xor_b32 s0, s12, -1
	s_delay_alu instid0(VALU_DEP_1) | instid1(SALU_CYCLE_1)
	s_and_b32 s0, s22, s0
	s_delay_alu instid0(SALU_CYCLE_1)
	s_and_saveexec_b32 s24, s0
	s_cbranch_execz .LBB1000_89
; %bb.84:
	v_mad_u64_u32 v[4:5], null, v11, s8, s[10:11]
	v_mul_lo_u32 v37, v11, s9
	v_mul_lo_u32 v38, v10, s8
	v_mad_u64_u32 v[6:7], null, v21, s8, s[10:11]
	v_mul_lo_u32 v39, v21, s9
	v_mul_lo_u32 v40, v20, s8
	s_mov_b32 s25, 0
	s_mov_b64 s[20:21], s[8:9]
                                        ; implicit-def: $sgpr26
                                        ; implicit-def: $sgpr27
                                        ; implicit-def: $sgpr28
                                        ; implicit-def: $sgpr29
                                        ; implicit-def: $sgpr30
	s_delay_alu instid0(VALU_DEP_4) | instskip(NEXT) | instid1(VALU_DEP_2)
	v_add3_u32 v5, v38, v5, v37
	v_add3_u32 v7, v40, v7, v39
	s_set_inst_prefetch_distance 0x1
	s_branch .LBB1000_86
	.p2align	6
.LBB1000_85:                            ;   in Loop: Header=BB1000_86 Depth=1
	s_or_b32 exec_lo, exec_lo, s0
	s_delay_alu instid0(SALU_CYCLE_1) | instskip(NEXT) | instid1(SALU_CYCLE_1)
	s_and_b32 s0, exec_lo, s27
	s_or_b32 s25, s0, s25
	s_and_not1_b32 s0, s30, exec_lo
	s_and_b32 s30, s29, exec_lo
	s_and_not1_b32 s26, s26, exec_lo
	s_and_b32 s31, s28, exec_lo
	s_or_b32 s30, s0, s30
	s_or_b32 s26, s26, s31
	s_and_not1_b32 exec_lo, exec_lo, s25
	s_cbranch_execz .LBB1000_88
.LBB1000_86:                            ; =>This Inner Loop Header: Depth=1
	global_load_u8 v37, v[4:5], off
	global_load_u8 v38, v[6:7], off
	s_and_not1_b32 s28, s28, exec_lo
	s_and_not1_b32 s29, s29, exec_lo
	s_or_b32 s27, s27, exec_lo
	s_waitcnt vmcnt(1)
	v_cmp_eq_u16_e32 vcc_lo, 0, v37
	s_waitcnt vmcnt(0)
	v_cmp_ne_u16_e64 s0, 0, v38
	s_delay_alu instid0(VALU_DEP_1) | instskip(SKIP_4) | instid1(SALU_CYCLE_1)
	s_or_b32 s31, vcc_lo, s0
	s_and_b32 s33, vcc_lo, s0
	s_and_b32 s31, s31, s30
	s_xor_b32 s34, vcc_lo, s0
	s_or_b32 s31, s33, s31
	s_and_b32 s33, s31, exec_lo
	s_delay_alu instid0(SALU_CYCLE_1)
	s_or_b32 s28, s28, s33
	s_and_saveexec_b32 s0, s34
	s_cbranch_execz .LBB1000_85
; %bb.87:                               ;   in Loop: Header=BB1000_86 Depth=1
	s_add_u32 s20, s20, -1
	s_addc_u32 s21, s21, -1
	v_add_co_u32 v4, vcc_lo, v4, 1
	s_cmp_eq_u64 s[20:21], 0
	v_add_co_ci_u32_e32 v5, vcc_lo, 0, v5, vcc_lo
	v_add_co_u32 v6, vcc_lo, v6, 1
	s_cselect_b32 s30, -1, 0
	v_add_co_ci_u32_e32 v7, vcc_lo, 0, v7, vcc_lo
	s_and_not1_b32 s29, s29, exec_lo
	s_and_b32 s31, s31, exec_lo
	s_and_not1_b32 s27, s27, exec_lo
	s_and_b32 s30, s30, exec_lo
	s_or_b32 s29, s29, s31
	s_and_not1_b32 s28, s28, exec_lo
	s_or_b32 s27, s27, s30
                                        ; implicit-def: $sgpr30
	s_branch .LBB1000_85
.LBB1000_88:
	s_set_inst_prefetch_distance 0x2
	s_or_b32 exec_lo, exec_lo, s25
	s_xor_b32 s0, s26, -1
	s_and_not1_b32 s20, s22, exec_lo
	s_and_b32 s0, s0, exec_lo
	s_delay_alu instid0(SALU_CYCLE_1)
	s_or_b32 s22, s20, s0
.LBB1000_89:
	s_or_b32 exec_lo, exec_lo, s24
	s_delay_alu instid0(SALU_CYCLE_1)
	s_or_not1_b32 s22, s22, exec_lo
.LBB1000_90:
	s_or_b32 exec_lo, exec_lo, s23
	v_cndmask_b32_e64 v4, v9, v8, s22
	v_cndmask_b32_e64 v5, v19, v18, s22
	s_mov_b32 s23, exec_lo
	s_delay_alu instid0(VALU_DEP_2) | instskip(NEXT) | instid1(VALU_DEP_2)
	v_add_nc_u32_e32 v6, 1, v4
	v_add_nc_u32_e32 v4, -1, v5
	s_delay_alu instid0(VALU_DEP_2) | instskip(NEXT) | instid1(VALU_DEP_2)
	v_cndmask_b32_e64 v9, v6, v9, s22
	v_min_u32_e32 v4, v6, v4
	v_cndmask_b32_e64 v8, v8, v6, s22
	s_delay_alu instid0(VALU_DEP_2)
	v_lshl_add_u32 v4, v4, 3, v14
	ds_load_b64 v[4:5], v4
	s_waitcnt lgkmcnt(0)
	v_cndmask_b32_e64 v37, v5, v10, s22
	v_cndmask_b32_e64 v38, v4, v11, s22
	v_cndmask_b32_e64 v39, v20, v5, s22
	v_cndmask_b32_e64 v40, v21, v4, s22
	v_cmpx_lt_u32_e64 v9, v19
	s_cbranch_execz .LBB1000_98
; %bb.91:
	v_cmp_lt_u32_e64 s19, v8, v18
	s_xor_b32 s0, s12, -1
	s_delay_alu instid0(VALU_DEP_1) | instid1(SALU_CYCLE_1)
	s_and_b32 s0, s19, s0
	s_delay_alu instid0(SALU_CYCLE_1)
	s_and_saveexec_b32 s24, s0
	s_cbranch_execz .LBB1000_97
; %bb.92:
	v_mad_u64_u32 v[4:5], null, v38, s8, s[10:11]
	v_mul_lo_u32 v41, v38, s9
	v_mul_lo_u32 v42, v37, s8
	v_mad_u64_u32 v[6:7], null, v40, s8, s[10:11]
	v_mul_lo_u32 v43, v40, s9
	v_mul_lo_u32 v44, v39, s8
	s_mov_b32 s25, 0
	s_mov_b64 s[20:21], s[8:9]
                                        ; implicit-def: $sgpr26
                                        ; implicit-def: $sgpr27
                                        ; implicit-def: $sgpr28
                                        ; implicit-def: $sgpr29
                                        ; implicit-def: $sgpr30
	s_delay_alu instid0(VALU_DEP_4) | instskip(NEXT) | instid1(VALU_DEP_2)
	v_add3_u32 v5, v42, v5, v41
	v_add3_u32 v7, v44, v7, v43
	s_set_inst_prefetch_distance 0x1
	s_branch .LBB1000_94
	.p2align	6
.LBB1000_93:                            ;   in Loop: Header=BB1000_94 Depth=1
	s_or_b32 exec_lo, exec_lo, s0
	s_delay_alu instid0(SALU_CYCLE_1) | instskip(NEXT) | instid1(SALU_CYCLE_1)
	s_and_b32 s0, exec_lo, s27
	s_or_b32 s25, s0, s25
	s_and_not1_b32 s0, s30, exec_lo
	s_and_b32 s30, s29, exec_lo
	s_and_not1_b32 s26, s26, exec_lo
	s_and_b32 s31, s28, exec_lo
	s_or_b32 s30, s0, s30
	s_or_b32 s26, s26, s31
	s_and_not1_b32 exec_lo, exec_lo, s25
	s_cbranch_execz .LBB1000_96
.LBB1000_94:                            ; =>This Inner Loop Header: Depth=1
	global_load_u8 v41, v[4:5], off
	global_load_u8 v42, v[6:7], off
	s_and_not1_b32 s28, s28, exec_lo
	s_and_not1_b32 s29, s29, exec_lo
	s_or_b32 s27, s27, exec_lo
	s_waitcnt vmcnt(1)
	v_cmp_eq_u16_e32 vcc_lo, 0, v41
	s_waitcnt vmcnt(0)
	v_cmp_ne_u16_e64 s0, 0, v42
	s_delay_alu instid0(VALU_DEP_1) | instskip(SKIP_4) | instid1(SALU_CYCLE_1)
	s_or_b32 s31, vcc_lo, s0
	s_and_b32 s33, vcc_lo, s0
	s_and_b32 s31, s31, s30
	s_xor_b32 s34, vcc_lo, s0
	s_or_b32 s31, s33, s31
	s_and_b32 s33, s31, exec_lo
	s_delay_alu instid0(SALU_CYCLE_1)
	s_or_b32 s28, s28, s33
	s_and_saveexec_b32 s0, s34
	s_cbranch_execz .LBB1000_93
; %bb.95:                               ;   in Loop: Header=BB1000_94 Depth=1
	s_add_u32 s20, s20, -1
	s_addc_u32 s21, s21, -1
	v_add_co_u32 v4, vcc_lo, v4, 1
	s_cmp_eq_u64 s[20:21], 0
	v_add_co_ci_u32_e32 v5, vcc_lo, 0, v5, vcc_lo
	v_add_co_u32 v6, vcc_lo, v6, 1
	s_cselect_b32 s30, -1, 0
	v_add_co_ci_u32_e32 v7, vcc_lo, 0, v7, vcc_lo
	s_and_not1_b32 s29, s29, exec_lo
	s_and_b32 s31, s31, exec_lo
	s_and_not1_b32 s27, s27, exec_lo
	s_and_b32 s30, s30, exec_lo
	s_or_b32 s29, s29, s31
	s_and_not1_b32 s28, s28, exec_lo
	s_or_b32 s27, s27, s30
                                        ; implicit-def: $sgpr30
	s_branch .LBB1000_93
.LBB1000_96:
	s_set_inst_prefetch_distance 0x2
	s_or_b32 exec_lo, exec_lo, s25
	s_xor_b32 s0, s26, -1
	s_and_not1_b32 s19, s19, exec_lo
	s_and_b32 s0, s0, exec_lo
	s_delay_alu instid0(SALU_CYCLE_1)
	s_or_b32 s19, s19, s0
.LBB1000_97:
	s_or_b32 exec_lo, exec_lo, s24
	s_delay_alu instid0(SALU_CYCLE_1)
	s_or_not1_b32 s19, s19, exec_lo
.LBB1000_98:
	s_or_b32 exec_lo, exec_lo, s23
	v_cndmask_b32_e64 v4, v9, v8, s19
	v_cndmask_b32_e64 v5, v19, v18, s19
	s_mov_b32 s23, exec_lo
	s_delay_alu instid0(VALU_DEP_2) | instskip(NEXT) | instid1(VALU_DEP_2)
	v_add_nc_u32_e32 v41, 1, v4
	v_add_nc_u32_e32 v4, -1, v5
	s_delay_alu instid0(VALU_DEP_2) | instskip(NEXT) | instid1(VALU_DEP_2)
	v_cndmask_b32_e64 v9, v41, v9, s19
	v_min_u32_e32 v4, v41, v4
	s_delay_alu instid0(VALU_DEP_1)
	v_lshl_add_u32 v4, v4, 3, v14
	ds_load_b64 v[4:5], v4
	s_waitcnt lgkmcnt(0)
	v_cndmask_b32_e64 v7, v39, v5, s19
	v_cndmask_b32_e64 v6, v40, v4, s19
	v_cmpx_lt_u32_e64 v9, v19
	s_cbranch_execz .LBB1000_106
; %bb.99:
	v_cndmask_b32_e64 v8, v8, v41, s19
	v_cndmask_b32_e64 v19, v5, v37, s19
	;; [unrolled: 1-line block ×3, first 2 shown]
	s_delay_alu instid0(VALU_DEP_3) | instskip(NEXT) | instid1(VALU_DEP_2)
	v_cmp_ge_u32_e32 vcc_lo, v8, v18
	v_dual_cndmask_b32 v5, v7, v19 :: v_dual_cndmask_b32 v4, v6, v41
	s_or_b32 s0, vcc_lo, s12
	s_delay_alu instid0(SALU_CYCLE_1) | instskip(NEXT) | instid1(SALU_CYCLE_1)
	s_xor_b32 s0, s0, -1
	s_and_saveexec_b32 s24, s0
	s_cbranch_execz .LBB1000_105
; %bb.100:
	v_mad_u64_u32 v[4:5], null, v41, s8, s[10:11]
	v_mul_lo_u32 v18, v41, s9
	v_mul_lo_u32 v42, v19, s8
	v_mad_u64_u32 v[8:9], null, v6, s8, s[10:11]
	v_mul_lo_u32 v43, v6, s9
	v_mul_lo_u32 v44, v7, s8
	s_mov_b32 s25, 0
	s_mov_b64 s[20:21], s[8:9]
                                        ; implicit-def: $sgpr26
                                        ; implicit-def: $sgpr27
                                        ; implicit-def: $sgpr28
                                        ; implicit-def: $sgpr29
                                        ; implicit-def: $sgpr30
	s_delay_alu instid0(VALU_DEP_4) | instskip(NEXT) | instid1(VALU_DEP_2)
	v_add3_u32 v5, v42, v5, v18
	v_add3_u32 v9, v44, v9, v43
	s_set_inst_prefetch_distance 0x1
	s_branch .LBB1000_102
	.p2align	6
.LBB1000_101:                           ;   in Loop: Header=BB1000_102 Depth=1
	s_or_b32 exec_lo, exec_lo, s0
	s_delay_alu instid0(SALU_CYCLE_1) | instskip(NEXT) | instid1(SALU_CYCLE_1)
	s_and_b32 s0, exec_lo, s27
	s_or_b32 s25, s0, s25
	s_and_not1_b32 s0, s30, exec_lo
	s_and_b32 s30, s29, exec_lo
	s_and_not1_b32 s26, s26, exec_lo
	s_and_b32 s31, s28, exec_lo
	s_or_b32 s30, s0, s30
	s_or_b32 s26, s26, s31
	s_and_not1_b32 exec_lo, exec_lo, s25
	s_cbranch_execz .LBB1000_104
.LBB1000_102:                           ; =>This Inner Loop Header: Depth=1
	global_load_u8 v18, v[4:5], off
	global_load_u8 v42, v[8:9], off
	s_and_not1_b32 s28, s28, exec_lo
	s_and_not1_b32 s29, s29, exec_lo
	s_or_b32 s27, s27, exec_lo
	s_waitcnt vmcnt(1)
	v_cmp_eq_u16_e32 vcc_lo, 0, v18
	s_waitcnt vmcnt(0)
	v_cmp_ne_u16_e64 s0, 0, v42
	s_delay_alu instid0(VALU_DEP_1) | instskip(SKIP_4) | instid1(SALU_CYCLE_1)
	s_or_b32 s31, vcc_lo, s0
	s_and_b32 s33, vcc_lo, s0
	s_and_b32 s31, s31, s30
	s_xor_b32 s34, vcc_lo, s0
	s_or_b32 s31, s33, s31
	s_and_b32 s33, s31, exec_lo
	s_delay_alu instid0(SALU_CYCLE_1)
	s_or_b32 s28, s28, s33
	s_and_saveexec_b32 s0, s34
	s_cbranch_execz .LBB1000_101
; %bb.103:                              ;   in Loop: Header=BB1000_102 Depth=1
	s_add_u32 s20, s20, -1
	s_addc_u32 s21, s21, -1
	v_add_co_u32 v4, vcc_lo, v4, 1
	s_cmp_eq_u64 s[20:21], 0
	v_add_co_ci_u32_e32 v5, vcc_lo, 0, v5, vcc_lo
	v_add_co_u32 v8, vcc_lo, v8, 1
	s_cselect_b32 s30, -1, 0
	v_add_co_ci_u32_e32 v9, vcc_lo, 0, v9, vcc_lo
	s_and_not1_b32 s29, s29, exec_lo
	s_and_b32 s31, s31, exec_lo
	s_and_not1_b32 s27, s27, exec_lo
	s_and_b32 s30, s30, exec_lo
	s_or_b32 s29, s29, s31
	s_and_not1_b32 s28, s28, exec_lo
	s_or_b32 s27, s27, s30
                                        ; implicit-def: $sgpr30
	s_branch .LBB1000_101
.LBB1000_104:
	s_set_inst_prefetch_distance 0x2
	s_or_b32 exec_lo, exec_lo, s25
	v_cndmask_b32_e64 v5, v7, v19, s26
	v_cndmask_b32_e64 v4, v6, v41, s26
.LBB1000_105:
	s_or_b32 exec_lo, exec_lo, s24
	s_delay_alu instid0(VALU_DEP_1)
	v_dual_mov_b32 v7, v5 :: v_dual_mov_b32 v6, v4
.LBB1000_106:
	s_or_b32 exec_lo, exec_lo, s23
	v_cndmask_b32_e64 v1, v3, v1, s1
	v_cndmask_b32_e64 v0, v2, v0, s1
	;; [unrolled: 1-line block ×6, first 2 shown]
.LBB1000_107:
	s_or_b32 exec_lo, exec_lo, s17
	v_and_b32_e32 v37, 0x70, v16
	v_and_b32_e32 v9, 12, v16
	s_mov_b32 s1, exec_lo
	; wave barrier
	s_delay_alu instid0(VALU_DEP_2) | instskip(NEXT) | instid1(VALU_DEP_2)
	v_or_b32_e32 v8, 8, v37
	v_min_u32_e32 v38, v15, v9
	v_lshl_add_u32 v21, v37, 3, v14
	ds_store_b128 v17, v[0:3]
	ds_store_b128 v17, v[4:7] offset:16
	v_min_u32_e32 v18, v15, v8
	; wave barrier
	s_delay_alu instid0(VALU_DEP_1) | instskip(SKIP_1) | instid1(VALU_DEP_2)
	v_add_nc_u32_e32 v8, 8, v18
	v_sub_nc_u32_e32 v9, v18, v37
	v_min_u32_e32 v19, v15, v8
	s_delay_alu instid0(VALU_DEP_2) | instskip(NEXT) | instid1(VALU_DEP_2)
	v_min_u32_e32 v39, v38, v9
	v_sub_nc_u32_e32 v8, v19, v18
	s_delay_alu instid0(VALU_DEP_1) | instskip(NEXT) | instid1(VALU_DEP_1)
	v_sub_nc_u32_e64 v20, v38, v8 clamp
	v_cmpx_lt_u32_e64 v20, v39
	s_cbranch_execz .LBB1000_117
; %bb.108:
	v_lshlrev_b32_e32 v8, 3, v18
	v_lshlrev_b32_e32 v9, 3, v38
	s_mov_b32 s17, 0
	s_delay_alu instid0(VALU_DEP_1)
	v_add3_u32 v40, v14, v8, v9
	s_branch .LBB1000_111
.LBB1000_109:                           ;   in Loop: Header=BB1000_111 Depth=1
	s_set_inst_prefetch_distance 0x2
	s_or_b32 exec_lo, exec_lo, s19
.LBB1000_110:                           ;   in Loop: Header=BB1000_111 Depth=1
	s_delay_alu instid0(VALU_DEP_1) | instskip(SKIP_1) | instid1(VALU_DEP_2)
	v_add_nc_u32_e32 v8, 1, v41
	v_cndmask_b32_e64 v39, v39, v41, s22
	v_cndmask_b32_e64 v20, v8, v20, s22
	s_delay_alu instid0(VALU_DEP_1) | instskip(SKIP_1) | instid1(SALU_CYCLE_1)
	v_cmp_ge_u32_e32 vcc_lo, v20, v39
	s_or_b32 s17, vcc_lo, s17
	s_and_not1_b32 exec_lo, exec_lo, s17
	s_cbranch_execz .LBB1000_116
.LBB1000_111:                           ; =>This Loop Header: Depth=1
                                        ;     Child Loop BB1000_114 Depth 2
	v_add_nc_u32_e32 v8, v39, v20
	v_cmp_ne_u32_e32 vcc_lo, 1, v36
	s_mov_b32 s22, 0
	s_delay_alu instid0(VALU_DEP_2)
	v_lshrrev_b32_e32 v41, 1, v8
	s_cbranch_vccnz .LBB1000_110
; %bb.112:                              ;   in Loop: Header=BB1000_111 Depth=1
	s_delay_alu instid0(VALU_DEP_1) | instskip(SKIP_3) | instid1(VALU_DEP_2)
	v_not_b32_e32 v8, v41
	v_lshl_add_u32 v9, v41, 3, v21
	s_mov_b32 s19, 0
	s_mov_b64 s[20:21], s[8:9]
                                        ; implicit-def: $sgpr22
                                        ; implicit-def: $sgpr23
                                        ; implicit-def: $sgpr24
                                        ; implicit-def: $sgpr25
                                        ; implicit-def: $sgpr26
	v_lshl_add_u32 v8, v8, 3, v40
	ds_load_b64 v[10:11], v8
	ds_load_b64 v[42:43], v9
	s_waitcnt lgkmcnt(1)
	v_mul_lo_u32 v44, v10, s9
	v_mul_lo_u32 v45, v11, s8
	v_mad_u64_u32 v[8:9], null, v10, s8, s[10:11]
	s_waitcnt lgkmcnt(0)
	v_mul_lo_u32 v46, v42, s9
	v_mul_lo_u32 v43, v43, s8
	v_mad_u64_u32 v[10:11], null, v42, s8, s[10:11]
	s_delay_alu instid0(VALU_DEP_4) | instskip(NEXT) | instid1(VALU_DEP_2)
	v_add3_u32 v9, v45, v9, v44
	v_add3_u32 v11, v43, v11, v46
	s_set_inst_prefetch_distance 0x1
	s_branch .LBB1000_114
	.p2align	6
.LBB1000_113:                           ;   in Loop: Header=BB1000_114 Depth=2
	s_or_b32 exec_lo, exec_lo, s0
	s_delay_alu instid0(SALU_CYCLE_1) | instskip(NEXT) | instid1(SALU_CYCLE_1)
	s_and_b32 s0, exec_lo, s23
	s_or_b32 s19, s0, s19
	s_and_not1_b32 s0, s26, exec_lo
	s_and_b32 s26, s24, exec_lo
	s_and_not1_b32 s22, s22, exec_lo
	s_and_b32 s27, s25, exec_lo
	s_or_b32 s26, s0, s26
	s_or_b32 s22, s22, s27
	s_and_not1_b32 exec_lo, exec_lo, s19
	s_cbranch_execz .LBB1000_109
.LBB1000_114:                           ;   Parent Loop BB1000_111 Depth=1
                                        ; =>  This Inner Loop Header: Depth=2
	global_load_u8 v42, v[8:9], off
	global_load_u8 v43, v[10:11], off
	s_and_not1_b32 s25, s25, exec_lo
	s_and_not1_b32 s24, s24, exec_lo
	s_or_b32 s23, s23, exec_lo
	s_waitcnt vmcnt(1)
	v_cmp_eq_u16_e32 vcc_lo, 0, v42
	s_waitcnt vmcnt(0)
	v_cmp_ne_u16_e64 s0, 0, v43
	s_delay_alu instid0(VALU_DEP_1) | instskip(SKIP_4) | instid1(SALU_CYCLE_1)
	s_or_b32 s27, vcc_lo, s0
	s_and_b32 s28, vcc_lo, s0
	s_and_b32 s27, s27, s26
	s_xor_b32 s29, vcc_lo, s0
	s_or_b32 s27, s28, s27
	s_and_b32 s28, s27, exec_lo
	s_delay_alu instid0(SALU_CYCLE_1)
	s_or_b32 s25, s25, s28
	s_and_saveexec_b32 s0, s29
	s_cbranch_execz .LBB1000_113
; %bb.115:                              ;   in Loop: Header=BB1000_114 Depth=2
	s_add_u32 s20, s20, -1
	s_addc_u32 s21, s21, -1
	v_add_co_u32 v8, vcc_lo, v8, 1
	v_add_co_ci_u32_e32 v9, vcc_lo, 0, v9, vcc_lo
	s_cmp_eq_u64 s[20:21], 0
	v_add_co_u32 v10, vcc_lo, v10, 1
	s_cselect_b32 s26, -1, 0
	v_add_co_ci_u32_e32 v11, vcc_lo, 0, v11, vcc_lo
	s_and_not1_b32 s24, s24, exec_lo
	s_and_b32 s27, s27, exec_lo
	s_and_not1_b32 s23, s23, exec_lo
	s_and_b32 s26, s26, exec_lo
	s_and_not1_b32 s25, s25, exec_lo
	s_or_b32 s24, s24, s27
	s_or_b32 s23, s23, s26
                                        ; implicit-def: $sgpr26
	s_branch .LBB1000_113
.LBB1000_116:
	s_or_b32 exec_lo, exec_lo, s17
.LBB1000_117:
	s_delay_alu instid0(SALU_CYCLE_1) | instskip(SKIP_2) | instid1(VALU_DEP_2)
	s_or_b32 exec_lo, exec_lo, s1
	v_add_nc_u32_e32 v9, v18, v38
	v_add_nc_u32_e32 v8, v20, v37
	v_sub_nc_u32_e32 v9, v9, v20
	s_delay_alu instid0(VALU_DEP_2) | instskip(NEXT) | instid1(VALU_DEP_2)
	v_cmp_le_u32_e32 vcc_lo, v8, v18
	v_cmp_le_u32_e64 s0, v9, v19
	s_delay_alu instid0(VALU_DEP_1) | instskip(NEXT) | instid1(SALU_CYCLE_1)
	s_or_b32 s0, vcc_lo, s0
	s_and_saveexec_b32 s17, s0
	s_cbranch_execz .LBB1000_153
; %bb.118:
	v_cmp_ge_u32_e32 vcc_lo, v8, v18
	s_mov_b32 s1, exec_lo
                                        ; implicit-def: $vgpr0_vgpr1
	v_cmpx_lt_u32_e64 v8, v18
	s_cbranch_execz .LBB1000_120
; %bb.119:
	v_lshl_add_u32 v0, v20, 3, v21
	ds_load_b64 v[0:1], v0
.LBB1000_120:
	s_or_b32 exec_lo, exec_lo, s1
	v_cmp_ge_u32_e64 s0, v9, v19
	s_mov_b32 s19, exec_lo
                                        ; implicit-def: $vgpr4_vgpr5
	v_cmpx_lt_u32_e64 v9, v19
	s_cbranch_execz .LBB1000_122
; %bb.121:
	v_lshl_add_u32 v2, v9, 3, v14
	ds_load_b64 v[4:5], v2
.LBB1000_122:
	s_or_b32 exec_lo, exec_lo, s19
	s_or_b32 s1, vcc_lo, s0
	s_xor_b32 s19, vcc_lo, -1
	s_or_b32 s1, s1, s12
	s_delay_alu instid0(SALU_CYCLE_1)
	s_xor_b32 s20, s1, -1
	s_or_b32 s1, s0, s19
	s_and_saveexec_b32 s19, s20
	s_cbranch_execz .LBB1000_128
; %bb.123:
	s_waitcnt lgkmcnt(0)
	v_mad_u64_u32 v[2:3], null, v4, s8, s[10:11]
	v_mul_lo_u32 v10, v4, s9
	v_mul_lo_u32 v11, v5, s8
	v_mad_u64_u32 v[6:7], null, v0, s8, s[10:11]
	v_mul_lo_u32 v20, v0, s9
	v_mul_lo_u32 v21, v1, s8
	s_mov_b32 s22, 0
	s_mov_b64 s[20:21], s[8:9]
                                        ; implicit-def: $sgpr23
                                        ; implicit-def: $sgpr24
                                        ; implicit-def: $sgpr25
                                        ; implicit-def: $sgpr26
                                        ; implicit-def: $sgpr27
	s_delay_alu instid0(VALU_DEP_4) | instskip(NEXT) | instid1(VALU_DEP_2)
	v_add3_u32 v3, v11, v3, v10
	v_add3_u32 v7, v21, v7, v20
	s_set_inst_prefetch_distance 0x1
	s_branch .LBB1000_125
	.p2align	6
.LBB1000_124:                           ;   in Loop: Header=BB1000_125 Depth=1
	s_or_b32 exec_lo, exec_lo, s0
	s_delay_alu instid0(SALU_CYCLE_1) | instskip(NEXT) | instid1(SALU_CYCLE_1)
	s_and_b32 s0, exec_lo, s24
	s_or_b32 s22, s0, s22
	s_and_not1_b32 s0, s27, exec_lo
	s_and_b32 s27, s26, exec_lo
	s_and_not1_b32 s23, s23, exec_lo
	s_and_b32 s28, s25, exec_lo
	s_or_b32 s27, s0, s27
	s_or_b32 s23, s23, s28
	s_and_not1_b32 exec_lo, exec_lo, s22
	s_cbranch_execz .LBB1000_127
.LBB1000_125:                           ; =>This Inner Loop Header: Depth=1
	global_load_u8 v10, v[2:3], off
	global_load_u8 v11, v[6:7], off
	s_and_not1_b32 s25, s25, exec_lo
	s_and_not1_b32 s26, s26, exec_lo
	s_or_b32 s24, s24, exec_lo
	s_waitcnt vmcnt(1)
	v_cmp_eq_u16_e32 vcc_lo, 0, v10
	s_waitcnt vmcnt(0)
	v_cmp_ne_u16_e64 s0, 0, v11
	s_delay_alu instid0(VALU_DEP_1) | instskip(SKIP_4) | instid1(SALU_CYCLE_1)
	s_or_b32 s28, vcc_lo, s0
	s_and_b32 s29, vcc_lo, s0
	s_and_b32 s28, s28, s27
	s_xor_b32 s30, vcc_lo, s0
	s_or_b32 s28, s29, s28
	s_and_b32 s29, s28, exec_lo
	s_delay_alu instid0(SALU_CYCLE_1)
	s_or_b32 s25, s25, s29
	s_and_saveexec_b32 s0, s30
	s_cbranch_execz .LBB1000_124
; %bb.126:                              ;   in Loop: Header=BB1000_125 Depth=1
	s_add_u32 s20, s20, -1
	s_addc_u32 s21, s21, -1
	v_add_co_u32 v2, vcc_lo, v2, 1
	s_cmp_eq_u64 s[20:21], 0
	v_add_co_ci_u32_e32 v3, vcc_lo, 0, v3, vcc_lo
	v_add_co_u32 v6, vcc_lo, v6, 1
	s_cselect_b32 s27, -1, 0
	v_add_co_ci_u32_e32 v7, vcc_lo, 0, v7, vcc_lo
	s_and_not1_b32 s26, s26, exec_lo
	s_and_b32 s28, s28, exec_lo
	s_and_not1_b32 s24, s24, exec_lo
	s_and_b32 s27, s27, exec_lo
	s_or_b32 s26, s26, s28
	s_and_not1_b32 s25, s25, exec_lo
	s_or_b32 s24, s24, s27
                                        ; implicit-def: $sgpr27
	s_branch .LBB1000_124
.LBB1000_127:
	s_set_inst_prefetch_distance 0x2
	s_or_b32 exec_lo, exec_lo, s22
	s_xor_b32 s0, s23, -1
	s_and_not1_b32 s1, s1, exec_lo
	s_and_b32 s0, s0, exec_lo
	s_delay_alu instid0(SALU_CYCLE_1)
	s_or_b32 s1, s1, s0
.LBB1000_128:
	s_or_b32 exec_lo, exec_lo, s19
	v_cndmask_b32_e64 v2, v9, v8, s1
	v_cndmask_b32_e64 v3, v19, v18, s1
	s_mov_b32 s19, -1
	s_mov_b32 s22, -1
	s_mov_b32 s23, exec_lo
	v_add_nc_u32_e32 v6, 1, v2
	v_add_nc_u32_e32 v2, -1, v3
	s_delay_alu instid0(VALU_DEP_2) | instskip(NEXT) | instid1(VALU_DEP_2)
	v_cndmask_b32_e64 v9, v6, v9, s1
	v_min_u32_e32 v2, v6, v2
	v_cndmask_b32_e64 v8, v8, v6, s1
	s_delay_alu instid0(VALU_DEP_2)
	v_lshl_add_u32 v2, v2, 3, v14
	ds_load_b64 v[2:3], v2
	s_waitcnt lgkmcnt(0)
	v_cndmask_b32_e64 v10, v3, v5, s1
	v_cndmask_b32_e64 v11, v2, v4, s1
	;; [unrolled: 1-line block ×4, first 2 shown]
	v_cmpx_lt_u32_e64 v9, v19
	s_cbranch_execz .LBB1000_136
; %bb.129:
	v_cmp_lt_u32_e64 s22, v8, v18
	s_xor_b32 s0, s12, -1
	s_delay_alu instid0(VALU_DEP_1) | instid1(SALU_CYCLE_1)
	s_and_b32 s0, s22, s0
	s_delay_alu instid0(SALU_CYCLE_1)
	s_and_saveexec_b32 s24, s0
	s_cbranch_execz .LBB1000_135
; %bb.130:
	v_mad_u64_u32 v[2:3], null, v11, s8, s[10:11]
	v_mul_lo_u32 v37, v11, s9
	v_mul_lo_u32 v38, v10, s8
	v_mad_u64_u32 v[6:7], null, v21, s8, s[10:11]
	v_mul_lo_u32 v39, v21, s9
	v_mul_lo_u32 v40, v20, s8
	s_mov_b32 s25, 0
	s_mov_b64 s[20:21], s[8:9]
                                        ; implicit-def: $sgpr26
                                        ; implicit-def: $sgpr27
                                        ; implicit-def: $sgpr28
                                        ; implicit-def: $sgpr29
                                        ; implicit-def: $sgpr30
	s_delay_alu instid0(VALU_DEP_4) | instskip(NEXT) | instid1(VALU_DEP_2)
	v_add3_u32 v3, v38, v3, v37
	v_add3_u32 v7, v40, v7, v39
	s_set_inst_prefetch_distance 0x1
	s_branch .LBB1000_132
	.p2align	6
.LBB1000_131:                           ;   in Loop: Header=BB1000_132 Depth=1
	s_or_b32 exec_lo, exec_lo, s0
	s_delay_alu instid0(SALU_CYCLE_1) | instskip(NEXT) | instid1(SALU_CYCLE_1)
	s_and_b32 s0, exec_lo, s27
	s_or_b32 s25, s0, s25
	s_and_not1_b32 s0, s30, exec_lo
	s_and_b32 s30, s29, exec_lo
	s_and_not1_b32 s26, s26, exec_lo
	s_and_b32 s31, s28, exec_lo
	s_or_b32 s30, s0, s30
	s_or_b32 s26, s26, s31
	s_and_not1_b32 exec_lo, exec_lo, s25
	s_cbranch_execz .LBB1000_134
.LBB1000_132:                           ; =>This Inner Loop Header: Depth=1
	global_load_u8 v37, v[2:3], off
	global_load_u8 v38, v[6:7], off
	s_and_not1_b32 s28, s28, exec_lo
	s_and_not1_b32 s29, s29, exec_lo
	s_or_b32 s27, s27, exec_lo
	s_waitcnt vmcnt(1)
	v_cmp_eq_u16_e32 vcc_lo, 0, v37
	s_waitcnt vmcnt(0)
	v_cmp_ne_u16_e64 s0, 0, v38
	s_delay_alu instid0(VALU_DEP_1) | instskip(SKIP_4) | instid1(SALU_CYCLE_1)
	s_or_b32 s31, vcc_lo, s0
	s_and_b32 s33, vcc_lo, s0
	s_and_b32 s31, s31, s30
	s_xor_b32 s34, vcc_lo, s0
	s_or_b32 s31, s33, s31
	s_and_b32 s33, s31, exec_lo
	s_delay_alu instid0(SALU_CYCLE_1)
	s_or_b32 s28, s28, s33
	s_and_saveexec_b32 s0, s34
	s_cbranch_execz .LBB1000_131
; %bb.133:                              ;   in Loop: Header=BB1000_132 Depth=1
	s_add_u32 s20, s20, -1
	s_addc_u32 s21, s21, -1
	v_add_co_u32 v2, vcc_lo, v2, 1
	s_cmp_eq_u64 s[20:21], 0
	v_add_co_ci_u32_e32 v3, vcc_lo, 0, v3, vcc_lo
	v_add_co_u32 v6, vcc_lo, v6, 1
	s_cselect_b32 s30, -1, 0
	v_add_co_ci_u32_e32 v7, vcc_lo, 0, v7, vcc_lo
	s_and_not1_b32 s29, s29, exec_lo
	s_and_b32 s31, s31, exec_lo
	s_and_not1_b32 s27, s27, exec_lo
	s_and_b32 s30, s30, exec_lo
	s_or_b32 s29, s29, s31
	s_and_not1_b32 s28, s28, exec_lo
	s_or_b32 s27, s27, s30
                                        ; implicit-def: $sgpr30
	s_branch .LBB1000_131
.LBB1000_134:
	s_set_inst_prefetch_distance 0x2
	s_or_b32 exec_lo, exec_lo, s25
	s_xor_b32 s0, s26, -1
	s_and_not1_b32 s20, s22, exec_lo
	s_and_b32 s0, s0, exec_lo
	s_delay_alu instid0(SALU_CYCLE_1)
	s_or_b32 s22, s20, s0
.LBB1000_135:
	s_or_b32 exec_lo, exec_lo, s24
	s_delay_alu instid0(SALU_CYCLE_1)
	s_or_not1_b32 s22, s22, exec_lo
.LBB1000_136:
	s_or_b32 exec_lo, exec_lo, s23
	v_cndmask_b32_e64 v2, v9, v8, s22
	v_cndmask_b32_e64 v3, v19, v18, s22
	s_mov_b32 s23, exec_lo
	s_delay_alu instid0(VALU_DEP_2) | instskip(NEXT) | instid1(VALU_DEP_2)
	v_add_nc_u32_e32 v6, 1, v2
	v_add_nc_u32_e32 v2, -1, v3
	s_delay_alu instid0(VALU_DEP_2) | instskip(NEXT) | instid1(VALU_DEP_2)
	v_cndmask_b32_e64 v40, v6, v9, s22
	v_min_u32_e32 v2, v6, v2
	v_cndmask_b32_e64 v37, v8, v6, s22
	s_delay_alu instid0(VALU_DEP_2)
	v_lshl_add_u32 v2, v2, 3, v14
	ds_load_b64 v[2:3], v2
	s_waitcnt lgkmcnt(0)
	v_cndmask_b32_e64 v38, v3, v10, s22
	v_cndmask_b32_e64 v39, v2, v11, s22
	;; [unrolled: 1-line block ×4, first 2 shown]
	v_cmpx_lt_u32_e64 v40, v19
	s_cbranch_execz .LBB1000_144
; %bb.137:
	v_cmp_lt_u32_e64 s19, v37, v18
	s_xor_b32 s0, s12, -1
	s_delay_alu instid0(VALU_DEP_1) | instid1(SALU_CYCLE_1)
	s_and_b32 s0, s19, s0
	s_delay_alu instid0(SALU_CYCLE_1)
	s_and_saveexec_b32 s24, s0
	s_cbranch_execz .LBB1000_143
; %bb.138:
	v_mad_u64_u32 v[2:3], null, v39, s8, s[10:11]
	v_mul_lo_u32 v8, v39, s9
	v_mul_lo_u32 v9, v38, s8
	v_mad_u64_u32 v[6:7], null, v42, s8, s[10:11]
	v_mul_lo_u32 v43, v42, s9
	v_mul_lo_u32 v44, v41, s8
	s_mov_b32 s25, 0
	s_mov_b64 s[20:21], s[8:9]
                                        ; implicit-def: $sgpr26
                                        ; implicit-def: $sgpr27
                                        ; implicit-def: $sgpr28
                                        ; implicit-def: $sgpr29
                                        ; implicit-def: $sgpr30
	s_delay_alu instid0(VALU_DEP_4) | instskip(NEXT) | instid1(VALU_DEP_2)
	v_add3_u32 v3, v9, v3, v8
	v_add3_u32 v7, v44, v7, v43
	s_set_inst_prefetch_distance 0x1
	s_branch .LBB1000_140
	.p2align	6
.LBB1000_139:                           ;   in Loop: Header=BB1000_140 Depth=1
	s_or_b32 exec_lo, exec_lo, s0
	s_delay_alu instid0(SALU_CYCLE_1) | instskip(NEXT) | instid1(SALU_CYCLE_1)
	s_and_b32 s0, exec_lo, s27
	s_or_b32 s25, s0, s25
	s_and_not1_b32 s0, s30, exec_lo
	s_and_b32 s30, s29, exec_lo
	s_and_not1_b32 s26, s26, exec_lo
	s_and_b32 s31, s28, exec_lo
	s_or_b32 s30, s0, s30
	s_or_b32 s26, s26, s31
	s_and_not1_b32 exec_lo, exec_lo, s25
	s_cbranch_execz .LBB1000_142
.LBB1000_140:                           ; =>This Inner Loop Header: Depth=1
	global_load_u8 v8, v[2:3], off
	global_load_u8 v9, v[6:7], off
	s_and_not1_b32 s28, s28, exec_lo
	s_and_not1_b32 s29, s29, exec_lo
	s_or_b32 s27, s27, exec_lo
	s_waitcnt vmcnt(1)
	v_cmp_eq_u16_e32 vcc_lo, 0, v8
	s_waitcnt vmcnt(0)
	v_cmp_ne_u16_e64 s0, 0, v9
	s_delay_alu instid0(VALU_DEP_1) | instskip(SKIP_4) | instid1(SALU_CYCLE_1)
	s_or_b32 s31, vcc_lo, s0
	s_and_b32 s33, vcc_lo, s0
	s_and_b32 s31, s31, s30
	s_xor_b32 s34, vcc_lo, s0
	s_or_b32 s31, s33, s31
	s_and_b32 s33, s31, exec_lo
	s_delay_alu instid0(SALU_CYCLE_1)
	s_or_b32 s28, s28, s33
	s_and_saveexec_b32 s0, s34
	s_cbranch_execz .LBB1000_139
; %bb.141:                              ;   in Loop: Header=BB1000_140 Depth=1
	s_add_u32 s20, s20, -1
	s_addc_u32 s21, s21, -1
	v_add_co_u32 v2, vcc_lo, v2, 1
	s_cmp_eq_u64 s[20:21], 0
	v_add_co_ci_u32_e32 v3, vcc_lo, 0, v3, vcc_lo
	v_add_co_u32 v6, vcc_lo, v6, 1
	s_cselect_b32 s30, -1, 0
	v_add_co_ci_u32_e32 v7, vcc_lo, 0, v7, vcc_lo
	s_and_not1_b32 s29, s29, exec_lo
	s_and_b32 s31, s31, exec_lo
	s_and_not1_b32 s27, s27, exec_lo
	s_and_b32 s30, s30, exec_lo
	s_or_b32 s29, s29, s31
	s_and_not1_b32 s28, s28, exec_lo
	s_or_b32 s27, s27, s30
                                        ; implicit-def: $sgpr30
	s_branch .LBB1000_139
.LBB1000_142:
	s_set_inst_prefetch_distance 0x2
	s_or_b32 exec_lo, exec_lo, s25
	s_xor_b32 s0, s26, -1
	s_and_not1_b32 s19, s19, exec_lo
	s_and_b32 s0, s0, exec_lo
	s_delay_alu instid0(SALU_CYCLE_1)
	s_or_b32 s19, s19, s0
.LBB1000_143:
	s_or_b32 exec_lo, exec_lo, s24
	s_delay_alu instid0(SALU_CYCLE_1)
	s_or_not1_b32 s19, s19, exec_lo
.LBB1000_144:
	s_or_b32 exec_lo, exec_lo, s23
	v_cndmask_b32_e64 v2, v40, v37, s19
	v_cndmask_b32_e64 v3, v19, v18, s19
	;; [unrolled: 1-line block ×5, first 2 shown]
	v_add_nc_u32_e32 v43, 1, v2
	v_add_nc_u32_e32 v2, -1, v3
	v_cndmask_b32_e64 v3, v10, v20, s22
	v_cndmask_b32_e64 v4, v39, v42, s19
	s_mov_b32 s1, exec_lo
	v_cndmask_b32_e64 v10, v43, v40, s19
	v_min_u32_e32 v2, v43, v2
	s_delay_alu instid0(VALU_DEP_1)
	v_lshl_add_u32 v2, v2, 3, v14
	ds_load_b64 v[8:9], v2
	v_cndmask_b32_e64 v2, v11, v21, s22
	s_waitcnt lgkmcnt(0)
	v_cndmask_b32_e64 v7, v41, v9, s19
	v_cndmask_b32_e64 v6, v42, v8, s19
	v_cmpx_lt_u32_e64 v10, v19
	s_cbranch_execz .LBB1000_152
; %bb.145:
	v_cndmask_b32_e64 v10, v37, v43, s19
	v_cndmask_b32_e64 v19, v9, v38, s19
	;; [unrolled: 1-line block ×3, first 2 shown]
	s_delay_alu instid0(VALU_DEP_3) | instskip(NEXT) | instid1(VALU_DEP_2)
	v_cmp_ge_u32_e32 vcc_lo, v10, v18
	v_dual_cndmask_b32 v9, v7, v19 :: v_dual_cndmask_b32 v8, v6, v20
	s_or_b32 s0, vcc_lo, s12
	s_delay_alu instid0(SALU_CYCLE_1) | instskip(NEXT) | instid1(SALU_CYCLE_1)
	s_xor_b32 s0, s0, -1
	s_and_saveexec_b32 s19, s0
	s_cbranch_execz .LBB1000_151
; %bb.146:
	v_mad_u64_u32 v[8:9], null, v20, s8, s[10:11]
	v_mul_lo_u32 v18, v20, s9
	v_mul_lo_u32 v21, v19, s8
	v_mad_u64_u32 v[10:11], null, v6, s8, s[10:11]
	v_mul_lo_u32 v37, v6, s9
	v_mul_lo_u32 v38, v7, s8
	s_mov_b32 s22, 0
	s_mov_b64 s[20:21], s[8:9]
                                        ; implicit-def: $sgpr23
                                        ; implicit-def: $sgpr24
                                        ; implicit-def: $sgpr25
                                        ; implicit-def: $sgpr26
                                        ; implicit-def: $sgpr27
	s_delay_alu instid0(VALU_DEP_4) | instskip(NEXT) | instid1(VALU_DEP_2)
	v_add3_u32 v9, v21, v9, v18
	v_add3_u32 v11, v38, v11, v37
	s_set_inst_prefetch_distance 0x1
	s_branch .LBB1000_148
	.p2align	6
.LBB1000_147:                           ;   in Loop: Header=BB1000_148 Depth=1
	s_or_b32 exec_lo, exec_lo, s0
	s_delay_alu instid0(SALU_CYCLE_1) | instskip(NEXT) | instid1(SALU_CYCLE_1)
	s_and_b32 s0, exec_lo, s24
	s_or_b32 s22, s0, s22
	s_and_not1_b32 s0, s27, exec_lo
	s_and_b32 s27, s26, exec_lo
	s_and_not1_b32 s23, s23, exec_lo
	s_and_b32 s28, s25, exec_lo
	s_or_b32 s27, s0, s27
	s_or_b32 s23, s23, s28
	s_and_not1_b32 exec_lo, exec_lo, s22
	s_cbranch_execz .LBB1000_150
.LBB1000_148:                           ; =>This Inner Loop Header: Depth=1
	global_load_u8 v18, v[8:9], off
	global_load_u8 v21, v[10:11], off
	s_and_not1_b32 s25, s25, exec_lo
	s_and_not1_b32 s26, s26, exec_lo
	s_or_b32 s24, s24, exec_lo
	s_waitcnt vmcnt(1)
	v_cmp_eq_u16_e32 vcc_lo, 0, v18
	s_waitcnt vmcnt(0)
	v_cmp_ne_u16_e64 s0, 0, v21
	s_delay_alu instid0(VALU_DEP_1) | instskip(SKIP_4) | instid1(SALU_CYCLE_1)
	s_or_b32 s28, vcc_lo, s0
	s_and_b32 s29, vcc_lo, s0
	s_and_b32 s28, s28, s27
	s_xor_b32 s30, vcc_lo, s0
	s_or_b32 s28, s29, s28
	s_and_b32 s29, s28, exec_lo
	s_delay_alu instid0(SALU_CYCLE_1)
	s_or_b32 s25, s25, s29
	s_and_saveexec_b32 s0, s30
	s_cbranch_execz .LBB1000_147
; %bb.149:                              ;   in Loop: Header=BB1000_148 Depth=1
	s_add_u32 s20, s20, -1
	s_addc_u32 s21, s21, -1
	v_add_co_u32 v8, vcc_lo, v8, 1
	s_cmp_eq_u64 s[20:21], 0
	v_add_co_ci_u32_e32 v9, vcc_lo, 0, v9, vcc_lo
	v_add_co_u32 v10, vcc_lo, v10, 1
	s_cselect_b32 s27, -1, 0
	v_add_co_ci_u32_e32 v11, vcc_lo, 0, v11, vcc_lo
	s_and_not1_b32 s26, s26, exec_lo
	s_and_b32 s28, s28, exec_lo
	s_and_not1_b32 s24, s24, exec_lo
	s_and_b32 s27, s27, exec_lo
	s_or_b32 s26, s26, s28
	s_and_not1_b32 s25, s25, exec_lo
	s_or_b32 s24, s24, s27
                                        ; implicit-def: $sgpr27
	s_branch .LBB1000_147
.LBB1000_150:
	s_set_inst_prefetch_distance 0x2
	s_or_b32 exec_lo, exec_lo, s22
	v_cndmask_b32_e64 v9, v7, v19, s23
	v_cndmask_b32_e64 v8, v6, v20, s23
.LBB1000_151:
	s_or_b32 exec_lo, exec_lo, s19
	s_delay_alu instid0(VALU_DEP_1)
	v_dual_mov_b32 v6, v8 :: v_dual_mov_b32 v7, v9
.LBB1000_152:
	s_or_b32 exec_lo, exec_lo, s1
.LBB1000_153:
	s_delay_alu instid0(SALU_CYCLE_1) | instskip(SKIP_3) | instid1(VALU_DEP_2)
	s_or_b32 exec_lo, exec_lo, s17
	v_and_b32_e32 v37, 0x60, v16
	v_and_b32_e32 v9, 28, v16
	s_mov_b32 s1, exec_lo
	; wave barrier
	v_or_b32_e32 v8, 16, v37
	s_delay_alu instid0(VALU_DEP_2) | instskip(SKIP_4) | instid1(VALU_DEP_1)
	v_min_u32_e32 v38, v15, v9
	v_lshl_add_u32 v21, v37, 3, v14
	ds_store_b128 v17, v[0:3]
	ds_store_b128 v17, v[4:7] offset:16
	v_min_u32_e32 v18, v15, v8
	; wave barrier
	v_add_nc_u32_e32 v8, 16, v18
	v_sub_nc_u32_e32 v9, v18, v37
	s_delay_alu instid0(VALU_DEP_2) | instskip(NEXT) | instid1(VALU_DEP_2)
	v_min_u32_e32 v19, v15, v8
	v_min_u32_e32 v39, v38, v9
	s_delay_alu instid0(VALU_DEP_2) | instskip(NEXT) | instid1(VALU_DEP_1)
	v_sub_nc_u32_e32 v8, v19, v18
	v_sub_nc_u32_e64 v20, v38, v8 clamp
	s_delay_alu instid0(VALU_DEP_1)
	v_cmpx_lt_u32_e64 v20, v39
	s_cbranch_execz .LBB1000_163
; %bb.154:
	v_lshlrev_b32_e32 v8, 3, v18
	v_lshlrev_b32_e32 v9, 3, v38
	s_mov_b32 s17, 0
	s_delay_alu instid0(VALU_DEP_1)
	v_add3_u32 v40, v14, v8, v9
	s_branch .LBB1000_157
.LBB1000_155:                           ;   in Loop: Header=BB1000_157 Depth=1
	s_set_inst_prefetch_distance 0x2
	s_or_b32 exec_lo, exec_lo, s19
.LBB1000_156:                           ;   in Loop: Header=BB1000_157 Depth=1
	s_delay_alu instid0(VALU_DEP_1) | instskip(SKIP_1) | instid1(VALU_DEP_2)
	v_add_nc_u32_e32 v8, 1, v41
	v_cndmask_b32_e64 v39, v39, v41, s22
	v_cndmask_b32_e64 v20, v8, v20, s22
	s_delay_alu instid0(VALU_DEP_1) | instskip(SKIP_1) | instid1(SALU_CYCLE_1)
	v_cmp_ge_u32_e32 vcc_lo, v20, v39
	s_or_b32 s17, vcc_lo, s17
	s_and_not1_b32 exec_lo, exec_lo, s17
	s_cbranch_execz .LBB1000_162
.LBB1000_157:                           ; =>This Loop Header: Depth=1
                                        ;     Child Loop BB1000_160 Depth 2
	v_add_nc_u32_e32 v8, v39, v20
	v_cmp_ne_u32_e32 vcc_lo, 1, v36
	s_mov_b32 s22, 0
	s_delay_alu instid0(VALU_DEP_2)
	v_lshrrev_b32_e32 v41, 1, v8
	s_cbranch_vccnz .LBB1000_156
; %bb.158:                              ;   in Loop: Header=BB1000_157 Depth=1
	s_delay_alu instid0(VALU_DEP_1) | instskip(SKIP_3) | instid1(VALU_DEP_2)
	v_not_b32_e32 v8, v41
	v_lshl_add_u32 v9, v41, 3, v21
	s_mov_b32 s19, 0
	s_mov_b64 s[20:21], s[8:9]
                                        ; implicit-def: $sgpr22
                                        ; implicit-def: $sgpr23
                                        ; implicit-def: $sgpr24
                                        ; implicit-def: $sgpr25
                                        ; implicit-def: $sgpr26
	v_lshl_add_u32 v8, v8, 3, v40
	ds_load_b64 v[10:11], v8
	ds_load_b64 v[42:43], v9
	s_waitcnt lgkmcnt(1)
	v_mul_lo_u32 v44, v10, s9
	v_mul_lo_u32 v45, v11, s8
	v_mad_u64_u32 v[8:9], null, v10, s8, s[10:11]
	s_waitcnt lgkmcnt(0)
	v_mul_lo_u32 v46, v42, s9
	v_mul_lo_u32 v43, v43, s8
	v_mad_u64_u32 v[10:11], null, v42, s8, s[10:11]
	s_delay_alu instid0(VALU_DEP_4) | instskip(NEXT) | instid1(VALU_DEP_2)
	v_add3_u32 v9, v45, v9, v44
	v_add3_u32 v11, v43, v11, v46
	s_set_inst_prefetch_distance 0x1
	s_branch .LBB1000_160
	.p2align	6
.LBB1000_159:                           ;   in Loop: Header=BB1000_160 Depth=2
	s_or_b32 exec_lo, exec_lo, s0
	s_delay_alu instid0(SALU_CYCLE_1) | instskip(NEXT) | instid1(SALU_CYCLE_1)
	s_and_b32 s0, exec_lo, s23
	s_or_b32 s19, s0, s19
	s_and_not1_b32 s0, s26, exec_lo
	s_and_b32 s26, s24, exec_lo
	s_and_not1_b32 s22, s22, exec_lo
	s_and_b32 s27, s25, exec_lo
	s_or_b32 s26, s0, s26
	s_or_b32 s22, s22, s27
	s_and_not1_b32 exec_lo, exec_lo, s19
	s_cbranch_execz .LBB1000_155
.LBB1000_160:                           ;   Parent Loop BB1000_157 Depth=1
                                        ; =>  This Inner Loop Header: Depth=2
	global_load_u8 v42, v[8:9], off
	global_load_u8 v43, v[10:11], off
	s_and_not1_b32 s25, s25, exec_lo
	s_and_not1_b32 s24, s24, exec_lo
	s_or_b32 s23, s23, exec_lo
	s_waitcnt vmcnt(1)
	v_cmp_eq_u16_e32 vcc_lo, 0, v42
	s_waitcnt vmcnt(0)
	v_cmp_ne_u16_e64 s0, 0, v43
	s_delay_alu instid0(VALU_DEP_1) | instskip(SKIP_4) | instid1(SALU_CYCLE_1)
	s_or_b32 s27, vcc_lo, s0
	s_and_b32 s28, vcc_lo, s0
	s_and_b32 s27, s27, s26
	s_xor_b32 s29, vcc_lo, s0
	s_or_b32 s27, s28, s27
	s_and_b32 s28, s27, exec_lo
	s_delay_alu instid0(SALU_CYCLE_1)
	s_or_b32 s25, s25, s28
	s_and_saveexec_b32 s0, s29
	s_cbranch_execz .LBB1000_159
; %bb.161:                              ;   in Loop: Header=BB1000_160 Depth=2
	s_add_u32 s20, s20, -1
	s_addc_u32 s21, s21, -1
	v_add_co_u32 v8, vcc_lo, v8, 1
	v_add_co_ci_u32_e32 v9, vcc_lo, 0, v9, vcc_lo
	s_cmp_eq_u64 s[20:21], 0
	v_add_co_u32 v10, vcc_lo, v10, 1
	s_cselect_b32 s26, -1, 0
	v_add_co_ci_u32_e32 v11, vcc_lo, 0, v11, vcc_lo
	s_and_not1_b32 s24, s24, exec_lo
	s_and_b32 s27, s27, exec_lo
	s_and_not1_b32 s23, s23, exec_lo
	s_and_b32 s26, s26, exec_lo
	s_and_not1_b32 s25, s25, exec_lo
	s_or_b32 s24, s24, s27
	s_or_b32 s23, s23, s26
                                        ; implicit-def: $sgpr26
	s_branch .LBB1000_159
.LBB1000_162:
	s_or_b32 exec_lo, exec_lo, s17
.LBB1000_163:
	s_delay_alu instid0(SALU_CYCLE_1) | instskip(SKIP_2) | instid1(VALU_DEP_2)
	s_or_b32 exec_lo, exec_lo, s1
	v_add_nc_u32_e32 v9, v18, v38
	v_add_nc_u32_e32 v8, v20, v37
	v_sub_nc_u32_e32 v9, v9, v20
	s_delay_alu instid0(VALU_DEP_2) | instskip(NEXT) | instid1(VALU_DEP_2)
	v_cmp_le_u32_e32 vcc_lo, v8, v18
	v_cmp_le_u32_e64 s0, v9, v19
	s_delay_alu instid0(VALU_DEP_1) | instskip(NEXT) | instid1(SALU_CYCLE_1)
	s_or_b32 s0, vcc_lo, s0
	s_and_saveexec_b32 s17, s0
	s_cbranch_execz .LBB1000_199
; %bb.164:
	v_cmp_ge_u32_e32 vcc_lo, v8, v18
	s_mov_b32 s1, exec_lo
                                        ; implicit-def: $vgpr0_vgpr1
	v_cmpx_lt_u32_e64 v8, v18
	s_cbranch_execz .LBB1000_166
; %bb.165:
	v_lshl_add_u32 v0, v20, 3, v21
	ds_load_b64 v[0:1], v0
.LBB1000_166:
	s_or_b32 exec_lo, exec_lo, s1
	v_cmp_ge_u32_e64 s0, v9, v19
	s_mov_b32 s19, exec_lo
                                        ; implicit-def: $vgpr4_vgpr5
	v_cmpx_lt_u32_e64 v9, v19
	s_cbranch_execz .LBB1000_168
; %bb.167:
	v_lshl_add_u32 v2, v9, 3, v14
	ds_load_b64 v[4:5], v2
.LBB1000_168:
	s_or_b32 exec_lo, exec_lo, s19
	s_or_b32 s1, vcc_lo, s0
	s_xor_b32 s19, vcc_lo, -1
	s_or_b32 s1, s1, s12
	s_delay_alu instid0(SALU_CYCLE_1)
	s_xor_b32 s20, s1, -1
	s_or_b32 s1, s0, s19
	s_and_saveexec_b32 s19, s20
	s_cbranch_execz .LBB1000_174
; %bb.169:
	s_waitcnt lgkmcnt(0)
	v_mad_u64_u32 v[2:3], null, v4, s8, s[10:11]
	v_mul_lo_u32 v10, v4, s9
	v_mul_lo_u32 v11, v5, s8
	v_mad_u64_u32 v[6:7], null, v0, s8, s[10:11]
	v_mul_lo_u32 v20, v0, s9
	v_mul_lo_u32 v21, v1, s8
	s_mov_b32 s22, 0
	s_mov_b64 s[20:21], s[8:9]
                                        ; implicit-def: $sgpr23
                                        ; implicit-def: $sgpr24
                                        ; implicit-def: $sgpr25
                                        ; implicit-def: $sgpr26
                                        ; implicit-def: $sgpr27
	s_delay_alu instid0(VALU_DEP_4) | instskip(NEXT) | instid1(VALU_DEP_2)
	v_add3_u32 v3, v11, v3, v10
	v_add3_u32 v7, v21, v7, v20
	s_set_inst_prefetch_distance 0x1
	s_branch .LBB1000_171
	.p2align	6
.LBB1000_170:                           ;   in Loop: Header=BB1000_171 Depth=1
	s_or_b32 exec_lo, exec_lo, s0
	s_delay_alu instid0(SALU_CYCLE_1) | instskip(NEXT) | instid1(SALU_CYCLE_1)
	s_and_b32 s0, exec_lo, s24
	s_or_b32 s22, s0, s22
	s_and_not1_b32 s0, s27, exec_lo
	s_and_b32 s27, s26, exec_lo
	s_and_not1_b32 s23, s23, exec_lo
	s_and_b32 s28, s25, exec_lo
	s_or_b32 s27, s0, s27
	s_or_b32 s23, s23, s28
	s_and_not1_b32 exec_lo, exec_lo, s22
	s_cbranch_execz .LBB1000_173
.LBB1000_171:                           ; =>This Inner Loop Header: Depth=1
	global_load_u8 v10, v[2:3], off
	global_load_u8 v11, v[6:7], off
	s_and_not1_b32 s25, s25, exec_lo
	s_and_not1_b32 s26, s26, exec_lo
	s_or_b32 s24, s24, exec_lo
	s_waitcnt vmcnt(1)
	v_cmp_eq_u16_e32 vcc_lo, 0, v10
	s_waitcnt vmcnt(0)
	v_cmp_ne_u16_e64 s0, 0, v11
	s_delay_alu instid0(VALU_DEP_1) | instskip(SKIP_4) | instid1(SALU_CYCLE_1)
	s_or_b32 s28, vcc_lo, s0
	s_and_b32 s29, vcc_lo, s0
	s_and_b32 s28, s28, s27
	s_xor_b32 s30, vcc_lo, s0
	s_or_b32 s28, s29, s28
	s_and_b32 s29, s28, exec_lo
	s_delay_alu instid0(SALU_CYCLE_1)
	s_or_b32 s25, s25, s29
	s_and_saveexec_b32 s0, s30
	s_cbranch_execz .LBB1000_170
; %bb.172:                              ;   in Loop: Header=BB1000_171 Depth=1
	s_add_u32 s20, s20, -1
	s_addc_u32 s21, s21, -1
	v_add_co_u32 v2, vcc_lo, v2, 1
	s_cmp_eq_u64 s[20:21], 0
	v_add_co_ci_u32_e32 v3, vcc_lo, 0, v3, vcc_lo
	v_add_co_u32 v6, vcc_lo, v6, 1
	s_cselect_b32 s27, -1, 0
	v_add_co_ci_u32_e32 v7, vcc_lo, 0, v7, vcc_lo
	s_and_not1_b32 s26, s26, exec_lo
	s_and_b32 s28, s28, exec_lo
	s_and_not1_b32 s24, s24, exec_lo
	s_and_b32 s27, s27, exec_lo
	s_or_b32 s26, s26, s28
	s_and_not1_b32 s25, s25, exec_lo
	s_or_b32 s24, s24, s27
                                        ; implicit-def: $sgpr27
	s_branch .LBB1000_170
.LBB1000_173:
	s_set_inst_prefetch_distance 0x2
	s_or_b32 exec_lo, exec_lo, s22
	s_xor_b32 s0, s23, -1
	s_and_not1_b32 s1, s1, exec_lo
	s_and_b32 s0, s0, exec_lo
	s_delay_alu instid0(SALU_CYCLE_1)
	s_or_b32 s1, s1, s0
.LBB1000_174:
	s_or_b32 exec_lo, exec_lo, s19
	v_cndmask_b32_e64 v2, v9, v8, s1
	v_cndmask_b32_e64 v3, v19, v18, s1
	s_mov_b32 s19, -1
	s_mov_b32 s22, -1
	s_mov_b32 s23, exec_lo
	v_add_nc_u32_e32 v6, 1, v2
	v_add_nc_u32_e32 v2, -1, v3
	s_delay_alu instid0(VALU_DEP_2) | instskip(NEXT) | instid1(VALU_DEP_2)
	v_cndmask_b32_e64 v9, v6, v9, s1
	v_min_u32_e32 v2, v6, v2
	v_cndmask_b32_e64 v8, v8, v6, s1
	s_delay_alu instid0(VALU_DEP_2)
	v_lshl_add_u32 v2, v2, 3, v14
	ds_load_b64 v[2:3], v2
	s_waitcnt lgkmcnt(0)
	v_cndmask_b32_e64 v10, v3, v5, s1
	v_cndmask_b32_e64 v11, v2, v4, s1
	;; [unrolled: 1-line block ×4, first 2 shown]
	v_cmpx_lt_u32_e64 v9, v19
	s_cbranch_execz .LBB1000_182
; %bb.175:
	v_cmp_lt_u32_e64 s22, v8, v18
	s_xor_b32 s0, s12, -1
	s_delay_alu instid0(VALU_DEP_1) | instid1(SALU_CYCLE_1)
	s_and_b32 s0, s22, s0
	s_delay_alu instid0(SALU_CYCLE_1)
	s_and_saveexec_b32 s24, s0
	s_cbranch_execz .LBB1000_181
; %bb.176:
	v_mad_u64_u32 v[2:3], null, v11, s8, s[10:11]
	v_mul_lo_u32 v37, v11, s9
	v_mul_lo_u32 v38, v10, s8
	v_mad_u64_u32 v[6:7], null, v21, s8, s[10:11]
	v_mul_lo_u32 v39, v21, s9
	v_mul_lo_u32 v40, v20, s8
	s_mov_b32 s25, 0
	s_mov_b64 s[20:21], s[8:9]
                                        ; implicit-def: $sgpr26
                                        ; implicit-def: $sgpr27
                                        ; implicit-def: $sgpr28
                                        ; implicit-def: $sgpr29
                                        ; implicit-def: $sgpr30
	s_delay_alu instid0(VALU_DEP_4) | instskip(NEXT) | instid1(VALU_DEP_2)
	v_add3_u32 v3, v38, v3, v37
	v_add3_u32 v7, v40, v7, v39
	s_set_inst_prefetch_distance 0x1
	s_branch .LBB1000_178
	.p2align	6
.LBB1000_177:                           ;   in Loop: Header=BB1000_178 Depth=1
	s_or_b32 exec_lo, exec_lo, s0
	s_delay_alu instid0(SALU_CYCLE_1) | instskip(NEXT) | instid1(SALU_CYCLE_1)
	s_and_b32 s0, exec_lo, s27
	s_or_b32 s25, s0, s25
	s_and_not1_b32 s0, s30, exec_lo
	s_and_b32 s30, s29, exec_lo
	s_and_not1_b32 s26, s26, exec_lo
	s_and_b32 s31, s28, exec_lo
	s_or_b32 s30, s0, s30
	s_or_b32 s26, s26, s31
	s_and_not1_b32 exec_lo, exec_lo, s25
	s_cbranch_execz .LBB1000_180
.LBB1000_178:                           ; =>This Inner Loop Header: Depth=1
	global_load_u8 v37, v[2:3], off
	global_load_u8 v38, v[6:7], off
	s_and_not1_b32 s28, s28, exec_lo
	s_and_not1_b32 s29, s29, exec_lo
	s_or_b32 s27, s27, exec_lo
	s_waitcnt vmcnt(1)
	v_cmp_eq_u16_e32 vcc_lo, 0, v37
	s_waitcnt vmcnt(0)
	v_cmp_ne_u16_e64 s0, 0, v38
	s_delay_alu instid0(VALU_DEP_1) | instskip(SKIP_4) | instid1(SALU_CYCLE_1)
	s_or_b32 s31, vcc_lo, s0
	s_and_b32 s33, vcc_lo, s0
	s_and_b32 s31, s31, s30
	s_xor_b32 s34, vcc_lo, s0
	s_or_b32 s31, s33, s31
	s_and_b32 s33, s31, exec_lo
	s_delay_alu instid0(SALU_CYCLE_1)
	s_or_b32 s28, s28, s33
	s_and_saveexec_b32 s0, s34
	s_cbranch_execz .LBB1000_177
; %bb.179:                              ;   in Loop: Header=BB1000_178 Depth=1
	s_add_u32 s20, s20, -1
	s_addc_u32 s21, s21, -1
	v_add_co_u32 v2, vcc_lo, v2, 1
	s_cmp_eq_u64 s[20:21], 0
	v_add_co_ci_u32_e32 v3, vcc_lo, 0, v3, vcc_lo
	v_add_co_u32 v6, vcc_lo, v6, 1
	s_cselect_b32 s30, -1, 0
	v_add_co_ci_u32_e32 v7, vcc_lo, 0, v7, vcc_lo
	s_and_not1_b32 s29, s29, exec_lo
	s_and_b32 s31, s31, exec_lo
	s_and_not1_b32 s27, s27, exec_lo
	s_and_b32 s30, s30, exec_lo
	s_or_b32 s29, s29, s31
	s_and_not1_b32 s28, s28, exec_lo
	s_or_b32 s27, s27, s30
                                        ; implicit-def: $sgpr30
	s_branch .LBB1000_177
.LBB1000_180:
	s_set_inst_prefetch_distance 0x2
	s_or_b32 exec_lo, exec_lo, s25
	s_xor_b32 s0, s26, -1
	s_and_not1_b32 s20, s22, exec_lo
	s_and_b32 s0, s0, exec_lo
	s_delay_alu instid0(SALU_CYCLE_1)
	s_or_b32 s22, s20, s0
.LBB1000_181:
	s_or_b32 exec_lo, exec_lo, s24
	s_delay_alu instid0(SALU_CYCLE_1)
	s_or_not1_b32 s22, s22, exec_lo
.LBB1000_182:
	s_or_b32 exec_lo, exec_lo, s23
	v_cndmask_b32_e64 v2, v9, v8, s22
	v_cndmask_b32_e64 v3, v19, v18, s22
	s_mov_b32 s23, exec_lo
	s_delay_alu instid0(VALU_DEP_2) | instskip(NEXT) | instid1(VALU_DEP_2)
	v_add_nc_u32_e32 v6, 1, v2
	v_add_nc_u32_e32 v2, -1, v3
	s_delay_alu instid0(VALU_DEP_2) | instskip(NEXT) | instid1(VALU_DEP_2)
	v_cndmask_b32_e64 v40, v6, v9, s22
	v_min_u32_e32 v2, v6, v2
	v_cndmask_b32_e64 v37, v8, v6, s22
	s_delay_alu instid0(VALU_DEP_2)
	v_lshl_add_u32 v2, v2, 3, v14
	ds_load_b64 v[2:3], v2
	s_waitcnt lgkmcnt(0)
	v_cndmask_b32_e64 v38, v3, v10, s22
	v_cndmask_b32_e64 v39, v2, v11, s22
	;; [unrolled: 1-line block ×4, first 2 shown]
	v_cmpx_lt_u32_e64 v40, v19
	s_cbranch_execz .LBB1000_190
; %bb.183:
	v_cmp_lt_u32_e64 s19, v37, v18
	s_xor_b32 s0, s12, -1
	s_delay_alu instid0(VALU_DEP_1) | instid1(SALU_CYCLE_1)
	s_and_b32 s0, s19, s0
	s_delay_alu instid0(SALU_CYCLE_1)
	s_and_saveexec_b32 s24, s0
	s_cbranch_execz .LBB1000_189
; %bb.184:
	v_mad_u64_u32 v[2:3], null, v39, s8, s[10:11]
	v_mul_lo_u32 v8, v39, s9
	v_mul_lo_u32 v9, v38, s8
	v_mad_u64_u32 v[6:7], null, v42, s8, s[10:11]
	v_mul_lo_u32 v43, v42, s9
	v_mul_lo_u32 v44, v41, s8
	s_mov_b32 s25, 0
	s_mov_b64 s[20:21], s[8:9]
                                        ; implicit-def: $sgpr26
                                        ; implicit-def: $sgpr27
                                        ; implicit-def: $sgpr28
                                        ; implicit-def: $sgpr29
                                        ; implicit-def: $sgpr30
	s_delay_alu instid0(VALU_DEP_4) | instskip(NEXT) | instid1(VALU_DEP_2)
	v_add3_u32 v3, v9, v3, v8
	v_add3_u32 v7, v44, v7, v43
	s_set_inst_prefetch_distance 0x1
	s_branch .LBB1000_186
	.p2align	6
.LBB1000_185:                           ;   in Loop: Header=BB1000_186 Depth=1
	s_or_b32 exec_lo, exec_lo, s0
	s_delay_alu instid0(SALU_CYCLE_1) | instskip(NEXT) | instid1(SALU_CYCLE_1)
	s_and_b32 s0, exec_lo, s27
	s_or_b32 s25, s0, s25
	s_and_not1_b32 s0, s30, exec_lo
	s_and_b32 s30, s29, exec_lo
	s_and_not1_b32 s26, s26, exec_lo
	s_and_b32 s31, s28, exec_lo
	s_or_b32 s30, s0, s30
	s_or_b32 s26, s26, s31
	s_and_not1_b32 exec_lo, exec_lo, s25
	s_cbranch_execz .LBB1000_188
.LBB1000_186:                           ; =>This Inner Loop Header: Depth=1
	global_load_u8 v8, v[2:3], off
	global_load_u8 v9, v[6:7], off
	s_and_not1_b32 s28, s28, exec_lo
	s_and_not1_b32 s29, s29, exec_lo
	s_or_b32 s27, s27, exec_lo
	s_waitcnt vmcnt(1)
	v_cmp_eq_u16_e32 vcc_lo, 0, v8
	s_waitcnt vmcnt(0)
	v_cmp_ne_u16_e64 s0, 0, v9
	s_delay_alu instid0(VALU_DEP_1) | instskip(SKIP_4) | instid1(SALU_CYCLE_1)
	s_or_b32 s31, vcc_lo, s0
	s_and_b32 s33, vcc_lo, s0
	s_and_b32 s31, s31, s30
	s_xor_b32 s34, vcc_lo, s0
	s_or_b32 s31, s33, s31
	s_and_b32 s33, s31, exec_lo
	s_delay_alu instid0(SALU_CYCLE_1)
	s_or_b32 s28, s28, s33
	s_and_saveexec_b32 s0, s34
	s_cbranch_execz .LBB1000_185
; %bb.187:                              ;   in Loop: Header=BB1000_186 Depth=1
	s_add_u32 s20, s20, -1
	s_addc_u32 s21, s21, -1
	v_add_co_u32 v2, vcc_lo, v2, 1
	s_cmp_eq_u64 s[20:21], 0
	v_add_co_ci_u32_e32 v3, vcc_lo, 0, v3, vcc_lo
	v_add_co_u32 v6, vcc_lo, v6, 1
	s_cselect_b32 s30, -1, 0
	v_add_co_ci_u32_e32 v7, vcc_lo, 0, v7, vcc_lo
	s_and_not1_b32 s29, s29, exec_lo
	s_and_b32 s31, s31, exec_lo
	s_and_not1_b32 s27, s27, exec_lo
	s_and_b32 s30, s30, exec_lo
	s_or_b32 s29, s29, s31
	s_and_not1_b32 s28, s28, exec_lo
	s_or_b32 s27, s27, s30
                                        ; implicit-def: $sgpr30
	s_branch .LBB1000_185
.LBB1000_188:
	s_set_inst_prefetch_distance 0x2
	s_or_b32 exec_lo, exec_lo, s25
	s_xor_b32 s0, s26, -1
	s_and_not1_b32 s19, s19, exec_lo
	s_and_b32 s0, s0, exec_lo
	s_delay_alu instid0(SALU_CYCLE_1)
	s_or_b32 s19, s19, s0
.LBB1000_189:
	s_or_b32 exec_lo, exec_lo, s24
	s_delay_alu instid0(SALU_CYCLE_1)
	s_or_not1_b32 s19, s19, exec_lo
.LBB1000_190:
	s_or_b32 exec_lo, exec_lo, s23
	v_cndmask_b32_e64 v2, v40, v37, s19
	v_cndmask_b32_e64 v3, v19, v18, s19
	;; [unrolled: 1-line block ×5, first 2 shown]
	v_add_nc_u32_e32 v43, 1, v2
	v_add_nc_u32_e32 v2, -1, v3
	v_cndmask_b32_e64 v3, v10, v20, s22
	v_cndmask_b32_e64 v4, v39, v42, s19
	s_mov_b32 s1, exec_lo
	v_cndmask_b32_e64 v10, v43, v40, s19
	v_min_u32_e32 v2, v43, v2
	s_delay_alu instid0(VALU_DEP_1)
	v_lshl_add_u32 v2, v2, 3, v14
	ds_load_b64 v[8:9], v2
	v_cndmask_b32_e64 v2, v11, v21, s22
	s_waitcnt lgkmcnt(0)
	v_cndmask_b32_e64 v7, v41, v9, s19
	v_cndmask_b32_e64 v6, v42, v8, s19
	v_cmpx_lt_u32_e64 v10, v19
	s_cbranch_execz .LBB1000_198
; %bb.191:
	v_cndmask_b32_e64 v10, v37, v43, s19
	v_cndmask_b32_e64 v19, v9, v38, s19
	;; [unrolled: 1-line block ×3, first 2 shown]
	s_delay_alu instid0(VALU_DEP_3) | instskip(NEXT) | instid1(VALU_DEP_2)
	v_cmp_ge_u32_e32 vcc_lo, v10, v18
	v_dual_cndmask_b32 v9, v7, v19 :: v_dual_cndmask_b32 v8, v6, v20
	s_or_b32 s0, vcc_lo, s12
	s_delay_alu instid0(SALU_CYCLE_1) | instskip(NEXT) | instid1(SALU_CYCLE_1)
	s_xor_b32 s0, s0, -1
	s_and_saveexec_b32 s19, s0
	s_cbranch_execz .LBB1000_197
; %bb.192:
	v_mad_u64_u32 v[8:9], null, v20, s8, s[10:11]
	v_mul_lo_u32 v18, v20, s9
	v_mul_lo_u32 v21, v19, s8
	v_mad_u64_u32 v[10:11], null, v6, s8, s[10:11]
	v_mul_lo_u32 v37, v6, s9
	v_mul_lo_u32 v38, v7, s8
	s_mov_b32 s22, 0
	s_mov_b64 s[20:21], s[8:9]
                                        ; implicit-def: $sgpr23
                                        ; implicit-def: $sgpr24
                                        ; implicit-def: $sgpr25
                                        ; implicit-def: $sgpr26
                                        ; implicit-def: $sgpr27
	s_delay_alu instid0(VALU_DEP_4) | instskip(NEXT) | instid1(VALU_DEP_2)
	v_add3_u32 v9, v21, v9, v18
	v_add3_u32 v11, v38, v11, v37
	s_set_inst_prefetch_distance 0x1
	s_branch .LBB1000_194
	.p2align	6
.LBB1000_193:                           ;   in Loop: Header=BB1000_194 Depth=1
	s_or_b32 exec_lo, exec_lo, s0
	s_delay_alu instid0(SALU_CYCLE_1) | instskip(NEXT) | instid1(SALU_CYCLE_1)
	s_and_b32 s0, exec_lo, s24
	s_or_b32 s22, s0, s22
	s_and_not1_b32 s0, s27, exec_lo
	s_and_b32 s27, s26, exec_lo
	s_and_not1_b32 s23, s23, exec_lo
	s_and_b32 s28, s25, exec_lo
	s_or_b32 s27, s0, s27
	s_or_b32 s23, s23, s28
	s_and_not1_b32 exec_lo, exec_lo, s22
	s_cbranch_execz .LBB1000_196
.LBB1000_194:                           ; =>This Inner Loop Header: Depth=1
	global_load_u8 v18, v[8:9], off
	global_load_u8 v21, v[10:11], off
	s_and_not1_b32 s25, s25, exec_lo
	s_and_not1_b32 s26, s26, exec_lo
	s_or_b32 s24, s24, exec_lo
	s_waitcnt vmcnt(1)
	v_cmp_eq_u16_e32 vcc_lo, 0, v18
	s_waitcnt vmcnt(0)
	v_cmp_ne_u16_e64 s0, 0, v21
	s_delay_alu instid0(VALU_DEP_1) | instskip(SKIP_4) | instid1(SALU_CYCLE_1)
	s_or_b32 s28, vcc_lo, s0
	s_and_b32 s29, vcc_lo, s0
	s_and_b32 s28, s28, s27
	s_xor_b32 s30, vcc_lo, s0
	s_or_b32 s28, s29, s28
	s_and_b32 s29, s28, exec_lo
	s_delay_alu instid0(SALU_CYCLE_1)
	s_or_b32 s25, s25, s29
	s_and_saveexec_b32 s0, s30
	s_cbranch_execz .LBB1000_193
; %bb.195:                              ;   in Loop: Header=BB1000_194 Depth=1
	s_add_u32 s20, s20, -1
	s_addc_u32 s21, s21, -1
	v_add_co_u32 v8, vcc_lo, v8, 1
	s_cmp_eq_u64 s[20:21], 0
	v_add_co_ci_u32_e32 v9, vcc_lo, 0, v9, vcc_lo
	v_add_co_u32 v10, vcc_lo, v10, 1
	s_cselect_b32 s27, -1, 0
	v_add_co_ci_u32_e32 v11, vcc_lo, 0, v11, vcc_lo
	s_and_not1_b32 s26, s26, exec_lo
	s_and_b32 s28, s28, exec_lo
	s_and_not1_b32 s24, s24, exec_lo
	s_and_b32 s27, s27, exec_lo
	s_or_b32 s26, s26, s28
	s_and_not1_b32 s25, s25, exec_lo
	s_or_b32 s24, s24, s27
                                        ; implicit-def: $sgpr27
	s_branch .LBB1000_193
.LBB1000_196:
	s_set_inst_prefetch_distance 0x2
	s_or_b32 exec_lo, exec_lo, s22
	v_cndmask_b32_e64 v9, v7, v19, s23
	v_cndmask_b32_e64 v8, v6, v20, s23
.LBB1000_197:
	s_or_b32 exec_lo, exec_lo, s19
	s_delay_alu instid0(VALU_DEP_1)
	v_dual_mov_b32 v6, v8 :: v_dual_mov_b32 v7, v9
.LBB1000_198:
	s_or_b32 exec_lo, exec_lo, s1
.LBB1000_199:
	s_delay_alu instid0(SALU_CYCLE_1) | instskip(SKIP_3) | instid1(VALU_DEP_2)
	s_or_b32 exec_lo, exec_lo, s17
	v_and_b32_e32 v20, 64, v16
	v_and_b32_e32 v9, 60, v16
	s_mov_b32 s1, exec_lo
	; wave barrier
	v_or_b32_e32 v8, 32, v20
	s_delay_alu instid0(VALU_DEP_2) | instskip(SKIP_4) | instid1(VALU_DEP_1)
	v_min_u32_e32 v21, v15, v9
	v_lshl_add_u32 v19, v20, 3, v14
	ds_store_b128 v17, v[0:3]
	ds_store_b128 v17, v[4:7] offset:16
	v_min_u32_e32 v18, v15, v8
	; wave barrier
	v_add_nc_u32_e32 v8, 32, v18
	v_sub_nc_u32_e32 v9, v18, v20
	s_delay_alu instid0(VALU_DEP_2) | instskip(NEXT) | instid1(VALU_DEP_2)
	v_min_u32_e32 v16, v15, v8
	v_min_u32_e32 v37, v21, v9
	s_delay_alu instid0(VALU_DEP_2) | instskip(NEXT) | instid1(VALU_DEP_1)
	v_sub_nc_u32_e32 v8, v16, v18
	v_sub_nc_u32_e64 v15, v21, v8 clamp
	s_delay_alu instid0(VALU_DEP_1)
	v_cmpx_lt_u32_e64 v15, v37
	s_cbranch_execz .LBB1000_209
; %bb.200:
	v_lshlrev_b32_e32 v8, 3, v18
	v_lshlrev_b32_e32 v9, 3, v21
	s_mov_b32 s17, 0
	s_delay_alu instid0(VALU_DEP_1)
	v_add3_u32 v17, v14, v8, v9
	s_branch .LBB1000_203
.LBB1000_201:                           ;   in Loop: Header=BB1000_203 Depth=1
	s_set_inst_prefetch_distance 0x2
	s_or_b32 exec_lo, exec_lo, s19
.LBB1000_202:                           ;   in Loop: Header=BB1000_203 Depth=1
	s_delay_alu instid0(VALU_DEP_1) | instskip(SKIP_1) | instid1(VALU_DEP_2)
	v_add_nc_u32_e32 v8, 1, v38
	v_cndmask_b32_e64 v37, v37, v38, s22
	v_cndmask_b32_e64 v15, v8, v15, s22
	s_delay_alu instid0(VALU_DEP_1) | instskip(SKIP_1) | instid1(SALU_CYCLE_1)
	v_cmp_ge_u32_e32 vcc_lo, v15, v37
	s_or_b32 s17, vcc_lo, s17
	s_and_not1_b32 exec_lo, exec_lo, s17
	s_cbranch_execz .LBB1000_208
.LBB1000_203:                           ; =>This Loop Header: Depth=1
                                        ;     Child Loop BB1000_206 Depth 2
	v_add_nc_u32_e32 v8, v37, v15
	v_cmp_ne_u32_e32 vcc_lo, 1, v36
	s_mov_b32 s22, 0
	s_delay_alu instid0(VALU_DEP_2)
	v_lshrrev_b32_e32 v38, 1, v8
	s_cbranch_vccnz .LBB1000_202
; %bb.204:                              ;   in Loop: Header=BB1000_203 Depth=1
	s_delay_alu instid0(VALU_DEP_1) | instskip(SKIP_3) | instid1(VALU_DEP_2)
	v_not_b32_e32 v8, v38
	v_lshl_add_u32 v9, v38, 3, v19
	s_mov_b32 s19, 0
	s_mov_b64 s[20:21], s[8:9]
                                        ; implicit-def: $sgpr22
                                        ; implicit-def: $sgpr23
                                        ; implicit-def: $sgpr24
                                        ; implicit-def: $sgpr25
                                        ; implicit-def: $sgpr26
	v_lshl_add_u32 v8, v8, 3, v17
	ds_load_b64 v[10:11], v8
	ds_load_b64 v[39:40], v9
	s_waitcnt lgkmcnt(1)
	v_mul_lo_u32 v41, v10, s9
	v_mul_lo_u32 v42, v11, s8
	v_mad_u64_u32 v[8:9], null, v10, s8, s[10:11]
	s_waitcnt lgkmcnt(0)
	v_mul_lo_u32 v43, v39, s9
	v_mul_lo_u32 v40, v40, s8
	v_mad_u64_u32 v[10:11], null, v39, s8, s[10:11]
	s_delay_alu instid0(VALU_DEP_4) | instskip(NEXT) | instid1(VALU_DEP_2)
	v_add3_u32 v9, v42, v9, v41
	v_add3_u32 v11, v40, v11, v43
	s_set_inst_prefetch_distance 0x1
	s_branch .LBB1000_206
	.p2align	6
.LBB1000_205:                           ;   in Loop: Header=BB1000_206 Depth=2
	s_or_b32 exec_lo, exec_lo, s0
	s_delay_alu instid0(SALU_CYCLE_1) | instskip(NEXT) | instid1(SALU_CYCLE_1)
	s_and_b32 s0, exec_lo, s23
	s_or_b32 s19, s0, s19
	s_and_not1_b32 s0, s26, exec_lo
	s_and_b32 s26, s24, exec_lo
	s_and_not1_b32 s22, s22, exec_lo
	s_and_b32 s27, s25, exec_lo
	s_or_b32 s26, s0, s26
	s_or_b32 s22, s22, s27
	s_and_not1_b32 exec_lo, exec_lo, s19
	s_cbranch_execz .LBB1000_201
.LBB1000_206:                           ;   Parent Loop BB1000_203 Depth=1
                                        ; =>  This Inner Loop Header: Depth=2
	global_load_u8 v39, v[8:9], off
	global_load_u8 v40, v[10:11], off
	s_and_not1_b32 s25, s25, exec_lo
	s_and_not1_b32 s24, s24, exec_lo
	s_or_b32 s23, s23, exec_lo
	s_waitcnt vmcnt(1)
	v_cmp_eq_u16_e32 vcc_lo, 0, v39
	s_waitcnt vmcnt(0)
	v_cmp_ne_u16_e64 s0, 0, v40
	s_delay_alu instid0(VALU_DEP_1) | instskip(SKIP_4) | instid1(SALU_CYCLE_1)
	s_or_b32 s27, vcc_lo, s0
	s_and_b32 s28, vcc_lo, s0
	s_and_b32 s27, s27, s26
	s_xor_b32 s29, vcc_lo, s0
	s_or_b32 s27, s28, s27
	s_and_b32 s28, s27, exec_lo
	s_delay_alu instid0(SALU_CYCLE_1)
	s_or_b32 s25, s25, s28
	s_and_saveexec_b32 s0, s29
	s_cbranch_execz .LBB1000_205
; %bb.207:                              ;   in Loop: Header=BB1000_206 Depth=2
	s_add_u32 s20, s20, -1
	s_addc_u32 s21, s21, -1
	v_add_co_u32 v8, vcc_lo, v8, 1
	v_add_co_ci_u32_e32 v9, vcc_lo, 0, v9, vcc_lo
	s_cmp_eq_u64 s[20:21], 0
	v_add_co_u32 v10, vcc_lo, v10, 1
	s_cselect_b32 s26, -1, 0
	v_add_co_ci_u32_e32 v11, vcc_lo, 0, v11, vcc_lo
	s_and_not1_b32 s24, s24, exec_lo
	s_and_b32 s27, s27, exec_lo
	s_and_not1_b32 s23, s23, exec_lo
	s_and_b32 s26, s26, exec_lo
	s_and_not1_b32 s25, s25, exec_lo
	s_or_b32 s24, s24, s27
	s_or_b32 s23, s23, s26
                                        ; implicit-def: $sgpr26
	s_branch .LBB1000_205
.LBB1000_208:
	s_or_b32 exec_lo, exec_lo, s17
.LBB1000_209:
	s_delay_alu instid0(SALU_CYCLE_1) | instskip(SKIP_2) | instid1(VALU_DEP_2)
	s_or_b32 exec_lo, exec_lo, s1
	v_add_nc_u32_e32 v9, v18, v21
	v_add_nc_u32_e32 v8, v15, v20
	v_sub_nc_u32_e32 v9, v9, v15
	s_delay_alu instid0(VALU_DEP_2) | instskip(NEXT) | instid1(VALU_DEP_2)
	v_cmp_le_u32_e32 vcc_lo, v8, v18
	v_cmp_le_u32_e64 s0, v9, v16
	s_delay_alu instid0(VALU_DEP_1) | instskip(NEXT) | instid1(SALU_CYCLE_1)
	s_or_b32 s0, vcc_lo, s0
	s_and_saveexec_b32 s17, s0
	s_cbranch_execz .LBB1000_245
; %bb.210:
	v_cmp_ge_u32_e32 vcc_lo, v8, v18
	s_mov_b32 s1, exec_lo
                                        ; implicit-def: $vgpr0_vgpr1
	v_cmpx_lt_u32_e64 v8, v18
	s_cbranch_execz .LBB1000_212
; %bb.211:
	v_lshl_add_u32 v0, v15, 3, v19
	ds_load_b64 v[0:1], v0
.LBB1000_212:
	s_or_b32 exec_lo, exec_lo, s1
	v_cmp_ge_u32_e64 s0, v9, v16
	s_mov_b32 s19, exec_lo
                                        ; implicit-def: $vgpr4_vgpr5
	v_cmpx_lt_u32_e64 v9, v16
	s_cbranch_execz .LBB1000_214
; %bb.213:
	v_lshl_add_u32 v2, v9, 3, v14
	ds_load_b64 v[4:5], v2
.LBB1000_214:
	s_or_b32 exec_lo, exec_lo, s19
	s_or_b32 s1, vcc_lo, s0
	s_xor_b32 s19, vcc_lo, -1
	s_or_b32 s1, s1, s12
	s_delay_alu instid0(SALU_CYCLE_1)
	s_xor_b32 s20, s1, -1
	s_or_b32 s1, s0, s19
	s_and_saveexec_b32 s19, s20
	s_cbranch_execz .LBB1000_220
; %bb.215:
	s_waitcnt lgkmcnt(0)
	v_mad_u64_u32 v[2:3], null, v4, s8, s[10:11]
	v_mul_lo_u32 v10, v4, s9
	v_mul_lo_u32 v11, v5, s8
	v_mad_u64_u32 v[6:7], null, v0, s8, s[10:11]
	v_mul_lo_u32 v15, v0, s9
	v_mul_lo_u32 v17, v1, s8
	s_mov_b32 s22, 0
	s_mov_b64 s[20:21], s[8:9]
                                        ; implicit-def: $sgpr23
                                        ; implicit-def: $sgpr24
                                        ; implicit-def: $sgpr25
                                        ; implicit-def: $sgpr26
                                        ; implicit-def: $sgpr27
	s_delay_alu instid0(VALU_DEP_4) | instskip(NEXT) | instid1(VALU_DEP_2)
	v_add3_u32 v3, v11, v3, v10
	v_add3_u32 v7, v17, v7, v15
	s_set_inst_prefetch_distance 0x1
	s_branch .LBB1000_217
	.p2align	6
.LBB1000_216:                           ;   in Loop: Header=BB1000_217 Depth=1
	s_or_b32 exec_lo, exec_lo, s0
	s_delay_alu instid0(SALU_CYCLE_1) | instskip(NEXT) | instid1(SALU_CYCLE_1)
	s_and_b32 s0, exec_lo, s24
	s_or_b32 s22, s0, s22
	s_and_not1_b32 s0, s27, exec_lo
	s_and_b32 s27, s26, exec_lo
	s_and_not1_b32 s23, s23, exec_lo
	s_and_b32 s28, s25, exec_lo
	s_or_b32 s27, s0, s27
	s_or_b32 s23, s23, s28
	s_and_not1_b32 exec_lo, exec_lo, s22
	s_cbranch_execz .LBB1000_219
.LBB1000_217:                           ; =>This Inner Loop Header: Depth=1
	global_load_u8 v10, v[2:3], off
	global_load_u8 v11, v[6:7], off
	s_and_not1_b32 s25, s25, exec_lo
	s_and_not1_b32 s26, s26, exec_lo
	s_or_b32 s24, s24, exec_lo
	s_waitcnt vmcnt(1)
	v_cmp_eq_u16_e32 vcc_lo, 0, v10
	s_waitcnt vmcnt(0)
	v_cmp_ne_u16_e64 s0, 0, v11
	s_delay_alu instid0(VALU_DEP_1) | instskip(SKIP_4) | instid1(SALU_CYCLE_1)
	s_or_b32 s28, vcc_lo, s0
	s_and_b32 s29, vcc_lo, s0
	s_and_b32 s28, s28, s27
	s_xor_b32 s30, vcc_lo, s0
	s_or_b32 s28, s29, s28
	s_and_b32 s29, s28, exec_lo
	s_delay_alu instid0(SALU_CYCLE_1)
	s_or_b32 s25, s25, s29
	s_and_saveexec_b32 s0, s30
	s_cbranch_execz .LBB1000_216
; %bb.218:                              ;   in Loop: Header=BB1000_217 Depth=1
	s_add_u32 s20, s20, -1
	s_addc_u32 s21, s21, -1
	v_add_co_u32 v2, vcc_lo, v2, 1
	s_cmp_eq_u64 s[20:21], 0
	v_add_co_ci_u32_e32 v3, vcc_lo, 0, v3, vcc_lo
	v_add_co_u32 v6, vcc_lo, v6, 1
	s_cselect_b32 s27, -1, 0
	v_add_co_ci_u32_e32 v7, vcc_lo, 0, v7, vcc_lo
	s_and_not1_b32 s26, s26, exec_lo
	s_and_b32 s28, s28, exec_lo
	s_and_not1_b32 s24, s24, exec_lo
	s_and_b32 s27, s27, exec_lo
	s_or_b32 s26, s26, s28
	s_and_not1_b32 s25, s25, exec_lo
	s_or_b32 s24, s24, s27
                                        ; implicit-def: $sgpr27
	s_branch .LBB1000_216
.LBB1000_219:
	s_set_inst_prefetch_distance 0x2
	s_or_b32 exec_lo, exec_lo, s22
	s_xor_b32 s0, s23, -1
	s_and_not1_b32 s1, s1, exec_lo
	s_and_b32 s0, s0, exec_lo
	s_delay_alu instid0(SALU_CYCLE_1)
	s_or_b32 s1, s1, s0
.LBB1000_220:
	s_or_b32 exec_lo, exec_lo, s19
	v_cndmask_b32_e64 v2, v9, v8, s1
	v_cndmask_b32_e64 v3, v16, v18, s1
	s_mov_b32 s19, -1
	s_mov_b32 s22, -1
	s_mov_b32 s23, exec_lo
	v_add_nc_u32_e32 v6, 1, v2
	v_add_nc_u32_e32 v2, -1, v3
	s_delay_alu instid0(VALU_DEP_2) | instskip(NEXT) | instid1(VALU_DEP_2)
	v_cndmask_b32_e64 v9, v6, v9, s1
	v_min_u32_e32 v2, v6, v2
	v_cndmask_b32_e64 v8, v8, v6, s1
	s_delay_alu instid0(VALU_DEP_2)
	v_lshl_add_u32 v2, v2, 3, v14
	ds_load_b64 v[2:3], v2
	s_waitcnt lgkmcnt(0)
	v_cndmask_b32_e64 v10, v3, v5, s1
	v_cndmask_b32_e64 v11, v2, v4, s1
	;; [unrolled: 1-line block ×4, first 2 shown]
	v_cmpx_lt_u32_e64 v9, v16
	s_cbranch_execz .LBB1000_228
; %bb.221:
	v_cmp_lt_u32_e64 s22, v8, v18
	s_xor_b32 s0, s12, -1
	s_delay_alu instid0(VALU_DEP_1) | instid1(SALU_CYCLE_1)
	s_and_b32 s0, s22, s0
	s_delay_alu instid0(SALU_CYCLE_1)
	s_and_saveexec_b32 s24, s0
	s_cbranch_execz .LBB1000_227
; %bb.222:
	v_mad_u64_u32 v[2:3], null, v11, s8, s[10:11]
	v_mul_lo_u32 v19, v11, s9
	v_mul_lo_u32 v20, v10, s8
	v_mad_u64_u32 v[6:7], null, v17, s8, s[10:11]
	v_mul_lo_u32 v21, v17, s9
	v_mul_lo_u32 v37, v15, s8
	s_mov_b32 s25, 0
	s_mov_b64 s[20:21], s[8:9]
                                        ; implicit-def: $sgpr26
                                        ; implicit-def: $sgpr27
                                        ; implicit-def: $sgpr28
                                        ; implicit-def: $sgpr29
                                        ; implicit-def: $sgpr30
	s_delay_alu instid0(VALU_DEP_4) | instskip(NEXT) | instid1(VALU_DEP_2)
	v_add3_u32 v3, v20, v3, v19
	v_add3_u32 v7, v37, v7, v21
	s_set_inst_prefetch_distance 0x1
	s_branch .LBB1000_224
	.p2align	6
.LBB1000_223:                           ;   in Loop: Header=BB1000_224 Depth=1
	s_or_b32 exec_lo, exec_lo, s0
	s_delay_alu instid0(SALU_CYCLE_1) | instskip(NEXT) | instid1(SALU_CYCLE_1)
	s_and_b32 s0, exec_lo, s27
	s_or_b32 s25, s0, s25
	s_and_not1_b32 s0, s30, exec_lo
	s_and_b32 s30, s29, exec_lo
	s_and_not1_b32 s26, s26, exec_lo
	s_and_b32 s31, s28, exec_lo
	s_or_b32 s30, s0, s30
	s_or_b32 s26, s26, s31
	s_and_not1_b32 exec_lo, exec_lo, s25
	s_cbranch_execz .LBB1000_226
.LBB1000_224:                           ; =>This Inner Loop Header: Depth=1
	global_load_u8 v19, v[2:3], off
	global_load_u8 v20, v[6:7], off
	s_and_not1_b32 s28, s28, exec_lo
	s_and_not1_b32 s29, s29, exec_lo
	s_or_b32 s27, s27, exec_lo
	s_waitcnt vmcnt(1)
	v_cmp_eq_u16_e32 vcc_lo, 0, v19
	s_waitcnt vmcnt(0)
	v_cmp_ne_u16_e64 s0, 0, v20
	s_delay_alu instid0(VALU_DEP_1) | instskip(SKIP_4) | instid1(SALU_CYCLE_1)
	s_or_b32 s31, vcc_lo, s0
	s_and_b32 s33, vcc_lo, s0
	s_and_b32 s31, s31, s30
	s_xor_b32 s34, vcc_lo, s0
	s_or_b32 s31, s33, s31
	s_and_b32 s33, s31, exec_lo
	s_delay_alu instid0(SALU_CYCLE_1)
	s_or_b32 s28, s28, s33
	s_and_saveexec_b32 s0, s34
	s_cbranch_execz .LBB1000_223
; %bb.225:                              ;   in Loop: Header=BB1000_224 Depth=1
	s_add_u32 s20, s20, -1
	s_addc_u32 s21, s21, -1
	v_add_co_u32 v2, vcc_lo, v2, 1
	s_cmp_eq_u64 s[20:21], 0
	v_add_co_ci_u32_e32 v3, vcc_lo, 0, v3, vcc_lo
	v_add_co_u32 v6, vcc_lo, v6, 1
	s_cselect_b32 s30, -1, 0
	v_add_co_ci_u32_e32 v7, vcc_lo, 0, v7, vcc_lo
	s_and_not1_b32 s29, s29, exec_lo
	s_and_b32 s31, s31, exec_lo
	s_and_not1_b32 s27, s27, exec_lo
	s_and_b32 s30, s30, exec_lo
	s_or_b32 s29, s29, s31
	s_and_not1_b32 s28, s28, exec_lo
	s_or_b32 s27, s27, s30
                                        ; implicit-def: $sgpr30
	s_branch .LBB1000_223
.LBB1000_226:
	s_set_inst_prefetch_distance 0x2
	s_or_b32 exec_lo, exec_lo, s25
	s_xor_b32 s0, s26, -1
	s_and_not1_b32 s20, s22, exec_lo
	s_and_b32 s0, s0, exec_lo
	s_delay_alu instid0(SALU_CYCLE_1)
	s_or_b32 s22, s20, s0
.LBB1000_227:
	s_or_b32 exec_lo, exec_lo, s24
	s_delay_alu instid0(SALU_CYCLE_1)
	s_or_not1_b32 s22, s22, exec_lo
.LBB1000_228:
	s_or_b32 exec_lo, exec_lo, s23
	v_cndmask_b32_e64 v2, v9, v8, s22
	v_cndmask_b32_e64 v3, v16, v18, s22
	s_mov_b32 s23, exec_lo
	s_delay_alu instid0(VALU_DEP_2) | instskip(NEXT) | instid1(VALU_DEP_2)
	v_add_nc_u32_e32 v6, 1, v2
	v_add_nc_u32_e32 v2, -1, v3
	s_delay_alu instid0(VALU_DEP_2) | instskip(NEXT) | instid1(VALU_DEP_2)
	v_cndmask_b32_e64 v37, v6, v9, s22
	v_min_u32_e32 v2, v6, v2
	v_cndmask_b32_e64 v19, v8, v6, s22
	s_delay_alu instid0(VALU_DEP_2)
	v_lshl_add_u32 v2, v2, 3, v14
	ds_load_b64 v[2:3], v2
	s_waitcnt lgkmcnt(0)
	v_cndmask_b32_e64 v20, v3, v10, s22
	v_cndmask_b32_e64 v21, v2, v11, s22
	;; [unrolled: 1-line block ×4, first 2 shown]
	v_cmpx_lt_u32_e64 v37, v16
	s_cbranch_execz .LBB1000_236
; %bb.229:
	v_cmp_lt_u32_e64 s19, v19, v18
	s_xor_b32 s0, s12, -1
	s_delay_alu instid0(VALU_DEP_1) | instid1(SALU_CYCLE_1)
	s_and_b32 s0, s19, s0
	s_delay_alu instid0(SALU_CYCLE_1)
	s_and_saveexec_b32 s24, s0
	s_cbranch_execz .LBB1000_235
; %bb.230:
	v_mad_u64_u32 v[2:3], null, v21, s8, s[10:11]
	v_mul_lo_u32 v8, v21, s9
	v_mul_lo_u32 v9, v20, s8
	v_mad_u64_u32 v[6:7], null, v39, s8, s[10:11]
	v_mul_lo_u32 v40, v39, s9
	v_mul_lo_u32 v41, v38, s8
	s_mov_b32 s25, 0
	s_mov_b64 s[20:21], s[8:9]
                                        ; implicit-def: $sgpr26
                                        ; implicit-def: $sgpr27
                                        ; implicit-def: $sgpr28
                                        ; implicit-def: $sgpr29
                                        ; implicit-def: $sgpr30
	s_delay_alu instid0(VALU_DEP_4) | instskip(NEXT) | instid1(VALU_DEP_2)
	v_add3_u32 v3, v9, v3, v8
	v_add3_u32 v7, v41, v7, v40
	s_set_inst_prefetch_distance 0x1
	s_branch .LBB1000_232
	.p2align	6
.LBB1000_231:                           ;   in Loop: Header=BB1000_232 Depth=1
	s_or_b32 exec_lo, exec_lo, s0
	s_delay_alu instid0(SALU_CYCLE_1) | instskip(NEXT) | instid1(SALU_CYCLE_1)
	s_and_b32 s0, exec_lo, s27
	s_or_b32 s25, s0, s25
	s_and_not1_b32 s0, s30, exec_lo
	s_and_b32 s30, s29, exec_lo
	s_and_not1_b32 s26, s26, exec_lo
	s_and_b32 s31, s28, exec_lo
	s_or_b32 s30, s0, s30
	s_or_b32 s26, s26, s31
	s_and_not1_b32 exec_lo, exec_lo, s25
	s_cbranch_execz .LBB1000_234
.LBB1000_232:                           ; =>This Inner Loop Header: Depth=1
	global_load_u8 v8, v[2:3], off
	global_load_u8 v9, v[6:7], off
	s_and_not1_b32 s28, s28, exec_lo
	s_and_not1_b32 s29, s29, exec_lo
	s_or_b32 s27, s27, exec_lo
	s_waitcnt vmcnt(1)
	v_cmp_eq_u16_e32 vcc_lo, 0, v8
	s_waitcnt vmcnt(0)
	v_cmp_ne_u16_e64 s0, 0, v9
	s_delay_alu instid0(VALU_DEP_1) | instskip(SKIP_4) | instid1(SALU_CYCLE_1)
	s_or_b32 s31, vcc_lo, s0
	s_and_b32 s33, vcc_lo, s0
	s_and_b32 s31, s31, s30
	s_xor_b32 s34, vcc_lo, s0
	s_or_b32 s31, s33, s31
	s_and_b32 s33, s31, exec_lo
	s_delay_alu instid0(SALU_CYCLE_1)
	s_or_b32 s28, s28, s33
	s_and_saveexec_b32 s0, s34
	s_cbranch_execz .LBB1000_231
; %bb.233:                              ;   in Loop: Header=BB1000_232 Depth=1
	s_add_u32 s20, s20, -1
	s_addc_u32 s21, s21, -1
	v_add_co_u32 v2, vcc_lo, v2, 1
	s_cmp_eq_u64 s[20:21], 0
	v_add_co_ci_u32_e32 v3, vcc_lo, 0, v3, vcc_lo
	v_add_co_u32 v6, vcc_lo, v6, 1
	s_cselect_b32 s30, -1, 0
	v_add_co_ci_u32_e32 v7, vcc_lo, 0, v7, vcc_lo
	s_and_not1_b32 s29, s29, exec_lo
	s_and_b32 s31, s31, exec_lo
	s_and_not1_b32 s27, s27, exec_lo
	s_and_b32 s30, s30, exec_lo
	s_or_b32 s29, s29, s31
	s_and_not1_b32 s28, s28, exec_lo
	s_or_b32 s27, s27, s30
                                        ; implicit-def: $sgpr30
	s_branch .LBB1000_231
.LBB1000_234:
	s_set_inst_prefetch_distance 0x2
	s_or_b32 exec_lo, exec_lo, s25
	s_xor_b32 s0, s26, -1
	s_and_not1_b32 s19, s19, exec_lo
	s_and_b32 s0, s0, exec_lo
	s_delay_alu instid0(SALU_CYCLE_1)
	s_or_b32 s19, s19, s0
.LBB1000_235:
	s_or_b32 exec_lo, exec_lo, s24
	s_delay_alu instid0(SALU_CYCLE_1)
	s_or_not1_b32 s19, s19, exec_lo
.LBB1000_236:
	s_or_b32 exec_lo, exec_lo, s23
	v_cndmask_b32_e64 v2, v37, v19, s19
	v_cndmask_b32_e64 v3, v16, v18, s19
	v_cndmask_b32_e64 v1, v5, v1, s1
	v_cndmask_b32_e64 v0, v4, v0, s1
	v_cndmask_b32_e64 v5, v20, v38, s19
	v_add_nc_u32_e32 v40, 1, v2
	v_add_nc_u32_e32 v2, -1, v3
	v_cndmask_b32_e64 v3, v10, v15, s22
	v_cndmask_b32_e64 v4, v21, v39, s19
	s_mov_b32 s1, exec_lo
	v_cndmask_b32_e64 v10, v40, v37, s19
	v_min_u32_e32 v2, v40, v2
	s_delay_alu instid0(VALU_DEP_1)
	v_lshl_add_u32 v2, v2, 3, v14
	ds_load_b64 v[8:9], v2
	v_cndmask_b32_e64 v2, v11, v17, s22
	s_waitcnt lgkmcnt(0)
	v_cndmask_b32_e64 v7, v38, v9, s19
	v_cndmask_b32_e64 v6, v39, v8, s19
	v_cmpx_lt_u32_e64 v10, v16
	s_cbranch_execz .LBB1000_244
; %bb.237:
	v_cndmask_b32_e64 v10, v19, v40, s19
	v_cndmask_b32_e64 v14, v9, v20, s19
	;; [unrolled: 1-line block ×3, first 2 shown]
	s_delay_alu instid0(VALU_DEP_3) | instskip(NEXT) | instid1(VALU_DEP_2)
	v_cmp_ge_u32_e32 vcc_lo, v10, v18
	v_dual_cndmask_b32 v9, v7, v14 :: v_dual_cndmask_b32 v8, v6, v15
	s_or_b32 s0, vcc_lo, s12
	s_delay_alu instid0(SALU_CYCLE_1) | instskip(NEXT) | instid1(SALU_CYCLE_1)
	s_xor_b32 s0, s0, -1
	s_and_saveexec_b32 s19, s0
	s_cbranch_execz .LBB1000_243
; %bb.238:
	v_mad_u64_u32 v[8:9], null, v15, s8, s[10:11]
	v_mul_lo_u32 v16, v15, s9
	v_mul_lo_u32 v17, v14, s8
	v_mad_u64_u32 v[10:11], null, v6, s8, s[10:11]
	v_mul_lo_u32 v18, v6, s9
	v_mul_lo_u32 v19, v7, s8
	s_mov_b32 s22, 0
	s_mov_b64 s[20:21], s[8:9]
                                        ; implicit-def: $sgpr23
                                        ; implicit-def: $sgpr24
                                        ; implicit-def: $sgpr25
                                        ; implicit-def: $sgpr26
                                        ; implicit-def: $sgpr27
	s_delay_alu instid0(VALU_DEP_4) | instskip(NEXT) | instid1(VALU_DEP_2)
	v_add3_u32 v9, v17, v9, v16
	v_add3_u32 v11, v19, v11, v18
	s_set_inst_prefetch_distance 0x1
	s_branch .LBB1000_240
	.p2align	6
.LBB1000_239:                           ;   in Loop: Header=BB1000_240 Depth=1
	s_or_b32 exec_lo, exec_lo, s0
	s_delay_alu instid0(SALU_CYCLE_1) | instskip(NEXT) | instid1(SALU_CYCLE_1)
	s_and_b32 s0, exec_lo, s24
	s_or_b32 s22, s0, s22
	s_and_not1_b32 s0, s27, exec_lo
	s_and_b32 s27, s26, exec_lo
	s_and_not1_b32 s23, s23, exec_lo
	s_and_b32 s28, s25, exec_lo
	s_or_b32 s27, s0, s27
	s_or_b32 s23, s23, s28
	s_and_not1_b32 exec_lo, exec_lo, s22
	s_cbranch_execz .LBB1000_242
.LBB1000_240:                           ; =>This Inner Loop Header: Depth=1
	global_load_u8 v16, v[8:9], off
	global_load_u8 v17, v[10:11], off
	s_and_not1_b32 s25, s25, exec_lo
	s_and_not1_b32 s26, s26, exec_lo
	s_or_b32 s24, s24, exec_lo
	s_waitcnt vmcnt(1)
	v_cmp_eq_u16_e32 vcc_lo, 0, v16
	s_waitcnt vmcnt(0)
	v_cmp_ne_u16_e64 s0, 0, v17
	s_delay_alu instid0(VALU_DEP_1) | instskip(SKIP_4) | instid1(SALU_CYCLE_1)
	s_or_b32 s28, vcc_lo, s0
	s_and_b32 s29, vcc_lo, s0
	s_and_b32 s28, s28, s27
	s_xor_b32 s30, vcc_lo, s0
	s_or_b32 s28, s29, s28
	s_and_b32 s29, s28, exec_lo
	s_delay_alu instid0(SALU_CYCLE_1)
	s_or_b32 s25, s25, s29
	s_and_saveexec_b32 s0, s30
	s_cbranch_execz .LBB1000_239
; %bb.241:                              ;   in Loop: Header=BB1000_240 Depth=1
	s_add_u32 s20, s20, -1
	s_addc_u32 s21, s21, -1
	v_add_co_u32 v8, vcc_lo, v8, 1
	s_cmp_eq_u64 s[20:21], 0
	v_add_co_ci_u32_e32 v9, vcc_lo, 0, v9, vcc_lo
	v_add_co_u32 v10, vcc_lo, v10, 1
	s_cselect_b32 s27, -1, 0
	v_add_co_ci_u32_e32 v11, vcc_lo, 0, v11, vcc_lo
	s_and_not1_b32 s26, s26, exec_lo
	s_and_b32 s28, s28, exec_lo
	s_and_not1_b32 s24, s24, exec_lo
	s_and_b32 s27, s27, exec_lo
	s_or_b32 s26, s26, s28
	s_and_not1_b32 s25, s25, exec_lo
	s_or_b32 s24, s24, s27
                                        ; implicit-def: $sgpr27
	s_branch .LBB1000_239
.LBB1000_242:
	s_set_inst_prefetch_distance 0x2
	s_or_b32 exec_lo, exec_lo, s22
	v_cndmask_b32_e64 v9, v7, v14, s23
	v_cndmask_b32_e64 v8, v6, v15, s23
.LBB1000_243:
	s_or_b32 exec_lo, exec_lo, s19
	s_delay_alu instid0(VALU_DEP_1)
	v_dual_mov_b32 v6, v8 :: v_dual_mov_b32 v7, v9
.LBB1000_244:
	s_or_b32 exec_lo, exec_lo, s1
.LBB1000_245:
	s_delay_alu instid0(SALU_CYCLE_1) | instskip(SKIP_4) | instid1(VALU_DEP_3)
	s_or_b32 exec_lo, exec_lo, s17
	v_and_b32_e32 v19, 0xf80, v23
	v_and_b32_e32 v20, 0x7c, v23
	v_lshlrev_b32_e32 v14, 3, v23
	s_mov_b32 s1, exec_lo
	v_or_b32_e32 v8, 64, v19
	v_lshlrev_b32_e32 v18, 3, v19
	; wave barrier
	s_waitcnt lgkmcnt(0)
	s_barrier
	s_delay_alu instid0(VALU_DEP_2)
	v_min_u32_e32 v9, 0x3c0, v8
	v_min_u32_e32 v15, 0x400, v8
	buffer_gl0_inv
	ds_store_b128 v14, v[0:3]
	ds_store_b128 v14, v[4:7] offset:16
	s_waitcnt lgkmcnt(0)
	v_add_nc_u32_e32 v16, 64, v9
	v_sub_nc_u32_e32 v8, v15, v19
	s_barrier
	buffer_gl0_inv
	v_sub_nc_u32_e32 v9, v16, v15
	v_min_u32_e32 v21, v20, v8
	s_delay_alu instid0(VALU_DEP_2) | instskip(NEXT) | instid1(VALU_DEP_1)
	v_sub_nc_u32_e64 v17, v20, v9 clamp
	v_cmpx_lt_u32_e64 v17, v21
	s_cbranch_execz .LBB1000_255
; %bb.246:
	v_lshlrev_b32_e32 v8, 3, v20
	s_mov_b32 s17, 0
	s_delay_alu instid0(VALU_DEP_1)
	v_lshl_add_u32 v37, v15, 3, v8
	s_branch .LBB1000_249
.LBB1000_247:                           ;   in Loop: Header=BB1000_249 Depth=1
	s_set_inst_prefetch_distance 0x2
	s_or_b32 exec_lo, exec_lo, s19
.LBB1000_248:                           ;   in Loop: Header=BB1000_249 Depth=1
	s_delay_alu instid0(VALU_DEP_1) | instskip(SKIP_1) | instid1(VALU_DEP_2)
	v_add_nc_u32_e32 v8, 1, v38
	v_cndmask_b32_e64 v21, v21, v38, s22
	v_cndmask_b32_e64 v17, v8, v17, s22
	s_delay_alu instid0(VALU_DEP_1) | instskip(SKIP_1) | instid1(SALU_CYCLE_1)
	v_cmp_ge_u32_e32 vcc_lo, v17, v21
	s_or_b32 s17, vcc_lo, s17
	s_and_not1_b32 exec_lo, exec_lo, s17
	s_cbranch_execz .LBB1000_254
.LBB1000_249:                           ; =>This Loop Header: Depth=1
                                        ;     Child Loop BB1000_252 Depth 2
	v_add_nc_u32_e32 v8, v21, v17
	v_cmp_ne_u32_e32 vcc_lo, 1, v36
	s_mov_b32 s22, 0
	s_delay_alu instid0(VALU_DEP_2)
	v_lshrrev_b32_e32 v38, 1, v8
	s_cbranch_vccnz .LBB1000_248
; %bb.250:                              ;   in Loop: Header=BB1000_249 Depth=1
	s_delay_alu instid0(VALU_DEP_1) | instskip(SKIP_3) | instid1(VALU_DEP_2)
	v_not_b32_e32 v8, v38
	v_lshl_add_u32 v9, v38, 3, v18
	s_mov_b32 s19, 0
	s_mov_b64 s[20:21], s[8:9]
                                        ; implicit-def: $sgpr22
                                        ; implicit-def: $sgpr23
                                        ; implicit-def: $sgpr24
                                        ; implicit-def: $sgpr25
                                        ; implicit-def: $sgpr26
	v_lshl_add_u32 v8, v8, 3, v37
	ds_load_b64 v[10:11], v8
	ds_load_b64 v[39:40], v9
	s_waitcnt lgkmcnt(1)
	v_mul_lo_u32 v41, v10, s9
	v_mul_lo_u32 v42, v11, s8
	v_mad_u64_u32 v[8:9], null, v10, s8, s[10:11]
	s_waitcnt lgkmcnt(0)
	v_mul_lo_u32 v43, v39, s9
	v_mul_lo_u32 v40, v40, s8
	v_mad_u64_u32 v[10:11], null, v39, s8, s[10:11]
	s_delay_alu instid0(VALU_DEP_4) | instskip(NEXT) | instid1(VALU_DEP_2)
	v_add3_u32 v9, v42, v9, v41
	v_add3_u32 v11, v40, v11, v43
	s_set_inst_prefetch_distance 0x1
	s_branch .LBB1000_252
	.p2align	6
.LBB1000_251:                           ;   in Loop: Header=BB1000_252 Depth=2
	s_or_b32 exec_lo, exec_lo, s0
	s_delay_alu instid0(SALU_CYCLE_1) | instskip(NEXT) | instid1(SALU_CYCLE_1)
	s_and_b32 s0, exec_lo, s23
	s_or_b32 s19, s0, s19
	s_and_not1_b32 s0, s26, exec_lo
	s_and_b32 s26, s24, exec_lo
	s_and_not1_b32 s22, s22, exec_lo
	s_and_b32 s27, s25, exec_lo
	s_or_b32 s26, s0, s26
	s_or_b32 s22, s22, s27
	s_and_not1_b32 exec_lo, exec_lo, s19
	s_cbranch_execz .LBB1000_247
.LBB1000_252:                           ;   Parent Loop BB1000_249 Depth=1
                                        ; =>  This Inner Loop Header: Depth=2
	global_load_u8 v39, v[8:9], off
	global_load_u8 v40, v[10:11], off
	s_and_not1_b32 s25, s25, exec_lo
	s_and_not1_b32 s24, s24, exec_lo
	s_or_b32 s23, s23, exec_lo
	s_waitcnt vmcnt(1)
	v_cmp_eq_u16_e32 vcc_lo, 0, v39
	s_waitcnt vmcnt(0)
	v_cmp_ne_u16_e64 s0, 0, v40
	s_delay_alu instid0(VALU_DEP_1) | instskip(SKIP_4) | instid1(SALU_CYCLE_1)
	s_or_b32 s27, vcc_lo, s0
	s_and_b32 s28, vcc_lo, s0
	s_and_b32 s27, s27, s26
	s_xor_b32 s29, vcc_lo, s0
	s_or_b32 s27, s28, s27
	s_and_b32 s28, s27, exec_lo
	s_delay_alu instid0(SALU_CYCLE_1)
	s_or_b32 s25, s25, s28
	s_and_saveexec_b32 s0, s29
	s_cbranch_execz .LBB1000_251
; %bb.253:                              ;   in Loop: Header=BB1000_252 Depth=2
	s_add_u32 s20, s20, -1
	s_addc_u32 s21, s21, -1
	v_add_co_u32 v8, vcc_lo, v8, 1
	v_add_co_ci_u32_e32 v9, vcc_lo, 0, v9, vcc_lo
	s_cmp_eq_u64 s[20:21], 0
	v_add_co_u32 v10, vcc_lo, v10, 1
	s_cselect_b32 s26, -1, 0
	v_add_co_ci_u32_e32 v11, vcc_lo, 0, v11, vcc_lo
	s_and_not1_b32 s24, s24, exec_lo
	s_and_b32 s27, s27, exec_lo
	s_and_not1_b32 s23, s23, exec_lo
	s_and_b32 s26, s26, exec_lo
	s_and_not1_b32 s25, s25, exec_lo
	s_or_b32 s24, s24, s27
	s_or_b32 s23, s23, s26
                                        ; implicit-def: $sgpr26
	s_branch .LBB1000_251
.LBB1000_254:
	s_or_b32 exec_lo, exec_lo, s17
.LBB1000_255:
	s_delay_alu instid0(SALU_CYCLE_1) | instskip(SKIP_2) | instid1(VALU_DEP_2)
	s_or_b32 exec_lo, exec_lo, s1
	v_sub_nc_u32_e32 v9, v20, v17
	v_add_nc_u32_e32 v8, v17, v19
	v_add_nc_u32_e32 v9, v9, v15
	s_delay_alu instid0(VALU_DEP_2) | instskip(NEXT) | instid1(VALU_DEP_2)
	v_cmp_le_u32_e32 vcc_lo, v8, v15
	v_cmp_le_u32_e64 s0, v9, v16
	s_delay_alu instid0(VALU_DEP_1) | instskip(NEXT) | instid1(SALU_CYCLE_1)
	s_or_b32 s0, vcc_lo, s0
	s_and_saveexec_b32 s17, s0
	s_cbranch_execz .LBB1000_291
; %bb.256:
	v_cmp_ge_u32_e32 vcc_lo, v8, v15
	s_mov_b32 s1, exec_lo
                                        ; implicit-def: $vgpr0_vgpr1
	v_cmpx_lt_u32_e64 v8, v15
	s_cbranch_execz .LBB1000_258
; %bb.257:
	v_lshl_add_u32 v0, v17, 3, v18
	ds_load_b64 v[0:1], v0
.LBB1000_258:
	s_or_b32 exec_lo, exec_lo, s1
	v_cmp_ge_u32_e64 s0, v9, v16
	s_mov_b32 s19, exec_lo
                                        ; implicit-def: $vgpr4_vgpr5
	v_cmpx_lt_u32_e64 v9, v16
	s_cbranch_execz .LBB1000_260
; %bb.259:
	v_lshlrev_b32_e32 v2, 3, v9
	ds_load_b64 v[4:5], v2
.LBB1000_260:
	s_or_b32 exec_lo, exec_lo, s19
	s_or_b32 s1, vcc_lo, s0
	s_xor_b32 s19, vcc_lo, -1
	s_or_b32 s1, s1, s12
	s_delay_alu instid0(SALU_CYCLE_1)
	s_xor_b32 s20, s1, -1
	s_or_b32 s1, s0, s19
	s_and_saveexec_b32 s19, s20
	s_cbranch_execz .LBB1000_266
; %bb.261:
	s_waitcnt lgkmcnt(0)
	v_mad_u64_u32 v[2:3], null, v4, s8, s[10:11]
	v_mul_lo_u32 v10, v4, s9
	v_mul_lo_u32 v11, v5, s8
	v_mad_u64_u32 v[6:7], null, v0, s8, s[10:11]
	v_mul_lo_u32 v17, v0, s9
	v_mul_lo_u32 v18, v1, s8
	s_mov_b32 s22, 0
	s_mov_b64 s[20:21], s[8:9]
                                        ; implicit-def: $sgpr23
                                        ; implicit-def: $sgpr24
                                        ; implicit-def: $sgpr25
                                        ; implicit-def: $sgpr26
                                        ; implicit-def: $sgpr27
	s_delay_alu instid0(VALU_DEP_4) | instskip(NEXT) | instid1(VALU_DEP_2)
	v_add3_u32 v3, v11, v3, v10
	v_add3_u32 v7, v18, v7, v17
	s_set_inst_prefetch_distance 0x1
	s_branch .LBB1000_263
	.p2align	6
.LBB1000_262:                           ;   in Loop: Header=BB1000_263 Depth=1
	s_or_b32 exec_lo, exec_lo, s0
	s_delay_alu instid0(SALU_CYCLE_1) | instskip(NEXT) | instid1(SALU_CYCLE_1)
	s_and_b32 s0, exec_lo, s24
	s_or_b32 s22, s0, s22
	s_and_not1_b32 s0, s27, exec_lo
	s_and_b32 s27, s26, exec_lo
	s_and_not1_b32 s23, s23, exec_lo
	s_and_b32 s28, s25, exec_lo
	s_or_b32 s27, s0, s27
	s_or_b32 s23, s23, s28
	s_and_not1_b32 exec_lo, exec_lo, s22
	s_cbranch_execz .LBB1000_265
.LBB1000_263:                           ; =>This Inner Loop Header: Depth=1
	global_load_u8 v10, v[2:3], off
	global_load_u8 v11, v[6:7], off
	s_and_not1_b32 s25, s25, exec_lo
	s_and_not1_b32 s26, s26, exec_lo
	s_or_b32 s24, s24, exec_lo
	s_waitcnt vmcnt(1)
	v_cmp_eq_u16_e32 vcc_lo, 0, v10
	s_waitcnt vmcnt(0)
	v_cmp_ne_u16_e64 s0, 0, v11
	s_delay_alu instid0(VALU_DEP_1) | instskip(SKIP_4) | instid1(SALU_CYCLE_1)
	s_or_b32 s28, vcc_lo, s0
	s_and_b32 s29, vcc_lo, s0
	s_and_b32 s28, s28, s27
	s_xor_b32 s30, vcc_lo, s0
	s_or_b32 s28, s29, s28
	s_and_b32 s29, s28, exec_lo
	s_delay_alu instid0(SALU_CYCLE_1)
	s_or_b32 s25, s25, s29
	s_and_saveexec_b32 s0, s30
	s_cbranch_execz .LBB1000_262
; %bb.264:                              ;   in Loop: Header=BB1000_263 Depth=1
	s_add_u32 s20, s20, -1
	s_addc_u32 s21, s21, -1
	v_add_co_u32 v2, vcc_lo, v2, 1
	s_cmp_eq_u64 s[20:21], 0
	v_add_co_ci_u32_e32 v3, vcc_lo, 0, v3, vcc_lo
	v_add_co_u32 v6, vcc_lo, v6, 1
	s_cselect_b32 s27, -1, 0
	v_add_co_ci_u32_e32 v7, vcc_lo, 0, v7, vcc_lo
	s_and_not1_b32 s26, s26, exec_lo
	s_and_b32 s28, s28, exec_lo
	s_and_not1_b32 s24, s24, exec_lo
	s_and_b32 s27, s27, exec_lo
	s_or_b32 s26, s26, s28
	s_and_not1_b32 s25, s25, exec_lo
	s_or_b32 s24, s24, s27
                                        ; implicit-def: $sgpr27
	s_branch .LBB1000_262
.LBB1000_265:
	s_set_inst_prefetch_distance 0x2
	s_or_b32 exec_lo, exec_lo, s22
	s_xor_b32 s0, s23, -1
	s_and_not1_b32 s1, s1, exec_lo
	s_and_b32 s0, s0, exec_lo
	s_delay_alu instid0(SALU_CYCLE_1)
	s_or_b32 s1, s1, s0
.LBB1000_266:
	s_or_b32 exec_lo, exec_lo, s19
	v_cndmask_b32_e64 v2, v9, v8, s1
	v_cndmask_b32_e64 v3, v16, v15, s1
	s_mov_b32 s19, -1
	s_mov_b32 s22, -1
	s_mov_b32 s23, exec_lo
	v_add_nc_u32_e32 v6, 1, v2
	v_add_nc_u32_e32 v2, -1, v3
	s_delay_alu instid0(VALU_DEP_2) | instskip(NEXT) | instid1(VALU_DEP_2)
	v_cndmask_b32_e64 v9, v6, v9, s1
	v_min_u32_e32 v2, v6, v2
	v_cndmask_b32_e64 v8, v8, v6, s1
	s_delay_alu instid0(VALU_DEP_2)
	v_lshlrev_b32_e32 v2, 3, v2
	ds_load_b64 v[2:3], v2
	s_waitcnt lgkmcnt(0)
	v_cndmask_b32_e64 v10, v3, v5, s1
	v_cndmask_b32_e64 v11, v2, v4, s1
	;; [unrolled: 1-line block ×4, first 2 shown]
	v_cmpx_lt_u32_e64 v9, v16
	s_cbranch_execz .LBB1000_274
; %bb.267:
	v_cmp_lt_u32_e64 s22, v8, v15
	s_xor_b32 s0, s12, -1
	s_delay_alu instid0(VALU_DEP_1) | instid1(SALU_CYCLE_1)
	s_and_b32 s0, s22, s0
	s_delay_alu instid0(SALU_CYCLE_1)
	s_and_saveexec_b32 s24, s0
	s_cbranch_execz .LBB1000_273
; %bb.268:
	v_mad_u64_u32 v[2:3], null, v11, s8, s[10:11]
	v_mul_lo_u32 v19, v11, s9
	v_mul_lo_u32 v20, v10, s8
	v_mad_u64_u32 v[6:7], null, v18, s8, s[10:11]
	v_mul_lo_u32 v21, v18, s9
	v_mul_lo_u32 v37, v17, s8
	s_mov_b32 s25, 0
	s_mov_b64 s[20:21], s[8:9]
                                        ; implicit-def: $sgpr26
                                        ; implicit-def: $sgpr27
                                        ; implicit-def: $sgpr28
                                        ; implicit-def: $sgpr29
                                        ; implicit-def: $sgpr30
	s_delay_alu instid0(VALU_DEP_4) | instskip(NEXT) | instid1(VALU_DEP_2)
	v_add3_u32 v3, v20, v3, v19
	v_add3_u32 v7, v37, v7, v21
	s_set_inst_prefetch_distance 0x1
	s_branch .LBB1000_270
	.p2align	6
.LBB1000_269:                           ;   in Loop: Header=BB1000_270 Depth=1
	s_or_b32 exec_lo, exec_lo, s0
	s_delay_alu instid0(SALU_CYCLE_1) | instskip(NEXT) | instid1(SALU_CYCLE_1)
	s_and_b32 s0, exec_lo, s27
	s_or_b32 s25, s0, s25
	s_and_not1_b32 s0, s30, exec_lo
	s_and_b32 s30, s29, exec_lo
	s_and_not1_b32 s26, s26, exec_lo
	s_and_b32 s31, s28, exec_lo
	s_or_b32 s30, s0, s30
	s_or_b32 s26, s26, s31
	s_and_not1_b32 exec_lo, exec_lo, s25
	s_cbranch_execz .LBB1000_272
.LBB1000_270:                           ; =>This Inner Loop Header: Depth=1
	global_load_u8 v19, v[2:3], off
	global_load_u8 v20, v[6:7], off
	s_and_not1_b32 s28, s28, exec_lo
	s_and_not1_b32 s29, s29, exec_lo
	s_or_b32 s27, s27, exec_lo
	s_waitcnt vmcnt(1)
	v_cmp_eq_u16_e32 vcc_lo, 0, v19
	s_waitcnt vmcnt(0)
	v_cmp_ne_u16_e64 s0, 0, v20
	s_delay_alu instid0(VALU_DEP_1) | instskip(SKIP_4) | instid1(SALU_CYCLE_1)
	s_or_b32 s31, vcc_lo, s0
	s_and_b32 s33, vcc_lo, s0
	s_and_b32 s31, s31, s30
	s_xor_b32 s34, vcc_lo, s0
	s_or_b32 s31, s33, s31
	s_and_b32 s33, s31, exec_lo
	s_delay_alu instid0(SALU_CYCLE_1)
	s_or_b32 s28, s28, s33
	s_and_saveexec_b32 s0, s34
	s_cbranch_execz .LBB1000_269
; %bb.271:                              ;   in Loop: Header=BB1000_270 Depth=1
	s_add_u32 s20, s20, -1
	s_addc_u32 s21, s21, -1
	v_add_co_u32 v2, vcc_lo, v2, 1
	s_cmp_eq_u64 s[20:21], 0
	v_add_co_ci_u32_e32 v3, vcc_lo, 0, v3, vcc_lo
	v_add_co_u32 v6, vcc_lo, v6, 1
	s_cselect_b32 s30, -1, 0
	v_add_co_ci_u32_e32 v7, vcc_lo, 0, v7, vcc_lo
	s_and_not1_b32 s29, s29, exec_lo
	s_and_b32 s31, s31, exec_lo
	s_and_not1_b32 s27, s27, exec_lo
	s_and_b32 s30, s30, exec_lo
	s_or_b32 s29, s29, s31
	s_and_not1_b32 s28, s28, exec_lo
	s_or_b32 s27, s27, s30
                                        ; implicit-def: $sgpr30
	s_branch .LBB1000_269
.LBB1000_272:
	s_set_inst_prefetch_distance 0x2
	s_or_b32 exec_lo, exec_lo, s25
	s_xor_b32 s0, s26, -1
	s_and_not1_b32 s20, s22, exec_lo
	s_and_b32 s0, s0, exec_lo
	s_delay_alu instid0(SALU_CYCLE_1)
	s_or_b32 s22, s20, s0
.LBB1000_273:
	s_or_b32 exec_lo, exec_lo, s24
	s_delay_alu instid0(SALU_CYCLE_1)
	s_or_not1_b32 s22, s22, exec_lo
.LBB1000_274:
	s_or_b32 exec_lo, exec_lo, s23
	v_cndmask_b32_e64 v2, v9, v8, s22
	v_cndmask_b32_e64 v3, v16, v15, s22
	s_mov_b32 s23, exec_lo
	s_delay_alu instid0(VALU_DEP_2) | instskip(NEXT) | instid1(VALU_DEP_2)
	v_add_nc_u32_e32 v6, 1, v2
	v_add_nc_u32_e32 v2, -1, v3
	s_delay_alu instid0(VALU_DEP_2) | instskip(NEXT) | instid1(VALU_DEP_2)
	v_cndmask_b32_e64 v37, v6, v9, s22
	v_min_u32_e32 v2, v6, v2
	v_cndmask_b32_e64 v19, v8, v6, s22
	s_delay_alu instid0(VALU_DEP_2)
	v_lshlrev_b32_e32 v2, 3, v2
	ds_load_b64 v[2:3], v2
	s_waitcnt lgkmcnt(0)
	v_cndmask_b32_e64 v20, v3, v10, s22
	v_cndmask_b32_e64 v21, v2, v11, s22
	;; [unrolled: 1-line block ×4, first 2 shown]
	v_cmpx_lt_u32_e64 v37, v16
	s_cbranch_execz .LBB1000_282
; %bb.275:
	v_cmp_lt_u32_e64 s19, v19, v15
	s_xor_b32 s0, s12, -1
	s_delay_alu instid0(VALU_DEP_1) | instid1(SALU_CYCLE_1)
	s_and_b32 s0, s19, s0
	s_delay_alu instid0(SALU_CYCLE_1)
	s_and_saveexec_b32 s24, s0
	s_cbranch_execz .LBB1000_281
; %bb.276:
	v_mad_u64_u32 v[2:3], null, v21, s8, s[10:11]
	v_mul_lo_u32 v8, v21, s9
	v_mul_lo_u32 v9, v20, s8
	v_mad_u64_u32 v[6:7], null, v39, s8, s[10:11]
	v_mul_lo_u32 v40, v39, s9
	v_mul_lo_u32 v41, v38, s8
	s_mov_b32 s25, 0
	s_mov_b64 s[20:21], s[8:9]
                                        ; implicit-def: $sgpr26
                                        ; implicit-def: $sgpr27
                                        ; implicit-def: $sgpr28
                                        ; implicit-def: $sgpr29
                                        ; implicit-def: $sgpr30
	s_delay_alu instid0(VALU_DEP_4) | instskip(NEXT) | instid1(VALU_DEP_2)
	v_add3_u32 v3, v9, v3, v8
	v_add3_u32 v7, v41, v7, v40
	s_set_inst_prefetch_distance 0x1
	s_branch .LBB1000_278
	.p2align	6
.LBB1000_277:                           ;   in Loop: Header=BB1000_278 Depth=1
	s_or_b32 exec_lo, exec_lo, s0
	s_delay_alu instid0(SALU_CYCLE_1) | instskip(NEXT) | instid1(SALU_CYCLE_1)
	s_and_b32 s0, exec_lo, s27
	s_or_b32 s25, s0, s25
	s_and_not1_b32 s0, s30, exec_lo
	s_and_b32 s30, s29, exec_lo
	s_and_not1_b32 s26, s26, exec_lo
	s_and_b32 s31, s28, exec_lo
	s_or_b32 s30, s0, s30
	s_or_b32 s26, s26, s31
	s_and_not1_b32 exec_lo, exec_lo, s25
	s_cbranch_execz .LBB1000_280
.LBB1000_278:                           ; =>This Inner Loop Header: Depth=1
	global_load_u8 v8, v[2:3], off
	global_load_u8 v9, v[6:7], off
	s_and_not1_b32 s28, s28, exec_lo
	s_and_not1_b32 s29, s29, exec_lo
	s_or_b32 s27, s27, exec_lo
	s_waitcnt vmcnt(1)
	v_cmp_eq_u16_e32 vcc_lo, 0, v8
	s_waitcnt vmcnt(0)
	v_cmp_ne_u16_e64 s0, 0, v9
	s_delay_alu instid0(VALU_DEP_1) | instskip(SKIP_4) | instid1(SALU_CYCLE_1)
	s_or_b32 s31, vcc_lo, s0
	s_and_b32 s33, vcc_lo, s0
	s_and_b32 s31, s31, s30
	s_xor_b32 s34, vcc_lo, s0
	s_or_b32 s31, s33, s31
	s_and_b32 s33, s31, exec_lo
	s_delay_alu instid0(SALU_CYCLE_1)
	s_or_b32 s28, s28, s33
	s_and_saveexec_b32 s0, s34
	s_cbranch_execz .LBB1000_277
; %bb.279:                              ;   in Loop: Header=BB1000_278 Depth=1
	s_add_u32 s20, s20, -1
	s_addc_u32 s21, s21, -1
	v_add_co_u32 v2, vcc_lo, v2, 1
	s_cmp_eq_u64 s[20:21], 0
	v_add_co_ci_u32_e32 v3, vcc_lo, 0, v3, vcc_lo
	v_add_co_u32 v6, vcc_lo, v6, 1
	s_cselect_b32 s30, -1, 0
	v_add_co_ci_u32_e32 v7, vcc_lo, 0, v7, vcc_lo
	s_and_not1_b32 s29, s29, exec_lo
	s_and_b32 s31, s31, exec_lo
	s_and_not1_b32 s27, s27, exec_lo
	s_and_b32 s30, s30, exec_lo
	s_or_b32 s29, s29, s31
	s_and_not1_b32 s28, s28, exec_lo
	s_or_b32 s27, s27, s30
                                        ; implicit-def: $sgpr30
	s_branch .LBB1000_277
.LBB1000_280:
	s_set_inst_prefetch_distance 0x2
	s_or_b32 exec_lo, exec_lo, s25
	s_xor_b32 s0, s26, -1
	s_and_not1_b32 s19, s19, exec_lo
	s_and_b32 s0, s0, exec_lo
	s_delay_alu instid0(SALU_CYCLE_1)
	s_or_b32 s19, s19, s0
.LBB1000_281:
	s_or_b32 exec_lo, exec_lo, s24
	s_delay_alu instid0(SALU_CYCLE_1)
	s_or_not1_b32 s19, s19, exec_lo
.LBB1000_282:
	s_or_b32 exec_lo, exec_lo, s23
	v_cndmask_b32_e64 v2, v37, v19, s19
	v_cndmask_b32_e64 v3, v16, v15, s19
	;; [unrolled: 1-line block ×5, first 2 shown]
	v_add_nc_u32_e32 v40, 1, v2
	v_add_nc_u32_e32 v2, -1, v3
	v_cndmask_b32_e64 v3, v10, v17, s22
	v_cndmask_b32_e64 v4, v21, v39, s19
	s_mov_b32 s1, exec_lo
	v_cndmask_b32_e64 v10, v40, v37, s19
	v_min_u32_e32 v2, v40, v2
	s_delay_alu instid0(VALU_DEP_1)
	v_lshlrev_b32_e32 v2, 3, v2
	ds_load_b64 v[8:9], v2
	v_cndmask_b32_e64 v2, v11, v18, s22
	s_waitcnt lgkmcnt(0)
	v_cndmask_b32_e64 v7, v38, v9, s19
	v_cndmask_b32_e64 v6, v39, v8, s19
	v_cmpx_lt_u32_e64 v10, v16
	s_cbranch_execz .LBB1000_290
; %bb.283:
	v_cndmask_b32_e64 v10, v19, v40, s19
	v_cndmask_b32_e64 v16, v9, v20, s19
	;; [unrolled: 1-line block ×3, first 2 shown]
	s_delay_alu instid0(VALU_DEP_3) | instskip(NEXT) | instid1(VALU_DEP_2)
	v_cmp_ge_u32_e32 vcc_lo, v10, v15
	v_dual_cndmask_b32 v9, v7, v16 :: v_dual_cndmask_b32 v8, v6, v17
	s_or_b32 s0, vcc_lo, s12
	s_delay_alu instid0(SALU_CYCLE_1) | instskip(NEXT) | instid1(SALU_CYCLE_1)
	s_xor_b32 s0, s0, -1
	s_and_saveexec_b32 s19, s0
	s_cbranch_execz .LBB1000_289
; %bb.284:
	v_mad_u64_u32 v[8:9], null, v17, s8, s[10:11]
	v_mul_lo_u32 v15, v17, s9
	v_mul_lo_u32 v18, v16, s8
	v_mad_u64_u32 v[10:11], null, v6, s8, s[10:11]
	v_mul_lo_u32 v19, v6, s9
	v_mul_lo_u32 v20, v7, s8
	s_mov_b32 s22, 0
	s_mov_b64 s[20:21], s[8:9]
                                        ; implicit-def: $sgpr23
                                        ; implicit-def: $sgpr24
                                        ; implicit-def: $sgpr25
                                        ; implicit-def: $sgpr26
                                        ; implicit-def: $sgpr27
	s_delay_alu instid0(VALU_DEP_4) | instskip(NEXT) | instid1(VALU_DEP_2)
	v_add3_u32 v9, v18, v9, v15
	v_add3_u32 v11, v20, v11, v19
	s_set_inst_prefetch_distance 0x1
	s_branch .LBB1000_286
	.p2align	6
.LBB1000_285:                           ;   in Loop: Header=BB1000_286 Depth=1
	s_or_b32 exec_lo, exec_lo, s0
	s_delay_alu instid0(SALU_CYCLE_1) | instskip(NEXT) | instid1(SALU_CYCLE_1)
	s_and_b32 s0, exec_lo, s24
	s_or_b32 s22, s0, s22
	s_and_not1_b32 s0, s27, exec_lo
	s_and_b32 s27, s26, exec_lo
	s_and_not1_b32 s23, s23, exec_lo
	s_and_b32 s28, s25, exec_lo
	s_or_b32 s27, s0, s27
	s_or_b32 s23, s23, s28
	s_and_not1_b32 exec_lo, exec_lo, s22
	s_cbranch_execz .LBB1000_288
.LBB1000_286:                           ; =>This Inner Loop Header: Depth=1
	global_load_u8 v15, v[8:9], off
	global_load_u8 v18, v[10:11], off
	s_and_not1_b32 s25, s25, exec_lo
	s_and_not1_b32 s26, s26, exec_lo
	s_or_b32 s24, s24, exec_lo
	s_waitcnt vmcnt(1)
	v_cmp_eq_u16_e32 vcc_lo, 0, v15
	s_waitcnt vmcnt(0)
	v_cmp_ne_u16_e64 s0, 0, v18
	s_delay_alu instid0(VALU_DEP_1) | instskip(SKIP_4) | instid1(SALU_CYCLE_1)
	s_or_b32 s28, vcc_lo, s0
	s_and_b32 s29, vcc_lo, s0
	s_and_b32 s28, s28, s27
	s_xor_b32 s30, vcc_lo, s0
	s_or_b32 s28, s29, s28
	s_and_b32 s29, s28, exec_lo
	s_delay_alu instid0(SALU_CYCLE_1)
	s_or_b32 s25, s25, s29
	s_and_saveexec_b32 s0, s30
	s_cbranch_execz .LBB1000_285
; %bb.287:                              ;   in Loop: Header=BB1000_286 Depth=1
	s_add_u32 s20, s20, -1
	s_addc_u32 s21, s21, -1
	v_add_co_u32 v8, vcc_lo, v8, 1
	s_cmp_eq_u64 s[20:21], 0
	v_add_co_ci_u32_e32 v9, vcc_lo, 0, v9, vcc_lo
	v_add_co_u32 v10, vcc_lo, v10, 1
	s_cselect_b32 s27, -1, 0
	v_add_co_ci_u32_e32 v11, vcc_lo, 0, v11, vcc_lo
	s_and_not1_b32 s26, s26, exec_lo
	s_and_b32 s28, s28, exec_lo
	s_and_not1_b32 s24, s24, exec_lo
	s_and_b32 s27, s27, exec_lo
	s_or_b32 s26, s26, s28
	s_and_not1_b32 s25, s25, exec_lo
	s_or_b32 s24, s24, s27
                                        ; implicit-def: $sgpr27
	s_branch .LBB1000_285
.LBB1000_288:
	s_set_inst_prefetch_distance 0x2
	s_or_b32 exec_lo, exec_lo, s22
	v_cndmask_b32_e64 v9, v7, v16, s23
	v_cndmask_b32_e64 v8, v6, v17, s23
.LBB1000_289:
	s_or_b32 exec_lo, exec_lo, s19
	s_delay_alu instid0(VALU_DEP_1)
	v_dual_mov_b32 v6, v8 :: v_dual_mov_b32 v7, v9
.LBB1000_290:
	s_or_b32 exec_lo, exec_lo, s1
.LBB1000_291:
	s_delay_alu instid0(SALU_CYCLE_1) | instskip(SKIP_4) | instid1(VALU_DEP_2)
	s_or_b32 exec_lo, exec_lo, s17
	v_and_b32_e32 v19, 0xf00, v23
	v_and_b32_e32 v20, 0xfc, v23
	s_mov_b32 s1, exec_lo
	s_barrier
	v_or_b32_e32 v8, 0x80, v19
	v_lshlrev_b32_e32 v18, 3, v19
	buffer_gl0_inv
	ds_store_b128 v14, v[0:3]
	ds_store_b128 v14, v[4:7] offset:16
	s_waitcnt lgkmcnt(0)
	v_min_u32_e32 v9, 0x380, v8
	v_min_u32_e32 v15, 0x400, v8
	s_barrier
	buffer_gl0_inv
	v_add_nc_u32_e32 v16, 0x80, v9
	v_sub_nc_u32_e32 v8, v15, v19
	s_delay_alu instid0(VALU_DEP_2) | instskip(NEXT) | instid1(VALU_DEP_2)
	v_sub_nc_u32_e32 v9, v16, v15
	v_min_u32_e32 v21, v20, v8
	s_delay_alu instid0(VALU_DEP_2) | instskip(NEXT) | instid1(VALU_DEP_1)
	v_sub_nc_u32_e64 v17, v20, v9 clamp
	v_cmpx_lt_u32_e64 v17, v21
	s_cbranch_execz .LBB1000_301
; %bb.292:
	v_lshlrev_b32_e32 v8, 3, v20
	s_mov_b32 s17, 0
	s_delay_alu instid0(VALU_DEP_1)
	v_lshl_add_u32 v37, v15, 3, v8
	s_branch .LBB1000_295
.LBB1000_293:                           ;   in Loop: Header=BB1000_295 Depth=1
	s_set_inst_prefetch_distance 0x2
	s_or_b32 exec_lo, exec_lo, s19
.LBB1000_294:                           ;   in Loop: Header=BB1000_295 Depth=1
	s_delay_alu instid0(VALU_DEP_1) | instskip(SKIP_1) | instid1(VALU_DEP_2)
	v_add_nc_u32_e32 v8, 1, v38
	v_cndmask_b32_e64 v21, v21, v38, s22
	v_cndmask_b32_e64 v17, v8, v17, s22
	s_delay_alu instid0(VALU_DEP_1) | instskip(SKIP_1) | instid1(SALU_CYCLE_1)
	v_cmp_ge_u32_e32 vcc_lo, v17, v21
	s_or_b32 s17, vcc_lo, s17
	s_and_not1_b32 exec_lo, exec_lo, s17
	s_cbranch_execz .LBB1000_300
.LBB1000_295:                           ; =>This Loop Header: Depth=1
                                        ;     Child Loop BB1000_298 Depth 2
	v_add_nc_u32_e32 v8, v21, v17
	v_cmp_ne_u32_e32 vcc_lo, 1, v36
	s_mov_b32 s22, 0
	s_delay_alu instid0(VALU_DEP_2)
	v_lshrrev_b32_e32 v38, 1, v8
	s_cbranch_vccnz .LBB1000_294
; %bb.296:                              ;   in Loop: Header=BB1000_295 Depth=1
	s_delay_alu instid0(VALU_DEP_1) | instskip(SKIP_3) | instid1(VALU_DEP_2)
	v_not_b32_e32 v8, v38
	v_lshl_add_u32 v9, v38, 3, v18
	s_mov_b32 s19, 0
	s_mov_b64 s[20:21], s[8:9]
                                        ; implicit-def: $sgpr22
                                        ; implicit-def: $sgpr23
                                        ; implicit-def: $sgpr24
                                        ; implicit-def: $sgpr25
                                        ; implicit-def: $sgpr26
	v_lshl_add_u32 v8, v8, 3, v37
	ds_load_b64 v[10:11], v8
	ds_load_b64 v[39:40], v9
	s_waitcnt lgkmcnt(1)
	v_mul_lo_u32 v41, v10, s9
	v_mul_lo_u32 v42, v11, s8
	v_mad_u64_u32 v[8:9], null, v10, s8, s[10:11]
	s_waitcnt lgkmcnt(0)
	v_mul_lo_u32 v43, v39, s9
	v_mul_lo_u32 v40, v40, s8
	v_mad_u64_u32 v[10:11], null, v39, s8, s[10:11]
	s_delay_alu instid0(VALU_DEP_4) | instskip(NEXT) | instid1(VALU_DEP_2)
	v_add3_u32 v9, v42, v9, v41
	v_add3_u32 v11, v40, v11, v43
	s_set_inst_prefetch_distance 0x1
	s_branch .LBB1000_298
	.p2align	6
.LBB1000_297:                           ;   in Loop: Header=BB1000_298 Depth=2
	s_or_b32 exec_lo, exec_lo, s0
	s_delay_alu instid0(SALU_CYCLE_1) | instskip(NEXT) | instid1(SALU_CYCLE_1)
	s_and_b32 s0, exec_lo, s23
	s_or_b32 s19, s0, s19
	s_and_not1_b32 s0, s26, exec_lo
	s_and_b32 s26, s24, exec_lo
	s_and_not1_b32 s22, s22, exec_lo
	s_and_b32 s27, s25, exec_lo
	s_or_b32 s26, s0, s26
	s_or_b32 s22, s22, s27
	s_and_not1_b32 exec_lo, exec_lo, s19
	s_cbranch_execz .LBB1000_293
.LBB1000_298:                           ;   Parent Loop BB1000_295 Depth=1
                                        ; =>  This Inner Loop Header: Depth=2
	global_load_u8 v39, v[8:9], off
	global_load_u8 v40, v[10:11], off
	s_and_not1_b32 s25, s25, exec_lo
	s_and_not1_b32 s24, s24, exec_lo
	s_or_b32 s23, s23, exec_lo
	s_waitcnt vmcnt(1)
	v_cmp_eq_u16_e32 vcc_lo, 0, v39
	s_waitcnt vmcnt(0)
	v_cmp_ne_u16_e64 s0, 0, v40
	s_delay_alu instid0(VALU_DEP_1) | instskip(SKIP_4) | instid1(SALU_CYCLE_1)
	s_or_b32 s27, vcc_lo, s0
	s_and_b32 s28, vcc_lo, s0
	s_and_b32 s27, s27, s26
	s_xor_b32 s29, vcc_lo, s0
	s_or_b32 s27, s28, s27
	s_and_b32 s28, s27, exec_lo
	s_delay_alu instid0(SALU_CYCLE_1)
	s_or_b32 s25, s25, s28
	s_and_saveexec_b32 s0, s29
	s_cbranch_execz .LBB1000_297
; %bb.299:                              ;   in Loop: Header=BB1000_298 Depth=2
	s_add_u32 s20, s20, -1
	s_addc_u32 s21, s21, -1
	v_add_co_u32 v8, vcc_lo, v8, 1
	v_add_co_ci_u32_e32 v9, vcc_lo, 0, v9, vcc_lo
	s_cmp_eq_u64 s[20:21], 0
	v_add_co_u32 v10, vcc_lo, v10, 1
	s_cselect_b32 s26, -1, 0
	v_add_co_ci_u32_e32 v11, vcc_lo, 0, v11, vcc_lo
	s_and_not1_b32 s24, s24, exec_lo
	s_and_b32 s27, s27, exec_lo
	s_and_not1_b32 s23, s23, exec_lo
	s_and_b32 s26, s26, exec_lo
	s_and_not1_b32 s25, s25, exec_lo
	s_or_b32 s24, s24, s27
	s_or_b32 s23, s23, s26
                                        ; implicit-def: $sgpr26
	s_branch .LBB1000_297
.LBB1000_300:
	s_or_b32 exec_lo, exec_lo, s17
.LBB1000_301:
	s_delay_alu instid0(SALU_CYCLE_1) | instskip(SKIP_2) | instid1(VALU_DEP_2)
	s_or_b32 exec_lo, exec_lo, s1
	v_sub_nc_u32_e32 v9, v20, v17
	v_add_nc_u32_e32 v8, v17, v19
	v_add_nc_u32_e32 v9, v9, v15
	s_delay_alu instid0(VALU_DEP_2) | instskip(NEXT) | instid1(VALU_DEP_2)
	v_cmp_le_u32_e32 vcc_lo, v8, v15
	v_cmp_le_u32_e64 s0, v9, v16
	s_delay_alu instid0(VALU_DEP_1) | instskip(NEXT) | instid1(SALU_CYCLE_1)
	s_or_b32 s0, vcc_lo, s0
	s_and_saveexec_b32 s17, s0
	s_cbranch_execz .LBB1000_337
; %bb.302:
	v_cmp_ge_u32_e32 vcc_lo, v8, v15
	s_mov_b32 s1, exec_lo
                                        ; implicit-def: $vgpr0_vgpr1
	v_cmpx_lt_u32_e64 v8, v15
	s_cbranch_execz .LBB1000_304
; %bb.303:
	v_lshl_add_u32 v0, v17, 3, v18
	ds_load_b64 v[0:1], v0
.LBB1000_304:
	s_or_b32 exec_lo, exec_lo, s1
	v_cmp_ge_u32_e64 s0, v9, v16
	s_mov_b32 s19, exec_lo
                                        ; implicit-def: $vgpr4_vgpr5
	v_cmpx_lt_u32_e64 v9, v16
	s_cbranch_execz .LBB1000_306
; %bb.305:
	v_lshlrev_b32_e32 v2, 3, v9
	ds_load_b64 v[4:5], v2
.LBB1000_306:
	s_or_b32 exec_lo, exec_lo, s19
	s_or_b32 s1, vcc_lo, s0
	s_xor_b32 s19, vcc_lo, -1
	s_or_b32 s1, s1, s12
	s_delay_alu instid0(SALU_CYCLE_1)
	s_xor_b32 s20, s1, -1
	s_or_b32 s1, s0, s19
	s_and_saveexec_b32 s19, s20
	s_cbranch_execz .LBB1000_312
; %bb.307:
	s_waitcnt lgkmcnt(0)
	v_mad_u64_u32 v[2:3], null, v4, s8, s[10:11]
	v_mul_lo_u32 v10, v4, s9
	v_mul_lo_u32 v11, v5, s8
	v_mad_u64_u32 v[6:7], null, v0, s8, s[10:11]
	v_mul_lo_u32 v17, v0, s9
	v_mul_lo_u32 v18, v1, s8
	s_mov_b32 s22, 0
	s_mov_b64 s[20:21], s[8:9]
                                        ; implicit-def: $sgpr23
                                        ; implicit-def: $sgpr24
                                        ; implicit-def: $sgpr25
                                        ; implicit-def: $sgpr26
                                        ; implicit-def: $sgpr27
	s_delay_alu instid0(VALU_DEP_4) | instskip(NEXT) | instid1(VALU_DEP_2)
	v_add3_u32 v3, v11, v3, v10
	v_add3_u32 v7, v18, v7, v17
	s_set_inst_prefetch_distance 0x1
	s_branch .LBB1000_309
	.p2align	6
.LBB1000_308:                           ;   in Loop: Header=BB1000_309 Depth=1
	s_or_b32 exec_lo, exec_lo, s0
	s_delay_alu instid0(SALU_CYCLE_1) | instskip(NEXT) | instid1(SALU_CYCLE_1)
	s_and_b32 s0, exec_lo, s24
	s_or_b32 s22, s0, s22
	s_and_not1_b32 s0, s27, exec_lo
	s_and_b32 s27, s26, exec_lo
	s_and_not1_b32 s23, s23, exec_lo
	s_and_b32 s28, s25, exec_lo
	s_or_b32 s27, s0, s27
	s_or_b32 s23, s23, s28
	s_and_not1_b32 exec_lo, exec_lo, s22
	s_cbranch_execz .LBB1000_311
.LBB1000_309:                           ; =>This Inner Loop Header: Depth=1
	global_load_u8 v10, v[2:3], off
	global_load_u8 v11, v[6:7], off
	s_and_not1_b32 s25, s25, exec_lo
	s_and_not1_b32 s26, s26, exec_lo
	s_or_b32 s24, s24, exec_lo
	s_waitcnt vmcnt(1)
	v_cmp_eq_u16_e32 vcc_lo, 0, v10
	s_waitcnt vmcnt(0)
	v_cmp_ne_u16_e64 s0, 0, v11
	s_delay_alu instid0(VALU_DEP_1) | instskip(SKIP_4) | instid1(SALU_CYCLE_1)
	s_or_b32 s28, vcc_lo, s0
	s_and_b32 s29, vcc_lo, s0
	s_and_b32 s28, s28, s27
	s_xor_b32 s30, vcc_lo, s0
	s_or_b32 s28, s29, s28
	s_and_b32 s29, s28, exec_lo
	s_delay_alu instid0(SALU_CYCLE_1)
	s_or_b32 s25, s25, s29
	s_and_saveexec_b32 s0, s30
	s_cbranch_execz .LBB1000_308
; %bb.310:                              ;   in Loop: Header=BB1000_309 Depth=1
	s_add_u32 s20, s20, -1
	s_addc_u32 s21, s21, -1
	v_add_co_u32 v2, vcc_lo, v2, 1
	s_cmp_eq_u64 s[20:21], 0
	v_add_co_ci_u32_e32 v3, vcc_lo, 0, v3, vcc_lo
	v_add_co_u32 v6, vcc_lo, v6, 1
	s_cselect_b32 s27, -1, 0
	v_add_co_ci_u32_e32 v7, vcc_lo, 0, v7, vcc_lo
	s_and_not1_b32 s26, s26, exec_lo
	s_and_b32 s28, s28, exec_lo
	s_and_not1_b32 s24, s24, exec_lo
	s_and_b32 s27, s27, exec_lo
	s_or_b32 s26, s26, s28
	s_and_not1_b32 s25, s25, exec_lo
	s_or_b32 s24, s24, s27
                                        ; implicit-def: $sgpr27
	s_branch .LBB1000_308
.LBB1000_311:
	s_set_inst_prefetch_distance 0x2
	s_or_b32 exec_lo, exec_lo, s22
	s_xor_b32 s0, s23, -1
	s_and_not1_b32 s1, s1, exec_lo
	s_and_b32 s0, s0, exec_lo
	s_delay_alu instid0(SALU_CYCLE_1)
	s_or_b32 s1, s1, s0
.LBB1000_312:
	s_or_b32 exec_lo, exec_lo, s19
	v_cndmask_b32_e64 v2, v9, v8, s1
	v_cndmask_b32_e64 v3, v16, v15, s1
	s_mov_b32 s19, -1
	s_mov_b32 s22, -1
	s_mov_b32 s23, exec_lo
	v_add_nc_u32_e32 v6, 1, v2
	v_add_nc_u32_e32 v2, -1, v3
	s_delay_alu instid0(VALU_DEP_2) | instskip(NEXT) | instid1(VALU_DEP_2)
	v_cndmask_b32_e64 v9, v6, v9, s1
	v_min_u32_e32 v2, v6, v2
	v_cndmask_b32_e64 v8, v8, v6, s1
	s_delay_alu instid0(VALU_DEP_2)
	v_lshlrev_b32_e32 v2, 3, v2
	ds_load_b64 v[2:3], v2
	s_waitcnt lgkmcnt(0)
	v_cndmask_b32_e64 v10, v3, v5, s1
	v_cndmask_b32_e64 v11, v2, v4, s1
	;; [unrolled: 1-line block ×4, first 2 shown]
	v_cmpx_lt_u32_e64 v9, v16
	s_cbranch_execz .LBB1000_320
; %bb.313:
	v_cmp_lt_u32_e64 s22, v8, v15
	s_xor_b32 s0, s12, -1
	s_delay_alu instid0(VALU_DEP_1) | instid1(SALU_CYCLE_1)
	s_and_b32 s0, s22, s0
	s_delay_alu instid0(SALU_CYCLE_1)
	s_and_saveexec_b32 s24, s0
	s_cbranch_execz .LBB1000_319
; %bb.314:
	v_mad_u64_u32 v[2:3], null, v11, s8, s[10:11]
	v_mul_lo_u32 v19, v11, s9
	v_mul_lo_u32 v20, v10, s8
	v_mad_u64_u32 v[6:7], null, v18, s8, s[10:11]
	v_mul_lo_u32 v21, v18, s9
	v_mul_lo_u32 v37, v17, s8
	s_mov_b32 s25, 0
	s_mov_b64 s[20:21], s[8:9]
                                        ; implicit-def: $sgpr26
                                        ; implicit-def: $sgpr27
                                        ; implicit-def: $sgpr28
                                        ; implicit-def: $sgpr29
                                        ; implicit-def: $sgpr30
	s_delay_alu instid0(VALU_DEP_4) | instskip(NEXT) | instid1(VALU_DEP_2)
	v_add3_u32 v3, v20, v3, v19
	v_add3_u32 v7, v37, v7, v21
	s_set_inst_prefetch_distance 0x1
	s_branch .LBB1000_316
	.p2align	6
.LBB1000_315:                           ;   in Loop: Header=BB1000_316 Depth=1
	s_or_b32 exec_lo, exec_lo, s0
	s_delay_alu instid0(SALU_CYCLE_1) | instskip(NEXT) | instid1(SALU_CYCLE_1)
	s_and_b32 s0, exec_lo, s27
	s_or_b32 s25, s0, s25
	s_and_not1_b32 s0, s30, exec_lo
	s_and_b32 s30, s29, exec_lo
	s_and_not1_b32 s26, s26, exec_lo
	s_and_b32 s31, s28, exec_lo
	s_or_b32 s30, s0, s30
	s_or_b32 s26, s26, s31
	s_and_not1_b32 exec_lo, exec_lo, s25
	s_cbranch_execz .LBB1000_318
.LBB1000_316:                           ; =>This Inner Loop Header: Depth=1
	global_load_u8 v19, v[2:3], off
	global_load_u8 v20, v[6:7], off
	s_and_not1_b32 s28, s28, exec_lo
	s_and_not1_b32 s29, s29, exec_lo
	s_or_b32 s27, s27, exec_lo
	s_waitcnt vmcnt(1)
	v_cmp_eq_u16_e32 vcc_lo, 0, v19
	s_waitcnt vmcnt(0)
	v_cmp_ne_u16_e64 s0, 0, v20
	s_delay_alu instid0(VALU_DEP_1) | instskip(SKIP_4) | instid1(SALU_CYCLE_1)
	s_or_b32 s31, vcc_lo, s0
	s_and_b32 s33, vcc_lo, s0
	s_and_b32 s31, s31, s30
	s_xor_b32 s34, vcc_lo, s0
	s_or_b32 s31, s33, s31
	s_and_b32 s33, s31, exec_lo
	s_delay_alu instid0(SALU_CYCLE_1)
	s_or_b32 s28, s28, s33
	s_and_saveexec_b32 s0, s34
	s_cbranch_execz .LBB1000_315
; %bb.317:                              ;   in Loop: Header=BB1000_316 Depth=1
	s_add_u32 s20, s20, -1
	s_addc_u32 s21, s21, -1
	v_add_co_u32 v2, vcc_lo, v2, 1
	s_cmp_eq_u64 s[20:21], 0
	v_add_co_ci_u32_e32 v3, vcc_lo, 0, v3, vcc_lo
	v_add_co_u32 v6, vcc_lo, v6, 1
	s_cselect_b32 s30, -1, 0
	v_add_co_ci_u32_e32 v7, vcc_lo, 0, v7, vcc_lo
	s_and_not1_b32 s29, s29, exec_lo
	s_and_b32 s31, s31, exec_lo
	s_and_not1_b32 s27, s27, exec_lo
	s_and_b32 s30, s30, exec_lo
	s_or_b32 s29, s29, s31
	s_and_not1_b32 s28, s28, exec_lo
	s_or_b32 s27, s27, s30
                                        ; implicit-def: $sgpr30
	s_branch .LBB1000_315
.LBB1000_318:
	s_set_inst_prefetch_distance 0x2
	s_or_b32 exec_lo, exec_lo, s25
	s_xor_b32 s0, s26, -1
	s_and_not1_b32 s20, s22, exec_lo
	s_and_b32 s0, s0, exec_lo
	s_delay_alu instid0(SALU_CYCLE_1)
	s_or_b32 s22, s20, s0
.LBB1000_319:
	s_or_b32 exec_lo, exec_lo, s24
	s_delay_alu instid0(SALU_CYCLE_1)
	s_or_not1_b32 s22, s22, exec_lo
.LBB1000_320:
	s_or_b32 exec_lo, exec_lo, s23
	v_cndmask_b32_e64 v2, v9, v8, s22
	v_cndmask_b32_e64 v3, v16, v15, s22
	s_mov_b32 s23, exec_lo
	s_delay_alu instid0(VALU_DEP_2) | instskip(NEXT) | instid1(VALU_DEP_2)
	v_add_nc_u32_e32 v6, 1, v2
	v_add_nc_u32_e32 v2, -1, v3
	s_delay_alu instid0(VALU_DEP_2) | instskip(NEXT) | instid1(VALU_DEP_2)
	v_cndmask_b32_e64 v37, v6, v9, s22
	v_min_u32_e32 v2, v6, v2
	v_cndmask_b32_e64 v19, v8, v6, s22
	s_delay_alu instid0(VALU_DEP_2)
	v_lshlrev_b32_e32 v2, 3, v2
	ds_load_b64 v[2:3], v2
	s_waitcnt lgkmcnt(0)
	v_cndmask_b32_e64 v20, v3, v10, s22
	v_cndmask_b32_e64 v21, v2, v11, s22
	;; [unrolled: 1-line block ×4, first 2 shown]
	v_cmpx_lt_u32_e64 v37, v16
	s_cbranch_execz .LBB1000_328
; %bb.321:
	v_cmp_lt_u32_e64 s19, v19, v15
	s_xor_b32 s0, s12, -1
	s_delay_alu instid0(VALU_DEP_1) | instid1(SALU_CYCLE_1)
	s_and_b32 s0, s19, s0
	s_delay_alu instid0(SALU_CYCLE_1)
	s_and_saveexec_b32 s24, s0
	s_cbranch_execz .LBB1000_327
; %bb.322:
	v_mad_u64_u32 v[2:3], null, v21, s8, s[10:11]
	v_mul_lo_u32 v8, v21, s9
	v_mul_lo_u32 v9, v20, s8
	v_mad_u64_u32 v[6:7], null, v39, s8, s[10:11]
	v_mul_lo_u32 v40, v39, s9
	v_mul_lo_u32 v41, v38, s8
	s_mov_b32 s25, 0
	s_mov_b64 s[20:21], s[8:9]
                                        ; implicit-def: $sgpr26
                                        ; implicit-def: $sgpr27
                                        ; implicit-def: $sgpr28
                                        ; implicit-def: $sgpr29
                                        ; implicit-def: $sgpr30
	s_delay_alu instid0(VALU_DEP_4) | instskip(NEXT) | instid1(VALU_DEP_2)
	v_add3_u32 v3, v9, v3, v8
	v_add3_u32 v7, v41, v7, v40
	s_set_inst_prefetch_distance 0x1
	s_branch .LBB1000_324
	.p2align	6
.LBB1000_323:                           ;   in Loop: Header=BB1000_324 Depth=1
	s_or_b32 exec_lo, exec_lo, s0
	s_delay_alu instid0(SALU_CYCLE_1) | instskip(NEXT) | instid1(SALU_CYCLE_1)
	s_and_b32 s0, exec_lo, s27
	s_or_b32 s25, s0, s25
	s_and_not1_b32 s0, s30, exec_lo
	s_and_b32 s30, s29, exec_lo
	s_and_not1_b32 s26, s26, exec_lo
	s_and_b32 s31, s28, exec_lo
	s_or_b32 s30, s0, s30
	s_or_b32 s26, s26, s31
	s_and_not1_b32 exec_lo, exec_lo, s25
	s_cbranch_execz .LBB1000_326
.LBB1000_324:                           ; =>This Inner Loop Header: Depth=1
	global_load_u8 v8, v[2:3], off
	global_load_u8 v9, v[6:7], off
	s_and_not1_b32 s28, s28, exec_lo
	s_and_not1_b32 s29, s29, exec_lo
	s_or_b32 s27, s27, exec_lo
	s_waitcnt vmcnt(1)
	v_cmp_eq_u16_e32 vcc_lo, 0, v8
	s_waitcnt vmcnt(0)
	v_cmp_ne_u16_e64 s0, 0, v9
	s_delay_alu instid0(VALU_DEP_1) | instskip(SKIP_4) | instid1(SALU_CYCLE_1)
	s_or_b32 s31, vcc_lo, s0
	s_and_b32 s33, vcc_lo, s0
	s_and_b32 s31, s31, s30
	s_xor_b32 s34, vcc_lo, s0
	s_or_b32 s31, s33, s31
	s_and_b32 s33, s31, exec_lo
	s_delay_alu instid0(SALU_CYCLE_1)
	s_or_b32 s28, s28, s33
	s_and_saveexec_b32 s0, s34
	s_cbranch_execz .LBB1000_323
; %bb.325:                              ;   in Loop: Header=BB1000_324 Depth=1
	s_add_u32 s20, s20, -1
	s_addc_u32 s21, s21, -1
	v_add_co_u32 v2, vcc_lo, v2, 1
	s_cmp_eq_u64 s[20:21], 0
	v_add_co_ci_u32_e32 v3, vcc_lo, 0, v3, vcc_lo
	v_add_co_u32 v6, vcc_lo, v6, 1
	s_cselect_b32 s30, -1, 0
	v_add_co_ci_u32_e32 v7, vcc_lo, 0, v7, vcc_lo
	s_and_not1_b32 s29, s29, exec_lo
	s_and_b32 s31, s31, exec_lo
	s_and_not1_b32 s27, s27, exec_lo
	s_and_b32 s30, s30, exec_lo
	s_or_b32 s29, s29, s31
	s_and_not1_b32 s28, s28, exec_lo
	s_or_b32 s27, s27, s30
                                        ; implicit-def: $sgpr30
	s_branch .LBB1000_323
.LBB1000_326:
	s_set_inst_prefetch_distance 0x2
	s_or_b32 exec_lo, exec_lo, s25
	s_xor_b32 s0, s26, -1
	s_and_not1_b32 s19, s19, exec_lo
	s_and_b32 s0, s0, exec_lo
	s_delay_alu instid0(SALU_CYCLE_1)
	s_or_b32 s19, s19, s0
.LBB1000_327:
	s_or_b32 exec_lo, exec_lo, s24
	s_delay_alu instid0(SALU_CYCLE_1)
	s_or_not1_b32 s19, s19, exec_lo
.LBB1000_328:
	s_or_b32 exec_lo, exec_lo, s23
	v_cndmask_b32_e64 v2, v37, v19, s19
	v_cndmask_b32_e64 v3, v16, v15, s19
	;; [unrolled: 1-line block ×5, first 2 shown]
	v_add_nc_u32_e32 v40, 1, v2
	v_add_nc_u32_e32 v2, -1, v3
	v_cndmask_b32_e64 v3, v10, v17, s22
	v_cndmask_b32_e64 v4, v21, v39, s19
	s_mov_b32 s1, exec_lo
	v_cndmask_b32_e64 v10, v40, v37, s19
	v_min_u32_e32 v2, v40, v2
	s_delay_alu instid0(VALU_DEP_1)
	v_lshlrev_b32_e32 v2, 3, v2
	ds_load_b64 v[8:9], v2
	v_cndmask_b32_e64 v2, v11, v18, s22
	s_waitcnt lgkmcnt(0)
	v_cndmask_b32_e64 v7, v38, v9, s19
	v_cndmask_b32_e64 v6, v39, v8, s19
	v_cmpx_lt_u32_e64 v10, v16
	s_cbranch_execz .LBB1000_336
; %bb.329:
	v_cndmask_b32_e64 v10, v19, v40, s19
	v_cndmask_b32_e64 v16, v9, v20, s19
	v_cndmask_b32_e64 v17, v8, v21, s19
	s_delay_alu instid0(VALU_DEP_3) | instskip(NEXT) | instid1(VALU_DEP_2)
	v_cmp_ge_u32_e32 vcc_lo, v10, v15
	v_dual_cndmask_b32 v9, v7, v16 :: v_dual_cndmask_b32 v8, v6, v17
	s_or_b32 s0, vcc_lo, s12
	s_delay_alu instid0(SALU_CYCLE_1) | instskip(NEXT) | instid1(SALU_CYCLE_1)
	s_xor_b32 s0, s0, -1
	s_and_saveexec_b32 s19, s0
	s_cbranch_execz .LBB1000_335
; %bb.330:
	v_mad_u64_u32 v[8:9], null, v17, s8, s[10:11]
	v_mul_lo_u32 v15, v17, s9
	v_mul_lo_u32 v18, v16, s8
	v_mad_u64_u32 v[10:11], null, v6, s8, s[10:11]
	v_mul_lo_u32 v19, v6, s9
	v_mul_lo_u32 v20, v7, s8
	s_mov_b32 s22, 0
	s_mov_b64 s[20:21], s[8:9]
                                        ; implicit-def: $sgpr23
                                        ; implicit-def: $sgpr24
                                        ; implicit-def: $sgpr25
                                        ; implicit-def: $sgpr26
                                        ; implicit-def: $sgpr27
	s_delay_alu instid0(VALU_DEP_4) | instskip(NEXT) | instid1(VALU_DEP_2)
	v_add3_u32 v9, v18, v9, v15
	v_add3_u32 v11, v20, v11, v19
	s_set_inst_prefetch_distance 0x1
	s_branch .LBB1000_332
	.p2align	6
.LBB1000_331:                           ;   in Loop: Header=BB1000_332 Depth=1
	s_or_b32 exec_lo, exec_lo, s0
	s_delay_alu instid0(SALU_CYCLE_1) | instskip(NEXT) | instid1(SALU_CYCLE_1)
	s_and_b32 s0, exec_lo, s24
	s_or_b32 s22, s0, s22
	s_and_not1_b32 s0, s27, exec_lo
	s_and_b32 s27, s26, exec_lo
	s_and_not1_b32 s23, s23, exec_lo
	s_and_b32 s28, s25, exec_lo
	s_or_b32 s27, s0, s27
	s_or_b32 s23, s23, s28
	s_and_not1_b32 exec_lo, exec_lo, s22
	s_cbranch_execz .LBB1000_334
.LBB1000_332:                           ; =>This Inner Loop Header: Depth=1
	global_load_u8 v15, v[8:9], off
	global_load_u8 v18, v[10:11], off
	s_and_not1_b32 s25, s25, exec_lo
	s_and_not1_b32 s26, s26, exec_lo
	s_or_b32 s24, s24, exec_lo
	s_waitcnt vmcnt(1)
	v_cmp_eq_u16_e32 vcc_lo, 0, v15
	s_waitcnt vmcnt(0)
	v_cmp_ne_u16_e64 s0, 0, v18
	s_delay_alu instid0(VALU_DEP_1) | instskip(SKIP_4) | instid1(SALU_CYCLE_1)
	s_or_b32 s28, vcc_lo, s0
	s_and_b32 s29, vcc_lo, s0
	s_and_b32 s28, s28, s27
	s_xor_b32 s30, vcc_lo, s0
	s_or_b32 s28, s29, s28
	s_and_b32 s29, s28, exec_lo
	s_delay_alu instid0(SALU_CYCLE_1)
	s_or_b32 s25, s25, s29
	s_and_saveexec_b32 s0, s30
	s_cbranch_execz .LBB1000_331
; %bb.333:                              ;   in Loop: Header=BB1000_332 Depth=1
	s_add_u32 s20, s20, -1
	s_addc_u32 s21, s21, -1
	v_add_co_u32 v8, vcc_lo, v8, 1
	s_cmp_eq_u64 s[20:21], 0
	v_add_co_ci_u32_e32 v9, vcc_lo, 0, v9, vcc_lo
	v_add_co_u32 v10, vcc_lo, v10, 1
	s_cselect_b32 s27, -1, 0
	v_add_co_ci_u32_e32 v11, vcc_lo, 0, v11, vcc_lo
	s_and_not1_b32 s26, s26, exec_lo
	s_and_b32 s28, s28, exec_lo
	s_and_not1_b32 s24, s24, exec_lo
	s_and_b32 s27, s27, exec_lo
	s_or_b32 s26, s26, s28
	s_and_not1_b32 s25, s25, exec_lo
	s_or_b32 s24, s24, s27
                                        ; implicit-def: $sgpr27
	s_branch .LBB1000_331
.LBB1000_334:
	s_set_inst_prefetch_distance 0x2
	s_or_b32 exec_lo, exec_lo, s22
	v_cndmask_b32_e64 v9, v7, v16, s23
	v_cndmask_b32_e64 v8, v6, v17, s23
.LBB1000_335:
	s_or_b32 exec_lo, exec_lo, s19
	s_delay_alu instid0(VALU_DEP_1)
	v_dual_mov_b32 v6, v8 :: v_dual_mov_b32 v7, v9
.LBB1000_336:
	s_or_b32 exec_lo, exec_lo, s1
.LBB1000_337:
	s_delay_alu instid0(SALU_CYCLE_1) | instskip(SKIP_4) | instid1(VALU_DEP_2)
	s_or_b32 exec_lo, exec_lo, s17
	v_and_b32_e32 v19, 0xe00, v23
	v_and_b32_e32 v20, 0x1fc, v23
	s_mov_b32 s1, exec_lo
	s_barrier
	v_or_b32_e32 v8, 0x100, v19
	v_lshlrev_b32_e32 v18, 3, v19
	buffer_gl0_inv
	ds_store_b128 v14, v[0:3]
	ds_store_b128 v14, v[4:7] offset:16
	s_waitcnt lgkmcnt(0)
	v_min_u32_e32 v9, 0x300, v8
	v_min_u32_e32 v15, 0x400, v8
	s_barrier
	buffer_gl0_inv
	v_add_nc_u32_e32 v16, 0x100, v9
	v_sub_nc_u32_e32 v8, v15, v19
	s_delay_alu instid0(VALU_DEP_2) | instskip(NEXT) | instid1(VALU_DEP_2)
	v_sub_nc_u32_e32 v9, v16, v15
	v_min_u32_e32 v21, v20, v8
	s_delay_alu instid0(VALU_DEP_2) | instskip(NEXT) | instid1(VALU_DEP_1)
	v_sub_nc_u32_e64 v17, v20, v9 clamp
	v_cmpx_lt_u32_e64 v17, v21
	s_cbranch_execz .LBB1000_347
; %bb.338:
	v_lshlrev_b32_e32 v8, 3, v20
	s_mov_b32 s17, 0
	s_delay_alu instid0(VALU_DEP_1)
	v_lshl_add_u32 v37, v15, 3, v8
	s_branch .LBB1000_341
.LBB1000_339:                           ;   in Loop: Header=BB1000_341 Depth=1
	s_set_inst_prefetch_distance 0x2
	s_or_b32 exec_lo, exec_lo, s19
.LBB1000_340:                           ;   in Loop: Header=BB1000_341 Depth=1
	s_delay_alu instid0(VALU_DEP_1) | instskip(SKIP_1) | instid1(VALU_DEP_2)
	v_add_nc_u32_e32 v8, 1, v38
	v_cndmask_b32_e64 v21, v21, v38, s22
	v_cndmask_b32_e64 v17, v8, v17, s22
	s_delay_alu instid0(VALU_DEP_1) | instskip(SKIP_1) | instid1(SALU_CYCLE_1)
	v_cmp_ge_u32_e32 vcc_lo, v17, v21
	s_or_b32 s17, vcc_lo, s17
	s_and_not1_b32 exec_lo, exec_lo, s17
	s_cbranch_execz .LBB1000_346
.LBB1000_341:                           ; =>This Loop Header: Depth=1
                                        ;     Child Loop BB1000_344 Depth 2
	v_add_nc_u32_e32 v8, v21, v17
	v_cmp_ne_u32_e32 vcc_lo, 1, v36
	s_mov_b32 s22, 0
	s_delay_alu instid0(VALU_DEP_2)
	v_lshrrev_b32_e32 v38, 1, v8
	s_cbranch_vccnz .LBB1000_340
; %bb.342:                              ;   in Loop: Header=BB1000_341 Depth=1
	s_delay_alu instid0(VALU_DEP_1) | instskip(SKIP_3) | instid1(VALU_DEP_2)
	v_not_b32_e32 v8, v38
	v_lshl_add_u32 v9, v38, 3, v18
	s_mov_b32 s19, 0
	s_mov_b64 s[20:21], s[8:9]
                                        ; implicit-def: $sgpr22
                                        ; implicit-def: $sgpr23
                                        ; implicit-def: $sgpr24
                                        ; implicit-def: $sgpr25
                                        ; implicit-def: $sgpr26
	v_lshl_add_u32 v8, v8, 3, v37
	ds_load_b64 v[10:11], v8
	ds_load_b64 v[39:40], v9
	s_waitcnt lgkmcnt(1)
	v_mul_lo_u32 v41, v10, s9
	v_mul_lo_u32 v42, v11, s8
	v_mad_u64_u32 v[8:9], null, v10, s8, s[10:11]
	s_waitcnt lgkmcnt(0)
	v_mul_lo_u32 v43, v39, s9
	v_mul_lo_u32 v40, v40, s8
	v_mad_u64_u32 v[10:11], null, v39, s8, s[10:11]
	s_delay_alu instid0(VALU_DEP_4) | instskip(NEXT) | instid1(VALU_DEP_2)
	v_add3_u32 v9, v42, v9, v41
	v_add3_u32 v11, v40, v11, v43
	s_set_inst_prefetch_distance 0x1
	s_branch .LBB1000_344
	.p2align	6
.LBB1000_343:                           ;   in Loop: Header=BB1000_344 Depth=2
	s_or_b32 exec_lo, exec_lo, s0
	s_delay_alu instid0(SALU_CYCLE_1) | instskip(NEXT) | instid1(SALU_CYCLE_1)
	s_and_b32 s0, exec_lo, s23
	s_or_b32 s19, s0, s19
	s_and_not1_b32 s0, s26, exec_lo
	s_and_b32 s26, s24, exec_lo
	s_and_not1_b32 s22, s22, exec_lo
	s_and_b32 s27, s25, exec_lo
	s_or_b32 s26, s0, s26
	s_or_b32 s22, s22, s27
	s_and_not1_b32 exec_lo, exec_lo, s19
	s_cbranch_execz .LBB1000_339
.LBB1000_344:                           ;   Parent Loop BB1000_341 Depth=1
                                        ; =>  This Inner Loop Header: Depth=2
	global_load_u8 v39, v[8:9], off
	global_load_u8 v40, v[10:11], off
	s_and_not1_b32 s25, s25, exec_lo
	s_and_not1_b32 s24, s24, exec_lo
	s_or_b32 s23, s23, exec_lo
	s_waitcnt vmcnt(1)
	v_cmp_eq_u16_e32 vcc_lo, 0, v39
	s_waitcnt vmcnt(0)
	v_cmp_ne_u16_e64 s0, 0, v40
	s_delay_alu instid0(VALU_DEP_1) | instskip(SKIP_4) | instid1(SALU_CYCLE_1)
	s_or_b32 s27, vcc_lo, s0
	s_and_b32 s28, vcc_lo, s0
	s_and_b32 s27, s27, s26
	s_xor_b32 s29, vcc_lo, s0
	s_or_b32 s27, s28, s27
	s_and_b32 s28, s27, exec_lo
	s_delay_alu instid0(SALU_CYCLE_1)
	s_or_b32 s25, s25, s28
	s_and_saveexec_b32 s0, s29
	s_cbranch_execz .LBB1000_343
; %bb.345:                              ;   in Loop: Header=BB1000_344 Depth=2
	s_add_u32 s20, s20, -1
	s_addc_u32 s21, s21, -1
	v_add_co_u32 v8, vcc_lo, v8, 1
	v_add_co_ci_u32_e32 v9, vcc_lo, 0, v9, vcc_lo
	s_cmp_eq_u64 s[20:21], 0
	v_add_co_u32 v10, vcc_lo, v10, 1
	s_cselect_b32 s26, -1, 0
	v_add_co_ci_u32_e32 v11, vcc_lo, 0, v11, vcc_lo
	s_and_not1_b32 s24, s24, exec_lo
	s_and_b32 s27, s27, exec_lo
	s_and_not1_b32 s23, s23, exec_lo
	s_and_b32 s26, s26, exec_lo
	s_and_not1_b32 s25, s25, exec_lo
	s_or_b32 s24, s24, s27
	s_or_b32 s23, s23, s26
                                        ; implicit-def: $sgpr26
	s_branch .LBB1000_343
.LBB1000_346:
	s_or_b32 exec_lo, exec_lo, s17
.LBB1000_347:
	s_delay_alu instid0(SALU_CYCLE_1) | instskip(SKIP_2) | instid1(VALU_DEP_2)
	s_or_b32 exec_lo, exec_lo, s1
	v_sub_nc_u32_e32 v9, v20, v17
	v_add_nc_u32_e32 v8, v17, v19
	v_add_nc_u32_e32 v9, v9, v15
	s_delay_alu instid0(VALU_DEP_2) | instskip(NEXT) | instid1(VALU_DEP_2)
	v_cmp_le_u32_e32 vcc_lo, v8, v15
	v_cmp_le_u32_e64 s0, v9, v16
	s_delay_alu instid0(VALU_DEP_1) | instskip(NEXT) | instid1(SALU_CYCLE_1)
	s_or_b32 s0, vcc_lo, s0
	s_and_saveexec_b32 s17, s0
	s_cbranch_execz .LBB1000_383
; %bb.348:
	v_cmp_ge_u32_e32 vcc_lo, v8, v15
	s_mov_b32 s1, exec_lo
                                        ; implicit-def: $vgpr0_vgpr1
	v_cmpx_lt_u32_e64 v8, v15
	s_cbranch_execz .LBB1000_350
; %bb.349:
	v_lshl_add_u32 v0, v17, 3, v18
	ds_load_b64 v[0:1], v0
.LBB1000_350:
	s_or_b32 exec_lo, exec_lo, s1
	v_cmp_ge_u32_e64 s0, v9, v16
	s_mov_b32 s19, exec_lo
                                        ; implicit-def: $vgpr4_vgpr5
	v_cmpx_lt_u32_e64 v9, v16
	s_cbranch_execz .LBB1000_352
; %bb.351:
	v_lshlrev_b32_e32 v2, 3, v9
	ds_load_b64 v[4:5], v2
.LBB1000_352:
	s_or_b32 exec_lo, exec_lo, s19
	s_or_b32 s1, vcc_lo, s0
	s_xor_b32 s19, vcc_lo, -1
	s_or_b32 s1, s1, s12
	s_delay_alu instid0(SALU_CYCLE_1)
	s_xor_b32 s20, s1, -1
	s_or_b32 s1, s0, s19
	s_and_saveexec_b32 s19, s20
	s_cbranch_execz .LBB1000_358
; %bb.353:
	s_waitcnt lgkmcnt(0)
	v_mad_u64_u32 v[2:3], null, v4, s8, s[10:11]
	v_mul_lo_u32 v10, v4, s9
	v_mul_lo_u32 v11, v5, s8
	v_mad_u64_u32 v[6:7], null, v0, s8, s[10:11]
	v_mul_lo_u32 v17, v0, s9
	v_mul_lo_u32 v18, v1, s8
	s_mov_b32 s22, 0
	s_mov_b64 s[20:21], s[8:9]
                                        ; implicit-def: $sgpr23
                                        ; implicit-def: $sgpr24
                                        ; implicit-def: $sgpr25
                                        ; implicit-def: $sgpr26
                                        ; implicit-def: $sgpr27
	s_delay_alu instid0(VALU_DEP_4) | instskip(NEXT) | instid1(VALU_DEP_2)
	v_add3_u32 v3, v11, v3, v10
	v_add3_u32 v7, v18, v7, v17
	s_set_inst_prefetch_distance 0x1
	s_branch .LBB1000_355
	.p2align	6
.LBB1000_354:                           ;   in Loop: Header=BB1000_355 Depth=1
	s_or_b32 exec_lo, exec_lo, s0
	s_delay_alu instid0(SALU_CYCLE_1) | instskip(NEXT) | instid1(SALU_CYCLE_1)
	s_and_b32 s0, exec_lo, s24
	s_or_b32 s22, s0, s22
	s_and_not1_b32 s0, s27, exec_lo
	s_and_b32 s27, s26, exec_lo
	s_and_not1_b32 s23, s23, exec_lo
	s_and_b32 s28, s25, exec_lo
	s_or_b32 s27, s0, s27
	s_or_b32 s23, s23, s28
	s_and_not1_b32 exec_lo, exec_lo, s22
	s_cbranch_execz .LBB1000_357
.LBB1000_355:                           ; =>This Inner Loop Header: Depth=1
	global_load_u8 v10, v[2:3], off
	global_load_u8 v11, v[6:7], off
	s_and_not1_b32 s25, s25, exec_lo
	s_and_not1_b32 s26, s26, exec_lo
	s_or_b32 s24, s24, exec_lo
	s_waitcnt vmcnt(1)
	v_cmp_eq_u16_e32 vcc_lo, 0, v10
	s_waitcnt vmcnt(0)
	v_cmp_ne_u16_e64 s0, 0, v11
	s_delay_alu instid0(VALU_DEP_1) | instskip(SKIP_4) | instid1(SALU_CYCLE_1)
	s_or_b32 s28, vcc_lo, s0
	s_and_b32 s29, vcc_lo, s0
	s_and_b32 s28, s28, s27
	s_xor_b32 s30, vcc_lo, s0
	s_or_b32 s28, s29, s28
	s_and_b32 s29, s28, exec_lo
	s_delay_alu instid0(SALU_CYCLE_1)
	s_or_b32 s25, s25, s29
	s_and_saveexec_b32 s0, s30
	s_cbranch_execz .LBB1000_354
; %bb.356:                              ;   in Loop: Header=BB1000_355 Depth=1
	s_add_u32 s20, s20, -1
	s_addc_u32 s21, s21, -1
	v_add_co_u32 v2, vcc_lo, v2, 1
	s_cmp_eq_u64 s[20:21], 0
	v_add_co_ci_u32_e32 v3, vcc_lo, 0, v3, vcc_lo
	v_add_co_u32 v6, vcc_lo, v6, 1
	s_cselect_b32 s27, -1, 0
	v_add_co_ci_u32_e32 v7, vcc_lo, 0, v7, vcc_lo
	s_and_not1_b32 s26, s26, exec_lo
	s_and_b32 s28, s28, exec_lo
	s_and_not1_b32 s24, s24, exec_lo
	s_and_b32 s27, s27, exec_lo
	s_or_b32 s26, s26, s28
	s_and_not1_b32 s25, s25, exec_lo
	s_or_b32 s24, s24, s27
                                        ; implicit-def: $sgpr27
	s_branch .LBB1000_354
.LBB1000_357:
	s_set_inst_prefetch_distance 0x2
	s_or_b32 exec_lo, exec_lo, s22
	s_xor_b32 s0, s23, -1
	s_and_not1_b32 s1, s1, exec_lo
	s_and_b32 s0, s0, exec_lo
	s_delay_alu instid0(SALU_CYCLE_1)
	s_or_b32 s1, s1, s0
.LBB1000_358:
	s_or_b32 exec_lo, exec_lo, s19
	v_cndmask_b32_e64 v2, v9, v8, s1
	v_cndmask_b32_e64 v3, v16, v15, s1
	s_mov_b32 s19, -1
	s_mov_b32 s22, -1
	s_mov_b32 s23, exec_lo
	v_add_nc_u32_e32 v6, 1, v2
	v_add_nc_u32_e32 v2, -1, v3
	s_delay_alu instid0(VALU_DEP_2) | instskip(NEXT) | instid1(VALU_DEP_2)
	v_cndmask_b32_e64 v9, v6, v9, s1
	v_min_u32_e32 v2, v6, v2
	v_cndmask_b32_e64 v8, v8, v6, s1
	s_delay_alu instid0(VALU_DEP_2)
	v_lshlrev_b32_e32 v2, 3, v2
	ds_load_b64 v[2:3], v2
	s_waitcnt lgkmcnt(0)
	v_cndmask_b32_e64 v10, v3, v5, s1
	v_cndmask_b32_e64 v11, v2, v4, s1
	;; [unrolled: 1-line block ×4, first 2 shown]
	v_cmpx_lt_u32_e64 v9, v16
	s_cbranch_execz .LBB1000_366
; %bb.359:
	v_cmp_lt_u32_e64 s22, v8, v15
	s_xor_b32 s0, s12, -1
	s_delay_alu instid0(VALU_DEP_1) | instid1(SALU_CYCLE_1)
	s_and_b32 s0, s22, s0
	s_delay_alu instid0(SALU_CYCLE_1)
	s_and_saveexec_b32 s24, s0
	s_cbranch_execz .LBB1000_365
; %bb.360:
	v_mad_u64_u32 v[2:3], null, v11, s8, s[10:11]
	v_mul_lo_u32 v19, v11, s9
	v_mul_lo_u32 v20, v10, s8
	v_mad_u64_u32 v[6:7], null, v18, s8, s[10:11]
	v_mul_lo_u32 v21, v18, s9
	v_mul_lo_u32 v37, v17, s8
	s_mov_b32 s25, 0
	s_mov_b64 s[20:21], s[8:9]
                                        ; implicit-def: $sgpr26
                                        ; implicit-def: $sgpr27
                                        ; implicit-def: $sgpr28
                                        ; implicit-def: $sgpr29
                                        ; implicit-def: $sgpr30
	s_delay_alu instid0(VALU_DEP_4) | instskip(NEXT) | instid1(VALU_DEP_2)
	v_add3_u32 v3, v20, v3, v19
	v_add3_u32 v7, v37, v7, v21
	s_set_inst_prefetch_distance 0x1
	s_branch .LBB1000_362
	.p2align	6
.LBB1000_361:                           ;   in Loop: Header=BB1000_362 Depth=1
	s_or_b32 exec_lo, exec_lo, s0
	s_delay_alu instid0(SALU_CYCLE_1) | instskip(NEXT) | instid1(SALU_CYCLE_1)
	s_and_b32 s0, exec_lo, s27
	s_or_b32 s25, s0, s25
	s_and_not1_b32 s0, s30, exec_lo
	s_and_b32 s30, s29, exec_lo
	s_and_not1_b32 s26, s26, exec_lo
	s_and_b32 s31, s28, exec_lo
	s_or_b32 s30, s0, s30
	s_or_b32 s26, s26, s31
	s_and_not1_b32 exec_lo, exec_lo, s25
	s_cbranch_execz .LBB1000_364
.LBB1000_362:                           ; =>This Inner Loop Header: Depth=1
	global_load_u8 v19, v[2:3], off
	global_load_u8 v20, v[6:7], off
	s_and_not1_b32 s28, s28, exec_lo
	s_and_not1_b32 s29, s29, exec_lo
	s_or_b32 s27, s27, exec_lo
	s_waitcnt vmcnt(1)
	v_cmp_eq_u16_e32 vcc_lo, 0, v19
	s_waitcnt vmcnt(0)
	v_cmp_ne_u16_e64 s0, 0, v20
	s_delay_alu instid0(VALU_DEP_1) | instskip(SKIP_4) | instid1(SALU_CYCLE_1)
	s_or_b32 s31, vcc_lo, s0
	s_and_b32 s33, vcc_lo, s0
	s_and_b32 s31, s31, s30
	s_xor_b32 s34, vcc_lo, s0
	s_or_b32 s31, s33, s31
	s_and_b32 s33, s31, exec_lo
	s_delay_alu instid0(SALU_CYCLE_1)
	s_or_b32 s28, s28, s33
	s_and_saveexec_b32 s0, s34
	s_cbranch_execz .LBB1000_361
; %bb.363:                              ;   in Loop: Header=BB1000_362 Depth=1
	s_add_u32 s20, s20, -1
	s_addc_u32 s21, s21, -1
	v_add_co_u32 v2, vcc_lo, v2, 1
	s_cmp_eq_u64 s[20:21], 0
	v_add_co_ci_u32_e32 v3, vcc_lo, 0, v3, vcc_lo
	v_add_co_u32 v6, vcc_lo, v6, 1
	s_cselect_b32 s30, -1, 0
	v_add_co_ci_u32_e32 v7, vcc_lo, 0, v7, vcc_lo
	s_and_not1_b32 s29, s29, exec_lo
	s_and_b32 s31, s31, exec_lo
	s_and_not1_b32 s27, s27, exec_lo
	s_and_b32 s30, s30, exec_lo
	s_or_b32 s29, s29, s31
	s_and_not1_b32 s28, s28, exec_lo
	s_or_b32 s27, s27, s30
                                        ; implicit-def: $sgpr30
	s_branch .LBB1000_361
.LBB1000_364:
	s_set_inst_prefetch_distance 0x2
	s_or_b32 exec_lo, exec_lo, s25
	s_xor_b32 s0, s26, -1
	s_and_not1_b32 s20, s22, exec_lo
	s_and_b32 s0, s0, exec_lo
	s_delay_alu instid0(SALU_CYCLE_1)
	s_or_b32 s22, s20, s0
.LBB1000_365:
	s_or_b32 exec_lo, exec_lo, s24
	s_delay_alu instid0(SALU_CYCLE_1)
	s_or_not1_b32 s22, s22, exec_lo
.LBB1000_366:
	s_or_b32 exec_lo, exec_lo, s23
	v_cndmask_b32_e64 v2, v9, v8, s22
	v_cndmask_b32_e64 v3, v16, v15, s22
	s_mov_b32 s23, exec_lo
	s_delay_alu instid0(VALU_DEP_2) | instskip(NEXT) | instid1(VALU_DEP_2)
	v_add_nc_u32_e32 v6, 1, v2
	v_add_nc_u32_e32 v2, -1, v3
	s_delay_alu instid0(VALU_DEP_2) | instskip(NEXT) | instid1(VALU_DEP_2)
	v_cndmask_b32_e64 v37, v6, v9, s22
	v_min_u32_e32 v2, v6, v2
	v_cndmask_b32_e64 v19, v8, v6, s22
	s_delay_alu instid0(VALU_DEP_2)
	v_lshlrev_b32_e32 v2, 3, v2
	ds_load_b64 v[2:3], v2
	s_waitcnt lgkmcnt(0)
	v_cndmask_b32_e64 v20, v3, v10, s22
	v_cndmask_b32_e64 v21, v2, v11, s22
	;; [unrolled: 1-line block ×4, first 2 shown]
	v_cmpx_lt_u32_e64 v37, v16
	s_cbranch_execz .LBB1000_374
; %bb.367:
	v_cmp_lt_u32_e64 s19, v19, v15
	s_xor_b32 s0, s12, -1
	s_delay_alu instid0(VALU_DEP_1) | instid1(SALU_CYCLE_1)
	s_and_b32 s0, s19, s0
	s_delay_alu instid0(SALU_CYCLE_1)
	s_and_saveexec_b32 s24, s0
	s_cbranch_execz .LBB1000_373
; %bb.368:
	v_mad_u64_u32 v[2:3], null, v21, s8, s[10:11]
	v_mul_lo_u32 v8, v21, s9
	v_mul_lo_u32 v9, v20, s8
	v_mad_u64_u32 v[6:7], null, v39, s8, s[10:11]
	v_mul_lo_u32 v40, v39, s9
	v_mul_lo_u32 v41, v38, s8
	s_mov_b32 s25, 0
	s_mov_b64 s[20:21], s[8:9]
                                        ; implicit-def: $sgpr26
                                        ; implicit-def: $sgpr27
                                        ; implicit-def: $sgpr28
                                        ; implicit-def: $sgpr29
                                        ; implicit-def: $sgpr30
	s_delay_alu instid0(VALU_DEP_4) | instskip(NEXT) | instid1(VALU_DEP_2)
	v_add3_u32 v3, v9, v3, v8
	v_add3_u32 v7, v41, v7, v40
	s_set_inst_prefetch_distance 0x1
	s_branch .LBB1000_370
	.p2align	6
.LBB1000_369:                           ;   in Loop: Header=BB1000_370 Depth=1
	s_or_b32 exec_lo, exec_lo, s0
	s_delay_alu instid0(SALU_CYCLE_1) | instskip(NEXT) | instid1(SALU_CYCLE_1)
	s_and_b32 s0, exec_lo, s27
	s_or_b32 s25, s0, s25
	s_and_not1_b32 s0, s30, exec_lo
	s_and_b32 s30, s29, exec_lo
	s_and_not1_b32 s26, s26, exec_lo
	s_and_b32 s31, s28, exec_lo
	s_or_b32 s30, s0, s30
	s_or_b32 s26, s26, s31
	s_and_not1_b32 exec_lo, exec_lo, s25
	s_cbranch_execz .LBB1000_372
.LBB1000_370:                           ; =>This Inner Loop Header: Depth=1
	global_load_u8 v8, v[2:3], off
	global_load_u8 v9, v[6:7], off
	s_and_not1_b32 s28, s28, exec_lo
	s_and_not1_b32 s29, s29, exec_lo
	s_or_b32 s27, s27, exec_lo
	s_waitcnt vmcnt(1)
	v_cmp_eq_u16_e32 vcc_lo, 0, v8
	s_waitcnt vmcnt(0)
	v_cmp_ne_u16_e64 s0, 0, v9
	s_delay_alu instid0(VALU_DEP_1) | instskip(SKIP_4) | instid1(SALU_CYCLE_1)
	s_or_b32 s31, vcc_lo, s0
	s_and_b32 s33, vcc_lo, s0
	s_and_b32 s31, s31, s30
	s_xor_b32 s34, vcc_lo, s0
	s_or_b32 s31, s33, s31
	s_and_b32 s33, s31, exec_lo
	s_delay_alu instid0(SALU_CYCLE_1)
	s_or_b32 s28, s28, s33
	s_and_saveexec_b32 s0, s34
	s_cbranch_execz .LBB1000_369
; %bb.371:                              ;   in Loop: Header=BB1000_370 Depth=1
	s_add_u32 s20, s20, -1
	s_addc_u32 s21, s21, -1
	v_add_co_u32 v2, vcc_lo, v2, 1
	s_cmp_eq_u64 s[20:21], 0
	v_add_co_ci_u32_e32 v3, vcc_lo, 0, v3, vcc_lo
	v_add_co_u32 v6, vcc_lo, v6, 1
	s_cselect_b32 s30, -1, 0
	v_add_co_ci_u32_e32 v7, vcc_lo, 0, v7, vcc_lo
	s_and_not1_b32 s29, s29, exec_lo
	s_and_b32 s31, s31, exec_lo
	s_and_not1_b32 s27, s27, exec_lo
	s_and_b32 s30, s30, exec_lo
	s_or_b32 s29, s29, s31
	s_and_not1_b32 s28, s28, exec_lo
	s_or_b32 s27, s27, s30
                                        ; implicit-def: $sgpr30
	s_branch .LBB1000_369
.LBB1000_372:
	s_set_inst_prefetch_distance 0x2
	s_or_b32 exec_lo, exec_lo, s25
	s_xor_b32 s0, s26, -1
	s_and_not1_b32 s19, s19, exec_lo
	s_and_b32 s0, s0, exec_lo
	s_delay_alu instid0(SALU_CYCLE_1)
	s_or_b32 s19, s19, s0
.LBB1000_373:
	s_or_b32 exec_lo, exec_lo, s24
	s_delay_alu instid0(SALU_CYCLE_1)
	s_or_not1_b32 s19, s19, exec_lo
.LBB1000_374:
	s_or_b32 exec_lo, exec_lo, s23
	v_cndmask_b32_e64 v2, v37, v19, s19
	v_cndmask_b32_e64 v3, v16, v15, s19
	;; [unrolled: 1-line block ×5, first 2 shown]
	v_add_nc_u32_e32 v40, 1, v2
	v_add_nc_u32_e32 v2, -1, v3
	v_cndmask_b32_e64 v3, v10, v17, s22
	v_cndmask_b32_e64 v4, v21, v39, s19
	s_mov_b32 s1, exec_lo
	v_cndmask_b32_e64 v10, v40, v37, s19
	v_min_u32_e32 v2, v40, v2
	s_delay_alu instid0(VALU_DEP_1)
	v_lshlrev_b32_e32 v2, 3, v2
	ds_load_b64 v[8:9], v2
	v_cndmask_b32_e64 v2, v11, v18, s22
	s_waitcnt lgkmcnt(0)
	v_cndmask_b32_e64 v7, v38, v9, s19
	v_cndmask_b32_e64 v6, v39, v8, s19
	v_cmpx_lt_u32_e64 v10, v16
	s_cbranch_execz .LBB1000_382
; %bb.375:
	v_cndmask_b32_e64 v10, v19, v40, s19
	v_cndmask_b32_e64 v16, v9, v20, s19
	;; [unrolled: 1-line block ×3, first 2 shown]
	s_delay_alu instid0(VALU_DEP_3) | instskip(NEXT) | instid1(VALU_DEP_2)
	v_cmp_ge_u32_e32 vcc_lo, v10, v15
	v_dual_cndmask_b32 v9, v7, v16 :: v_dual_cndmask_b32 v8, v6, v17
	s_or_b32 s0, vcc_lo, s12
	s_delay_alu instid0(SALU_CYCLE_1) | instskip(NEXT) | instid1(SALU_CYCLE_1)
	s_xor_b32 s0, s0, -1
	s_and_saveexec_b32 s19, s0
	s_cbranch_execz .LBB1000_381
; %bb.376:
	v_mad_u64_u32 v[8:9], null, v17, s8, s[10:11]
	v_mul_lo_u32 v15, v17, s9
	v_mul_lo_u32 v18, v16, s8
	v_mad_u64_u32 v[10:11], null, v6, s8, s[10:11]
	v_mul_lo_u32 v19, v6, s9
	v_mul_lo_u32 v20, v7, s8
	s_mov_b32 s22, 0
	s_mov_b64 s[20:21], s[8:9]
                                        ; implicit-def: $sgpr23
                                        ; implicit-def: $sgpr24
                                        ; implicit-def: $sgpr25
                                        ; implicit-def: $sgpr26
                                        ; implicit-def: $sgpr27
	s_delay_alu instid0(VALU_DEP_4) | instskip(NEXT) | instid1(VALU_DEP_2)
	v_add3_u32 v9, v18, v9, v15
	v_add3_u32 v11, v20, v11, v19
	s_set_inst_prefetch_distance 0x1
	s_branch .LBB1000_378
	.p2align	6
.LBB1000_377:                           ;   in Loop: Header=BB1000_378 Depth=1
	s_or_b32 exec_lo, exec_lo, s0
	s_delay_alu instid0(SALU_CYCLE_1) | instskip(NEXT) | instid1(SALU_CYCLE_1)
	s_and_b32 s0, exec_lo, s24
	s_or_b32 s22, s0, s22
	s_and_not1_b32 s0, s27, exec_lo
	s_and_b32 s27, s26, exec_lo
	s_and_not1_b32 s23, s23, exec_lo
	s_and_b32 s28, s25, exec_lo
	s_or_b32 s27, s0, s27
	s_or_b32 s23, s23, s28
	s_and_not1_b32 exec_lo, exec_lo, s22
	s_cbranch_execz .LBB1000_380
.LBB1000_378:                           ; =>This Inner Loop Header: Depth=1
	global_load_u8 v15, v[8:9], off
	global_load_u8 v18, v[10:11], off
	s_and_not1_b32 s25, s25, exec_lo
	s_and_not1_b32 s26, s26, exec_lo
	s_or_b32 s24, s24, exec_lo
	s_waitcnt vmcnt(1)
	v_cmp_eq_u16_e32 vcc_lo, 0, v15
	s_waitcnt vmcnt(0)
	v_cmp_ne_u16_e64 s0, 0, v18
	s_delay_alu instid0(VALU_DEP_1) | instskip(SKIP_4) | instid1(SALU_CYCLE_1)
	s_or_b32 s28, vcc_lo, s0
	s_and_b32 s29, vcc_lo, s0
	s_and_b32 s28, s28, s27
	s_xor_b32 s30, vcc_lo, s0
	s_or_b32 s28, s29, s28
	s_and_b32 s29, s28, exec_lo
	s_delay_alu instid0(SALU_CYCLE_1)
	s_or_b32 s25, s25, s29
	s_and_saveexec_b32 s0, s30
	s_cbranch_execz .LBB1000_377
; %bb.379:                              ;   in Loop: Header=BB1000_378 Depth=1
	s_add_u32 s20, s20, -1
	s_addc_u32 s21, s21, -1
	v_add_co_u32 v8, vcc_lo, v8, 1
	s_cmp_eq_u64 s[20:21], 0
	v_add_co_ci_u32_e32 v9, vcc_lo, 0, v9, vcc_lo
	v_add_co_u32 v10, vcc_lo, v10, 1
	s_cselect_b32 s27, -1, 0
	v_add_co_ci_u32_e32 v11, vcc_lo, 0, v11, vcc_lo
	s_and_not1_b32 s26, s26, exec_lo
	s_and_b32 s28, s28, exec_lo
	s_and_not1_b32 s24, s24, exec_lo
	s_and_b32 s27, s27, exec_lo
	s_or_b32 s26, s26, s28
	s_and_not1_b32 s25, s25, exec_lo
	s_or_b32 s24, s24, s27
                                        ; implicit-def: $sgpr27
	s_branch .LBB1000_377
.LBB1000_380:
	s_set_inst_prefetch_distance 0x2
	s_or_b32 exec_lo, exec_lo, s22
	v_cndmask_b32_e64 v9, v7, v16, s23
	v_cndmask_b32_e64 v8, v6, v17, s23
.LBB1000_381:
	s_or_b32 exec_lo, exec_lo, s19
	s_delay_alu instid0(VALU_DEP_1)
	v_dual_mov_b32 v6, v8 :: v_dual_mov_b32 v7, v9
.LBB1000_382:
	s_or_b32 exec_lo, exec_lo, s1
.LBB1000_383:
	s_delay_alu instid0(SALU_CYCLE_1) | instskip(SKIP_4) | instid1(VALU_DEP_2)
	s_or_b32 exec_lo, exec_lo, s17
	v_and_b32_e32 v18, 0xc00, v23
	v_and_b32_e32 v19, 0x3fc, v23
	s_mov_b32 s1, exec_lo
	s_barrier
	v_or_b32_e32 v8, 0x200, v18
	v_lshlrev_b32_e32 v17, 3, v18
	buffer_gl0_inv
	ds_store_b128 v14, v[0:3]
	ds_store_b128 v14, v[4:7] offset:16
	s_waitcnt lgkmcnt(0)
	v_min_u32_e32 v15, 0x400, v8
	s_barrier
	buffer_gl0_inv
	v_sub_nc_u32_e32 v8, 0x400, v15
	v_sub_nc_u32_e32 v9, v15, v18
	s_delay_alu instid0(VALU_DEP_2) | instskip(NEXT) | instid1(VALU_DEP_2)
	v_sub_nc_u32_e64 v16, v19, v8 clamp
	v_min_u32_e32 v20, v19, v9
	s_delay_alu instid0(VALU_DEP_1)
	v_cmpx_lt_u32_e64 v16, v20
	s_cbranch_execz .LBB1000_393
; %bb.384:
	v_lshlrev_b32_e32 v8, 3, v19
	s_mov_b32 s17, 0
	s_delay_alu instid0(VALU_DEP_1)
	v_lshl_add_u32 v14, v15, 3, v8
	s_branch .LBB1000_387
.LBB1000_385:                           ;   in Loop: Header=BB1000_387 Depth=1
	s_set_inst_prefetch_distance 0x2
	s_or_b32 exec_lo, exec_lo, s19
.LBB1000_386:                           ;   in Loop: Header=BB1000_387 Depth=1
	s_delay_alu instid0(VALU_DEP_1) | instskip(SKIP_1) | instid1(VALU_DEP_2)
	v_add_nc_u32_e32 v8, 1, v21
	v_cndmask_b32_e64 v20, v20, v21, s22
	v_cndmask_b32_e64 v16, v8, v16, s22
	s_delay_alu instid0(VALU_DEP_1) | instskip(SKIP_1) | instid1(SALU_CYCLE_1)
	v_cmp_ge_u32_e32 vcc_lo, v16, v20
	s_or_b32 s17, vcc_lo, s17
	s_and_not1_b32 exec_lo, exec_lo, s17
	s_cbranch_execz .LBB1000_392
.LBB1000_387:                           ; =>This Loop Header: Depth=1
                                        ;     Child Loop BB1000_390 Depth 2
	v_add_nc_u32_e32 v8, v20, v16
	v_cmp_ne_u32_e32 vcc_lo, 1, v36
	s_mov_b32 s22, 0
	s_delay_alu instid0(VALU_DEP_2)
	v_lshrrev_b32_e32 v21, 1, v8
	s_cbranch_vccnz .LBB1000_386
; %bb.388:                              ;   in Loop: Header=BB1000_387 Depth=1
	s_delay_alu instid0(VALU_DEP_1) | instskip(SKIP_3) | instid1(VALU_DEP_2)
	v_not_b32_e32 v8, v21
	v_lshl_add_u32 v9, v21, 3, v17
	s_mov_b32 s19, 0
	s_mov_b64 s[20:21], s[8:9]
                                        ; implicit-def: $sgpr22
                                        ; implicit-def: $sgpr23
                                        ; implicit-def: $sgpr24
                                        ; implicit-def: $sgpr25
                                        ; implicit-def: $sgpr26
	v_lshl_add_u32 v8, v8, 3, v14
	ds_load_b64 v[10:11], v8
	ds_load_b64 v[37:38], v9
	s_waitcnt lgkmcnt(1)
	v_mul_lo_u32 v39, v10, s9
	v_mul_lo_u32 v40, v11, s8
	v_mad_u64_u32 v[8:9], null, v10, s8, s[10:11]
	s_waitcnt lgkmcnt(0)
	v_mul_lo_u32 v41, v37, s9
	v_mul_lo_u32 v38, v38, s8
	v_mad_u64_u32 v[10:11], null, v37, s8, s[10:11]
	s_delay_alu instid0(VALU_DEP_4) | instskip(NEXT) | instid1(VALU_DEP_2)
	v_add3_u32 v9, v40, v9, v39
	v_add3_u32 v11, v38, v11, v41
	s_set_inst_prefetch_distance 0x1
	s_branch .LBB1000_390
	.p2align	6
.LBB1000_389:                           ;   in Loop: Header=BB1000_390 Depth=2
	s_or_b32 exec_lo, exec_lo, s0
	s_delay_alu instid0(SALU_CYCLE_1) | instskip(NEXT) | instid1(SALU_CYCLE_1)
	s_and_b32 s0, exec_lo, s23
	s_or_b32 s19, s0, s19
	s_and_not1_b32 s0, s26, exec_lo
	s_and_b32 s26, s24, exec_lo
	s_and_not1_b32 s22, s22, exec_lo
	s_and_b32 s27, s25, exec_lo
	s_or_b32 s26, s0, s26
	s_or_b32 s22, s22, s27
	s_and_not1_b32 exec_lo, exec_lo, s19
	s_cbranch_execz .LBB1000_385
.LBB1000_390:                           ;   Parent Loop BB1000_387 Depth=1
                                        ; =>  This Inner Loop Header: Depth=2
	global_load_u8 v37, v[8:9], off
	global_load_u8 v38, v[10:11], off
	s_and_not1_b32 s25, s25, exec_lo
	s_and_not1_b32 s24, s24, exec_lo
	s_or_b32 s23, s23, exec_lo
	s_waitcnt vmcnt(1)
	v_cmp_eq_u16_e32 vcc_lo, 0, v37
	s_waitcnt vmcnt(0)
	v_cmp_ne_u16_e64 s0, 0, v38
	s_delay_alu instid0(VALU_DEP_1) | instskip(SKIP_4) | instid1(SALU_CYCLE_1)
	s_or_b32 s27, vcc_lo, s0
	s_and_b32 s28, vcc_lo, s0
	s_and_b32 s27, s27, s26
	s_xor_b32 s29, vcc_lo, s0
	s_or_b32 s27, s28, s27
	s_and_b32 s28, s27, exec_lo
	s_delay_alu instid0(SALU_CYCLE_1)
	s_or_b32 s25, s25, s28
	s_and_saveexec_b32 s0, s29
	s_cbranch_execz .LBB1000_389
; %bb.391:                              ;   in Loop: Header=BB1000_390 Depth=2
	s_add_u32 s20, s20, -1
	s_addc_u32 s21, s21, -1
	v_add_co_u32 v8, vcc_lo, v8, 1
	v_add_co_ci_u32_e32 v9, vcc_lo, 0, v9, vcc_lo
	s_cmp_eq_u64 s[20:21], 0
	v_add_co_u32 v10, vcc_lo, v10, 1
	s_cselect_b32 s26, -1, 0
	v_add_co_ci_u32_e32 v11, vcc_lo, 0, v11, vcc_lo
	s_and_not1_b32 s24, s24, exec_lo
	s_and_b32 s27, s27, exec_lo
	s_and_not1_b32 s23, s23, exec_lo
	s_and_b32 s26, s26, exec_lo
	s_and_not1_b32 s25, s25, exec_lo
	s_or_b32 s24, s24, s27
	s_or_b32 s23, s23, s26
                                        ; implicit-def: $sgpr26
	s_branch .LBB1000_389
.LBB1000_392:
	s_or_b32 exec_lo, exec_lo, s17
.LBB1000_393:
	s_delay_alu instid0(SALU_CYCLE_1) | instskip(SKIP_2) | instid1(VALU_DEP_2)
	s_or_b32 exec_lo, exec_lo, s1
	v_sub_nc_u32_e32 v8, v19, v16
	v_add_nc_u32_e32 v9, v16, v18
	v_add_nc_u32_e32 v10, v8, v15
	s_delay_alu instid0(VALU_DEP_2) | instskip(NEXT) | instid1(VALU_DEP_2)
	v_cmp_le_u32_e32 vcc_lo, v9, v15
	v_cmp_gt_u32_e64 s0, 0x401, v10
	s_delay_alu instid0(VALU_DEP_1) | instskip(NEXT) | instid1(SALU_CYCLE_1)
	s_or_b32 s0, vcc_lo, s0
	s_and_saveexec_b32 s17, s0
	s_cbranch_execz .LBB1000_429
; %bb.394:
	v_cmp_ge_u32_e32 vcc_lo, v9, v15
	s_mov_b32 s1, exec_lo
                                        ; implicit-def: $vgpr0_vgpr1
	v_cmpx_lt_u32_e64 v9, v15
	s_cbranch_execz .LBB1000_396
; %bb.395:
	v_lshl_add_u32 v0, v16, 3, v17
	ds_load_b64 v[0:1], v0
.LBB1000_396:
	s_or_b32 exec_lo, exec_lo, s1
	v_cmp_lt_u32_e64 s0, 0x3ff, v10
	s_mov_b32 s19, exec_lo
                                        ; implicit-def: $vgpr4_vgpr5
	v_cmpx_gt_u32_e32 0x400, v10
	s_cbranch_execz .LBB1000_398
; %bb.397:
	v_lshlrev_b32_e32 v2, 3, v10
	ds_load_b64 v[4:5], v2
.LBB1000_398:
	s_or_b32 exec_lo, exec_lo, s19
	s_or_b32 s1, vcc_lo, s0
	s_xor_b32 s19, vcc_lo, -1
	s_or_b32 s1, s1, s12
	s_delay_alu instid0(SALU_CYCLE_1)
	s_xor_b32 s20, s1, -1
	s_or_b32 s1, s0, s19
	s_and_saveexec_b32 s19, s20
	s_cbranch_execz .LBB1000_404
; %bb.399:
	s_waitcnt lgkmcnt(0)
	v_mad_u64_u32 v[2:3], null, v4, s8, s[10:11]
	v_mul_lo_u32 v8, v4, s9
	v_mul_lo_u32 v11, v5, s8
	v_mad_u64_u32 v[6:7], null, v0, s8, s[10:11]
	v_mul_lo_u32 v14, v0, s9
	v_mul_lo_u32 v16, v1, s8
	s_mov_b32 s22, 0
	s_mov_b64 s[20:21], s[8:9]
                                        ; implicit-def: $sgpr23
                                        ; implicit-def: $sgpr24
                                        ; implicit-def: $sgpr25
                                        ; implicit-def: $sgpr26
                                        ; implicit-def: $sgpr27
	s_delay_alu instid0(VALU_DEP_4) | instskip(NEXT) | instid1(VALU_DEP_2)
	v_add3_u32 v3, v11, v3, v8
	v_add3_u32 v7, v16, v7, v14
	s_set_inst_prefetch_distance 0x1
	s_branch .LBB1000_401
	.p2align	6
.LBB1000_400:                           ;   in Loop: Header=BB1000_401 Depth=1
	s_or_b32 exec_lo, exec_lo, s0
	s_delay_alu instid0(SALU_CYCLE_1) | instskip(NEXT) | instid1(SALU_CYCLE_1)
	s_and_b32 s0, exec_lo, s24
	s_or_b32 s22, s0, s22
	s_and_not1_b32 s0, s27, exec_lo
	s_and_b32 s27, s26, exec_lo
	s_and_not1_b32 s23, s23, exec_lo
	s_and_b32 s28, s25, exec_lo
	s_or_b32 s27, s0, s27
	s_or_b32 s23, s23, s28
	s_and_not1_b32 exec_lo, exec_lo, s22
	s_cbranch_execz .LBB1000_403
.LBB1000_401:                           ; =>This Inner Loop Header: Depth=1
	global_load_u8 v8, v[2:3], off
	global_load_u8 v11, v[6:7], off
	s_and_not1_b32 s25, s25, exec_lo
	s_and_not1_b32 s26, s26, exec_lo
	s_or_b32 s24, s24, exec_lo
	s_waitcnt vmcnt(1)
	v_cmp_eq_u16_e32 vcc_lo, 0, v8
	s_waitcnt vmcnt(0)
	v_cmp_ne_u16_e64 s0, 0, v11
	s_delay_alu instid0(VALU_DEP_1) | instskip(SKIP_4) | instid1(SALU_CYCLE_1)
	s_or_b32 s28, vcc_lo, s0
	s_and_b32 s29, vcc_lo, s0
	s_and_b32 s28, s28, s27
	s_xor_b32 s30, vcc_lo, s0
	s_or_b32 s28, s29, s28
	s_and_b32 s29, s28, exec_lo
	s_delay_alu instid0(SALU_CYCLE_1)
	s_or_b32 s25, s25, s29
	s_and_saveexec_b32 s0, s30
	s_cbranch_execz .LBB1000_400
; %bb.402:                              ;   in Loop: Header=BB1000_401 Depth=1
	s_add_u32 s20, s20, -1
	s_addc_u32 s21, s21, -1
	v_add_co_u32 v2, vcc_lo, v2, 1
	s_cmp_eq_u64 s[20:21], 0
	v_add_co_ci_u32_e32 v3, vcc_lo, 0, v3, vcc_lo
	v_add_co_u32 v6, vcc_lo, v6, 1
	s_cselect_b32 s27, -1, 0
	v_add_co_ci_u32_e32 v7, vcc_lo, 0, v7, vcc_lo
	s_and_not1_b32 s26, s26, exec_lo
	s_and_b32 s28, s28, exec_lo
	s_and_not1_b32 s24, s24, exec_lo
	s_and_b32 s27, s27, exec_lo
	s_or_b32 s26, s26, s28
	s_and_not1_b32 s25, s25, exec_lo
	s_or_b32 s24, s24, s27
                                        ; implicit-def: $sgpr27
	s_branch .LBB1000_400
.LBB1000_403:
	s_set_inst_prefetch_distance 0x2
	s_or_b32 exec_lo, exec_lo, s22
	s_xor_b32 s0, s23, -1
	s_and_not1_b32 s1, s1, exec_lo
	s_and_b32 s0, s0, exec_lo
	s_delay_alu instid0(SALU_CYCLE_1)
	s_or_b32 s1, s1, s0
.LBB1000_404:
	s_or_b32 exec_lo, exec_lo, s19
	v_cndmask_b32_e64 v2, v10, v9, s1
	v_add_nc_u32_e32 v8, -1, v15
	s_mov_b32 s19, -1
	s_mov_b32 s22, -1
	s_mov_b32 s23, exec_lo
	v_add_nc_u32_e32 v6, 1, v2
	v_cndmask_b32_e64 v2, 0x3ff, v8, s1
	s_delay_alu instid0(VALU_DEP_2) | instskip(NEXT) | instid1(VALU_DEP_2)
	v_cndmask_b32_e64 v17, v6, v10, s1
	v_min_u32_e32 v2, v6, v2
	v_cndmask_b32_e64 v9, v9, v6, s1
	s_delay_alu instid0(VALU_DEP_2)
	v_lshlrev_b32_e32 v2, 3, v2
	ds_load_b64 v[2:3], v2
	s_waitcnt lgkmcnt(0)
	v_cndmask_b32_e64 v10, v3, v5, s1
	v_cndmask_b32_e64 v11, v2, v4, s1
	;; [unrolled: 1-line block ×4, first 2 shown]
	v_cmpx_gt_u32_e32 0x400, v17
	s_cbranch_execz .LBB1000_412
; %bb.405:
	v_cmp_lt_u32_e64 s22, v9, v15
	s_xor_b32 s0, s12, -1
	s_delay_alu instid0(VALU_DEP_1) | instid1(SALU_CYCLE_1)
	s_and_b32 s0, s22, s0
	s_delay_alu instid0(SALU_CYCLE_1)
	s_and_saveexec_b32 s24, s0
	s_cbranch_execz .LBB1000_411
; %bb.406:
	v_mad_u64_u32 v[2:3], null, v11, s8, s[10:11]
	v_mul_lo_u32 v18, v11, s9
	v_mul_lo_u32 v19, v10, s8
	v_mad_u64_u32 v[6:7], null, v16, s8, s[10:11]
	v_mul_lo_u32 v20, v16, s9
	v_mul_lo_u32 v21, v14, s8
	s_mov_b32 s25, 0
	s_mov_b64 s[20:21], s[8:9]
                                        ; implicit-def: $sgpr26
                                        ; implicit-def: $sgpr27
                                        ; implicit-def: $sgpr28
                                        ; implicit-def: $sgpr29
                                        ; implicit-def: $sgpr30
	s_delay_alu instid0(VALU_DEP_4) | instskip(NEXT) | instid1(VALU_DEP_2)
	v_add3_u32 v3, v19, v3, v18
	v_add3_u32 v7, v21, v7, v20
	s_set_inst_prefetch_distance 0x1
	s_branch .LBB1000_408
	.p2align	6
.LBB1000_407:                           ;   in Loop: Header=BB1000_408 Depth=1
	s_or_b32 exec_lo, exec_lo, s0
	s_delay_alu instid0(SALU_CYCLE_1) | instskip(NEXT) | instid1(SALU_CYCLE_1)
	s_and_b32 s0, exec_lo, s27
	s_or_b32 s25, s0, s25
	s_and_not1_b32 s0, s30, exec_lo
	s_and_b32 s30, s29, exec_lo
	s_and_not1_b32 s26, s26, exec_lo
	s_and_b32 s31, s28, exec_lo
	s_or_b32 s30, s0, s30
	s_or_b32 s26, s26, s31
	s_and_not1_b32 exec_lo, exec_lo, s25
	s_cbranch_execz .LBB1000_410
.LBB1000_408:                           ; =>This Inner Loop Header: Depth=1
	global_load_u8 v18, v[2:3], off
	global_load_u8 v19, v[6:7], off
	s_and_not1_b32 s28, s28, exec_lo
	s_and_not1_b32 s29, s29, exec_lo
	s_or_b32 s27, s27, exec_lo
	s_waitcnt vmcnt(1)
	v_cmp_eq_u16_e32 vcc_lo, 0, v18
	s_waitcnt vmcnt(0)
	v_cmp_ne_u16_e64 s0, 0, v19
	s_delay_alu instid0(VALU_DEP_1) | instskip(SKIP_4) | instid1(SALU_CYCLE_1)
	s_or_b32 s31, vcc_lo, s0
	s_and_b32 s33, vcc_lo, s0
	s_and_b32 s31, s31, s30
	s_xor_b32 s34, vcc_lo, s0
	s_or_b32 s31, s33, s31
	s_and_b32 s33, s31, exec_lo
	s_delay_alu instid0(SALU_CYCLE_1)
	s_or_b32 s28, s28, s33
	s_and_saveexec_b32 s0, s34
	s_cbranch_execz .LBB1000_407
; %bb.409:                              ;   in Loop: Header=BB1000_408 Depth=1
	s_add_u32 s20, s20, -1
	s_addc_u32 s21, s21, -1
	v_add_co_u32 v2, vcc_lo, v2, 1
	s_cmp_eq_u64 s[20:21], 0
	v_add_co_ci_u32_e32 v3, vcc_lo, 0, v3, vcc_lo
	v_add_co_u32 v6, vcc_lo, v6, 1
	s_cselect_b32 s30, -1, 0
	v_add_co_ci_u32_e32 v7, vcc_lo, 0, v7, vcc_lo
	s_and_not1_b32 s29, s29, exec_lo
	s_and_b32 s31, s31, exec_lo
	s_and_not1_b32 s27, s27, exec_lo
	s_and_b32 s30, s30, exec_lo
	s_or_b32 s29, s29, s31
	s_and_not1_b32 s28, s28, exec_lo
	s_or_b32 s27, s27, s30
                                        ; implicit-def: $sgpr30
	s_branch .LBB1000_407
.LBB1000_410:
	s_set_inst_prefetch_distance 0x2
	s_or_b32 exec_lo, exec_lo, s25
	s_xor_b32 s0, s26, -1
	s_and_not1_b32 s20, s22, exec_lo
	s_and_b32 s0, s0, exec_lo
	s_delay_alu instid0(SALU_CYCLE_1)
	s_or_b32 s22, s20, s0
.LBB1000_411:
	s_or_b32 exec_lo, exec_lo, s24
	s_delay_alu instid0(SALU_CYCLE_1)
	s_or_not1_b32 s22, s22, exec_lo
.LBB1000_412:
	s_or_b32 exec_lo, exec_lo, s23
	v_cndmask_b32_e64 v2, v17, v9, s22
	v_cndmask_b32_e64 v3, 0x3ff, v8, s22
	s_mov_b32 s23, exec_lo
	s_delay_alu instid0(VALU_DEP_2) | instskip(NEXT) | instid1(VALU_DEP_1)
	v_add_nc_u32_e32 v6, 1, v2
	v_min_u32_e32 v2, v6, v3
	v_cndmask_b32_e64 v20, v6, v17, s22
	v_cndmask_b32_e64 v17, v9, v6, s22
	s_delay_alu instid0(VALU_DEP_3)
	v_lshlrev_b32_e32 v2, 3, v2
	ds_load_b64 v[2:3], v2
	s_waitcnt lgkmcnt(0)
	v_cndmask_b32_e64 v18, v3, v10, s22
	v_cndmask_b32_e64 v19, v2, v11, s22
	;; [unrolled: 1-line block ×4, first 2 shown]
	v_cmpx_gt_u32_e32 0x400, v20
	s_cbranch_execz .LBB1000_420
; %bb.413:
	v_cmp_lt_u32_e64 s19, v17, v15
	s_xor_b32 s0, s12, -1
	s_delay_alu instid0(VALU_DEP_1) | instid1(SALU_CYCLE_1)
	s_and_b32 s0, s19, s0
	s_delay_alu instid0(SALU_CYCLE_1)
	s_and_saveexec_b32 s24, s0
	s_cbranch_execz .LBB1000_419
; %bb.414:
	v_mad_u64_u32 v[2:3], null, v19, s8, s[10:11]
	v_mul_lo_u32 v9, v19, s9
	v_mul_lo_u32 v37, v18, s8
	v_mad_u64_u32 v[6:7], null, v36, s8, s[10:11]
	v_mul_lo_u32 v38, v36, s9
	v_mul_lo_u32 v39, v21, s8
	s_mov_b32 s25, 0
	s_mov_b64 s[20:21], s[8:9]
                                        ; implicit-def: $sgpr26
                                        ; implicit-def: $sgpr27
                                        ; implicit-def: $sgpr28
                                        ; implicit-def: $sgpr29
                                        ; implicit-def: $sgpr30
	s_delay_alu instid0(VALU_DEP_4) | instskip(NEXT) | instid1(VALU_DEP_2)
	v_add3_u32 v3, v37, v3, v9
	v_add3_u32 v7, v39, v7, v38
	s_set_inst_prefetch_distance 0x1
	s_branch .LBB1000_416
	.p2align	6
.LBB1000_415:                           ;   in Loop: Header=BB1000_416 Depth=1
	s_or_b32 exec_lo, exec_lo, s0
	s_delay_alu instid0(SALU_CYCLE_1) | instskip(NEXT) | instid1(SALU_CYCLE_1)
	s_and_b32 s0, exec_lo, s27
	s_or_b32 s25, s0, s25
	s_and_not1_b32 s0, s30, exec_lo
	s_and_b32 s30, s29, exec_lo
	s_and_not1_b32 s26, s26, exec_lo
	s_and_b32 s31, s28, exec_lo
	s_or_b32 s30, s0, s30
	s_or_b32 s26, s26, s31
	s_and_not1_b32 exec_lo, exec_lo, s25
	s_cbranch_execz .LBB1000_418
.LBB1000_416:                           ; =>This Inner Loop Header: Depth=1
	global_load_u8 v9, v[2:3], off
	global_load_u8 v37, v[6:7], off
	s_and_not1_b32 s28, s28, exec_lo
	s_and_not1_b32 s29, s29, exec_lo
	s_or_b32 s27, s27, exec_lo
	s_waitcnt vmcnt(1)
	v_cmp_eq_u16_e32 vcc_lo, 0, v9
	s_waitcnt vmcnt(0)
	v_cmp_ne_u16_e64 s0, 0, v37
	s_delay_alu instid0(VALU_DEP_1) | instskip(SKIP_4) | instid1(SALU_CYCLE_1)
	s_or_b32 s31, vcc_lo, s0
	s_and_b32 s33, vcc_lo, s0
	s_and_b32 s31, s31, s30
	s_xor_b32 s34, vcc_lo, s0
	s_or_b32 s31, s33, s31
	s_and_b32 s33, s31, exec_lo
	s_delay_alu instid0(SALU_CYCLE_1)
	s_or_b32 s28, s28, s33
	s_and_saveexec_b32 s0, s34
	s_cbranch_execz .LBB1000_415
; %bb.417:                              ;   in Loop: Header=BB1000_416 Depth=1
	s_add_u32 s20, s20, -1
	s_addc_u32 s21, s21, -1
	v_add_co_u32 v2, vcc_lo, v2, 1
	s_cmp_eq_u64 s[20:21], 0
	v_add_co_ci_u32_e32 v3, vcc_lo, 0, v3, vcc_lo
	v_add_co_u32 v6, vcc_lo, v6, 1
	s_cselect_b32 s30, -1, 0
	v_add_co_ci_u32_e32 v7, vcc_lo, 0, v7, vcc_lo
	s_and_not1_b32 s29, s29, exec_lo
	s_and_b32 s31, s31, exec_lo
	s_and_not1_b32 s27, s27, exec_lo
	s_and_b32 s30, s30, exec_lo
	s_or_b32 s29, s29, s31
	s_and_not1_b32 s28, s28, exec_lo
	s_or_b32 s27, s27, s30
                                        ; implicit-def: $sgpr30
	s_branch .LBB1000_415
.LBB1000_418:
	s_set_inst_prefetch_distance 0x2
	s_or_b32 exec_lo, exec_lo, s25
	s_xor_b32 s0, s26, -1
	s_and_not1_b32 s19, s19, exec_lo
	s_and_b32 s0, s0, exec_lo
	s_delay_alu instid0(SALU_CYCLE_1)
	s_or_b32 s19, s19, s0
.LBB1000_419:
	s_or_b32 exec_lo, exec_lo, s24
	s_delay_alu instid0(SALU_CYCLE_1)
	s_or_not1_b32 s19, s19, exec_lo
.LBB1000_420:
	s_or_b32 exec_lo, exec_lo, s23
	v_cndmask_b32_e64 v2, v20, v17, s19
	v_cndmask_b32_e64 v3, 0x3ff, v8, s19
	;; [unrolled: 1-line block ×5, first 2 shown]
	v_add_nc_u32_e32 v37, 1, v2
	v_cndmask_b32_e64 v4, v19, v36, s19
	s_mov_b32 s1, exec_lo
	s_delay_alu instid0(VALU_DEP_2) | instskip(SKIP_2) | instid1(VALU_DEP_3)
	v_min_u32_e32 v2, v37, v3
	v_cndmask_b32_e64 v3, v10, v14, s22
	v_cndmask_b32_e64 v10, v37, v20, s19
	v_lshlrev_b32_e32 v2, 3, v2
	ds_load_b64 v[8:9], v2
	v_cndmask_b32_e64 v2, v11, v16, s22
	s_waitcnt lgkmcnt(0)
	v_cndmask_b32_e64 v7, v21, v9, s19
	v_cndmask_b32_e64 v6, v36, v8, s19
	v_cmpx_gt_u32_e32 0x400, v10
	s_cbranch_execz .LBB1000_428
; %bb.421:
	v_cndmask_b32_e64 v10, v17, v37, s19
	v_cndmask_b32_e64 v14, v9, v18, s19
	;; [unrolled: 1-line block ×3, first 2 shown]
	s_delay_alu instid0(VALU_DEP_3) | instskip(NEXT) | instid1(VALU_DEP_2)
	v_cmp_ge_u32_e32 vcc_lo, v10, v15
	v_dual_cndmask_b32 v9, v7, v14 :: v_dual_cndmask_b32 v8, v6, v16
	s_or_b32 s0, vcc_lo, s12
	s_delay_alu instid0(SALU_CYCLE_1) | instskip(NEXT) | instid1(SALU_CYCLE_1)
	s_xor_b32 s0, s0, -1
	s_and_saveexec_b32 s12, s0
	s_cbranch_execz .LBB1000_427
; %bb.422:
	v_mad_u64_u32 v[8:9], null, v16, s8, s[10:11]
	v_mul_lo_u32 v15, v16, s9
	v_mul_lo_u32 v17, v14, s8
	v_mad_u64_u32 v[10:11], null, v6, s8, s[10:11]
	v_mul_lo_u32 v18, v6, s9
	v_mul_lo_u32 v19, v7, s8
	s_mov_b32 s19, 0
	s_mov_b64 s[20:21], s[8:9]
                                        ; implicit-def: $sgpr22
                                        ; implicit-def: $sgpr23
                                        ; implicit-def: $sgpr24
                                        ; implicit-def: $sgpr25
                                        ; implicit-def: $sgpr26
	s_delay_alu instid0(VALU_DEP_4) | instskip(NEXT) | instid1(VALU_DEP_2)
	v_add3_u32 v9, v17, v9, v15
	v_add3_u32 v11, v19, v11, v18
	s_set_inst_prefetch_distance 0x1
	s_branch .LBB1000_424
	.p2align	6
.LBB1000_423:                           ;   in Loop: Header=BB1000_424 Depth=1
	s_or_b32 exec_lo, exec_lo, s0
	s_delay_alu instid0(SALU_CYCLE_1) | instskip(NEXT) | instid1(SALU_CYCLE_1)
	s_and_b32 s0, exec_lo, s23
	s_or_b32 s19, s0, s19
	s_and_not1_b32 s0, s26, exec_lo
	s_and_b32 s26, s25, exec_lo
	s_and_not1_b32 s22, s22, exec_lo
	s_and_b32 s27, s24, exec_lo
	s_or_b32 s26, s0, s26
	s_or_b32 s22, s22, s27
	s_and_not1_b32 exec_lo, exec_lo, s19
	s_cbranch_execz .LBB1000_426
.LBB1000_424:                           ; =>This Inner Loop Header: Depth=1
	global_load_u8 v15, v[8:9], off
	global_load_u8 v17, v[10:11], off
	s_and_not1_b32 s24, s24, exec_lo
	s_and_not1_b32 s25, s25, exec_lo
	s_or_b32 s23, s23, exec_lo
	s_waitcnt vmcnt(1)
	v_cmp_eq_u16_e32 vcc_lo, 0, v15
	s_waitcnt vmcnt(0)
	v_cmp_ne_u16_e64 s0, 0, v17
	s_delay_alu instid0(VALU_DEP_1) | instskip(SKIP_4) | instid1(SALU_CYCLE_1)
	s_or_b32 s27, vcc_lo, s0
	s_and_b32 s28, vcc_lo, s0
	s_and_b32 s27, s27, s26
	s_xor_b32 s29, vcc_lo, s0
	s_or_b32 s27, s28, s27
	s_and_b32 s28, s27, exec_lo
	s_delay_alu instid0(SALU_CYCLE_1)
	s_or_b32 s24, s24, s28
	s_and_saveexec_b32 s0, s29
	s_cbranch_execz .LBB1000_423
; %bb.425:                              ;   in Loop: Header=BB1000_424 Depth=1
	s_add_u32 s20, s20, -1
	s_addc_u32 s21, s21, -1
	v_add_co_u32 v8, vcc_lo, v8, 1
	s_cmp_eq_u64 s[20:21], 0
	v_add_co_ci_u32_e32 v9, vcc_lo, 0, v9, vcc_lo
	v_add_co_u32 v10, vcc_lo, v10, 1
	s_cselect_b32 s26, -1, 0
	v_add_co_ci_u32_e32 v11, vcc_lo, 0, v11, vcc_lo
	s_and_not1_b32 s25, s25, exec_lo
	s_and_b32 s27, s27, exec_lo
	s_and_not1_b32 s23, s23, exec_lo
	s_and_b32 s26, s26, exec_lo
	s_or_b32 s25, s25, s27
	s_and_not1_b32 s24, s24, exec_lo
	s_or_b32 s23, s23, s26
                                        ; implicit-def: $sgpr26
	s_branch .LBB1000_423
.LBB1000_426:
	s_set_inst_prefetch_distance 0x2
	s_or_b32 exec_lo, exec_lo, s19
	v_cndmask_b32_e64 v9, v7, v14, s22
	v_cndmask_b32_e64 v8, v6, v16, s22
.LBB1000_427:
	s_or_b32 exec_lo, exec_lo, s12
	s_delay_alu instid0(VALU_DEP_1)
	v_dual_mov_b32 v6, v8 :: v_dual_mov_b32 v7, v9
.LBB1000_428:
	s_or_b32 exec_lo, exec_lo, s1
.LBB1000_429:
	s_delay_alu instid0(SALU_CYCLE_1)
	s_or_b32 exec_lo, exec_lo, s17
	s_barrier
	buffer_gl0_inv
	s_barrier
	buffer_gl0_inv
	ds_store_2addr_b64 v35, v[0:1], v[2:3] offset1:1
	ds_store_2addr_b64 v35, v[4:5], v[6:7] offset0:2 offset1:3
	s_waitcnt lgkmcnt(0)
	s_barrier
	buffer_gl0_inv
	ds_load_b64 v[2:3], v34 offset:2048
	ds_load_b64 v[4:5], v31
	ds_load_b64 v[6:7], v32 offset:4096
	ds_load_b64 v[0:1], v33 offset:6144
	v_add_co_u32 v8, s0, s6, v22
	s_delay_alu instid0(VALU_DEP_1) | instskip(NEXT) | instid1(VALU_DEP_2)
	v_add_co_ci_u32_e64 v9, null, s7, 0, s0
	v_add_co_u32 v8, vcc_lo, 0x1000, v8
	s_delay_alu instid0(VALU_DEP_2)
	v_add_co_ci_u32_e32 v9, vcc_lo, 0, v9, vcc_lo
	s_mov_b32 s12, -1
	s_waitcnt lgkmcnt(3)
	global_store_b64 v22, v[2:3], s[6:7] offset:2048
	s_waitcnt lgkmcnt(2)
	global_store_b64 v22, v[4:5], s[6:7]
	s_waitcnt lgkmcnt(1)
	global_store_b64 v[8:9], v[6:7], off
	s_branch .LBB1000_724
.LBB1000_430:
	s_lshl_b64 s[0:1], s[2:3], 10
                                        ; implicit-def: $vgpr0_vgpr1_vgpr2_vgpr3_vgpr4_vgpr5_vgpr6_vgpr7
	s_delay_alu instid0(SALU_CYCLE_1) | instskip(NEXT) | instid1(SALU_CYCLE_1)
	s_sub_i32 s17, s18, s0
	v_cmp_gt_u32_e64 s0, s17, v12
	s_delay_alu instid0(VALU_DEP_1)
	s_and_saveexec_b32 s1, s0
	s_cbranch_execnz .LBB1000_440
; %bb.431:
	s_or_b32 exec_lo, exec_lo, s1
	v_cmp_gt_u32_e64 s1, s17, v30
	s_delay_alu instid0(VALU_DEP_1)
	s_and_saveexec_b32 s2, s1
	s_cbranch_execnz .LBB1000_441
.LBB1000_432:
	s_or_b32 exec_lo, exec_lo, s2
	v_cmp_gt_u32_e64 s2, s17, v29
	s_delay_alu instid0(VALU_DEP_1)
	s_and_saveexec_b32 s3, s2
	s_cbranch_execnz .LBB1000_442
.LBB1000_433:
	s_or_b32 exec_lo, exec_lo, s3
	v_cmp_gt_u32_e64 s12, s17, v28
	s_delay_alu instid0(VALU_DEP_1)
	s_and_saveexec_b32 s3, s12
	s_cbranch_execz .LBB1000_435
.LBB1000_434:
	v_lshlrev_b32_e32 v6, 3, v28
	global_load_b64 v[6:7], v6, s[14:15]
.LBB1000_435:
	s_or_b32 exec_lo, exec_lo, s3
	v_lshrrev_b32_e32 v8, 2, v30
	v_lshrrev_b32_e32 v9, 2, v29
	;; [unrolled: 1-line block ×3, first 2 shown]
	v_and_b32_e32 v11, 0xf8, v27
	v_add_lshl_u32 v17, v26, v23, 3
	v_and_b32_e32 v8, 0x1f8, v8
	v_and_b32_e32 v9, 0x1f8, v9
	;; [unrolled: 1-line block ×3, first 2 shown]
	v_cmp_gt_i64_e64 s15, s[8:9], 0
	s_mov_b32 s18, 0
	v_dual_mov_b32 v8, 0 :: v_dual_add_nc_u32 v13, v8, v22
	v_add_nc_u32_e32 v14, v11, v22
	v_add_nc_u32_e32 v15, v9, v22
	v_add_nc_u32_e32 v16, v10, v22
	s_waitcnt vmcnt(0) lgkmcnt(0)
	ds_store_b64 v14, v[0:1]
	ds_store_b64 v13, v[2:3] offset:2048
	ds_store_b64 v15, v[4:5] offset:4096
	;; [unrolled: 1-line block ×3, first 2 shown]
	s_waitcnt lgkmcnt(0)
	s_waitcnt_vscnt null, 0x0
	s_barrier
	buffer_gl0_inv
	ds_load_2addr_b64 v[0:3], v17 offset1:1
	ds_load_2addr_b64 v[4:7], v17 offset0:2 offset1:3
	s_waitcnt lgkmcnt(0)
	s_barrier
	buffer_gl0_inv
	s_load_b32 s3, s[4:5], 0xc
	s_waitcnt lgkmcnt(0)
	s_lshr_b32 s3, s3, 16
	s_cmp_lt_u32 s13, s16
	v_mad_u32_u24 v9, v25, s3, v24
	s_cselect_b32 s13, 12, 18
	s_delay_alu instid0(SALU_CYCLE_1)
	s_add_u32 s4, s4, s13
	s_addc_u32 s5, s5, 0
	v_cmp_lt_i64_e64 s13, s[8:9], 1
	global_load_u16 v8, v8, s[4:5]
	s_waitcnt vmcnt(0)
	v_mul_lo_u32 v8, v9, v8
	s_delay_alu instid0(VALU_DEP_1) | instskip(NEXT) | instid1(VALU_DEP_1)
	v_add_lshl_u32 v18, v8, v12, 2
	v_sub_nc_u32_e64 v19, s17, v18 clamp
	s_delay_alu instid0(VALU_DEP_1) | instskip(SKIP_1) | instid1(SALU_CYCLE_1)
	v_cmp_lt_u32_e32 vcc_lo, 1, v19
	s_and_b32 s16, vcc_lo, s15
	s_and_saveexec_b32 s14, s16
	s_cbranch_execz .LBB1000_446
; %bb.436:
	v_mad_u64_u32 v[8:9], null, v2, s8, s[10:11]
	v_mul_lo_u32 v20, v2, s9
	v_mul_lo_u32 v21, v3, s8
	v_mad_u64_u32 v[10:11], null, v0, s8, s[10:11]
	v_mul_lo_u32 v24, v0, s9
	v_mul_lo_u32 v25, v1, s8
	s_mov_b64 s[4:5], s[8:9]
                                        ; implicit-def: $sgpr19
                                        ; implicit-def: $sgpr20
                                        ; implicit-def: $sgpr22
                                        ; implicit-def: $sgpr21
                                        ; implicit-def: $sgpr23
                                        ; implicit-def: $sgpr24
	s_delay_alu instid0(VALU_DEP_4) | instskip(NEXT) | instid1(VALU_DEP_2)
	v_add3_u32 v9, v21, v9, v20
	v_add3_u32 v11, v25, v11, v24
	s_branch .LBB1000_438
.LBB1000_437:                           ;   in Loop: Header=BB1000_438 Depth=1
	s_or_b32 exec_lo, exec_lo, s25
	s_delay_alu instid0(SALU_CYCLE_1) | instskip(NEXT) | instid1(SALU_CYCLE_1)
	s_and_b32 s25, exec_lo, s22
	s_or_b32 s18, s25, s18
	s_and_not1_b32 s24, s24, exec_lo
	s_and_b32 s25, s23, exec_lo
	s_and_not1_b32 s20, s20, exec_lo
	s_or_b32 s24, s24, s25
	s_and_b32 s25, s21, exec_lo
	s_and_not1_b32 s19, s19, exec_lo
	s_and_b32 s3, s3, exec_lo
	s_or_b32 s20, s20, s25
	s_or_b32 s19, s19, s3
	s_and_not1_b32 exec_lo, exec_lo, s18
	s_cbranch_execz .LBB1000_443
.LBB1000_438:                           ; =>This Inner Loop Header: Depth=1
	global_load_u8 v20, v[8:9], off
	global_load_u8 v21, v[10:11], off
	s_and_not1_b32 s23, s23, exec_lo
	s_or_b32 s21, s21, exec_lo
	s_or_b32 s22, s22, exec_lo
	s_waitcnt vmcnt(1)
	v_cmp_eq_u16_e32 vcc_lo, 0, v20
	s_waitcnt vmcnt(0)
	v_cmp_ne_u16_e64 s3, 0, v21
	s_delay_alu instid0(VALU_DEP_1)
	s_or_b32 s25, vcc_lo, s3
	s_and_b32 s26, vcc_lo, s3
	s_and_b32 s25, s25, s24
	s_xor_b32 s27, vcc_lo, s3
	s_or_b32 s3, s26, s25
	s_and_saveexec_b32 s25, s27
	s_cbranch_execz .LBB1000_437
; %bb.439:                              ;   in Loop: Header=BB1000_438 Depth=1
	s_add_u32 s4, s4, -1
	s_addc_u32 s5, s5, -1
	v_add_co_u32 v8, vcc_lo, v8, 1
	s_cmp_eq_u64 s[4:5], 0
	v_add_co_ci_u32_e32 v9, vcc_lo, 0, v9, vcc_lo
	v_add_co_u32 v10, vcc_lo, v10, 1
	s_cselect_b32 s24, -1, 0
	v_add_co_ci_u32_e32 v11, vcc_lo, 0, v11, vcc_lo
	s_and_not1_b32 s23, s23, exec_lo
	s_and_b32 s26, s3, exec_lo
	s_and_not1_b32 s22, s22, exec_lo
	s_and_b32 s24, s24, exec_lo
	s_or_b32 s23, s23, s26
	s_and_not1_b32 s21, s21, exec_lo
	s_or_b32 s22, s22, s24
                                        ; implicit-def: $sgpr24
	s_branch .LBB1000_437
.LBB1000_440:
	s_waitcnt lgkmcnt(0)
	global_load_b64 v[0:1], v22, s[14:15]
	s_or_b32 exec_lo, exec_lo, s1
	v_cmp_gt_u32_e64 s1, s17, v30
	s_delay_alu instid0(VALU_DEP_1)
	s_and_saveexec_b32 s2, s1
	s_cbranch_execz .LBB1000_432
.LBB1000_441:
	global_load_b64 v[2:3], v22, s[14:15] offset:2048
	s_or_b32 exec_lo, exec_lo, s2
	v_cmp_gt_u32_e64 s2, s17, v29
	s_delay_alu instid0(VALU_DEP_1)
	s_and_saveexec_b32 s3, s2
	s_cbranch_execz .LBB1000_433
.LBB1000_442:
	v_lshlrev_b32_e32 v4, 3, v29
	global_load_b64 v[4:5], v4, s[14:15]
	s_or_b32 exec_lo, exec_lo, s3
	v_cmp_gt_u32_e64 s12, s17, v28
	s_delay_alu instid0(VALU_DEP_1)
	s_and_saveexec_b32 s3, s12
	s_cbranch_execnz .LBB1000_434
	s_branch .LBB1000_435
.LBB1000_443:
	s_or_b32 exec_lo, exec_lo, s18
	s_and_saveexec_b32 s3, s20
	s_delay_alu instid0(SALU_CYCLE_1)
	s_xor_b32 s3, exec_lo, s3
; %bb.444:
	v_cndmask_b32_e64 v24, v0, v2, s19
	v_cndmask_b32_e64 v27, v3, v1, s19
	;; [unrolled: 1-line block ×4, first 2 shown]
	v_dual_mov_b32 v28, v4 :: v_dual_mov_b32 v29, v5
	v_dual_mov_b32 v30, v6 :: v_dual_mov_b32 v31, v7
	s_delay_alu instid0(VALU_DEP_3) | instskip(SKIP_1) | instid1(VALU_DEP_4)
	v_dual_mov_b32 v0, v24 :: v_dual_mov_b32 v1, v25
	v_dual_mov_b32 v2, v26 :: v_dual_mov_b32 v3, v27
	;; [unrolled: 1-line block ×3, first 2 shown]
	s_delay_alu instid0(VALU_DEP_4)
	v_dual_mov_b32 v6, v30 :: v_dual_mov_b32 v7, v31
; %bb.445:
	s_or_b32 exec_lo, exec_lo, s3
.LBB1000_446:
	s_delay_alu instid0(SALU_CYCLE_1) | instskip(SKIP_2) | instid1(SALU_CYCLE_1)
	s_or_b32 exec_lo, exec_lo, s14
	v_cmp_lt_u32_e32 vcc_lo, 3, v19
	s_xor_b32 s14, s13, -1
	s_and_b32 s18, vcc_lo, s14
	s_delay_alu instid0(SALU_CYCLE_1)
	s_and_saveexec_b32 s19, s18
	s_cbranch_execz .LBB1000_454
; %bb.447:
	v_mad_u64_u32 v[8:9], null, v6, s8, s[10:11]
	v_mul_lo_u32 v20, v6, s9
	v_mul_lo_u32 v21, v7, s8
	v_mad_u64_u32 v[10:11], null, v4, s8, s[10:11]
	v_mul_lo_u32 v24, v4, s9
	v_mul_lo_u32 v25, v5, s8
	s_mov_b32 s20, 0
	s_mov_b64 s[4:5], s[8:9]
                                        ; implicit-def: $sgpr21
                                        ; implicit-def: $sgpr22
                                        ; implicit-def: $sgpr24
                                        ; implicit-def: $sgpr23
                                        ; implicit-def: $sgpr25
                                        ; implicit-def: $sgpr26
	s_delay_alu instid0(VALU_DEP_4) | instskip(NEXT) | instid1(VALU_DEP_2)
	v_add3_u32 v9, v21, v9, v20
	v_add3_u32 v11, v25, v11, v24
	s_branch .LBB1000_449
.LBB1000_448:                           ;   in Loop: Header=BB1000_449 Depth=1
	s_or_b32 exec_lo, exec_lo, s27
	s_delay_alu instid0(SALU_CYCLE_1) | instskip(NEXT) | instid1(SALU_CYCLE_1)
	s_and_b32 s27, exec_lo, s24
	s_or_b32 s20, s27, s20
	s_and_not1_b32 s26, s26, exec_lo
	s_and_b32 s27, s25, exec_lo
	s_and_not1_b32 s22, s22, exec_lo
	s_or_b32 s26, s26, s27
	s_and_b32 s27, s23, exec_lo
	s_and_not1_b32 s21, s21, exec_lo
	s_and_b32 s3, s3, exec_lo
	s_or_b32 s22, s22, s27
	s_or_b32 s21, s21, s3
	s_and_not1_b32 exec_lo, exec_lo, s20
	s_cbranch_execz .LBB1000_451
.LBB1000_449:                           ; =>This Inner Loop Header: Depth=1
	global_load_u8 v20, v[8:9], off
	global_load_u8 v21, v[10:11], off
	s_and_not1_b32 s25, s25, exec_lo
	s_or_b32 s23, s23, exec_lo
	s_or_b32 s24, s24, exec_lo
	s_waitcnt vmcnt(1)
	v_cmp_eq_u16_e32 vcc_lo, 0, v20
	s_waitcnt vmcnt(0)
	v_cmp_ne_u16_e64 s3, 0, v21
	s_delay_alu instid0(VALU_DEP_1)
	s_or_b32 s27, vcc_lo, s3
	s_and_b32 s28, vcc_lo, s3
	s_and_b32 s27, s27, s26
	s_xor_b32 s29, vcc_lo, s3
	s_or_b32 s3, s28, s27
	s_and_saveexec_b32 s27, s29
	s_cbranch_execz .LBB1000_448
; %bb.450:                              ;   in Loop: Header=BB1000_449 Depth=1
	s_add_u32 s4, s4, -1
	s_addc_u32 s5, s5, -1
	v_add_co_u32 v8, vcc_lo, v8, 1
	s_cmp_eq_u64 s[4:5], 0
	v_add_co_ci_u32_e32 v9, vcc_lo, 0, v9, vcc_lo
	v_add_co_u32 v10, vcc_lo, v10, 1
	s_cselect_b32 s26, -1, 0
	v_add_co_ci_u32_e32 v11, vcc_lo, 0, v11, vcc_lo
	s_and_not1_b32 s25, s25, exec_lo
	s_and_b32 s28, s3, exec_lo
	s_and_not1_b32 s24, s24, exec_lo
	s_and_b32 s26, s26, exec_lo
	s_or_b32 s25, s25, s28
	s_and_not1_b32 s23, s23, exec_lo
	s_or_b32 s24, s24, s26
                                        ; implicit-def: $sgpr26
	s_branch .LBB1000_448
.LBB1000_451:
	s_or_b32 exec_lo, exec_lo, s20
	s_and_saveexec_b32 s3, s22
	s_delay_alu instid0(SALU_CYCLE_1)
	s_xor_b32 s3, exec_lo, s3
; %bb.452:
	v_cndmask_b32_e64 v8, v6, v4, s21
	v_cndmask_b32_e64 v9, v7, v5, s21
	;; [unrolled: 1-line block ×4, first 2 shown]
	s_delay_alu instid0(VALU_DEP_3)
	v_dual_mov_b32 v6, v8 :: v_dual_mov_b32 v7, v9
; %bb.453:
	s_or_b32 exec_lo, exec_lo, s3
.LBB1000_454:
	s_delay_alu instid0(SALU_CYCLE_1) | instskip(SKIP_2) | instid1(SALU_CYCLE_1)
	s_or_b32 exec_lo, exec_lo, s19
	v_cmp_lt_u32_e32 vcc_lo, 2, v19
	s_and_b32 s19, vcc_lo, s14
	s_and_saveexec_b32 s3, s19
	s_delay_alu instid0(SALU_CYCLE_1)
	s_xor_b32 s20, exec_lo, s3
	s_cbranch_execnz .LBB1000_458
; %bb.455:
	s_or_b32 exec_lo, exec_lo, s20
	s_and_saveexec_b32 s20, s16
	s_cbranch_execnz .LBB1000_465
.LBB1000_456:
	s_or_b32 exec_lo, exec_lo, s20
	s_and_saveexec_b32 s16, s18
	s_cbranch_execnz .LBB1000_472
.LBB1000_457:
	s_or_b32 exec_lo, exec_lo, s16
	s_and_saveexec_b32 s16, s19
	s_cbranch_execnz .LBB1000_479
	s_branch .LBB1000_486
.LBB1000_458:
	v_mad_u64_u32 v[8:9], null, v4, s8, s[10:11]
	v_mul_lo_u32 v19, v4, s9
	v_mul_lo_u32 v20, v5, s8
	v_mad_u64_u32 v[10:11], null, v2, s8, s[10:11]
	v_mul_lo_u32 v21, v2, s9
	v_mul_lo_u32 v24, v3, s8
	s_mov_b32 s21, 0
	s_mov_b64 s[4:5], s[8:9]
                                        ; implicit-def: $sgpr22
                                        ; implicit-def: $sgpr23
                                        ; implicit-def: $sgpr25
                                        ; implicit-def: $sgpr24
                                        ; implicit-def: $sgpr26
                                        ; implicit-def: $sgpr27
	s_delay_alu instid0(VALU_DEP_4) | instskip(NEXT) | instid1(VALU_DEP_2)
	v_add3_u32 v9, v20, v9, v19
	v_add3_u32 v11, v24, v11, v21
	s_branch .LBB1000_460
.LBB1000_459:                           ;   in Loop: Header=BB1000_460 Depth=1
	s_or_b32 exec_lo, exec_lo, s28
	s_delay_alu instid0(SALU_CYCLE_1) | instskip(NEXT) | instid1(SALU_CYCLE_1)
	s_and_b32 s28, exec_lo, s25
	s_or_b32 s21, s28, s21
	s_and_not1_b32 s27, s27, exec_lo
	s_and_b32 s28, s26, exec_lo
	s_and_not1_b32 s23, s23, exec_lo
	s_or_b32 s27, s27, s28
	s_and_b32 s28, s24, exec_lo
	s_and_not1_b32 s22, s22, exec_lo
	s_and_b32 s3, s3, exec_lo
	s_or_b32 s23, s23, s28
	s_or_b32 s22, s22, s3
	s_and_not1_b32 exec_lo, exec_lo, s21
	s_cbranch_execz .LBB1000_462
.LBB1000_460:                           ; =>This Inner Loop Header: Depth=1
	global_load_u8 v19, v[8:9], off
	global_load_u8 v20, v[10:11], off
	s_and_not1_b32 s26, s26, exec_lo
	s_or_b32 s24, s24, exec_lo
	s_or_b32 s25, s25, exec_lo
	s_waitcnt vmcnt(1)
	v_cmp_eq_u16_e32 vcc_lo, 0, v19
	s_waitcnt vmcnt(0)
	v_cmp_ne_u16_e64 s3, 0, v20
	s_delay_alu instid0(VALU_DEP_1)
	s_or_b32 s28, vcc_lo, s3
	s_and_b32 s29, vcc_lo, s3
	s_and_b32 s28, s28, s27
	s_xor_b32 s30, vcc_lo, s3
	s_or_b32 s3, s29, s28
	s_and_saveexec_b32 s28, s30
	s_cbranch_execz .LBB1000_459
; %bb.461:                              ;   in Loop: Header=BB1000_460 Depth=1
	s_add_u32 s4, s4, -1
	s_addc_u32 s5, s5, -1
	v_add_co_u32 v8, vcc_lo, v8, 1
	s_cmp_eq_u64 s[4:5], 0
	v_add_co_ci_u32_e32 v9, vcc_lo, 0, v9, vcc_lo
	v_add_co_u32 v10, vcc_lo, v10, 1
	s_cselect_b32 s27, -1, 0
	v_add_co_ci_u32_e32 v11, vcc_lo, 0, v11, vcc_lo
	s_and_not1_b32 s26, s26, exec_lo
	s_and_b32 s29, s3, exec_lo
	s_and_not1_b32 s25, s25, exec_lo
	s_and_b32 s27, s27, exec_lo
	s_or_b32 s26, s26, s29
	s_and_not1_b32 s24, s24, exec_lo
	s_or_b32 s25, s25, s27
                                        ; implicit-def: $sgpr27
	s_branch .LBB1000_459
.LBB1000_462:
	s_or_b32 exec_lo, exec_lo, s21
	s_and_saveexec_b32 s3, s23
	s_delay_alu instid0(SALU_CYCLE_1)
	s_xor_b32 s3, exec_lo, s3
; %bb.463:
	v_cndmask_b32_e64 v8, v4, v2, s22
	v_cndmask_b32_e64 v9, v5, v3, s22
	;; [unrolled: 1-line block ×4, first 2 shown]
	s_delay_alu instid0(VALU_DEP_3)
	v_dual_mov_b32 v4, v8 :: v_dual_mov_b32 v5, v9
; %bb.464:
	s_or_b32 exec_lo, exec_lo, s3
	s_delay_alu instid0(SALU_CYCLE_1)
	s_or_b32 exec_lo, exec_lo, s20
	s_and_saveexec_b32 s20, s16
	s_cbranch_execz .LBB1000_456
.LBB1000_465:
	v_mad_u64_u32 v[8:9], null, v2, s8, s[10:11]
	v_mul_lo_u32 v19, v2, s9
	v_mul_lo_u32 v20, v3, s8
	v_mad_u64_u32 v[10:11], null, v0, s8, s[10:11]
	v_mul_lo_u32 v21, v0, s9
	v_mul_lo_u32 v24, v1, s8
	s_mov_b32 s16, 0
	s_mov_b64 s[4:5], s[8:9]
                                        ; implicit-def: $sgpr21
                                        ; implicit-def: $sgpr22
                                        ; implicit-def: $sgpr24
                                        ; implicit-def: $sgpr23
                                        ; implicit-def: $sgpr25
                                        ; implicit-def: $sgpr26
	s_delay_alu instid0(VALU_DEP_4) | instskip(NEXT) | instid1(VALU_DEP_2)
	v_add3_u32 v9, v20, v9, v19
	v_add3_u32 v11, v24, v11, v21
	s_branch .LBB1000_467
.LBB1000_466:                           ;   in Loop: Header=BB1000_467 Depth=1
	s_or_b32 exec_lo, exec_lo, s27
	s_delay_alu instid0(SALU_CYCLE_1) | instskip(NEXT) | instid1(SALU_CYCLE_1)
	s_and_b32 s27, exec_lo, s24
	s_or_b32 s16, s27, s16
	s_and_not1_b32 s26, s26, exec_lo
	s_and_b32 s27, s25, exec_lo
	s_and_not1_b32 s22, s22, exec_lo
	s_or_b32 s26, s26, s27
	s_and_b32 s27, s23, exec_lo
	s_and_not1_b32 s21, s21, exec_lo
	s_and_b32 s3, s3, exec_lo
	s_or_b32 s22, s22, s27
	s_or_b32 s21, s21, s3
	s_and_not1_b32 exec_lo, exec_lo, s16
	s_cbranch_execz .LBB1000_469
.LBB1000_467:                           ; =>This Inner Loop Header: Depth=1
	global_load_u8 v19, v[8:9], off
	global_load_u8 v20, v[10:11], off
	s_and_not1_b32 s25, s25, exec_lo
	s_or_b32 s23, s23, exec_lo
	s_or_b32 s24, s24, exec_lo
	s_waitcnt vmcnt(1)
	v_cmp_eq_u16_e32 vcc_lo, 0, v19
	s_waitcnt vmcnt(0)
	v_cmp_ne_u16_e64 s3, 0, v20
	s_delay_alu instid0(VALU_DEP_1)
	s_or_b32 s27, vcc_lo, s3
	s_and_b32 s28, vcc_lo, s3
	s_and_b32 s27, s27, s26
	s_xor_b32 s29, vcc_lo, s3
	s_or_b32 s3, s28, s27
	s_and_saveexec_b32 s27, s29
	s_cbranch_execz .LBB1000_466
; %bb.468:                              ;   in Loop: Header=BB1000_467 Depth=1
	s_add_u32 s4, s4, -1
	s_addc_u32 s5, s5, -1
	v_add_co_u32 v8, vcc_lo, v8, 1
	s_cmp_eq_u64 s[4:5], 0
	v_add_co_ci_u32_e32 v9, vcc_lo, 0, v9, vcc_lo
	v_add_co_u32 v10, vcc_lo, v10, 1
	s_cselect_b32 s26, -1, 0
	v_add_co_ci_u32_e32 v11, vcc_lo, 0, v11, vcc_lo
	s_and_not1_b32 s25, s25, exec_lo
	s_and_b32 s28, s3, exec_lo
	s_and_not1_b32 s24, s24, exec_lo
	s_and_b32 s26, s26, exec_lo
	s_or_b32 s25, s25, s28
	s_and_not1_b32 s23, s23, exec_lo
	s_or_b32 s24, s24, s26
                                        ; implicit-def: $sgpr26
	s_branch .LBB1000_466
.LBB1000_469:
	s_or_b32 exec_lo, exec_lo, s16
	s_and_saveexec_b32 s3, s22
	s_delay_alu instid0(SALU_CYCLE_1)
	s_xor_b32 s3, exec_lo, s3
; %bb.470:
	v_cndmask_b32_e64 v24, v0, v2, s21
	v_cndmask_b32_e64 v27, v3, v1, s21
	;; [unrolled: 1-line block ×4, first 2 shown]
	v_dual_mov_b32 v28, v4 :: v_dual_mov_b32 v29, v5
	v_dual_mov_b32 v30, v6 :: v_dual_mov_b32 v31, v7
	s_delay_alu instid0(VALU_DEP_3) | instskip(SKIP_1) | instid1(VALU_DEP_4)
	v_dual_mov_b32 v0, v24 :: v_dual_mov_b32 v1, v25
	v_dual_mov_b32 v2, v26 :: v_dual_mov_b32 v3, v27
	;; [unrolled: 1-line block ×3, first 2 shown]
	s_delay_alu instid0(VALU_DEP_4)
	v_dual_mov_b32 v6, v30 :: v_dual_mov_b32 v7, v31
; %bb.471:
	s_or_b32 exec_lo, exec_lo, s3
	s_delay_alu instid0(SALU_CYCLE_1)
	s_or_b32 exec_lo, exec_lo, s20
	s_and_saveexec_b32 s16, s18
	s_cbranch_execz .LBB1000_457
.LBB1000_472:
	v_mad_u64_u32 v[8:9], null, v6, s8, s[10:11]
	v_mul_lo_u32 v19, v6, s9
	v_mul_lo_u32 v20, v7, s8
	v_mad_u64_u32 v[10:11], null, v4, s8, s[10:11]
	v_mul_lo_u32 v21, v4, s9
	v_mul_lo_u32 v24, v5, s8
	s_mov_b32 s18, 0
	s_mov_b64 s[4:5], s[8:9]
                                        ; implicit-def: $sgpr20
                                        ; implicit-def: $sgpr21
                                        ; implicit-def: $sgpr23
                                        ; implicit-def: $sgpr22
                                        ; implicit-def: $sgpr24
                                        ; implicit-def: $sgpr25
	s_delay_alu instid0(VALU_DEP_4) | instskip(NEXT) | instid1(VALU_DEP_2)
	v_add3_u32 v9, v20, v9, v19
	v_add3_u32 v11, v24, v11, v21
	s_branch .LBB1000_474
.LBB1000_473:                           ;   in Loop: Header=BB1000_474 Depth=1
	s_or_b32 exec_lo, exec_lo, s26
	s_delay_alu instid0(SALU_CYCLE_1) | instskip(NEXT) | instid1(SALU_CYCLE_1)
	s_and_b32 s26, exec_lo, s23
	s_or_b32 s18, s26, s18
	s_and_not1_b32 s25, s25, exec_lo
	s_and_b32 s26, s24, exec_lo
	s_and_not1_b32 s21, s21, exec_lo
	s_or_b32 s25, s25, s26
	s_and_b32 s26, s22, exec_lo
	s_and_not1_b32 s20, s20, exec_lo
	s_and_b32 s3, s3, exec_lo
	s_or_b32 s21, s21, s26
	s_or_b32 s20, s20, s3
	s_and_not1_b32 exec_lo, exec_lo, s18
	s_cbranch_execz .LBB1000_476
.LBB1000_474:                           ; =>This Inner Loop Header: Depth=1
	global_load_u8 v19, v[8:9], off
	global_load_u8 v20, v[10:11], off
	s_and_not1_b32 s24, s24, exec_lo
	s_or_b32 s22, s22, exec_lo
	s_or_b32 s23, s23, exec_lo
	s_waitcnt vmcnt(1)
	v_cmp_eq_u16_e32 vcc_lo, 0, v19
	s_waitcnt vmcnt(0)
	v_cmp_ne_u16_e64 s3, 0, v20
	s_delay_alu instid0(VALU_DEP_1)
	s_or_b32 s26, vcc_lo, s3
	s_and_b32 s27, vcc_lo, s3
	s_and_b32 s26, s26, s25
	s_xor_b32 s28, vcc_lo, s3
	s_or_b32 s3, s27, s26
	s_and_saveexec_b32 s26, s28
	s_cbranch_execz .LBB1000_473
; %bb.475:                              ;   in Loop: Header=BB1000_474 Depth=1
	s_add_u32 s4, s4, -1
	s_addc_u32 s5, s5, -1
	v_add_co_u32 v8, vcc_lo, v8, 1
	s_cmp_eq_u64 s[4:5], 0
	v_add_co_ci_u32_e32 v9, vcc_lo, 0, v9, vcc_lo
	v_add_co_u32 v10, vcc_lo, v10, 1
	s_cselect_b32 s25, -1, 0
	v_add_co_ci_u32_e32 v11, vcc_lo, 0, v11, vcc_lo
	s_and_not1_b32 s24, s24, exec_lo
	s_and_b32 s27, s3, exec_lo
	s_and_not1_b32 s23, s23, exec_lo
	s_and_b32 s25, s25, exec_lo
	s_or_b32 s24, s24, s27
	s_and_not1_b32 s22, s22, exec_lo
	s_or_b32 s23, s23, s25
                                        ; implicit-def: $sgpr25
	s_branch .LBB1000_473
.LBB1000_476:
	s_or_b32 exec_lo, exec_lo, s18
	s_and_saveexec_b32 s3, s21
	s_delay_alu instid0(SALU_CYCLE_1)
	s_xor_b32 s3, exec_lo, s3
; %bb.477:
	v_cndmask_b32_e64 v8, v6, v4, s20
	v_cndmask_b32_e64 v9, v7, v5, s20
	v_cndmask_b32_e64 v5, v5, v7, s20
	v_cndmask_b32_e64 v4, v4, v6, s20
	s_delay_alu instid0(VALU_DEP_3)
	v_dual_mov_b32 v6, v8 :: v_dual_mov_b32 v7, v9
; %bb.478:
	s_or_b32 exec_lo, exec_lo, s3
	s_delay_alu instid0(SALU_CYCLE_1)
	s_or_b32 exec_lo, exec_lo, s16
	s_and_saveexec_b32 s16, s19
	s_cbranch_execz .LBB1000_486
.LBB1000_479:
	v_mad_u64_u32 v[8:9], null, v4, s8, s[10:11]
	v_mul_lo_u32 v19, v4, s9
	v_mul_lo_u32 v20, v5, s8
	v_mad_u64_u32 v[10:11], null, v2, s8, s[10:11]
	v_mul_lo_u32 v21, v2, s9
	v_mul_lo_u32 v24, v3, s8
	s_mov_b32 s18, 0
	s_mov_b64 s[4:5], s[8:9]
                                        ; implicit-def: $sgpr19
                                        ; implicit-def: $sgpr20
                                        ; implicit-def: $sgpr22
                                        ; implicit-def: $sgpr21
                                        ; implicit-def: $sgpr23
                                        ; implicit-def: $sgpr24
	s_delay_alu instid0(VALU_DEP_4) | instskip(NEXT) | instid1(VALU_DEP_2)
	v_add3_u32 v9, v20, v9, v19
	v_add3_u32 v11, v24, v11, v21
	s_branch .LBB1000_481
.LBB1000_480:                           ;   in Loop: Header=BB1000_481 Depth=1
	s_or_b32 exec_lo, exec_lo, s25
	s_delay_alu instid0(SALU_CYCLE_1) | instskip(NEXT) | instid1(SALU_CYCLE_1)
	s_and_b32 s25, exec_lo, s22
	s_or_b32 s18, s25, s18
	s_and_not1_b32 s24, s24, exec_lo
	s_and_b32 s25, s23, exec_lo
	s_and_not1_b32 s20, s20, exec_lo
	s_or_b32 s24, s24, s25
	s_and_b32 s25, s21, exec_lo
	s_and_not1_b32 s19, s19, exec_lo
	s_and_b32 s3, s3, exec_lo
	s_or_b32 s20, s20, s25
	s_or_b32 s19, s19, s3
	s_and_not1_b32 exec_lo, exec_lo, s18
	s_cbranch_execz .LBB1000_483
.LBB1000_481:                           ; =>This Inner Loop Header: Depth=1
	global_load_u8 v19, v[8:9], off
	global_load_u8 v20, v[10:11], off
	s_and_not1_b32 s23, s23, exec_lo
	s_or_b32 s21, s21, exec_lo
	s_or_b32 s22, s22, exec_lo
	s_waitcnt vmcnt(1)
	v_cmp_eq_u16_e32 vcc_lo, 0, v19
	s_waitcnt vmcnt(0)
	v_cmp_ne_u16_e64 s3, 0, v20
	s_delay_alu instid0(VALU_DEP_1)
	s_or_b32 s25, vcc_lo, s3
	s_and_b32 s26, vcc_lo, s3
	s_and_b32 s25, s25, s24
	s_xor_b32 s27, vcc_lo, s3
	s_or_b32 s3, s26, s25
	s_and_saveexec_b32 s25, s27
	s_cbranch_execz .LBB1000_480
; %bb.482:                              ;   in Loop: Header=BB1000_481 Depth=1
	s_add_u32 s4, s4, -1
	s_addc_u32 s5, s5, -1
	v_add_co_u32 v8, vcc_lo, v8, 1
	s_cmp_eq_u64 s[4:5], 0
	v_add_co_ci_u32_e32 v9, vcc_lo, 0, v9, vcc_lo
	v_add_co_u32 v10, vcc_lo, v10, 1
	s_cselect_b32 s24, -1, 0
	v_add_co_ci_u32_e32 v11, vcc_lo, 0, v11, vcc_lo
	s_and_not1_b32 s23, s23, exec_lo
	s_and_b32 s26, s3, exec_lo
	s_and_not1_b32 s22, s22, exec_lo
	s_and_b32 s24, s24, exec_lo
	s_or_b32 s23, s23, s26
	s_and_not1_b32 s21, s21, exec_lo
	s_or_b32 s22, s22, s24
                                        ; implicit-def: $sgpr24
	s_branch .LBB1000_480
.LBB1000_483:
	s_or_b32 exec_lo, exec_lo, s18
	s_and_saveexec_b32 s3, s20
	s_delay_alu instid0(SALU_CYCLE_1)
	s_xor_b32 s3, exec_lo, s3
; %bb.484:
	v_cndmask_b32_e64 v8, v4, v2, s19
	v_cndmask_b32_e64 v9, v5, v3, s19
	;; [unrolled: 1-line block ×4, first 2 shown]
	s_delay_alu instid0(VALU_DEP_3)
	v_dual_mov_b32 v4, v8 :: v_dual_mov_b32 v5, v9
; %bb.485:
	s_or_b32 exec_lo, exec_lo, s3
.LBB1000_486:
	s_delay_alu instid0(SALU_CYCLE_1)
	s_or_b32 exec_lo, exec_lo, s16
	v_mbcnt_lo_u32_b32 v8, -1, 0
	v_and_b32_e32 v9, 0xffffff80, v18
	v_cndmask_b32_e64 v18, 0, 1, s15
	s_mov_b32 s16, 0
	s_mov_b32 s18, exec_lo
	v_lshlrev_b32_e32 v21, 2, v8
	v_sub_nc_u32_e64 v20, s17, v9 clamp
	v_lshlrev_b32_e32 v19, 3, v9
	s_delay_alu instid0(VALU_DEP_3) | instskip(SKIP_2) | instid1(VALU_DEP_4)
	v_or_b32_e32 v10, 4, v21
	v_and_b32_e32 v11, 4, v21
	v_and_b32_e32 v29, 0x78, v21
	v_lshl_or_b32 v24, v8, 5, v19
	ds_store_b128 v24, v[0:3]
	ds_store_b128 v24, v[4:7] offset:16
	v_min_u32_e32 v25, v20, v10
	v_min_u32_e32 v30, v20, v11
	v_lshl_or_b32 v28, v29, 3, v19
	; wave barrier
	s_delay_alu instid0(VALU_DEP_3) | instskip(NEXT) | instid1(VALU_DEP_1)
	v_add_nc_u32_e32 v10, 4, v25
	v_min_u32_e32 v26, v20, v10
	v_sub_nc_u32_e32 v10, v25, v29
	s_delay_alu instid0(VALU_DEP_2) | instskip(NEXT) | instid1(VALU_DEP_2)
	v_sub_nc_u32_e32 v11, v26, v25
	v_min_u32_e32 v31, v30, v10
	s_delay_alu instid0(VALU_DEP_2) | instskip(NEXT) | instid1(VALU_DEP_1)
	v_sub_nc_u32_e64 v27, v30, v11 clamp
	v_cmpx_lt_u32_e64 v27, v31
	s_cbranch_execz .LBB1000_496
; %bb.487:
	v_lshlrev_b32_e32 v8, 3, v25
	v_lshlrev_b32_e32 v9, 3, v30
	s_delay_alu instid0(VALU_DEP_1)
	v_add3_u32 v32, v19, v8, v9
	s_branch .LBB1000_490
.LBB1000_488:                           ;   in Loop: Header=BB1000_490 Depth=1
	s_set_inst_prefetch_distance 0x2
	s_or_b32 exec_lo, exec_lo, s20
.LBB1000_489:                           ;   in Loop: Header=BB1000_490 Depth=1
	s_delay_alu instid0(VALU_DEP_1) | instskip(SKIP_1) | instid1(VALU_DEP_2)
	v_add_nc_u32_e32 v8, 1, v33
	v_cndmask_b32_e64 v31, v31, v33, s19
	v_cndmask_b32_e64 v27, v8, v27, s19
	s_delay_alu instid0(VALU_DEP_1) | instskip(SKIP_1) | instid1(SALU_CYCLE_1)
	v_cmp_ge_u32_e32 vcc_lo, v27, v31
	s_or_b32 s16, vcc_lo, s16
	s_and_not1_b32 exec_lo, exec_lo, s16
	s_cbranch_execz .LBB1000_495
.LBB1000_490:                           ; =>This Loop Header: Depth=1
                                        ;     Child Loop BB1000_493 Depth 2
	v_add_nc_u32_e32 v8, v31, v27
	s_and_not1_b32 vcc_lo, exec_lo, s15
	s_mov_b32 s19, 0
	s_delay_alu instid0(VALU_DEP_1)
	v_lshrrev_b32_e32 v33, 1, v8
	s_cbranch_vccnz .LBB1000_489
; %bb.491:                              ;   in Loop: Header=BB1000_490 Depth=1
	s_delay_alu instid0(VALU_DEP_1) | instskip(SKIP_3) | instid1(VALU_DEP_2)
	v_not_b32_e32 v8, v33
	v_lshl_add_u32 v9, v33, 3, v28
	s_mov_b32 s20, 0
	s_mov_b64 s[4:5], s[8:9]
                                        ; implicit-def: $sgpr19
                                        ; implicit-def: $sgpr21
                                        ; implicit-def: $sgpr22
                                        ; implicit-def: $sgpr23
                                        ; implicit-def: $sgpr24
	v_lshl_add_u32 v8, v8, 3, v32
	ds_load_b64 v[10:11], v8
	ds_load_b64 v[34:35], v9
	s_waitcnt lgkmcnt(1)
	v_mul_lo_u32 v36, v10, s9
	v_mul_lo_u32 v37, v11, s8
	v_mad_u64_u32 v[8:9], null, v10, s8, s[10:11]
	s_waitcnt lgkmcnt(0)
	v_mul_lo_u32 v38, v34, s9
	v_mul_lo_u32 v35, v35, s8
	v_mad_u64_u32 v[10:11], null, v34, s8, s[10:11]
	s_delay_alu instid0(VALU_DEP_4) | instskip(NEXT) | instid1(VALU_DEP_2)
	v_add3_u32 v9, v37, v9, v36
	v_add3_u32 v11, v35, v11, v38
	s_set_inst_prefetch_distance 0x1
	s_branch .LBB1000_493
	.p2align	6
.LBB1000_492:                           ;   in Loop: Header=BB1000_493 Depth=2
	s_or_b32 exec_lo, exec_lo, s3
	s_delay_alu instid0(SALU_CYCLE_1) | instskip(NEXT) | instid1(SALU_CYCLE_1)
	s_and_b32 s3, exec_lo, s21
	s_or_b32 s20, s3, s20
	s_and_not1_b32 s3, s24, exec_lo
	s_and_b32 s24, s22, exec_lo
	s_and_not1_b32 s19, s19, exec_lo
	s_and_b32 s25, s23, exec_lo
	s_or_b32 s24, s3, s24
	s_or_b32 s19, s19, s25
	s_and_not1_b32 exec_lo, exec_lo, s20
	s_cbranch_execz .LBB1000_488
.LBB1000_493:                           ;   Parent Loop BB1000_490 Depth=1
                                        ; =>  This Inner Loop Header: Depth=2
	global_load_u8 v34, v[8:9], off
	global_load_u8 v35, v[10:11], off
	s_and_not1_b32 s23, s23, exec_lo
	s_and_not1_b32 s22, s22, exec_lo
	s_or_b32 s21, s21, exec_lo
	s_waitcnt vmcnt(1)
	v_cmp_eq_u16_e32 vcc_lo, 0, v34
	s_waitcnt vmcnt(0)
	v_cmp_ne_u16_e64 s3, 0, v35
	s_delay_alu instid0(VALU_DEP_1) | instskip(SKIP_4) | instid1(SALU_CYCLE_1)
	s_or_b32 s25, vcc_lo, s3
	s_and_b32 s26, vcc_lo, s3
	s_and_b32 s25, s25, s24
	s_xor_b32 s27, vcc_lo, s3
	s_or_b32 s25, s26, s25
	s_and_b32 s26, s25, exec_lo
	s_delay_alu instid0(SALU_CYCLE_1)
	s_or_b32 s23, s23, s26
	s_and_saveexec_b32 s3, s27
	s_cbranch_execz .LBB1000_492
; %bb.494:                              ;   in Loop: Header=BB1000_493 Depth=2
	s_add_u32 s4, s4, -1
	s_addc_u32 s5, s5, -1
	v_add_co_u32 v8, vcc_lo, v8, 1
	v_add_co_ci_u32_e32 v9, vcc_lo, 0, v9, vcc_lo
	s_cmp_eq_u64 s[4:5], 0
	v_add_co_u32 v10, vcc_lo, v10, 1
	s_cselect_b32 s24, -1, 0
	v_add_co_ci_u32_e32 v11, vcc_lo, 0, v11, vcc_lo
	s_and_not1_b32 s22, s22, exec_lo
	s_and_b32 s25, s25, exec_lo
	s_and_not1_b32 s21, s21, exec_lo
	s_and_b32 s24, s24, exec_lo
	s_and_not1_b32 s23, s23, exec_lo
	s_or_b32 s22, s22, s25
	s_or_b32 s21, s21, s24
                                        ; implicit-def: $sgpr24
	s_branch .LBB1000_492
.LBB1000_495:
	s_or_b32 exec_lo, exec_lo, s16
.LBB1000_496:
	s_delay_alu instid0(SALU_CYCLE_1) | instskip(SKIP_2) | instid1(VALU_DEP_2)
	s_or_b32 exec_lo, exec_lo, s18
	v_add_nc_u32_e32 v9, v25, v30
	v_add_nc_u32_e32 v8, v27, v29
	v_sub_nc_u32_e32 v9, v9, v27
	s_delay_alu instid0(VALU_DEP_2) | instskip(NEXT) | instid1(VALU_DEP_2)
	v_cmp_le_u32_e32 vcc_lo, v8, v25
	v_cmp_le_u32_e64 s3, v9, v26
	s_delay_alu instid0(VALU_DEP_1) | instskip(NEXT) | instid1(SALU_CYCLE_1)
	s_or_b32 s3, vcc_lo, s3
	s_and_saveexec_b32 s15, s3
	s_cbranch_execz .LBB1000_532
; %bb.497:
	v_cmp_ge_u32_e32 vcc_lo, v8, v25
	s_mov_b32 s4, exec_lo
                                        ; implicit-def: $vgpr0_vgpr1
	v_cmpx_lt_u32_e64 v8, v25
	s_cbranch_execz .LBB1000_499
; %bb.498:
	v_lshl_add_u32 v0, v27, 3, v28
	ds_load_b64 v[0:1], v0
.LBB1000_499:
	s_or_b32 exec_lo, exec_lo, s4
	v_cmp_ge_u32_e64 s3, v9, v26
	s_mov_b32 s5, exec_lo
                                        ; implicit-def: $vgpr2_vgpr3
	v_cmpx_lt_u32_e64 v9, v26
	s_cbranch_execz .LBB1000_501
; %bb.500:
	v_lshl_add_u32 v2, v9, 3, v19
	ds_load_b64 v[2:3], v2
.LBB1000_501:
	s_or_b32 exec_lo, exec_lo, s5
	s_or_b32 s4, vcc_lo, s3
	s_xor_b32 s5, vcc_lo, -1
	s_or_b32 s4, s4, s13
	s_or_b32 s16, s3, s5
	s_xor_b32 s4, s4, -1
	s_delay_alu instid0(SALU_CYCLE_1)
	s_and_saveexec_b32 s18, s4
	s_cbranch_execz .LBB1000_507
; %bb.502:
	s_waitcnt lgkmcnt(0)
	v_mad_u64_u32 v[4:5], null, v2, s8, s[10:11]
	v_mul_lo_u32 v10, v2, s9
	v_mul_lo_u32 v11, v3, s8
	v_mad_u64_u32 v[6:7], null, v0, s8, s[10:11]
	v_mul_lo_u32 v27, v0, s9
	v_mul_lo_u32 v28, v1, s8
	s_mov_b32 s19, 0
	s_mov_b64 s[4:5], s[8:9]
                                        ; implicit-def: $sgpr20
                                        ; implicit-def: $sgpr21
                                        ; implicit-def: $sgpr22
                                        ; implicit-def: $sgpr23
                                        ; implicit-def: $sgpr24
	s_delay_alu instid0(VALU_DEP_4) | instskip(NEXT) | instid1(VALU_DEP_2)
	v_add3_u32 v5, v11, v5, v10
	v_add3_u32 v7, v28, v7, v27
	s_set_inst_prefetch_distance 0x1
	s_branch .LBB1000_504
	.p2align	6
.LBB1000_503:                           ;   in Loop: Header=BB1000_504 Depth=1
	s_or_b32 exec_lo, exec_lo, s3
	s_delay_alu instid0(SALU_CYCLE_1) | instskip(NEXT) | instid1(SALU_CYCLE_1)
	s_and_b32 s3, exec_lo, s21
	s_or_b32 s19, s3, s19
	s_and_not1_b32 s3, s24, exec_lo
	s_and_b32 s24, s23, exec_lo
	s_and_not1_b32 s20, s20, exec_lo
	s_and_b32 s25, s22, exec_lo
	s_or_b32 s24, s3, s24
	s_or_b32 s20, s20, s25
	s_and_not1_b32 exec_lo, exec_lo, s19
	s_cbranch_execz .LBB1000_506
.LBB1000_504:                           ; =>This Inner Loop Header: Depth=1
	global_load_u8 v10, v[4:5], off
	global_load_u8 v11, v[6:7], off
	s_and_not1_b32 s22, s22, exec_lo
	s_and_not1_b32 s23, s23, exec_lo
	s_or_b32 s21, s21, exec_lo
	s_waitcnt vmcnt(1)
	v_cmp_eq_u16_e32 vcc_lo, 0, v10
	s_waitcnt vmcnt(0)
	v_cmp_ne_u16_e64 s3, 0, v11
	s_delay_alu instid0(VALU_DEP_1) | instskip(SKIP_4) | instid1(SALU_CYCLE_1)
	s_or_b32 s25, vcc_lo, s3
	s_and_b32 s26, vcc_lo, s3
	s_and_b32 s25, s25, s24
	s_xor_b32 s27, vcc_lo, s3
	s_or_b32 s25, s26, s25
	s_and_b32 s26, s25, exec_lo
	s_delay_alu instid0(SALU_CYCLE_1)
	s_or_b32 s22, s22, s26
	s_and_saveexec_b32 s3, s27
	s_cbranch_execz .LBB1000_503
; %bb.505:                              ;   in Loop: Header=BB1000_504 Depth=1
	s_add_u32 s4, s4, -1
	s_addc_u32 s5, s5, -1
	v_add_co_u32 v4, vcc_lo, v4, 1
	s_cmp_eq_u64 s[4:5], 0
	v_add_co_ci_u32_e32 v5, vcc_lo, 0, v5, vcc_lo
	v_add_co_u32 v6, vcc_lo, v6, 1
	s_cselect_b32 s24, -1, 0
	v_add_co_ci_u32_e32 v7, vcc_lo, 0, v7, vcc_lo
	s_and_not1_b32 s23, s23, exec_lo
	s_and_b32 s25, s25, exec_lo
	s_and_not1_b32 s21, s21, exec_lo
	s_and_b32 s24, s24, exec_lo
	s_or_b32 s23, s23, s25
	s_and_not1_b32 s22, s22, exec_lo
	s_or_b32 s21, s21, s24
                                        ; implicit-def: $sgpr24
	s_branch .LBB1000_503
.LBB1000_506:
	s_set_inst_prefetch_distance 0x2
	s_or_b32 exec_lo, exec_lo, s19
	s_xor_b32 s3, s20, -1
	s_and_not1_b32 s4, s16, exec_lo
	s_and_b32 s3, s3, exec_lo
	s_delay_alu instid0(SALU_CYCLE_1)
	s_or_b32 s16, s4, s3
.LBB1000_507:
	s_or_b32 exec_lo, exec_lo, s18
	v_cndmask_b32_e64 v4, v9, v8, s16
	v_cndmask_b32_e64 v5, v26, v25, s16
	s_mov_b32 s18, -1
	s_mov_b32 s19, -1
	s_mov_b32 s20, exec_lo
	v_add_nc_u32_e32 v6, 1, v4
	v_add_nc_u32_e32 v4, -1, v5
	s_delay_alu instid0(VALU_DEP_2) | instskip(NEXT) | instid1(VALU_DEP_2)
	v_cndmask_b32_e64 v9, v6, v9, s16
	v_min_u32_e32 v4, v6, v4
	v_cndmask_b32_e64 v8, v8, v6, s16
	s_delay_alu instid0(VALU_DEP_2)
	v_lshl_add_u32 v4, v4, 3, v19
	ds_load_b64 v[4:5], v4
	s_waitcnt lgkmcnt(0)
	v_cndmask_b32_e64 v10, v5, v3, s16
	v_cndmask_b32_e64 v11, v4, v2, s16
	;; [unrolled: 1-line block ×4, first 2 shown]
	v_cmpx_lt_u32_e64 v9, v26
	s_cbranch_execz .LBB1000_515
; %bb.508:
	v_cmp_lt_u32_e64 s19, v8, v25
	s_delay_alu instid0(VALU_DEP_1) | instskip(NEXT) | instid1(SALU_CYCLE_1)
	s_and_b32 s3, s19, s14
	s_and_saveexec_b32 s21, s3
	s_cbranch_execz .LBB1000_514
; %bb.509:
	v_mad_u64_u32 v[4:5], null, v11, s8, s[10:11]
	v_mul_lo_u32 v29, v11, s9
	v_mul_lo_u32 v30, v10, s8
	v_mad_u64_u32 v[6:7], null, v28, s8, s[10:11]
	v_mul_lo_u32 v31, v28, s9
	v_mul_lo_u32 v32, v27, s8
	s_mov_b32 s22, 0
	s_mov_b64 s[4:5], s[8:9]
                                        ; implicit-def: $sgpr23
                                        ; implicit-def: $sgpr24
                                        ; implicit-def: $sgpr25
                                        ; implicit-def: $sgpr26
                                        ; implicit-def: $sgpr27
	s_delay_alu instid0(VALU_DEP_4) | instskip(NEXT) | instid1(VALU_DEP_2)
	v_add3_u32 v5, v30, v5, v29
	v_add3_u32 v7, v32, v7, v31
	s_set_inst_prefetch_distance 0x1
	s_branch .LBB1000_511
	.p2align	6
.LBB1000_510:                           ;   in Loop: Header=BB1000_511 Depth=1
	s_or_b32 exec_lo, exec_lo, s3
	s_delay_alu instid0(SALU_CYCLE_1) | instskip(NEXT) | instid1(SALU_CYCLE_1)
	s_and_b32 s3, exec_lo, s24
	s_or_b32 s22, s3, s22
	s_and_not1_b32 s3, s27, exec_lo
	s_and_b32 s27, s26, exec_lo
	s_and_not1_b32 s23, s23, exec_lo
	s_and_b32 s28, s25, exec_lo
	s_or_b32 s27, s3, s27
	s_or_b32 s23, s23, s28
	s_and_not1_b32 exec_lo, exec_lo, s22
	s_cbranch_execz .LBB1000_513
.LBB1000_511:                           ; =>This Inner Loop Header: Depth=1
	global_load_u8 v29, v[4:5], off
	global_load_u8 v30, v[6:7], off
	s_and_not1_b32 s25, s25, exec_lo
	s_and_not1_b32 s26, s26, exec_lo
	s_or_b32 s24, s24, exec_lo
	s_waitcnt vmcnt(1)
	v_cmp_eq_u16_e32 vcc_lo, 0, v29
	s_waitcnt vmcnt(0)
	v_cmp_ne_u16_e64 s3, 0, v30
	s_delay_alu instid0(VALU_DEP_1) | instskip(SKIP_4) | instid1(SALU_CYCLE_1)
	s_or_b32 s28, vcc_lo, s3
	s_and_b32 s29, vcc_lo, s3
	s_and_b32 s28, s28, s27
	s_xor_b32 s30, vcc_lo, s3
	s_or_b32 s28, s29, s28
	s_and_b32 s29, s28, exec_lo
	s_delay_alu instid0(SALU_CYCLE_1)
	s_or_b32 s25, s25, s29
	s_and_saveexec_b32 s3, s30
	s_cbranch_execz .LBB1000_510
; %bb.512:                              ;   in Loop: Header=BB1000_511 Depth=1
	s_add_u32 s4, s4, -1
	s_addc_u32 s5, s5, -1
	v_add_co_u32 v4, vcc_lo, v4, 1
	s_cmp_eq_u64 s[4:5], 0
	v_add_co_ci_u32_e32 v5, vcc_lo, 0, v5, vcc_lo
	v_add_co_u32 v6, vcc_lo, v6, 1
	s_cselect_b32 s27, -1, 0
	v_add_co_ci_u32_e32 v7, vcc_lo, 0, v7, vcc_lo
	s_and_not1_b32 s26, s26, exec_lo
	s_and_b32 s28, s28, exec_lo
	s_and_not1_b32 s24, s24, exec_lo
	s_and_b32 s27, s27, exec_lo
	s_or_b32 s26, s26, s28
	s_and_not1_b32 s25, s25, exec_lo
	s_or_b32 s24, s24, s27
                                        ; implicit-def: $sgpr27
	s_branch .LBB1000_510
.LBB1000_513:
	s_set_inst_prefetch_distance 0x2
	s_or_b32 exec_lo, exec_lo, s22
	s_xor_b32 s3, s23, -1
	s_and_not1_b32 s4, s19, exec_lo
	s_and_b32 s3, s3, exec_lo
	s_delay_alu instid0(SALU_CYCLE_1)
	s_or_b32 s19, s4, s3
.LBB1000_514:
	s_or_b32 exec_lo, exec_lo, s21
	s_delay_alu instid0(SALU_CYCLE_1)
	s_or_not1_b32 s19, s19, exec_lo
.LBB1000_515:
	s_or_b32 exec_lo, exec_lo, s20
	v_cndmask_b32_e64 v4, v9, v8, s19
	v_cndmask_b32_e64 v5, v26, v25, s19
	s_mov_b32 s20, exec_lo
	s_delay_alu instid0(VALU_DEP_2) | instskip(NEXT) | instid1(VALU_DEP_2)
	v_add_nc_u32_e32 v6, 1, v4
	v_add_nc_u32_e32 v4, -1, v5
	s_delay_alu instid0(VALU_DEP_2) | instskip(NEXT) | instid1(VALU_DEP_2)
	v_cndmask_b32_e64 v9, v6, v9, s19
	v_min_u32_e32 v4, v6, v4
	v_cndmask_b32_e64 v8, v8, v6, s19
	s_delay_alu instid0(VALU_DEP_2)
	v_lshl_add_u32 v4, v4, 3, v19
	ds_load_b64 v[4:5], v4
	s_waitcnt lgkmcnt(0)
	v_cndmask_b32_e64 v29, v5, v10, s19
	v_cndmask_b32_e64 v30, v4, v11, s19
	;; [unrolled: 1-line block ×4, first 2 shown]
	v_cmpx_lt_u32_e64 v9, v26
	s_cbranch_execz .LBB1000_523
; %bb.516:
	v_cmp_lt_u32_e64 s18, v8, v25
	s_delay_alu instid0(VALU_DEP_1) | instskip(NEXT) | instid1(SALU_CYCLE_1)
	s_and_b32 s3, s18, s14
	s_and_saveexec_b32 s21, s3
	s_cbranch_execz .LBB1000_522
; %bb.517:
	v_mad_u64_u32 v[4:5], null, v30, s8, s[10:11]
	v_mul_lo_u32 v33, v30, s9
	v_mul_lo_u32 v34, v29, s8
	v_mad_u64_u32 v[6:7], null, v32, s8, s[10:11]
	v_mul_lo_u32 v35, v32, s9
	v_mul_lo_u32 v36, v31, s8
	s_mov_b32 s22, 0
	s_mov_b64 s[4:5], s[8:9]
                                        ; implicit-def: $sgpr23
                                        ; implicit-def: $sgpr24
                                        ; implicit-def: $sgpr25
                                        ; implicit-def: $sgpr26
                                        ; implicit-def: $sgpr27
	s_delay_alu instid0(VALU_DEP_4) | instskip(NEXT) | instid1(VALU_DEP_2)
	v_add3_u32 v5, v34, v5, v33
	v_add3_u32 v7, v36, v7, v35
	s_set_inst_prefetch_distance 0x1
	s_branch .LBB1000_519
	.p2align	6
.LBB1000_518:                           ;   in Loop: Header=BB1000_519 Depth=1
	s_or_b32 exec_lo, exec_lo, s3
	s_delay_alu instid0(SALU_CYCLE_1) | instskip(NEXT) | instid1(SALU_CYCLE_1)
	s_and_b32 s3, exec_lo, s24
	s_or_b32 s22, s3, s22
	s_and_not1_b32 s3, s27, exec_lo
	s_and_b32 s27, s26, exec_lo
	s_and_not1_b32 s23, s23, exec_lo
	s_and_b32 s28, s25, exec_lo
	s_or_b32 s27, s3, s27
	s_or_b32 s23, s23, s28
	s_and_not1_b32 exec_lo, exec_lo, s22
	s_cbranch_execz .LBB1000_521
.LBB1000_519:                           ; =>This Inner Loop Header: Depth=1
	global_load_u8 v33, v[4:5], off
	global_load_u8 v34, v[6:7], off
	s_and_not1_b32 s25, s25, exec_lo
	s_and_not1_b32 s26, s26, exec_lo
	s_or_b32 s24, s24, exec_lo
	s_waitcnt vmcnt(1)
	v_cmp_eq_u16_e32 vcc_lo, 0, v33
	s_waitcnt vmcnt(0)
	v_cmp_ne_u16_e64 s3, 0, v34
	s_delay_alu instid0(VALU_DEP_1) | instskip(SKIP_4) | instid1(SALU_CYCLE_1)
	s_or_b32 s28, vcc_lo, s3
	s_and_b32 s29, vcc_lo, s3
	s_and_b32 s28, s28, s27
	s_xor_b32 s30, vcc_lo, s3
	s_or_b32 s28, s29, s28
	s_and_b32 s29, s28, exec_lo
	s_delay_alu instid0(SALU_CYCLE_1)
	s_or_b32 s25, s25, s29
	s_and_saveexec_b32 s3, s30
	s_cbranch_execz .LBB1000_518
; %bb.520:                              ;   in Loop: Header=BB1000_519 Depth=1
	s_add_u32 s4, s4, -1
	s_addc_u32 s5, s5, -1
	v_add_co_u32 v4, vcc_lo, v4, 1
	s_cmp_eq_u64 s[4:5], 0
	v_add_co_ci_u32_e32 v5, vcc_lo, 0, v5, vcc_lo
	v_add_co_u32 v6, vcc_lo, v6, 1
	s_cselect_b32 s27, -1, 0
	v_add_co_ci_u32_e32 v7, vcc_lo, 0, v7, vcc_lo
	s_and_not1_b32 s26, s26, exec_lo
	s_and_b32 s28, s28, exec_lo
	s_and_not1_b32 s24, s24, exec_lo
	s_and_b32 s27, s27, exec_lo
	s_or_b32 s26, s26, s28
	s_and_not1_b32 s25, s25, exec_lo
	s_or_b32 s24, s24, s27
                                        ; implicit-def: $sgpr27
	s_branch .LBB1000_518
.LBB1000_521:
	s_set_inst_prefetch_distance 0x2
	s_or_b32 exec_lo, exec_lo, s22
	s_xor_b32 s3, s23, -1
	s_and_not1_b32 s4, s18, exec_lo
	s_and_b32 s3, s3, exec_lo
	s_delay_alu instid0(SALU_CYCLE_1)
	s_or_b32 s18, s4, s3
.LBB1000_522:
	s_or_b32 exec_lo, exec_lo, s21
	s_delay_alu instid0(SALU_CYCLE_1)
	s_or_not1_b32 s18, s18, exec_lo
.LBB1000_523:
	s_or_b32 exec_lo, exec_lo, s20
	v_cndmask_b32_e64 v4, v9, v8, s18
	v_cndmask_b32_e64 v5, v26, v25, s18
	s_mov_b32 s20, exec_lo
	s_delay_alu instid0(VALU_DEP_2) | instskip(NEXT) | instid1(VALU_DEP_2)
	v_add_nc_u32_e32 v33, 1, v4
	v_add_nc_u32_e32 v4, -1, v5
	s_delay_alu instid0(VALU_DEP_2) | instskip(NEXT) | instid1(VALU_DEP_2)
	v_cndmask_b32_e64 v9, v33, v9, s18
	v_min_u32_e32 v4, v33, v4
	s_delay_alu instid0(VALU_DEP_1)
	v_lshl_add_u32 v4, v4, 3, v19
	ds_load_b64 v[4:5], v4
	s_waitcnt lgkmcnt(0)
	v_cndmask_b32_e64 v7, v31, v5, s18
	v_cndmask_b32_e64 v6, v32, v4, s18
	v_cmpx_lt_u32_e64 v9, v26
	s_cbranch_execz .LBB1000_531
; %bb.524:
	v_cndmask_b32_e64 v8, v8, v33, s18
	v_cndmask_b32_e64 v26, v5, v29, s18
	;; [unrolled: 1-line block ×3, first 2 shown]
	s_delay_alu instid0(VALU_DEP_3) | instskip(NEXT) | instid1(VALU_DEP_2)
	v_cmp_ge_u32_e32 vcc_lo, v8, v25
	v_dual_cndmask_b32 v5, v7, v26 :: v_dual_cndmask_b32 v4, v6, v33
	s_or_b32 s3, vcc_lo, s13
	s_delay_alu instid0(SALU_CYCLE_1) | instskip(NEXT) | instid1(SALU_CYCLE_1)
	s_xor_b32 s3, s3, -1
	s_and_saveexec_b32 s21, s3
	s_cbranch_execz .LBB1000_530
; %bb.525:
	v_mad_u64_u32 v[4:5], null, v33, s8, s[10:11]
	v_mul_lo_u32 v25, v33, s9
	v_mul_lo_u32 v34, v26, s8
	v_mad_u64_u32 v[8:9], null, v6, s8, s[10:11]
	v_mul_lo_u32 v35, v6, s9
	v_mul_lo_u32 v36, v7, s8
	s_mov_b32 s22, 0
	s_mov_b64 s[4:5], s[8:9]
                                        ; implicit-def: $sgpr23
                                        ; implicit-def: $sgpr24
                                        ; implicit-def: $sgpr25
                                        ; implicit-def: $sgpr26
                                        ; implicit-def: $sgpr27
	s_delay_alu instid0(VALU_DEP_4) | instskip(NEXT) | instid1(VALU_DEP_2)
	v_add3_u32 v5, v34, v5, v25
	v_add3_u32 v9, v36, v9, v35
	s_set_inst_prefetch_distance 0x1
	s_branch .LBB1000_527
	.p2align	6
.LBB1000_526:                           ;   in Loop: Header=BB1000_527 Depth=1
	s_or_b32 exec_lo, exec_lo, s3
	s_delay_alu instid0(SALU_CYCLE_1) | instskip(NEXT) | instid1(SALU_CYCLE_1)
	s_and_b32 s3, exec_lo, s24
	s_or_b32 s22, s3, s22
	s_and_not1_b32 s3, s27, exec_lo
	s_and_b32 s27, s26, exec_lo
	s_and_not1_b32 s23, s23, exec_lo
	s_and_b32 s28, s25, exec_lo
	s_or_b32 s27, s3, s27
	s_or_b32 s23, s23, s28
	s_and_not1_b32 exec_lo, exec_lo, s22
	s_cbranch_execz .LBB1000_529
.LBB1000_527:                           ; =>This Inner Loop Header: Depth=1
	global_load_u8 v25, v[4:5], off
	global_load_u8 v34, v[8:9], off
	s_and_not1_b32 s25, s25, exec_lo
	s_and_not1_b32 s26, s26, exec_lo
	s_or_b32 s24, s24, exec_lo
	s_waitcnt vmcnt(1)
	v_cmp_eq_u16_e32 vcc_lo, 0, v25
	s_waitcnt vmcnt(0)
	v_cmp_ne_u16_e64 s3, 0, v34
	s_delay_alu instid0(VALU_DEP_1) | instskip(SKIP_4) | instid1(SALU_CYCLE_1)
	s_or_b32 s28, vcc_lo, s3
	s_and_b32 s29, vcc_lo, s3
	s_and_b32 s28, s28, s27
	s_xor_b32 s30, vcc_lo, s3
	s_or_b32 s28, s29, s28
	s_and_b32 s29, s28, exec_lo
	s_delay_alu instid0(SALU_CYCLE_1)
	s_or_b32 s25, s25, s29
	s_and_saveexec_b32 s3, s30
	s_cbranch_execz .LBB1000_526
; %bb.528:                              ;   in Loop: Header=BB1000_527 Depth=1
	s_add_u32 s4, s4, -1
	s_addc_u32 s5, s5, -1
	v_add_co_u32 v4, vcc_lo, v4, 1
	s_cmp_eq_u64 s[4:5], 0
	v_add_co_ci_u32_e32 v5, vcc_lo, 0, v5, vcc_lo
	v_add_co_u32 v8, vcc_lo, v8, 1
	s_cselect_b32 s27, -1, 0
	v_add_co_ci_u32_e32 v9, vcc_lo, 0, v9, vcc_lo
	s_and_not1_b32 s26, s26, exec_lo
	s_and_b32 s28, s28, exec_lo
	s_and_not1_b32 s24, s24, exec_lo
	s_and_b32 s27, s27, exec_lo
	s_or_b32 s26, s26, s28
	s_and_not1_b32 s25, s25, exec_lo
	s_or_b32 s24, s24, s27
                                        ; implicit-def: $sgpr27
	s_branch .LBB1000_526
.LBB1000_529:
	s_set_inst_prefetch_distance 0x2
	s_or_b32 exec_lo, exec_lo, s22
	v_cndmask_b32_e64 v5, v7, v26, s23
	v_cndmask_b32_e64 v4, v6, v33, s23
.LBB1000_530:
	s_or_b32 exec_lo, exec_lo, s21
	s_delay_alu instid0(VALU_DEP_1)
	v_dual_mov_b32 v7, v5 :: v_dual_mov_b32 v6, v4
.LBB1000_531:
	s_or_b32 exec_lo, exec_lo, s20
	v_cndmask_b32_e64 v1, v3, v1, s16
	v_cndmask_b32_e64 v0, v2, v0, s16
	;; [unrolled: 1-line block ×6, first 2 shown]
.LBB1000_532:
	s_or_b32 exec_lo, exec_lo, s15
	v_and_b32_e32 v29, 0x70, v21
	v_and_b32_e32 v9, 12, v21
	s_mov_b32 s15, exec_lo
	; wave barrier
	s_delay_alu instid0(VALU_DEP_2) | instskip(NEXT) | instid1(VALU_DEP_2)
	v_or_b32_e32 v8, 8, v29
	v_min_u32_e32 v30, v20, v9
	v_lshl_add_u32 v28, v29, 3, v19
	ds_store_b128 v24, v[0:3]
	ds_store_b128 v24, v[4:7] offset:16
	v_min_u32_e32 v25, v20, v8
	; wave barrier
	s_delay_alu instid0(VALU_DEP_1) | instskip(SKIP_1) | instid1(VALU_DEP_2)
	v_add_nc_u32_e32 v8, 8, v25
	v_sub_nc_u32_e32 v9, v25, v29
	v_min_u32_e32 v26, v20, v8
	s_delay_alu instid0(VALU_DEP_2) | instskip(NEXT) | instid1(VALU_DEP_2)
	v_min_u32_e32 v31, v30, v9
	v_sub_nc_u32_e32 v8, v26, v25
	s_delay_alu instid0(VALU_DEP_1) | instskip(NEXT) | instid1(VALU_DEP_1)
	v_sub_nc_u32_e64 v27, v30, v8 clamp
	v_cmpx_lt_u32_e64 v27, v31
	s_cbranch_execz .LBB1000_542
; %bb.533:
	v_lshlrev_b32_e32 v8, 3, v25
	v_lshlrev_b32_e32 v9, 3, v30
	s_mov_b32 s16, 0
	s_delay_alu instid0(VALU_DEP_1)
	v_add3_u32 v32, v19, v8, v9
	s_branch .LBB1000_536
.LBB1000_534:                           ;   in Loop: Header=BB1000_536 Depth=1
	s_set_inst_prefetch_distance 0x2
	s_or_b32 exec_lo, exec_lo, s18
.LBB1000_535:                           ;   in Loop: Header=BB1000_536 Depth=1
	s_delay_alu instid0(VALU_DEP_1) | instskip(SKIP_1) | instid1(VALU_DEP_2)
	v_add_nc_u32_e32 v8, 1, v33
	v_cndmask_b32_e64 v31, v31, v33, s19
	v_cndmask_b32_e64 v27, v8, v27, s19
	s_delay_alu instid0(VALU_DEP_1) | instskip(SKIP_1) | instid1(SALU_CYCLE_1)
	v_cmp_ge_u32_e32 vcc_lo, v27, v31
	s_or_b32 s16, vcc_lo, s16
	s_and_not1_b32 exec_lo, exec_lo, s16
	s_cbranch_execz .LBB1000_541
.LBB1000_536:                           ; =>This Loop Header: Depth=1
                                        ;     Child Loop BB1000_539 Depth 2
	v_add_nc_u32_e32 v8, v31, v27
	v_cmp_ne_u32_e32 vcc_lo, 1, v18
	s_mov_b32 s19, 0
	s_delay_alu instid0(VALU_DEP_2)
	v_lshrrev_b32_e32 v33, 1, v8
	s_cbranch_vccnz .LBB1000_535
; %bb.537:                              ;   in Loop: Header=BB1000_536 Depth=1
	s_delay_alu instid0(VALU_DEP_1) | instskip(SKIP_3) | instid1(VALU_DEP_2)
	v_not_b32_e32 v8, v33
	v_lshl_add_u32 v9, v33, 3, v28
	s_mov_b32 s18, 0
	s_mov_b64 s[4:5], s[8:9]
                                        ; implicit-def: $sgpr19
                                        ; implicit-def: $sgpr20
                                        ; implicit-def: $sgpr21
                                        ; implicit-def: $sgpr22
                                        ; implicit-def: $sgpr23
	v_lshl_add_u32 v8, v8, 3, v32
	ds_load_b64 v[10:11], v8
	ds_load_b64 v[34:35], v9
	s_waitcnt lgkmcnt(1)
	v_mul_lo_u32 v36, v10, s9
	v_mul_lo_u32 v37, v11, s8
	v_mad_u64_u32 v[8:9], null, v10, s8, s[10:11]
	s_waitcnt lgkmcnt(0)
	v_mul_lo_u32 v38, v34, s9
	v_mul_lo_u32 v35, v35, s8
	v_mad_u64_u32 v[10:11], null, v34, s8, s[10:11]
	s_delay_alu instid0(VALU_DEP_4) | instskip(NEXT) | instid1(VALU_DEP_2)
	v_add3_u32 v9, v37, v9, v36
	v_add3_u32 v11, v35, v11, v38
	s_set_inst_prefetch_distance 0x1
	s_branch .LBB1000_539
	.p2align	6
.LBB1000_538:                           ;   in Loop: Header=BB1000_539 Depth=2
	s_or_b32 exec_lo, exec_lo, s3
	s_delay_alu instid0(SALU_CYCLE_1) | instskip(NEXT) | instid1(SALU_CYCLE_1)
	s_and_b32 s3, exec_lo, s20
	s_or_b32 s18, s3, s18
	s_and_not1_b32 s3, s23, exec_lo
	s_and_b32 s23, s21, exec_lo
	s_and_not1_b32 s19, s19, exec_lo
	s_and_b32 s24, s22, exec_lo
	s_or_b32 s23, s3, s23
	s_or_b32 s19, s19, s24
	s_and_not1_b32 exec_lo, exec_lo, s18
	s_cbranch_execz .LBB1000_534
.LBB1000_539:                           ;   Parent Loop BB1000_536 Depth=1
                                        ; =>  This Inner Loop Header: Depth=2
	global_load_u8 v34, v[8:9], off
	global_load_u8 v35, v[10:11], off
	s_and_not1_b32 s22, s22, exec_lo
	s_and_not1_b32 s21, s21, exec_lo
	s_or_b32 s20, s20, exec_lo
	s_waitcnt vmcnt(1)
	v_cmp_eq_u16_e32 vcc_lo, 0, v34
	s_waitcnt vmcnt(0)
	v_cmp_ne_u16_e64 s3, 0, v35
	s_delay_alu instid0(VALU_DEP_1) | instskip(SKIP_4) | instid1(SALU_CYCLE_1)
	s_or_b32 s24, vcc_lo, s3
	s_and_b32 s25, vcc_lo, s3
	s_and_b32 s24, s24, s23
	s_xor_b32 s26, vcc_lo, s3
	s_or_b32 s24, s25, s24
	s_and_b32 s25, s24, exec_lo
	s_delay_alu instid0(SALU_CYCLE_1)
	s_or_b32 s22, s22, s25
	s_and_saveexec_b32 s3, s26
	s_cbranch_execz .LBB1000_538
; %bb.540:                              ;   in Loop: Header=BB1000_539 Depth=2
	s_add_u32 s4, s4, -1
	s_addc_u32 s5, s5, -1
	v_add_co_u32 v8, vcc_lo, v8, 1
	v_add_co_ci_u32_e32 v9, vcc_lo, 0, v9, vcc_lo
	s_cmp_eq_u64 s[4:5], 0
	v_add_co_u32 v10, vcc_lo, v10, 1
	s_cselect_b32 s23, -1, 0
	v_add_co_ci_u32_e32 v11, vcc_lo, 0, v11, vcc_lo
	s_and_not1_b32 s21, s21, exec_lo
	s_and_b32 s24, s24, exec_lo
	s_and_not1_b32 s20, s20, exec_lo
	s_and_b32 s23, s23, exec_lo
	s_and_not1_b32 s22, s22, exec_lo
	s_or_b32 s21, s21, s24
	s_or_b32 s20, s20, s23
                                        ; implicit-def: $sgpr23
	s_branch .LBB1000_538
.LBB1000_541:
	s_or_b32 exec_lo, exec_lo, s16
.LBB1000_542:
	s_delay_alu instid0(SALU_CYCLE_1) | instskip(SKIP_2) | instid1(VALU_DEP_2)
	s_or_b32 exec_lo, exec_lo, s15
	v_add_nc_u32_e32 v9, v25, v30
	v_add_nc_u32_e32 v8, v27, v29
	v_sub_nc_u32_e32 v9, v9, v27
	s_delay_alu instid0(VALU_DEP_2) | instskip(NEXT) | instid1(VALU_DEP_2)
	v_cmp_le_u32_e32 vcc_lo, v8, v25
	v_cmp_le_u32_e64 s3, v9, v26
	s_delay_alu instid0(VALU_DEP_1) | instskip(NEXT) | instid1(SALU_CYCLE_1)
	s_or_b32 s3, vcc_lo, s3
	s_and_saveexec_b32 s15, s3
	s_cbranch_execz .LBB1000_578
; %bb.543:
	v_cmp_ge_u32_e32 vcc_lo, v8, v25
	s_mov_b32 s4, exec_lo
                                        ; implicit-def: $vgpr0_vgpr1
	v_cmpx_lt_u32_e64 v8, v25
	s_cbranch_execz .LBB1000_545
; %bb.544:
	v_lshl_add_u32 v0, v27, 3, v28
	ds_load_b64 v[0:1], v0
.LBB1000_545:
	s_or_b32 exec_lo, exec_lo, s4
	v_cmp_ge_u32_e64 s3, v9, v26
	s_mov_b32 s5, exec_lo
                                        ; implicit-def: $vgpr2_vgpr3
	v_cmpx_lt_u32_e64 v9, v26
	s_cbranch_execz .LBB1000_547
; %bb.546:
	v_lshl_add_u32 v2, v9, 3, v19
	ds_load_b64 v[2:3], v2
.LBB1000_547:
	s_or_b32 exec_lo, exec_lo, s5
	s_or_b32 s4, vcc_lo, s3
	s_xor_b32 s5, vcc_lo, -1
	s_or_b32 s4, s4, s13
	s_or_b32 s16, s3, s5
	s_xor_b32 s4, s4, -1
	s_delay_alu instid0(SALU_CYCLE_1)
	s_and_saveexec_b32 s18, s4
	s_cbranch_execz .LBB1000_553
; %bb.548:
	s_waitcnt lgkmcnt(0)
	v_mad_u64_u32 v[4:5], null, v2, s8, s[10:11]
	v_mul_lo_u32 v10, v2, s9
	v_mul_lo_u32 v11, v3, s8
	v_mad_u64_u32 v[6:7], null, v0, s8, s[10:11]
	v_mul_lo_u32 v27, v0, s9
	v_mul_lo_u32 v28, v1, s8
	s_mov_b32 s19, 0
	s_mov_b64 s[4:5], s[8:9]
                                        ; implicit-def: $sgpr20
                                        ; implicit-def: $sgpr21
                                        ; implicit-def: $sgpr22
                                        ; implicit-def: $sgpr23
                                        ; implicit-def: $sgpr24
	s_delay_alu instid0(VALU_DEP_4) | instskip(NEXT) | instid1(VALU_DEP_2)
	v_add3_u32 v5, v11, v5, v10
	v_add3_u32 v7, v28, v7, v27
	s_set_inst_prefetch_distance 0x1
	s_branch .LBB1000_550
	.p2align	6
.LBB1000_549:                           ;   in Loop: Header=BB1000_550 Depth=1
	s_or_b32 exec_lo, exec_lo, s3
	s_delay_alu instid0(SALU_CYCLE_1) | instskip(NEXT) | instid1(SALU_CYCLE_1)
	s_and_b32 s3, exec_lo, s21
	s_or_b32 s19, s3, s19
	s_and_not1_b32 s3, s24, exec_lo
	s_and_b32 s24, s23, exec_lo
	s_and_not1_b32 s20, s20, exec_lo
	s_and_b32 s25, s22, exec_lo
	s_or_b32 s24, s3, s24
	s_or_b32 s20, s20, s25
	s_and_not1_b32 exec_lo, exec_lo, s19
	s_cbranch_execz .LBB1000_552
.LBB1000_550:                           ; =>This Inner Loop Header: Depth=1
	global_load_u8 v10, v[4:5], off
	global_load_u8 v11, v[6:7], off
	s_and_not1_b32 s22, s22, exec_lo
	s_and_not1_b32 s23, s23, exec_lo
	s_or_b32 s21, s21, exec_lo
	s_waitcnt vmcnt(1)
	v_cmp_eq_u16_e32 vcc_lo, 0, v10
	s_waitcnt vmcnt(0)
	v_cmp_ne_u16_e64 s3, 0, v11
	s_delay_alu instid0(VALU_DEP_1) | instskip(SKIP_4) | instid1(SALU_CYCLE_1)
	s_or_b32 s25, vcc_lo, s3
	s_and_b32 s26, vcc_lo, s3
	s_and_b32 s25, s25, s24
	s_xor_b32 s27, vcc_lo, s3
	s_or_b32 s25, s26, s25
	s_and_b32 s26, s25, exec_lo
	s_delay_alu instid0(SALU_CYCLE_1)
	s_or_b32 s22, s22, s26
	s_and_saveexec_b32 s3, s27
	s_cbranch_execz .LBB1000_549
; %bb.551:                              ;   in Loop: Header=BB1000_550 Depth=1
	s_add_u32 s4, s4, -1
	s_addc_u32 s5, s5, -1
	v_add_co_u32 v4, vcc_lo, v4, 1
	s_cmp_eq_u64 s[4:5], 0
	v_add_co_ci_u32_e32 v5, vcc_lo, 0, v5, vcc_lo
	v_add_co_u32 v6, vcc_lo, v6, 1
	s_cselect_b32 s24, -1, 0
	v_add_co_ci_u32_e32 v7, vcc_lo, 0, v7, vcc_lo
	s_and_not1_b32 s23, s23, exec_lo
	s_and_b32 s25, s25, exec_lo
	s_and_not1_b32 s21, s21, exec_lo
	s_and_b32 s24, s24, exec_lo
	s_or_b32 s23, s23, s25
	s_and_not1_b32 s22, s22, exec_lo
	s_or_b32 s21, s21, s24
                                        ; implicit-def: $sgpr24
	s_branch .LBB1000_549
.LBB1000_552:
	s_set_inst_prefetch_distance 0x2
	s_or_b32 exec_lo, exec_lo, s19
	s_xor_b32 s3, s20, -1
	s_and_not1_b32 s4, s16, exec_lo
	s_and_b32 s3, s3, exec_lo
	s_delay_alu instid0(SALU_CYCLE_1)
	s_or_b32 s16, s4, s3
.LBB1000_553:
	s_or_b32 exec_lo, exec_lo, s18
	v_cndmask_b32_e64 v4, v9, v8, s16
	v_cndmask_b32_e64 v5, v26, v25, s16
	s_mov_b32 s18, -1
	s_mov_b32 s19, -1
	s_mov_b32 s20, exec_lo
	v_add_nc_u32_e32 v6, 1, v4
	v_add_nc_u32_e32 v4, -1, v5
	s_delay_alu instid0(VALU_DEP_2) | instskip(NEXT) | instid1(VALU_DEP_2)
	v_cndmask_b32_e64 v9, v6, v9, s16
	v_min_u32_e32 v4, v6, v4
	v_cndmask_b32_e64 v8, v8, v6, s16
	s_delay_alu instid0(VALU_DEP_2)
	v_lshl_add_u32 v4, v4, 3, v19
	ds_load_b64 v[4:5], v4
	s_waitcnt lgkmcnt(0)
	v_cndmask_b32_e64 v10, v5, v3, s16
	v_cndmask_b32_e64 v11, v4, v2, s16
	;; [unrolled: 1-line block ×4, first 2 shown]
	v_cmpx_lt_u32_e64 v9, v26
	s_cbranch_execz .LBB1000_561
; %bb.554:
	v_cmp_lt_u32_e64 s19, v8, v25
	s_delay_alu instid0(VALU_DEP_1) | instskip(NEXT) | instid1(SALU_CYCLE_1)
	s_and_b32 s3, s19, s14
	s_and_saveexec_b32 s21, s3
	s_cbranch_execz .LBB1000_560
; %bb.555:
	v_mad_u64_u32 v[4:5], null, v11, s8, s[10:11]
	v_mul_lo_u32 v29, v11, s9
	v_mul_lo_u32 v30, v10, s8
	v_mad_u64_u32 v[6:7], null, v28, s8, s[10:11]
	v_mul_lo_u32 v31, v28, s9
	v_mul_lo_u32 v32, v27, s8
	s_mov_b32 s22, 0
	s_mov_b64 s[4:5], s[8:9]
                                        ; implicit-def: $sgpr23
                                        ; implicit-def: $sgpr24
                                        ; implicit-def: $sgpr25
                                        ; implicit-def: $sgpr26
                                        ; implicit-def: $sgpr27
	s_delay_alu instid0(VALU_DEP_4) | instskip(NEXT) | instid1(VALU_DEP_2)
	v_add3_u32 v5, v30, v5, v29
	v_add3_u32 v7, v32, v7, v31
	s_set_inst_prefetch_distance 0x1
	s_branch .LBB1000_557
	.p2align	6
.LBB1000_556:                           ;   in Loop: Header=BB1000_557 Depth=1
	s_or_b32 exec_lo, exec_lo, s3
	s_delay_alu instid0(SALU_CYCLE_1) | instskip(NEXT) | instid1(SALU_CYCLE_1)
	s_and_b32 s3, exec_lo, s24
	s_or_b32 s22, s3, s22
	s_and_not1_b32 s3, s27, exec_lo
	s_and_b32 s27, s26, exec_lo
	s_and_not1_b32 s23, s23, exec_lo
	s_and_b32 s28, s25, exec_lo
	s_or_b32 s27, s3, s27
	s_or_b32 s23, s23, s28
	s_and_not1_b32 exec_lo, exec_lo, s22
	s_cbranch_execz .LBB1000_559
.LBB1000_557:                           ; =>This Inner Loop Header: Depth=1
	global_load_u8 v29, v[4:5], off
	global_load_u8 v30, v[6:7], off
	s_and_not1_b32 s25, s25, exec_lo
	s_and_not1_b32 s26, s26, exec_lo
	s_or_b32 s24, s24, exec_lo
	s_waitcnt vmcnt(1)
	v_cmp_eq_u16_e32 vcc_lo, 0, v29
	s_waitcnt vmcnt(0)
	v_cmp_ne_u16_e64 s3, 0, v30
	s_delay_alu instid0(VALU_DEP_1) | instskip(SKIP_4) | instid1(SALU_CYCLE_1)
	s_or_b32 s28, vcc_lo, s3
	s_and_b32 s29, vcc_lo, s3
	s_and_b32 s28, s28, s27
	s_xor_b32 s30, vcc_lo, s3
	s_or_b32 s28, s29, s28
	s_and_b32 s29, s28, exec_lo
	s_delay_alu instid0(SALU_CYCLE_1)
	s_or_b32 s25, s25, s29
	s_and_saveexec_b32 s3, s30
	s_cbranch_execz .LBB1000_556
; %bb.558:                              ;   in Loop: Header=BB1000_557 Depth=1
	s_add_u32 s4, s4, -1
	s_addc_u32 s5, s5, -1
	v_add_co_u32 v4, vcc_lo, v4, 1
	s_cmp_eq_u64 s[4:5], 0
	v_add_co_ci_u32_e32 v5, vcc_lo, 0, v5, vcc_lo
	v_add_co_u32 v6, vcc_lo, v6, 1
	s_cselect_b32 s27, -1, 0
	v_add_co_ci_u32_e32 v7, vcc_lo, 0, v7, vcc_lo
	s_and_not1_b32 s26, s26, exec_lo
	s_and_b32 s28, s28, exec_lo
	s_and_not1_b32 s24, s24, exec_lo
	s_and_b32 s27, s27, exec_lo
	s_or_b32 s26, s26, s28
	s_and_not1_b32 s25, s25, exec_lo
	s_or_b32 s24, s24, s27
                                        ; implicit-def: $sgpr27
	s_branch .LBB1000_556
.LBB1000_559:
	s_set_inst_prefetch_distance 0x2
	s_or_b32 exec_lo, exec_lo, s22
	s_xor_b32 s3, s23, -1
	s_and_not1_b32 s4, s19, exec_lo
	s_and_b32 s3, s3, exec_lo
	s_delay_alu instid0(SALU_CYCLE_1)
	s_or_b32 s19, s4, s3
.LBB1000_560:
	s_or_b32 exec_lo, exec_lo, s21
	s_delay_alu instid0(SALU_CYCLE_1)
	s_or_not1_b32 s19, s19, exec_lo
.LBB1000_561:
	s_or_b32 exec_lo, exec_lo, s20
	v_cndmask_b32_e64 v4, v9, v8, s19
	v_cndmask_b32_e64 v5, v26, v25, s19
	s_mov_b32 s20, exec_lo
	s_delay_alu instid0(VALU_DEP_2) | instskip(NEXT) | instid1(VALU_DEP_2)
	v_add_nc_u32_e32 v6, 1, v4
	v_add_nc_u32_e32 v4, -1, v5
	s_delay_alu instid0(VALU_DEP_2) | instskip(NEXT) | instid1(VALU_DEP_2)
	v_cndmask_b32_e64 v9, v6, v9, s19
	v_min_u32_e32 v4, v6, v4
	v_cndmask_b32_e64 v8, v8, v6, s19
	s_delay_alu instid0(VALU_DEP_2)
	v_lshl_add_u32 v4, v4, 3, v19
	ds_load_b64 v[4:5], v4
	s_waitcnt lgkmcnt(0)
	v_cndmask_b32_e64 v29, v5, v10, s19
	v_cndmask_b32_e64 v30, v4, v11, s19
	;; [unrolled: 1-line block ×4, first 2 shown]
	v_cmpx_lt_u32_e64 v9, v26
	s_cbranch_execz .LBB1000_569
; %bb.562:
	v_cmp_lt_u32_e64 s18, v8, v25
	s_delay_alu instid0(VALU_DEP_1) | instskip(NEXT) | instid1(SALU_CYCLE_1)
	s_and_b32 s3, s18, s14
	s_and_saveexec_b32 s21, s3
	s_cbranch_execz .LBB1000_568
; %bb.563:
	v_mad_u64_u32 v[4:5], null, v30, s8, s[10:11]
	v_mul_lo_u32 v33, v30, s9
	v_mul_lo_u32 v34, v29, s8
	v_mad_u64_u32 v[6:7], null, v32, s8, s[10:11]
	v_mul_lo_u32 v35, v32, s9
	v_mul_lo_u32 v36, v31, s8
	s_mov_b32 s22, 0
	s_mov_b64 s[4:5], s[8:9]
                                        ; implicit-def: $sgpr23
                                        ; implicit-def: $sgpr24
                                        ; implicit-def: $sgpr25
                                        ; implicit-def: $sgpr26
                                        ; implicit-def: $sgpr27
	s_delay_alu instid0(VALU_DEP_4) | instskip(NEXT) | instid1(VALU_DEP_2)
	v_add3_u32 v5, v34, v5, v33
	v_add3_u32 v7, v36, v7, v35
	s_set_inst_prefetch_distance 0x1
	s_branch .LBB1000_565
	.p2align	6
.LBB1000_564:                           ;   in Loop: Header=BB1000_565 Depth=1
	s_or_b32 exec_lo, exec_lo, s3
	s_delay_alu instid0(SALU_CYCLE_1) | instskip(NEXT) | instid1(SALU_CYCLE_1)
	s_and_b32 s3, exec_lo, s24
	s_or_b32 s22, s3, s22
	s_and_not1_b32 s3, s27, exec_lo
	s_and_b32 s27, s26, exec_lo
	s_and_not1_b32 s23, s23, exec_lo
	s_and_b32 s28, s25, exec_lo
	s_or_b32 s27, s3, s27
	s_or_b32 s23, s23, s28
	s_and_not1_b32 exec_lo, exec_lo, s22
	s_cbranch_execz .LBB1000_567
.LBB1000_565:                           ; =>This Inner Loop Header: Depth=1
	global_load_u8 v33, v[4:5], off
	global_load_u8 v34, v[6:7], off
	s_and_not1_b32 s25, s25, exec_lo
	s_and_not1_b32 s26, s26, exec_lo
	s_or_b32 s24, s24, exec_lo
	s_waitcnt vmcnt(1)
	v_cmp_eq_u16_e32 vcc_lo, 0, v33
	s_waitcnt vmcnt(0)
	v_cmp_ne_u16_e64 s3, 0, v34
	s_delay_alu instid0(VALU_DEP_1) | instskip(SKIP_4) | instid1(SALU_CYCLE_1)
	s_or_b32 s28, vcc_lo, s3
	s_and_b32 s29, vcc_lo, s3
	s_and_b32 s28, s28, s27
	s_xor_b32 s30, vcc_lo, s3
	s_or_b32 s28, s29, s28
	s_and_b32 s29, s28, exec_lo
	s_delay_alu instid0(SALU_CYCLE_1)
	s_or_b32 s25, s25, s29
	s_and_saveexec_b32 s3, s30
	s_cbranch_execz .LBB1000_564
; %bb.566:                              ;   in Loop: Header=BB1000_565 Depth=1
	s_add_u32 s4, s4, -1
	s_addc_u32 s5, s5, -1
	v_add_co_u32 v4, vcc_lo, v4, 1
	s_cmp_eq_u64 s[4:5], 0
	v_add_co_ci_u32_e32 v5, vcc_lo, 0, v5, vcc_lo
	v_add_co_u32 v6, vcc_lo, v6, 1
	s_cselect_b32 s27, -1, 0
	v_add_co_ci_u32_e32 v7, vcc_lo, 0, v7, vcc_lo
	s_and_not1_b32 s26, s26, exec_lo
	s_and_b32 s28, s28, exec_lo
	s_and_not1_b32 s24, s24, exec_lo
	s_and_b32 s27, s27, exec_lo
	s_or_b32 s26, s26, s28
	s_and_not1_b32 s25, s25, exec_lo
	s_or_b32 s24, s24, s27
                                        ; implicit-def: $sgpr27
	s_branch .LBB1000_564
.LBB1000_567:
	s_set_inst_prefetch_distance 0x2
	s_or_b32 exec_lo, exec_lo, s22
	s_xor_b32 s3, s23, -1
	s_and_not1_b32 s4, s18, exec_lo
	s_and_b32 s3, s3, exec_lo
	s_delay_alu instid0(SALU_CYCLE_1)
	s_or_b32 s18, s4, s3
.LBB1000_568:
	s_or_b32 exec_lo, exec_lo, s21
	s_delay_alu instid0(SALU_CYCLE_1)
	s_or_not1_b32 s18, s18, exec_lo
.LBB1000_569:
	s_or_b32 exec_lo, exec_lo, s20
	v_cndmask_b32_e64 v4, v9, v8, s18
	v_cndmask_b32_e64 v5, v26, v25, s18
	s_mov_b32 s20, exec_lo
	s_delay_alu instid0(VALU_DEP_2) | instskip(NEXT) | instid1(VALU_DEP_2)
	v_add_nc_u32_e32 v33, 1, v4
	v_add_nc_u32_e32 v4, -1, v5
	s_delay_alu instid0(VALU_DEP_2) | instskip(NEXT) | instid1(VALU_DEP_2)
	v_cndmask_b32_e64 v9, v33, v9, s18
	v_min_u32_e32 v4, v33, v4
	s_delay_alu instid0(VALU_DEP_1)
	v_lshl_add_u32 v4, v4, 3, v19
	ds_load_b64 v[4:5], v4
	s_waitcnt lgkmcnt(0)
	v_cndmask_b32_e64 v7, v31, v5, s18
	v_cndmask_b32_e64 v6, v32, v4, s18
	v_cmpx_lt_u32_e64 v9, v26
	s_cbranch_execz .LBB1000_577
; %bb.570:
	v_cndmask_b32_e64 v8, v8, v33, s18
	v_cndmask_b32_e64 v26, v5, v29, s18
	;; [unrolled: 1-line block ×3, first 2 shown]
	s_delay_alu instid0(VALU_DEP_3) | instskip(NEXT) | instid1(VALU_DEP_2)
	v_cmp_ge_u32_e32 vcc_lo, v8, v25
	v_dual_cndmask_b32 v5, v7, v26 :: v_dual_cndmask_b32 v4, v6, v33
	s_or_b32 s3, vcc_lo, s13
	s_delay_alu instid0(SALU_CYCLE_1) | instskip(NEXT) | instid1(SALU_CYCLE_1)
	s_xor_b32 s3, s3, -1
	s_and_saveexec_b32 s21, s3
	s_cbranch_execz .LBB1000_576
; %bb.571:
	v_mad_u64_u32 v[4:5], null, v33, s8, s[10:11]
	v_mul_lo_u32 v25, v33, s9
	v_mul_lo_u32 v34, v26, s8
	v_mad_u64_u32 v[8:9], null, v6, s8, s[10:11]
	v_mul_lo_u32 v35, v6, s9
	v_mul_lo_u32 v36, v7, s8
	s_mov_b32 s22, 0
	s_mov_b64 s[4:5], s[8:9]
                                        ; implicit-def: $sgpr23
                                        ; implicit-def: $sgpr24
                                        ; implicit-def: $sgpr25
                                        ; implicit-def: $sgpr26
                                        ; implicit-def: $sgpr27
	s_delay_alu instid0(VALU_DEP_4) | instskip(NEXT) | instid1(VALU_DEP_2)
	v_add3_u32 v5, v34, v5, v25
	v_add3_u32 v9, v36, v9, v35
	s_set_inst_prefetch_distance 0x1
	s_branch .LBB1000_573
	.p2align	6
.LBB1000_572:                           ;   in Loop: Header=BB1000_573 Depth=1
	s_or_b32 exec_lo, exec_lo, s3
	s_delay_alu instid0(SALU_CYCLE_1) | instskip(NEXT) | instid1(SALU_CYCLE_1)
	s_and_b32 s3, exec_lo, s24
	s_or_b32 s22, s3, s22
	s_and_not1_b32 s3, s27, exec_lo
	s_and_b32 s27, s26, exec_lo
	s_and_not1_b32 s23, s23, exec_lo
	s_and_b32 s28, s25, exec_lo
	s_or_b32 s27, s3, s27
	s_or_b32 s23, s23, s28
	s_and_not1_b32 exec_lo, exec_lo, s22
	s_cbranch_execz .LBB1000_575
.LBB1000_573:                           ; =>This Inner Loop Header: Depth=1
	global_load_u8 v25, v[4:5], off
	global_load_u8 v34, v[8:9], off
	s_and_not1_b32 s25, s25, exec_lo
	s_and_not1_b32 s26, s26, exec_lo
	s_or_b32 s24, s24, exec_lo
	s_waitcnt vmcnt(1)
	v_cmp_eq_u16_e32 vcc_lo, 0, v25
	s_waitcnt vmcnt(0)
	v_cmp_ne_u16_e64 s3, 0, v34
	s_delay_alu instid0(VALU_DEP_1) | instskip(SKIP_4) | instid1(SALU_CYCLE_1)
	s_or_b32 s28, vcc_lo, s3
	s_and_b32 s29, vcc_lo, s3
	s_and_b32 s28, s28, s27
	s_xor_b32 s30, vcc_lo, s3
	s_or_b32 s28, s29, s28
	s_and_b32 s29, s28, exec_lo
	s_delay_alu instid0(SALU_CYCLE_1)
	s_or_b32 s25, s25, s29
	s_and_saveexec_b32 s3, s30
	s_cbranch_execz .LBB1000_572
; %bb.574:                              ;   in Loop: Header=BB1000_573 Depth=1
	s_add_u32 s4, s4, -1
	s_addc_u32 s5, s5, -1
	v_add_co_u32 v4, vcc_lo, v4, 1
	s_cmp_eq_u64 s[4:5], 0
	v_add_co_ci_u32_e32 v5, vcc_lo, 0, v5, vcc_lo
	v_add_co_u32 v8, vcc_lo, v8, 1
	s_cselect_b32 s27, -1, 0
	v_add_co_ci_u32_e32 v9, vcc_lo, 0, v9, vcc_lo
	s_and_not1_b32 s26, s26, exec_lo
	s_and_b32 s28, s28, exec_lo
	s_and_not1_b32 s24, s24, exec_lo
	s_and_b32 s27, s27, exec_lo
	s_or_b32 s26, s26, s28
	s_and_not1_b32 s25, s25, exec_lo
	s_or_b32 s24, s24, s27
                                        ; implicit-def: $sgpr27
	s_branch .LBB1000_572
.LBB1000_575:
	s_set_inst_prefetch_distance 0x2
	s_or_b32 exec_lo, exec_lo, s22
	v_cndmask_b32_e64 v5, v7, v26, s23
	v_cndmask_b32_e64 v4, v6, v33, s23
.LBB1000_576:
	s_or_b32 exec_lo, exec_lo, s21
	s_delay_alu instid0(VALU_DEP_1)
	v_dual_mov_b32 v7, v5 :: v_dual_mov_b32 v6, v4
.LBB1000_577:
	s_or_b32 exec_lo, exec_lo, s20
	v_cndmask_b32_e64 v1, v3, v1, s16
	v_cndmask_b32_e64 v0, v2, v0, s16
	;; [unrolled: 1-line block ×6, first 2 shown]
.LBB1000_578:
	s_or_b32 exec_lo, exec_lo, s15
	v_and_b32_e32 v29, 0x60, v21
	v_and_b32_e32 v9, 28, v21
	s_mov_b32 s15, exec_lo
	; wave barrier
	s_delay_alu instid0(VALU_DEP_2) | instskip(NEXT) | instid1(VALU_DEP_2)
	v_or_b32_e32 v8, 16, v29
	v_min_u32_e32 v30, v20, v9
	v_lshl_add_u32 v28, v29, 3, v19
	ds_store_b128 v24, v[0:3]
	ds_store_b128 v24, v[4:7] offset:16
	v_min_u32_e32 v25, v20, v8
	; wave barrier
	s_delay_alu instid0(VALU_DEP_1) | instskip(SKIP_1) | instid1(VALU_DEP_2)
	v_add_nc_u32_e32 v8, 16, v25
	v_sub_nc_u32_e32 v9, v25, v29
	v_min_u32_e32 v26, v20, v8
	s_delay_alu instid0(VALU_DEP_2) | instskip(NEXT) | instid1(VALU_DEP_2)
	v_min_u32_e32 v31, v30, v9
	v_sub_nc_u32_e32 v8, v26, v25
	s_delay_alu instid0(VALU_DEP_1) | instskip(NEXT) | instid1(VALU_DEP_1)
	v_sub_nc_u32_e64 v27, v30, v8 clamp
	v_cmpx_lt_u32_e64 v27, v31
	s_cbranch_execz .LBB1000_588
; %bb.579:
	v_lshlrev_b32_e32 v8, 3, v25
	v_lshlrev_b32_e32 v9, 3, v30
	s_mov_b32 s16, 0
	s_delay_alu instid0(VALU_DEP_1)
	v_add3_u32 v32, v19, v8, v9
	s_branch .LBB1000_582
.LBB1000_580:                           ;   in Loop: Header=BB1000_582 Depth=1
	s_set_inst_prefetch_distance 0x2
	s_or_b32 exec_lo, exec_lo, s18
.LBB1000_581:                           ;   in Loop: Header=BB1000_582 Depth=1
	s_delay_alu instid0(VALU_DEP_1) | instskip(SKIP_1) | instid1(VALU_DEP_2)
	v_add_nc_u32_e32 v8, 1, v33
	v_cndmask_b32_e64 v31, v31, v33, s19
	v_cndmask_b32_e64 v27, v8, v27, s19
	s_delay_alu instid0(VALU_DEP_1) | instskip(SKIP_1) | instid1(SALU_CYCLE_1)
	v_cmp_ge_u32_e32 vcc_lo, v27, v31
	s_or_b32 s16, vcc_lo, s16
	s_and_not1_b32 exec_lo, exec_lo, s16
	s_cbranch_execz .LBB1000_587
.LBB1000_582:                           ; =>This Loop Header: Depth=1
                                        ;     Child Loop BB1000_585 Depth 2
	v_add_nc_u32_e32 v8, v31, v27
	v_cmp_ne_u32_e32 vcc_lo, 1, v18
	s_mov_b32 s19, 0
	s_delay_alu instid0(VALU_DEP_2)
	v_lshrrev_b32_e32 v33, 1, v8
	s_cbranch_vccnz .LBB1000_581
; %bb.583:                              ;   in Loop: Header=BB1000_582 Depth=1
	s_delay_alu instid0(VALU_DEP_1) | instskip(SKIP_3) | instid1(VALU_DEP_2)
	v_not_b32_e32 v8, v33
	v_lshl_add_u32 v9, v33, 3, v28
	s_mov_b32 s18, 0
	s_mov_b64 s[4:5], s[8:9]
                                        ; implicit-def: $sgpr19
                                        ; implicit-def: $sgpr20
                                        ; implicit-def: $sgpr21
                                        ; implicit-def: $sgpr22
                                        ; implicit-def: $sgpr23
	v_lshl_add_u32 v8, v8, 3, v32
	ds_load_b64 v[10:11], v8
	ds_load_b64 v[34:35], v9
	s_waitcnt lgkmcnt(1)
	v_mul_lo_u32 v36, v10, s9
	v_mul_lo_u32 v37, v11, s8
	v_mad_u64_u32 v[8:9], null, v10, s8, s[10:11]
	s_waitcnt lgkmcnt(0)
	v_mul_lo_u32 v38, v34, s9
	v_mul_lo_u32 v35, v35, s8
	v_mad_u64_u32 v[10:11], null, v34, s8, s[10:11]
	s_delay_alu instid0(VALU_DEP_4) | instskip(NEXT) | instid1(VALU_DEP_2)
	v_add3_u32 v9, v37, v9, v36
	v_add3_u32 v11, v35, v11, v38
	s_set_inst_prefetch_distance 0x1
	s_branch .LBB1000_585
	.p2align	6
.LBB1000_584:                           ;   in Loop: Header=BB1000_585 Depth=2
	s_or_b32 exec_lo, exec_lo, s3
	s_delay_alu instid0(SALU_CYCLE_1) | instskip(NEXT) | instid1(SALU_CYCLE_1)
	s_and_b32 s3, exec_lo, s20
	s_or_b32 s18, s3, s18
	s_and_not1_b32 s3, s23, exec_lo
	s_and_b32 s23, s21, exec_lo
	s_and_not1_b32 s19, s19, exec_lo
	s_and_b32 s24, s22, exec_lo
	s_or_b32 s23, s3, s23
	s_or_b32 s19, s19, s24
	s_and_not1_b32 exec_lo, exec_lo, s18
	s_cbranch_execz .LBB1000_580
.LBB1000_585:                           ;   Parent Loop BB1000_582 Depth=1
                                        ; =>  This Inner Loop Header: Depth=2
	global_load_u8 v34, v[8:9], off
	global_load_u8 v35, v[10:11], off
	s_and_not1_b32 s22, s22, exec_lo
	s_and_not1_b32 s21, s21, exec_lo
	s_or_b32 s20, s20, exec_lo
	s_waitcnt vmcnt(1)
	v_cmp_eq_u16_e32 vcc_lo, 0, v34
	s_waitcnt vmcnt(0)
	v_cmp_ne_u16_e64 s3, 0, v35
	s_delay_alu instid0(VALU_DEP_1) | instskip(SKIP_4) | instid1(SALU_CYCLE_1)
	s_or_b32 s24, vcc_lo, s3
	s_and_b32 s25, vcc_lo, s3
	s_and_b32 s24, s24, s23
	s_xor_b32 s26, vcc_lo, s3
	s_or_b32 s24, s25, s24
	s_and_b32 s25, s24, exec_lo
	s_delay_alu instid0(SALU_CYCLE_1)
	s_or_b32 s22, s22, s25
	s_and_saveexec_b32 s3, s26
	s_cbranch_execz .LBB1000_584
; %bb.586:                              ;   in Loop: Header=BB1000_585 Depth=2
	s_add_u32 s4, s4, -1
	s_addc_u32 s5, s5, -1
	v_add_co_u32 v8, vcc_lo, v8, 1
	v_add_co_ci_u32_e32 v9, vcc_lo, 0, v9, vcc_lo
	s_cmp_eq_u64 s[4:5], 0
	v_add_co_u32 v10, vcc_lo, v10, 1
	s_cselect_b32 s23, -1, 0
	v_add_co_ci_u32_e32 v11, vcc_lo, 0, v11, vcc_lo
	s_and_not1_b32 s21, s21, exec_lo
	s_and_b32 s24, s24, exec_lo
	s_and_not1_b32 s20, s20, exec_lo
	s_and_b32 s23, s23, exec_lo
	s_and_not1_b32 s22, s22, exec_lo
	s_or_b32 s21, s21, s24
	s_or_b32 s20, s20, s23
                                        ; implicit-def: $sgpr23
	s_branch .LBB1000_584
.LBB1000_587:
	s_or_b32 exec_lo, exec_lo, s16
.LBB1000_588:
	s_delay_alu instid0(SALU_CYCLE_1) | instskip(SKIP_2) | instid1(VALU_DEP_2)
	s_or_b32 exec_lo, exec_lo, s15
	v_add_nc_u32_e32 v9, v25, v30
	v_add_nc_u32_e32 v8, v27, v29
	v_sub_nc_u32_e32 v9, v9, v27
	s_delay_alu instid0(VALU_DEP_2) | instskip(NEXT) | instid1(VALU_DEP_2)
	v_cmp_le_u32_e32 vcc_lo, v8, v25
	v_cmp_le_u32_e64 s3, v9, v26
	s_delay_alu instid0(VALU_DEP_1) | instskip(NEXT) | instid1(SALU_CYCLE_1)
	s_or_b32 s3, vcc_lo, s3
	s_and_saveexec_b32 s15, s3
	s_cbranch_execz .LBB1000_624
; %bb.589:
	v_cmp_ge_u32_e32 vcc_lo, v8, v25
	s_mov_b32 s4, exec_lo
                                        ; implicit-def: $vgpr0_vgpr1
	v_cmpx_lt_u32_e64 v8, v25
	s_cbranch_execz .LBB1000_591
; %bb.590:
	v_lshl_add_u32 v0, v27, 3, v28
	ds_load_b64 v[0:1], v0
.LBB1000_591:
	s_or_b32 exec_lo, exec_lo, s4
	v_cmp_ge_u32_e64 s3, v9, v26
	s_mov_b32 s5, exec_lo
                                        ; implicit-def: $vgpr2_vgpr3
	v_cmpx_lt_u32_e64 v9, v26
	s_cbranch_execz .LBB1000_593
; %bb.592:
	v_lshl_add_u32 v2, v9, 3, v19
	ds_load_b64 v[2:3], v2
.LBB1000_593:
	s_or_b32 exec_lo, exec_lo, s5
	s_or_b32 s4, vcc_lo, s3
	s_xor_b32 s5, vcc_lo, -1
	s_or_b32 s4, s4, s13
	s_or_b32 s16, s3, s5
	s_xor_b32 s4, s4, -1
	s_delay_alu instid0(SALU_CYCLE_1)
	s_and_saveexec_b32 s18, s4
	s_cbranch_execz .LBB1000_599
; %bb.594:
	s_waitcnt lgkmcnt(0)
	v_mad_u64_u32 v[4:5], null, v2, s8, s[10:11]
	v_mul_lo_u32 v10, v2, s9
	v_mul_lo_u32 v11, v3, s8
	v_mad_u64_u32 v[6:7], null, v0, s8, s[10:11]
	v_mul_lo_u32 v27, v0, s9
	v_mul_lo_u32 v28, v1, s8
	s_mov_b32 s19, 0
	s_mov_b64 s[4:5], s[8:9]
                                        ; implicit-def: $sgpr20
                                        ; implicit-def: $sgpr21
                                        ; implicit-def: $sgpr22
                                        ; implicit-def: $sgpr23
                                        ; implicit-def: $sgpr24
	s_delay_alu instid0(VALU_DEP_4) | instskip(NEXT) | instid1(VALU_DEP_2)
	v_add3_u32 v5, v11, v5, v10
	v_add3_u32 v7, v28, v7, v27
	s_set_inst_prefetch_distance 0x1
	s_branch .LBB1000_596
	.p2align	6
.LBB1000_595:                           ;   in Loop: Header=BB1000_596 Depth=1
	s_or_b32 exec_lo, exec_lo, s3
	s_delay_alu instid0(SALU_CYCLE_1) | instskip(NEXT) | instid1(SALU_CYCLE_1)
	s_and_b32 s3, exec_lo, s21
	s_or_b32 s19, s3, s19
	s_and_not1_b32 s3, s24, exec_lo
	s_and_b32 s24, s23, exec_lo
	s_and_not1_b32 s20, s20, exec_lo
	s_and_b32 s25, s22, exec_lo
	s_or_b32 s24, s3, s24
	s_or_b32 s20, s20, s25
	s_and_not1_b32 exec_lo, exec_lo, s19
	s_cbranch_execz .LBB1000_598
.LBB1000_596:                           ; =>This Inner Loop Header: Depth=1
	global_load_u8 v10, v[4:5], off
	global_load_u8 v11, v[6:7], off
	s_and_not1_b32 s22, s22, exec_lo
	s_and_not1_b32 s23, s23, exec_lo
	s_or_b32 s21, s21, exec_lo
	s_waitcnt vmcnt(1)
	v_cmp_eq_u16_e32 vcc_lo, 0, v10
	s_waitcnt vmcnt(0)
	v_cmp_ne_u16_e64 s3, 0, v11
	s_delay_alu instid0(VALU_DEP_1) | instskip(SKIP_4) | instid1(SALU_CYCLE_1)
	s_or_b32 s25, vcc_lo, s3
	s_and_b32 s26, vcc_lo, s3
	s_and_b32 s25, s25, s24
	s_xor_b32 s27, vcc_lo, s3
	s_or_b32 s25, s26, s25
	s_and_b32 s26, s25, exec_lo
	s_delay_alu instid0(SALU_CYCLE_1)
	s_or_b32 s22, s22, s26
	s_and_saveexec_b32 s3, s27
	s_cbranch_execz .LBB1000_595
; %bb.597:                              ;   in Loop: Header=BB1000_596 Depth=1
	s_add_u32 s4, s4, -1
	s_addc_u32 s5, s5, -1
	v_add_co_u32 v4, vcc_lo, v4, 1
	s_cmp_eq_u64 s[4:5], 0
	v_add_co_ci_u32_e32 v5, vcc_lo, 0, v5, vcc_lo
	v_add_co_u32 v6, vcc_lo, v6, 1
	s_cselect_b32 s24, -1, 0
	v_add_co_ci_u32_e32 v7, vcc_lo, 0, v7, vcc_lo
	s_and_not1_b32 s23, s23, exec_lo
	s_and_b32 s25, s25, exec_lo
	s_and_not1_b32 s21, s21, exec_lo
	s_and_b32 s24, s24, exec_lo
	s_or_b32 s23, s23, s25
	s_and_not1_b32 s22, s22, exec_lo
	s_or_b32 s21, s21, s24
                                        ; implicit-def: $sgpr24
	s_branch .LBB1000_595
.LBB1000_598:
	s_set_inst_prefetch_distance 0x2
	s_or_b32 exec_lo, exec_lo, s19
	s_xor_b32 s3, s20, -1
	s_and_not1_b32 s4, s16, exec_lo
	s_and_b32 s3, s3, exec_lo
	s_delay_alu instid0(SALU_CYCLE_1)
	s_or_b32 s16, s4, s3
.LBB1000_599:
	s_or_b32 exec_lo, exec_lo, s18
	v_cndmask_b32_e64 v4, v9, v8, s16
	v_cndmask_b32_e64 v5, v26, v25, s16
	s_mov_b32 s18, -1
	s_mov_b32 s19, -1
	s_mov_b32 s20, exec_lo
	v_add_nc_u32_e32 v6, 1, v4
	v_add_nc_u32_e32 v4, -1, v5
	s_delay_alu instid0(VALU_DEP_2) | instskip(NEXT) | instid1(VALU_DEP_2)
	v_cndmask_b32_e64 v9, v6, v9, s16
	v_min_u32_e32 v4, v6, v4
	v_cndmask_b32_e64 v8, v8, v6, s16
	s_delay_alu instid0(VALU_DEP_2)
	v_lshl_add_u32 v4, v4, 3, v19
	ds_load_b64 v[4:5], v4
	s_waitcnt lgkmcnt(0)
	v_cndmask_b32_e64 v10, v5, v3, s16
	v_cndmask_b32_e64 v11, v4, v2, s16
	v_cndmask_b32_e64 v27, v1, v5, s16
	v_cndmask_b32_e64 v28, v0, v4, s16
	v_cmpx_lt_u32_e64 v9, v26
	s_cbranch_execz .LBB1000_607
; %bb.600:
	v_cmp_lt_u32_e64 s19, v8, v25
	s_delay_alu instid0(VALU_DEP_1) | instskip(NEXT) | instid1(SALU_CYCLE_1)
	s_and_b32 s3, s19, s14
	s_and_saveexec_b32 s21, s3
	s_cbranch_execz .LBB1000_606
; %bb.601:
	v_mad_u64_u32 v[4:5], null, v11, s8, s[10:11]
	v_mul_lo_u32 v29, v11, s9
	v_mul_lo_u32 v30, v10, s8
	v_mad_u64_u32 v[6:7], null, v28, s8, s[10:11]
	v_mul_lo_u32 v31, v28, s9
	v_mul_lo_u32 v32, v27, s8
	s_mov_b32 s22, 0
	s_mov_b64 s[4:5], s[8:9]
                                        ; implicit-def: $sgpr23
                                        ; implicit-def: $sgpr24
                                        ; implicit-def: $sgpr25
                                        ; implicit-def: $sgpr26
                                        ; implicit-def: $sgpr27
	s_delay_alu instid0(VALU_DEP_4) | instskip(NEXT) | instid1(VALU_DEP_2)
	v_add3_u32 v5, v30, v5, v29
	v_add3_u32 v7, v32, v7, v31
	s_set_inst_prefetch_distance 0x1
	s_branch .LBB1000_603
	.p2align	6
.LBB1000_602:                           ;   in Loop: Header=BB1000_603 Depth=1
	s_or_b32 exec_lo, exec_lo, s3
	s_delay_alu instid0(SALU_CYCLE_1) | instskip(NEXT) | instid1(SALU_CYCLE_1)
	s_and_b32 s3, exec_lo, s24
	s_or_b32 s22, s3, s22
	s_and_not1_b32 s3, s27, exec_lo
	s_and_b32 s27, s26, exec_lo
	s_and_not1_b32 s23, s23, exec_lo
	s_and_b32 s28, s25, exec_lo
	s_or_b32 s27, s3, s27
	s_or_b32 s23, s23, s28
	s_and_not1_b32 exec_lo, exec_lo, s22
	s_cbranch_execz .LBB1000_605
.LBB1000_603:                           ; =>This Inner Loop Header: Depth=1
	global_load_u8 v29, v[4:5], off
	global_load_u8 v30, v[6:7], off
	s_and_not1_b32 s25, s25, exec_lo
	s_and_not1_b32 s26, s26, exec_lo
	s_or_b32 s24, s24, exec_lo
	s_waitcnt vmcnt(1)
	v_cmp_eq_u16_e32 vcc_lo, 0, v29
	s_waitcnt vmcnt(0)
	v_cmp_ne_u16_e64 s3, 0, v30
	s_delay_alu instid0(VALU_DEP_1) | instskip(SKIP_4) | instid1(SALU_CYCLE_1)
	s_or_b32 s28, vcc_lo, s3
	s_and_b32 s29, vcc_lo, s3
	s_and_b32 s28, s28, s27
	s_xor_b32 s30, vcc_lo, s3
	s_or_b32 s28, s29, s28
	s_and_b32 s29, s28, exec_lo
	s_delay_alu instid0(SALU_CYCLE_1)
	s_or_b32 s25, s25, s29
	s_and_saveexec_b32 s3, s30
	s_cbranch_execz .LBB1000_602
; %bb.604:                              ;   in Loop: Header=BB1000_603 Depth=1
	s_add_u32 s4, s4, -1
	s_addc_u32 s5, s5, -1
	v_add_co_u32 v4, vcc_lo, v4, 1
	s_cmp_eq_u64 s[4:5], 0
	v_add_co_ci_u32_e32 v5, vcc_lo, 0, v5, vcc_lo
	v_add_co_u32 v6, vcc_lo, v6, 1
	s_cselect_b32 s27, -1, 0
	v_add_co_ci_u32_e32 v7, vcc_lo, 0, v7, vcc_lo
	s_and_not1_b32 s26, s26, exec_lo
	s_and_b32 s28, s28, exec_lo
	s_and_not1_b32 s24, s24, exec_lo
	s_and_b32 s27, s27, exec_lo
	s_or_b32 s26, s26, s28
	s_and_not1_b32 s25, s25, exec_lo
	s_or_b32 s24, s24, s27
                                        ; implicit-def: $sgpr27
	s_branch .LBB1000_602
.LBB1000_605:
	s_set_inst_prefetch_distance 0x2
	s_or_b32 exec_lo, exec_lo, s22
	s_xor_b32 s3, s23, -1
	s_and_not1_b32 s4, s19, exec_lo
	s_and_b32 s3, s3, exec_lo
	s_delay_alu instid0(SALU_CYCLE_1)
	s_or_b32 s19, s4, s3
.LBB1000_606:
	s_or_b32 exec_lo, exec_lo, s21
	s_delay_alu instid0(SALU_CYCLE_1)
	s_or_not1_b32 s19, s19, exec_lo
.LBB1000_607:
	s_or_b32 exec_lo, exec_lo, s20
	v_cndmask_b32_e64 v4, v9, v8, s19
	v_cndmask_b32_e64 v5, v26, v25, s19
	s_mov_b32 s20, exec_lo
	s_delay_alu instid0(VALU_DEP_2) | instskip(NEXT) | instid1(VALU_DEP_2)
	v_add_nc_u32_e32 v6, 1, v4
	v_add_nc_u32_e32 v4, -1, v5
	s_delay_alu instid0(VALU_DEP_2) | instskip(NEXT) | instid1(VALU_DEP_2)
	v_cndmask_b32_e64 v9, v6, v9, s19
	v_min_u32_e32 v4, v6, v4
	v_cndmask_b32_e64 v8, v8, v6, s19
	s_delay_alu instid0(VALU_DEP_2)
	v_lshl_add_u32 v4, v4, 3, v19
	ds_load_b64 v[4:5], v4
	s_waitcnt lgkmcnt(0)
	v_cndmask_b32_e64 v29, v5, v10, s19
	v_cndmask_b32_e64 v30, v4, v11, s19
	;; [unrolled: 1-line block ×4, first 2 shown]
	v_cmpx_lt_u32_e64 v9, v26
	s_cbranch_execz .LBB1000_615
; %bb.608:
	v_cmp_lt_u32_e64 s18, v8, v25
	s_delay_alu instid0(VALU_DEP_1) | instskip(NEXT) | instid1(SALU_CYCLE_1)
	s_and_b32 s3, s18, s14
	s_and_saveexec_b32 s21, s3
	s_cbranch_execz .LBB1000_614
; %bb.609:
	v_mad_u64_u32 v[4:5], null, v30, s8, s[10:11]
	v_mul_lo_u32 v33, v30, s9
	v_mul_lo_u32 v34, v29, s8
	v_mad_u64_u32 v[6:7], null, v32, s8, s[10:11]
	v_mul_lo_u32 v35, v32, s9
	v_mul_lo_u32 v36, v31, s8
	s_mov_b32 s22, 0
	s_mov_b64 s[4:5], s[8:9]
                                        ; implicit-def: $sgpr23
                                        ; implicit-def: $sgpr24
                                        ; implicit-def: $sgpr25
                                        ; implicit-def: $sgpr26
                                        ; implicit-def: $sgpr27
	s_delay_alu instid0(VALU_DEP_4) | instskip(NEXT) | instid1(VALU_DEP_2)
	v_add3_u32 v5, v34, v5, v33
	v_add3_u32 v7, v36, v7, v35
	s_set_inst_prefetch_distance 0x1
	s_branch .LBB1000_611
	.p2align	6
.LBB1000_610:                           ;   in Loop: Header=BB1000_611 Depth=1
	s_or_b32 exec_lo, exec_lo, s3
	s_delay_alu instid0(SALU_CYCLE_1) | instskip(NEXT) | instid1(SALU_CYCLE_1)
	s_and_b32 s3, exec_lo, s24
	s_or_b32 s22, s3, s22
	s_and_not1_b32 s3, s27, exec_lo
	s_and_b32 s27, s26, exec_lo
	s_and_not1_b32 s23, s23, exec_lo
	s_and_b32 s28, s25, exec_lo
	s_or_b32 s27, s3, s27
	s_or_b32 s23, s23, s28
	s_and_not1_b32 exec_lo, exec_lo, s22
	s_cbranch_execz .LBB1000_613
.LBB1000_611:                           ; =>This Inner Loop Header: Depth=1
	global_load_u8 v33, v[4:5], off
	global_load_u8 v34, v[6:7], off
	s_and_not1_b32 s25, s25, exec_lo
	s_and_not1_b32 s26, s26, exec_lo
	s_or_b32 s24, s24, exec_lo
	s_waitcnt vmcnt(1)
	v_cmp_eq_u16_e32 vcc_lo, 0, v33
	s_waitcnt vmcnt(0)
	v_cmp_ne_u16_e64 s3, 0, v34
	s_delay_alu instid0(VALU_DEP_1) | instskip(SKIP_4) | instid1(SALU_CYCLE_1)
	s_or_b32 s28, vcc_lo, s3
	s_and_b32 s29, vcc_lo, s3
	s_and_b32 s28, s28, s27
	s_xor_b32 s30, vcc_lo, s3
	s_or_b32 s28, s29, s28
	s_and_b32 s29, s28, exec_lo
	s_delay_alu instid0(SALU_CYCLE_1)
	s_or_b32 s25, s25, s29
	s_and_saveexec_b32 s3, s30
	s_cbranch_execz .LBB1000_610
; %bb.612:                              ;   in Loop: Header=BB1000_611 Depth=1
	s_add_u32 s4, s4, -1
	s_addc_u32 s5, s5, -1
	v_add_co_u32 v4, vcc_lo, v4, 1
	s_cmp_eq_u64 s[4:5], 0
	v_add_co_ci_u32_e32 v5, vcc_lo, 0, v5, vcc_lo
	v_add_co_u32 v6, vcc_lo, v6, 1
	s_cselect_b32 s27, -1, 0
	v_add_co_ci_u32_e32 v7, vcc_lo, 0, v7, vcc_lo
	s_and_not1_b32 s26, s26, exec_lo
	s_and_b32 s28, s28, exec_lo
	s_and_not1_b32 s24, s24, exec_lo
	s_and_b32 s27, s27, exec_lo
	s_or_b32 s26, s26, s28
	s_and_not1_b32 s25, s25, exec_lo
	s_or_b32 s24, s24, s27
                                        ; implicit-def: $sgpr27
	s_branch .LBB1000_610
.LBB1000_613:
	s_set_inst_prefetch_distance 0x2
	s_or_b32 exec_lo, exec_lo, s22
	s_xor_b32 s3, s23, -1
	s_and_not1_b32 s4, s18, exec_lo
	s_and_b32 s3, s3, exec_lo
	s_delay_alu instid0(SALU_CYCLE_1)
	s_or_b32 s18, s4, s3
.LBB1000_614:
	s_or_b32 exec_lo, exec_lo, s21
	s_delay_alu instid0(SALU_CYCLE_1)
	s_or_not1_b32 s18, s18, exec_lo
.LBB1000_615:
	s_or_b32 exec_lo, exec_lo, s20
	v_cndmask_b32_e64 v4, v9, v8, s18
	v_cndmask_b32_e64 v5, v26, v25, s18
	s_mov_b32 s20, exec_lo
	s_delay_alu instid0(VALU_DEP_2) | instskip(NEXT) | instid1(VALU_DEP_2)
	v_add_nc_u32_e32 v33, 1, v4
	v_add_nc_u32_e32 v4, -1, v5
	s_delay_alu instid0(VALU_DEP_2) | instskip(NEXT) | instid1(VALU_DEP_2)
	v_cndmask_b32_e64 v9, v33, v9, s18
	v_min_u32_e32 v4, v33, v4
	s_delay_alu instid0(VALU_DEP_1)
	v_lshl_add_u32 v4, v4, 3, v19
	ds_load_b64 v[4:5], v4
	s_waitcnt lgkmcnt(0)
	v_cndmask_b32_e64 v7, v31, v5, s18
	v_cndmask_b32_e64 v6, v32, v4, s18
	v_cmpx_lt_u32_e64 v9, v26
	s_cbranch_execz .LBB1000_623
; %bb.616:
	v_cndmask_b32_e64 v8, v8, v33, s18
	v_cndmask_b32_e64 v26, v5, v29, s18
	;; [unrolled: 1-line block ×3, first 2 shown]
	s_delay_alu instid0(VALU_DEP_3) | instskip(NEXT) | instid1(VALU_DEP_2)
	v_cmp_ge_u32_e32 vcc_lo, v8, v25
	v_dual_cndmask_b32 v5, v7, v26 :: v_dual_cndmask_b32 v4, v6, v33
	s_or_b32 s3, vcc_lo, s13
	s_delay_alu instid0(SALU_CYCLE_1) | instskip(NEXT) | instid1(SALU_CYCLE_1)
	s_xor_b32 s3, s3, -1
	s_and_saveexec_b32 s21, s3
	s_cbranch_execz .LBB1000_622
; %bb.617:
	v_mad_u64_u32 v[4:5], null, v33, s8, s[10:11]
	v_mul_lo_u32 v25, v33, s9
	v_mul_lo_u32 v34, v26, s8
	v_mad_u64_u32 v[8:9], null, v6, s8, s[10:11]
	v_mul_lo_u32 v35, v6, s9
	v_mul_lo_u32 v36, v7, s8
	s_mov_b32 s22, 0
	s_mov_b64 s[4:5], s[8:9]
                                        ; implicit-def: $sgpr23
                                        ; implicit-def: $sgpr24
                                        ; implicit-def: $sgpr25
                                        ; implicit-def: $sgpr26
                                        ; implicit-def: $sgpr27
	s_delay_alu instid0(VALU_DEP_4) | instskip(NEXT) | instid1(VALU_DEP_2)
	v_add3_u32 v5, v34, v5, v25
	v_add3_u32 v9, v36, v9, v35
	s_set_inst_prefetch_distance 0x1
	s_branch .LBB1000_619
	.p2align	6
.LBB1000_618:                           ;   in Loop: Header=BB1000_619 Depth=1
	s_or_b32 exec_lo, exec_lo, s3
	s_delay_alu instid0(SALU_CYCLE_1) | instskip(NEXT) | instid1(SALU_CYCLE_1)
	s_and_b32 s3, exec_lo, s24
	s_or_b32 s22, s3, s22
	s_and_not1_b32 s3, s27, exec_lo
	s_and_b32 s27, s26, exec_lo
	s_and_not1_b32 s23, s23, exec_lo
	s_and_b32 s28, s25, exec_lo
	s_or_b32 s27, s3, s27
	s_or_b32 s23, s23, s28
	s_and_not1_b32 exec_lo, exec_lo, s22
	s_cbranch_execz .LBB1000_621
.LBB1000_619:                           ; =>This Inner Loop Header: Depth=1
	global_load_u8 v25, v[4:5], off
	global_load_u8 v34, v[8:9], off
	s_and_not1_b32 s25, s25, exec_lo
	s_and_not1_b32 s26, s26, exec_lo
	s_or_b32 s24, s24, exec_lo
	s_waitcnt vmcnt(1)
	v_cmp_eq_u16_e32 vcc_lo, 0, v25
	s_waitcnt vmcnt(0)
	v_cmp_ne_u16_e64 s3, 0, v34
	s_delay_alu instid0(VALU_DEP_1) | instskip(SKIP_4) | instid1(SALU_CYCLE_1)
	s_or_b32 s28, vcc_lo, s3
	s_and_b32 s29, vcc_lo, s3
	s_and_b32 s28, s28, s27
	s_xor_b32 s30, vcc_lo, s3
	s_or_b32 s28, s29, s28
	s_and_b32 s29, s28, exec_lo
	s_delay_alu instid0(SALU_CYCLE_1)
	s_or_b32 s25, s25, s29
	s_and_saveexec_b32 s3, s30
	s_cbranch_execz .LBB1000_618
; %bb.620:                              ;   in Loop: Header=BB1000_619 Depth=1
	s_add_u32 s4, s4, -1
	s_addc_u32 s5, s5, -1
	v_add_co_u32 v4, vcc_lo, v4, 1
	s_cmp_eq_u64 s[4:5], 0
	v_add_co_ci_u32_e32 v5, vcc_lo, 0, v5, vcc_lo
	v_add_co_u32 v8, vcc_lo, v8, 1
	s_cselect_b32 s27, -1, 0
	v_add_co_ci_u32_e32 v9, vcc_lo, 0, v9, vcc_lo
	s_and_not1_b32 s26, s26, exec_lo
	s_and_b32 s28, s28, exec_lo
	s_and_not1_b32 s24, s24, exec_lo
	s_and_b32 s27, s27, exec_lo
	s_or_b32 s26, s26, s28
	s_and_not1_b32 s25, s25, exec_lo
	s_or_b32 s24, s24, s27
                                        ; implicit-def: $sgpr27
	s_branch .LBB1000_618
.LBB1000_621:
	s_set_inst_prefetch_distance 0x2
	s_or_b32 exec_lo, exec_lo, s22
	v_cndmask_b32_e64 v5, v7, v26, s23
	v_cndmask_b32_e64 v4, v6, v33, s23
.LBB1000_622:
	s_or_b32 exec_lo, exec_lo, s21
	s_delay_alu instid0(VALU_DEP_1)
	v_dual_mov_b32 v7, v5 :: v_dual_mov_b32 v6, v4
.LBB1000_623:
	s_or_b32 exec_lo, exec_lo, s20
	v_cndmask_b32_e64 v1, v3, v1, s16
	v_cndmask_b32_e64 v0, v2, v0, s16
	;; [unrolled: 1-line block ×6, first 2 shown]
.LBB1000_624:
	s_or_b32 exec_lo, exec_lo, s15
	v_and_b32_e32 v27, 64, v21
	v_and_b32_e32 v9, 60, v21
	s_mov_b32 s15, exec_lo
	; wave barrier
	s_delay_alu instid0(VALU_DEP_2) | instskip(NEXT) | instid1(VALU_DEP_2)
	v_or_b32_e32 v8, 32, v27
	v_min_u32_e32 v28, v20, v9
	v_lshl_add_u32 v26, v27, 3, v19
	ds_store_b128 v24, v[0:3]
	ds_store_b128 v24, v[4:7] offset:16
	v_min_u32_e32 v25, v20, v8
	; wave barrier
	s_delay_alu instid0(VALU_DEP_1) | instskip(SKIP_1) | instid1(VALU_DEP_2)
	v_add_nc_u32_e32 v8, 32, v25
	v_sub_nc_u32_e32 v9, v25, v27
	v_min_u32_e32 v21, v20, v8
	s_delay_alu instid0(VALU_DEP_2) | instskip(NEXT) | instid1(VALU_DEP_2)
	v_min_u32_e32 v29, v28, v9
	v_sub_nc_u32_e32 v8, v21, v25
	s_delay_alu instid0(VALU_DEP_1) | instskip(NEXT) | instid1(VALU_DEP_1)
	v_sub_nc_u32_e64 v20, v28, v8 clamp
	v_cmpx_lt_u32_e64 v20, v29
	s_cbranch_execz .LBB1000_634
; %bb.625:
	v_lshlrev_b32_e32 v8, 3, v25
	v_lshlrev_b32_e32 v9, 3, v28
	s_mov_b32 s16, 0
	s_delay_alu instid0(VALU_DEP_1)
	v_add3_u32 v24, v19, v8, v9
	s_branch .LBB1000_628
.LBB1000_626:                           ;   in Loop: Header=BB1000_628 Depth=1
	s_set_inst_prefetch_distance 0x2
	s_or_b32 exec_lo, exec_lo, s18
.LBB1000_627:                           ;   in Loop: Header=BB1000_628 Depth=1
	s_delay_alu instid0(VALU_DEP_1) | instskip(SKIP_1) | instid1(VALU_DEP_2)
	v_add_nc_u32_e32 v8, 1, v30
	v_cndmask_b32_e64 v29, v29, v30, s19
	v_cndmask_b32_e64 v20, v8, v20, s19
	s_delay_alu instid0(VALU_DEP_1) | instskip(SKIP_1) | instid1(SALU_CYCLE_1)
	v_cmp_ge_u32_e32 vcc_lo, v20, v29
	s_or_b32 s16, vcc_lo, s16
	s_and_not1_b32 exec_lo, exec_lo, s16
	s_cbranch_execz .LBB1000_633
.LBB1000_628:                           ; =>This Loop Header: Depth=1
                                        ;     Child Loop BB1000_631 Depth 2
	v_add_nc_u32_e32 v8, v29, v20
	v_cmp_ne_u32_e32 vcc_lo, 1, v18
	s_mov_b32 s19, 0
	s_delay_alu instid0(VALU_DEP_2)
	v_lshrrev_b32_e32 v30, 1, v8
	s_cbranch_vccnz .LBB1000_627
; %bb.629:                              ;   in Loop: Header=BB1000_628 Depth=1
	s_delay_alu instid0(VALU_DEP_1) | instskip(SKIP_3) | instid1(VALU_DEP_2)
	v_not_b32_e32 v8, v30
	v_lshl_add_u32 v9, v30, 3, v26
	s_mov_b32 s18, 0
	s_mov_b64 s[4:5], s[8:9]
                                        ; implicit-def: $sgpr19
                                        ; implicit-def: $sgpr20
                                        ; implicit-def: $sgpr21
                                        ; implicit-def: $sgpr22
                                        ; implicit-def: $sgpr23
	v_lshl_add_u32 v8, v8, 3, v24
	ds_load_b64 v[10:11], v8
	ds_load_b64 v[31:32], v9
	s_waitcnt lgkmcnt(1)
	v_mul_lo_u32 v33, v10, s9
	v_mul_lo_u32 v34, v11, s8
	v_mad_u64_u32 v[8:9], null, v10, s8, s[10:11]
	s_waitcnt lgkmcnt(0)
	v_mul_lo_u32 v35, v31, s9
	v_mul_lo_u32 v32, v32, s8
	v_mad_u64_u32 v[10:11], null, v31, s8, s[10:11]
	s_delay_alu instid0(VALU_DEP_4) | instskip(NEXT) | instid1(VALU_DEP_2)
	v_add3_u32 v9, v34, v9, v33
	v_add3_u32 v11, v32, v11, v35
	s_set_inst_prefetch_distance 0x1
	s_branch .LBB1000_631
	.p2align	6
.LBB1000_630:                           ;   in Loop: Header=BB1000_631 Depth=2
	s_or_b32 exec_lo, exec_lo, s3
	s_delay_alu instid0(SALU_CYCLE_1) | instskip(NEXT) | instid1(SALU_CYCLE_1)
	s_and_b32 s3, exec_lo, s20
	s_or_b32 s18, s3, s18
	s_and_not1_b32 s3, s23, exec_lo
	s_and_b32 s23, s21, exec_lo
	s_and_not1_b32 s19, s19, exec_lo
	s_and_b32 s24, s22, exec_lo
	s_or_b32 s23, s3, s23
	s_or_b32 s19, s19, s24
	s_and_not1_b32 exec_lo, exec_lo, s18
	s_cbranch_execz .LBB1000_626
.LBB1000_631:                           ;   Parent Loop BB1000_628 Depth=1
                                        ; =>  This Inner Loop Header: Depth=2
	global_load_u8 v31, v[8:9], off
	global_load_u8 v32, v[10:11], off
	s_and_not1_b32 s22, s22, exec_lo
	s_and_not1_b32 s21, s21, exec_lo
	s_or_b32 s20, s20, exec_lo
	s_waitcnt vmcnt(1)
	v_cmp_eq_u16_e32 vcc_lo, 0, v31
	s_waitcnt vmcnt(0)
	v_cmp_ne_u16_e64 s3, 0, v32
	s_delay_alu instid0(VALU_DEP_1) | instskip(SKIP_4) | instid1(SALU_CYCLE_1)
	s_or_b32 s24, vcc_lo, s3
	s_and_b32 s25, vcc_lo, s3
	s_and_b32 s24, s24, s23
	s_xor_b32 s26, vcc_lo, s3
	s_or_b32 s24, s25, s24
	s_and_b32 s25, s24, exec_lo
	s_delay_alu instid0(SALU_CYCLE_1)
	s_or_b32 s22, s22, s25
	s_and_saveexec_b32 s3, s26
	s_cbranch_execz .LBB1000_630
; %bb.632:                              ;   in Loop: Header=BB1000_631 Depth=2
	s_add_u32 s4, s4, -1
	s_addc_u32 s5, s5, -1
	v_add_co_u32 v8, vcc_lo, v8, 1
	v_add_co_ci_u32_e32 v9, vcc_lo, 0, v9, vcc_lo
	s_cmp_eq_u64 s[4:5], 0
	v_add_co_u32 v10, vcc_lo, v10, 1
	s_cselect_b32 s23, -1, 0
	v_add_co_ci_u32_e32 v11, vcc_lo, 0, v11, vcc_lo
	s_and_not1_b32 s21, s21, exec_lo
	s_and_b32 s24, s24, exec_lo
	s_and_not1_b32 s20, s20, exec_lo
	s_and_b32 s23, s23, exec_lo
	s_and_not1_b32 s22, s22, exec_lo
	s_or_b32 s21, s21, s24
	s_or_b32 s20, s20, s23
                                        ; implicit-def: $sgpr23
	s_branch .LBB1000_630
.LBB1000_633:
	s_or_b32 exec_lo, exec_lo, s16
.LBB1000_634:
	s_delay_alu instid0(SALU_CYCLE_1) | instskip(SKIP_2) | instid1(VALU_DEP_2)
	s_or_b32 exec_lo, exec_lo, s15
	v_add_nc_u32_e32 v9, v25, v28
	v_add_nc_u32_e32 v8, v20, v27
	v_sub_nc_u32_e32 v9, v9, v20
	s_delay_alu instid0(VALU_DEP_2) | instskip(NEXT) | instid1(VALU_DEP_2)
	v_cmp_le_u32_e32 vcc_lo, v8, v25
	v_cmp_le_u32_e64 s3, v9, v21
	s_delay_alu instid0(VALU_DEP_1) | instskip(NEXT) | instid1(SALU_CYCLE_1)
	s_or_b32 s3, vcc_lo, s3
	s_and_saveexec_b32 s15, s3
	s_cbranch_execz .LBB1000_670
; %bb.635:
	v_cmp_ge_u32_e32 vcc_lo, v8, v25
	s_mov_b32 s4, exec_lo
                                        ; implicit-def: $vgpr0_vgpr1
	v_cmpx_lt_u32_e64 v8, v25
	s_cbranch_execz .LBB1000_637
; %bb.636:
	v_lshl_add_u32 v0, v20, 3, v26
	ds_load_b64 v[0:1], v0
.LBB1000_637:
	s_or_b32 exec_lo, exec_lo, s4
	v_cmp_ge_u32_e64 s3, v9, v21
	s_mov_b32 s5, exec_lo
                                        ; implicit-def: $vgpr2_vgpr3
	v_cmpx_lt_u32_e64 v9, v21
	s_cbranch_execz .LBB1000_639
; %bb.638:
	v_lshl_add_u32 v2, v9, 3, v19
	ds_load_b64 v[2:3], v2
.LBB1000_639:
	s_or_b32 exec_lo, exec_lo, s5
	s_or_b32 s4, vcc_lo, s3
	s_xor_b32 s5, vcc_lo, -1
	s_or_b32 s4, s4, s13
	s_or_b32 s16, s3, s5
	s_xor_b32 s4, s4, -1
	s_delay_alu instid0(SALU_CYCLE_1)
	s_and_saveexec_b32 s18, s4
	s_cbranch_execz .LBB1000_645
; %bb.640:
	s_waitcnt lgkmcnt(0)
	v_mad_u64_u32 v[4:5], null, v2, s8, s[10:11]
	v_mul_lo_u32 v10, v2, s9
	v_mul_lo_u32 v11, v3, s8
	v_mad_u64_u32 v[6:7], null, v0, s8, s[10:11]
	v_mul_lo_u32 v20, v0, s9
	v_mul_lo_u32 v24, v1, s8
	s_mov_b32 s19, 0
	s_mov_b64 s[4:5], s[8:9]
                                        ; implicit-def: $sgpr20
                                        ; implicit-def: $sgpr21
                                        ; implicit-def: $sgpr22
                                        ; implicit-def: $sgpr23
                                        ; implicit-def: $sgpr24
	s_delay_alu instid0(VALU_DEP_4) | instskip(NEXT) | instid1(VALU_DEP_2)
	v_add3_u32 v5, v11, v5, v10
	v_add3_u32 v7, v24, v7, v20
	s_set_inst_prefetch_distance 0x1
	s_branch .LBB1000_642
	.p2align	6
.LBB1000_641:                           ;   in Loop: Header=BB1000_642 Depth=1
	s_or_b32 exec_lo, exec_lo, s3
	s_delay_alu instid0(SALU_CYCLE_1) | instskip(NEXT) | instid1(SALU_CYCLE_1)
	s_and_b32 s3, exec_lo, s21
	s_or_b32 s19, s3, s19
	s_and_not1_b32 s3, s24, exec_lo
	s_and_b32 s24, s23, exec_lo
	s_and_not1_b32 s20, s20, exec_lo
	s_and_b32 s25, s22, exec_lo
	s_or_b32 s24, s3, s24
	s_or_b32 s20, s20, s25
	s_and_not1_b32 exec_lo, exec_lo, s19
	s_cbranch_execz .LBB1000_644
.LBB1000_642:                           ; =>This Inner Loop Header: Depth=1
	global_load_u8 v10, v[4:5], off
	global_load_u8 v11, v[6:7], off
	s_and_not1_b32 s22, s22, exec_lo
	s_and_not1_b32 s23, s23, exec_lo
	s_or_b32 s21, s21, exec_lo
	s_waitcnt vmcnt(1)
	v_cmp_eq_u16_e32 vcc_lo, 0, v10
	s_waitcnt vmcnt(0)
	v_cmp_ne_u16_e64 s3, 0, v11
	s_delay_alu instid0(VALU_DEP_1) | instskip(SKIP_4) | instid1(SALU_CYCLE_1)
	s_or_b32 s25, vcc_lo, s3
	s_and_b32 s26, vcc_lo, s3
	s_and_b32 s25, s25, s24
	s_xor_b32 s27, vcc_lo, s3
	s_or_b32 s25, s26, s25
	s_and_b32 s26, s25, exec_lo
	s_delay_alu instid0(SALU_CYCLE_1)
	s_or_b32 s22, s22, s26
	s_and_saveexec_b32 s3, s27
	s_cbranch_execz .LBB1000_641
; %bb.643:                              ;   in Loop: Header=BB1000_642 Depth=1
	s_add_u32 s4, s4, -1
	s_addc_u32 s5, s5, -1
	v_add_co_u32 v4, vcc_lo, v4, 1
	s_cmp_eq_u64 s[4:5], 0
	v_add_co_ci_u32_e32 v5, vcc_lo, 0, v5, vcc_lo
	v_add_co_u32 v6, vcc_lo, v6, 1
	s_cselect_b32 s24, -1, 0
	v_add_co_ci_u32_e32 v7, vcc_lo, 0, v7, vcc_lo
	s_and_not1_b32 s23, s23, exec_lo
	s_and_b32 s25, s25, exec_lo
	s_and_not1_b32 s21, s21, exec_lo
	s_and_b32 s24, s24, exec_lo
	s_or_b32 s23, s23, s25
	s_and_not1_b32 s22, s22, exec_lo
	s_or_b32 s21, s21, s24
                                        ; implicit-def: $sgpr24
	s_branch .LBB1000_641
.LBB1000_644:
	s_set_inst_prefetch_distance 0x2
	s_or_b32 exec_lo, exec_lo, s19
	s_xor_b32 s3, s20, -1
	s_and_not1_b32 s4, s16, exec_lo
	s_and_b32 s3, s3, exec_lo
	s_delay_alu instid0(SALU_CYCLE_1)
	s_or_b32 s16, s4, s3
.LBB1000_645:
	s_or_b32 exec_lo, exec_lo, s18
	v_cndmask_b32_e64 v4, v9, v8, s16
	v_cndmask_b32_e64 v5, v21, v25, s16
	s_mov_b32 s18, -1
	s_mov_b32 s19, -1
	s_mov_b32 s20, exec_lo
	v_add_nc_u32_e32 v6, 1, v4
	v_add_nc_u32_e32 v4, -1, v5
	s_delay_alu instid0(VALU_DEP_2) | instskip(NEXT) | instid1(VALU_DEP_2)
	v_cndmask_b32_e64 v9, v6, v9, s16
	v_min_u32_e32 v4, v6, v4
	v_cndmask_b32_e64 v8, v8, v6, s16
	s_delay_alu instid0(VALU_DEP_2)
	v_lshl_add_u32 v4, v4, 3, v19
	ds_load_b64 v[4:5], v4
	s_waitcnt lgkmcnt(0)
	v_cndmask_b32_e64 v10, v5, v3, s16
	v_cndmask_b32_e64 v11, v4, v2, s16
	;; [unrolled: 1-line block ×4, first 2 shown]
	v_cmpx_lt_u32_e64 v9, v21
	s_cbranch_execz .LBB1000_653
; %bb.646:
	v_cmp_lt_u32_e64 s19, v8, v25
	s_delay_alu instid0(VALU_DEP_1) | instskip(NEXT) | instid1(SALU_CYCLE_1)
	s_and_b32 s3, s19, s14
	s_and_saveexec_b32 s21, s3
	s_cbranch_execz .LBB1000_652
; %bb.647:
	v_mad_u64_u32 v[4:5], null, v11, s8, s[10:11]
	v_mul_lo_u32 v26, v11, s9
	v_mul_lo_u32 v27, v10, s8
	v_mad_u64_u32 v[6:7], null, v24, s8, s[10:11]
	v_mul_lo_u32 v28, v24, s9
	v_mul_lo_u32 v29, v20, s8
	s_mov_b32 s22, 0
	s_mov_b64 s[4:5], s[8:9]
                                        ; implicit-def: $sgpr23
                                        ; implicit-def: $sgpr24
                                        ; implicit-def: $sgpr25
                                        ; implicit-def: $sgpr26
                                        ; implicit-def: $sgpr27
	s_delay_alu instid0(VALU_DEP_4) | instskip(NEXT) | instid1(VALU_DEP_2)
	v_add3_u32 v5, v27, v5, v26
	v_add3_u32 v7, v29, v7, v28
	s_set_inst_prefetch_distance 0x1
	s_branch .LBB1000_649
	.p2align	6
.LBB1000_648:                           ;   in Loop: Header=BB1000_649 Depth=1
	s_or_b32 exec_lo, exec_lo, s3
	s_delay_alu instid0(SALU_CYCLE_1) | instskip(NEXT) | instid1(SALU_CYCLE_1)
	s_and_b32 s3, exec_lo, s24
	s_or_b32 s22, s3, s22
	s_and_not1_b32 s3, s27, exec_lo
	s_and_b32 s27, s26, exec_lo
	s_and_not1_b32 s23, s23, exec_lo
	s_and_b32 s28, s25, exec_lo
	s_or_b32 s27, s3, s27
	s_or_b32 s23, s23, s28
	s_and_not1_b32 exec_lo, exec_lo, s22
	s_cbranch_execz .LBB1000_651
.LBB1000_649:                           ; =>This Inner Loop Header: Depth=1
	global_load_u8 v26, v[4:5], off
	global_load_u8 v27, v[6:7], off
	s_and_not1_b32 s25, s25, exec_lo
	s_and_not1_b32 s26, s26, exec_lo
	s_or_b32 s24, s24, exec_lo
	s_waitcnt vmcnt(1)
	v_cmp_eq_u16_e32 vcc_lo, 0, v26
	s_waitcnt vmcnt(0)
	v_cmp_ne_u16_e64 s3, 0, v27
	s_delay_alu instid0(VALU_DEP_1) | instskip(SKIP_4) | instid1(SALU_CYCLE_1)
	s_or_b32 s28, vcc_lo, s3
	s_and_b32 s29, vcc_lo, s3
	s_and_b32 s28, s28, s27
	s_xor_b32 s30, vcc_lo, s3
	s_or_b32 s28, s29, s28
	s_and_b32 s29, s28, exec_lo
	s_delay_alu instid0(SALU_CYCLE_1)
	s_or_b32 s25, s25, s29
	s_and_saveexec_b32 s3, s30
	s_cbranch_execz .LBB1000_648
; %bb.650:                              ;   in Loop: Header=BB1000_649 Depth=1
	s_add_u32 s4, s4, -1
	s_addc_u32 s5, s5, -1
	v_add_co_u32 v4, vcc_lo, v4, 1
	s_cmp_eq_u64 s[4:5], 0
	v_add_co_ci_u32_e32 v5, vcc_lo, 0, v5, vcc_lo
	v_add_co_u32 v6, vcc_lo, v6, 1
	s_cselect_b32 s27, -1, 0
	v_add_co_ci_u32_e32 v7, vcc_lo, 0, v7, vcc_lo
	s_and_not1_b32 s26, s26, exec_lo
	s_and_b32 s28, s28, exec_lo
	s_and_not1_b32 s24, s24, exec_lo
	s_and_b32 s27, s27, exec_lo
	s_or_b32 s26, s26, s28
	s_and_not1_b32 s25, s25, exec_lo
	s_or_b32 s24, s24, s27
                                        ; implicit-def: $sgpr27
	s_branch .LBB1000_648
.LBB1000_651:
	s_set_inst_prefetch_distance 0x2
	s_or_b32 exec_lo, exec_lo, s22
	s_xor_b32 s3, s23, -1
	s_and_not1_b32 s4, s19, exec_lo
	s_and_b32 s3, s3, exec_lo
	s_delay_alu instid0(SALU_CYCLE_1)
	s_or_b32 s19, s4, s3
.LBB1000_652:
	s_or_b32 exec_lo, exec_lo, s21
	s_delay_alu instid0(SALU_CYCLE_1)
	s_or_not1_b32 s19, s19, exec_lo
.LBB1000_653:
	s_or_b32 exec_lo, exec_lo, s20
	v_cndmask_b32_e64 v4, v9, v8, s19
	v_cndmask_b32_e64 v5, v21, v25, s19
	s_mov_b32 s20, exec_lo
	s_delay_alu instid0(VALU_DEP_2) | instskip(NEXT) | instid1(VALU_DEP_2)
	v_add_nc_u32_e32 v6, 1, v4
	v_add_nc_u32_e32 v4, -1, v5
	s_delay_alu instid0(VALU_DEP_2) | instskip(NEXT) | instid1(VALU_DEP_2)
	v_cndmask_b32_e64 v9, v6, v9, s19
	v_min_u32_e32 v4, v6, v4
	v_cndmask_b32_e64 v8, v8, v6, s19
	s_delay_alu instid0(VALU_DEP_2)
	v_lshl_add_u32 v4, v4, 3, v19
	ds_load_b64 v[4:5], v4
	s_waitcnt lgkmcnt(0)
	v_cndmask_b32_e64 v26, v5, v10, s19
	v_cndmask_b32_e64 v27, v4, v11, s19
	;; [unrolled: 1-line block ×4, first 2 shown]
	v_cmpx_lt_u32_e64 v9, v21
	s_cbranch_execz .LBB1000_661
; %bb.654:
	v_cmp_lt_u32_e64 s18, v8, v25
	s_delay_alu instid0(VALU_DEP_1) | instskip(NEXT) | instid1(SALU_CYCLE_1)
	s_and_b32 s3, s18, s14
	s_and_saveexec_b32 s21, s3
	s_cbranch_execz .LBB1000_660
; %bb.655:
	v_mad_u64_u32 v[4:5], null, v27, s8, s[10:11]
	v_mul_lo_u32 v30, v27, s9
	v_mul_lo_u32 v31, v26, s8
	v_mad_u64_u32 v[6:7], null, v29, s8, s[10:11]
	v_mul_lo_u32 v32, v29, s9
	v_mul_lo_u32 v33, v28, s8
	s_mov_b32 s22, 0
	s_mov_b64 s[4:5], s[8:9]
                                        ; implicit-def: $sgpr23
                                        ; implicit-def: $sgpr24
                                        ; implicit-def: $sgpr25
                                        ; implicit-def: $sgpr26
                                        ; implicit-def: $sgpr27
	s_delay_alu instid0(VALU_DEP_4) | instskip(NEXT) | instid1(VALU_DEP_2)
	v_add3_u32 v5, v31, v5, v30
	v_add3_u32 v7, v33, v7, v32
	s_set_inst_prefetch_distance 0x1
	s_branch .LBB1000_657
	.p2align	6
.LBB1000_656:                           ;   in Loop: Header=BB1000_657 Depth=1
	s_or_b32 exec_lo, exec_lo, s3
	s_delay_alu instid0(SALU_CYCLE_1) | instskip(NEXT) | instid1(SALU_CYCLE_1)
	s_and_b32 s3, exec_lo, s24
	s_or_b32 s22, s3, s22
	s_and_not1_b32 s3, s27, exec_lo
	s_and_b32 s27, s26, exec_lo
	s_and_not1_b32 s23, s23, exec_lo
	s_and_b32 s28, s25, exec_lo
	s_or_b32 s27, s3, s27
	s_or_b32 s23, s23, s28
	s_and_not1_b32 exec_lo, exec_lo, s22
	s_cbranch_execz .LBB1000_659
.LBB1000_657:                           ; =>This Inner Loop Header: Depth=1
	global_load_u8 v30, v[4:5], off
	global_load_u8 v31, v[6:7], off
	s_and_not1_b32 s25, s25, exec_lo
	s_and_not1_b32 s26, s26, exec_lo
	s_or_b32 s24, s24, exec_lo
	s_waitcnt vmcnt(1)
	v_cmp_eq_u16_e32 vcc_lo, 0, v30
	s_waitcnt vmcnt(0)
	v_cmp_ne_u16_e64 s3, 0, v31
	s_delay_alu instid0(VALU_DEP_1) | instskip(SKIP_4) | instid1(SALU_CYCLE_1)
	s_or_b32 s28, vcc_lo, s3
	s_and_b32 s29, vcc_lo, s3
	s_and_b32 s28, s28, s27
	s_xor_b32 s30, vcc_lo, s3
	s_or_b32 s28, s29, s28
	s_and_b32 s29, s28, exec_lo
	s_delay_alu instid0(SALU_CYCLE_1)
	s_or_b32 s25, s25, s29
	s_and_saveexec_b32 s3, s30
	s_cbranch_execz .LBB1000_656
; %bb.658:                              ;   in Loop: Header=BB1000_657 Depth=1
	s_add_u32 s4, s4, -1
	s_addc_u32 s5, s5, -1
	v_add_co_u32 v4, vcc_lo, v4, 1
	s_cmp_eq_u64 s[4:5], 0
	v_add_co_ci_u32_e32 v5, vcc_lo, 0, v5, vcc_lo
	v_add_co_u32 v6, vcc_lo, v6, 1
	s_cselect_b32 s27, -1, 0
	v_add_co_ci_u32_e32 v7, vcc_lo, 0, v7, vcc_lo
	s_and_not1_b32 s26, s26, exec_lo
	s_and_b32 s28, s28, exec_lo
	s_and_not1_b32 s24, s24, exec_lo
	s_and_b32 s27, s27, exec_lo
	s_or_b32 s26, s26, s28
	s_and_not1_b32 s25, s25, exec_lo
	s_or_b32 s24, s24, s27
                                        ; implicit-def: $sgpr27
	s_branch .LBB1000_656
.LBB1000_659:
	s_set_inst_prefetch_distance 0x2
	s_or_b32 exec_lo, exec_lo, s22
	s_xor_b32 s3, s23, -1
	s_and_not1_b32 s4, s18, exec_lo
	s_and_b32 s3, s3, exec_lo
	s_delay_alu instid0(SALU_CYCLE_1)
	s_or_b32 s18, s4, s3
.LBB1000_660:
	s_or_b32 exec_lo, exec_lo, s21
	s_delay_alu instid0(SALU_CYCLE_1)
	s_or_not1_b32 s18, s18, exec_lo
.LBB1000_661:
	s_or_b32 exec_lo, exec_lo, s20
	v_cndmask_b32_e64 v4, v9, v8, s18
	v_cndmask_b32_e64 v5, v21, v25, s18
	s_mov_b32 s20, exec_lo
	s_delay_alu instid0(VALU_DEP_2) | instskip(NEXT) | instid1(VALU_DEP_2)
	v_add_nc_u32_e32 v30, 1, v4
	v_add_nc_u32_e32 v4, -1, v5
	s_delay_alu instid0(VALU_DEP_2) | instskip(NEXT) | instid1(VALU_DEP_2)
	v_cndmask_b32_e64 v9, v30, v9, s18
	v_min_u32_e32 v4, v30, v4
	s_delay_alu instid0(VALU_DEP_1)
	v_lshl_add_u32 v4, v4, 3, v19
	ds_load_b64 v[4:5], v4
	s_waitcnt lgkmcnt(0)
	v_cndmask_b32_e64 v7, v28, v5, s18
	v_cndmask_b32_e64 v6, v29, v4, s18
	v_cmpx_lt_u32_e64 v9, v21
	s_cbranch_execz .LBB1000_669
; %bb.662:
	v_cndmask_b32_e64 v8, v8, v30, s18
	v_cndmask_b32_e64 v19, v5, v26, s18
	;; [unrolled: 1-line block ×3, first 2 shown]
	s_delay_alu instid0(VALU_DEP_3) | instskip(NEXT) | instid1(VALU_DEP_2)
	v_cmp_ge_u32_e32 vcc_lo, v8, v25
	v_dual_cndmask_b32 v5, v7, v19 :: v_dual_cndmask_b32 v4, v6, v21
	s_or_b32 s3, vcc_lo, s13
	s_delay_alu instid0(SALU_CYCLE_1) | instskip(NEXT) | instid1(SALU_CYCLE_1)
	s_xor_b32 s3, s3, -1
	s_and_saveexec_b32 s21, s3
	s_cbranch_execz .LBB1000_668
; %bb.663:
	v_mad_u64_u32 v[4:5], null, v21, s8, s[10:11]
	v_mul_lo_u32 v25, v21, s9
	v_mul_lo_u32 v30, v19, s8
	v_mad_u64_u32 v[8:9], null, v6, s8, s[10:11]
	v_mul_lo_u32 v31, v6, s9
	v_mul_lo_u32 v32, v7, s8
	s_mov_b32 s22, 0
	s_mov_b64 s[4:5], s[8:9]
                                        ; implicit-def: $sgpr23
                                        ; implicit-def: $sgpr24
                                        ; implicit-def: $sgpr25
                                        ; implicit-def: $sgpr26
                                        ; implicit-def: $sgpr27
	s_delay_alu instid0(VALU_DEP_4) | instskip(NEXT) | instid1(VALU_DEP_2)
	v_add3_u32 v5, v30, v5, v25
	v_add3_u32 v9, v32, v9, v31
	s_set_inst_prefetch_distance 0x1
	s_branch .LBB1000_665
	.p2align	6
.LBB1000_664:                           ;   in Loop: Header=BB1000_665 Depth=1
	s_or_b32 exec_lo, exec_lo, s3
	s_delay_alu instid0(SALU_CYCLE_1) | instskip(NEXT) | instid1(SALU_CYCLE_1)
	s_and_b32 s3, exec_lo, s24
	s_or_b32 s22, s3, s22
	s_and_not1_b32 s3, s27, exec_lo
	s_and_b32 s27, s26, exec_lo
	s_and_not1_b32 s23, s23, exec_lo
	s_and_b32 s28, s25, exec_lo
	s_or_b32 s27, s3, s27
	s_or_b32 s23, s23, s28
	s_and_not1_b32 exec_lo, exec_lo, s22
	s_cbranch_execz .LBB1000_667
.LBB1000_665:                           ; =>This Inner Loop Header: Depth=1
	global_load_u8 v25, v[4:5], off
	global_load_u8 v30, v[8:9], off
	s_and_not1_b32 s25, s25, exec_lo
	s_and_not1_b32 s26, s26, exec_lo
	s_or_b32 s24, s24, exec_lo
	s_waitcnt vmcnt(1)
	v_cmp_eq_u16_e32 vcc_lo, 0, v25
	s_waitcnt vmcnt(0)
	v_cmp_ne_u16_e64 s3, 0, v30
	s_delay_alu instid0(VALU_DEP_1) | instskip(SKIP_4) | instid1(SALU_CYCLE_1)
	s_or_b32 s28, vcc_lo, s3
	s_and_b32 s29, vcc_lo, s3
	s_and_b32 s28, s28, s27
	s_xor_b32 s30, vcc_lo, s3
	s_or_b32 s28, s29, s28
	s_and_b32 s29, s28, exec_lo
	s_delay_alu instid0(SALU_CYCLE_1)
	s_or_b32 s25, s25, s29
	s_and_saveexec_b32 s3, s30
	s_cbranch_execz .LBB1000_664
; %bb.666:                              ;   in Loop: Header=BB1000_665 Depth=1
	s_add_u32 s4, s4, -1
	s_addc_u32 s5, s5, -1
	v_add_co_u32 v4, vcc_lo, v4, 1
	s_cmp_eq_u64 s[4:5], 0
	v_add_co_ci_u32_e32 v5, vcc_lo, 0, v5, vcc_lo
	v_add_co_u32 v8, vcc_lo, v8, 1
	s_cselect_b32 s27, -1, 0
	v_add_co_ci_u32_e32 v9, vcc_lo, 0, v9, vcc_lo
	s_and_not1_b32 s26, s26, exec_lo
	s_and_b32 s28, s28, exec_lo
	s_and_not1_b32 s24, s24, exec_lo
	s_and_b32 s27, s27, exec_lo
	s_or_b32 s26, s26, s28
	s_and_not1_b32 s25, s25, exec_lo
	s_or_b32 s24, s24, s27
                                        ; implicit-def: $sgpr27
	s_branch .LBB1000_664
.LBB1000_667:
	s_set_inst_prefetch_distance 0x2
	s_or_b32 exec_lo, exec_lo, s22
	v_cndmask_b32_e64 v5, v7, v19, s23
	v_cndmask_b32_e64 v4, v6, v21, s23
.LBB1000_668:
	s_or_b32 exec_lo, exec_lo, s21
	s_delay_alu instid0(VALU_DEP_1)
	v_dual_mov_b32 v7, v5 :: v_dual_mov_b32 v6, v4
.LBB1000_669:
	s_or_b32 exec_lo, exec_lo, s20
	v_cndmask_b32_e64 v1, v3, v1, s16
	v_cndmask_b32_e64 v0, v2, v0, s16
	;; [unrolled: 1-line block ×6, first 2 shown]
.LBB1000_670:
	s_or_b32 exec_lo, exec_lo, s15
	s_cmpk_lt_u32 s17, 0x41
	; wave barrier
	s_waitcnt lgkmcnt(0)
	s_barrier
	buffer_gl0_inv
	s_cbranch_scc1 .LBB1000_719
; %bb.671:
	v_lshlrev_b32_e32 v19, 3, v23
	s_mov_b32 s15, 64
	s_branch .LBB1000_676
.LBB1000_672:                           ;   in Loop: Header=BB1000_676 Depth=1
	s_set_inst_prefetch_distance 0x2
	s_or_b32 exec_lo, exec_lo, s23
	v_cndmask_b32_e64 v5, v7, v21, s24
	v_cndmask_b32_e64 v4, v6, v30, s24
.LBB1000_673:                           ;   in Loop: Header=BB1000_676 Depth=1
	s_or_b32 exec_lo, exec_lo, s22
	s_delay_alu instid0(VALU_DEP_1)
	v_dual_mov_b32 v7, v5 :: v_dual_mov_b32 v6, v4
.LBB1000_674:                           ;   in Loop: Header=BB1000_676 Depth=1
	s_or_b32 exec_lo, exec_lo, s21
	v_cndmask_b32_e64 v1, v3, v1, s18
	v_cndmask_b32_e64 v0, v2, v0, s18
	;; [unrolled: 1-line block ×6, first 2 shown]
.LBB1000_675:                           ;   in Loop: Header=BB1000_676 Depth=1
	s_or_b32 exec_lo, exec_lo, s16
	s_cmp_lt_u32 s15, s17
	s_barrier
	buffer_gl0_inv
	s_cbranch_scc0 .LBB1000_719
.LBB1000_676:                           ; =>This Loop Header: Depth=1
                                        ;     Child Loop BB1000_680 Depth 2
                                        ;       Child Loop BB1000_683 Depth 3
                                        ;     Child Loop BB1000_694 Depth 2
                                        ;     Child Loop BB1000_701 Depth 2
	;; [unrolled: 1-line block ×4, first 2 shown]
	s_mov_b32 s3, s15
	s_lshl_b32 s15, s15, 1
	s_mov_b32 s16, exec_lo
	s_sub_i32 s4, 0, s15
	ds_store_b128 v19, v[0:3]
	ds_store_b128 v19, v[4:7] offset:16
	v_and_b32_e32 v26, s4, v23
	s_waitcnt lgkmcnt(0)
	s_barrier
	buffer_gl0_inv
	v_add_nc_u32_e32 v8, s3, v26
	v_lshlrev_b32_e32 v25, 3, v26
	s_delay_alu instid0(VALU_DEP_2) | instskip(NEXT) | instid1(VALU_DEP_1)
	v_min_u32_e32 v20, s17, v8
	v_add_nc_u32_e32 v8, s3, v20
	s_add_i32 s3, s15, -1
	s_delay_alu instid0(SALU_CYCLE_1) | instskip(NEXT) | instid1(VALU_DEP_2)
	v_and_b32_e32 v9, s3, v23
	v_min_u32_e32 v21, s17, v8
	v_sub_nc_u32_e32 v8, v20, v26
	s_delay_alu instid0(VALU_DEP_3) | instskip(NEXT) | instid1(VALU_DEP_3)
	v_min_u32_e32 v27, s17, v9
	v_sub_nc_u32_e32 v9, v21, v20
	s_delay_alu instid0(VALU_DEP_2) | instskip(NEXT) | instid1(VALU_DEP_2)
	v_min_u32_e32 v28, v27, v8
	v_sub_nc_u32_e64 v24, v27, v9 clamp
	s_delay_alu instid0(VALU_DEP_1)
	v_cmpx_lt_u32_e64 v24, v28
	s_cbranch_execz .LBB1000_686
; %bb.677:                              ;   in Loop: Header=BB1000_676 Depth=1
	v_lshlrev_b32_e32 v8, 3, v27
	s_mov_b32 s18, 0
	s_delay_alu instid0(VALU_DEP_1)
	v_lshl_add_u32 v29, v20, 3, v8
	s_branch .LBB1000_680
.LBB1000_678:                           ;   in Loop: Header=BB1000_680 Depth=2
	s_set_inst_prefetch_distance 0x2
	s_or_b32 exec_lo, exec_lo, s19
.LBB1000_679:                           ;   in Loop: Header=BB1000_680 Depth=2
	s_delay_alu instid0(VALU_DEP_1) | instskip(SKIP_1) | instid1(VALU_DEP_2)
	v_add_nc_u32_e32 v8, 1, v30
	v_cndmask_b32_e64 v28, v28, v30, s20
	v_cndmask_b32_e64 v24, v8, v24, s20
	s_delay_alu instid0(VALU_DEP_1) | instskip(SKIP_1) | instid1(SALU_CYCLE_1)
	v_cmp_ge_u32_e32 vcc_lo, v24, v28
	s_or_b32 s18, vcc_lo, s18
	s_and_not1_b32 exec_lo, exec_lo, s18
	s_cbranch_execz .LBB1000_685
.LBB1000_680:                           ;   Parent Loop BB1000_676 Depth=1
                                        ; =>  This Loop Header: Depth=2
                                        ;       Child Loop BB1000_683 Depth 3
	v_add_nc_u32_e32 v8, v28, v24
	v_cmp_ne_u32_e32 vcc_lo, 1, v18
	s_mov_b32 s20, 0
	s_delay_alu instid0(VALU_DEP_2)
	v_lshrrev_b32_e32 v30, 1, v8
	s_cbranch_vccnz .LBB1000_679
; %bb.681:                              ;   in Loop: Header=BB1000_680 Depth=2
	s_delay_alu instid0(VALU_DEP_1) | instskip(SKIP_3) | instid1(VALU_DEP_2)
	v_not_b32_e32 v8, v30
	v_lshl_add_u32 v9, v30, 3, v25
	s_mov_b32 s19, 0
	s_mov_b64 s[4:5], s[8:9]
                                        ; implicit-def: $sgpr20
                                        ; implicit-def: $sgpr21
                                        ; implicit-def: $sgpr22
                                        ; implicit-def: $sgpr23
                                        ; implicit-def: $sgpr24
	v_lshl_add_u32 v8, v8, 3, v29
	ds_load_b64 v[10:11], v8
	ds_load_b64 v[31:32], v9
	s_waitcnt lgkmcnt(1)
	v_mul_lo_u32 v33, v10, s9
	v_mul_lo_u32 v34, v11, s8
	v_mad_u64_u32 v[8:9], null, v10, s8, s[10:11]
	s_waitcnt lgkmcnt(0)
	v_mul_lo_u32 v35, v31, s9
	v_mul_lo_u32 v32, v32, s8
	v_mad_u64_u32 v[10:11], null, v31, s8, s[10:11]
	s_delay_alu instid0(VALU_DEP_4) | instskip(NEXT) | instid1(VALU_DEP_2)
	v_add3_u32 v9, v34, v9, v33
	v_add3_u32 v11, v32, v11, v35
	s_set_inst_prefetch_distance 0x1
	s_branch .LBB1000_683
	.p2align	6
.LBB1000_682:                           ;   in Loop: Header=BB1000_683 Depth=3
	s_or_b32 exec_lo, exec_lo, s3
	s_delay_alu instid0(SALU_CYCLE_1) | instskip(NEXT) | instid1(SALU_CYCLE_1)
	s_and_b32 s3, exec_lo, s21
	s_or_b32 s19, s3, s19
	s_and_not1_b32 s3, s24, exec_lo
	s_and_b32 s24, s22, exec_lo
	s_and_not1_b32 s20, s20, exec_lo
	s_and_b32 s25, s23, exec_lo
	s_or_b32 s24, s3, s24
	s_or_b32 s20, s20, s25
	s_and_not1_b32 exec_lo, exec_lo, s19
	s_cbranch_execz .LBB1000_678
.LBB1000_683:                           ;   Parent Loop BB1000_676 Depth=1
                                        ;     Parent Loop BB1000_680 Depth=2
                                        ; =>    This Inner Loop Header: Depth=3
	global_load_u8 v31, v[8:9], off
	global_load_u8 v32, v[10:11], off
	s_and_not1_b32 s23, s23, exec_lo
	s_and_not1_b32 s22, s22, exec_lo
	s_or_b32 s21, s21, exec_lo
	s_waitcnt vmcnt(1)
	v_cmp_eq_u16_e32 vcc_lo, 0, v31
	s_waitcnt vmcnt(0)
	v_cmp_ne_u16_e64 s3, 0, v32
	s_delay_alu instid0(VALU_DEP_1) | instskip(SKIP_4) | instid1(SALU_CYCLE_1)
	s_or_b32 s25, vcc_lo, s3
	s_and_b32 s26, vcc_lo, s3
	s_and_b32 s25, s25, s24
	s_xor_b32 s27, vcc_lo, s3
	s_or_b32 s25, s26, s25
	s_and_b32 s26, s25, exec_lo
	s_delay_alu instid0(SALU_CYCLE_1)
	s_or_b32 s23, s23, s26
	s_and_saveexec_b32 s3, s27
	s_cbranch_execz .LBB1000_682
; %bb.684:                              ;   in Loop: Header=BB1000_683 Depth=3
	s_add_u32 s4, s4, -1
	s_addc_u32 s5, s5, -1
	v_add_co_u32 v8, vcc_lo, v8, 1
	v_add_co_ci_u32_e32 v9, vcc_lo, 0, v9, vcc_lo
	s_cmp_eq_u64 s[4:5], 0
	v_add_co_u32 v10, vcc_lo, v10, 1
	s_cselect_b32 s24, -1, 0
	v_add_co_ci_u32_e32 v11, vcc_lo, 0, v11, vcc_lo
	s_and_not1_b32 s22, s22, exec_lo
	s_and_b32 s25, s25, exec_lo
	s_and_not1_b32 s21, s21, exec_lo
	s_and_b32 s24, s24, exec_lo
	s_and_not1_b32 s23, s23, exec_lo
	s_or_b32 s22, s22, s25
	s_or_b32 s21, s21, s24
                                        ; implicit-def: $sgpr24
	s_branch .LBB1000_682
.LBB1000_685:                           ;   in Loop: Header=BB1000_676 Depth=1
	s_or_b32 exec_lo, exec_lo, s18
.LBB1000_686:                           ;   in Loop: Header=BB1000_676 Depth=1
	s_delay_alu instid0(SALU_CYCLE_1) | instskip(SKIP_2) | instid1(VALU_DEP_2)
	s_or_b32 exec_lo, exec_lo, s16
	v_sub_nc_u32_e32 v9, v27, v24
	v_add_nc_u32_e32 v8, v24, v26
	v_add_nc_u32_e32 v9, v9, v20
	s_delay_alu instid0(VALU_DEP_2) | instskip(NEXT) | instid1(VALU_DEP_2)
	v_cmp_le_u32_e32 vcc_lo, v8, v20
	v_cmp_le_u32_e64 s3, v9, v21
	s_delay_alu instid0(VALU_DEP_1) | instskip(NEXT) | instid1(SALU_CYCLE_1)
	s_or_b32 s3, vcc_lo, s3
	s_and_saveexec_b32 s16, s3
	s_cbranch_execz .LBB1000_675
; %bb.687:                              ;   in Loop: Header=BB1000_676 Depth=1
	v_cmp_ge_u32_e32 vcc_lo, v8, v20
	s_mov_b32 s4, exec_lo
                                        ; implicit-def: $vgpr0_vgpr1
	v_cmpx_lt_u32_e64 v8, v20
	s_cbranch_execz .LBB1000_689
; %bb.688:                              ;   in Loop: Header=BB1000_676 Depth=1
	v_lshl_add_u32 v0, v24, 3, v25
	ds_load_b64 v[0:1], v0
.LBB1000_689:                           ;   in Loop: Header=BB1000_676 Depth=1
	s_or_b32 exec_lo, exec_lo, s4
	v_cmp_ge_u32_e64 s3, v9, v21
	s_mov_b32 s5, exec_lo
                                        ; implicit-def: $vgpr2_vgpr3
	v_cmpx_lt_u32_e64 v9, v21
	s_cbranch_execz .LBB1000_691
; %bb.690:                              ;   in Loop: Header=BB1000_676 Depth=1
	v_lshlrev_b32_e32 v2, 3, v9
	ds_load_b64 v[2:3], v2
.LBB1000_691:                           ;   in Loop: Header=BB1000_676 Depth=1
	s_or_b32 exec_lo, exec_lo, s5
	s_or_b32 s4, vcc_lo, s3
	s_xor_b32 s5, vcc_lo, -1
	s_or_b32 s4, s4, s13
	s_or_b32 s18, s3, s5
	s_xor_b32 s4, s4, -1
	s_delay_alu instid0(SALU_CYCLE_1)
	s_and_saveexec_b32 s19, s4
	s_cbranch_execz .LBB1000_697
; %bb.692:                              ;   in Loop: Header=BB1000_676 Depth=1
	s_waitcnt lgkmcnt(0)
	v_mad_u64_u32 v[4:5], null, v2, s8, s[10:11]
	v_mul_lo_u32 v10, v2, s9
	v_mul_lo_u32 v11, v3, s8
	v_mad_u64_u32 v[6:7], null, v0, s8, s[10:11]
	v_mul_lo_u32 v24, v0, s9
	v_mul_lo_u32 v25, v1, s8
	s_mov_b32 s20, 0
	s_mov_b64 s[4:5], s[8:9]
                                        ; implicit-def: $sgpr21
                                        ; implicit-def: $sgpr22
                                        ; implicit-def: $sgpr23
                                        ; implicit-def: $sgpr24
                                        ; implicit-def: $sgpr25
	s_delay_alu instid0(VALU_DEP_4) | instskip(NEXT) | instid1(VALU_DEP_2)
	v_add3_u32 v5, v11, v5, v10
	v_add3_u32 v7, v25, v7, v24
	s_set_inst_prefetch_distance 0x1
	s_branch .LBB1000_694
	.p2align	6
.LBB1000_693:                           ;   in Loop: Header=BB1000_694 Depth=2
	s_or_b32 exec_lo, exec_lo, s3
	s_delay_alu instid0(SALU_CYCLE_1) | instskip(NEXT) | instid1(SALU_CYCLE_1)
	s_and_b32 s3, exec_lo, s22
	s_or_b32 s20, s3, s20
	s_and_not1_b32 s3, s25, exec_lo
	s_and_b32 s25, s24, exec_lo
	s_and_not1_b32 s21, s21, exec_lo
	s_and_b32 s26, s23, exec_lo
	s_or_b32 s25, s3, s25
	s_or_b32 s21, s21, s26
	s_and_not1_b32 exec_lo, exec_lo, s20
	s_cbranch_execz .LBB1000_696
.LBB1000_694:                           ;   Parent Loop BB1000_676 Depth=1
                                        ; =>  This Inner Loop Header: Depth=2
	global_load_u8 v10, v[4:5], off
	global_load_u8 v11, v[6:7], off
	s_and_not1_b32 s23, s23, exec_lo
	s_and_not1_b32 s24, s24, exec_lo
	s_or_b32 s22, s22, exec_lo
	s_waitcnt vmcnt(1)
	v_cmp_eq_u16_e32 vcc_lo, 0, v10
	s_waitcnt vmcnt(0)
	v_cmp_ne_u16_e64 s3, 0, v11
	s_delay_alu instid0(VALU_DEP_1) | instskip(SKIP_4) | instid1(SALU_CYCLE_1)
	s_or_b32 s26, vcc_lo, s3
	s_and_b32 s27, vcc_lo, s3
	s_and_b32 s26, s26, s25
	s_xor_b32 s28, vcc_lo, s3
	s_or_b32 s26, s27, s26
	s_and_b32 s27, s26, exec_lo
	s_delay_alu instid0(SALU_CYCLE_1)
	s_or_b32 s23, s23, s27
	s_and_saveexec_b32 s3, s28
	s_cbranch_execz .LBB1000_693
; %bb.695:                              ;   in Loop: Header=BB1000_694 Depth=2
	s_add_u32 s4, s4, -1
	s_addc_u32 s5, s5, -1
	v_add_co_u32 v4, vcc_lo, v4, 1
	s_cmp_eq_u64 s[4:5], 0
	v_add_co_ci_u32_e32 v5, vcc_lo, 0, v5, vcc_lo
	v_add_co_u32 v6, vcc_lo, v6, 1
	s_cselect_b32 s25, -1, 0
	v_add_co_ci_u32_e32 v7, vcc_lo, 0, v7, vcc_lo
	s_and_not1_b32 s24, s24, exec_lo
	s_and_b32 s26, s26, exec_lo
	s_and_not1_b32 s22, s22, exec_lo
	s_and_b32 s25, s25, exec_lo
	s_or_b32 s24, s24, s26
	s_and_not1_b32 s23, s23, exec_lo
	s_or_b32 s22, s22, s25
                                        ; implicit-def: $sgpr25
	s_branch .LBB1000_693
.LBB1000_696:                           ;   in Loop: Header=BB1000_676 Depth=1
	s_set_inst_prefetch_distance 0x2
	s_or_b32 exec_lo, exec_lo, s20
	s_xor_b32 s3, s21, -1
	s_and_not1_b32 s4, s18, exec_lo
	s_and_b32 s3, s3, exec_lo
	s_delay_alu instid0(SALU_CYCLE_1)
	s_or_b32 s18, s4, s3
.LBB1000_697:                           ;   in Loop: Header=BB1000_676 Depth=1
	s_or_b32 exec_lo, exec_lo, s19
	v_cndmask_b32_e64 v4, v9, v8, s18
	v_cndmask_b32_e64 v5, v21, v20, s18
	s_mov_b32 s19, -1
	s_mov_b32 s20, -1
	s_mov_b32 s21, exec_lo
	v_add_nc_u32_e32 v6, 1, v4
	v_add_nc_u32_e32 v4, -1, v5
	s_delay_alu instid0(VALU_DEP_2) | instskip(NEXT) | instid1(VALU_DEP_2)
	v_cndmask_b32_e64 v9, v6, v9, s18
	v_min_u32_e32 v4, v6, v4
	v_cndmask_b32_e64 v8, v8, v6, s18
	s_delay_alu instid0(VALU_DEP_2)
	v_lshlrev_b32_e32 v4, 3, v4
	ds_load_b64 v[4:5], v4
	s_waitcnt lgkmcnt(0)
	v_cndmask_b32_e64 v10, v5, v3, s18
	v_cndmask_b32_e64 v11, v4, v2, s18
	;; [unrolled: 1-line block ×4, first 2 shown]
	v_cmpx_lt_u32_e64 v9, v21
	s_cbranch_execz .LBB1000_705
; %bb.698:                              ;   in Loop: Header=BB1000_676 Depth=1
	v_cmp_lt_u32_e64 s20, v8, v20
	s_delay_alu instid0(VALU_DEP_1) | instskip(NEXT) | instid1(SALU_CYCLE_1)
	s_and_b32 s3, s20, s14
	s_and_saveexec_b32 s22, s3
	s_cbranch_execz .LBB1000_704
; %bb.699:                              ;   in Loop: Header=BB1000_676 Depth=1
	v_mad_u64_u32 v[4:5], null, v11, s8, s[10:11]
	v_mul_lo_u32 v26, v11, s9
	v_mul_lo_u32 v27, v10, s8
	v_mad_u64_u32 v[6:7], null, v25, s8, s[10:11]
	v_mul_lo_u32 v28, v25, s9
	v_mul_lo_u32 v29, v24, s8
	s_mov_b32 s23, 0
	s_mov_b64 s[4:5], s[8:9]
                                        ; implicit-def: $sgpr24
                                        ; implicit-def: $sgpr25
                                        ; implicit-def: $sgpr26
                                        ; implicit-def: $sgpr27
                                        ; implicit-def: $sgpr28
	s_delay_alu instid0(VALU_DEP_4) | instskip(NEXT) | instid1(VALU_DEP_2)
	v_add3_u32 v5, v27, v5, v26
	v_add3_u32 v7, v29, v7, v28
	s_set_inst_prefetch_distance 0x1
	s_branch .LBB1000_701
	.p2align	6
.LBB1000_700:                           ;   in Loop: Header=BB1000_701 Depth=2
	s_or_b32 exec_lo, exec_lo, s3
	s_delay_alu instid0(SALU_CYCLE_1) | instskip(NEXT) | instid1(SALU_CYCLE_1)
	s_and_b32 s3, exec_lo, s25
	s_or_b32 s23, s3, s23
	s_and_not1_b32 s3, s28, exec_lo
	s_and_b32 s28, s27, exec_lo
	s_and_not1_b32 s24, s24, exec_lo
	s_and_b32 s29, s26, exec_lo
	s_or_b32 s28, s3, s28
	s_or_b32 s24, s24, s29
	s_and_not1_b32 exec_lo, exec_lo, s23
	s_cbranch_execz .LBB1000_703
.LBB1000_701:                           ;   Parent Loop BB1000_676 Depth=1
                                        ; =>  This Inner Loop Header: Depth=2
	global_load_u8 v26, v[4:5], off
	global_load_u8 v27, v[6:7], off
	s_and_not1_b32 s26, s26, exec_lo
	s_and_not1_b32 s27, s27, exec_lo
	s_or_b32 s25, s25, exec_lo
	s_waitcnt vmcnt(1)
	v_cmp_eq_u16_e32 vcc_lo, 0, v26
	s_waitcnt vmcnt(0)
	v_cmp_ne_u16_e64 s3, 0, v27
	s_delay_alu instid0(VALU_DEP_1) | instskip(SKIP_4) | instid1(SALU_CYCLE_1)
	s_or_b32 s29, vcc_lo, s3
	s_and_b32 s30, vcc_lo, s3
	s_and_b32 s29, s29, s28
	s_xor_b32 s31, vcc_lo, s3
	s_or_b32 s29, s30, s29
	s_and_b32 s30, s29, exec_lo
	s_delay_alu instid0(SALU_CYCLE_1)
	s_or_b32 s26, s26, s30
	s_and_saveexec_b32 s3, s31
	s_cbranch_execz .LBB1000_700
; %bb.702:                              ;   in Loop: Header=BB1000_701 Depth=2
	s_add_u32 s4, s4, -1
	s_addc_u32 s5, s5, -1
	v_add_co_u32 v4, vcc_lo, v4, 1
	s_cmp_eq_u64 s[4:5], 0
	v_add_co_ci_u32_e32 v5, vcc_lo, 0, v5, vcc_lo
	v_add_co_u32 v6, vcc_lo, v6, 1
	s_cselect_b32 s28, -1, 0
	v_add_co_ci_u32_e32 v7, vcc_lo, 0, v7, vcc_lo
	s_and_not1_b32 s27, s27, exec_lo
	s_and_b32 s29, s29, exec_lo
	s_and_not1_b32 s25, s25, exec_lo
	s_and_b32 s28, s28, exec_lo
	s_or_b32 s27, s27, s29
	s_and_not1_b32 s26, s26, exec_lo
	s_or_b32 s25, s25, s28
                                        ; implicit-def: $sgpr28
	s_branch .LBB1000_700
.LBB1000_703:                           ;   in Loop: Header=BB1000_676 Depth=1
	s_set_inst_prefetch_distance 0x2
	s_or_b32 exec_lo, exec_lo, s23
	s_xor_b32 s3, s24, -1
	s_and_not1_b32 s4, s20, exec_lo
	s_and_b32 s3, s3, exec_lo
	s_delay_alu instid0(SALU_CYCLE_1)
	s_or_b32 s20, s4, s3
.LBB1000_704:                           ;   in Loop: Header=BB1000_676 Depth=1
	s_or_b32 exec_lo, exec_lo, s22
	s_delay_alu instid0(SALU_CYCLE_1)
	s_or_not1_b32 s20, s20, exec_lo
.LBB1000_705:                           ;   in Loop: Header=BB1000_676 Depth=1
	s_or_b32 exec_lo, exec_lo, s21
	v_cndmask_b32_e64 v4, v9, v8, s20
	v_cndmask_b32_e64 v5, v21, v20, s20
	s_mov_b32 s21, exec_lo
	s_delay_alu instid0(VALU_DEP_2) | instskip(NEXT) | instid1(VALU_DEP_2)
	v_add_nc_u32_e32 v6, 1, v4
	v_add_nc_u32_e32 v4, -1, v5
	s_delay_alu instid0(VALU_DEP_2) | instskip(NEXT) | instid1(VALU_DEP_2)
	v_cndmask_b32_e64 v9, v6, v9, s20
	v_min_u32_e32 v4, v6, v4
	v_cndmask_b32_e64 v8, v8, v6, s20
	s_delay_alu instid0(VALU_DEP_2)
	v_lshlrev_b32_e32 v4, 3, v4
	ds_load_b64 v[4:5], v4
	s_waitcnt lgkmcnt(0)
	v_cndmask_b32_e64 v26, v5, v10, s20
	v_cndmask_b32_e64 v27, v4, v11, s20
	;; [unrolled: 1-line block ×4, first 2 shown]
	v_cmpx_lt_u32_e64 v9, v21
	s_cbranch_execz .LBB1000_713
; %bb.706:                              ;   in Loop: Header=BB1000_676 Depth=1
	v_cmp_lt_u32_e64 s19, v8, v20
	s_delay_alu instid0(VALU_DEP_1) | instskip(NEXT) | instid1(SALU_CYCLE_1)
	s_and_b32 s3, s19, s14
	s_and_saveexec_b32 s22, s3
	s_cbranch_execz .LBB1000_712
; %bb.707:                              ;   in Loop: Header=BB1000_676 Depth=1
	v_mad_u64_u32 v[4:5], null, v27, s8, s[10:11]
	v_mul_lo_u32 v30, v27, s9
	v_mul_lo_u32 v31, v26, s8
	v_mad_u64_u32 v[6:7], null, v29, s8, s[10:11]
	v_mul_lo_u32 v32, v29, s9
	v_mul_lo_u32 v33, v28, s8
	s_mov_b32 s23, 0
	s_mov_b64 s[4:5], s[8:9]
                                        ; implicit-def: $sgpr24
                                        ; implicit-def: $sgpr25
                                        ; implicit-def: $sgpr26
                                        ; implicit-def: $sgpr27
                                        ; implicit-def: $sgpr28
	s_delay_alu instid0(VALU_DEP_4) | instskip(NEXT) | instid1(VALU_DEP_2)
	v_add3_u32 v5, v31, v5, v30
	v_add3_u32 v7, v33, v7, v32
	s_set_inst_prefetch_distance 0x1
	s_branch .LBB1000_709
	.p2align	6
.LBB1000_708:                           ;   in Loop: Header=BB1000_709 Depth=2
	s_or_b32 exec_lo, exec_lo, s3
	s_delay_alu instid0(SALU_CYCLE_1) | instskip(NEXT) | instid1(SALU_CYCLE_1)
	s_and_b32 s3, exec_lo, s25
	s_or_b32 s23, s3, s23
	s_and_not1_b32 s3, s28, exec_lo
	s_and_b32 s28, s27, exec_lo
	s_and_not1_b32 s24, s24, exec_lo
	s_and_b32 s29, s26, exec_lo
	s_or_b32 s28, s3, s28
	s_or_b32 s24, s24, s29
	s_and_not1_b32 exec_lo, exec_lo, s23
	s_cbranch_execz .LBB1000_711
.LBB1000_709:                           ;   Parent Loop BB1000_676 Depth=1
                                        ; =>  This Inner Loop Header: Depth=2
	global_load_u8 v30, v[4:5], off
	global_load_u8 v31, v[6:7], off
	s_and_not1_b32 s26, s26, exec_lo
	s_and_not1_b32 s27, s27, exec_lo
	s_or_b32 s25, s25, exec_lo
	s_waitcnt vmcnt(1)
	v_cmp_eq_u16_e32 vcc_lo, 0, v30
	s_waitcnt vmcnt(0)
	v_cmp_ne_u16_e64 s3, 0, v31
	s_delay_alu instid0(VALU_DEP_1) | instskip(SKIP_4) | instid1(SALU_CYCLE_1)
	s_or_b32 s29, vcc_lo, s3
	s_and_b32 s30, vcc_lo, s3
	s_and_b32 s29, s29, s28
	s_xor_b32 s31, vcc_lo, s3
	s_or_b32 s29, s30, s29
	s_and_b32 s30, s29, exec_lo
	s_delay_alu instid0(SALU_CYCLE_1)
	s_or_b32 s26, s26, s30
	s_and_saveexec_b32 s3, s31
	s_cbranch_execz .LBB1000_708
; %bb.710:                              ;   in Loop: Header=BB1000_709 Depth=2
	s_add_u32 s4, s4, -1
	s_addc_u32 s5, s5, -1
	v_add_co_u32 v4, vcc_lo, v4, 1
	s_cmp_eq_u64 s[4:5], 0
	v_add_co_ci_u32_e32 v5, vcc_lo, 0, v5, vcc_lo
	v_add_co_u32 v6, vcc_lo, v6, 1
	s_cselect_b32 s28, -1, 0
	v_add_co_ci_u32_e32 v7, vcc_lo, 0, v7, vcc_lo
	s_and_not1_b32 s27, s27, exec_lo
	s_and_b32 s29, s29, exec_lo
	s_and_not1_b32 s25, s25, exec_lo
	s_and_b32 s28, s28, exec_lo
	s_or_b32 s27, s27, s29
	s_and_not1_b32 s26, s26, exec_lo
	s_or_b32 s25, s25, s28
                                        ; implicit-def: $sgpr28
	s_branch .LBB1000_708
.LBB1000_711:                           ;   in Loop: Header=BB1000_676 Depth=1
	s_set_inst_prefetch_distance 0x2
	s_or_b32 exec_lo, exec_lo, s23
	s_xor_b32 s3, s24, -1
	s_and_not1_b32 s4, s19, exec_lo
	s_and_b32 s3, s3, exec_lo
	s_delay_alu instid0(SALU_CYCLE_1)
	s_or_b32 s19, s4, s3
.LBB1000_712:                           ;   in Loop: Header=BB1000_676 Depth=1
	s_or_b32 exec_lo, exec_lo, s22
	s_delay_alu instid0(SALU_CYCLE_1)
	s_or_not1_b32 s19, s19, exec_lo
.LBB1000_713:                           ;   in Loop: Header=BB1000_676 Depth=1
	s_or_b32 exec_lo, exec_lo, s21
	v_cndmask_b32_e64 v4, v9, v8, s19
	v_cndmask_b32_e64 v5, v21, v20, s19
	s_mov_b32 s21, exec_lo
	s_delay_alu instid0(VALU_DEP_2) | instskip(NEXT) | instid1(VALU_DEP_2)
	v_add_nc_u32_e32 v30, 1, v4
	v_add_nc_u32_e32 v4, -1, v5
	s_delay_alu instid0(VALU_DEP_2) | instskip(NEXT) | instid1(VALU_DEP_2)
	v_cndmask_b32_e64 v9, v30, v9, s19
	v_min_u32_e32 v4, v30, v4
	s_delay_alu instid0(VALU_DEP_1)
	v_lshlrev_b32_e32 v4, 3, v4
	ds_load_b64 v[4:5], v4
	s_waitcnt lgkmcnt(0)
	v_cndmask_b32_e64 v7, v28, v5, s19
	v_cndmask_b32_e64 v6, v29, v4, s19
	v_cmpx_lt_u32_e64 v9, v21
	s_cbranch_execz .LBB1000_674
; %bb.714:                              ;   in Loop: Header=BB1000_676 Depth=1
	v_cndmask_b32_e64 v8, v8, v30, s19
	v_cndmask_b32_e64 v21, v5, v26, s19
	;; [unrolled: 1-line block ×3, first 2 shown]
	s_delay_alu instid0(VALU_DEP_3) | instskip(NEXT) | instid1(VALU_DEP_2)
	v_cmp_ge_u32_e32 vcc_lo, v8, v20
	v_dual_cndmask_b32 v5, v7, v21 :: v_dual_cndmask_b32 v4, v6, v30
	s_or_b32 s3, vcc_lo, s13
	s_delay_alu instid0(SALU_CYCLE_1) | instskip(NEXT) | instid1(SALU_CYCLE_1)
	s_xor_b32 s3, s3, -1
	s_and_saveexec_b32 s22, s3
	s_cbranch_execz .LBB1000_673
; %bb.715:                              ;   in Loop: Header=BB1000_676 Depth=1
	v_mad_u64_u32 v[4:5], null, v30, s8, s[10:11]
	v_mul_lo_u32 v20, v30, s9
	v_mul_lo_u32 v31, v21, s8
	v_mad_u64_u32 v[8:9], null, v6, s8, s[10:11]
	v_mul_lo_u32 v32, v6, s9
	v_mul_lo_u32 v33, v7, s8
	s_mov_b32 s23, 0
	s_mov_b64 s[4:5], s[8:9]
                                        ; implicit-def: $sgpr24
                                        ; implicit-def: $sgpr25
                                        ; implicit-def: $sgpr26
                                        ; implicit-def: $sgpr27
                                        ; implicit-def: $sgpr28
	s_delay_alu instid0(VALU_DEP_4) | instskip(NEXT) | instid1(VALU_DEP_2)
	v_add3_u32 v5, v31, v5, v20
	v_add3_u32 v9, v33, v9, v32
	s_set_inst_prefetch_distance 0x1
	s_branch .LBB1000_717
	.p2align	6
.LBB1000_716:                           ;   in Loop: Header=BB1000_717 Depth=2
	s_or_b32 exec_lo, exec_lo, s3
	s_delay_alu instid0(SALU_CYCLE_1) | instskip(NEXT) | instid1(SALU_CYCLE_1)
	s_and_b32 s3, exec_lo, s25
	s_or_b32 s23, s3, s23
	s_and_not1_b32 s3, s28, exec_lo
	s_and_b32 s28, s27, exec_lo
	s_and_not1_b32 s24, s24, exec_lo
	s_and_b32 s29, s26, exec_lo
	s_or_b32 s28, s3, s28
	s_or_b32 s24, s24, s29
	s_and_not1_b32 exec_lo, exec_lo, s23
	s_cbranch_execz .LBB1000_672
.LBB1000_717:                           ;   Parent Loop BB1000_676 Depth=1
                                        ; =>  This Inner Loop Header: Depth=2
	global_load_u8 v20, v[4:5], off
	global_load_u8 v31, v[8:9], off
	s_and_not1_b32 s26, s26, exec_lo
	s_and_not1_b32 s27, s27, exec_lo
	s_or_b32 s25, s25, exec_lo
	s_waitcnt vmcnt(1)
	v_cmp_eq_u16_e32 vcc_lo, 0, v20
	s_waitcnt vmcnt(0)
	v_cmp_ne_u16_e64 s3, 0, v31
	s_delay_alu instid0(VALU_DEP_1) | instskip(SKIP_4) | instid1(SALU_CYCLE_1)
	s_or_b32 s29, vcc_lo, s3
	s_and_b32 s30, vcc_lo, s3
	s_and_b32 s29, s29, s28
	s_xor_b32 s31, vcc_lo, s3
	s_or_b32 s29, s30, s29
	s_and_b32 s30, s29, exec_lo
	s_delay_alu instid0(SALU_CYCLE_1)
	s_or_b32 s26, s26, s30
	s_and_saveexec_b32 s3, s31
	s_cbranch_execz .LBB1000_716
; %bb.718:                              ;   in Loop: Header=BB1000_717 Depth=2
	s_add_u32 s4, s4, -1
	s_addc_u32 s5, s5, -1
	v_add_co_u32 v4, vcc_lo, v4, 1
	s_cmp_eq_u64 s[4:5], 0
	v_add_co_ci_u32_e32 v5, vcc_lo, 0, v5, vcc_lo
	v_add_co_u32 v8, vcc_lo, v8, 1
	s_cselect_b32 s28, -1, 0
	v_add_co_ci_u32_e32 v9, vcc_lo, 0, v9, vcc_lo
	s_and_not1_b32 s27, s27, exec_lo
	s_and_b32 s29, s29, exec_lo
	s_and_not1_b32 s25, s25, exec_lo
	s_and_b32 s28, s28, exec_lo
	s_or_b32 s27, s27, s29
	s_and_not1_b32 s26, s26, exec_lo
	s_or_b32 s25, s25, s28
                                        ; implicit-def: $sgpr28
	s_branch .LBB1000_716
.LBB1000_719:
	s_barrier
	buffer_gl0_inv
	ds_store_2addr_b64 v17, v[0:1], v[2:3] offset1:1
	ds_store_2addr_b64 v17, v[4:5], v[6:7] offset0:2 offset1:3
	s_waitcnt lgkmcnt(0)
	s_barrier
	buffer_gl0_inv
	ds_load_b64 v[6:7], v13 offset:2048
	ds_load_b64 v[2:3], v15 offset:4096
	;; [unrolled: 1-line block ×3, first 2 shown]
	v_add_co_u32 v4, s3, s6, v22
	v_mov_b32_e32 v13, 0
	v_add_co_ci_u32_e64 v5, null, s7, 0, s3
	s_and_saveexec_b32 s3, s0
	s_cbranch_execnz .LBB1000_727
; %bb.720:
	s_or_b32 exec_lo, exec_lo, s3
	s_and_saveexec_b32 s0, s1
	s_cbranch_execnz .LBB1000_728
.LBB1000_721:
	s_or_b32 exec_lo, exec_lo, s0
	s_and_saveexec_b32 s0, s2
	s_cbranch_execz .LBB1000_723
.LBB1000_722:
	v_add_co_u32 v4, vcc_lo, 0x1000, v4
	v_add_co_ci_u32_e32 v5, vcc_lo, 0, v5, vcc_lo
	s_waitcnt lgkmcnt(1)
	global_store_b64 v[4:5], v[2:3], off
.LBB1000_723:
	s_or_b32 exec_lo, exec_lo, s0
.LBB1000_724:
	s_and_saveexec_b32 s0, s12
	s_cbranch_execz .LBB1000_726
; %bb.725:
	s_waitcnt lgkmcnt(1)
	v_lshlrev_b64 v[2:3], 3, v[12:13]
	s_delay_alu instid0(VALU_DEP_1) | instskip(NEXT) | instid1(VALU_DEP_2)
	v_add_co_u32 v2, vcc_lo, s6, v2
	v_add_co_ci_u32_e32 v3, vcc_lo, s7, v3, vcc_lo
	s_delay_alu instid0(VALU_DEP_2) | instskip(NEXT) | instid1(VALU_DEP_2)
	v_add_co_u32 v2, vcc_lo, 0x1000, v2
	v_add_co_ci_u32_e32 v3, vcc_lo, 0, v3, vcc_lo
	s_waitcnt lgkmcnt(0)
	global_store_b64 v[2:3], v[0:1], off offset:2048
.LBB1000_726:
	s_nop 0
	s_sendmsg sendmsg(MSG_DEALLOC_VGPRS)
	s_endpgm
.LBB1000_727:
	ds_load_b64 v[8:9], v14
	s_waitcnt lgkmcnt(0)
	global_store_b64 v[4:5], v[8:9], off
	s_or_b32 exec_lo, exec_lo, s3
	s_and_saveexec_b32 s0, s1
	s_cbranch_execz .LBB1000_721
.LBB1000_728:
	s_waitcnt lgkmcnt(2)
	global_store_b64 v[4:5], v[6:7], off offset:2048
	s_or_b32 exec_lo, exec_lo, s0
	s_and_saveexec_b32 s0, s2
	s_cbranch_execnz .LBB1000_722
	s_branch .LBB1000_723
	.section	.rodata,"a",@progbits
	.p2align	6, 0x0
	.amdhsa_kernel _ZN7rocprim17ROCPRIM_400000_NS6detail17trampoline_kernelINS0_14default_configENS1_37merge_sort_block_sort_config_selectorIlNS0_10empty_typeEEEZNS1_21merge_sort_block_sortIS3_PlS8_PS5_S9_ZN2at6native12_GLOBAL__N_124unique_dim_cuda_templateIbEESt5tupleIJNSA_6TensorESF_SF_EERKSF_lbbbEUlllE_EE10hipError_tT0_T1_T2_T3_mRjT4_P12ihipStream_tbNS1_7vsmem_tEEUlT_E_NS1_11comp_targetILNS1_3genE9ELNS1_11target_archE1100ELNS1_3gpuE3ELNS1_3repE0EEENS1_30default_config_static_selectorELNS0_4arch9wavefront6targetE0EEEvSM_
		.amdhsa_group_segment_fixed_size 8448
		.amdhsa_private_segment_fixed_size 0
		.amdhsa_kernarg_size 328
		.amdhsa_user_sgpr_count 13
		.amdhsa_user_sgpr_dispatch_ptr 0
		.amdhsa_user_sgpr_queue_ptr 0
		.amdhsa_user_sgpr_kernarg_segment_ptr 1
		.amdhsa_user_sgpr_dispatch_id 0
		.amdhsa_user_sgpr_private_segment_size 0
		.amdhsa_wavefront_size32 1
		.amdhsa_uses_dynamic_stack 0
		.amdhsa_enable_private_segment 0
		.amdhsa_system_sgpr_workgroup_id_x 1
		.amdhsa_system_sgpr_workgroup_id_y 1
		.amdhsa_system_sgpr_workgroup_id_z 1
		.amdhsa_system_sgpr_workgroup_info 0
		.amdhsa_system_vgpr_workitem_id 2
		.amdhsa_next_free_vgpr 47
		.amdhsa_next_free_sgpr 35
		.amdhsa_reserve_vcc 1
		.amdhsa_float_round_mode_32 0
		.amdhsa_float_round_mode_16_64 0
		.amdhsa_float_denorm_mode_32 3
		.amdhsa_float_denorm_mode_16_64 3
		.amdhsa_dx10_clamp 1
		.amdhsa_ieee_mode 1
		.amdhsa_fp16_overflow 0
		.amdhsa_workgroup_processor_mode 1
		.amdhsa_memory_ordered 1
		.amdhsa_forward_progress 0
		.amdhsa_shared_vgpr_count 0
		.amdhsa_exception_fp_ieee_invalid_op 0
		.amdhsa_exception_fp_denorm_src 0
		.amdhsa_exception_fp_ieee_div_zero 0
		.amdhsa_exception_fp_ieee_overflow 0
		.amdhsa_exception_fp_ieee_underflow 0
		.amdhsa_exception_fp_ieee_inexact 0
		.amdhsa_exception_int_div_zero 0
	.end_amdhsa_kernel
	.section	.text._ZN7rocprim17ROCPRIM_400000_NS6detail17trampoline_kernelINS0_14default_configENS1_37merge_sort_block_sort_config_selectorIlNS0_10empty_typeEEEZNS1_21merge_sort_block_sortIS3_PlS8_PS5_S9_ZN2at6native12_GLOBAL__N_124unique_dim_cuda_templateIbEESt5tupleIJNSA_6TensorESF_SF_EERKSF_lbbbEUlllE_EE10hipError_tT0_T1_T2_T3_mRjT4_P12ihipStream_tbNS1_7vsmem_tEEUlT_E_NS1_11comp_targetILNS1_3genE9ELNS1_11target_archE1100ELNS1_3gpuE3ELNS1_3repE0EEENS1_30default_config_static_selectorELNS0_4arch9wavefront6targetE0EEEvSM_,"axG",@progbits,_ZN7rocprim17ROCPRIM_400000_NS6detail17trampoline_kernelINS0_14default_configENS1_37merge_sort_block_sort_config_selectorIlNS0_10empty_typeEEEZNS1_21merge_sort_block_sortIS3_PlS8_PS5_S9_ZN2at6native12_GLOBAL__N_124unique_dim_cuda_templateIbEESt5tupleIJNSA_6TensorESF_SF_EERKSF_lbbbEUlllE_EE10hipError_tT0_T1_T2_T3_mRjT4_P12ihipStream_tbNS1_7vsmem_tEEUlT_E_NS1_11comp_targetILNS1_3genE9ELNS1_11target_archE1100ELNS1_3gpuE3ELNS1_3repE0EEENS1_30default_config_static_selectorELNS0_4arch9wavefront6targetE0EEEvSM_,comdat
.Lfunc_end1000:
	.size	_ZN7rocprim17ROCPRIM_400000_NS6detail17trampoline_kernelINS0_14default_configENS1_37merge_sort_block_sort_config_selectorIlNS0_10empty_typeEEEZNS1_21merge_sort_block_sortIS3_PlS8_PS5_S9_ZN2at6native12_GLOBAL__N_124unique_dim_cuda_templateIbEESt5tupleIJNSA_6TensorESF_SF_EERKSF_lbbbEUlllE_EE10hipError_tT0_T1_T2_T3_mRjT4_P12ihipStream_tbNS1_7vsmem_tEEUlT_E_NS1_11comp_targetILNS1_3genE9ELNS1_11target_archE1100ELNS1_3gpuE3ELNS1_3repE0EEENS1_30default_config_static_selectorELNS0_4arch9wavefront6targetE0EEEvSM_, .Lfunc_end1000-_ZN7rocprim17ROCPRIM_400000_NS6detail17trampoline_kernelINS0_14default_configENS1_37merge_sort_block_sort_config_selectorIlNS0_10empty_typeEEEZNS1_21merge_sort_block_sortIS3_PlS8_PS5_S9_ZN2at6native12_GLOBAL__N_124unique_dim_cuda_templateIbEESt5tupleIJNSA_6TensorESF_SF_EERKSF_lbbbEUlllE_EE10hipError_tT0_T1_T2_T3_mRjT4_P12ihipStream_tbNS1_7vsmem_tEEUlT_E_NS1_11comp_targetILNS1_3genE9ELNS1_11target_archE1100ELNS1_3gpuE3ELNS1_3repE0EEENS1_30default_config_static_selectorELNS0_4arch9wavefront6targetE0EEEvSM_
                                        ; -- End function
	.section	.AMDGPU.csdata,"",@progbits
; Kernel info:
; codeLenInByte = 40284
; NumSgprs: 37
; NumVgprs: 47
; ScratchSize: 0
; MemoryBound: 0
; FloatMode: 240
; IeeeMode: 1
; LDSByteSize: 8448 bytes/workgroup (compile time only)
; SGPRBlocks: 4
; VGPRBlocks: 5
; NumSGPRsForWavesPerEU: 37
; NumVGPRsForWavesPerEU: 47
; Occupancy: 16
; WaveLimiterHint : 1
; COMPUTE_PGM_RSRC2:SCRATCH_EN: 0
; COMPUTE_PGM_RSRC2:USER_SGPR: 13
; COMPUTE_PGM_RSRC2:TRAP_HANDLER: 0
; COMPUTE_PGM_RSRC2:TGID_X_EN: 1
; COMPUTE_PGM_RSRC2:TGID_Y_EN: 1
; COMPUTE_PGM_RSRC2:TGID_Z_EN: 1
; COMPUTE_PGM_RSRC2:TIDIG_COMP_CNT: 2
	.section	.text._ZN7rocprim17ROCPRIM_400000_NS6detail17trampoline_kernelINS0_14default_configENS1_37merge_sort_block_sort_config_selectorIlNS0_10empty_typeEEEZNS1_21merge_sort_block_sortIS3_PlS8_PS5_S9_ZN2at6native12_GLOBAL__N_124unique_dim_cuda_templateIbEESt5tupleIJNSA_6TensorESF_SF_EERKSF_lbbbEUlllE_EE10hipError_tT0_T1_T2_T3_mRjT4_P12ihipStream_tbNS1_7vsmem_tEEUlT_E_NS1_11comp_targetILNS1_3genE8ELNS1_11target_archE1030ELNS1_3gpuE2ELNS1_3repE0EEENS1_30default_config_static_selectorELNS0_4arch9wavefront6targetE0EEEvSM_,"axG",@progbits,_ZN7rocprim17ROCPRIM_400000_NS6detail17trampoline_kernelINS0_14default_configENS1_37merge_sort_block_sort_config_selectorIlNS0_10empty_typeEEEZNS1_21merge_sort_block_sortIS3_PlS8_PS5_S9_ZN2at6native12_GLOBAL__N_124unique_dim_cuda_templateIbEESt5tupleIJNSA_6TensorESF_SF_EERKSF_lbbbEUlllE_EE10hipError_tT0_T1_T2_T3_mRjT4_P12ihipStream_tbNS1_7vsmem_tEEUlT_E_NS1_11comp_targetILNS1_3genE8ELNS1_11target_archE1030ELNS1_3gpuE2ELNS1_3repE0EEENS1_30default_config_static_selectorELNS0_4arch9wavefront6targetE0EEEvSM_,comdat
	.globl	_ZN7rocprim17ROCPRIM_400000_NS6detail17trampoline_kernelINS0_14default_configENS1_37merge_sort_block_sort_config_selectorIlNS0_10empty_typeEEEZNS1_21merge_sort_block_sortIS3_PlS8_PS5_S9_ZN2at6native12_GLOBAL__N_124unique_dim_cuda_templateIbEESt5tupleIJNSA_6TensorESF_SF_EERKSF_lbbbEUlllE_EE10hipError_tT0_T1_T2_T3_mRjT4_P12ihipStream_tbNS1_7vsmem_tEEUlT_E_NS1_11comp_targetILNS1_3genE8ELNS1_11target_archE1030ELNS1_3gpuE2ELNS1_3repE0EEENS1_30default_config_static_selectorELNS0_4arch9wavefront6targetE0EEEvSM_ ; -- Begin function _ZN7rocprim17ROCPRIM_400000_NS6detail17trampoline_kernelINS0_14default_configENS1_37merge_sort_block_sort_config_selectorIlNS0_10empty_typeEEEZNS1_21merge_sort_block_sortIS3_PlS8_PS5_S9_ZN2at6native12_GLOBAL__N_124unique_dim_cuda_templateIbEESt5tupleIJNSA_6TensorESF_SF_EERKSF_lbbbEUlllE_EE10hipError_tT0_T1_T2_T3_mRjT4_P12ihipStream_tbNS1_7vsmem_tEEUlT_E_NS1_11comp_targetILNS1_3genE8ELNS1_11target_archE1030ELNS1_3gpuE2ELNS1_3repE0EEENS1_30default_config_static_selectorELNS0_4arch9wavefront6targetE0EEEvSM_
	.p2align	8
	.type	_ZN7rocprim17ROCPRIM_400000_NS6detail17trampoline_kernelINS0_14default_configENS1_37merge_sort_block_sort_config_selectorIlNS0_10empty_typeEEEZNS1_21merge_sort_block_sortIS3_PlS8_PS5_S9_ZN2at6native12_GLOBAL__N_124unique_dim_cuda_templateIbEESt5tupleIJNSA_6TensorESF_SF_EERKSF_lbbbEUlllE_EE10hipError_tT0_T1_T2_T3_mRjT4_P12ihipStream_tbNS1_7vsmem_tEEUlT_E_NS1_11comp_targetILNS1_3genE8ELNS1_11target_archE1030ELNS1_3gpuE2ELNS1_3repE0EEENS1_30default_config_static_selectorELNS0_4arch9wavefront6targetE0EEEvSM_,@function
_ZN7rocprim17ROCPRIM_400000_NS6detail17trampoline_kernelINS0_14default_configENS1_37merge_sort_block_sort_config_selectorIlNS0_10empty_typeEEEZNS1_21merge_sort_block_sortIS3_PlS8_PS5_S9_ZN2at6native12_GLOBAL__N_124unique_dim_cuda_templateIbEESt5tupleIJNSA_6TensorESF_SF_EERKSF_lbbbEUlllE_EE10hipError_tT0_T1_T2_T3_mRjT4_P12ihipStream_tbNS1_7vsmem_tEEUlT_E_NS1_11comp_targetILNS1_3genE8ELNS1_11target_archE1030ELNS1_3gpuE2ELNS1_3repE0EEENS1_30default_config_static_selectorELNS0_4arch9wavefront6targetE0EEEvSM_: ; @_ZN7rocprim17ROCPRIM_400000_NS6detail17trampoline_kernelINS0_14default_configENS1_37merge_sort_block_sort_config_selectorIlNS0_10empty_typeEEEZNS1_21merge_sort_block_sortIS3_PlS8_PS5_S9_ZN2at6native12_GLOBAL__N_124unique_dim_cuda_templateIbEESt5tupleIJNSA_6TensorESF_SF_EERKSF_lbbbEUlllE_EE10hipError_tT0_T1_T2_T3_mRjT4_P12ihipStream_tbNS1_7vsmem_tEEUlT_E_NS1_11comp_targetILNS1_3genE8ELNS1_11target_archE1030ELNS1_3gpuE2ELNS1_3repE0EEENS1_30default_config_static_selectorELNS0_4arch9wavefront6targetE0EEEvSM_
; %bb.0:
	.section	.rodata,"a",@progbits
	.p2align	6, 0x0
	.amdhsa_kernel _ZN7rocprim17ROCPRIM_400000_NS6detail17trampoline_kernelINS0_14default_configENS1_37merge_sort_block_sort_config_selectorIlNS0_10empty_typeEEEZNS1_21merge_sort_block_sortIS3_PlS8_PS5_S9_ZN2at6native12_GLOBAL__N_124unique_dim_cuda_templateIbEESt5tupleIJNSA_6TensorESF_SF_EERKSF_lbbbEUlllE_EE10hipError_tT0_T1_T2_T3_mRjT4_P12ihipStream_tbNS1_7vsmem_tEEUlT_E_NS1_11comp_targetILNS1_3genE8ELNS1_11target_archE1030ELNS1_3gpuE2ELNS1_3repE0EEENS1_30default_config_static_selectorELNS0_4arch9wavefront6targetE0EEEvSM_
		.amdhsa_group_segment_fixed_size 0
		.amdhsa_private_segment_fixed_size 0
		.amdhsa_kernarg_size 72
		.amdhsa_user_sgpr_count 15
		.amdhsa_user_sgpr_dispatch_ptr 0
		.amdhsa_user_sgpr_queue_ptr 0
		.amdhsa_user_sgpr_kernarg_segment_ptr 1
		.amdhsa_user_sgpr_dispatch_id 0
		.amdhsa_user_sgpr_private_segment_size 0
		.amdhsa_wavefront_size32 1
		.amdhsa_uses_dynamic_stack 0
		.amdhsa_enable_private_segment 0
		.amdhsa_system_sgpr_workgroup_id_x 1
		.amdhsa_system_sgpr_workgroup_id_y 0
		.amdhsa_system_sgpr_workgroup_id_z 0
		.amdhsa_system_sgpr_workgroup_info 0
		.amdhsa_system_vgpr_workitem_id 0
		.amdhsa_next_free_vgpr 1
		.amdhsa_next_free_sgpr 1
		.amdhsa_reserve_vcc 0
		.amdhsa_float_round_mode_32 0
		.amdhsa_float_round_mode_16_64 0
		.amdhsa_float_denorm_mode_32 3
		.amdhsa_float_denorm_mode_16_64 3
		.amdhsa_dx10_clamp 1
		.amdhsa_ieee_mode 1
		.amdhsa_fp16_overflow 0
		.amdhsa_workgroup_processor_mode 1
		.amdhsa_memory_ordered 1
		.amdhsa_forward_progress 0
		.amdhsa_shared_vgpr_count 0
		.amdhsa_exception_fp_ieee_invalid_op 0
		.amdhsa_exception_fp_denorm_src 0
		.amdhsa_exception_fp_ieee_div_zero 0
		.amdhsa_exception_fp_ieee_overflow 0
		.amdhsa_exception_fp_ieee_underflow 0
		.amdhsa_exception_fp_ieee_inexact 0
		.amdhsa_exception_int_div_zero 0
	.end_amdhsa_kernel
	.section	.text._ZN7rocprim17ROCPRIM_400000_NS6detail17trampoline_kernelINS0_14default_configENS1_37merge_sort_block_sort_config_selectorIlNS0_10empty_typeEEEZNS1_21merge_sort_block_sortIS3_PlS8_PS5_S9_ZN2at6native12_GLOBAL__N_124unique_dim_cuda_templateIbEESt5tupleIJNSA_6TensorESF_SF_EERKSF_lbbbEUlllE_EE10hipError_tT0_T1_T2_T3_mRjT4_P12ihipStream_tbNS1_7vsmem_tEEUlT_E_NS1_11comp_targetILNS1_3genE8ELNS1_11target_archE1030ELNS1_3gpuE2ELNS1_3repE0EEENS1_30default_config_static_selectorELNS0_4arch9wavefront6targetE0EEEvSM_,"axG",@progbits,_ZN7rocprim17ROCPRIM_400000_NS6detail17trampoline_kernelINS0_14default_configENS1_37merge_sort_block_sort_config_selectorIlNS0_10empty_typeEEEZNS1_21merge_sort_block_sortIS3_PlS8_PS5_S9_ZN2at6native12_GLOBAL__N_124unique_dim_cuda_templateIbEESt5tupleIJNSA_6TensorESF_SF_EERKSF_lbbbEUlllE_EE10hipError_tT0_T1_T2_T3_mRjT4_P12ihipStream_tbNS1_7vsmem_tEEUlT_E_NS1_11comp_targetILNS1_3genE8ELNS1_11target_archE1030ELNS1_3gpuE2ELNS1_3repE0EEENS1_30default_config_static_selectorELNS0_4arch9wavefront6targetE0EEEvSM_,comdat
.Lfunc_end1001:
	.size	_ZN7rocprim17ROCPRIM_400000_NS6detail17trampoline_kernelINS0_14default_configENS1_37merge_sort_block_sort_config_selectorIlNS0_10empty_typeEEEZNS1_21merge_sort_block_sortIS3_PlS8_PS5_S9_ZN2at6native12_GLOBAL__N_124unique_dim_cuda_templateIbEESt5tupleIJNSA_6TensorESF_SF_EERKSF_lbbbEUlllE_EE10hipError_tT0_T1_T2_T3_mRjT4_P12ihipStream_tbNS1_7vsmem_tEEUlT_E_NS1_11comp_targetILNS1_3genE8ELNS1_11target_archE1030ELNS1_3gpuE2ELNS1_3repE0EEENS1_30default_config_static_selectorELNS0_4arch9wavefront6targetE0EEEvSM_, .Lfunc_end1001-_ZN7rocprim17ROCPRIM_400000_NS6detail17trampoline_kernelINS0_14default_configENS1_37merge_sort_block_sort_config_selectorIlNS0_10empty_typeEEEZNS1_21merge_sort_block_sortIS3_PlS8_PS5_S9_ZN2at6native12_GLOBAL__N_124unique_dim_cuda_templateIbEESt5tupleIJNSA_6TensorESF_SF_EERKSF_lbbbEUlllE_EE10hipError_tT0_T1_T2_T3_mRjT4_P12ihipStream_tbNS1_7vsmem_tEEUlT_E_NS1_11comp_targetILNS1_3genE8ELNS1_11target_archE1030ELNS1_3gpuE2ELNS1_3repE0EEENS1_30default_config_static_selectorELNS0_4arch9wavefront6targetE0EEEvSM_
                                        ; -- End function
	.section	.AMDGPU.csdata,"",@progbits
; Kernel info:
; codeLenInByte = 0
; NumSgprs: 0
; NumVgprs: 0
; ScratchSize: 0
; MemoryBound: 0
; FloatMode: 240
; IeeeMode: 1
; LDSByteSize: 0 bytes/workgroup (compile time only)
; SGPRBlocks: 0
; VGPRBlocks: 0
; NumSGPRsForWavesPerEU: 1
; NumVGPRsForWavesPerEU: 1
; Occupancy: 16
; WaveLimiterHint : 0
; COMPUTE_PGM_RSRC2:SCRATCH_EN: 0
; COMPUTE_PGM_RSRC2:USER_SGPR: 15
; COMPUTE_PGM_RSRC2:TRAP_HANDLER: 0
; COMPUTE_PGM_RSRC2:TGID_X_EN: 1
; COMPUTE_PGM_RSRC2:TGID_Y_EN: 0
; COMPUTE_PGM_RSRC2:TGID_Z_EN: 0
; COMPUTE_PGM_RSRC2:TIDIG_COMP_CNT: 0
	.section	.text._ZN7rocprim17ROCPRIM_400000_NS6detail17trampoline_kernelINS0_14default_configENS1_38merge_sort_block_merge_config_selectorIlNS0_10empty_typeEEEZZNS1_27merge_sort_block_merge_implIS3_PlPS5_mZN2at6native12_GLOBAL__N_124unique_dim_cuda_templateIbEESt5tupleIJNSA_6TensorESF_SF_EERKSF_lbbbEUlllE_EE10hipError_tT0_T1_T2_jT3_P12ihipStream_tbPNSt15iterator_traitsISL_E10value_typeEPNSR_ISM_E10value_typeEPSN_NS1_7vsmem_tEENKUlT_SL_SM_SN_E_clIS8_S8_S9_S9_EESK_S10_SL_SM_SN_EUlS10_E_NS1_11comp_targetILNS1_3genE0ELNS1_11target_archE4294967295ELNS1_3gpuE0ELNS1_3repE0EEENS1_48merge_mergepath_partition_config_static_selectorELNS0_4arch9wavefront6targetE0EEEvSM_,"axG",@progbits,_ZN7rocprim17ROCPRIM_400000_NS6detail17trampoline_kernelINS0_14default_configENS1_38merge_sort_block_merge_config_selectorIlNS0_10empty_typeEEEZZNS1_27merge_sort_block_merge_implIS3_PlPS5_mZN2at6native12_GLOBAL__N_124unique_dim_cuda_templateIbEESt5tupleIJNSA_6TensorESF_SF_EERKSF_lbbbEUlllE_EE10hipError_tT0_T1_T2_jT3_P12ihipStream_tbPNSt15iterator_traitsISL_E10value_typeEPNSR_ISM_E10value_typeEPSN_NS1_7vsmem_tEENKUlT_SL_SM_SN_E_clIS8_S8_S9_S9_EESK_S10_SL_SM_SN_EUlS10_E_NS1_11comp_targetILNS1_3genE0ELNS1_11target_archE4294967295ELNS1_3gpuE0ELNS1_3repE0EEENS1_48merge_mergepath_partition_config_static_selectorELNS0_4arch9wavefront6targetE0EEEvSM_,comdat
	.globl	_ZN7rocprim17ROCPRIM_400000_NS6detail17trampoline_kernelINS0_14default_configENS1_38merge_sort_block_merge_config_selectorIlNS0_10empty_typeEEEZZNS1_27merge_sort_block_merge_implIS3_PlPS5_mZN2at6native12_GLOBAL__N_124unique_dim_cuda_templateIbEESt5tupleIJNSA_6TensorESF_SF_EERKSF_lbbbEUlllE_EE10hipError_tT0_T1_T2_jT3_P12ihipStream_tbPNSt15iterator_traitsISL_E10value_typeEPNSR_ISM_E10value_typeEPSN_NS1_7vsmem_tEENKUlT_SL_SM_SN_E_clIS8_S8_S9_S9_EESK_S10_SL_SM_SN_EUlS10_E_NS1_11comp_targetILNS1_3genE0ELNS1_11target_archE4294967295ELNS1_3gpuE0ELNS1_3repE0EEENS1_48merge_mergepath_partition_config_static_selectorELNS0_4arch9wavefront6targetE0EEEvSM_ ; -- Begin function _ZN7rocprim17ROCPRIM_400000_NS6detail17trampoline_kernelINS0_14default_configENS1_38merge_sort_block_merge_config_selectorIlNS0_10empty_typeEEEZZNS1_27merge_sort_block_merge_implIS3_PlPS5_mZN2at6native12_GLOBAL__N_124unique_dim_cuda_templateIbEESt5tupleIJNSA_6TensorESF_SF_EERKSF_lbbbEUlllE_EE10hipError_tT0_T1_T2_jT3_P12ihipStream_tbPNSt15iterator_traitsISL_E10value_typeEPNSR_ISM_E10value_typeEPSN_NS1_7vsmem_tEENKUlT_SL_SM_SN_E_clIS8_S8_S9_S9_EESK_S10_SL_SM_SN_EUlS10_E_NS1_11comp_targetILNS1_3genE0ELNS1_11target_archE4294967295ELNS1_3gpuE0ELNS1_3repE0EEENS1_48merge_mergepath_partition_config_static_selectorELNS0_4arch9wavefront6targetE0EEEvSM_
	.p2align	8
	.type	_ZN7rocprim17ROCPRIM_400000_NS6detail17trampoline_kernelINS0_14default_configENS1_38merge_sort_block_merge_config_selectorIlNS0_10empty_typeEEEZZNS1_27merge_sort_block_merge_implIS3_PlPS5_mZN2at6native12_GLOBAL__N_124unique_dim_cuda_templateIbEESt5tupleIJNSA_6TensorESF_SF_EERKSF_lbbbEUlllE_EE10hipError_tT0_T1_T2_jT3_P12ihipStream_tbPNSt15iterator_traitsISL_E10value_typeEPNSR_ISM_E10value_typeEPSN_NS1_7vsmem_tEENKUlT_SL_SM_SN_E_clIS8_S8_S9_S9_EESK_S10_SL_SM_SN_EUlS10_E_NS1_11comp_targetILNS1_3genE0ELNS1_11target_archE4294967295ELNS1_3gpuE0ELNS1_3repE0EEENS1_48merge_mergepath_partition_config_static_selectorELNS0_4arch9wavefront6targetE0EEEvSM_,@function
_ZN7rocprim17ROCPRIM_400000_NS6detail17trampoline_kernelINS0_14default_configENS1_38merge_sort_block_merge_config_selectorIlNS0_10empty_typeEEEZZNS1_27merge_sort_block_merge_implIS3_PlPS5_mZN2at6native12_GLOBAL__N_124unique_dim_cuda_templateIbEESt5tupleIJNSA_6TensorESF_SF_EERKSF_lbbbEUlllE_EE10hipError_tT0_T1_T2_jT3_P12ihipStream_tbPNSt15iterator_traitsISL_E10value_typeEPNSR_ISM_E10value_typeEPSN_NS1_7vsmem_tEENKUlT_SL_SM_SN_E_clIS8_S8_S9_S9_EESK_S10_SL_SM_SN_EUlS10_E_NS1_11comp_targetILNS1_3genE0ELNS1_11target_archE4294967295ELNS1_3gpuE0ELNS1_3repE0EEENS1_48merge_mergepath_partition_config_static_selectorELNS0_4arch9wavefront6targetE0EEEvSM_: ; @_ZN7rocprim17ROCPRIM_400000_NS6detail17trampoline_kernelINS0_14default_configENS1_38merge_sort_block_merge_config_selectorIlNS0_10empty_typeEEEZZNS1_27merge_sort_block_merge_implIS3_PlPS5_mZN2at6native12_GLOBAL__N_124unique_dim_cuda_templateIbEESt5tupleIJNSA_6TensorESF_SF_EERKSF_lbbbEUlllE_EE10hipError_tT0_T1_T2_jT3_P12ihipStream_tbPNSt15iterator_traitsISL_E10value_typeEPNSR_ISM_E10value_typeEPSN_NS1_7vsmem_tEENKUlT_SL_SM_SN_E_clIS8_S8_S9_S9_EESK_S10_SL_SM_SN_EUlS10_E_NS1_11comp_targetILNS1_3genE0ELNS1_11target_archE4294967295ELNS1_3gpuE0ELNS1_3repE0EEENS1_48merge_mergepath_partition_config_static_selectorELNS0_4arch9wavefront6targetE0EEEvSM_
; %bb.0:
	.section	.rodata,"a",@progbits
	.p2align	6, 0x0
	.amdhsa_kernel _ZN7rocprim17ROCPRIM_400000_NS6detail17trampoline_kernelINS0_14default_configENS1_38merge_sort_block_merge_config_selectorIlNS0_10empty_typeEEEZZNS1_27merge_sort_block_merge_implIS3_PlPS5_mZN2at6native12_GLOBAL__N_124unique_dim_cuda_templateIbEESt5tupleIJNSA_6TensorESF_SF_EERKSF_lbbbEUlllE_EE10hipError_tT0_T1_T2_jT3_P12ihipStream_tbPNSt15iterator_traitsISL_E10value_typeEPNSR_ISM_E10value_typeEPSN_NS1_7vsmem_tEENKUlT_SL_SM_SN_E_clIS8_S8_S9_S9_EESK_S10_SL_SM_SN_EUlS10_E_NS1_11comp_targetILNS1_3genE0ELNS1_11target_archE4294967295ELNS1_3gpuE0ELNS1_3repE0EEENS1_48merge_mergepath_partition_config_static_selectorELNS0_4arch9wavefront6targetE0EEEvSM_
		.amdhsa_group_segment_fixed_size 0
		.amdhsa_private_segment_fixed_size 0
		.amdhsa_kernarg_size 56
		.amdhsa_user_sgpr_count 15
		.amdhsa_user_sgpr_dispatch_ptr 0
		.amdhsa_user_sgpr_queue_ptr 0
		.amdhsa_user_sgpr_kernarg_segment_ptr 1
		.amdhsa_user_sgpr_dispatch_id 0
		.amdhsa_user_sgpr_private_segment_size 0
		.amdhsa_wavefront_size32 1
		.amdhsa_uses_dynamic_stack 0
		.amdhsa_enable_private_segment 0
		.amdhsa_system_sgpr_workgroup_id_x 1
		.amdhsa_system_sgpr_workgroup_id_y 0
		.amdhsa_system_sgpr_workgroup_id_z 0
		.amdhsa_system_sgpr_workgroup_info 0
		.amdhsa_system_vgpr_workitem_id 0
		.amdhsa_next_free_vgpr 1
		.amdhsa_next_free_sgpr 1
		.amdhsa_reserve_vcc 0
		.amdhsa_float_round_mode_32 0
		.amdhsa_float_round_mode_16_64 0
		.amdhsa_float_denorm_mode_32 3
		.amdhsa_float_denorm_mode_16_64 3
		.amdhsa_dx10_clamp 1
		.amdhsa_ieee_mode 1
		.amdhsa_fp16_overflow 0
		.amdhsa_workgroup_processor_mode 1
		.amdhsa_memory_ordered 1
		.amdhsa_forward_progress 0
		.amdhsa_shared_vgpr_count 0
		.amdhsa_exception_fp_ieee_invalid_op 0
		.amdhsa_exception_fp_denorm_src 0
		.amdhsa_exception_fp_ieee_div_zero 0
		.amdhsa_exception_fp_ieee_overflow 0
		.amdhsa_exception_fp_ieee_underflow 0
		.amdhsa_exception_fp_ieee_inexact 0
		.amdhsa_exception_int_div_zero 0
	.end_amdhsa_kernel
	.section	.text._ZN7rocprim17ROCPRIM_400000_NS6detail17trampoline_kernelINS0_14default_configENS1_38merge_sort_block_merge_config_selectorIlNS0_10empty_typeEEEZZNS1_27merge_sort_block_merge_implIS3_PlPS5_mZN2at6native12_GLOBAL__N_124unique_dim_cuda_templateIbEESt5tupleIJNSA_6TensorESF_SF_EERKSF_lbbbEUlllE_EE10hipError_tT0_T1_T2_jT3_P12ihipStream_tbPNSt15iterator_traitsISL_E10value_typeEPNSR_ISM_E10value_typeEPSN_NS1_7vsmem_tEENKUlT_SL_SM_SN_E_clIS8_S8_S9_S9_EESK_S10_SL_SM_SN_EUlS10_E_NS1_11comp_targetILNS1_3genE0ELNS1_11target_archE4294967295ELNS1_3gpuE0ELNS1_3repE0EEENS1_48merge_mergepath_partition_config_static_selectorELNS0_4arch9wavefront6targetE0EEEvSM_,"axG",@progbits,_ZN7rocprim17ROCPRIM_400000_NS6detail17trampoline_kernelINS0_14default_configENS1_38merge_sort_block_merge_config_selectorIlNS0_10empty_typeEEEZZNS1_27merge_sort_block_merge_implIS3_PlPS5_mZN2at6native12_GLOBAL__N_124unique_dim_cuda_templateIbEESt5tupleIJNSA_6TensorESF_SF_EERKSF_lbbbEUlllE_EE10hipError_tT0_T1_T2_jT3_P12ihipStream_tbPNSt15iterator_traitsISL_E10value_typeEPNSR_ISM_E10value_typeEPSN_NS1_7vsmem_tEENKUlT_SL_SM_SN_E_clIS8_S8_S9_S9_EESK_S10_SL_SM_SN_EUlS10_E_NS1_11comp_targetILNS1_3genE0ELNS1_11target_archE4294967295ELNS1_3gpuE0ELNS1_3repE0EEENS1_48merge_mergepath_partition_config_static_selectorELNS0_4arch9wavefront6targetE0EEEvSM_,comdat
.Lfunc_end1002:
	.size	_ZN7rocprim17ROCPRIM_400000_NS6detail17trampoline_kernelINS0_14default_configENS1_38merge_sort_block_merge_config_selectorIlNS0_10empty_typeEEEZZNS1_27merge_sort_block_merge_implIS3_PlPS5_mZN2at6native12_GLOBAL__N_124unique_dim_cuda_templateIbEESt5tupleIJNSA_6TensorESF_SF_EERKSF_lbbbEUlllE_EE10hipError_tT0_T1_T2_jT3_P12ihipStream_tbPNSt15iterator_traitsISL_E10value_typeEPNSR_ISM_E10value_typeEPSN_NS1_7vsmem_tEENKUlT_SL_SM_SN_E_clIS8_S8_S9_S9_EESK_S10_SL_SM_SN_EUlS10_E_NS1_11comp_targetILNS1_3genE0ELNS1_11target_archE4294967295ELNS1_3gpuE0ELNS1_3repE0EEENS1_48merge_mergepath_partition_config_static_selectorELNS0_4arch9wavefront6targetE0EEEvSM_, .Lfunc_end1002-_ZN7rocprim17ROCPRIM_400000_NS6detail17trampoline_kernelINS0_14default_configENS1_38merge_sort_block_merge_config_selectorIlNS0_10empty_typeEEEZZNS1_27merge_sort_block_merge_implIS3_PlPS5_mZN2at6native12_GLOBAL__N_124unique_dim_cuda_templateIbEESt5tupleIJNSA_6TensorESF_SF_EERKSF_lbbbEUlllE_EE10hipError_tT0_T1_T2_jT3_P12ihipStream_tbPNSt15iterator_traitsISL_E10value_typeEPNSR_ISM_E10value_typeEPSN_NS1_7vsmem_tEENKUlT_SL_SM_SN_E_clIS8_S8_S9_S9_EESK_S10_SL_SM_SN_EUlS10_E_NS1_11comp_targetILNS1_3genE0ELNS1_11target_archE4294967295ELNS1_3gpuE0ELNS1_3repE0EEENS1_48merge_mergepath_partition_config_static_selectorELNS0_4arch9wavefront6targetE0EEEvSM_
                                        ; -- End function
	.section	.AMDGPU.csdata,"",@progbits
; Kernel info:
; codeLenInByte = 0
; NumSgprs: 0
; NumVgprs: 0
; ScratchSize: 0
; MemoryBound: 0
; FloatMode: 240
; IeeeMode: 1
; LDSByteSize: 0 bytes/workgroup (compile time only)
; SGPRBlocks: 0
; VGPRBlocks: 0
; NumSGPRsForWavesPerEU: 1
; NumVGPRsForWavesPerEU: 1
; Occupancy: 16
; WaveLimiterHint : 0
; COMPUTE_PGM_RSRC2:SCRATCH_EN: 0
; COMPUTE_PGM_RSRC2:USER_SGPR: 15
; COMPUTE_PGM_RSRC2:TRAP_HANDLER: 0
; COMPUTE_PGM_RSRC2:TGID_X_EN: 1
; COMPUTE_PGM_RSRC2:TGID_Y_EN: 0
; COMPUTE_PGM_RSRC2:TGID_Z_EN: 0
; COMPUTE_PGM_RSRC2:TIDIG_COMP_CNT: 0
	.section	.text._ZN7rocprim17ROCPRIM_400000_NS6detail17trampoline_kernelINS0_14default_configENS1_38merge_sort_block_merge_config_selectorIlNS0_10empty_typeEEEZZNS1_27merge_sort_block_merge_implIS3_PlPS5_mZN2at6native12_GLOBAL__N_124unique_dim_cuda_templateIbEESt5tupleIJNSA_6TensorESF_SF_EERKSF_lbbbEUlllE_EE10hipError_tT0_T1_T2_jT3_P12ihipStream_tbPNSt15iterator_traitsISL_E10value_typeEPNSR_ISM_E10value_typeEPSN_NS1_7vsmem_tEENKUlT_SL_SM_SN_E_clIS8_S8_S9_S9_EESK_S10_SL_SM_SN_EUlS10_E_NS1_11comp_targetILNS1_3genE10ELNS1_11target_archE1201ELNS1_3gpuE5ELNS1_3repE0EEENS1_48merge_mergepath_partition_config_static_selectorELNS0_4arch9wavefront6targetE0EEEvSM_,"axG",@progbits,_ZN7rocprim17ROCPRIM_400000_NS6detail17trampoline_kernelINS0_14default_configENS1_38merge_sort_block_merge_config_selectorIlNS0_10empty_typeEEEZZNS1_27merge_sort_block_merge_implIS3_PlPS5_mZN2at6native12_GLOBAL__N_124unique_dim_cuda_templateIbEESt5tupleIJNSA_6TensorESF_SF_EERKSF_lbbbEUlllE_EE10hipError_tT0_T1_T2_jT3_P12ihipStream_tbPNSt15iterator_traitsISL_E10value_typeEPNSR_ISM_E10value_typeEPSN_NS1_7vsmem_tEENKUlT_SL_SM_SN_E_clIS8_S8_S9_S9_EESK_S10_SL_SM_SN_EUlS10_E_NS1_11comp_targetILNS1_3genE10ELNS1_11target_archE1201ELNS1_3gpuE5ELNS1_3repE0EEENS1_48merge_mergepath_partition_config_static_selectorELNS0_4arch9wavefront6targetE0EEEvSM_,comdat
	.globl	_ZN7rocprim17ROCPRIM_400000_NS6detail17trampoline_kernelINS0_14default_configENS1_38merge_sort_block_merge_config_selectorIlNS0_10empty_typeEEEZZNS1_27merge_sort_block_merge_implIS3_PlPS5_mZN2at6native12_GLOBAL__N_124unique_dim_cuda_templateIbEESt5tupleIJNSA_6TensorESF_SF_EERKSF_lbbbEUlllE_EE10hipError_tT0_T1_T2_jT3_P12ihipStream_tbPNSt15iterator_traitsISL_E10value_typeEPNSR_ISM_E10value_typeEPSN_NS1_7vsmem_tEENKUlT_SL_SM_SN_E_clIS8_S8_S9_S9_EESK_S10_SL_SM_SN_EUlS10_E_NS1_11comp_targetILNS1_3genE10ELNS1_11target_archE1201ELNS1_3gpuE5ELNS1_3repE0EEENS1_48merge_mergepath_partition_config_static_selectorELNS0_4arch9wavefront6targetE0EEEvSM_ ; -- Begin function _ZN7rocprim17ROCPRIM_400000_NS6detail17trampoline_kernelINS0_14default_configENS1_38merge_sort_block_merge_config_selectorIlNS0_10empty_typeEEEZZNS1_27merge_sort_block_merge_implIS3_PlPS5_mZN2at6native12_GLOBAL__N_124unique_dim_cuda_templateIbEESt5tupleIJNSA_6TensorESF_SF_EERKSF_lbbbEUlllE_EE10hipError_tT0_T1_T2_jT3_P12ihipStream_tbPNSt15iterator_traitsISL_E10value_typeEPNSR_ISM_E10value_typeEPSN_NS1_7vsmem_tEENKUlT_SL_SM_SN_E_clIS8_S8_S9_S9_EESK_S10_SL_SM_SN_EUlS10_E_NS1_11comp_targetILNS1_3genE10ELNS1_11target_archE1201ELNS1_3gpuE5ELNS1_3repE0EEENS1_48merge_mergepath_partition_config_static_selectorELNS0_4arch9wavefront6targetE0EEEvSM_
	.p2align	8
	.type	_ZN7rocprim17ROCPRIM_400000_NS6detail17trampoline_kernelINS0_14default_configENS1_38merge_sort_block_merge_config_selectorIlNS0_10empty_typeEEEZZNS1_27merge_sort_block_merge_implIS3_PlPS5_mZN2at6native12_GLOBAL__N_124unique_dim_cuda_templateIbEESt5tupleIJNSA_6TensorESF_SF_EERKSF_lbbbEUlllE_EE10hipError_tT0_T1_T2_jT3_P12ihipStream_tbPNSt15iterator_traitsISL_E10value_typeEPNSR_ISM_E10value_typeEPSN_NS1_7vsmem_tEENKUlT_SL_SM_SN_E_clIS8_S8_S9_S9_EESK_S10_SL_SM_SN_EUlS10_E_NS1_11comp_targetILNS1_3genE10ELNS1_11target_archE1201ELNS1_3gpuE5ELNS1_3repE0EEENS1_48merge_mergepath_partition_config_static_selectorELNS0_4arch9wavefront6targetE0EEEvSM_,@function
_ZN7rocprim17ROCPRIM_400000_NS6detail17trampoline_kernelINS0_14default_configENS1_38merge_sort_block_merge_config_selectorIlNS0_10empty_typeEEEZZNS1_27merge_sort_block_merge_implIS3_PlPS5_mZN2at6native12_GLOBAL__N_124unique_dim_cuda_templateIbEESt5tupleIJNSA_6TensorESF_SF_EERKSF_lbbbEUlllE_EE10hipError_tT0_T1_T2_jT3_P12ihipStream_tbPNSt15iterator_traitsISL_E10value_typeEPNSR_ISM_E10value_typeEPSN_NS1_7vsmem_tEENKUlT_SL_SM_SN_E_clIS8_S8_S9_S9_EESK_S10_SL_SM_SN_EUlS10_E_NS1_11comp_targetILNS1_3genE10ELNS1_11target_archE1201ELNS1_3gpuE5ELNS1_3repE0EEENS1_48merge_mergepath_partition_config_static_selectorELNS0_4arch9wavefront6targetE0EEEvSM_: ; @_ZN7rocprim17ROCPRIM_400000_NS6detail17trampoline_kernelINS0_14default_configENS1_38merge_sort_block_merge_config_selectorIlNS0_10empty_typeEEEZZNS1_27merge_sort_block_merge_implIS3_PlPS5_mZN2at6native12_GLOBAL__N_124unique_dim_cuda_templateIbEESt5tupleIJNSA_6TensorESF_SF_EERKSF_lbbbEUlllE_EE10hipError_tT0_T1_T2_jT3_P12ihipStream_tbPNSt15iterator_traitsISL_E10value_typeEPNSR_ISM_E10value_typeEPSN_NS1_7vsmem_tEENKUlT_SL_SM_SN_E_clIS8_S8_S9_S9_EESK_S10_SL_SM_SN_EUlS10_E_NS1_11comp_targetILNS1_3genE10ELNS1_11target_archE1201ELNS1_3gpuE5ELNS1_3repE0EEENS1_48merge_mergepath_partition_config_static_selectorELNS0_4arch9wavefront6targetE0EEEvSM_
; %bb.0:
	.section	.rodata,"a",@progbits
	.p2align	6, 0x0
	.amdhsa_kernel _ZN7rocprim17ROCPRIM_400000_NS6detail17trampoline_kernelINS0_14default_configENS1_38merge_sort_block_merge_config_selectorIlNS0_10empty_typeEEEZZNS1_27merge_sort_block_merge_implIS3_PlPS5_mZN2at6native12_GLOBAL__N_124unique_dim_cuda_templateIbEESt5tupleIJNSA_6TensorESF_SF_EERKSF_lbbbEUlllE_EE10hipError_tT0_T1_T2_jT3_P12ihipStream_tbPNSt15iterator_traitsISL_E10value_typeEPNSR_ISM_E10value_typeEPSN_NS1_7vsmem_tEENKUlT_SL_SM_SN_E_clIS8_S8_S9_S9_EESK_S10_SL_SM_SN_EUlS10_E_NS1_11comp_targetILNS1_3genE10ELNS1_11target_archE1201ELNS1_3gpuE5ELNS1_3repE0EEENS1_48merge_mergepath_partition_config_static_selectorELNS0_4arch9wavefront6targetE0EEEvSM_
		.amdhsa_group_segment_fixed_size 0
		.amdhsa_private_segment_fixed_size 0
		.amdhsa_kernarg_size 56
		.amdhsa_user_sgpr_count 15
		.amdhsa_user_sgpr_dispatch_ptr 0
		.amdhsa_user_sgpr_queue_ptr 0
		.amdhsa_user_sgpr_kernarg_segment_ptr 1
		.amdhsa_user_sgpr_dispatch_id 0
		.amdhsa_user_sgpr_private_segment_size 0
		.amdhsa_wavefront_size32 1
		.amdhsa_uses_dynamic_stack 0
		.amdhsa_enable_private_segment 0
		.amdhsa_system_sgpr_workgroup_id_x 1
		.amdhsa_system_sgpr_workgroup_id_y 0
		.amdhsa_system_sgpr_workgroup_id_z 0
		.amdhsa_system_sgpr_workgroup_info 0
		.amdhsa_system_vgpr_workitem_id 0
		.amdhsa_next_free_vgpr 1
		.amdhsa_next_free_sgpr 1
		.amdhsa_reserve_vcc 0
		.amdhsa_float_round_mode_32 0
		.amdhsa_float_round_mode_16_64 0
		.amdhsa_float_denorm_mode_32 3
		.amdhsa_float_denorm_mode_16_64 3
		.amdhsa_dx10_clamp 1
		.amdhsa_ieee_mode 1
		.amdhsa_fp16_overflow 0
		.amdhsa_workgroup_processor_mode 1
		.amdhsa_memory_ordered 1
		.amdhsa_forward_progress 0
		.amdhsa_shared_vgpr_count 0
		.amdhsa_exception_fp_ieee_invalid_op 0
		.amdhsa_exception_fp_denorm_src 0
		.amdhsa_exception_fp_ieee_div_zero 0
		.amdhsa_exception_fp_ieee_overflow 0
		.amdhsa_exception_fp_ieee_underflow 0
		.amdhsa_exception_fp_ieee_inexact 0
		.amdhsa_exception_int_div_zero 0
	.end_amdhsa_kernel
	.section	.text._ZN7rocprim17ROCPRIM_400000_NS6detail17trampoline_kernelINS0_14default_configENS1_38merge_sort_block_merge_config_selectorIlNS0_10empty_typeEEEZZNS1_27merge_sort_block_merge_implIS3_PlPS5_mZN2at6native12_GLOBAL__N_124unique_dim_cuda_templateIbEESt5tupleIJNSA_6TensorESF_SF_EERKSF_lbbbEUlllE_EE10hipError_tT0_T1_T2_jT3_P12ihipStream_tbPNSt15iterator_traitsISL_E10value_typeEPNSR_ISM_E10value_typeEPSN_NS1_7vsmem_tEENKUlT_SL_SM_SN_E_clIS8_S8_S9_S9_EESK_S10_SL_SM_SN_EUlS10_E_NS1_11comp_targetILNS1_3genE10ELNS1_11target_archE1201ELNS1_3gpuE5ELNS1_3repE0EEENS1_48merge_mergepath_partition_config_static_selectorELNS0_4arch9wavefront6targetE0EEEvSM_,"axG",@progbits,_ZN7rocprim17ROCPRIM_400000_NS6detail17trampoline_kernelINS0_14default_configENS1_38merge_sort_block_merge_config_selectorIlNS0_10empty_typeEEEZZNS1_27merge_sort_block_merge_implIS3_PlPS5_mZN2at6native12_GLOBAL__N_124unique_dim_cuda_templateIbEESt5tupleIJNSA_6TensorESF_SF_EERKSF_lbbbEUlllE_EE10hipError_tT0_T1_T2_jT3_P12ihipStream_tbPNSt15iterator_traitsISL_E10value_typeEPNSR_ISM_E10value_typeEPSN_NS1_7vsmem_tEENKUlT_SL_SM_SN_E_clIS8_S8_S9_S9_EESK_S10_SL_SM_SN_EUlS10_E_NS1_11comp_targetILNS1_3genE10ELNS1_11target_archE1201ELNS1_3gpuE5ELNS1_3repE0EEENS1_48merge_mergepath_partition_config_static_selectorELNS0_4arch9wavefront6targetE0EEEvSM_,comdat
.Lfunc_end1003:
	.size	_ZN7rocprim17ROCPRIM_400000_NS6detail17trampoline_kernelINS0_14default_configENS1_38merge_sort_block_merge_config_selectorIlNS0_10empty_typeEEEZZNS1_27merge_sort_block_merge_implIS3_PlPS5_mZN2at6native12_GLOBAL__N_124unique_dim_cuda_templateIbEESt5tupleIJNSA_6TensorESF_SF_EERKSF_lbbbEUlllE_EE10hipError_tT0_T1_T2_jT3_P12ihipStream_tbPNSt15iterator_traitsISL_E10value_typeEPNSR_ISM_E10value_typeEPSN_NS1_7vsmem_tEENKUlT_SL_SM_SN_E_clIS8_S8_S9_S9_EESK_S10_SL_SM_SN_EUlS10_E_NS1_11comp_targetILNS1_3genE10ELNS1_11target_archE1201ELNS1_3gpuE5ELNS1_3repE0EEENS1_48merge_mergepath_partition_config_static_selectorELNS0_4arch9wavefront6targetE0EEEvSM_, .Lfunc_end1003-_ZN7rocprim17ROCPRIM_400000_NS6detail17trampoline_kernelINS0_14default_configENS1_38merge_sort_block_merge_config_selectorIlNS0_10empty_typeEEEZZNS1_27merge_sort_block_merge_implIS3_PlPS5_mZN2at6native12_GLOBAL__N_124unique_dim_cuda_templateIbEESt5tupleIJNSA_6TensorESF_SF_EERKSF_lbbbEUlllE_EE10hipError_tT0_T1_T2_jT3_P12ihipStream_tbPNSt15iterator_traitsISL_E10value_typeEPNSR_ISM_E10value_typeEPSN_NS1_7vsmem_tEENKUlT_SL_SM_SN_E_clIS8_S8_S9_S9_EESK_S10_SL_SM_SN_EUlS10_E_NS1_11comp_targetILNS1_3genE10ELNS1_11target_archE1201ELNS1_3gpuE5ELNS1_3repE0EEENS1_48merge_mergepath_partition_config_static_selectorELNS0_4arch9wavefront6targetE0EEEvSM_
                                        ; -- End function
	.section	.AMDGPU.csdata,"",@progbits
; Kernel info:
; codeLenInByte = 0
; NumSgprs: 0
; NumVgprs: 0
; ScratchSize: 0
; MemoryBound: 0
; FloatMode: 240
; IeeeMode: 1
; LDSByteSize: 0 bytes/workgroup (compile time only)
; SGPRBlocks: 0
; VGPRBlocks: 0
; NumSGPRsForWavesPerEU: 1
; NumVGPRsForWavesPerEU: 1
; Occupancy: 16
; WaveLimiterHint : 0
; COMPUTE_PGM_RSRC2:SCRATCH_EN: 0
; COMPUTE_PGM_RSRC2:USER_SGPR: 15
; COMPUTE_PGM_RSRC2:TRAP_HANDLER: 0
; COMPUTE_PGM_RSRC2:TGID_X_EN: 1
; COMPUTE_PGM_RSRC2:TGID_Y_EN: 0
; COMPUTE_PGM_RSRC2:TGID_Z_EN: 0
; COMPUTE_PGM_RSRC2:TIDIG_COMP_CNT: 0
	.section	.text._ZN7rocprim17ROCPRIM_400000_NS6detail17trampoline_kernelINS0_14default_configENS1_38merge_sort_block_merge_config_selectorIlNS0_10empty_typeEEEZZNS1_27merge_sort_block_merge_implIS3_PlPS5_mZN2at6native12_GLOBAL__N_124unique_dim_cuda_templateIbEESt5tupleIJNSA_6TensorESF_SF_EERKSF_lbbbEUlllE_EE10hipError_tT0_T1_T2_jT3_P12ihipStream_tbPNSt15iterator_traitsISL_E10value_typeEPNSR_ISM_E10value_typeEPSN_NS1_7vsmem_tEENKUlT_SL_SM_SN_E_clIS8_S8_S9_S9_EESK_S10_SL_SM_SN_EUlS10_E_NS1_11comp_targetILNS1_3genE5ELNS1_11target_archE942ELNS1_3gpuE9ELNS1_3repE0EEENS1_48merge_mergepath_partition_config_static_selectorELNS0_4arch9wavefront6targetE0EEEvSM_,"axG",@progbits,_ZN7rocprim17ROCPRIM_400000_NS6detail17trampoline_kernelINS0_14default_configENS1_38merge_sort_block_merge_config_selectorIlNS0_10empty_typeEEEZZNS1_27merge_sort_block_merge_implIS3_PlPS5_mZN2at6native12_GLOBAL__N_124unique_dim_cuda_templateIbEESt5tupleIJNSA_6TensorESF_SF_EERKSF_lbbbEUlllE_EE10hipError_tT0_T1_T2_jT3_P12ihipStream_tbPNSt15iterator_traitsISL_E10value_typeEPNSR_ISM_E10value_typeEPSN_NS1_7vsmem_tEENKUlT_SL_SM_SN_E_clIS8_S8_S9_S9_EESK_S10_SL_SM_SN_EUlS10_E_NS1_11comp_targetILNS1_3genE5ELNS1_11target_archE942ELNS1_3gpuE9ELNS1_3repE0EEENS1_48merge_mergepath_partition_config_static_selectorELNS0_4arch9wavefront6targetE0EEEvSM_,comdat
	.globl	_ZN7rocprim17ROCPRIM_400000_NS6detail17trampoline_kernelINS0_14default_configENS1_38merge_sort_block_merge_config_selectorIlNS0_10empty_typeEEEZZNS1_27merge_sort_block_merge_implIS3_PlPS5_mZN2at6native12_GLOBAL__N_124unique_dim_cuda_templateIbEESt5tupleIJNSA_6TensorESF_SF_EERKSF_lbbbEUlllE_EE10hipError_tT0_T1_T2_jT3_P12ihipStream_tbPNSt15iterator_traitsISL_E10value_typeEPNSR_ISM_E10value_typeEPSN_NS1_7vsmem_tEENKUlT_SL_SM_SN_E_clIS8_S8_S9_S9_EESK_S10_SL_SM_SN_EUlS10_E_NS1_11comp_targetILNS1_3genE5ELNS1_11target_archE942ELNS1_3gpuE9ELNS1_3repE0EEENS1_48merge_mergepath_partition_config_static_selectorELNS0_4arch9wavefront6targetE0EEEvSM_ ; -- Begin function _ZN7rocprim17ROCPRIM_400000_NS6detail17trampoline_kernelINS0_14default_configENS1_38merge_sort_block_merge_config_selectorIlNS0_10empty_typeEEEZZNS1_27merge_sort_block_merge_implIS3_PlPS5_mZN2at6native12_GLOBAL__N_124unique_dim_cuda_templateIbEESt5tupleIJNSA_6TensorESF_SF_EERKSF_lbbbEUlllE_EE10hipError_tT0_T1_T2_jT3_P12ihipStream_tbPNSt15iterator_traitsISL_E10value_typeEPNSR_ISM_E10value_typeEPSN_NS1_7vsmem_tEENKUlT_SL_SM_SN_E_clIS8_S8_S9_S9_EESK_S10_SL_SM_SN_EUlS10_E_NS1_11comp_targetILNS1_3genE5ELNS1_11target_archE942ELNS1_3gpuE9ELNS1_3repE0EEENS1_48merge_mergepath_partition_config_static_selectorELNS0_4arch9wavefront6targetE0EEEvSM_
	.p2align	8
	.type	_ZN7rocprim17ROCPRIM_400000_NS6detail17trampoline_kernelINS0_14default_configENS1_38merge_sort_block_merge_config_selectorIlNS0_10empty_typeEEEZZNS1_27merge_sort_block_merge_implIS3_PlPS5_mZN2at6native12_GLOBAL__N_124unique_dim_cuda_templateIbEESt5tupleIJNSA_6TensorESF_SF_EERKSF_lbbbEUlllE_EE10hipError_tT0_T1_T2_jT3_P12ihipStream_tbPNSt15iterator_traitsISL_E10value_typeEPNSR_ISM_E10value_typeEPSN_NS1_7vsmem_tEENKUlT_SL_SM_SN_E_clIS8_S8_S9_S9_EESK_S10_SL_SM_SN_EUlS10_E_NS1_11comp_targetILNS1_3genE5ELNS1_11target_archE942ELNS1_3gpuE9ELNS1_3repE0EEENS1_48merge_mergepath_partition_config_static_selectorELNS0_4arch9wavefront6targetE0EEEvSM_,@function
_ZN7rocprim17ROCPRIM_400000_NS6detail17trampoline_kernelINS0_14default_configENS1_38merge_sort_block_merge_config_selectorIlNS0_10empty_typeEEEZZNS1_27merge_sort_block_merge_implIS3_PlPS5_mZN2at6native12_GLOBAL__N_124unique_dim_cuda_templateIbEESt5tupleIJNSA_6TensorESF_SF_EERKSF_lbbbEUlllE_EE10hipError_tT0_T1_T2_jT3_P12ihipStream_tbPNSt15iterator_traitsISL_E10value_typeEPNSR_ISM_E10value_typeEPSN_NS1_7vsmem_tEENKUlT_SL_SM_SN_E_clIS8_S8_S9_S9_EESK_S10_SL_SM_SN_EUlS10_E_NS1_11comp_targetILNS1_3genE5ELNS1_11target_archE942ELNS1_3gpuE9ELNS1_3repE0EEENS1_48merge_mergepath_partition_config_static_selectorELNS0_4arch9wavefront6targetE0EEEvSM_: ; @_ZN7rocprim17ROCPRIM_400000_NS6detail17trampoline_kernelINS0_14default_configENS1_38merge_sort_block_merge_config_selectorIlNS0_10empty_typeEEEZZNS1_27merge_sort_block_merge_implIS3_PlPS5_mZN2at6native12_GLOBAL__N_124unique_dim_cuda_templateIbEESt5tupleIJNSA_6TensorESF_SF_EERKSF_lbbbEUlllE_EE10hipError_tT0_T1_T2_jT3_P12ihipStream_tbPNSt15iterator_traitsISL_E10value_typeEPNSR_ISM_E10value_typeEPSN_NS1_7vsmem_tEENKUlT_SL_SM_SN_E_clIS8_S8_S9_S9_EESK_S10_SL_SM_SN_EUlS10_E_NS1_11comp_targetILNS1_3genE5ELNS1_11target_archE942ELNS1_3gpuE9ELNS1_3repE0EEENS1_48merge_mergepath_partition_config_static_selectorELNS0_4arch9wavefront6targetE0EEEvSM_
; %bb.0:
	.section	.rodata,"a",@progbits
	.p2align	6, 0x0
	.amdhsa_kernel _ZN7rocprim17ROCPRIM_400000_NS6detail17trampoline_kernelINS0_14default_configENS1_38merge_sort_block_merge_config_selectorIlNS0_10empty_typeEEEZZNS1_27merge_sort_block_merge_implIS3_PlPS5_mZN2at6native12_GLOBAL__N_124unique_dim_cuda_templateIbEESt5tupleIJNSA_6TensorESF_SF_EERKSF_lbbbEUlllE_EE10hipError_tT0_T1_T2_jT3_P12ihipStream_tbPNSt15iterator_traitsISL_E10value_typeEPNSR_ISM_E10value_typeEPSN_NS1_7vsmem_tEENKUlT_SL_SM_SN_E_clIS8_S8_S9_S9_EESK_S10_SL_SM_SN_EUlS10_E_NS1_11comp_targetILNS1_3genE5ELNS1_11target_archE942ELNS1_3gpuE9ELNS1_3repE0EEENS1_48merge_mergepath_partition_config_static_selectorELNS0_4arch9wavefront6targetE0EEEvSM_
		.amdhsa_group_segment_fixed_size 0
		.amdhsa_private_segment_fixed_size 0
		.amdhsa_kernarg_size 56
		.amdhsa_user_sgpr_count 15
		.amdhsa_user_sgpr_dispatch_ptr 0
		.amdhsa_user_sgpr_queue_ptr 0
		.amdhsa_user_sgpr_kernarg_segment_ptr 1
		.amdhsa_user_sgpr_dispatch_id 0
		.amdhsa_user_sgpr_private_segment_size 0
		.amdhsa_wavefront_size32 1
		.amdhsa_uses_dynamic_stack 0
		.amdhsa_enable_private_segment 0
		.amdhsa_system_sgpr_workgroup_id_x 1
		.amdhsa_system_sgpr_workgroup_id_y 0
		.amdhsa_system_sgpr_workgroup_id_z 0
		.amdhsa_system_sgpr_workgroup_info 0
		.amdhsa_system_vgpr_workitem_id 0
		.amdhsa_next_free_vgpr 1
		.amdhsa_next_free_sgpr 1
		.amdhsa_reserve_vcc 0
		.amdhsa_float_round_mode_32 0
		.amdhsa_float_round_mode_16_64 0
		.amdhsa_float_denorm_mode_32 3
		.amdhsa_float_denorm_mode_16_64 3
		.amdhsa_dx10_clamp 1
		.amdhsa_ieee_mode 1
		.amdhsa_fp16_overflow 0
		.amdhsa_workgroup_processor_mode 1
		.amdhsa_memory_ordered 1
		.amdhsa_forward_progress 0
		.amdhsa_shared_vgpr_count 0
		.amdhsa_exception_fp_ieee_invalid_op 0
		.amdhsa_exception_fp_denorm_src 0
		.amdhsa_exception_fp_ieee_div_zero 0
		.amdhsa_exception_fp_ieee_overflow 0
		.amdhsa_exception_fp_ieee_underflow 0
		.amdhsa_exception_fp_ieee_inexact 0
		.amdhsa_exception_int_div_zero 0
	.end_amdhsa_kernel
	.section	.text._ZN7rocprim17ROCPRIM_400000_NS6detail17trampoline_kernelINS0_14default_configENS1_38merge_sort_block_merge_config_selectorIlNS0_10empty_typeEEEZZNS1_27merge_sort_block_merge_implIS3_PlPS5_mZN2at6native12_GLOBAL__N_124unique_dim_cuda_templateIbEESt5tupleIJNSA_6TensorESF_SF_EERKSF_lbbbEUlllE_EE10hipError_tT0_T1_T2_jT3_P12ihipStream_tbPNSt15iterator_traitsISL_E10value_typeEPNSR_ISM_E10value_typeEPSN_NS1_7vsmem_tEENKUlT_SL_SM_SN_E_clIS8_S8_S9_S9_EESK_S10_SL_SM_SN_EUlS10_E_NS1_11comp_targetILNS1_3genE5ELNS1_11target_archE942ELNS1_3gpuE9ELNS1_3repE0EEENS1_48merge_mergepath_partition_config_static_selectorELNS0_4arch9wavefront6targetE0EEEvSM_,"axG",@progbits,_ZN7rocprim17ROCPRIM_400000_NS6detail17trampoline_kernelINS0_14default_configENS1_38merge_sort_block_merge_config_selectorIlNS0_10empty_typeEEEZZNS1_27merge_sort_block_merge_implIS3_PlPS5_mZN2at6native12_GLOBAL__N_124unique_dim_cuda_templateIbEESt5tupleIJNSA_6TensorESF_SF_EERKSF_lbbbEUlllE_EE10hipError_tT0_T1_T2_jT3_P12ihipStream_tbPNSt15iterator_traitsISL_E10value_typeEPNSR_ISM_E10value_typeEPSN_NS1_7vsmem_tEENKUlT_SL_SM_SN_E_clIS8_S8_S9_S9_EESK_S10_SL_SM_SN_EUlS10_E_NS1_11comp_targetILNS1_3genE5ELNS1_11target_archE942ELNS1_3gpuE9ELNS1_3repE0EEENS1_48merge_mergepath_partition_config_static_selectorELNS0_4arch9wavefront6targetE0EEEvSM_,comdat
.Lfunc_end1004:
	.size	_ZN7rocprim17ROCPRIM_400000_NS6detail17trampoline_kernelINS0_14default_configENS1_38merge_sort_block_merge_config_selectorIlNS0_10empty_typeEEEZZNS1_27merge_sort_block_merge_implIS3_PlPS5_mZN2at6native12_GLOBAL__N_124unique_dim_cuda_templateIbEESt5tupleIJNSA_6TensorESF_SF_EERKSF_lbbbEUlllE_EE10hipError_tT0_T1_T2_jT3_P12ihipStream_tbPNSt15iterator_traitsISL_E10value_typeEPNSR_ISM_E10value_typeEPSN_NS1_7vsmem_tEENKUlT_SL_SM_SN_E_clIS8_S8_S9_S9_EESK_S10_SL_SM_SN_EUlS10_E_NS1_11comp_targetILNS1_3genE5ELNS1_11target_archE942ELNS1_3gpuE9ELNS1_3repE0EEENS1_48merge_mergepath_partition_config_static_selectorELNS0_4arch9wavefront6targetE0EEEvSM_, .Lfunc_end1004-_ZN7rocprim17ROCPRIM_400000_NS6detail17trampoline_kernelINS0_14default_configENS1_38merge_sort_block_merge_config_selectorIlNS0_10empty_typeEEEZZNS1_27merge_sort_block_merge_implIS3_PlPS5_mZN2at6native12_GLOBAL__N_124unique_dim_cuda_templateIbEESt5tupleIJNSA_6TensorESF_SF_EERKSF_lbbbEUlllE_EE10hipError_tT0_T1_T2_jT3_P12ihipStream_tbPNSt15iterator_traitsISL_E10value_typeEPNSR_ISM_E10value_typeEPSN_NS1_7vsmem_tEENKUlT_SL_SM_SN_E_clIS8_S8_S9_S9_EESK_S10_SL_SM_SN_EUlS10_E_NS1_11comp_targetILNS1_3genE5ELNS1_11target_archE942ELNS1_3gpuE9ELNS1_3repE0EEENS1_48merge_mergepath_partition_config_static_selectorELNS0_4arch9wavefront6targetE0EEEvSM_
                                        ; -- End function
	.section	.AMDGPU.csdata,"",@progbits
; Kernel info:
; codeLenInByte = 0
; NumSgprs: 0
; NumVgprs: 0
; ScratchSize: 0
; MemoryBound: 0
; FloatMode: 240
; IeeeMode: 1
; LDSByteSize: 0 bytes/workgroup (compile time only)
; SGPRBlocks: 0
; VGPRBlocks: 0
; NumSGPRsForWavesPerEU: 1
; NumVGPRsForWavesPerEU: 1
; Occupancy: 16
; WaveLimiterHint : 0
; COMPUTE_PGM_RSRC2:SCRATCH_EN: 0
; COMPUTE_PGM_RSRC2:USER_SGPR: 15
; COMPUTE_PGM_RSRC2:TRAP_HANDLER: 0
; COMPUTE_PGM_RSRC2:TGID_X_EN: 1
; COMPUTE_PGM_RSRC2:TGID_Y_EN: 0
; COMPUTE_PGM_RSRC2:TGID_Z_EN: 0
; COMPUTE_PGM_RSRC2:TIDIG_COMP_CNT: 0
	.section	.text._ZN7rocprim17ROCPRIM_400000_NS6detail17trampoline_kernelINS0_14default_configENS1_38merge_sort_block_merge_config_selectorIlNS0_10empty_typeEEEZZNS1_27merge_sort_block_merge_implIS3_PlPS5_mZN2at6native12_GLOBAL__N_124unique_dim_cuda_templateIbEESt5tupleIJNSA_6TensorESF_SF_EERKSF_lbbbEUlllE_EE10hipError_tT0_T1_T2_jT3_P12ihipStream_tbPNSt15iterator_traitsISL_E10value_typeEPNSR_ISM_E10value_typeEPSN_NS1_7vsmem_tEENKUlT_SL_SM_SN_E_clIS8_S8_S9_S9_EESK_S10_SL_SM_SN_EUlS10_E_NS1_11comp_targetILNS1_3genE4ELNS1_11target_archE910ELNS1_3gpuE8ELNS1_3repE0EEENS1_48merge_mergepath_partition_config_static_selectorELNS0_4arch9wavefront6targetE0EEEvSM_,"axG",@progbits,_ZN7rocprim17ROCPRIM_400000_NS6detail17trampoline_kernelINS0_14default_configENS1_38merge_sort_block_merge_config_selectorIlNS0_10empty_typeEEEZZNS1_27merge_sort_block_merge_implIS3_PlPS5_mZN2at6native12_GLOBAL__N_124unique_dim_cuda_templateIbEESt5tupleIJNSA_6TensorESF_SF_EERKSF_lbbbEUlllE_EE10hipError_tT0_T1_T2_jT3_P12ihipStream_tbPNSt15iterator_traitsISL_E10value_typeEPNSR_ISM_E10value_typeEPSN_NS1_7vsmem_tEENKUlT_SL_SM_SN_E_clIS8_S8_S9_S9_EESK_S10_SL_SM_SN_EUlS10_E_NS1_11comp_targetILNS1_3genE4ELNS1_11target_archE910ELNS1_3gpuE8ELNS1_3repE0EEENS1_48merge_mergepath_partition_config_static_selectorELNS0_4arch9wavefront6targetE0EEEvSM_,comdat
	.globl	_ZN7rocprim17ROCPRIM_400000_NS6detail17trampoline_kernelINS0_14default_configENS1_38merge_sort_block_merge_config_selectorIlNS0_10empty_typeEEEZZNS1_27merge_sort_block_merge_implIS3_PlPS5_mZN2at6native12_GLOBAL__N_124unique_dim_cuda_templateIbEESt5tupleIJNSA_6TensorESF_SF_EERKSF_lbbbEUlllE_EE10hipError_tT0_T1_T2_jT3_P12ihipStream_tbPNSt15iterator_traitsISL_E10value_typeEPNSR_ISM_E10value_typeEPSN_NS1_7vsmem_tEENKUlT_SL_SM_SN_E_clIS8_S8_S9_S9_EESK_S10_SL_SM_SN_EUlS10_E_NS1_11comp_targetILNS1_3genE4ELNS1_11target_archE910ELNS1_3gpuE8ELNS1_3repE0EEENS1_48merge_mergepath_partition_config_static_selectorELNS0_4arch9wavefront6targetE0EEEvSM_ ; -- Begin function _ZN7rocprim17ROCPRIM_400000_NS6detail17trampoline_kernelINS0_14default_configENS1_38merge_sort_block_merge_config_selectorIlNS0_10empty_typeEEEZZNS1_27merge_sort_block_merge_implIS3_PlPS5_mZN2at6native12_GLOBAL__N_124unique_dim_cuda_templateIbEESt5tupleIJNSA_6TensorESF_SF_EERKSF_lbbbEUlllE_EE10hipError_tT0_T1_T2_jT3_P12ihipStream_tbPNSt15iterator_traitsISL_E10value_typeEPNSR_ISM_E10value_typeEPSN_NS1_7vsmem_tEENKUlT_SL_SM_SN_E_clIS8_S8_S9_S9_EESK_S10_SL_SM_SN_EUlS10_E_NS1_11comp_targetILNS1_3genE4ELNS1_11target_archE910ELNS1_3gpuE8ELNS1_3repE0EEENS1_48merge_mergepath_partition_config_static_selectorELNS0_4arch9wavefront6targetE0EEEvSM_
	.p2align	8
	.type	_ZN7rocprim17ROCPRIM_400000_NS6detail17trampoline_kernelINS0_14default_configENS1_38merge_sort_block_merge_config_selectorIlNS0_10empty_typeEEEZZNS1_27merge_sort_block_merge_implIS3_PlPS5_mZN2at6native12_GLOBAL__N_124unique_dim_cuda_templateIbEESt5tupleIJNSA_6TensorESF_SF_EERKSF_lbbbEUlllE_EE10hipError_tT0_T1_T2_jT3_P12ihipStream_tbPNSt15iterator_traitsISL_E10value_typeEPNSR_ISM_E10value_typeEPSN_NS1_7vsmem_tEENKUlT_SL_SM_SN_E_clIS8_S8_S9_S9_EESK_S10_SL_SM_SN_EUlS10_E_NS1_11comp_targetILNS1_3genE4ELNS1_11target_archE910ELNS1_3gpuE8ELNS1_3repE0EEENS1_48merge_mergepath_partition_config_static_selectorELNS0_4arch9wavefront6targetE0EEEvSM_,@function
_ZN7rocprim17ROCPRIM_400000_NS6detail17trampoline_kernelINS0_14default_configENS1_38merge_sort_block_merge_config_selectorIlNS0_10empty_typeEEEZZNS1_27merge_sort_block_merge_implIS3_PlPS5_mZN2at6native12_GLOBAL__N_124unique_dim_cuda_templateIbEESt5tupleIJNSA_6TensorESF_SF_EERKSF_lbbbEUlllE_EE10hipError_tT0_T1_T2_jT3_P12ihipStream_tbPNSt15iterator_traitsISL_E10value_typeEPNSR_ISM_E10value_typeEPSN_NS1_7vsmem_tEENKUlT_SL_SM_SN_E_clIS8_S8_S9_S9_EESK_S10_SL_SM_SN_EUlS10_E_NS1_11comp_targetILNS1_3genE4ELNS1_11target_archE910ELNS1_3gpuE8ELNS1_3repE0EEENS1_48merge_mergepath_partition_config_static_selectorELNS0_4arch9wavefront6targetE0EEEvSM_: ; @_ZN7rocprim17ROCPRIM_400000_NS6detail17trampoline_kernelINS0_14default_configENS1_38merge_sort_block_merge_config_selectorIlNS0_10empty_typeEEEZZNS1_27merge_sort_block_merge_implIS3_PlPS5_mZN2at6native12_GLOBAL__N_124unique_dim_cuda_templateIbEESt5tupleIJNSA_6TensorESF_SF_EERKSF_lbbbEUlllE_EE10hipError_tT0_T1_T2_jT3_P12ihipStream_tbPNSt15iterator_traitsISL_E10value_typeEPNSR_ISM_E10value_typeEPSN_NS1_7vsmem_tEENKUlT_SL_SM_SN_E_clIS8_S8_S9_S9_EESK_S10_SL_SM_SN_EUlS10_E_NS1_11comp_targetILNS1_3genE4ELNS1_11target_archE910ELNS1_3gpuE8ELNS1_3repE0EEENS1_48merge_mergepath_partition_config_static_selectorELNS0_4arch9wavefront6targetE0EEEvSM_
; %bb.0:
	.section	.rodata,"a",@progbits
	.p2align	6, 0x0
	.amdhsa_kernel _ZN7rocprim17ROCPRIM_400000_NS6detail17trampoline_kernelINS0_14default_configENS1_38merge_sort_block_merge_config_selectorIlNS0_10empty_typeEEEZZNS1_27merge_sort_block_merge_implIS3_PlPS5_mZN2at6native12_GLOBAL__N_124unique_dim_cuda_templateIbEESt5tupleIJNSA_6TensorESF_SF_EERKSF_lbbbEUlllE_EE10hipError_tT0_T1_T2_jT3_P12ihipStream_tbPNSt15iterator_traitsISL_E10value_typeEPNSR_ISM_E10value_typeEPSN_NS1_7vsmem_tEENKUlT_SL_SM_SN_E_clIS8_S8_S9_S9_EESK_S10_SL_SM_SN_EUlS10_E_NS1_11comp_targetILNS1_3genE4ELNS1_11target_archE910ELNS1_3gpuE8ELNS1_3repE0EEENS1_48merge_mergepath_partition_config_static_selectorELNS0_4arch9wavefront6targetE0EEEvSM_
		.amdhsa_group_segment_fixed_size 0
		.amdhsa_private_segment_fixed_size 0
		.amdhsa_kernarg_size 56
		.amdhsa_user_sgpr_count 15
		.amdhsa_user_sgpr_dispatch_ptr 0
		.amdhsa_user_sgpr_queue_ptr 0
		.amdhsa_user_sgpr_kernarg_segment_ptr 1
		.amdhsa_user_sgpr_dispatch_id 0
		.amdhsa_user_sgpr_private_segment_size 0
		.amdhsa_wavefront_size32 1
		.amdhsa_uses_dynamic_stack 0
		.amdhsa_enable_private_segment 0
		.amdhsa_system_sgpr_workgroup_id_x 1
		.amdhsa_system_sgpr_workgroup_id_y 0
		.amdhsa_system_sgpr_workgroup_id_z 0
		.amdhsa_system_sgpr_workgroup_info 0
		.amdhsa_system_vgpr_workitem_id 0
		.amdhsa_next_free_vgpr 1
		.amdhsa_next_free_sgpr 1
		.amdhsa_reserve_vcc 0
		.amdhsa_float_round_mode_32 0
		.amdhsa_float_round_mode_16_64 0
		.amdhsa_float_denorm_mode_32 3
		.amdhsa_float_denorm_mode_16_64 3
		.amdhsa_dx10_clamp 1
		.amdhsa_ieee_mode 1
		.amdhsa_fp16_overflow 0
		.amdhsa_workgroup_processor_mode 1
		.amdhsa_memory_ordered 1
		.amdhsa_forward_progress 0
		.amdhsa_shared_vgpr_count 0
		.amdhsa_exception_fp_ieee_invalid_op 0
		.amdhsa_exception_fp_denorm_src 0
		.amdhsa_exception_fp_ieee_div_zero 0
		.amdhsa_exception_fp_ieee_overflow 0
		.amdhsa_exception_fp_ieee_underflow 0
		.amdhsa_exception_fp_ieee_inexact 0
		.amdhsa_exception_int_div_zero 0
	.end_amdhsa_kernel
	.section	.text._ZN7rocprim17ROCPRIM_400000_NS6detail17trampoline_kernelINS0_14default_configENS1_38merge_sort_block_merge_config_selectorIlNS0_10empty_typeEEEZZNS1_27merge_sort_block_merge_implIS3_PlPS5_mZN2at6native12_GLOBAL__N_124unique_dim_cuda_templateIbEESt5tupleIJNSA_6TensorESF_SF_EERKSF_lbbbEUlllE_EE10hipError_tT0_T1_T2_jT3_P12ihipStream_tbPNSt15iterator_traitsISL_E10value_typeEPNSR_ISM_E10value_typeEPSN_NS1_7vsmem_tEENKUlT_SL_SM_SN_E_clIS8_S8_S9_S9_EESK_S10_SL_SM_SN_EUlS10_E_NS1_11comp_targetILNS1_3genE4ELNS1_11target_archE910ELNS1_3gpuE8ELNS1_3repE0EEENS1_48merge_mergepath_partition_config_static_selectorELNS0_4arch9wavefront6targetE0EEEvSM_,"axG",@progbits,_ZN7rocprim17ROCPRIM_400000_NS6detail17trampoline_kernelINS0_14default_configENS1_38merge_sort_block_merge_config_selectorIlNS0_10empty_typeEEEZZNS1_27merge_sort_block_merge_implIS3_PlPS5_mZN2at6native12_GLOBAL__N_124unique_dim_cuda_templateIbEESt5tupleIJNSA_6TensorESF_SF_EERKSF_lbbbEUlllE_EE10hipError_tT0_T1_T2_jT3_P12ihipStream_tbPNSt15iterator_traitsISL_E10value_typeEPNSR_ISM_E10value_typeEPSN_NS1_7vsmem_tEENKUlT_SL_SM_SN_E_clIS8_S8_S9_S9_EESK_S10_SL_SM_SN_EUlS10_E_NS1_11comp_targetILNS1_3genE4ELNS1_11target_archE910ELNS1_3gpuE8ELNS1_3repE0EEENS1_48merge_mergepath_partition_config_static_selectorELNS0_4arch9wavefront6targetE0EEEvSM_,comdat
.Lfunc_end1005:
	.size	_ZN7rocprim17ROCPRIM_400000_NS6detail17trampoline_kernelINS0_14default_configENS1_38merge_sort_block_merge_config_selectorIlNS0_10empty_typeEEEZZNS1_27merge_sort_block_merge_implIS3_PlPS5_mZN2at6native12_GLOBAL__N_124unique_dim_cuda_templateIbEESt5tupleIJNSA_6TensorESF_SF_EERKSF_lbbbEUlllE_EE10hipError_tT0_T1_T2_jT3_P12ihipStream_tbPNSt15iterator_traitsISL_E10value_typeEPNSR_ISM_E10value_typeEPSN_NS1_7vsmem_tEENKUlT_SL_SM_SN_E_clIS8_S8_S9_S9_EESK_S10_SL_SM_SN_EUlS10_E_NS1_11comp_targetILNS1_3genE4ELNS1_11target_archE910ELNS1_3gpuE8ELNS1_3repE0EEENS1_48merge_mergepath_partition_config_static_selectorELNS0_4arch9wavefront6targetE0EEEvSM_, .Lfunc_end1005-_ZN7rocprim17ROCPRIM_400000_NS6detail17trampoline_kernelINS0_14default_configENS1_38merge_sort_block_merge_config_selectorIlNS0_10empty_typeEEEZZNS1_27merge_sort_block_merge_implIS3_PlPS5_mZN2at6native12_GLOBAL__N_124unique_dim_cuda_templateIbEESt5tupleIJNSA_6TensorESF_SF_EERKSF_lbbbEUlllE_EE10hipError_tT0_T1_T2_jT3_P12ihipStream_tbPNSt15iterator_traitsISL_E10value_typeEPNSR_ISM_E10value_typeEPSN_NS1_7vsmem_tEENKUlT_SL_SM_SN_E_clIS8_S8_S9_S9_EESK_S10_SL_SM_SN_EUlS10_E_NS1_11comp_targetILNS1_3genE4ELNS1_11target_archE910ELNS1_3gpuE8ELNS1_3repE0EEENS1_48merge_mergepath_partition_config_static_selectorELNS0_4arch9wavefront6targetE0EEEvSM_
                                        ; -- End function
	.section	.AMDGPU.csdata,"",@progbits
; Kernel info:
; codeLenInByte = 0
; NumSgprs: 0
; NumVgprs: 0
; ScratchSize: 0
; MemoryBound: 0
; FloatMode: 240
; IeeeMode: 1
; LDSByteSize: 0 bytes/workgroup (compile time only)
; SGPRBlocks: 0
; VGPRBlocks: 0
; NumSGPRsForWavesPerEU: 1
; NumVGPRsForWavesPerEU: 1
; Occupancy: 16
; WaveLimiterHint : 0
; COMPUTE_PGM_RSRC2:SCRATCH_EN: 0
; COMPUTE_PGM_RSRC2:USER_SGPR: 15
; COMPUTE_PGM_RSRC2:TRAP_HANDLER: 0
; COMPUTE_PGM_RSRC2:TGID_X_EN: 1
; COMPUTE_PGM_RSRC2:TGID_Y_EN: 0
; COMPUTE_PGM_RSRC2:TGID_Z_EN: 0
; COMPUTE_PGM_RSRC2:TIDIG_COMP_CNT: 0
	.section	.text._ZN7rocprim17ROCPRIM_400000_NS6detail17trampoline_kernelINS0_14default_configENS1_38merge_sort_block_merge_config_selectorIlNS0_10empty_typeEEEZZNS1_27merge_sort_block_merge_implIS3_PlPS5_mZN2at6native12_GLOBAL__N_124unique_dim_cuda_templateIbEESt5tupleIJNSA_6TensorESF_SF_EERKSF_lbbbEUlllE_EE10hipError_tT0_T1_T2_jT3_P12ihipStream_tbPNSt15iterator_traitsISL_E10value_typeEPNSR_ISM_E10value_typeEPSN_NS1_7vsmem_tEENKUlT_SL_SM_SN_E_clIS8_S8_S9_S9_EESK_S10_SL_SM_SN_EUlS10_E_NS1_11comp_targetILNS1_3genE3ELNS1_11target_archE908ELNS1_3gpuE7ELNS1_3repE0EEENS1_48merge_mergepath_partition_config_static_selectorELNS0_4arch9wavefront6targetE0EEEvSM_,"axG",@progbits,_ZN7rocprim17ROCPRIM_400000_NS6detail17trampoline_kernelINS0_14default_configENS1_38merge_sort_block_merge_config_selectorIlNS0_10empty_typeEEEZZNS1_27merge_sort_block_merge_implIS3_PlPS5_mZN2at6native12_GLOBAL__N_124unique_dim_cuda_templateIbEESt5tupleIJNSA_6TensorESF_SF_EERKSF_lbbbEUlllE_EE10hipError_tT0_T1_T2_jT3_P12ihipStream_tbPNSt15iterator_traitsISL_E10value_typeEPNSR_ISM_E10value_typeEPSN_NS1_7vsmem_tEENKUlT_SL_SM_SN_E_clIS8_S8_S9_S9_EESK_S10_SL_SM_SN_EUlS10_E_NS1_11comp_targetILNS1_3genE3ELNS1_11target_archE908ELNS1_3gpuE7ELNS1_3repE0EEENS1_48merge_mergepath_partition_config_static_selectorELNS0_4arch9wavefront6targetE0EEEvSM_,comdat
	.globl	_ZN7rocprim17ROCPRIM_400000_NS6detail17trampoline_kernelINS0_14default_configENS1_38merge_sort_block_merge_config_selectorIlNS0_10empty_typeEEEZZNS1_27merge_sort_block_merge_implIS3_PlPS5_mZN2at6native12_GLOBAL__N_124unique_dim_cuda_templateIbEESt5tupleIJNSA_6TensorESF_SF_EERKSF_lbbbEUlllE_EE10hipError_tT0_T1_T2_jT3_P12ihipStream_tbPNSt15iterator_traitsISL_E10value_typeEPNSR_ISM_E10value_typeEPSN_NS1_7vsmem_tEENKUlT_SL_SM_SN_E_clIS8_S8_S9_S9_EESK_S10_SL_SM_SN_EUlS10_E_NS1_11comp_targetILNS1_3genE3ELNS1_11target_archE908ELNS1_3gpuE7ELNS1_3repE0EEENS1_48merge_mergepath_partition_config_static_selectorELNS0_4arch9wavefront6targetE0EEEvSM_ ; -- Begin function _ZN7rocprim17ROCPRIM_400000_NS6detail17trampoline_kernelINS0_14default_configENS1_38merge_sort_block_merge_config_selectorIlNS0_10empty_typeEEEZZNS1_27merge_sort_block_merge_implIS3_PlPS5_mZN2at6native12_GLOBAL__N_124unique_dim_cuda_templateIbEESt5tupleIJNSA_6TensorESF_SF_EERKSF_lbbbEUlllE_EE10hipError_tT0_T1_T2_jT3_P12ihipStream_tbPNSt15iterator_traitsISL_E10value_typeEPNSR_ISM_E10value_typeEPSN_NS1_7vsmem_tEENKUlT_SL_SM_SN_E_clIS8_S8_S9_S9_EESK_S10_SL_SM_SN_EUlS10_E_NS1_11comp_targetILNS1_3genE3ELNS1_11target_archE908ELNS1_3gpuE7ELNS1_3repE0EEENS1_48merge_mergepath_partition_config_static_selectorELNS0_4arch9wavefront6targetE0EEEvSM_
	.p2align	8
	.type	_ZN7rocprim17ROCPRIM_400000_NS6detail17trampoline_kernelINS0_14default_configENS1_38merge_sort_block_merge_config_selectorIlNS0_10empty_typeEEEZZNS1_27merge_sort_block_merge_implIS3_PlPS5_mZN2at6native12_GLOBAL__N_124unique_dim_cuda_templateIbEESt5tupleIJNSA_6TensorESF_SF_EERKSF_lbbbEUlllE_EE10hipError_tT0_T1_T2_jT3_P12ihipStream_tbPNSt15iterator_traitsISL_E10value_typeEPNSR_ISM_E10value_typeEPSN_NS1_7vsmem_tEENKUlT_SL_SM_SN_E_clIS8_S8_S9_S9_EESK_S10_SL_SM_SN_EUlS10_E_NS1_11comp_targetILNS1_3genE3ELNS1_11target_archE908ELNS1_3gpuE7ELNS1_3repE0EEENS1_48merge_mergepath_partition_config_static_selectorELNS0_4arch9wavefront6targetE0EEEvSM_,@function
_ZN7rocprim17ROCPRIM_400000_NS6detail17trampoline_kernelINS0_14default_configENS1_38merge_sort_block_merge_config_selectorIlNS0_10empty_typeEEEZZNS1_27merge_sort_block_merge_implIS3_PlPS5_mZN2at6native12_GLOBAL__N_124unique_dim_cuda_templateIbEESt5tupleIJNSA_6TensorESF_SF_EERKSF_lbbbEUlllE_EE10hipError_tT0_T1_T2_jT3_P12ihipStream_tbPNSt15iterator_traitsISL_E10value_typeEPNSR_ISM_E10value_typeEPSN_NS1_7vsmem_tEENKUlT_SL_SM_SN_E_clIS8_S8_S9_S9_EESK_S10_SL_SM_SN_EUlS10_E_NS1_11comp_targetILNS1_3genE3ELNS1_11target_archE908ELNS1_3gpuE7ELNS1_3repE0EEENS1_48merge_mergepath_partition_config_static_selectorELNS0_4arch9wavefront6targetE0EEEvSM_: ; @_ZN7rocprim17ROCPRIM_400000_NS6detail17trampoline_kernelINS0_14default_configENS1_38merge_sort_block_merge_config_selectorIlNS0_10empty_typeEEEZZNS1_27merge_sort_block_merge_implIS3_PlPS5_mZN2at6native12_GLOBAL__N_124unique_dim_cuda_templateIbEESt5tupleIJNSA_6TensorESF_SF_EERKSF_lbbbEUlllE_EE10hipError_tT0_T1_T2_jT3_P12ihipStream_tbPNSt15iterator_traitsISL_E10value_typeEPNSR_ISM_E10value_typeEPSN_NS1_7vsmem_tEENKUlT_SL_SM_SN_E_clIS8_S8_S9_S9_EESK_S10_SL_SM_SN_EUlS10_E_NS1_11comp_targetILNS1_3genE3ELNS1_11target_archE908ELNS1_3gpuE7ELNS1_3repE0EEENS1_48merge_mergepath_partition_config_static_selectorELNS0_4arch9wavefront6targetE0EEEvSM_
; %bb.0:
	.section	.rodata,"a",@progbits
	.p2align	6, 0x0
	.amdhsa_kernel _ZN7rocprim17ROCPRIM_400000_NS6detail17trampoline_kernelINS0_14default_configENS1_38merge_sort_block_merge_config_selectorIlNS0_10empty_typeEEEZZNS1_27merge_sort_block_merge_implIS3_PlPS5_mZN2at6native12_GLOBAL__N_124unique_dim_cuda_templateIbEESt5tupleIJNSA_6TensorESF_SF_EERKSF_lbbbEUlllE_EE10hipError_tT0_T1_T2_jT3_P12ihipStream_tbPNSt15iterator_traitsISL_E10value_typeEPNSR_ISM_E10value_typeEPSN_NS1_7vsmem_tEENKUlT_SL_SM_SN_E_clIS8_S8_S9_S9_EESK_S10_SL_SM_SN_EUlS10_E_NS1_11comp_targetILNS1_3genE3ELNS1_11target_archE908ELNS1_3gpuE7ELNS1_3repE0EEENS1_48merge_mergepath_partition_config_static_selectorELNS0_4arch9wavefront6targetE0EEEvSM_
		.amdhsa_group_segment_fixed_size 0
		.amdhsa_private_segment_fixed_size 0
		.amdhsa_kernarg_size 56
		.amdhsa_user_sgpr_count 15
		.amdhsa_user_sgpr_dispatch_ptr 0
		.amdhsa_user_sgpr_queue_ptr 0
		.amdhsa_user_sgpr_kernarg_segment_ptr 1
		.amdhsa_user_sgpr_dispatch_id 0
		.amdhsa_user_sgpr_private_segment_size 0
		.amdhsa_wavefront_size32 1
		.amdhsa_uses_dynamic_stack 0
		.amdhsa_enable_private_segment 0
		.amdhsa_system_sgpr_workgroup_id_x 1
		.amdhsa_system_sgpr_workgroup_id_y 0
		.amdhsa_system_sgpr_workgroup_id_z 0
		.amdhsa_system_sgpr_workgroup_info 0
		.amdhsa_system_vgpr_workitem_id 0
		.amdhsa_next_free_vgpr 1
		.amdhsa_next_free_sgpr 1
		.amdhsa_reserve_vcc 0
		.amdhsa_float_round_mode_32 0
		.amdhsa_float_round_mode_16_64 0
		.amdhsa_float_denorm_mode_32 3
		.amdhsa_float_denorm_mode_16_64 3
		.amdhsa_dx10_clamp 1
		.amdhsa_ieee_mode 1
		.amdhsa_fp16_overflow 0
		.amdhsa_workgroup_processor_mode 1
		.amdhsa_memory_ordered 1
		.amdhsa_forward_progress 0
		.amdhsa_shared_vgpr_count 0
		.amdhsa_exception_fp_ieee_invalid_op 0
		.amdhsa_exception_fp_denorm_src 0
		.amdhsa_exception_fp_ieee_div_zero 0
		.amdhsa_exception_fp_ieee_overflow 0
		.amdhsa_exception_fp_ieee_underflow 0
		.amdhsa_exception_fp_ieee_inexact 0
		.amdhsa_exception_int_div_zero 0
	.end_amdhsa_kernel
	.section	.text._ZN7rocprim17ROCPRIM_400000_NS6detail17trampoline_kernelINS0_14default_configENS1_38merge_sort_block_merge_config_selectorIlNS0_10empty_typeEEEZZNS1_27merge_sort_block_merge_implIS3_PlPS5_mZN2at6native12_GLOBAL__N_124unique_dim_cuda_templateIbEESt5tupleIJNSA_6TensorESF_SF_EERKSF_lbbbEUlllE_EE10hipError_tT0_T1_T2_jT3_P12ihipStream_tbPNSt15iterator_traitsISL_E10value_typeEPNSR_ISM_E10value_typeEPSN_NS1_7vsmem_tEENKUlT_SL_SM_SN_E_clIS8_S8_S9_S9_EESK_S10_SL_SM_SN_EUlS10_E_NS1_11comp_targetILNS1_3genE3ELNS1_11target_archE908ELNS1_3gpuE7ELNS1_3repE0EEENS1_48merge_mergepath_partition_config_static_selectorELNS0_4arch9wavefront6targetE0EEEvSM_,"axG",@progbits,_ZN7rocprim17ROCPRIM_400000_NS6detail17trampoline_kernelINS0_14default_configENS1_38merge_sort_block_merge_config_selectorIlNS0_10empty_typeEEEZZNS1_27merge_sort_block_merge_implIS3_PlPS5_mZN2at6native12_GLOBAL__N_124unique_dim_cuda_templateIbEESt5tupleIJNSA_6TensorESF_SF_EERKSF_lbbbEUlllE_EE10hipError_tT0_T1_T2_jT3_P12ihipStream_tbPNSt15iterator_traitsISL_E10value_typeEPNSR_ISM_E10value_typeEPSN_NS1_7vsmem_tEENKUlT_SL_SM_SN_E_clIS8_S8_S9_S9_EESK_S10_SL_SM_SN_EUlS10_E_NS1_11comp_targetILNS1_3genE3ELNS1_11target_archE908ELNS1_3gpuE7ELNS1_3repE0EEENS1_48merge_mergepath_partition_config_static_selectorELNS0_4arch9wavefront6targetE0EEEvSM_,comdat
.Lfunc_end1006:
	.size	_ZN7rocprim17ROCPRIM_400000_NS6detail17trampoline_kernelINS0_14default_configENS1_38merge_sort_block_merge_config_selectorIlNS0_10empty_typeEEEZZNS1_27merge_sort_block_merge_implIS3_PlPS5_mZN2at6native12_GLOBAL__N_124unique_dim_cuda_templateIbEESt5tupleIJNSA_6TensorESF_SF_EERKSF_lbbbEUlllE_EE10hipError_tT0_T1_T2_jT3_P12ihipStream_tbPNSt15iterator_traitsISL_E10value_typeEPNSR_ISM_E10value_typeEPSN_NS1_7vsmem_tEENKUlT_SL_SM_SN_E_clIS8_S8_S9_S9_EESK_S10_SL_SM_SN_EUlS10_E_NS1_11comp_targetILNS1_3genE3ELNS1_11target_archE908ELNS1_3gpuE7ELNS1_3repE0EEENS1_48merge_mergepath_partition_config_static_selectorELNS0_4arch9wavefront6targetE0EEEvSM_, .Lfunc_end1006-_ZN7rocprim17ROCPRIM_400000_NS6detail17trampoline_kernelINS0_14default_configENS1_38merge_sort_block_merge_config_selectorIlNS0_10empty_typeEEEZZNS1_27merge_sort_block_merge_implIS3_PlPS5_mZN2at6native12_GLOBAL__N_124unique_dim_cuda_templateIbEESt5tupleIJNSA_6TensorESF_SF_EERKSF_lbbbEUlllE_EE10hipError_tT0_T1_T2_jT3_P12ihipStream_tbPNSt15iterator_traitsISL_E10value_typeEPNSR_ISM_E10value_typeEPSN_NS1_7vsmem_tEENKUlT_SL_SM_SN_E_clIS8_S8_S9_S9_EESK_S10_SL_SM_SN_EUlS10_E_NS1_11comp_targetILNS1_3genE3ELNS1_11target_archE908ELNS1_3gpuE7ELNS1_3repE0EEENS1_48merge_mergepath_partition_config_static_selectorELNS0_4arch9wavefront6targetE0EEEvSM_
                                        ; -- End function
	.section	.AMDGPU.csdata,"",@progbits
; Kernel info:
; codeLenInByte = 0
; NumSgprs: 0
; NumVgprs: 0
; ScratchSize: 0
; MemoryBound: 0
; FloatMode: 240
; IeeeMode: 1
; LDSByteSize: 0 bytes/workgroup (compile time only)
; SGPRBlocks: 0
; VGPRBlocks: 0
; NumSGPRsForWavesPerEU: 1
; NumVGPRsForWavesPerEU: 1
; Occupancy: 16
; WaveLimiterHint : 0
; COMPUTE_PGM_RSRC2:SCRATCH_EN: 0
; COMPUTE_PGM_RSRC2:USER_SGPR: 15
; COMPUTE_PGM_RSRC2:TRAP_HANDLER: 0
; COMPUTE_PGM_RSRC2:TGID_X_EN: 1
; COMPUTE_PGM_RSRC2:TGID_Y_EN: 0
; COMPUTE_PGM_RSRC2:TGID_Z_EN: 0
; COMPUTE_PGM_RSRC2:TIDIG_COMP_CNT: 0
	.section	.text._ZN7rocprim17ROCPRIM_400000_NS6detail17trampoline_kernelINS0_14default_configENS1_38merge_sort_block_merge_config_selectorIlNS0_10empty_typeEEEZZNS1_27merge_sort_block_merge_implIS3_PlPS5_mZN2at6native12_GLOBAL__N_124unique_dim_cuda_templateIbEESt5tupleIJNSA_6TensorESF_SF_EERKSF_lbbbEUlllE_EE10hipError_tT0_T1_T2_jT3_P12ihipStream_tbPNSt15iterator_traitsISL_E10value_typeEPNSR_ISM_E10value_typeEPSN_NS1_7vsmem_tEENKUlT_SL_SM_SN_E_clIS8_S8_S9_S9_EESK_S10_SL_SM_SN_EUlS10_E_NS1_11comp_targetILNS1_3genE2ELNS1_11target_archE906ELNS1_3gpuE6ELNS1_3repE0EEENS1_48merge_mergepath_partition_config_static_selectorELNS0_4arch9wavefront6targetE0EEEvSM_,"axG",@progbits,_ZN7rocprim17ROCPRIM_400000_NS6detail17trampoline_kernelINS0_14default_configENS1_38merge_sort_block_merge_config_selectorIlNS0_10empty_typeEEEZZNS1_27merge_sort_block_merge_implIS3_PlPS5_mZN2at6native12_GLOBAL__N_124unique_dim_cuda_templateIbEESt5tupleIJNSA_6TensorESF_SF_EERKSF_lbbbEUlllE_EE10hipError_tT0_T1_T2_jT3_P12ihipStream_tbPNSt15iterator_traitsISL_E10value_typeEPNSR_ISM_E10value_typeEPSN_NS1_7vsmem_tEENKUlT_SL_SM_SN_E_clIS8_S8_S9_S9_EESK_S10_SL_SM_SN_EUlS10_E_NS1_11comp_targetILNS1_3genE2ELNS1_11target_archE906ELNS1_3gpuE6ELNS1_3repE0EEENS1_48merge_mergepath_partition_config_static_selectorELNS0_4arch9wavefront6targetE0EEEvSM_,comdat
	.globl	_ZN7rocprim17ROCPRIM_400000_NS6detail17trampoline_kernelINS0_14default_configENS1_38merge_sort_block_merge_config_selectorIlNS0_10empty_typeEEEZZNS1_27merge_sort_block_merge_implIS3_PlPS5_mZN2at6native12_GLOBAL__N_124unique_dim_cuda_templateIbEESt5tupleIJNSA_6TensorESF_SF_EERKSF_lbbbEUlllE_EE10hipError_tT0_T1_T2_jT3_P12ihipStream_tbPNSt15iterator_traitsISL_E10value_typeEPNSR_ISM_E10value_typeEPSN_NS1_7vsmem_tEENKUlT_SL_SM_SN_E_clIS8_S8_S9_S9_EESK_S10_SL_SM_SN_EUlS10_E_NS1_11comp_targetILNS1_3genE2ELNS1_11target_archE906ELNS1_3gpuE6ELNS1_3repE0EEENS1_48merge_mergepath_partition_config_static_selectorELNS0_4arch9wavefront6targetE0EEEvSM_ ; -- Begin function _ZN7rocprim17ROCPRIM_400000_NS6detail17trampoline_kernelINS0_14default_configENS1_38merge_sort_block_merge_config_selectorIlNS0_10empty_typeEEEZZNS1_27merge_sort_block_merge_implIS3_PlPS5_mZN2at6native12_GLOBAL__N_124unique_dim_cuda_templateIbEESt5tupleIJNSA_6TensorESF_SF_EERKSF_lbbbEUlllE_EE10hipError_tT0_T1_T2_jT3_P12ihipStream_tbPNSt15iterator_traitsISL_E10value_typeEPNSR_ISM_E10value_typeEPSN_NS1_7vsmem_tEENKUlT_SL_SM_SN_E_clIS8_S8_S9_S9_EESK_S10_SL_SM_SN_EUlS10_E_NS1_11comp_targetILNS1_3genE2ELNS1_11target_archE906ELNS1_3gpuE6ELNS1_3repE0EEENS1_48merge_mergepath_partition_config_static_selectorELNS0_4arch9wavefront6targetE0EEEvSM_
	.p2align	8
	.type	_ZN7rocprim17ROCPRIM_400000_NS6detail17trampoline_kernelINS0_14default_configENS1_38merge_sort_block_merge_config_selectorIlNS0_10empty_typeEEEZZNS1_27merge_sort_block_merge_implIS3_PlPS5_mZN2at6native12_GLOBAL__N_124unique_dim_cuda_templateIbEESt5tupleIJNSA_6TensorESF_SF_EERKSF_lbbbEUlllE_EE10hipError_tT0_T1_T2_jT3_P12ihipStream_tbPNSt15iterator_traitsISL_E10value_typeEPNSR_ISM_E10value_typeEPSN_NS1_7vsmem_tEENKUlT_SL_SM_SN_E_clIS8_S8_S9_S9_EESK_S10_SL_SM_SN_EUlS10_E_NS1_11comp_targetILNS1_3genE2ELNS1_11target_archE906ELNS1_3gpuE6ELNS1_3repE0EEENS1_48merge_mergepath_partition_config_static_selectorELNS0_4arch9wavefront6targetE0EEEvSM_,@function
_ZN7rocprim17ROCPRIM_400000_NS6detail17trampoline_kernelINS0_14default_configENS1_38merge_sort_block_merge_config_selectorIlNS0_10empty_typeEEEZZNS1_27merge_sort_block_merge_implIS3_PlPS5_mZN2at6native12_GLOBAL__N_124unique_dim_cuda_templateIbEESt5tupleIJNSA_6TensorESF_SF_EERKSF_lbbbEUlllE_EE10hipError_tT0_T1_T2_jT3_P12ihipStream_tbPNSt15iterator_traitsISL_E10value_typeEPNSR_ISM_E10value_typeEPSN_NS1_7vsmem_tEENKUlT_SL_SM_SN_E_clIS8_S8_S9_S9_EESK_S10_SL_SM_SN_EUlS10_E_NS1_11comp_targetILNS1_3genE2ELNS1_11target_archE906ELNS1_3gpuE6ELNS1_3repE0EEENS1_48merge_mergepath_partition_config_static_selectorELNS0_4arch9wavefront6targetE0EEEvSM_: ; @_ZN7rocprim17ROCPRIM_400000_NS6detail17trampoline_kernelINS0_14default_configENS1_38merge_sort_block_merge_config_selectorIlNS0_10empty_typeEEEZZNS1_27merge_sort_block_merge_implIS3_PlPS5_mZN2at6native12_GLOBAL__N_124unique_dim_cuda_templateIbEESt5tupleIJNSA_6TensorESF_SF_EERKSF_lbbbEUlllE_EE10hipError_tT0_T1_T2_jT3_P12ihipStream_tbPNSt15iterator_traitsISL_E10value_typeEPNSR_ISM_E10value_typeEPSN_NS1_7vsmem_tEENKUlT_SL_SM_SN_E_clIS8_S8_S9_S9_EESK_S10_SL_SM_SN_EUlS10_E_NS1_11comp_targetILNS1_3genE2ELNS1_11target_archE906ELNS1_3gpuE6ELNS1_3repE0EEENS1_48merge_mergepath_partition_config_static_selectorELNS0_4arch9wavefront6targetE0EEEvSM_
; %bb.0:
	.section	.rodata,"a",@progbits
	.p2align	6, 0x0
	.amdhsa_kernel _ZN7rocprim17ROCPRIM_400000_NS6detail17trampoline_kernelINS0_14default_configENS1_38merge_sort_block_merge_config_selectorIlNS0_10empty_typeEEEZZNS1_27merge_sort_block_merge_implIS3_PlPS5_mZN2at6native12_GLOBAL__N_124unique_dim_cuda_templateIbEESt5tupleIJNSA_6TensorESF_SF_EERKSF_lbbbEUlllE_EE10hipError_tT0_T1_T2_jT3_P12ihipStream_tbPNSt15iterator_traitsISL_E10value_typeEPNSR_ISM_E10value_typeEPSN_NS1_7vsmem_tEENKUlT_SL_SM_SN_E_clIS8_S8_S9_S9_EESK_S10_SL_SM_SN_EUlS10_E_NS1_11comp_targetILNS1_3genE2ELNS1_11target_archE906ELNS1_3gpuE6ELNS1_3repE0EEENS1_48merge_mergepath_partition_config_static_selectorELNS0_4arch9wavefront6targetE0EEEvSM_
		.amdhsa_group_segment_fixed_size 0
		.amdhsa_private_segment_fixed_size 0
		.amdhsa_kernarg_size 56
		.amdhsa_user_sgpr_count 15
		.amdhsa_user_sgpr_dispatch_ptr 0
		.amdhsa_user_sgpr_queue_ptr 0
		.amdhsa_user_sgpr_kernarg_segment_ptr 1
		.amdhsa_user_sgpr_dispatch_id 0
		.amdhsa_user_sgpr_private_segment_size 0
		.amdhsa_wavefront_size32 1
		.amdhsa_uses_dynamic_stack 0
		.amdhsa_enable_private_segment 0
		.amdhsa_system_sgpr_workgroup_id_x 1
		.amdhsa_system_sgpr_workgroup_id_y 0
		.amdhsa_system_sgpr_workgroup_id_z 0
		.amdhsa_system_sgpr_workgroup_info 0
		.amdhsa_system_vgpr_workitem_id 0
		.amdhsa_next_free_vgpr 1
		.amdhsa_next_free_sgpr 1
		.amdhsa_reserve_vcc 0
		.amdhsa_float_round_mode_32 0
		.amdhsa_float_round_mode_16_64 0
		.amdhsa_float_denorm_mode_32 3
		.amdhsa_float_denorm_mode_16_64 3
		.amdhsa_dx10_clamp 1
		.amdhsa_ieee_mode 1
		.amdhsa_fp16_overflow 0
		.amdhsa_workgroup_processor_mode 1
		.amdhsa_memory_ordered 1
		.amdhsa_forward_progress 0
		.amdhsa_shared_vgpr_count 0
		.amdhsa_exception_fp_ieee_invalid_op 0
		.amdhsa_exception_fp_denorm_src 0
		.amdhsa_exception_fp_ieee_div_zero 0
		.amdhsa_exception_fp_ieee_overflow 0
		.amdhsa_exception_fp_ieee_underflow 0
		.amdhsa_exception_fp_ieee_inexact 0
		.amdhsa_exception_int_div_zero 0
	.end_amdhsa_kernel
	.section	.text._ZN7rocprim17ROCPRIM_400000_NS6detail17trampoline_kernelINS0_14default_configENS1_38merge_sort_block_merge_config_selectorIlNS0_10empty_typeEEEZZNS1_27merge_sort_block_merge_implIS3_PlPS5_mZN2at6native12_GLOBAL__N_124unique_dim_cuda_templateIbEESt5tupleIJNSA_6TensorESF_SF_EERKSF_lbbbEUlllE_EE10hipError_tT0_T1_T2_jT3_P12ihipStream_tbPNSt15iterator_traitsISL_E10value_typeEPNSR_ISM_E10value_typeEPSN_NS1_7vsmem_tEENKUlT_SL_SM_SN_E_clIS8_S8_S9_S9_EESK_S10_SL_SM_SN_EUlS10_E_NS1_11comp_targetILNS1_3genE2ELNS1_11target_archE906ELNS1_3gpuE6ELNS1_3repE0EEENS1_48merge_mergepath_partition_config_static_selectorELNS0_4arch9wavefront6targetE0EEEvSM_,"axG",@progbits,_ZN7rocprim17ROCPRIM_400000_NS6detail17trampoline_kernelINS0_14default_configENS1_38merge_sort_block_merge_config_selectorIlNS0_10empty_typeEEEZZNS1_27merge_sort_block_merge_implIS3_PlPS5_mZN2at6native12_GLOBAL__N_124unique_dim_cuda_templateIbEESt5tupleIJNSA_6TensorESF_SF_EERKSF_lbbbEUlllE_EE10hipError_tT0_T1_T2_jT3_P12ihipStream_tbPNSt15iterator_traitsISL_E10value_typeEPNSR_ISM_E10value_typeEPSN_NS1_7vsmem_tEENKUlT_SL_SM_SN_E_clIS8_S8_S9_S9_EESK_S10_SL_SM_SN_EUlS10_E_NS1_11comp_targetILNS1_3genE2ELNS1_11target_archE906ELNS1_3gpuE6ELNS1_3repE0EEENS1_48merge_mergepath_partition_config_static_selectorELNS0_4arch9wavefront6targetE0EEEvSM_,comdat
.Lfunc_end1007:
	.size	_ZN7rocprim17ROCPRIM_400000_NS6detail17trampoline_kernelINS0_14default_configENS1_38merge_sort_block_merge_config_selectorIlNS0_10empty_typeEEEZZNS1_27merge_sort_block_merge_implIS3_PlPS5_mZN2at6native12_GLOBAL__N_124unique_dim_cuda_templateIbEESt5tupleIJNSA_6TensorESF_SF_EERKSF_lbbbEUlllE_EE10hipError_tT0_T1_T2_jT3_P12ihipStream_tbPNSt15iterator_traitsISL_E10value_typeEPNSR_ISM_E10value_typeEPSN_NS1_7vsmem_tEENKUlT_SL_SM_SN_E_clIS8_S8_S9_S9_EESK_S10_SL_SM_SN_EUlS10_E_NS1_11comp_targetILNS1_3genE2ELNS1_11target_archE906ELNS1_3gpuE6ELNS1_3repE0EEENS1_48merge_mergepath_partition_config_static_selectorELNS0_4arch9wavefront6targetE0EEEvSM_, .Lfunc_end1007-_ZN7rocprim17ROCPRIM_400000_NS6detail17trampoline_kernelINS0_14default_configENS1_38merge_sort_block_merge_config_selectorIlNS0_10empty_typeEEEZZNS1_27merge_sort_block_merge_implIS3_PlPS5_mZN2at6native12_GLOBAL__N_124unique_dim_cuda_templateIbEESt5tupleIJNSA_6TensorESF_SF_EERKSF_lbbbEUlllE_EE10hipError_tT0_T1_T2_jT3_P12ihipStream_tbPNSt15iterator_traitsISL_E10value_typeEPNSR_ISM_E10value_typeEPSN_NS1_7vsmem_tEENKUlT_SL_SM_SN_E_clIS8_S8_S9_S9_EESK_S10_SL_SM_SN_EUlS10_E_NS1_11comp_targetILNS1_3genE2ELNS1_11target_archE906ELNS1_3gpuE6ELNS1_3repE0EEENS1_48merge_mergepath_partition_config_static_selectorELNS0_4arch9wavefront6targetE0EEEvSM_
                                        ; -- End function
	.section	.AMDGPU.csdata,"",@progbits
; Kernel info:
; codeLenInByte = 0
; NumSgprs: 0
; NumVgprs: 0
; ScratchSize: 0
; MemoryBound: 0
; FloatMode: 240
; IeeeMode: 1
; LDSByteSize: 0 bytes/workgroup (compile time only)
; SGPRBlocks: 0
; VGPRBlocks: 0
; NumSGPRsForWavesPerEU: 1
; NumVGPRsForWavesPerEU: 1
; Occupancy: 16
; WaveLimiterHint : 0
; COMPUTE_PGM_RSRC2:SCRATCH_EN: 0
; COMPUTE_PGM_RSRC2:USER_SGPR: 15
; COMPUTE_PGM_RSRC2:TRAP_HANDLER: 0
; COMPUTE_PGM_RSRC2:TGID_X_EN: 1
; COMPUTE_PGM_RSRC2:TGID_Y_EN: 0
; COMPUTE_PGM_RSRC2:TGID_Z_EN: 0
; COMPUTE_PGM_RSRC2:TIDIG_COMP_CNT: 0
	.section	.text._ZN7rocprim17ROCPRIM_400000_NS6detail17trampoline_kernelINS0_14default_configENS1_38merge_sort_block_merge_config_selectorIlNS0_10empty_typeEEEZZNS1_27merge_sort_block_merge_implIS3_PlPS5_mZN2at6native12_GLOBAL__N_124unique_dim_cuda_templateIbEESt5tupleIJNSA_6TensorESF_SF_EERKSF_lbbbEUlllE_EE10hipError_tT0_T1_T2_jT3_P12ihipStream_tbPNSt15iterator_traitsISL_E10value_typeEPNSR_ISM_E10value_typeEPSN_NS1_7vsmem_tEENKUlT_SL_SM_SN_E_clIS8_S8_S9_S9_EESK_S10_SL_SM_SN_EUlS10_E_NS1_11comp_targetILNS1_3genE9ELNS1_11target_archE1100ELNS1_3gpuE3ELNS1_3repE0EEENS1_48merge_mergepath_partition_config_static_selectorELNS0_4arch9wavefront6targetE0EEEvSM_,"axG",@progbits,_ZN7rocprim17ROCPRIM_400000_NS6detail17trampoline_kernelINS0_14default_configENS1_38merge_sort_block_merge_config_selectorIlNS0_10empty_typeEEEZZNS1_27merge_sort_block_merge_implIS3_PlPS5_mZN2at6native12_GLOBAL__N_124unique_dim_cuda_templateIbEESt5tupleIJNSA_6TensorESF_SF_EERKSF_lbbbEUlllE_EE10hipError_tT0_T1_T2_jT3_P12ihipStream_tbPNSt15iterator_traitsISL_E10value_typeEPNSR_ISM_E10value_typeEPSN_NS1_7vsmem_tEENKUlT_SL_SM_SN_E_clIS8_S8_S9_S9_EESK_S10_SL_SM_SN_EUlS10_E_NS1_11comp_targetILNS1_3genE9ELNS1_11target_archE1100ELNS1_3gpuE3ELNS1_3repE0EEENS1_48merge_mergepath_partition_config_static_selectorELNS0_4arch9wavefront6targetE0EEEvSM_,comdat
	.globl	_ZN7rocprim17ROCPRIM_400000_NS6detail17trampoline_kernelINS0_14default_configENS1_38merge_sort_block_merge_config_selectorIlNS0_10empty_typeEEEZZNS1_27merge_sort_block_merge_implIS3_PlPS5_mZN2at6native12_GLOBAL__N_124unique_dim_cuda_templateIbEESt5tupleIJNSA_6TensorESF_SF_EERKSF_lbbbEUlllE_EE10hipError_tT0_T1_T2_jT3_P12ihipStream_tbPNSt15iterator_traitsISL_E10value_typeEPNSR_ISM_E10value_typeEPSN_NS1_7vsmem_tEENKUlT_SL_SM_SN_E_clIS8_S8_S9_S9_EESK_S10_SL_SM_SN_EUlS10_E_NS1_11comp_targetILNS1_3genE9ELNS1_11target_archE1100ELNS1_3gpuE3ELNS1_3repE0EEENS1_48merge_mergepath_partition_config_static_selectorELNS0_4arch9wavefront6targetE0EEEvSM_ ; -- Begin function _ZN7rocprim17ROCPRIM_400000_NS6detail17trampoline_kernelINS0_14default_configENS1_38merge_sort_block_merge_config_selectorIlNS0_10empty_typeEEEZZNS1_27merge_sort_block_merge_implIS3_PlPS5_mZN2at6native12_GLOBAL__N_124unique_dim_cuda_templateIbEESt5tupleIJNSA_6TensorESF_SF_EERKSF_lbbbEUlllE_EE10hipError_tT0_T1_T2_jT3_P12ihipStream_tbPNSt15iterator_traitsISL_E10value_typeEPNSR_ISM_E10value_typeEPSN_NS1_7vsmem_tEENKUlT_SL_SM_SN_E_clIS8_S8_S9_S9_EESK_S10_SL_SM_SN_EUlS10_E_NS1_11comp_targetILNS1_3genE9ELNS1_11target_archE1100ELNS1_3gpuE3ELNS1_3repE0EEENS1_48merge_mergepath_partition_config_static_selectorELNS0_4arch9wavefront6targetE0EEEvSM_
	.p2align	8
	.type	_ZN7rocprim17ROCPRIM_400000_NS6detail17trampoline_kernelINS0_14default_configENS1_38merge_sort_block_merge_config_selectorIlNS0_10empty_typeEEEZZNS1_27merge_sort_block_merge_implIS3_PlPS5_mZN2at6native12_GLOBAL__N_124unique_dim_cuda_templateIbEESt5tupleIJNSA_6TensorESF_SF_EERKSF_lbbbEUlllE_EE10hipError_tT0_T1_T2_jT3_P12ihipStream_tbPNSt15iterator_traitsISL_E10value_typeEPNSR_ISM_E10value_typeEPSN_NS1_7vsmem_tEENKUlT_SL_SM_SN_E_clIS8_S8_S9_S9_EESK_S10_SL_SM_SN_EUlS10_E_NS1_11comp_targetILNS1_3genE9ELNS1_11target_archE1100ELNS1_3gpuE3ELNS1_3repE0EEENS1_48merge_mergepath_partition_config_static_selectorELNS0_4arch9wavefront6targetE0EEEvSM_,@function
_ZN7rocprim17ROCPRIM_400000_NS6detail17trampoline_kernelINS0_14default_configENS1_38merge_sort_block_merge_config_selectorIlNS0_10empty_typeEEEZZNS1_27merge_sort_block_merge_implIS3_PlPS5_mZN2at6native12_GLOBAL__N_124unique_dim_cuda_templateIbEESt5tupleIJNSA_6TensorESF_SF_EERKSF_lbbbEUlllE_EE10hipError_tT0_T1_T2_jT3_P12ihipStream_tbPNSt15iterator_traitsISL_E10value_typeEPNSR_ISM_E10value_typeEPSN_NS1_7vsmem_tEENKUlT_SL_SM_SN_E_clIS8_S8_S9_S9_EESK_S10_SL_SM_SN_EUlS10_E_NS1_11comp_targetILNS1_3genE9ELNS1_11target_archE1100ELNS1_3gpuE3ELNS1_3repE0EEENS1_48merge_mergepath_partition_config_static_selectorELNS0_4arch9wavefront6targetE0EEEvSM_: ; @_ZN7rocprim17ROCPRIM_400000_NS6detail17trampoline_kernelINS0_14default_configENS1_38merge_sort_block_merge_config_selectorIlNS0_10empty_typeEEEZZNS1_27merge_sort_block_merge_implIS3_PlPS5_mZN2at6native12_GLOBAL__N_124unique_dim_cuda_templateIbEESt5tupleIJNSA_6TensorESF_SF_EERKSF_lbbbEUlllE_EE10hipError_tT0_T1_T2_jT3_P12ihipStream_tbPNSt15iterator_traitsISL_E10value_typeEPNSR_ISM_E10value_typeEPSN_NS1_7vsmem_tEENKUlT_SL_SM_SN_E_clIS8_S8_S9_S9_EESK_S10_SL_SM_SN_EUlS10_E_NS1_11comp_targetILNS1_3genE9ELNS1_11target_archE1100ELNS1_3gpuE3ELNS1_3repE0EEENS1_48merge_mergepath_partition_config_static_selectorELNS0_4arch9wavefront6targetE0EEEvSM_
; %bb.0:
	s_load_b32 s2, s[0:1], 0x0
	v_lshl_or_b32 v0, s15, 7, v0
	s_waitcnt lgkmcnt(0)
	s_delay_alu instid0(VALU_DEP_1)
	v_cmp_gt_u32_e32 vcc_lo, s2, v0
	s_and_saveexec_b32 s2, vcc_lo
	s_cbranch_execz .LBB1008_13
; %bb.1:
	s_load_b128 s[4:7], s[0:1], 0x8
	s_mov_b32 s12, 0
	v_mov_b32_e32 v2, 0
	s_waitcnt lgkmcnt(0)
	v_alignbit_b32 v1, s5, s4, 9
	s_delay_alu instid0(VALU_DEP_1) | instskip(NEXT) | instid1(VALU_DEP_1)
	v_and_b32_e32 v3, -2, v1
	v_sub_nc_u32_e32 v1, 0, v3
	s_delay_alu instid0(VALU_DEP_1) | instskip(NEXT) | instid1(VALU_DEP_1)
	v_and_b32_e32 v1, v0, v1
	v_lshlrev_b64 v[4:5], 10, v[1:2]
	v_add_nc_u32_e32 v1, -1, v3
	s_delay_alu instid0(VALU_DEP_1) | instskip(NEXT) | instid1(VALU_DEP_3)
	v_dual_mov_b32 v11, v2 :: v_dual_and_b32 v10, v1, v0
	v_add_co_u32 v6, vcc_lo, v4, s4
	s_delay_alu instid0(VALU_DEP_4) | instskip(NEXT) | instid1(VALU_DEP_1)
	v_add_co_ci_u32_e32 v7, vcc_lo, s5, v5, vcc_lo
	v_cmp_lt_u64_e32 vcc_lo, s[6:7], v[6:7]
	v_cndmask_b32_e64 v8, v6, s6, vcc_lo
	v_cndmask_b32_e64 v9, v7, s7, vcc_lo
	s_delay_alu instid0(VALU_DEP_2) | instskip(NEXT) | instid1(VALU_DEP_2)
	v_add_co_u32 v6, vcc_lo, v8, s4
	v_add_co_ci_u32_e32 v7, vcc_lo, s5, v9, vcc_lo
	v_cmp_lt_u64_e32 vcc_lo, s[6:7], v[4:5]
	s_delay_alu instid0(VALU_DEP_2) | instskip(SKIP_3) | instid1(VALU_DEP_4)
	v_cmp_lt_u64_e64 s2, s[6:7], v[6:7]
	v_cndmask_b32_e64 v2, v4, s6, vcc_lo
	v_cndmask_b32_e64 v3, v5, s7, vcc_lo
	v_lshlrev_b64 v[4:5], 10, v[10:11]
	v_cndmask_b32_e64 v12, v6, s6, s2
	v_cndmask_b32_e64 v1, v7, s7, s2
	s_load_b256 s[4:11], s[0:1], 0x18
	s_mov_b32 s1, exec_lo
	s_delay_alu instid0(VALU_DEP_2) | instskip(NEXT) | instid1(VALU_DEP_2)
	v_sub_co_u32 v6, vcc_lo, v12, v2
	v_sub_co_ci_u32_e32 v7, vcc_lo, v1, v3, vcc_lo
	s_delay_alu instid0(VALU_DEP_1) | instskip(SKIP_3) | instid1(VALU_DEP_2)
	v_cmp_lt_u64_e32 vcc_lo, v[6:7], v[4:5]
	v_dual_cndmask_b32 v11, v5, v7 :: v_dual_cndmask_b32 v10, v4, v6
	v_sub_co_u32 v4, vcc_lo, v8, v12
	v_sub_co_ci_u32_e32 v1, vcc_lo, v9, v1, vcc_lo
	v_add_co_u32 v4, vcc_lo, v10, v4
	s_delay_alu instid0(VALU_DEP_2) | instskip(SKIP_2) | instid1(VALU_DEP_3)
	v_add_co_ci_u32_e32 v5, vcc_lo, v11, v1, vcc_lo
	v_sub_co_u32 v6, vcc_lo, v8, v2
	v_sub_co_ci_u32_e32 v7, vcc_lo, v9, v3, vcc_lo
	v_cmp_gt_u64_e32 vcc_lo, v[4:5], v[10:11]
	s_delay_alu instid0(VALU_DEP_2) | instskip(SKIP_2) | instid1(VALU_DEP_3)
	v_cmp_lt_u64_e64 s0, v[10:11], v[6:7]
	v_cndmask_b32_e64 v5, v5, 0, vcc_lo
	v_cndmask_b32_e64 v4, v4, 0, vcc_lo
	v_cndmask_b32_e64 v7, v7, v11, s0
	v_cndmask_b32_e64 v6, v6, v10, s0
	s_delay_alu instid0(VALU_DEP_1)
	v_cmpx_lt_u64_e64 v[4:5], v[6:7]
	s_cbranch_execz .LBB1008_12
; %bb.2:
	v_lshlrev_b64 v[8:9], 3, v[8:9]
	v_lshlrev_b64 v[12:13], 3, v[2:3]
	;; [unrolled: 1-line block ×3, first 2 shown]
	s_waitcnt lgkmcnt(0)
	s_delay_alu instid0(VALU_DEP_3) | instskip(NEXT) | instid1(VALU_DEP_4)
	v_add_co_u32 v8, vcc_lo, s4, v8
	v_add_co_ci_u32_e32 v9, vcc_lo, s5, v9, vcc_lo
	s_delay_alu instid0(VALU_DEP_4) | instskip(SKIP_1) | instid1(VALU_DEP_4)
	v_add_co_u32 v1, vcc_lo, s4, v12
	v_add_co_ci_u32_e32 v14, vcc_lo, s5, v13, vcc_lo
	v_add_co_u32 v15, vcc_lo, v8, v10
	v_cmp_gt_i64_e64 s4, s[6:7], 0
	v_add_co_ci_u32_e32 v16, vcc_lo, v9, v11, vcc_lo
	s_branch .LBB1008_5
.LBB1008_3:                             ;   in Loop: Header=BB1008_5 Depth=1
	s_set_inst_prefetch_distance 0x2
	s_or_b32 exec_lo, exec_lo, s13
.LBB1008_4:                             ;   in Loop: Header=BB1008_5 Depth=1
	s_delay_alu instid0(VALU_DEP_1) | instskip(NEXT) | instid1(VALU_DEP_2)
	v_add_co_u32 v10, vcc_lo, v8, 1
	v_add_co_ci_u32_e32 v11, vcc_lo, 0, v9, vcc_lo
	v_cndmask_b32_e64 v7, v7, v9, s5
	v_cndmask_b32_e64 v6, v6, v8, s5
	s_delay_alu instid0(VALU_DEP_4) | instskip(NEXT) | instid1(VALU_DEP_4)
	v_cndmask_b32_e64 v4, v10, v4, s5
	v_cndmask_b32_e64 v5, v11, v5, s5
	s_delay_alu instid0(VALU_DEP_1) | instskip(SKIP_1) | instid1(SALU_CYCLE_1)
	v_cmp_ge_u64_e32 vcc_lo, v[4:5], v[6:7]
	s_or_b32 s12, vcc_lo, s12
	s_and_not1_b32 exec_lo, exec_lo, s12
	s_cbranch_execz .LBB1008_11
.LBB1008_5:                             ; =>This Loop Header: Depth=1
                                        ;     Child Loop BB1008_8 Depth 2
	v_add_co_u32 v8, vcc_lo, v6, v4
	v_add_co_ci_u32_e32 v9, vcc_lo, v7, v5, vcc_lo
	s_delay_alu instid0(VALU_DEP_4) | instskip(NEXT) | instid1(VALU_DEP_1)
	s_and_not1_b32 vcc_lo, exec_lo, s4
	v_lshrrev_b64 v[8:9], 1, v[8:9]
	s_cbranch_vccnz .LBB1008_10
; %bb.6:                                ;   in Loop: Header=BB1008_5 Depth=1
	s_delay_alu instid0(VALU_DEP_1) | instskip(NEXT) | instid1(VALU_DEP_2)
	v_not_b32_e32 v11, v9
	v_not_b32_e32 v10, v8
	v_lshlrev_b64 v[12:13], 3, v[8:9]
	s_mov_b32 s13, 0
	s_mov_b64 s[2:3], s[6:7]
                                        ; implicit-def: $sgpr5
                                        ; implicit-def: $sgpr14
                                        ; implicit-def: $sgpr15
                                        ; implicit-def: $sgpr16
                                        ; implicit-def: $sgpr17
	s_delay_alu instid0(VALU_DEP_2) | instskip(NEXT) | instid1(VALU_DEP_1)
	v_lshlrev_b64 v[10:11], 3, v[10:11]
	v_add_co_u32 v10, vcc_lo, v15, v10
	s_delay_alu instid0(VALU_DEP_2)
	v_add_co_ci_u32_e32 v11, vcc_lo, v16, v11, vcc_lo
	v_add_co_u32 v12, vcc_lo, v1, v12
	v_add_co_ci_u32_e32 v13, vcc_lo, v14, v13, vcc_lo
	s_clause 0x1
	global_load_b64 v[17:18], v[10:11], off
	global_load_b64 v[19:20], v[12:13], off
	s_waitcnt vmcnt(1)
	v_mul_lo_u32 v21, v17, s7
	v_mul_lo_u32 v18, v18, s6
	v_mad_u64_u32 v[10:11], null, v17, s6, s[8:9]
	s_waitcnt vmcnt(0)
	v_mul_lo_u32 v17, v19, s7
	v_mul_lo_u32 v20, v20, s6
	v_mad_u64_u32 v[12:13], null, v19, s6, s[8:9]
	s_delay_alu instid0(VALU_DEP_4) | instskip(NEXT) | instid1(VALU_DEP_2)
	v_add3_u32 v11, v18, v11, v21
	v_add3_u32 v13, v20, v13, v17
	s_set_inst_prefetch_distance 0x1
	s_branch .LBB1008_8
	.p2align	6
.LBB1008_7:                             ;   in Loop: Header=BB1008_8 Depth=2
	s_or_b32 exec_lo, exec_lo, s0
	s_delay_alu instid0(SALU_CYCLE_1) | instskip(NEXT) | instid1(SALU_CYCLE_1)
	s_and_b32 s0, exec_lo, s14
	s_or_b32 s13, s0, s13
	s_and_not1_b32 s0, s17, exec_lo
	s_and_b32 s17, s15, exec_lo
	s_and_not1_b32 s5, s5, exec_lo
	s_and_b32 s18, s16, exec_lo
	s_or_b32 s17, s0, s17
	s_or_b32 s5, s5, s18
	s_and_not1_b32 exec_lo, exec_lo, s13
	s_cbranch_execz .LBB1008_3
.LBB1008_8:                             ;   Parent Loop BB1008_5 Depth=1
                                        ; =>  This Inner Loop Header: Depth=2
	global_load_u8 v17, v[10:11], off
	global_load_u8 v18, v[12:13], off
	s_and_not1_b32 s16, s16, exec_lo
	s_and_not1_b32 s15, s15, exec_lo
	s_or_b32 s14, s14, exec_lo
	s_waitcnt vmcnt(1)
	v_cmp_eq_u16_e32 vcc_lo, 0, v17
	s_waitcnt vmcnt(0)
	v_cmp_ne_u16_e64 s0, 0, v18
	s_delay_alu instid0(VALU_DEP_1) | instskip(SKIP_4) | instid1(SALU_CYCLE_1)
	s_or_b32 s18, vcc_lo, s0
	s_and_b32 s19, vcc_lo, s0
	s_and_b32 s18, s18, s17
	s_xor_b32 s20, vcc_lo, s0
	s_or_b32 s18, s19, s18
	s_and_b32 s19, s18, exec_lo
	s_delay_alu instid0(SALU_CYCLE_1)
	s_or_b32 s16, s16, s19
	s_and_saveexec_b32 s0, s20
	s_cbranch_execz .LBB1008_7
; %bb.9:                                ;   in Loop: Header=BB1008_8 Depth=2
	s_add_u32 s2, s2, -1
	s_addc_u32 s3, s3, -1
	v_add_co_u32 v10, vcc_lo, v10, 1
	s_cmp_eq_u64 s[2:3], 0
	v_add_co_ci_u32_e32 v11, vcc_lo, 0, v11, vcc_lo
	s_cselect_b32 s17, -1, 0
	v_add_co_u32 v12, vcc_lo, v12, 1
	s_and_not1_b32 s15, s15, exec_lo
	s_and_b32 s18, s18, exec_lo
	s_and_not1_b32 s14, s14, exec_lo
	s_and_b32 s17, s17, exec_lo
	v_add_co_ci_u32_e32 v13, vcc_lo, 0, v13, vcc_lo
	s_and_not1_b32 s16, s16, exec_lo
	s_or_b32 s15, s15, s18
	s_or_b32 s14, s14, s17
                                        ; implicit-def: $sgpr17
	s_branch .LBB1008_7
.LBB1008_10:                            ;   in Loop: Header=BB1008_5 Depth=1
	s_mov_b32 s5, 0
	s_branch .LBB1008_4
.LBB1008_11:
	s_or_b32 exec_lo, exec_lo, s12
.LBB1008_12:
	s_delay_alu instid0(SALU_CYCLE_1) | instskip(SKIP_3) | instid1(VALU_DEP_3)
	s_or_b32 exec_lo, exec_lo, s1
	v_mov_b32_e32 v1, 0
	v_add_co_u32 v2, vcc_lo, v4, v2
	v_add_co_ci_u32_e32 v3, vcc_lo, v5, v3, vcc_lo
	v_lshlrev_b64 v[0:1], 3, v[0:1]
	s_waitcnt lgkmcnt(0)
	s_delay_alu instid0(VALU_DEP_1) | instskip(NEXT) | instid1(VALU_DEP_2)
	v_add_co_u32 v0, vcc_lo, s10, v0
	v_add_co_ci_u32_e32 v1, vcc_lo, s11, v1, vcc_lo
	global_store_b64 v[0:1], v[2:3], off
.LBB1008_13:
	s_nop 0
	s_sendmsg sendmsg(MSG_DEALLOC_VGPRS)
	s_endpgm
	.section	.rodata,"a",@progbits
	.p2align	6, 0x0
	.amdhsa_kernel _ZN7rocprim17ROCPRIM_400000_NS6detail17trampoline_kernelINS0_14default_configENS1_38merge_sort_block_merge_config_selectorIlNS0_10empty_typeEEEZZNS1_27merge_sort_block_merge_implIS3_PlPS5_mZN2at6native12_GLOBAL__N_124unique_dim_cuda_templateIbEESt5tupleIJNSA_6TensorESF_SF_EERKSF_lbbbEUlllE_EE10hipError_tT0_T1_T2_jT3_P12ihipStream_tbPNSt15iterator_traitsISL_E10value_typeEPNSR_ISM_E10value_typeEPSN_NS1_7vsmem_tEENKUlT_SL_SM_SN_E_clIS8_S8_S9_S9_EESK_S10_SL_SM_SN_EUlS10_E_NS1_11comp_targetILNS1_3genE9ELNS1_11target_archE1100ELNS1_3gpuE3ELNS1_3repE0EEENS1_48merge_mergepath_partition_config_static_selectorELNS0_4arch9wavefront6targetE0EEEvSM_
		.amdhsa_group_segment_fixed_size 0
		.amdhsa_private_segment_fixed_size 0
		.amdhsa_kernarg_size 56
		.amdhsa_user_sgpr_count 15
		.amdhsa_user_sgpr_dispatch_ptr 0
		.amdhsa_user_sgpr_queue_ptr 0
		.amdhsa_user_sgpr_kernarg_segment_ptr 1
		.amdhsa_user_sgpr_dispatch_id 0
		.amdhsa_user_sgpr_private_segment_size 0
		.amdhsa_wavefront_size32 1
		.amdhsa_uses_dynamic_stack 0
		.amdhsa_enable_private_segment 0
		.amdhsa_system_sgpr_workgroup_id_x 1
		.amdhsa_system_sgpr_workgroup_id_y 0
		.amdhsa_system_sgpr_workgroup_id_z 0
		.amdhsa_system_sgpr_workgroup_info 0
		.amdhsa_system_vgpr_workitem_id 0
		.amdhsa_next_free_vgpr 22
		.amdhsa_next_free_sgpr 21
		.amdhsa_reserve_vcc 1
		.amdhsa_float_round_mode_32 0
		.amdhsa_float_round_mode_16_64 0
		.amdhsa_float_denorm_mode_32 3
		.amdhsa_float_denorm_mode_16_64 3
		.amdhsa_dx10_clamp 1
		.amdhsa_ieee_mode 1
		.amdhsa_fp16_overflow 0
		.amdhsa_workgroup_processor_mode 1
		.amdhsa_memory_ordered 1
		.amdhsa_forward_progress 0
		.amdhsa_shared_vgpr_count 0
		.amdhsa_exception_fp_ieee_invalid_op 0
		.amdhsa_exception_fp_denorm_src 0
		.amdhsa_exception_fp_ieee_div_zero 0
		.amdhsa_exception_fp_ieee_overflow 0
		.amdhsa_exception_fp_ieee_underflow 0
		.amdhsa_exception_fp_ieee_inexact 0
		.amdhsa_exception_int_div_zero 0
	.end_amdhsa_kernel
	.section	.text._ZN7rocprim17ROCPRIM_400000_NS6detail17trampoline_kernelINS0_14default_configENS1_38merge_sort_block_merge_config_selectorIlNS0_10empty_typeEEEZZNS1_27merge_sort_block_merge_implIS3_PlPS5_mZN2at6native12_GLOBAL__N_124unique_dim_cuda_templateIbEESt5tupleIJNSA_6TensorESF_SF_EERKSF_lbbbEUlllE_EE10hipError_tT0_T1_T2_jT3_P12ihipStream_tbPNSt15iterator_traitsISL_E10value_typeEPNSR_ISM_E10value_typeEPSN_NS1_7vsmem_tEENKUlT_SL_SM_SN_E_clIS8_S8_S9_S9_EESK_S10_SL_SM_SN_EUlS10_E_NS1_11comp_targetILNS1_3genE9ELNS1_11target_archE1100ELNS1_3gpuE3ELNS1_3repE0EEENS1_48merge_mergepath_partition_config_static_selectorELNS0_4arch9wavefront6targetE0EEEvSM_,"axG",@progbits,_ZN7rocprim17ROCPRIM_400000_NS6detail17trampoline_kernelINS0_14default_configENS1_38merge_sort_block_merge_config_selectorIlNS0_10empty_typeEEEZZNS1_27merge_sort_block_merge_implIS3_PlPS5_mZN2at6native12_GLOBAL__N_124unique_dim_cuda_templateIbEESt5tupleIJNSA_6TensorESF_SF_EERKSF_lbbbEUlllE_EE10hipError_tT0_T1_T2_jT3_P12ihipStream_tbPNSt15iterator_traitsISL_E10value_typeEPNSR_ISM_E10value_typeEPSN_NS1_7vsmem_tEENKUlT_SL_SM_SN_E_clIS8_S8_S9_S9_EESK_S10_SL_SM_SN_EUlS10_E_NS1_11comp_targetILNS1_3genE9ELNS1_11target_archE1100ELNS1_3gpuE3ELNS1_3repE0EEENS1_48merge_mergepath_partition_config_static_selectorELNS0_4arch9wavefront6targetE0EEEvSM_,comdat
.Lfunc_end1008:
	.size	_ZN7rocprim17ROCPRIM_400000_NS6detail17trampoline_kernelINS0_14default_configENS1_38merge_sort_block_merge_config_selectorIlNS0_10empty_typeEEEZZNS1_27merge_sort_block_merge_implIS3_PlPS5_mZN2at6native12_GLOBAL__N_124unique_dim_cuda_templateIbEESt5tupleIJNSA_6TensorESF_SF_EERKSF_lbbbEUlllE_EE10hipError_tT0_T1_T2_jT3_P12ihipStream_tbPNSt15iterator_traitsISL_E10value_typeEPNSR_ISM_E10value_typeEPSN_NS1_7vsmem_tEENKUlT_SL_SM_SN_E_clIS8_S8_S9_S9_EESK_S10_SL_SM_SN_EUlS10_E_NS1_11comp_targetILNS1_3genE9ELNS1_11target_archE1100ELNS1_3gpuE3ELNS1_3repE0EEENS1_48merge_mergepath_partition_config_static_selectorELNS0_4arch9wavefront6targetE0EEEvSM_, .Lfunc_end1008-_ZN7rocprim17ROCPRIM_400000_NS6detail17trampoline_kernelINS0_14default_configENS1_38merge_sort_block_merge_config_selectorIlNS0_10empty_typeEEEZZNS1_27merge_sort_block_merge_implIS3_PlPS5_mZN2at6native12_GLOBAL__N_124unique_dim_cuda_templateIbEESt5tupleIJNSA_6TensorESF_SF_EERKSF_lbbbEUlllE_EE10hipError_tT0_T1_T2_jT3_P12ihipStream_tbPNSt15iterator_traitsISL_E10value_typeEPNSR_ISM_E10value_typeEPSN_NS1_7vsmem_tEENKUlT_SL_SM_SN_E_clIS8_S8_S9_S9_EESK_S10_SL_SM_SN_EUlS10_E_NS1_11comp_targetILNS1_3genE9ELNS1_11target_archE1100ELNS1_3gpuE3ELNS1_3repE0EEENS1_48merge_mergepath_partition_config_static_selectorELNS0_4arch9wavefront6targetE0EEEvSM_
                                        ; -- End function
	.section	.AMDGPU.csdata,"",@progbits
; Kernel info:
; codeLenInByte = 1028
; NumSgprs: 23
; NumVgprs: 22
; ScratchSize: 0
; MemoryBound: 0
; FloatMode: 240
; IeeeMode: 1
; LDSByteSize: 0 bytes/workgroup (compile time only)
; SGPRBlocks: 2
; VGPRBlocks: 2
; NumSGPRsForWavesPerEU: 23
; NumVGPRsForWavesPerEU: 22
; Occupancy: 16
; WaveLimiterHint : 0
; COMPUTE_PGM_RSRC2:SCRATCH_EN: 0
; COMPUTE_PGM_RSRC2:USER_SGPR: 15
; COMPUTE_PGM_RSRC2:TRAP_HANDLER: 0
; COMPUTE_PGM_RSRC2:TGID_X_EN: 1
; COMPUTE_PGM_RSRC2:TGID_Y_EN: 0
; COMPUTE_PGM_RSRC2:TGID_Z_EN: 0
; COMPUTE_PGM_RSRC2:TIDIG_COMP_CNT: 0
	.section	.text._ZN7rocprim17ROCPRIM_400000_NS6detail17trampoline_kernelINS0_14default_configENS1_38merge_sort_block_merge_config_selectorIlNS0_10empty_typeEEEZZNS1_27merge_sort_block_merge_implIS3_PlPS5_mZN2at6native12_GLOBAL__N_124unique_dim_cuda_templateIbEESt5tupleIJNSA_6TensorESF_SF_EERKSF_lbbbEUlllE_EE10hipError_tT0_T1_T2_jT3_P12ihipStream_tbPNSt15iterator_traitsISL_E10value_typeEPNSR_ISM_E10value_typeEPSN_NS1_7vsmem_tEENKUlT_SL_SM_SN_E_clIS8_S8_S9_S9_EESK_S10_SL_SM_SN_EUlS10_E_NS1_11comp_targetILNS1_3genE8ELNS1_11target_archE1030ELNS1_3gpuE2ELNS1_3repE0EEENS1_48merge_mergepath_partition_config_static_selectorELNS0_4arch9wavefront6targetE0EEEvSM_,"axG",@progbits,_ZN7rocprim17ROCPRIM_400000_NS6detail17trampoline_kernelINS0_14default_configENS1_38merge_sort_block_merge_config_selectorIlNS0_10empty_typeEEEZZNS1_27merge_sort_block_merge_implIS3_PlPS5_mZN2at6native12_GLOBAL__N_124unique_dim_cuda_templateIbEESt5tupleIJNSA_6TensorESF_SF_EERKSF_lbbbEUlllE_EE10hipError_tT0_T1_T2_jT3_P12ihipStream_tbPNSt15iterator_traitsISL_E10value_typeEPNSR_ISM_E10value_typeEPSN_NS1_7vsmem_tEENKUlT_SL_SM_SN_E_clIS8_S8_S9_S9_EESK_S10_SL_SM_SN_EUlS10_E_NS1_11comp_targetILNS1_3genE8ELNS1_11target_archE1030ELNS1_3gpuE2ELNS1_3repE0EEENS1_48merge_mergepath_partition_config_static_selectorELNS0_4arch9wavefront6targetE0EEEvSM_,comdat
	.globl	_ZN7rocprim17ROCPRIM_400000_NS6detail17trampoline_kernelINS0_14default_configENS1_38merge_sort_block_merge_config_selectorIlNS0_10empty_typeEEEZZNS1_27merge_sort_block_merge_implIS3_PlPS5_mZN2at6native12_GLOBAL__N_124unique_dim_cuda_templateIbEESt5tupleIJNSA_6TensorESF_SF_EERKSF_lbbbEUlllE_EE10hipError_tT0_T1_T2_jT3_P12ihipStream_tbPNSt15iterator_traitsISL_E10value_typeEPNSR_ISM_E10value_typeEPSN_NS1_7vsmem_tEENKUlT_SL_SM_SN_E_clIS8_S8_S9_S9_EESK_S10_SL_SM_SN_EUlS10_E_NS1_11comp_targetILNS1_3genE8ELNS1_11target_archE1030ELNS1_3gpuE2ELNS1_3repE0EEENS1_48merge_mergepath_partition_config_static_selectorELNS0_4arch9wavefront6targetE0EEEvSM_ ; -- Begin function _ZN7rocprim17ROCPRIM_400000_NS6detail17trampoline_kernelINS0_14default_configENS1_38merge_sort_block_merge_config_selectorIlNS0_10empty_typeEEEZZNS1_27merge_sort_block_merge_implIS3_PlPS5_mZN2at6native12_GLOBAL__N_124unique_dim_cuda_templateIbEESt5tupleIJNSA_6TensorESF_SF_EERKSF_lbbbEUlllE_EE10hipError_tT0_T1_T2_jT3_P12ihipStream_tbPNSt15iterator_traitsISL_E10value_typeEPNSR_ISM_E10value_typeEPSN_NS1_7vsmem_tEENKUlT_SL_SM_SN_E_clIS8_S8_S9_S9_EESK_S10_SL_SM_SN_EUlS10_E_NS1_11comp_targetILNS1_3genE8ELNS1_11target_archE1030ELNS1_3gpuE2ELNS1_3repE0EEENS1_48merge_mergepath_partition_config_static_selectorELNS0_4arch9wavefront6targetE0EEEvSM_
	.p2align	8
	.type	_ZN7rocprim17ROCPRIM_400000_NS6detail17trampoline_kernelINS0_14default_configENS1_38merge_sort_block_merge_config_selectorIlNS0_10empty_typeEEEZZNS1_27merge_sort_block_merge_implIS3_PlPS5_mZN2at6native12_GLOBAL__N_124unique_dim_cuda_templateIbEESt5tupleIJNSA_6TensorESF_SF_EERKSF_lbbbEUlllE_EE10hipError_tT0_T1_T2_jT3_P12ihipStream_tbPNSt15iterator_traitsISL_E10value_typeEPNSR_ISM_E10value_typeEPSN_NS1_7vsmem_tEENKUlT_SL_SM_SN_E_clIS8_S8_S9_S9_EESK_S10_SL_SM_SN_EUlS10_E_NS1_11comp_targetILNS1_3genE8ELNS1_11target_archE1030ELNS1_3gpuE2ELNS1_3repE0EEENS1_48merge_mergepath_partition_config_static_selectorELNS0_4arch9wavefront6targetE0EEEvSM_,@function
_ZN7rocprim17ROCPRIM_400000_NS6detail17trampoline_kernelINS0_14default_configENS1_38merge_sort_block_merge_config_selectorIlNS0_10empty_typeEEEZZNS1_27merge_sort_block_merge_implIS3_PlPS5_mZN2at6native12_GLOBAL__N_124unique_dim_cuda_templateIbEESt5tupleIJNSA_6TensorESF_SF_EERKSF_lbbbEUlllE_EE10hipError_tT0_T1_T2_jT3_P12ihipStream_tbPNSt15iterator_traitsISL_E10value_typeEPNSR_ISM_E10value_typeEPSN_NS1_7vsmem_tEENKUlT_SL_SM_SN_E_clIS8_S8_S9_S9_EESK_S10_SL_SM_SN_EUlS10_E_NS1_11comp_targetILNS1_3genE8ELNS1_11target_archE1030ELNS1_3gpuE2ELNS1_3repE0EEENS1_48merge_mergepath_partition_config_static_selectorELNS0_4arch9wavefront6targetE0EEEvSM_: ; @_ZN7rocprim17ROCPRIM_400000_NS6detail17trampoline_kernelINS0_14default_configENS1_38merge_sort_block_merge_config_selectorIlNS0_10empty_typeEEEZZNS1_27merge_sort_block_merge_implIS3_PlPS5_mZN2at6native12_GLOBAL__N_124unique_dim_cuda_templateIbEESt5tupleIJNSA_6TensorESF_SF_EERKSF_lbbbEUlllE_EE10hipError_tT0_T1_T2_jT3_P12ihipStream_tbPNSt15iterator_traitsISL_E10value_typeEPNSR_ISM_E10value_typeEPSN_NS1_7vsmem_tEENKUlT_SL_SM_SN_E_clIS8_S8_S9_S9_EESK_S10_SL_SM_SN_EUlS10_E_NS1_11comp_targetILNS1_3genE8ELNS1_11target_archE1030ELNS1_3gpuE2ELNS1_3repE0EEENS1_48merge_mergepath_partition_config_static_selectorELNS0_4arch9wavefront6targetE0EEEvSM_
; %bb.0:
	.section	.rodata,"a",@progbits
	.p2align	6, 0x0
	.amdhsa_kernel _ZN7rocprim17ROCPRIM_400000_NS6detail17trampoline_kernelINS0_14default_configENS1_38merge_sort_block_merge_config_selectorIlNS0_10empty_typeEEEZZNS1_27merge_sort_block_merge_implIS3_PlPS5_mZN2at6native12_GLOBAL__N_124unique_dim_cuda_templateIbEESt5tupleIJNSA_6TensorESF_SF_EERKSF_lbbbEUlllE_EE10hipError_tT0_T1_T2_jT3_P12ihipStream_tbPNSt15iterator_traitsISL_E10value_typeEPNSR_ISM_E10value_typeEPSN_NS1_7vsmem_tEENKUlT_SL_SM_SN_E_clIS8_S8_S9_S9_EESK_S10_SL_SM_SN_EUlS10_E_NS1_11comp_targetILNS1_3genE8ELNS1_11target_archE1030ELNS1_3gpuE2ELNS1_3repE0EEENS1_48merge_mergepath_partition_config_static_selectorELNS0_4arch9wavefront6targetE0EEEvSM_
		.amdhsa_group_segment_fixed_size 0
		.amdhsa_private_segment_fixed_size 0
		.amdhsa_kernarg_size 56
		.amdhsa_user_sgpr_count 15
		.amdhsa_user_sgpr_dispatch_ptr 0
		.amdhsa_user_sgpr_queue_ptr 0
		.amdhsa_user_sgpr_kernarg_segment_ptr 1
		.amdhsa_user_sgpr_dispatch_id 0
		.amdhsa_user_sgpr_private_segment_size 0
		.amdhsa_wavefront_size32 1
		.amdhsa_uses_dynamic_stack 0
		.amdhsa_enable_private_segment 0
		.amdhsa_system_sgpr_workgroup_id_x 1
		.amdhsa_system_sgpr_workgroup_id_y 0
		.amdhsa_system_sgpr_workgroup_id_z 0
		.amdhsa_system_sgpr_workgroup_info 0
		.amdhsa_system_vgpr_workitem_id 0
		.amdhsa_next_free_vgpr 1
		.amdhsa_next_free_sgpr 1
		.amdhsa_reserve_vcc 0
		.amdhsa_float_round_mode_32 0
		.amdhsa_float_round_mode_16_64 0
		.amdhsa_float_denorm_mode_32 3
		.amdhsa_float_denorm_mode_16_64 3
		.amdhsa_dx10_clamp 1
		.amdhsa_ieee_mode 1
		.amdhsa_fp16_overflow 0
		.amdhsa_workgroup_processor_mode 1
		.amdhsa_memory_ordered 1
		.amdhsa_forward_progress 0
		.amdhsa_shared_vgpr_count 0
		.amdhsa_exception_fp_ieee_invalid_op 0
		.amdhsa_exception_fp_denorm_src 0
		.amdhsa_exception_fp_ieee_div_zero 0
		.amdhsa_exception_fp_ieee_overflow 0
		.amdhsa_exception_fp_ieee_underflow 0
		.amdhsa_exception_fp_ieee_inexact 0
		.amdhsa_exception_int_div_zero 0
	.end_amdhsa_kernel
	.section	.text._ZN7rocprim17ROCPRIM_400000_NS6detail17trampoline_kernelINS0_14default_configENS1_38merge_sort_block_merge_config_selectorIlNS0_10empty_typeEEEZZNS1_27merge_sort_block_merge_implIS3_PlPS5_mZN2at6native12_GLOBAL__N_124unique_dim_cuda_templateIbEESt5tupleIJNSA_6TensorESF_SF_EERKSF_lbbbEUlllE_EE10hipError_tT0_T1_T2_jT3_P12ihipStream_tbPNSt15iterator_traitsISL_E10value_typeEPNSR_ISM_E10value_typeEPSN_NS1_7vsmem_tEENKUlT_SL_SM_SN_E_clIS8_S8_S9_S9_EESK_S10_SL_SM_SN_EUlS10_E_NS1_11comp_targetILNS1_3genE8ELNS1_11target_archE1030ELNS1_3gpuE2ELNS1_3repE0EEENS1_48merge_mergepath_partition_config_static_selectorELNS0_4arch9wavefront6targetE0EEEvSM_,"axG",@progbits,_ZN7rocprim17ROCPRIM_400000_NS6detail17trampoline_kernelINS0_14default_configENS1_38merge_sort_block_merge_config_selectorIlNS0_10empty_typeEEEZZNS1_27merge_sort_block_merge_implIS3_PlPS5_mZN2at6native12_GLOBAL__N_124unique_dim_cuda_templateIbEESt5tupleIJNSA_6TensorESF_SF_EERKSF_lbbbEUlllE_EE10hipError_tT0_T1_T2_jT3_P12ihipStream_tbPNSt15iterator_traitsISL_E10value_typeEPNSR_ISM_E10value_typeEPSN_NS1_7vsmem_tEENKUlT_SL_SM_SN_E_clIS8_S8_S9_S9_EESK_S10_SL_SM_SN_EUlS10_E_NS1_11comp_targetILNS1_3genE8ELNS1_11target_archE1030ELNS1_3gpuE2ELNS1_3repE0EEENS1_48merge_mergepath_partition_config_static_selectorELNS0_4arch9wavefront6targetE0EEEvSM_,comdat
.Lfunc_end1009:
	.size	_ZN7rocprim17ROCPRIM_400000_NS6detail17trampoline_kernelINS0_14default_configENS1_38merge_sort_block_merge_config_selectorIlNS0_10empty_typeEEEZZNS1_27merge_sort_block_merge_implIS3_PlPS5_mZN2at6native12_GLOBAL__N_124unique_dim_cuda_templateIbEESt5tupleIJNSA_6TensorESF_SF_EERKSF_lbbbEUlllE_EE10hipError_tT0_T1_T2_jT3_P12ihipStream_tbPNSt15iterator_traitsISL_E10value_typeEPNSR_ISM_E10value_typeEPSN_NS1_7vsmem_tEENKUlT_SL_SM_SN_E_clIS8_S8_S9_S9_EESK_S10_SL_SM_SN_EUlS10_E_NS1_11comp_targetILNS1_3genE8ELNS1_11target_archE1030ELNS1_3gpuE2ELNS1_3repE0EEENS1_48merge_mergepath_partition_config_static_selectorELNS0_4arch9wavefront6targetE0EEEvSM_, .Lfunc_end1009-_ZN7rocprim17ROCPRIM_400000_NS6detail17trampoline_kernelINS0_14default_configENS1_38merge_sort_block_merge_config_selectorIlNS0_10empty_typeEEEZZNS1_27merge_sort_block_merge_implIS3_PlPS5_mZN2at6native12_GLOBAL__N_124unique_dim_cuda_templateIbEESt5tupleIJNSA_6TensorESF_SF_EERKSF_lbbbEUlllE_EE10hipError_tT0_T1_T2_jT3_P12ihipStream_tbPNSt15iterator_traitsISL_E10value_typeEPNSR_ISM_E10value_typeEPSN_NS1_7vsmem_tEENKUlT_SL_SM_SN_E_clIS8_S8_S9_S9_EESK_S10_SL_SM_SN_EUlS10_E_NS1_11comp_targetILNS1_3genE8ELNS1_11target_archE1030ELNS1_3gpuE2ELNS1_3repE0EEENS1_48merge_mergepath_partition_config_static_selectorELNS0_4arch9wavefront6targetE0EEEvSM_
                                        ; -- End function
	.section	.AMDGPU.csdata,"",@progbits
; Kernel info:
; codeLenInByte = 0
; NumSgprs: 0
; NumVgprs: 0
; ScratchSize: 0
; MemoryBound: 0
; FloatMode: 240
; IeeeMode: 1
; LDSByteSize: 0 bytes/workgroup (compile time only)
; SGPRBlocks: 0
; VGPRBlocks: 0
; NumSGPRsForWavesPerEU: 1
; NumVGPRsForWavesPerEU: 1
; Occupancy: 16
; WaveLimiterHint : 0
; COMPUTE_PGM_RSRC2:SCRATCH_EN: 0
; COMPUTE_PGM_RSRC2:USER_SGPR: 15
; COMPUTE_PGM_RSRC2:TRAP_HANDLER: 0
; COMPUTE_PGM_RSRC2:TGID_X_EN: 1
; COMPUTE_PGM_RSRC2:TGID_Y_EN: 0
; COMPUTE_PGM_RSRC2:TGID_Z_EN: 0
; COMPUTE_PGM_RSRC2:TIDIG_COMP_CNT: 0
	.section	.text._ZN7rocprim17ROCPRIM_400000_NS6detail17trampoline_kernelINS0_14default_configENS1_38merge_sort_block_merge_config_selectorIlNS0_10empty_typeEEEZZNS1_27merge_sort_block_merge_implIS3_PlPS5_mZN2at6native12_GLOBAL__N_124unique_dim_cuda_templateIbEESt5tupleIJNSA_6TensorESF_SF_EERKSF_lbbbEUlllE_EE10hipError_tT0_T1_T2_jT3_P12ihipStream_tbPNSt15iterator_traitsISL_E10value_typeEPNSR_ISM_E10value_typeEPSN_NS1_7vsmem_tEENKUlT_SL_SM_SN_E_clIS8_S8_S9_S9_EESK_S10_SL_SM_SN_EUlS10_E0_NS1_11comp_targetILNS1_3genE0ELNS1_11target_archE4294967295ELNS1_3gpuE0ELNS1_3repE0EEENS1_38merge_mergepath_config_static_selectorELNS0_4arch9wavefront6targetE0EEEvSM_,"axG",@progbits,_ZN7rocprim17ROCPRIM_400000_NS6detail17trampoline_kernelINS0_14default_configENS1_38merge_sort_block_merge_config_selectorIlNS0_10empty_typeEEEZZNS1_27merge_sort_block_merge_implIS3_PlPS5_mZN2at6native12_GLOBAL__N_124unique_dim_cuda_templateIbEESt5tupleIJNSA_6TensorESF_SF_EERKSF_lbbbEUlllE_EE10hipError_tT0_T1_T2_jT3_P12ihipStream_tbPNSt15iterator_traitsISL_E10value_typeEPNSR_ISM_E10value_typeEPSN_NS1_7vsmem_tEENKUlT_SL_SM_SN_E_clIS8_S8_S9_S9_EESK_S10_SL_SM_SN_EUlS10_E0_NS1_11comp_targetILNS1_3genE0ELNS1_11target_archE4294967295ELNS1_3gpuE0ELNS1_3repE0EEENS1_38merge_mergepath_config_static_selectorELNS0_4arch9wavefront6targetE0EEEvSM_,comdat
	.globl	_ZN7rocprim17ROCPRIM_400000_NS6detail17trampoline_kernelINS0_14default_configENS1_38merge_sort_block_merge_config_selectorIlNS0_10empty_typeEEEZZNS1_27merge_sort_block_merge_implIS3_PlPS5_mZN2at6native12_GLOBAL__N_124unique_dim_cuda_templateIbEESt5tupleIJNSA_6TensorESF_SF_EERKSF_lbbbEUlllE_EE10hipError_tT0_T1_T2_jT3_P12ihipStream_tbPNSt15iterator_traitsISL_E10value_typeEPNSR_ISM_E10value_typeEPSN_NS1_7vsmem_tEENKUlT_SL_SM_SN_E_clIS8_S8_S9_S9_EESK_S10_SL_SM_SN_EUlS10_E0_NS1_11comp_targetILNS1_3genE0ELNS1_11target_archE4294967295ELNS1_3gpuE0ELNS1_3repE0EEENS1_38merge_mergepath_config_static_selectorELNS0_4arch9wavefront6targetE0EEEvSM_ ; -- Begin function _ZN7rocprim17ROCPRIM_400000_NS6detail17trampoline_kernelINS0_14default_configENS1_38merge_sort_block_merge_config_selectorIlNS0_10empty_typeEEEZZNS1_27merge_sort_block_merge_implIS3_PlPS5_mZN2at6native12_GLOBAL__N_124unique_dim_cuda_templateIbEESt5tupleIJNSA_6TensorESF_SF_EERKSF_lbbbEUlllE_EE10hipError_tT0_T1_T2_jT3_P12ihipStream_tbPNSt15iterator_traitsISL_E10value_typeEPNSR_ISM_E10value_typeEPSN_NS1_7vsmem_tEENKUlT_SL_SM_SN_E_clIS8_S8_S9_S9_EESK_S10_SL_SM_SN_EUlS10_E0_NS1_11comp_targetILNS1_3genE0ELNS1_11target_archE4294967295ELNS1_3gpuE0ELNS1_3repE0EEENS1_38merge_mergepath_config_static_selectorELNS0_4arch9wavefront6targetE0EEEvSM_
	.p2align	8
	.type	_ZN7rocprim17ROCPRIM_400000_NS6detail17trampoline_kernelINS0_14default_configENS1_38merge_sort_block_merge_config_selectorIlNS0_10empty_typeEEEZZNS1_27merge_sort_block_merge_implIS3_PlPS5_mZN2at6native12_GLOBAL__N_124unique_dim_cuda_templateIbEESt5tupleIJNSA_6TensorESF_SF_EERKSF_lbbbEUlllE_EE10hipError_tT0_T1_T2_jT3_P12ihipStream_tbPNSt15iterator_traitsISL_E10value_typeEPNSR_ISM_E10value_typeEPSN_NS1_7vsmem_tEENKUlT_SL_SM_SN_E_clIS8_S8_S9_S9_EESK_S10_SL_SM_SN_EUlS10_E0_NS1_11comp_targetILNS1_3genE0ELNS1_11target_archE4294967295ELNS1_3gpuE0ELNS1_3repE0EEENS1_38merge_mergepath_config_static_selectorELNS0_4arch9wavefront6targetE0EEEvSM_,@function
_ZN7rocprim17ROCPRIM_400000_NS6detail17trampoline_kernelINS0_14default_configENS1_38merge_sort_block_merge_config_selectorIlNS0_10empty_typeEEEZZNS1_27merge_sort_block_merge_implIS3_PlPS5_mZN2at6native12_GLOBAL__N_124unique_dim_cuda_templateIbEESt5tupleIJNSA_6TensorESF_SF_EERKSF_lbbbEUlllE_EE10hipError_tT0_T1_T2_jT3_P12ihipStream_tbPNSt15iterator_traitsISL_E10value_typeEPNSR_ISM_E10value_typeEPSN_NS1_7vsmem_tEENKUlT_SL_SM_SN_E_clIS8_S8_S9_S9_EESK_S10_SL_SM_SN_EUlS10_E0_NS1_11comp_targetILNS1_3genE0ELNS1_11target_archE4294967295ELNS1_3gpuE0ELNS1_3repE0EEENS1_38merge_mergepath_config_static_selectorELNS0_4arch9wavefront6targetE0EEEvSM_: ; @_ZN7rocprim17ROCPRIM_400000_NS6detail17trampoline_kernelINS0_14default_configENS1_38merge_sort_block_merge_config_selectorIlNS0_10empty_typeEEEZZNS1_27merge_sort_block_merge_implIS3_PlPS5_mZN2at6native12_GLOBAL__N_124unique_dim_cuda_templateIbEESt5tupleIJNSA_6TensorESF_SF_EERKSF_lbbbEUlllE_EE10hipError_tT0_T1_T2_jT3_P12ihipStream_tbPNSt15iterator_traitsISL_E10value_typeEPNSR_ISM_E10value_typeEPSN_NS1_7vsmem_tEENKUlT_SL_SM_SN_E_clIS8_S8_S9_S9_EESK_S10_SL_SM_SN_EUlS10_E0_NS1_11comp_targetILNS1_3genE0ELNS1_11target_archE4294967295ELNS1_3gpuE0ELNS1_3repE0EEENS1_38merge_mergepath_config_static_selectorELNS0_4arch9wavefront6targetE0EEEvSM_
; %bb.0:
	.section	.rodata,"a",@progbits
	.p2align	6, 0x0
	.amdhsa_kernel _ZN7rocprim17ROCPRIM_400000_NS6detail17trampoline_kernelINS0_14default_configENS1_38merge_sort_block_merge_config_selectorIlNS0_10empty_typeEEEZZNS1_27merge_sort_block_merge_implIS3_PlPS5_mZN2at6native12_GLOBAL__N_124unique_dim_cuda_templateIbEESt5tupleIJNSA_6TensorESF_SF_EERKSF_lbbbEUlllE_EE10hipError_tT0_T1_T2_jT3_P12ihipStream_tbPNSt15iterator_traitsISL_E10value_typeEPNSR_ISM_E10value_typeEPSN_NS1_7vsmem_tEENKUlT_SL_SM_SN_E_clIS8_S8_S9_S9_EESK_S10_SL_SM_SN_EUlS10_E0_NS1_11comp_targetILNS1_3genE0ELNS1_11target_archE4294967295ELNS1_3gpuE0ELNS1_3repE0EEENS1_38merge_mergepath_config_static_selectorELNS0_4arch9wavefront6targetE0EEEvSM_
		.amdhsa_group_segment_fixed_size 0
		.amdhsa_private_segment_fixed_size 0
		.amdhsa_kernarg_size 88
		.amdhsa_user_sgpr_count 15
		.amdhsa_user_sgpr_dispatch_ptr 0
		.amdhsa_user_sgpr_queue_ptr 0
		.amdhsa_user_sgpr_kernarg_segment_ptr 1
		.amdhsa_user_sgpr_dispatch_id 0
		.amdhsa_user_sgpr_private_segment_size 0
		.amdhsa_wavefront_size32 1
		.amdhsa_uses_dynamic_stack 0
		.amdhsa_enable_private_segment 0
		.amdhsa_system_sgpr_workgroup_id_x 1
		.amdhsa_system_sgpr_workgroup_id_y 0
		.amdhsa_system_sgpr_workgroup_id_z 0
		.amdhsa_system_sgpr_workgroup_info 0
		.amdhsa_system_vgpr_workitem_id 0
		.amdhsa_next_free_vgpr 1
		.amdhsa_next_free_sgpr 1
		.amdhsa_reserve_vcc 0
		.amdhsa_float_round_mode_32 0
		.amdhsa_float_round_mode_16_64 0
		.amdhsa_float_denorm_mode_32 3
		.amdhsa_float_denorm_mode_16_64 3
		.amdhsa_dx10_clamp 1
		.amdhsa_ieee_mode 1
		.amdhsa_fp16_overflow 0
		.amdhsa_workgroup_processor_mode 1
		.amdhsa_memory_ordered 1
		.amdhsa_forward_progress 0
		.amdhsa_shared_vgpr_count 0
		.amdhsa_exception_fp_ieee_invalid_op 0
		.amdhsa_exception_fp_denorm_src 0
		.amdhsa_exception_fp_ieee_div_zero 0
		.amdhsa_exception_fp_ieee_overflow 0
		.amdhsa_exception_fp_ieee_underflow 0
		.amdhsa_exception_fp_ieee_inexact 0
		.amdhsa_exception_int_div_zero 0
	.end_amdhsa_kernel
	.section	.text._ZN7rocprim17ROCPRIM_400000_NS6detail17trampoline_kernelINS0_14default_configENS1_38merge_sort_block_merge_config_selectorIlNS0_10empty_typeEEEZZNS1_27merge_sort_block_merge_implIS3_PlPS5_mZN2at6native12_GLOBAL__N_124unique_dim_cuda_templateIbEESt5tupleIJNSA_6TensorESF_SF_EERKSF_lbbbEUlllE_EE10hipError_tT0_T1_T2_jT3_P12ihipStream_tbPNSt15iterator_traitsISL_E10value_typeEPNSR_ISM_E10value_typeEPSN_NS1_7vsmem_tEENKUlT_SL_SM_SN_E_clIS8_S8_S9_S9_EESK_S10_SL_SM_SN_EUlS10_E0_NS1_11comp_targetILNS1_3genE0ELNS1_11target_archE4294967295ELNS1_3gpuE0ELNS1_3repE0EEENS1_38merge_mergepath_config_static_selectorELNS0_4arch9wavefront6targetE0EEEvSM_,"axG",@progbits,_ZN7rocprim17ROCPRIM_400000_NS6detail17trampoline_kernelINS0_14default_configENS1_38merge_sort_block_merge_config_selectorIlNS0_10empty_typeEEEZZNS1_27merge_sort_block_merge_implIS3_PlPS5_mZN2at6native12_GLOBAL__N_124unique_dim_cuda_templateIbEESt5tupleIJNSA_6TensorESF_SF_EERKSF_lbbbEUlllE_EE10hipError_tT0_T1_T2_jT3_P12ihipStream_tbPNSt15iterator_traitsISL_E10value_typeEPNSR_ISM_E10value_typeEPSN_NS1_7vsmem_tEENKUlT_SL_SM_SN_E_clIS8_S8_S9_S9_EESK_S10_SL_SM_SN_EUlS10_E0_NS1_11comp_targetILNS1_3genE0ELNS1_11target_archE4294967295ELNS1_3gpuE0ELNS1_3repE0EEENS1_38merge_mergepath_config_static_selectorELNS0_4arch9wavefront6targetE0EEEvSM_,comdat
.Lfunc_end1010:
	.size	_ZN7rocprim17ROCPRIM_400000_NS6detail17trampoline_kernelINS0_14default_configENS1_38merge_sort_block_merge_config_selectorIlNS0_10empty_typeEEEZZNS1_27merge_sort_block_merge_implIS3_PlPS5_mZN2at6native12_GLOBAL__N_124unique_dim_cuda_templateIbEESt5tupleIJNSA_6TensorESF_SF_EERKSF_lbbbEUlllE_EE10hipError_tT0_T1_T2_jT3_P12ihipStream_tbPNSt15iterator_traitsISL_E10value_typeEPNSR_ISM_E10value_typeEPSN_NS1_7vsmem_tEENKUlT_SL_SM_SN_E_clIS8_S8_S9_S9_EESK_S10_SL_SM_SN_EUlS10_E0_NS1_11comp_targetILNS1_3genE0ELNS1_11target_archE4294967295ELNS1_3gpuE0ELNS1_3repE0EEENS1_38merge_mergepath_config_static_selectorELNS0_4arch9wavefront6targetE0EEEvSM_, .Lfunc_end1010-_ZN7rocprim17ROCPRIM_400000_NS6detail17trampoline_kernelINS0_14default_configENS1_38merge_sort_block_merge_config_selectorIlNS0_10empty_typeEEEZZNS1_27merge_sort_block_merge_implIS3_PlPS5_mZN2at6native12_GLOBAL__N_124unique_dim_cuda_templateIbEESt5tupleIJNSA_6TensorESF_SF_EERKSF_lbbbEUlllE_EE10hipError_tT0_T1_T2_jT3_P12ihipStream_tbPNSt15iterator_traitsISL_E10value_typeEPNSR_ISM_E10value_typeEPSN_NS1_7vsmem_tEENKUlT_SL_SM_SN_E_clIS8_S8_S9_S9_EESK_S10_SL_SM_SN_EUlS10_E0_NS1_11comp_targetILNS1_3genE0ELNS1_11target_archE4294967295ELNS1_3gpuE0ELNS1_3repE0EEENS1_38merge_mergepath_config_static_selectorELNS0_4arch9wavefront6targetE0EEEvSM_
                                        ; -- End function
	.section	.AMDGPU.csdata,"",@progbits
; Kernel info:
; codeLenInByte = 0
; NumSgprs: 0
; NumVgprs: 0
; ScratchSize: 0
; MemoryBound: 0
; FloatMode: 240
; IeeeMode: 1
; LDSByteSize: 0 bytes/workgroup (compile time only)
; SGPRBlocks: 0
; VGPRBlocks: 0
; NumSGPRsForWavesPerEU: 1
; NumVGPRsForWavesPerEU: 1
; Occupancy: 16
; WaveLimiterHint : 0
; COMPUTE_PGM_RSRC2:SCRATCH_EN: 0
; COMPUTE_PGM_RSRC2:USER_SGPR: 15
; COMPUTE_PGM_RSRC2:TRAP_HANDLER: 0
; COMPUTE_PGM_RSRC2:TGID_X_EN: 1
; COMPUTE_PGM_RSRC2:TGID_Y_EN: 0
; COMPUTE_PGM_RSRC2:TGID_Z_EN: 0
; COMPUTE_PGM_RSRC2:TIDIG_COMP_CNT: 0
	.section	.text._ZN7rocprim17ROCPRIM_400000_NS6detail17trampoline_kernelINS0_14default_configENS1_38merge_sort_block_merge_config_selectorIlNS0_10empty_typeEEEZZNS1_27merge_sort_block_merge_implIS3_PlPS5_mZN2at6native12_GLOBAL__N_124unique_dim_cuda_templateIbEESt5tupleIJNSA_6TensorESF_SF_EERKSF_lbbbEUlllE_EE10hipError_tT0_T1_T2_jT3_P12ihipStream_tbPNSt15iterator_traitsISL_E10value_typeEPNSR_ISM_E10value_typeEPSN_NS1_7vsmem_tEENKUlT_SL_SM_SN_E_clIS8_S8_S9_S9_EESK_S10_SL_SM_SN_EUlS10_E0_NS1_11comp_targetILNS1_3genE10ELNS1_11target_archE1201ELNS1_3gpuE5ELNS1_3repE0EEENS1_38merge_mergepath_config_static_selectorELNS0_4arch9wavefront6targetE0EEEvSM_,"axG",@progbits,_ZN7rocprim17ROCPRIM_400000_NS6detail17trampoline_kernelINS0_14default_configENS1_38merge_sort_block_merge_config_selectorIlNS0_10empty_typeEEEZZNS1_27merge_sort_block_merge_implIS3_PlPS5_mZN2at6native12_GLOBAL__N_124unique_dim_cuda_templateIbEESt5tupleIJNSA_6TensorESF_SF_EERKSF_lbbbEUlllE_EE10hipError_tT0_T1_T2_jT3_P12ihipStream_tbPNSt15iterator_traitsISL_E10value_typeEPNSR_ISM_E10value_typeEPSN_NS1_7vsmem_tEENKUlT_SL_SM_SN_E_clIS8_S8_S9_S9_EESK_S10_SL_SM_SN_EUlS10_E0_NS1_11comp_targetILNS1_3genE10ELNS1_11target_archE1201ELNS1_3gpuE5ELNS1_3repE0EEENS1_38merge_mergepath_config_static_selectorELNS0_4arch9wavefront6targetE0EEEvSM_,comdat
	.globl	_ZN7rocprim17ROCPRIM_400000_NS6detail17trampoline_kernelINS0_14default_configENS1_38merge_sort_block_merge_config_selectorIlNS0_10empty_typeEEEZZNS1_27merge_sort_block_merge_implIS3_PlPS5_mZN2at6native12_GLOBAL__N_124unique_dim_cuda_templateIbEESt5tupleIJNSA_6TensorESF_SF_EERKSF_lbbbEUlllE_EE10hipError_tT0_T1_T2_jT3_P12ihipStream_tbPNSt15iterator_traitsISL_E10value_typeEPNSR_ISM_E10value_typeEPSN_NS1_7vsmem_tEENKUlT_SL_SM_SN_E_clIS8_S8_S9_S9_EESK_S10_SL_SM_SN_EUlS10_E0_NS1_11comp_targetILNS1_3genE10ELNS1_11target_archE1201ELNS1_3gpuE5ELNS1_3repE0EEENS1_38merge_mergepath_config_static_selectorELNS0_4arch9wavefront6targetE0EEEvSM_ ; -- Begin function _ZN7rocprim17ROCPRIM_400000_NS6detail17trampoline_kernelINS0_14default_configENS1_38merge_sort_block_merge_config_selectorIlNS0_10empty_typeEEEZZNS1_27merge_sort_block_merge_implIS3_PlPS5_mZN2at6native12_GLOBAL__N_124unique_dim_cuda_templateIbEESt5tupleIJNSA_6TensorESF_SF_EERKSF_lbbbEUlllE_EE10hipError_tT0_T1_T2_jT3_P12ihipStream_tbPNSt15iterator_traitsISL_E10value_typeEPNSR_ISM_E10value_typeEPSN_NS1_7vsmem_tEENKUlT_SL_SM_SN_E_clIS8_S8_S9_S9_EESK_S10_SL_SM_SN_EUlS10_E0_NS1_11comp_targetILNS1_3genE10ELNS1_11target_archE1201ELNS1_3gpuE5ELNS1_3repE0EEENS1_38merge_mergepath_config_static_selectorELNS0_4arch9wavefront6targetE0EEEvSM_
	.p2align	8
	.type	_ZN7rocprim17ROCPRIM_400000_NS6detail17trampoline_kernelINS0_14default_configENS1_38merge_sort_block_merge_config_selectorIlNS0_10empty_typeEEEZZNS1_27merge_sort_block_merge_implIS3_PlPS5_mZN2at6native12_GLOBAL__N_124unique_dim_cuda_templateIbEESt5tupleIJNSA_6TensorESF_SF_EERKSF_lbbbEUlllE_EE10hipError_tT0_T1_T2_jT3_P12ihipStream_tbPNSt15iterator_traitsISL_E10value_typeEPNSR_ISM_E10value_typeEPSN_NS1_7vsmem_tEENKUlT_SL_SM_SN_E_clIS8_S8_S9_S9_EESK_S10_SL_SM_SN_EUlS10_E0_NS1_11comp_targetILNS1_3genE10ELNS1_11target_archE1201ELNS1_3gpuE5ELNS1_3repE0EEENS1_38merge_mergepath_config_static_selectorELNS0_4arch9wavefront6targetE0EEEvSM_,@function
_ZN7rocprim17ROCPRIM_400000_NS6detail17trampoline_kernelINS0_14default_configENS1_38merge_sort_block_merge_config_selectorIlNS0_10empty_typeEEEZZNS1_27merge_sort_block_merge_implIS3_PlPS5_mZN2at6native12_GLOBAL__N_124unique_dim_cuda_templateIbEESt5tupleIJNSA_6TensorESF_SF_EERKSF_lbbbEUlllE_EE10hipError_tT0_T1_T2_jT3_P12ihipStream_tbPNSt15iterator_traitsISL_E10value_typeEPNSR_ISM_E10value_typeEPSN_NS1_7vsmem_tEENKUlT_SL_SM_SN_E_clIS8_S8_S9_S9_EESK_S10_SL_SM_SN_EUlS10_E0_NS1_11comp_targetILNS1_3genE10ELNS1_11target_archE1201ELNS1_3gpuE5ELNS1_3repE0EEENS1_38merge_mergepath_config_static_selectorELNS0_4arch9wavefront6targetE0EEEvSM_: ; @_ZN7rocprim17ROCPRIM_400000_NS6detail17trampoline_kernelINS0_14default_configENS1_38merge_sort_block_merge_config_selectorIlNS0_10empty_typeEEEZZNS1_27merge_sort_block_merge_implIS3_PlPS5_mZN2at6native12_GLOBAL__N_124unique_dim_cuda_templateIbEESt5tupleIJNSA_6TensorESF_SF_EERKSF_lbbbEUlllE_EE10hipError_tT0_T1_T2_jT3_P12ihipStream_tbPNSt15iterator_traitsISL_E10value_typeEPNSR_ISM_E10value_typeEPSN_NS1_7vsmem_tEENKUlT_SL_SM_SN_E_clIS8_S8_S9_S9_EESK_S10_SL_SM_SN_EUlS10_E0_NS1_11comp_targetILNS1_3genE10ELNS1_11target_archE1201ELNS1_3gpuE5ELNS1_3repE0EEENS1_38merge_mergepath_config_static_selectorELNS0_4arch9wavefront6targetE0EEEvSM_
; %bb.0:
	.section	.rodata,"a",@progbits
	.p2align	6, 0x0
	.amdhsa_kernel _ZN7rocprim17ROCPRIM_400000_NS6detail17trampoline_kernelINS0_14default_configENS1_38merge_sort_block_merge_config_selectorIlNS0_10empty_typeEEEZZNS1_27merge_sort_block_merge_implIS3_PlPS5_mZN2at6native12_GLOBAL__N_124unique_dim_cuda_templateIbEESt5tupleIJNSA_6TensorESF_SF_EERKSF_lbbbEUlllE_EE10hipError_tT0_T1_T2_jT3_P12ihipStream_tbPNSt15iterator_traitsISL_E10value_typeEPNSR_ISM_E10value_typeEPSN_NS1_7vsmem_tEENKUlT_SL_SM_SN_E_clIS8_S8_S9_S9_EESK_S10_SL_SM_SN_EUlS10_E0_NS1_11comp_targetILNS1_3genE10ELNS1_11target_archE1201ELNS1_3gpuE5ELNS1_3repE0EEENS1_38merge_mergepath_config_static_selectorELNS0_4arch9wavefront6targetE0EEEvSM_
		.amdhsa_group_segment_fixed_size 0
		.amdhsa_private_segment_fixed_size 0
		.amdhsa_kernarg_size 88
		.amdhsa_user_sgpr_count 15
		.amdhsa_user_sgpr_dispatch_ptr 0
		.amdhsa_user_sgpr_queue_ptr 0
		.amdhsa_user_sgpr_kernarg_segment_ptr 1
		.amdhsa_user_sgpr_dispatch_id 0
		.amdhsa_user_sgpr_private_segment_size 0
		.amdhsa_wavefront_size32 1
		.amdhsa_uses_dynamic_stack 0
		.amdhsa_enable_private_segment 0
		.amdhsa_system_sgpr_workgroup_id_x 1
		.amdhsa_system_sgpr_workgroup_id_y 0
		.amdhsa_system_sgpr_workgroup_id_z 0
		.amdhsa_system_sgpr_workgroup_info 0
		.amdhsa_system_vgpr_workitem_id 0
		.amdhsa_next_free_vgpr 1
		.amdhsa_next_free_sgpr 1
		.amdhsa_reserve_vcc 0
		.amdhsa_float_round_mode_32 0
		.amdhsa_float_round_mode_16_64 0
		.amdhsa_float_denorm_mode_32 3
		.amdhsa_float_denorm_mode_16_64 3
		.amdhsa_dx10_clamp 1
		.amdhsa_ieee_mode 1
		.amdhsa_fp16_overflow 0
		.amdhsa_workgroup_processor_mode 1
		.amdhsa_memory_ordered 1
		.amdhsa_forward_progress 0
		.amdhsa_shared_vgpr_count 0
		.amdhsa_exception_fp_ieee_invalid_op 0
		.amdhsa_exception_fp_denorm_src 0
		.amdhsa_exception_fp_ieee_div_zero 0
		.amdhsa_exception_fp_ieee_overflow 0
		.amdhsa_exception_fp_ieee_underflow 0
		.amdhsa_exception_fp_ieee_inexact 0
		.amdhsa_exception_int_div_zero 0
	.end_amdhsa_kernel
	.section	.text._ZN7rocprim17ROCPRIM_400000_NS6detail17trampoline_kernelINS0_14default_configENS1_38merge_sort_block_merge_config_selectorIlNS0_10empty_typeEEEZZNS1_27merge_sort_block_merge_implIS3_PlPS5_mZN2at6native12_GLOBAL__N_124unique_dim_cuda_templateIbEESt5tupleIJNSA_6TensorESF_SF_EERKSF_lbbbEUlllE_EE10hipError_tT0_T1_T2_jT3_P12ihipStream_tbPNSt15iterator_traitsISL_E10value_typeEPNSR_ISM_E10value_typeEPSN_NS1_7vsmem_tEENKUlT_SL_SM_SN_E_clIS8_S8_S9_S9_EESK_S10_SL_SM_SN_EUlS10_E0_NS1_11comp_targetILNS1_3genE10ELNS1_11target_archE1201ELNS1_3gpuE5ELNS1_3repE0EEENS1_38merge_mergepath_config_static_selectorELNS0_4arch9wavefront6targetE0EEEvSM_,"axG",@progbits,_ZN7rocprim17ROCPRIM_400000_NS6detail17trampoline_kernelINS0_14default_configENS1_38merge_sort_block_merge_config_selectorIlNS0_10empty_typeEEEZZNS1_27merge_sort_block_merge_implIS3_PlPS5_mZN2at6native12_GLOBAL__N_124unique_dim_cuda_templateIbEESt5tupleIJNSA_6TensorESF_SF_EERKSF_lbbbEUlllE_EE10hipError_tT0_T1_T2_jT3_P12ihipStream_tbPNSt15iterator_traitsISL_E10value_typeEPNSR_ISM_E10value_typeEPSN_NS1_7vsmem_tEENKUlT_SL_SM_SN_E_clIS8_S8_S9_S9_EESK_S10_SL_SM_SN_EUlS10_E0_NS1_11comp_targetILNS1_3genE10ELNS1_11target_archE1201ELNS1_3gpuE5ELNS1_3repE0EEENS1_38merge_mergepath_config_static_selectorELNS0_4arch9wavefront6targetE0EEEvSM_,comdat
.Lfunc_end1011:
	.size	_ZN7rocprim17ROCPRIM_400000_NS6detail17trampoline_kernelINS0_14default_configENS1_38merge_sort_block_merge_config_selectorIlNS0_10empty_typeEEEZZNS1_27merge_sort_block_merge_implIS3_PlPS5_mZN2at6native12_GLOBAL__N_124unique_dim_cuda_templateIbEESt5tupleIJNSA_6TensorESF_SF_EERKSF_lbbbEUlllE_EE10hipError_tT0_T1_T2_jT3_P12ihipStream_tbPNSt15iterator_traitsISL_E10value_typeEPNSR_ISM_E10value_typeEPSN_NS1_7vsmem_tEENKUlT_SL_SM_SN_E_clIS8_S8_S9_S9_EESK_S10_SL_SM_SN_EUlS10_E0_NS1_11comp_targetILNS1_3genE10ELNS1_11target_archE1201ELNS1_3gpuE5ELNS1_3repE0EEENS1_38merge_mergepath_config_static_selectorELNS0_4arch9wavefront6targetE0EEEvSM_, .Lfunc_end1011-_ZN7rocprim17ROCPRIM_400000_NS6detail17trampoline_kernelINS0_14default_configENS1_38merge_sort_block_merge_config_selectorIlNS0_10empty_typeEEEZZNS1_27merge_sort_block_merge_implIS3_PlPS5_mZN2at6native12_GLOBAL__N_124unique_dim_cuda_templateIbEESt5tupleIJNSA_6TensorESF_SF_EERKSF_lbbbEUlllE_EE10hipError_tT0_T1_T2_jT3_P12ihipStream_tbPNSt15iterator_traitsISL_E10value_typeEPNSR_ISM_E10value_typeEPSN_NS1_7vsmem_tEENKUlT_SL_SM_SN_E_clIS8_S8_S9_S9_EESK_S10_SL_SM_SN_EUlS10_E0_NS1_11comp_targetILNS1_3genE10ELNS1_11target_archE1201ELNS1_3gpuE5ELNS1_3repE0EEENS1_38merge_mergepath_config_static_selectorELNS0_4arch9wavefront6targetE0EEEvSM_
                                        ; -- End function
	.section	.AMDGPU.csdata,"",@progbits
; Kernel info:
; codeLenInByte = 0
; NumSgprs: 0
; NumVgprs: 0
; ScratchSize: 0
; MemoryBound: 0
; FloatMode: 240
; IeeeMode: 1
; LDSByteSize: 0 bytes/workgroup (compile time only)
; SGPRBlocks: 0
; VGPRBlocks: 0
; NumSGPRsForWavesPerEU: 1
; NumVGPRsForWavesPerEU: 1
; Occupancy: 16
; WaveLimiterHint : 0
; COMPUTE_PGM_RSRC2:SCRATCH_EN: 0
; COMPUTE_PGM_RSRC2:USER_SGPR: 15
; COMPUTE_PGM_RSRC2:TRAP_HANDLER: 0
; COMPUTE_PGM_RSRC2:TGID_X_EN: 1
; COMPUTE_PGM_RSRC2:TGID_Y_EN: 0
; COMPUTE_PGM_RSRC2:TGID_Z_EN: 0
; COMPUTE_PGM_RSRC2:TIDIG_COMP_CNT: 0
	.section	.text._ZN7rocprim17ROCPRIM_400000_NS6detail17trampoline_kernelINS0_14default_configENS1_38merge_sort_block_merge_config_selectorIlNS0_10empty_typeEEEZZNS1_27merge_sort_block_merge_implIS3_PlPS5_mZN2at6native12_GLOBAL__N_124unique_dim_cuda_templateIbEESt5tupleIJNSA_6TensorESF_SF_EERKSF_lbbbEUlllE_EE10hipError_tT0_T1_T2_jT3_P12ihipStream_tbPNSt15iterator_traitsISL_E10value_typeEPNSR_ISM_E10value_typeEPSN_NS1_7vsmem_tEENKUlT_SL_SM_SN_E_clIS8_S8_S9_S9_EESK_S10_SL_SM_SN_EUlS10_E0_NS1_11comp_targetILNS1_3genE5ELNS1_11target_archE942ELNS1_3gpuE9ELNS1_3repE0EEENS1_38merge_mergepath_config_static_selectorELNS0_4arch9wavefront6targetE0EEEvSM_,"axG",@progbits,_ZN7rocprim17ROCPRIM_400000_NS6detail17trampoline_kernelINS0_14default_configENS1_38merge_sort_block_merge_config_selectorIlNS0_10empty_typeEEEZZNS1_27merge_sort_block_merge_implIS3_PlPS5_mZN2at6native12_GLOBAL__N_124unique_dim_cuda_templateIbEESt5tupleIJNSA_6TensorESF_SF_EERKSF_lbbbEUlllE_EE10hipError_tT0_T1_T2_jT3_P12ihipStream_tbPNSt15iterator_traitsISL_E10value_typeEPNSR_ISM_E10value_typeEPSN_NS1_7vsmem_tEENKUlT_SL_SM_SN_E_clIS8_S8_S9_S9_EESK_S10_SL_SM_SN_EUlS10_E0_NS1_11comp_targetILNS1_3genE5ELNS1_11target_archE942ELNS1_3gpuE9ELNS1_3repE0EEENS1_38merge_mergepath_config_static_selectorELNS0_4arch9wavefront6targetE0EEEvSM_,comdat
	.globl	_ZN7rocprim17ROCPRIM_400000_NS6detail17trampoline_kernelINS0_14default_configENS1_38merge_sort_block_merge_config_selectorIlNS0_10empty_typeEEEZZNS1_27merge_sort_block_merge_implIS3_PlPS5_mZN2at6native12_GLOBAL__N_124unique_dim_cuda_templateIbEESt5tupleIJNSA_6TensorESF_SF_EERKSF_lbbbEUlllE_EE10hipError_tT0_T1_T2_jT3_P12ihipStream_tbPNSt15iterator_traitsISL_E10value_typeEPNSR_ISM_E10value_typeEPSN_NS1_7vsmem_tEENKUlT_SL_SM_SN_E_clIS8_S8_S9_S9_EESK_S10_SL_SM_SN_EUlS10_E0_NS1_11comp_targetILNS1_3genE5ELNS1_11target_archE942ELNS1_3gpuE9ELNS1_3repE0EEENS1_38merge_mergepath_config_static_selectorELNS0_4arch9wavefront6targetE0EEEvSM_ ; -- Begin function _ZN7rocprim17ROCPRIM_400000_NS6detail17trampoline_kernelINS0_14default_configENS1_38merge_sort_block_merge_config_selectorIlNS0_10empty_typeEEEZZNS1_27merge_sort_block_merge_implIS3_PlPS5_mZN2at6native12_GLOBAL__N_124unique_dim_cuda_templateIbEESt5tupleIJNSA_6TensorESF_SF_EERKSF_lbbbEUlllE_EE10hipError_tT0_T1_T2_jT3_P12ihipStream_tbPNSt15iterator_traitsISL_E10value_typeEPNSR_ISM_E10value_typeEPSN_NS1_7vsmem_tEENKUlT_SL_SM_SN_E_clIS8_S8_S9_S9_EESK_S10_SL_SM_SN_EUlS10_E0_NS1_11comp_targetILNS1_3genE5ELNS1_11target_archE942ELNS1_3gpuE9ELNS1_3repE0EEENS1_38merge_mergepath_config_static_selectorELNS0_4arch9wavefront6targetE0EEEvSM_
	.p2align	8
	.type	_ZN7rocprim17ROCPRIM_400000_NS6detail17trampoline_kernelINS0_14default_configENS1_38merge_sort_block_merge_config_selectorIlNS0_10empty_typeEEEZZNS1_27merge_sort_block_merge_implIS3_PlPS5_mZN2at6native12_GLOBAL__N_124unique_dim_cuda_templateIbEESt5tupleIJNSA_6TensorESF_SF_EERKSF_lbbbEUlllE_EE10hipError_tT0_T1_T2_jT3_P12ihipStream_tbPNSt15iterator_traitsISL_E10value_typeEPNSR_ISM_E10value_typeEPSN_NS1_7vsmem_tEENKUlT_SL_SM_SN_E_clIS8_S8_S9_S9_EESK_S10_SL_SM_SN_EUlS10_E0_NS1_11comp_targetILNS1_3genE5ELNS1_11target_archE942ELNS1_3gpuE9ELNS1_3repE0EEENS1_38merge_mergepath_config_static_selectorELNS0_4arch9wavefront6targetE0EEEvSM_,@function
_ZN7rocprim17ROCPRIM_400000_NS6detail17trampoline_kernelINS0_14default_configENS1_38merge_sort_block_merge_config_selectorIlNS0_10empty_typeEEEZZNS1_27merge_sort_block_merge_implIS3_PlPS5_mZN2at6native12_GLOBAL__N_124unique_dim_cuda_templateIbEESt5tupleIJNSA_6TensorESF_SF_EERKSF_lbbbEUlllE_EE10hipError_tT0_T1_T2_jT3_P12ihipStream_tbPNSt15iterator_traitsISL_E10value_typeEPNSR_ISM_E10value_typeEPSN_NS1_7vsmem_tEENKUlT_SL_SM_SN_E_clIS8_S8_S9_S9_EESK_S10_SL_SM_SN_EUlS10_E0_NS1_11comp_targetILNS1_3genE5ELNS1_11target_archE942ELNS1_3gpuE9ELNS1_3repE0EEENS1_38merge_mergepath_config_static_selectorELNS0_4arch9wavefront6targetE0EEEvSM_: ; @_ZN7rocprim17ROCPRIM_400000_NS6detail17trampoline_kernelINS0_14default_configENS1_38merge_sort_block_merge_config_selectorIlNS0_10empty_typeEEEZZNS1_27merge_sort_block_merge_implIS3_PlPS5_mZN2at6native12_GLOBAL__N_124unique_dim_cuda_templateIbEESt5tupleIJNSA_6TensorESF_SF_EERKSF_lbbbEUlllE_EE10hipError_tT0_T1_T2_jT3_P12ihipStream_tbPNSt15iterator_traitsISL_E10value_typeEPNSR_ISM_E10value_typeEPSN_NS1_7vsmem_tEENKUlT_SL_SM_SN_E_clIS8_S8_S9_S9_EESK_S10_SL_SM_SN_EUlS10_E0_NS1_11comp_targetILNS1_3genE5ELNS1_11target_archE942ELNS1_3gpuE9ELNS1_3repE0EEENS1_38merge_mergepath_config_static_selectorELNS0_4arch9wavefront6targetE0EEEvSM_
; %bb.0:
	.section	.rodata,"a",@progbits
	.p2align	6, 0x0
	.amdhsa_kernel _ZN7rocprim17ROCPRIM_400000_NS6detail17trampoline_kernelINS0_14default_configENS1_38merge_sort_block_merge_config_selectorIlNS0_10empty_typeEEEZZNS1_27merge_sort_block_merge_implIS3_PlPS5_mZN2at6native12_GLOBAL__N_124unique_dim_cuda_templateIbEESt5tupleIJNSA_6TensorESF_SF_EERKSF_lbbbEUlllE_EE10hipError_tT0_T1_T2_jT3_P12ihipStream_tbPNSt15iterator_traitsISL_E10value_typeEPNSR_ISM_E10value_typeEPSN_NS1_7vsmem_tEENKUlT_SL_SM_SN_E_clIS8_S8_S9_S9_EESK_S10_SL_SM_SN_EUlS10_E0_NS1_11comp_targetILNS1_3genE5ELNS1_11target_archE942ELNS1_3gpuE9ELNS1_3repE0EEENS1_38merge_mergepath_config_static_selectorELNS0_4arch9wavefront6targetE0EEEvSM_
		.amdhsa_group_segment_fixed_size 0
		.amdhsa_private_segment_fixed_size 0
		.amdhsa_kernarg_size 88
		.amdhsa_user_sgpr_count 15
		.amdhsa_user_sgpr_dispatch_ptr 0
		.amdhsa_user_sgpr_queue_ptr 0
		.amdhsa_user_sgpr_kernarg_segment_ptr 1
		.amdhsa_user_sgpr_dispatch_id 0
		.amdhsa_user_sgpr_private_segment_size 0
		.amdhsa_wavefront_size32 1
		.amdhsa_uses_dynamic_stack 0
		.amdhsa_enable_private_segment 0
		.amdhsa_system_sgpr_workgroup_id_x 1
		.amdhsa_system_sgpr_workgroup_id_y 0
		.amdhsa_system_sgpr_workgroup_id_z 0
		.amdhsa_system_sgpr_workgroup_info 0
		.amdhsa_system_vgpr_workitem_id 0
		.amdhsa_next_free_vgpr 1
		.amdhsa_next_free_sgpr 1
		.amdhsa_reserve_vcc 0
		.amdhsa_float_round_mode_32 0
		.amdhsa_float_round_mode_16_64 0
		.amdhsa_float_denorm_mode_32 3
		.amdhsa_float_denorm_mode_16_64 3
		.amdhsa_dx10_clamp 1
		.amdhsa_ieee_mode 1
		.amdhsa_fp16_overflow 0
		.amdhsa_workgroup_processor_mode 1
		.amdhsa_memory_ordered 1
		.amdhsa_forward_progress 0
		.amdhsa_shared_vgpr_count 0
		.amdhsa_exception_fp_ieee_invalid_op 0
		.amdhsa_exception_fp_denorm_src 0
		.amdhsa_exception_fp_ieee_div_zero 0
		.amdhsa_exception_fp_ieee_overflow 0
		.amdhsa_exception_fp_ieee_underflow 0
		.amdhsa_exception_fp_ieee_inexact 0
		.amdhsa_exception_int_div_zero 0
	.end_amdhsa_kernel
	.section	.text._ZN7rocprim17ROCPRIM_400000_NS6detail17trampoline_kernelINS0_14default_configENS1_38merge_sort_block_merge_config_selectorIlNS0_10empty_typeEEEZZNS1_27merge_sort_block_merge_implIS3_PlPS5_mZN2at6native12_GLOBAL__N_124unique_dim_cuda_templateIbEESt5tupleIJNSA_6TensorESF_SF_EERKSF_lbbbEUlllE_EE10hipError_tT0_T1_T2_jT3_P12ihipStream_tbPNSt15iterator_traitsISL_E10value_typeEPNSR_ISM_E10value_typeEPSN_NS1_7vsmem_tEENKUlT_SL_SM_SN_E_clIS8_S8_S9_S9_EESK_S10_SL_SM_SN_EUlS10_E0_NS1_11comp_targetILNS1_3genE5ELNS1_11target_archE942ELNS1_3gpuE9ELNS1_3repE0EEENS1_38merge_mergepath_config_static_selectorELNS0_4arch9wavefront6targetE0EEEvSM_,"axG",@progbits,_ZN7rocprim17ROCPRIM_400000_NS6detail17trampoline_kernelINS0_14default_configENS1_38merge_sort_block_merge_config_selectorIlNS0_10empty_typeEEEZZNS1_27merge_sort_block_merge_implIS3_PlPS5_mZN2at6native12_GLOBAL__N_124unique_dim_cuda_templateIbEESt5tupleIJNSA_6TensorESF_SF_EERKSF_lbbbEUlllE_EE10hipError_tT0_T1_T2_jT3_P12ihipStream_tbPNSt15iterator_traitsISL_E10value_typeEPNSR_ISM_E10value_typeEPSN_NS1_7vsmem_tEENKUlT_SL_SM_SN_E_clIS8_S8_S9_S9_EESK_S10_SL_SM_SN_EUlS10_E0_NS1_11comp_targetILNS1_3genE5ELNS1_11target_archE942ELNS1_3gpuE9ELNS1_3repE0EEENS1_38merge_mergepath_config_static_selectorELNS0_4arch9wavefront6targetE0EEEvSM_,comdat
.Lfunc_end1012:
	.size	_ZN7rocprim17ROCPRIM_400000_NS6detail17trampoline_kernelINS0_14default_configENS1_38merge_sort_block_merge_config_selectorIlNS0_10empty_typeEEEZZNS1_27merge_sort_block_merge_implIS3_PlPS5_mZN2at6native12_GLOBAL__N_124unique_dim_cuda_templateIbEESt5tupleIJNSA_6TensorESF_SF_EERKSF_lbbbEUlllE_EE10hipError_tT0_T1_T2_jT3_P12ihipStream_tbPNSt15iterator_traitsISL_E10value_typeEPNSR_ISM_E10value_typeEPSN_NS1_7vsmem_tEENKUlT_SL_SM_SN_E_clIS8_S8_S9_S9_EESK_S10_SL_SM_SN_EUlS10_E0_NS1_11comp_targetILNS1_3genE5ELNS1_11target_archE942ELNS1_3gpuE9ELNS1_3repE0EEENS1_38merge_mergepath_config_static_selectorELNS0_4arch9wavefront6targetE0EEEvSM_, .Lfunc_end1012-_ZN7rocprim17ROCPRIM_400000_NS6detail17trampoline_kernelINS0_14default_configENS1_38merge_sort_block_merge_config_selectorIlNS0_10empty_typeEEEZZNS1_27merge_sort_block_merge_implIS3_PlPS5_mZN2at6native12_GLOBAL__N_124unique_dim_cuda_templateIbEESt5tupleIJNSA_6TensorESF_SF_EERKSF_lbbbEUlllE_EE10hipError_tT0_T1_T2_jT3_P12ihipStream_tbPNSt15iterator_traitsISL_E10value_typeEPNSR_ISM_E10value_typeEPSN_NS1_7vsmem_tEENKUlT_SL_SM_SN_E_clIS8_S8_S9_S9_EESK_S10_SL_SM_SN_EUlS10_E0_NS1_11comp_targetILNS1_3genE5ELNS1_11target_archE942ELNS1_3gpuE9ELNS1_3repE0EEENS1_38merge_mergepath_config_static_selectorELNS0_4arch9wavefront6targetE0EEEvSM_
                                        ; -- End function
	.section	.AMDGPU.csdata,"",@progbits
; Kernel info:
; codeLenInByte = 0
; NumSgprs: 0
; NumVgprs: 0
; ScratchSize: 0
; MemoryBound: 0
; FloatMode: 240
; IeeeMode: 1
; LDSByteSize: 0 bytes/workgroup (compile time only)
; SGPRBlocks: 0
; VGPRBlocks: 0
; NumSGPRsForWavesPerEU: 1
; NumVGPRsForWavesPerEU: 1
; Occupancy: 16
; WaveLimiterHint : 0
; COMPUTE_PGM_RSRC2:SCRATCH_EN: 0
; COMPUTE_PGM_RSRC2:USER_SGPR: 15
; COMPUTE_PGM_RSRC2:TRAP_HANDLER: 0
; COMPUTE_PGM_RSRC2:TGID_X_EN: 1
; COMPUTE_PGM_RSRC2:TGID_Y_EN: 0
; COMPUTE_PGM_RSRC2:TGID_Z_EN: 0
; COMPUTE_PGM_RSRC2:TIDIG_COMP_CNT: 0
	.section	.text._ZN7rocprim17ROCPRIM_400000_NS6detail17trampoline_kernelINS0_14default_configENS1_38merge_sort_block_merge_config_selectorIlNS0_10empty_typeEEEZZNS1_27merge_sort_block_merge_implIS3_PlPS5_mZN2at6native12_GLOBAL__N_124unique_dim_cuda_templateIbEESt5tupleIJNSA_6TensorESF_SF_EERKSF_lbbbEUlllE_EE10hipError_tT0_T1_T2_jT3_P12ihipStream_tbPNSt15iterator_traitsISL_E10value_typeEPNSR_ISM_E10value_typeEPSN_NS1_7vsmem_tEENKUlT_SL_SM_SN_E_clIS8_S8_S9_S9_EESK_S10_SL_SM_SN_EUlS10_E0_NS1_11comp_targetILNS1_3genE4ELNS1_11target_archE910ELNS1_3gpuE8ELNS1_3repE0EEENS1_38merge_mergepath_config_static_selectorELNS0_4arch9wavefront6targetE0EEEvSM_,"axG",@progbits,_ZN7rocprim17ROCPRIM_400000_NS6detail17trampoline_kernelINS0_14default_configENS1_38merge_sort_block_merge_config_selectorIlNS0_10empty_typeEEEZZNS1_27merge_sort_block_merge_implIS3_PlPS5_mZN2at6native12_GLOBAL__N_124unique_dim_cuda_templateIbEESt5tupleIJNSA_6TensorESF_SF_EERKSF_lbbbEUlllE_EE10hipError_tT0_T1_T2_jT3_P12ihipStream_tbPNSt15iterator_traitsISL_E10value_typeEPNSR_ISM_E10value_typeEPSN_NS1_7vsmem_tEENKUlT_SL_SM_SN_E_clIS8_S8_S9_S9_EESK_S10_SL_SM_SN_EUlS10_E0_NS1_11comp_targetILNS1_3genE4ELNS1_11target_archE910ELNS1_3gpuE8ELNS1_3repE0EEENS1_38merge_mergepath_config_static_selectorELNS0_4arch9wavefront6targetE0EEEvSM_,comdat
	.globl	_ZN7rocprim17ROCPRIM_400000_NS6detail17trampoline_kernelINS0_14default_configENS1_38merge_sort_block_merge_config_selectorIlNS0_10empty_typeEEEZZNS1_27merge_sort_block_merge_implIS3_PlPS5_mZN2at6native12_GLOBAL__N_124unique_dim_cuda_templateIbEESt5tupleIJNSA_6TensorESF_SF_EERKSF_lbbbEUlllE_EE10hipError_tT0_T1_T2_jT3_P12ihipStream_tbPNSt15iterator_traitsISL_E10value_typeEPNSR_ISM_E10value_typeEPSN_NS1_7vsmem_tEENKUlT_SL_SM_SN_E_clIS8_S8_S9_S9_EESK_S10_SL_SM_SN_EUlS10_E0_NS1_11comp_targetILNS1_3genE4ELNS1_11target_archE910ELNS1_3gpuE8ELNS1_3repE0EEENS1_38merge_mergepath_config_static_selectorELNS0_4arch9wavefront6targetE0EEEvSM_ ; -- Begin function _ZN7rocprim17ROCPRIM_400000_NS6detail17trampoline_kernelINS0_14default_configENS1_38merge_sort_block_merge_config_selectorIlNS0_10empty_typeEEEZZNS1_27merge_sort_block_merge_implIS3_PlPS5_mZN2at6native12_GLOBAL__N_124unique_dim_cuda_templateIbEESt5tupleIJNSA_6TensorESF_SF_EERKSF_lbbbEUlllE_EE10hipError_tT0_T1_T2_jT3_P12ihipStream_tbPNSt15iterator_traitsISL_E10value_typeEPNSR_ISM_E10value_typeEPSN_NS1_7vsmem_tEENKUlT_SL_SM_SN_E_clIS8_S8_S9_S9_EESK_S10_SL_SM_SN_EUlS10_E0_NS1_11comp_targetILNS1_3genE4ELNS1_11target_archE910ELNS1_3gpuE8ELNS1_3repE0EEENS1_38merge_mergepath_config_static_selectorELNS0_4arch9wavefront6targetE0EEEvSM_
	.p2align	8
	.type	_ZN7rocprim17ROCPRIM_400000_NS6detail17trampoline_kernelINS0_14default_configENS1_38merge_sort_block_merge_config_selectorIlNS0_10empty_typeEEEZZNS1_27merge_sort_block_merge_implIS3_PlPS5_mZN2at6native12_GLOBAL__N_124unique_dim_cuda_templateIbEESt5tupleIJNSA_6TensorESF_SF_EERKSF_lbbbEUlllE_EE10hipError_tT0_T1_T2_jT3_P12ihipStream_tbPNSt15iterator_traitsISL_E10value_typeEPNSR_ISM_E10value_typeEPSN_NS1_7vsmem_tEENKUlT_SL_SM_SN_E_clIS8_S8_S9_S9_EESK_S10_SL_SM_SN_EUlS10_E0_NS1_11comp_targetILNS1_3genE4ELNS1_11target_archE910ELNS1_3gpuE8ELNS1_3repE0EEENS1_38merge_mergepath_config_static_selectorELNS0_4arch9wavefront6targetE0EEEvSM_,@function
_ZN7rocprim17ROCPRIM_400000_NS6detail17trampoline_kernelINS0_14default_configENS1_38merge_sort_block_merge_config_selectorIlNS0_10empty_typeEEEZZNS1_27merge_sort_block_merge_implIS3_PlPS5_mZN2at6native12_GLOBAL__N_124unique_dim_cuda_templateIbEESt5tupleIJNSA_6TensorESF_SF_EERKSF_lbbbEUlllE_EE10hipError_tT0_T1_T2_jT3_P12ihipStream_tbPNSt15iterator_traitsISL_E10value_typeEPNSR_ISM_E10value_typeEPSN_NS1_7vsmem_tEENKUlT_SL_SM_SN_E_clIS8_S8_S9_S9_EESK_S10_SL_SM_SN_EUlS10_E0_NS1_11comp_targetILNS1_3genE4ELNS1_11target_archE910ELNS1_3gpuE8ELNS1_3repE0EEENS1_38merge_mergepath_config_static_selectorELNS0_4arch9wavefront6targetE0EEEvSM_: ; @_ZN7rocprim17ROCPRIM_400000_NS6detail17trampoline_kernelINS0_14default_configENS1_38merge_sort_block_merge_config_selectorIlNS0_10empty_typeEEEZZNS1_27merge_sort_block_merge_implIS3_PlPS5_mZN2at6native12_GLOBAL__N_124unique_dim_cuda_templateIbEESt5tupleIJNSA_6TensorESF_SF_EERKSF_lbbbEUlllE_EE10hipError_tT0_T1_T2_jT3_P12ihipStream_tbPNSt15iterator_traitsISL_E10value_typeEPNSR_ISM_E10value_typeEPSN_NS1_7vsmem_tEENKUlT_SL_SM_SN_E_clIS8_S8_S9_S9_EESK_S10_SL_SM_SN_EUlS10_E0_NS1_11comp_targetILNS1_3genE4ELNS1_11target_archE910ELNS1_3gpuE8ELNS1_3repE0EEENS1_38merge_mergepath_config_static_selectorELNS0_4arch9wavefront6targetE0EEEvSM_
; %bb.0:
	.section	.rodata,"a",@progbits
	.p2align	6, 0x0
	.amdhsa_kernel _ZN7rocprim17ROCPRIM_400000_NS6detail17trampoline_kernelINS0_14default_configENS1_38merge_sort_block_merge_config_selectorIlNS0_10empty_typeEEEZZNS1_27merge_sort_block_merge_implIS3_PlPS5_mZN2at6native12_GLOBAL__N_124unique_dim_cuda_templateIbEESt5tupleIJNSA_6TensorESF_SF_EERKSF_lbbbEUlllE_EE10hipError_tT0_T1_T2_jT3_P12ihipStream_tbPNSt15iterator_traitsISL_E10value_typeEPNSR_ISM_E10value_typeEPSN_NS1_7vsmem_tEENKUlT_SL_SM_SN_E_clIS8_S8_S9_S9_EESK_S10_SL_SM_SN_EUlS10_E0_NS1_11comp_targetILNS1_3genE4ELNS1_11target_archE910ELNS1_3gpuE8ELNS1_3repE0EEENS1_38merge_mergepath_config_static_selectorELNS0_4arch9wavefront6targetE0EEEvSM_
		.amdhsa_group_segment_fixed_size 0
		.amdhsa_private_segment_fixed_size 0
		.amdhsa_kernarg_size 88
		.amdhsa_user_sgpr_count 15
		.amdhsa_user_sgpr_dispatch_ptr 0
		.amdhsa_user_sgpr_queue_ptr 0
		.amdhsa_user_sgpr_kernarg_segment_ptr 1
		.amdhsa_user_sgpr_dispatch_id 0
		.amdhsa_user_sgpr_private_segment_size 0
		.amdhsa_wavefront_size32 1
		.amdhsa_uses_dynamic_stack 0
		.amdhsa_enable_private_segment 0
		.amdhsa_system_sgpr_workgroup_id_x 1
		.amdhsa_system_sgpr_workgroup_id_y 0
		.amdhsa_system_sgpr_workgroup_id_z 0
		.amdhsa_system_sgpr_workgroup_info 0
		.amdhsa_system_vgpr_workitem_id 0
		.amdhsa_next_free_vgpr 1
		.amdhsa_next_free_sgpr 1
		.amdhsa_reserve_vcc 0
		.amdhsa_float_round_mode_32 0
		.amdhsa_float_round_mode_16_64 0
		.amdhsa_float_denorm_mode_32 3
		.amdhsa_float_denorm_mode_16_64 3
		.amdhsa_dx10_clamp 1
		.amdhsa_ieee_mode 1
		.amdhsa_fp16_overflow 0
		.amdhsa_workgroup_processor_mode 1
		.amdhsa_memory_ordered 1
		.amdhsa_forward_progress 0
		.amdhsa_shared_vgpr_count 0
		.amdhsa_exception_fp_ieee_invalid_op 0
		.amdhsa_exception_fp_denorm_src 0
		.amdhsa_exception_fp_ieee_div_zero 0
		.amdhsa_exception_fp_ieee_overflow 0
		.amdhsa_exception_fp_ieee_underflow 0
		.amdhsa_exception_fp_ieee_inexact 0
		.amdhsa_exception_int_div_zero 0
	.end_amdhsa_kernel
	.section	.text._ZN7rocprim17ROCPRIM_400000_NS6detail17trampoline_kernelINS0_14default_configENS1_38merge_sort_block_merge_config_selectorIlNS0_10empty_typeEEEZZNS1_27merge_sort_block_merge_implIS3_PlPS5_mZN2at6native12_GLOBAL__N_124unique_dim_cuda_templateIbEESt5tupleIJNSA_6TensorESF_SF_EERKSF_lbbbEUlllE_EE10hipError_tT0_T1_T2_jT3_P12ihipStream_tbPNSt15iterator_traitsISL_E10value_typeEPNSR_ISM_E10value_typeEPSN_NS1_7vsmem_tEENKUlT_SL_SM_SN_E_clIS8_S8_S9_S9_EESK_S10_SL_SM_SN_EUlS10_E0_NS1_11comp_targetILNS1_3genE4ELNS1_11target_archE910ELNS1_3gpuE8ELNS1_3repE0EEENS1_38merge_mergepath_config_static_selectorELNS0_4arch9wavefront6targetE0EEEvSM_,"axG",@progbits,_ZN7rocprim17ROCPRIM_400000_NS6detail17trampoline_kernelINS0_14default_configENS1_38merge_sort_block_merge_config_selectorIlNS0_10empty_typeEEEZZNS1_27merge_sort_block_merge_implIS3_PlPS5_mZN2at6native12_GLOBAL__N_124unique_dim_cuda_templateIbEESt5tupleIJNSA_6TensorESF_SF_EERKSF_lbbbEUlllE_EE10hipError_tT0_T1_T2_jT3_P12ihipStream_tbPNSt15iterator_traitsISL_E10value_typeEPNSR_ISM_E10value_typeEPSN_NS1_7vsmem_tEENKUlT_SL_SM_SN_E_clIS8_S8_S9_S9_EESK_S10_SL_SM_SN_EUlS10_E0_NS1_11comp_targetILNS1_3genE4ELNS1_11target_archE910ELNS1_3gpuE8ELNS1_3repE0EEENS1_38merge_mergepath_config_static_selectorELNS0_4arch9wavefront6targetE0EEEvSM_,comdat
.Lfunc_end1013:
	.size	_ZN7rocprim17ROCPRIM_400000_NS6detail17trampoline_kernelINS0_14default_configENS1_38merge_sort_block_merge_config_selectorIlNS0_10empty_typeEEEZZNS1_27merge_sort_block_merge_implIS3_PlPS5_mZN2at6native12_GLOBAL__N_124unique_dim_cuda_templateIbEESt5tupleIJNSA_6TensorESF_SF_EERKSF_lbbbEUlllE_EE10hipError_tT0_T1_T2_jT3_P12ihipStream_tbPNSt15iterator_traitsISL_E10value_typeEPNSR_ISM_E10value_typeEPSN_NS1_7vsmem_tEENKUlT_SL_SM_SN_E_clIS8_S8_S9_S9_EESK_S10_SL_SM_SN_EUlS10_E0_NS1_11comp_targetILNS1_3genE4ELNS1_11target_archE910ELNS1_3gpuE8ELNS1_3repE0EEENS1_38merge_mergepath_config_static_selectorELNS0_4arch9wavefront6targetE0EEEvSM_, .Lfunc_end1013-_ZN7rocprim17ROCPRIM_400000_NS6detail17trampoline_kernelINS0_14default_configENS1_38merge_sort_block_merge_config_selectorIlNS0_10empty_typeEEEZZNS1_27merge_sort_block_merge_implIS3_PlPS5_mZN2at6native12_GLOBAL__N_124unique_dim_cuda_templateIbEESt5tupleIJNSA_6TensorESF_SF_EERKSF_lbbbEUlllE_EE10hipError_tT0_T1_T2_jT3_P12ihipStream_tbPNSt15iterator_traitsISL_E10value_typeEPNSR_ISM_E10value_typeEPSN_NS1_7vsmem_tEENKUlT_SL_SM_SN_E_clIS8_S8_S9_S9_EESK_S10_SL_SM_SN_EUlS10_E0_NS1_11comp_targetILNS1_3genE4ELNS1_11target_archE910ELNS1_3gpuE8ELNS1_3repE0EEENS1_38merge_mergepath_config_static_selectorELNS0_4arch9wavefront6targetE0EEEvSM_
                                        ; -- End function
	.section	.AMDGPU.csdata,"",@progbits
; Kernel info:
; codeLenInByte = 0
; NumSgprs: 0
; NumVgprs: 0
; ScratchSize: 0
; MemoryBound: 0
; FloatMode: 240
; IeeeMode: 1
; LDSByteSize: 0 bytes/workgroup (compile time only)
; SGPRBlocks: 0
; VGPRBlocks: 0
; NumSGPRsForWavesPerEU: 1
; NumVGPRsForWavesPerEU: 1
; Occupancy: 16
; WaveLimiterHint : 0
; COMPUTE_PGM_RSRC2:SCRATCH_EN: 0
; COMPUTE_PGM_RSRC2:USER_SGPR: 15
; COMPUTE_PGM_RSRC2:TRAP_HANDLER: 0
; COMPUTE_PGM_RSRC2:TGID_X_EN: 1
; COMPUTE_PGM_RSRC2:TGID_Y_EN: 0
; COMPUTE_PGM_RSRC2:TGID_Z_EN: 0
; COMPUTE_PGM_RSRC2:TIDIG_COMP_CNT: 0
	.section	.text._ZN7rocprim17ROCPRIM_400000_NS6detail17trampoline_kernelINS0_14default_configENS1_38merge_sort_block_merge_config_selectorIlNS0_10empty_typeEEEZZNS1_27merge_sort_block_merge_implIS3_PlPS5_mZN2at6native12_GLOBAL__N_124unique_dim_cuda_templateIbEESt5tupleIJNSA_6TensorESF_SF_EERKSF_lbbbEUlllE_EE10hipError_tT0_T1_T2_jT3_P12ihipStream_tbPNSt15iterator_traitsISL_E10value_typeEPNSR_ISM_E10value_typeEPSN_NS1_7vsmem_tEENKUlT_SL_SM_SN_E_clIS8_S8_S9_S9_EESK_S10_SL_SM_SN_EUlS10_E0_NS1_11comp_targetILNS1_3genE3ELNS1_11target_archE908ELNS1_3gpuE7ELNS1_3repE0EEENS1_38merge_mergepath_config_static_selectorELNS0_4arch9wavefront6targetE0EEEvSM_,"axG",@progbits,_ZN7rocprim17ROCPRIM_400000_NS6detail17trampoline_kernelINS0_14default_configENS1_38merge_sort_block_merge_config_selectorIlNS0_10empty_typeEEEZZNS1_27merge_sort_block_merge_implIS3_PlPS5_mZN2at6native12_GLOBAL__N_124unique_dim_cuda_templateIbEESt5tupleIJNSA_6TensorESF_SF_EERKSF_lbbbEUlllE_EE10hipError_tT0_T1_T2_jT3_P12ihipStream_tbPNSt15iterator_traitsISL_E10value_typeEPNSR_ISM_E10value_typeEPSN_NS1_7vsmem_tEENKUlT_SL_SM_SN_E_clIS8_S8_S9_S9_EESK_S10_SL_SM_SN_EUlS10_E0_NS1_11comp_targetILNS1_3genE3ELNS1_11target_archE908ELNS1_3gpuE7ELNS1_3repE0EEENS1_38merge_mergepath_config_static_selectorELNS0_4arch9wavefront6targetE0EEEvSM_,comdat
	.globl	_ZN7rocprim17ROCPRIM_400000_NS6detail17trampoline_kernelINS0_14default_configENS1_38merge_sort_block_merge_config_selectorIlNS0_10empty_typeEEEZZNS1_27merge_sort_block_merge_implIS3_PlPS5_mZN2at6native12_GLOBAL__N_124unique_dim_cuda_templateIbEESt5tupleIJNSA_6TensorESF_SF_EERKSF_lbbbEUlllE_EE10hipError_tT0_T1_T2_jT3_P12ihipStream_tbPNSt15iterator_traitsISL_E10value_typeEPNSR_ISM_E10value_typeEPSN_NS1_7vsmem_tEENKUlT_SL_SM_SN_E_clIS8_S8_S9_S9_EESK_S10_SL_SM_SN_EUlS10_E0_NS1_11comp_targetILNS1_3genE3ELNS1_11target_archE908ELNS1_3gpuE7ELNS1_3repE0EEENS1_38merge_mergepath_config_static_selectorELNS0_4arch9wavefront6targetE0EEEvSM_ ; -- Begin function _ZN7rocprim17ROCPRIM_400000_NS6detail17trampoline_kernelINS0_14default_configENS1_38merge_sort_block_merge_config_selectorIlNS0_10empty_typeEEEZZNS1_27merge_sort_block_merge_implIS3_PlPS5_mZN2at6native12_GLOBAL__N_124unique_dim_cuda_templateIbEESt5tupleIJNSA_6TensorESF_SF_EERKSF_lbbbEUlllE_EE10hipError_tT0_T1_T2_jT3_P12ihipStream_tbPNSt15iterator_traitsISL_E10value_typeEPNSR_ISM_E10value_typeEPSN_NS1_7vsmem_tEENKUlT_SL_SM_SN_E_clIS8_S8_S9_S9_EESK_S10_SL_SM_SN_EUlS10_E0_NS1_11comp_targetILNS1_3genE3ELNS1_11target_archE908ELNS1_3gpuE7ELNS1_3repE0EEENS1_38merge_mergepath_config_static_selectorELNS0_4arch9wavefront6targetE0EEEvSM_
	.p2align	8
	.type	_ZN7rocprim17ROCPRIM_400000_NS6detail17trampoline_kernelINS0_14default_configENS1_38merge_sort_block_merge_config_selectorIlNS0_10empty_typeEEEZZNS1_27merge_sort_block_merge_implIS3_PlPS5_mZN2at6native12_GLOBAL__N_124unique_dim_cuda_templateIbEESt5tupleIJNSA_6TensorESF_SF_EERKSF_lbbbEUlllE_EE10hipError_tT0_T1_T2_jT3_P12ihipStream_tbPNSt15iterator_traitsISL_E10value_typeEPNSR_ISM_E10value_typeEPSN_NS1_7vsmem_tEENKUlT_SL_SM_SN_E_clIS8_S8_S9_S9_EESK_S10_SL_SM_SN_EUlS10_E0_NS1_11comp_targetILNS1_3genE3ELNS1_11target_archE908ELNS1_3gpuE7ELNS1_3repE0EEENS1_38merge_mergepath_config_static_selectorELNS0_4arch9wavefront6targetE0EEEvSM_,@function
_ZN7rocprim17ROCPRIM_400000_NS6detail17trampoline_kernelINS0_14default_configENS1_38merge_sort_block_merge_config_selectorIlNS0_10empty_typeEEEZZNS1_27merge_sort_block_merge_implIS3_PlPS5_mZN2at6native12_GLOBAL__N_124unique_dim_cuda_templateIbEESt5tupleIJNSA_6TensorESF_SF_EERKSF_lbbbEUlllE_EE10hipError_tT0_T1_T2_jT3_P12ihipStream_tbPNSt15iterator_traitsISL_E10value_typeEPNSR_ISM_E10value_typeEPSN_NS1_7vsmem_tEENKUlT_SL_SM_SN_E_clIS8_S8_S9_S9_EESK_S10_SL_SM_SN_EUlS10_E0_NS1_11comp_targetILNS1_3genE3ELNS1_11target_archE908ELNS1_3gpuE7ELNS1_3repE0EEENS1_38merge_mergepath_config_static_selectorELNS0_4arch9wavefront6targetE0EEEvSM_: ; @_ZN7rocprim17ROCPRIM_400000_NS6detail17trampoline_kernelINS0_14default_configENS1_38merge_sort_block_merge_config_selectorIlNS0_10empty_typeEEEZZNS1_27merge_sort_block_merge_implIS3_PlPS5_mZN2at6native12_GLOBAL__N_124unique_dim_cuda_templateIbEESt5tupleIJNSA_6TensorESF_SF_EERKSF_lbbbEUlllE_EE10hipError_tT0_T1_T2_jT3_P12ihipStream_tbPNSt15iterator_traitsISL_E10value_typeEPNSR_ISM_E10value_typeEPSN_NS1_7vsmem_tEENKUlT_SL_SM_SN_E_clIS8_S8_S9_S9_EESK_S10_SL_SM_SN_EUlS10_E0_NS1_11comp_targetILNS1_3genE3ELNS1_11target_archE908ELNS1_3gpuE7ELNS1_3repE0EEENS1_38merge_mergepath_config_static_selectorELNS0_4arch9wavefront6targetE0EEEvSM_
; %bb.0:
	.section	.rodata,"a",@progbits
	.p2align	6, 0x0
	.amdhsa_kernel _ZN7rocprim17ROCPRIM_400000_NS6detail17trampoline_kernelINS0_14default_configENS1_38merge_sort_block_merge_config_selectorIlNS0_10empty_typeEEEZZNS1_27merge_sort_block_merge_implIS3_PlPS5_mZN2at6native12_GLOBAL__N_124unique_dim_cuda_templateIbEESt5tupleIJNSA_6TensorESF_SF_EERKSF_lbbbEUlllE_EE10hipError_tT0_T1_T2_jT3_P12ihipStream_tbPNSt15iterator_traitsISL_E10value_typeEPNSR_ISM_E10value_typeEPSN_NS1_7vsmem_tEENKUlT_SL_SM_SN_E_clIS8_S8_S9_S9_EESK_S10_SL_SM_SN_EUlS10_E0_NS1_11comp_targetILNS1_3genE3ELNS1_11target_archE908ELNS1_3gpuE7ELNS1_3repE0EEENS1_38merge_mergepath_config_static_selectorELNS0_4arch9wavefront6targetE0EEEvSM_
		.amdhsa_group_segment_fixed_size 0
		.amdhsa_private_segment_fixed_size 0
		.amdhsa_kernarg_size 88
		.amdhsa_user_sgpr_count 15
		.amdhsa_user_sgpr_dispatch_ptr 0
		.amdhsa_user_sgpr_queue_ptr 0
		.amdhsa_user_sgpr_kernarg_segment_ptr 1
		.amdhsa_user_sgpr_dispatch_id 0
		.amdhsa_user_sgpr_private_segment_size 0
		.amdhsa_wavefront_size32 1
		.amdhsa_uses_dynamic_stack 0
		.amdhsa_enable_private_segment 0
		.amdhsa_system_sgpr_workgroup_id_x 1
		.amdhsa_system_sgpr_workgroup_id_y 0
		.amdhsa_system_sgpr_workgroup_id_z 0
		.amdhsa_system_sgpr_workgroup_info 0
		.amdhsa_system_vgpr_workitem_id 0
		.amdhsa_next_free_vgpr 1
		.amdhsa_next_free_sgpr 1
		.amdhsa_reserve_vcc 0
		.amdhsa_float_round_mode_32 0
		.amdhsa_float_round_mode_16_64 0
		.amdhsa_float_denorm_mode_32 3
		.amdhsa_float_denorm_mode_16_64 3
		.amdhsa_dx10_clamp 1
		.amdhsa_ieee_mode 1
		.amdhsa_fp16_overflow 0
		.amdhsa_workgroup_processor_mode 1
		.amdhsa_memory_ordered 1
		.amdhsa_forward_progress 0
		.amdhsa_shared_vgpr_count 0
		.amdhsa_exception_fp_ieee_invalid_op 0
		.amdhsa_exception_fp_denorm_src 0
		.amdhsa_exception_fp_ieee_div_zero 0
		.amdhsa_exception_fp_ieee_overflow 0
		.amdhsa_exception_fp_ieee_underflow 0
		.amdhsa_exception_fp_ieee_inexact 0
		.amdhsa_exception_int_div_zero 0
	.end_amdhsa_kernel
	.section	.text._ZN7rocprim17ROCPRIM_400000_NS6detail17trampoline_kernelINS0_14default_configENS1_38merge_sort_block_merge_config_selectorIlNS0_10empty_typeEEEZZNS1_27merge_sort_block_merge_implIS3_PlPS5_mZN2at6native12_GLOBAL__N_124unique_dim_cuda_templateIbEESt5tupleIJNSA_6TensorESF_SF_EERKSF_lbbbEUlllE_EE10hipError_tT0_T1_T2_jT3_P12ihipStream_tbPNSt15iterator_traitsISL_E10value_typeEPNSR_ISM_E10value_typeEPSN_NS1_7vsmem_tEENKUlT_SL_SM_SN_E_clIS8_S8_S9_S9_EESK_S10_SL_SM_SN_EUlS10_E0_NS1_11comp_targetILNS1_3genE3ELNS1_11target_archE908ELNS1_3gpuE7ELNS1_3repE0EEENS1_38merge_mergepath_config_static_selectorELNS0_4arch9wavefront6targetE0EEEvSM_,"axG",@progbits,_ZN7rocprim17ROCPRIM_400000_NS6detail17trampoline_kernelINS0_14default_configENS1_38merge_sort_block_merge_config_selectorIlNS0_10empty_typeEEEZZNS1_27merge_sort_block_merge_implIS3_PlPS5_mZN2at6native12_GLOBAL__N_124unique_dim_cuda_templateIbEESt5tupleIJNSA_6TensorESF_SF_EERKSF_lbbbEUlllE_EE10hipError_tT0_T1_T2_jT3_P12ihipStream_tbPNSt15iterator_traitsISL_E10value_typeEPNSR_ISM_E10value_typeEPSN_NS1_7vsmem_tEENKUlT_SL_SM_SN_E_clIS8_S8_S9_S9_EESK_S10_SL_SM_SN_EUlS10_E0_NS1_11comp_targetILNS1_3genE3ELNS1_11target_archE908ELNS1_3gpuE7ELNS1_3repE0EEENS1_38merge_mergepath_config_static_selectorELNS0_4arch9wavefront6targetE0EEEvSM_,comdat
.Lfunc_end1014:
	.size	_ZN7rocprim17ROCPRIM_400000_NS6detail17trampoline_kernelINS0_14default_configENS1_38merge_sort_block_merge_config_selectorIlNS0_10empty_typeEEEZZNS1_27merge_sort_block_merge_implIS3_PlPS5_mZN2at6native12_GLOBAL__N_124unique_dim_cuda_templateIbEESt5tupleIJNSA_6TensorESF_SF_EERKSF_lbbbEUlllE_EE10hipError_tT0_T1_T2_jT3_P12ihipStream_tbPNSt15iterator_traitsISL_E10value_typeEPNSR_ISM_E10value_typeEPSN_NS1_7vsmem_tEENKUlT_SL_SM_SN_E_clIS8_S8_S9_S9_EESK_S10_SL_SM_SN_EUlS10_E0_NS1_11comp_targetILNS1_3genE3ELNS1_11target_archE908ELNS1_3gpuE7ELNS1_3repE0EEENS1_38merge_mergepath_config_static_selectorELNS0_4arch9wavefront6targetE0EEEvSM_, .Lfunc_end1014-_ZN7rocprim17ROCPRIM_400000_NS6detail17trampoline_kernelINS0_14default_configENS1_38merge_sort_block_merge_config_selectorIlNS0_10empty_typeEEEZZNS1_27merge_sort_block_merge_implIS3_PlPS5_mZN2at6native12_GLOBAL__N_124unique_dim_cuda_templateIbEESt5tupleIJNSA_6TensorESF_SF_EERKSF_lbbbEUlllE_EE10hipError_tT0_T1_T2_jT3_P12ihipStream_tbPNSt15iterator_traitsISL_E10value_typeEPNSR_ISM_E10value_typeEPSN_NS1_7vsmem_tEENKUlT_SL_SM_SN_E_clIS8_S8_S9_S9_EESK_S10_SL_SM_SN_EUlS10_E0_NS1_11comp_targetILNS1_3genE3ELNS1_11target_archE908ELNS1_3gpuE7ELNS1_3repE0EEENS1_38merge_mergepath_config_static_selectorELNS0_4arch9wavefront6targetE0EEEvSM_
                                        ; -- End function
	.section	.AMDGPU.csdata,"",@progbits
; Kernel info:
; codeLenInByte = 0
; NumSgprs: 0
; NumVgprs: 0
; ScratchSize: 0
; MemoryBound: 0
; FloatMode: 240
; IeeeMode: 1
; LDSByteSize: 0 bytes/workgroup (compile time only)
; SGPRBlocks: 0
; VGPRBlocks: 0
; NumSGPRsForWavesPerEU: 1
; NumVGPRsForWavesPerEU: 1
; Occupancy: 16
; WaveLimiterHint : 0
; COMPUTE_PGM_RSRC2:SCRATCH_EN: 0
; COMPUTE_PGM_RSRC2:USER_SGPR: 15
; COMPUTE_PGM_RSRC2:TRAP_HANDLER: 0
; COMPUTE_PGM_RSRC2:TGID_X_EN: 1
; COMPUTE_PGM_RSRC2:TGID_Y_EN: 0
; COMPUTE_PGM_RSRC2:TGID_Z_EN: 0
; COMPUTE_PGM_RSRC2:TIDIG_COMP_CNT: 0
	.section	.text._ZN7rocprim17ROCPRIM_400000_NS6detail17trampoline_kernelINS0_14default_configENS1_38merge_sort_block_merge_config_selectorIlNS0_10empty_typeEEEZZNS1_27merge_sort_block_merge_implIS3_PlPS5_mZN2at6native12_GLOBAL__N_124unique_dim_cuda_templateIbEESt5tupleIJNSA_6TensorESF_SF_EERKSF_lbbbEUlllE_EE10hipError_tT0_T1_T2_jT3_P12ihipStream_tbPNSt15iterator_traitsISL_E10value_typeEPNSR_ISM_E10value_typeEPSN_NS1_7vsmem_tEENKUlT_SL_SM_SN_E_clIS8_S8_S9_S9_EESK_S10_SL_SM_SN_EUlS10_E0_NS1_11comp_targetILNS1_3genE2ELNS1_11target_archE906ELNS1_3gpuE6ELNS1_3repE0EEENS1_38merge_mergepath_config_static_selectorELNS0_4arch9wavefront6targetE0EEEvSM_,"axG",@progbits,_ZN7rocprim17ROCPRIM_400000_NS6detail17trampoline_kernelINS0_14default_configENS1_38merge_sort_block_merge_config_selectorIlNS0_10empty_typeEEEZZNS1_27merge_sort_block_merge_implIS3_PlPS5_mZN2at6native12_GLOBAL__N_124unique_dim_cuda_templateIbEESt5tupleIJNSA_6TensorESF_SF_EERKSF_lbbbEUlllE_EE10hipError_tT0_T1_T2_jT3_P12ihipStream_tbPNSt15iterator_traitsISL_E10value_typeEPNSR_ISM_E10value_typeEPSN_NS1_7vsmem_tEENKUlT_SL_SM_SN_E_clIS8_S8_S9_S9_EESK_S10_SL_SM_SN_EUlS10_E0_NS1_11comp_targetILNS1_3genE2ELNS1_11target_archE906ELNS1_3gpuE6ELNS1_3repE0EEENS1_38merge_mergepath_config_static_selectorELNS0_4arch9wavefront6targetE0EEEvSM_,comdat
	.globl	_ZN7rocprim17ROCPRIM_400000_NS6detail17trampoline_kernelINS0_14default_configENS1_38merge_sort_block_merge_config_selectorIlNS0_10empty_typeEEEZZNS1_27merge_sort_block_merge_implIS3_PlPS5_mZN2at6native12_GLOBAL__N_124unique_dim_cuda_templateIbEESt5tupleIJNSA_6TensorESF_SF_EERKSF_lbbbEUlllE_EE10hipError_tT0_T1_T2_jT3_P12ihipStream_tbPNSt15iterator_traitsISL_E10value_typeEPNSR_ISM_E10value_typeEPSN_NS1_7vsmem_tEENKUlT_SL_SM_SN_E_clIS8_S8_S9_S9_EESK_S10_SL_SM_SN_EUlS10_E0_NS1_11comp_targetILNS1_3genE2ELNS1_11target_archE906ELNS1_3gpuE6ELNS1_3repE0EEENS1_38merge_mergepath_config_static_selectorELNS0_4arch9wavefront6targetE0EEEvSM_ ; -- Begin function _ZN7rocprim17ROCPRIM_400000_NS6detail17trampoline_kernelINS0_14default_configENS1_38merge_sort_block_merge_config_selectorIlNS0_10empty_typeEEEZZNS1_27merge_sort_block_merge_implIS3_PlPS5_mZN2at6native12_GLOBAL__N_124unique_dim_cuda_templateIbEESt5tupleIJNSA_6TensorESF_SF_EERKSF_lbbbEUlllE_EE10hipError_tT0_T1_T2_jT3_P12ihipStream_tbPNSt15iterator_traitsISL_E10value_typeEPNSR_ISM_E10value_typeEPSN_NS1_7vsmem_tEENKUlT_SL_SM_SN_E_clIS8_S8_S9_S9_EESK_S10_SL_SM_SN_EUlS10_E0_NS1_11comp_targetILNS1_3genE2ELNS1_11target_archE906ELNS1_3gpuE6ELNS1_3repE0EEENS1_38merge_mergepath_config_static_selectorELNS0_4arch9wavefront6targetE0EEEvSM_
	.p2align	8
	.type	_ZN7rocprim17ROCPRIM_400000_NS6detail17trampoline_kernelINS0_14default_configENS1_38merge_sort_block_merge_config_selectorIlNS0_10empty_typeEEEZZNS1_27merge_sort_block_merge_implIS3_PlPS5_mZN2at6native12_GLOBAL__N_124unique_dim_cuda_templateIbEESt5tupleIJNSA_6TensorESF_SF_EERKSF_lbbbEUlllE_EE10hipError_tT0_T1_T2_jT3_P12ihipStream_tbPNSt15iterator_traitsISL_E10value_typeEPNSR_ISM_E10value_typeEPSN_NS1_7vsmem_tEENKUlT_SL_SM_SN_E_clIS8_S8_S9_S9_EESK_S10_SL_SM_SN_EUlS10_E0_NS1_11comp_targetILNS1_3genE2ELNS1_11target_archE906ELNS1_3gpuE6ELNS1_3repE0EEENS1_38merge_mergepath_config_static_selectorELNS0_4arch9wavefront6targetE0EEEvSM_,@function
_ZN7rocprim17ROCPRIM_400000_NS6detail17trampoline_kernelINS0_14default_configENS1_38merge_sort_block_merge_config_selectorIlNS0_10empty_typeEEEZZNS1_27merge_sort_block_merge_implIS3_PlPS5_mZN2at6native12_GLOBAL__N_124unique_dim_cuda_templateIbEESt5tupleIJNSA_6TensorESF_SF_EERKSF_lbbbEUlllE_EE10hipError_tT0_T1_T2_jT3_P12ihipStream_tbPNSt15iterator_traitsISL_E10value_typeEPNSR_ISM_E10value_typeEPSN_NS1_7vsmem_tEENKUlT_SL_SM_SN_E_clIS8_S8_S9_S9_EESK_S10_SL_SM_SN_EUlS10_E0_NS1_11comp_targetILNS1_3genE2ELNS1_11target_archE906ELNS1_3gpuE6ELNS1_3repE0EEENS1_38merge_mergepath_config_static_selectorELNS0_4arch9wavefront6targetE0EEEvSM_: ; @_ZN7rocprim17ROCPRIM_400000_NS6detail17trampoline_kernelINS0_14default_configENS1_38merge_sort_block_merge_config_selectorIlNS0_10empty_typeEEEZZNS1_27merge_sort_block_merge_implIS3_PlPS5_mZN2at6native12_GLOBAL__N_124unique_dim_cuda_templateIbEESt5tupleIJNSA_6TensorESF_SF_EERKSF_lbbbEUlllE_EE10hipError_tT0_T1_T2_jT3_P12ihipStream_tbPNSt15iterator_traitsISL_E10value_typeEPNSR_ISM_E10value_typeEPSN_NS1_7vsmem_tEENKUlT_SL_SM_SN_E_clIS8_S8_S9_S9_EESK_S10_SL_SM_SN_EUlS10_E0_NS1_11comp_targetILNS1_3genE2ELNS1_11target_archE906ELNS1_3gpuE6ELNS1_3repE0EEENS1_38merge_mergepath_config_static_selectorELNS0_4arch9wavefront6targetE0EEEvSM_
; %bb.0:
	.section	.rodata,"a",@progbits
	.p2align	6, 0x0
	.amdhsa_kernel _ZN7rocprim17ROCPRIM_400000_NS6detail17trampoline_kernelINS0_14default_configENS1_38merge_sort_block_merge_config_selectorIlNS0_10empty_typeEEEZZNS1_27merge_sort_block_merge_implIS3_PlPS5_mZN2at6native12_GLOBAL__N_124unique_dim_cuda_templateIbEESt5tupleIJNSA_6TensorESF_SF_EERKSF_lbbbEUlllE_EE10hipError_tT0_T1_T2_jT3_P12ihipStream_tbPNSt15iterator_traitsISL_E10value_typeEPNSR_ISM_E10value_typeEPSN_NS1_7vsmem_tEENKUlT_SL_SM_SN_E_clIS8_S8_S9_S9_EESK_S10_SL_SM_SN_EUlS10_E0_NS1_11comp_targetILNS1_3genE2ELNS1_11target_archE906ELNS1_3gpuE6ELNS1_3repE0EEENS1_38merge_mergepath_config_static_selectorELNS0_4arch9wavefront6targetE0EEEvSM_
		.amdhsa_group_segment_fixed_size 0
		.amdhsa_private_segment_fixed_size 0
		.amdhsa_kernarg_size 88
		.amdhsa_user_sgpr_count 15
		.amdhsa_user_sgpr_dispatch_ptr 0
		.amdhsa_user_sgpr_queue_ptr 0
		.amdhsa_user_sgpr_kernarg_segment_ptr 1
		.amdhsa_user_sgpr_dispatch_id 0
		.amdhsa_user_sgpr_private_segment_size 0
		.amdhsa_wavefront_size32 1
		.amdhsa_uses_dynamic_stack 0
		.amdhsa_enable_private_segment 0
		.amdhsa_system_sgpr_workgroup_id_x 1
		.amdhsa_system_sgpr_workgroup_id_y 0
		.amdhsa_system_sgpr_workgroup_id_z 0
		.amdhsa_system_sgpr_workgroup_info 0
		.amdhsa_system_vgpr_workitem_id 0
		.amdhsa_next_free_vgpr 1
		.amdhsa_next_free_sgpr 1
		.amdhsa_reserve_vcc 0
		.amdhsa_float_round_mode_32 0
		.amdhsa_float_round_mode_16_64 0
		.amdhsa_float_denorm_mode_32 3
		.amdhsa_float_denorm_mode_16_64 3
		.amdhsa_dx10_clamp 1
		.amdhsa_ieee_mode 1
		.amdhsa_fp16_overflow 0
		.amdhsa_workgroup_processor_mode 1
		.amdhsa_memory_ordered 1
		.amdhsa_forward_progress 0
		.amdhsa_shared_vgpr_count 0
		.amdhsa_exception_fp_ieee_invalid_op 0
		.amdhsa_exception_fp_denorm_src 0
		.amdhsa_exception_fp_ieee_div_zero 0
		.amdhsa_exception_fp_ieee_overflow 0
		.amdhsa_exception_fp_ieee_underflow 0
		.amdhsa_exception_fp_ieee_inexact 0
		.amdhsa_exception_int_div_zero 0
	.end_amdhsa_kernel
	.section	.text._ZN7rocprim17ROCPRIM_400000_NS6detail17trampoline_kernelINS0_14default_configENS1_38merge_sort_block_merge_config_selectorIlNS0_10empty_typeEEEZZNS1_27merge_sort_block_merge_implIS3_PlPS5_mZN2at6native12_GLOBAL__N_124unique_dim_cuda_templateIbEESt5tupleIJNSA_6TensorESF_SF_EERKSF_lbbbEUlllE_EE10hipError_tT0_T1_T2_jT3_P12ihipStream_tbPNSt15iterator_traitsISL_E10value_typeEPNSR_ISM_E10value_typeEPSN_NS1_7vsmem_tEENKUlT_SL_SM_SN_E_clIS8_S8_S9_S9_EESK_S10_SL_SM_SN_EUlS10_E0_NS1_11comp_targetILNS1_3genE2ELNS1_11target_archE906ELNS1_3gpuE6ELNS1_3repE0EEENS1_38merge_mergepath_config_static_selectorELNS0_4arch9wavefront6targetE0EEEvSM_,"axG",@progbits,_ZN7rocprim17ROCPRIM_400000_NS6detail17trampoline_kernelINS0_14default_configENS1_38merge_sort_block_merge_config_selectorIlNS0_10empty_typeEEEZZNS1_27merge_sort_block_merge_implIS3_PlPS5_mZN2at6native12_GLOBAL__N_124unique_dim_cuda_templateIbEESt5tupleIJNSA_6TensorESF_SF_EERKSF_lbbbEUlllE_EE10hipError_tT0_T1_T2_jT3_P12ihipStream_tbPNSt15iterator_traitsISL_E10value_typeEPNSR_ISM_E10value_typeEPSN_NS1_7vsmem_tEENKUlT_SL_SM_SN_E_clIS8_S8_S9_S9_EESK_S10_SL_SM_SN_EUlS10_E0_NS1_11comp_targetILNS1_3genE2ELNS1_11target_archE906ELNS1_3gpuE6ELNS1_3repE0EEENS1_38merge_mergepath_config_static_selectorELNS0_4arch9wavefront6targetE0EEEvSM_,comdat
.Lfunc_end1015:
	.size	_ZN7rocprim17ROCPRIM_400000_NS6detail17trampoline_kernelINS0_14default_configENS1_38merge_sort_block_merge_config_selectorIlNS0_10empty_typeEEEZZNS1_27merge_sort_block_merge_implIS3_PlPS5_mZN2at6native12_GLOBAL__N_124unique_dim_cuda_templateIbEESt5tupleIJNSA_6TensorESF_SF_EERKSF_lbbbEUlllE_EE10hipError_tT0_T1_T2_jT3_P12ihipStream_tbPNSt15iterator_traitsISL_E10value_typeEPNSR_ISM_E10value_typeEPSN_NS1_7vsmem_tEENKUlT_SL_SM_SN_E_clIS8_S8_S9_S9_EESK_S10_SL_SM_SN_EUlS10_E0_NS1_11comp_targetILNS1_3genE2ELNS1_11target_archE906ELNS1_3gpuE6ELNS1_3repE0EEENS1_38merge_mergepath_config_static_selectorELNS0_4arch9wavefront6targetE0EEEvSM_, .Lfunc_end1015-_ZN7rocprim17ROCPRIM_400000_NS6detail17trampoline_kernelINS0_14default_configENS1_38merge_sort_block_merge_config_selectorIlNS0_10empty_typeEEEZZNS1_27merge_sort_block_merge_implIS3_PlPS5_mZN2at6native12_GLOBAL__N_124unique_dim_cuda_templateIbEESt5tupleIJNSA_6TensorESF_SF_EERKSF_lbbbEUlllE_EE10hipError_tT0_T1_T2_jT3_P12ihipStream_tbPNSt15iterator_traitsISL_E10value_typeEPNSR_ISM_E10value_typeEPSN_NS1_7vsmem_tEENKUlT_SL_SM_SN_E_clIS8_S8_S9_S9_EESK_S10_SL_SM_SN_EUlS10_E0_NS1_11comp_targetILNS1_3genE2ELNS1_11target_archE906ELNS1_3gpuE6ELNS1_3repE0EEENS1_38merge_mergepath_config_static_selectorELNS0_4arch9wavefront6targetE0EEEvSM_
                                        ; -- End function
	.section	.AMDGPU.csdata,"",@progbits
; Kernel info:
; codeLenInByte = 0
; NumSgprs: 0
; NumVgprs: 0
; ScratchSize: 0
; MemoryBound: 0
; FloatMode: 240
; IeeeMode: 1
; LDSByteSize: 0 bytes/workgroup (compile time only)
; SGPRBlocks: 0
; VGPRBlocks: 0
; NumSGPRsForWavesPerEU: 1
; NumVGPRsForWavesPerEU: 1
; Occupancy: 16
; WaveLimiterHint : 0
; COMPUTE_PGM_RSRC2:SCRATCH_EN: 0
; COMPUTE_PGM_RSRC2:USER_SGPR: 15
; COMPUTE_PGM_RSRC2:TRAP_HANDLER: 0
; COMPUTE_PGM_RSRC2:TGID_X_EN: 1
; COMPUTE_PGM_RSRC2:TGID_Y_EN: 0
; COMPUTE_PGM_RSRC2:TGID_Z_EN: 0
; COMPUTE_PGM_RSRC2:TIDIG_COMP_CNT: 0
	.section	.text._ZN7rocprim17ROCPRIM_400000_NS6detail17trampoline_kernelINS0_14default_configENS1_38merge_sort_block_merge_config_selectorIlNS0_10empty_typeEEEZZNS1_27merge_sort_block_merge_implIS3_PlPS5_mZN2at6native12_GLOBAL__N_124unique_dim_cuda_templateIbEESt5tupleIJNSA_6TensorESF_SF_EERKSF_lbbbEUlllE_EE10hipError_tT0_T1_T2_jT3_P12ihipStream_tbPNSt15iterator_traitsISL_E10value_typeEPNSR_ISM_E10value_typeEPSN_NS1_7vsmem_tEENKUlT_SL_SM_SN_E_clIS8_S8_S9_S9_EESK_S10_SL_SM_SN_EUlS10_E0_NS1_11comp_targetILNS1_3genE9ELNS1_11target_archE1100ELNS1_3gpuE3ELNS1_3repE0EEENS1_38merge_mergepath_config_static_selectorELNS0_4arch9wavefront6targetE0EEEvSM_,"axG",@progbits,_ZN7rocprim17ROCPRIM_400000_NS6detail17trampoline_kernelINS0_14default_configENS1_38merge_sort_block_merge_config_selectorIlNS0_10empty_typeEEEZZNS1_27merge_sort_block_merge_implIS3_PlPS5_mZN2at6native12_GLOBAL__N_124unique_dim_cuda_templateIbEESt5tupleIJNSA_6TensorESF_SF_EERKSF_lbbbEUlllE_EE10hipError_tT0_T1_T2_jT3_P12ihipStream_tbPNSt15iterator_traitsISL_E10value_typeEPNSR_ISM_E10value_typeEPSN_NS1_7vsmem_tEENKUlT_SL_SM_SN_E_clIS8_S8_S9_S9_EESK_S10_SL_SM_SN_EUlS10_E0_NS1_11comp_targetILNS1_3genE9ELNS1_11target_archE1100ELNS1_3gpuE3ELNS1_3repE0EEENS1_38merge_mergepath_config_static_selectorELNS0_4arch9wavefront6targetE0EEEvSM_,comdat
	.globl	_ZN7rocprim17ROCPRIM_400000_NS6detail17trampoline_kernelINS0_14default_configENS1_38merge_sort_block_merge_config_selectorIlNS0_10empty_typeEEEZZNS1_27merge_sort_block_merge_implIS3_PlPS5_mZN2at6native12_GLOBAL__N_124unique_dim_cuda_templateIbEESt5tupleIJNSA_6TensorESF_SF_EERKSF_lbbbEUlllE_EE10hipError_tT0_T1_T2_jT3_P12ihipStream_tbPNSt15iterator_traitsISL_E10value_typeEPNSR_ISM_E10value_typeEPSN_NS1_7vsmem_tEENKUlT_SL_SM_SN_E_clIS8_S8_S9_S9_EESK_S10_SL_SM_SN_EUlS10_E0_NS1_11comp_targetILNS1_3genE9ELNS1_11target_archE1100ELNS1_3gpuE3ELNS1_3repE0EEENS1_38merge_mergepath_config_static_selectorELNS0_4arch9wavefront6targetE0EEEvSM_ ; -- Begin function _ZN7rocprim17ROCPRIM_400000_NS6detail17trampoline_kernelINS0_14default_configENS1_38merge_sort_block_merge_config_selectorIlNS0_10empty_typeEEEZZNS1_27merge_sort_block_merge_implIS3_PlPS5_mZN2at6native12_GLOBAL__N_124unique_dim_cuda_templateIbEESt5tupleIJNSA_6TensorESF_SF_EERKSF_lbbbEUlllE_EE10hipError_tT0_T1_T2_jT3_P12ihipStream_tbPNSt15iterator_traitsISL_E10value_typeEPNSR_ISM_E10value_typeEPSN_NS1_7vsmem_tEENKUlT_SL_SM_SN_E_clIS8_S8_S9_S9_EESK_S10_SL_SM_SN_EUlS10_E0_NS1_11comp_targetILNS1_3genE9ELNS1_11target_archE1100ELNS1_3gpuE3ELNS1_3repE0EEENS1_38merge_mergepath_config_static_selectorELNS0_4arch9wavefront6targetE0EEEvSM_
	.p2align	8
	.type	_ZN7rocprim17ROCPRIM_400000_NS6detail17trampoline_kernelINS0_14default_configENS1_38merge_sort_block_merge_config_selectorIlNS0_10empty_typeEEEZZNS1_27merge_sort_block_merge_implIS3_PlPS5_mZN2at6native12_GLOBAL__N_124unique_dim_cuda_templateIbEESt5tupleIJNSA_6TensorESF_SF_EERKSF_lbbbEUlllE_EE10hipError_tT0_T1_T2_jT3_P12ihipStream_tbPNSt15iterator_traitsISL_E10value_typeEPNSR_ISM_E10value_typeEPSN_NS1_7vsmem_tEENKUlT_SL_SM_SN_E_clIS8_S8_S9_S9_EESK_S10_SL_SM_SN_EUlS10_E0_NS1_11comp_targetILNS1_3genE9ELNS1_11target_archE1100ELNS1_3gpuE3ELNS1_3repE0EEENS1_38merge_mergepath_config_static_selectorELNS0_4arch9wavefront6targetE0EEEvSM_,@function
_ZN7rocprim17ROCPRIM_400000_NS6detail17trampoline_kernelINS0_14default_configENS1_38merge_sort_block_merge_config_selectorIlNS0_10empty_typeEEEZZNS1_27merge_sort_block_merge_implIS3_PlPS5_mZN2at6native12_GLOBAL__N_124unique_dim_cuda_templateIbEESt5tupleIJNSA_6TensorESF_SF_EERKSF_lbbbEUlllE_EE10hipError_tT0_T1_T2_jT3_P12ihipStream_tbPNSt15iterator_traitsISL_E10value_typeEPNSR_ISM_E10value_typeEPSN_NS1_7vsmem_tEENKUlT_SL_SM_SN_E_clIS8_S8_S9_S9_EESK_S10_SL_SM_SN_EUlS10_E0_NS1_11comp_targetILNS1_3genE9ELNS1_11target_archE1100ELNS1_3gpuE3ELNS1_3repE0EEENS1_38merge_mergepath_config_static_selectorELNS0_4arch9wavefront6targetE0EEEvSM_: ; @_ZN7rocprim17ROCPRIM_400000_NS6detail17trampoline_kernelINS0_14default_configENS1_38merge_sort_block_merge_config_selectorIlNS0_10empty_typeEEEZZNS1_27merge_sort_block_merge_implIS3_PlPS5_mZN2at6native12_GLOBAL__N_124unique_dim_cuda_templateIbEESt5tupleIJNSA_6TensorESF_SF_EERKSF_lbbbEUlllE_EE10hipError_tT0_T1_T2_jT3_P12ihipStream_tbPNSt15iterator_traitsISL_E10value_typeEPNSR_ISM_E10value_typeEPSN_NS1_7vsmem_tEENKUlT_SL_SM_SN_E_clIS8_S8_S9_S9_EESK_S10_SL_SM_SN_EUlS10_E0_NS1_11comp_targetILNS1_3genE9ELNS1_11target_archE1100ELNS1_3gpuE3ELNS1_3repE0EEENS1_38merge_mergepath_config_static_selectorELNS0_4arch9wavefront6targetE0EEEvSM_
; %bb.0:
	s_clause 0x1
	s_load_b64 s[24:25], s[0:1], 0x58
	s_load_b32 s3, s[0:1], 0x38
	s_add_u32 s22, s0, 0x58
	s_addc_u32 s23, s1, 0
	s_waitcnt lgkmcnt(0)
	s_mul_i32 s2, s25, s15
	s_delay_alu instid0(SALU_CYCLE_1) | instskip(NEXT) | instid1(SALU_CYCLE_1)
	s_add_i32 s2, s2, s14
	s_mul_i32 s2, s2, s24
	s_delay_alu instid0(SALU_CYCLE_1) | instskip(NEXT) | instid1(SALU_CYCLE_1)
	s_add_i32 s2, s2, s13
	s_cmp_ge_u32 s2, s3
	s_cbranch_scc1 .LBB1016_49
; %bb.1:
	s_clause 0x1
	s_load_b128 s[4:7], s[0:1], 0x28
	s_load_b64 s[8:9], s[0:1], 0x50
	s_mov_b32 s3, 0
	s_delay_alu instid0(SALU_CYCLE_1)
	s_lshl_b64 s[10:11], s[2:3], 3
	s_waitcnt lgkmcnt(0)
	v_alignbit_b32 v1, s7, s6, 9
	s_add_u32 s8, s8, s10
	s_addc_u32 s9, s9, s11
	s_lshl_b64 s[20:21], s[2:3], 10
	s_load_b128 s[16:19], s[8:9], 0x0
	v_readfirstlane_b32 s10, v1
	s_mov_b32 s9, s3
	s_delay_alu instid0(VALU_DEP_1) | instskip(NEXT) | instid1(SALU_CYCLE_1)
	s_and_b32 s8, s10, -2
	s_sub_i32 s33, 0, s8
	s_delay_alu instid0(SALU_CYCLE_1) | instskip(NEXT) | instid1(SALU_CYCLE_1)
	s_and_b32 s8, s2, s33
	s_lshl_b64 s[14:15], s[8:9], 10
	s_delay_alu instid0(SALU_CYCLE_1)
	s_sub_u32 s12, s20, s14
	s_subb_u32 s25, s21, s15
	s_lshl_b64 s[28:29], s[8:9], 11
	s_load_b128 s[8:11], s[0:1], 0x8
	s_add_u32 s27, s28, s6
	s_addc_u32 s28, s29, s7
	s_add_u32 s12, s27, s12
	s_addc_u32 s25, s28, s25
	s_waitcnt lgkmcnt(0)
	s_sub_u32 s26, s12, s18
	s_subb_u32 s19, s25, s19
	s_add_u32 s30, s26, 0x400
	s_addc_u32 s31, s19, 0
	s_delay_alu instid0(SALU_CYCLE_1) | instskip(NEXT) | instid1(VALU_DEP_1)
	v_cmp_lt_u64_e64 s19, s[4:5], s[30:31]
	s_and_b32 s19, s19, exec_lo
	s_cselect_b32 s26, s4, s30
	s_or_b32 s19, s2, s33
	s_delay_alu instid0(SALU_CYCLE_1)
	s_cmp_lg_u32 s19, -1
	s_mov_b32 s19, -1
	s_cbranch_scc1 .LBB1016_3
; %bb.2:
	s_sub_u32 s14, s27, s14
	s_subb_u32 s15, s28, s15
	s_delay_alu instid0(SALU_CYCLE_1) | instskip(NEXT) | instid1(VALU_DEP_1)
	v_cmp_lt_u64_e64 s18, s[4:5], s[14:15]
	s_and_b32 s18, s18, exec_lo
	s_cselect_b32 s18, s4, s14
	s_add_u32 s6, s14, s6
	s_addc_u32 s7, s15, s7
	s_delay_alu instid0(SALU_CYCLE_1) | instskip(NEXT) | instid1(VALU_DEP_1)
	v_cmp_lt_u64_e64 s7, s[4:5], s[6:7]
	s_and_b32 s7, s7, exec_lo
	s_cselect_b32 s26, s4, s6
.LBB1016_3:
	v_mov_b32_e32 v2, 0
	s_lshr_b64 s[28:29], s[4:5], 10
	v_lshlrev_b32_e32 v9, 3, v0
	s_cmp_lg_u64 s[28:29], s[2:3]
	s_cselect_b32 s6, -1, 0
	global_load_b32 v1, v2, s[22:23] offset:14
	s_sub_u32 s14, s12, s16
	s_subb_u32 s15, s25, s17
	s_delay_alu instid0(SALU_CYCLE_1) | instskip(NEXT) | instid1(VALU_DEP_1)
	v_cmp_lt_u64_e64 s7, s[4:5], s[14:15]
	s_and_b32 s7, s7, exec_lo
	s_cselect_b32 s30, s4, s14
	s_cselect_b32 s31, s5, s15
	s_lshl_b64 s[14:15], s[16:17], 3
	s_sub_i32 s5, s18, s16
	s_sub_i32 s16, s26, s30
	s_add_u32 s12, s8, s14
	s_addc_u32 s14, s9, s15
	s_lshl_b64 s[26:27], s[30:31], 3
	s_delay_alu instid0(SALU_CYCLE_1) | instskip(SKIP_3) | instid1(SALU_CYCLE_1)
	s_add_u32 s8, s8, s26
	s_addc_u32 s9, s9, s27
	s_cmp_lt_u32 s13, s24
	s_cselect_b32 s7, 12, 18
	s_add_u32 s22, s22, s7
	s_addc_u32 s23, s23, 0
	s_cmp_eq_u64 s[28:29], s[2:3]
	s_waitcnt vmcnt(0)
	v_lshrrev_b32_e32 v4, 16, v1
	v_and_b32_e32 v1, 0xffff, v1
	global_load_u16 v3, v2, s[22:23]
	v_mul_lo_u32 v1, v1, v4
	s_waitcnt vmcnt(0)
	s_delay_alu instid0(VALU_DEP_1)
	v_mul_lo_u32 v7, v1, v3
	s_cbranch_scc1 .LBB1016_5
; %bb.4:
	v_subrev_nc_u32_e32 v1, s5, v0
	v_add_co_u32 v8, s2, s12, v9
	s_delay_alu instid0(VALU_DEP_1) | instskip(NEXT) | instid1(VALU_DEP_3)
	v_add_co_ci_u32_e64 v10, null, s14, 0, s2
	v_lshlrev_b64 v[3:4], 3, v[1:2]
	v_add_nc_u32_e32 v1, v7, v0
	s_add_i32 s7, s5, s16
	s_delay_alu instid0(VALU_DEP_1) | instskip(NEXT) | instid1(VALU_DEP_3)
	v_lshlrev_b64 v[5:6], 3, v[1:2]
	v_add_co_u32 v3, s2, s8, v3
	s_delay_alu instid0(VALU_DEP_1) | instskip(SKIP_1) | instid1(VALU_DEP_4)
	v_add_co_ci_u32_e64 v4, s2, s9, v4, s2
	v_cmp_gt_u32_e64 s2, s5, v0
	v_add_co_u32 v5, vcc_lo, s12, v5
	v_add_co_ci_u32_e32 v6, vcc_lo, s14, v6, vcc_lo
	v_cmp_gt_u32_e32 vcc_lo, s5, v1
	v_subrev_nc_u32_e32 v1, s5, v1
	s_delay_alu instid0(VALU_DEP_1) | instskip(NEXT) | instid1(VALU_DEP_1)
	v_lshlrev_b64 v[1:2], 3, v[1:2]
	v_add_co_u32 v11, s3, s8, v1
	s_delay_alu instid0(VALU_DEP_1) | instskip(SKIP_2) | instid1(VALU_DEP_3)
	v_add_co_ci_u32_e64 v12, s3, s9, v2, s3
	v_cndmask_b32_e64 v2, v4, v10, s2
	v_cndmask_b32_e64 v1, v3, v8, s2
	v_dual_cndmask_b32 v3, v11, v5 :: v_dual_cndmask_b32 v4, v12, v6
	global_load_b64 v[1:2], v[1:2], off
	global_load_b64 v[5:6], v[3:4], off
	s_cbranch_execz .LBB1016_6
	s_branch .LBB1016_11
.LBB1016_5:
                                        ; implicit-def: $vgpr5_vgpr6
                                        ; implicit-def: $sgpr7
                                        ; implicit-def: $vgpr1_vgpr2_vgpr3_vgpr4
	s_and_not1_b32 vcc_lo, exec_lo, s19
	s_cbranch_vccnz .LBB1016_11
.LBB1016_6:
	s_add_i32 s7, s5, s16
	s_mov_b32 s2, exec_lo
                                        ; implicit-def: $vgpr1_vgpr2
	v_cmpx_gt_u32_e64 s7, v0
	s_cbranch_execz .LBB1016_8
; %bb.7:
	s_waitcnt vmcnt(1)
	v_subrev_nc_u32_e32 v1, s5, v0
	v_add_co_u32 v3, s3, s12, v9
	v_mov_b32_e32 v2, 0
	v_add_co_ci_u32_e64 v4, null, s14, 0, s3
	s_delay_alu instid0(VALU_DEP_2) | instskip(NEXT) | instid1(VALU_DEP_1)
	v_lshlrev_b64 v[1:2], 3, v[1:2]
	v_add_co_u32 v1, vcc_lo, s8, v1
	s_delay_alu instid0(VALU_DEP_2) | instskip(SKIP_1) | instid1(VALU_DEP_2)
	v_add_co_ci_u32_e32 v2, vcc_lo, s9, v2, vcc_lo
	v_cmp_gt_u32_e32 vcc_lo, s5, v0
	v_dual_cndmask_b32 v1, v1, v3 :: v_dual_cndmask_b32 v2, v2, v4
	global_load_b64 v[1:2], v[1:2], off
.LBB1016_8:
	s_or_b32 exec_lo, exec_lo, s2
	v_add_nc_u32_e32 v7, v7, v0
	s_mov_b32 s3, exec_lo
	s_delay_alu instid0(VALU_DEP_1)
	v_cmpx_gt_u32_e64 s7, v7
                                        ; implicit-def: $vgpr3_vgpr4_vgpr5_vgpr6
	s_cbranch_execz .LBB1016_10
; %bb.9:
	v_mov_b32_e32 v8, 0
	s_delay_alu instid0(VALU_DEP_1) | instskip(SKIP_1) | instid1(VALU_DEP_1)
	v_lshlrev_b64 v[3:4], 3, v[7:8]
	s_waitcnt vmcnt(0)
	v_add_co_u32 v5, vcc_lo, s12, v3
	s_delay_alu instid0(VALU_DEP_2) | instskip(SKIP_2) | instid1(VALU_DEP_1)
	v_add_co_ci_u32_e32 v6, vcc_lo, s14, v4, vcc_lo
	v_cmp_gt_u32_e32 vcc_lo, s5, v7
	v_subrev_nc_u32_e32 v7, s5, v7
	v_lshlrev_b64 v[3:4], 3, v[7:8]
	s_delay_alu instid0(VALU_DEP_1) | instskip(NEXT) | instid1(VALU_DEP_1)
	v_add_co_u32 v3, s2, s8, v3
	v_add_co_ci_u32_e64 v4, s2, s9, v4, s2
	s_delay_alu instid0(VALU_DEP_1)
	v_dual_cndmask_b32 v3, v3, v5 :: v_dual_cndmask_b32 v4, v4, v6
	global_load_b64 v[5:6], v[3:4], off
.LBB1016_10:
	s_or_b32 exec_lo, exec_lo, s3
.LBB1016_11:
	s_load_b128 s[12:15], s[0:1], 0x40
	v_lshlrev_b32_e32 v10, 1, v0
	s_mov_b32 s1, exec_lo
	s_waitcnt vmcnt(0)
	ds_store_2addr_stride64_b64 v9, v[1:2], v[5:6] offset1:8
	s_waitcnt lgkmcnt(0)
	s_barrier
	v_min_u32_e32 v12, s7, v10
	buffer_gl0_inv
	v_sub_nc_u32_e64 v11, v12, s16 clamp
	v_min_u32_e32 v13, s5, v12
	s_delay_alu instid0(VALU_DEP_1)
	v_cmpx_lt_u32_e64 v11, v13
	s_cbranch_execz .LBB1016_21
; %bb.12:
	v_lshlrev_b32_e32 v3, 3, v12
	v_cmp_gt_i64_e64 s8, s[12:13], 0
	s_mov_b32 s9, 0
	s_delay_alu instid0(VALU_DEP_2)
	v_lshl_add_u32 v14, s5, 3, v3
	s_branch .LBB1016_15
.LBB1016_13:                            ;   in Loop: Header=BB1016_15 Depth=1
	s_set_inst_prefetch_distance 0x2
	s_or_b32 exec_lo, exec_lo, s16
.LBB1016_14:                            ;   in Loop: Header=BB1016_15 Depth=1
	s_delay_alu instid0(VALU_DEP_1) | instskip(SKIP_1) | instid1(VALU_DEP_2)
	v_add_nc_u32_e32 v3, 1, v15
	v_cndmask_b32_e64 v13, v13, v15, s17
	v_cndmask_b32_e64 v11, v3, v11, s17
	s_delay_alu instid0(VALU_DEP_1) | instskip(SKIP_1) | instid1(SALU_CYCLE_1)
	v_cmp_ge_u32_e32 vcc_lo, v11, v13
	s_or_b32 s9, vcc_lo, s9
	s_and_not1_b32 exec_lo, exec_lo, s9
	s_cbranch_execz .LBB1016_20
.LBB1016_15:                            ; =>This Loop Header: Depth=1
                                        ;     Child Loop BB1016_18 Depth 2
	v_add_nc_u32_e32 v3, v13, v11
	s_delay_alu instid0(VALU_DEP_3) | instskip(SKIP_1) | instid1(VALU_DEP_1)
	s_and_not1_b32 vcc_lo, exec_lo, s8
	s_mov_b32 s17, 0
	v_lshrrev_b32_e32 v15, 1, v3
	s_cbranch_vccnz .LBB1016_14
; %bb.16:                               ;   in Loop: Header=BB1016_15 Depth=1
	s_delay_alu instid0(VALU_DEP_1) | instskip(SKIP_3) | instid1(VALU_DEP_2)
	v_not_b32_e32 v3, v15
	v_lshlrev_b32_e32 v4, 3, v15
	s_mov_b32 s16, 0
	s_mov_b64 s[2:3], s[12:13]
                                        ; implicit-def: $sgpr17
                                        ; implicit-def: $sgpr18
                                        ; implicit-def: $sgpr19
                                        ; implicit-def: $sgpr22
                                        ; implicit-def: $sgpr23
	v_lshl_add_u32 v3, v3, 3, v14
	ds_load_b64 v[7:8], v3
	ds_load_b64 v[16:17], v4
	s_waitcnt lgkmcnt(1)
	v_mul_lo_u32 v18, v7, s13
	v_mul_lo_u32 v19, v8, s12
	v_mad_u64_u32 v[3:4], null, v7, s12, s[14:15]
	s_waitcnt lgkmcnt(0)
	v_mul_lo_u32 v20, v16, s13
	v_mul_lo_u32 v17, v17, s12
	v_mad_u64_u32 v[7:8], null, v16, s12, s[14:15]
	s_delay_alu instid0(VALU_DEP_4) | instskip(NEXT) | instid1(VALU_DEP_2)
	v_add3_u32 v4, v19, v4, v18
	v_add3_u32 v8, v17, v8, v20
	s_set_inst_prefetch_distance 0x1
	s_branch .LBB1016_18
	.p2align	6
.LBB1016_17:                            ;   in Loop: Header=BB1016_18 Depth=2
	s_or_b32 exec_lo, exec_lo, s0
	s_delay_alu instid0(SALU_CYCLE_1) | instskip(NEXT) | instid1(SALU_CYCLE_1)
	s_and_b32 s0, exec_lo, s18
	s_or_b32 s16, s0, s16
	s_and_not1_b32 s0, s23, exec_lo
	s_and_b32 s23, s19, exec_lo
	s_and_not1_b32 s17, s17, exec_lo
	s_and_b32 s24, s22, exec_lo
	s_or_b32 s23, s0, s23
	s_or_b32 s17, s17, s24
	s_and_not1_b32 exec_lo, exec_lo, s16
	s_cbranch_execz .LBB1016_13
.LBB1016_18:                            ;   Parent Loop BB1016_15 Depth=1
                                        ; =>  This Inner Loop Header: Depth=2
	global_load_u8 v16, v[3:4], off
	global_load_u8 v17, v[7:8], off
	s_and_not1_b32 s22, s22, exec_lo
	s_and_not1_b32 s19, s19, exec_lo
	s_or_b32 s18, s18, exec_lo
	s_waitcnt vmcnt(1)
	v_cmp_eq_u16_e32 vcc_lo, 0, v16
	s_waitcnt vmcnt(0)
	v_cmp_ne_u16_e64 s0, 0, v17
	s_delay_alu instid0(VALU_DEP_1) | instskip(SKIP_4) | instid1(SALU_CYCLE_1)
	s_or_b32 s24, vcc_lo, s0
	s_and_b32 s25, vcc_lo, s0
	s_and_b32 s24, s24, s23
	s_xor_b32 s26, vcc_lo, s0
	s_or_b32 s24, s25, s24
	s_and_b32 s25, s24, exec_lo
	s_delay_alu instid0(SALU_CYCLE_1)
	s_or_b32 s22, s22, s25
	s_and_saveexec_b32 s0, s26
	s_cbranch_execz .LBB1016_17
; %bb.19:                               ;   in Loop: Header=BB1016_18 Depth=2
	s_add_u32 s2, s2, -1
	s_addc_u32 s3, s3, -1
	v_add_co_u32 v3, vcc_lo, v3, 1
	v_add_co_ci_u32_e32 v4, vcc_lo, 0, v4, vcc_lo
	s_cmp_eq_u64 s[2:3], 0
	v_add_co_u32 v7, vcc_lo, v7, 1
	s_cselect_b32 s23, -1, 0
	v_add_co_ci_u32_e32 v8, vcc_lo, 0, v8, vcc_lo
	s_and_not1_b32 s19, s19, exec_lo
	s_and_b32 s24, s24, exec_lo
	s_and_not1_b32 s18, s18, exec_lo
	s_and_b32 s23, s23, exec_lo
	s_and_not1_b32 s22, s22, exec_lo
	s_or_b32 s19, s19, s24
	s_or_b32 s18, s18, s23
                                        ; implicit-def: $sgpr23
	s_branch .LBB1016_17
.LBB1016_20:
	s_or_b32 exec_lo, exec_lo, s9
.LBB1016_21:
	s_delay_alu instid0(SALU_CYCLE_1) | instskip(SKIP_2) | instid1(VALU_DEP_2)
	s_or_b32 exec_lo, exec_lo, s1
	v_sub_nc_u32_e32 v3, v12, v11
	v_cmp_ge_u32_e32 vcc_lo, s5, v11
	v_add_nc_u32_e32 v12, s5, v3
	s_delay_alu instid0(VALU_DEP_1) | instskip(NEXT) | instid1(VALU_DEP_1)
	v_cmp_ge_u32_e64 s0, s7, v12
	s_or_b32 s0, vcc_lo, s0
	s_delay_alu instid0(SALU_CYCLE_1)
	s_and_saveexec_b32 s8, s0
	s_cbranch_execz .LBB1016_41
; %bb.22:
	v_cmp_le_u32_e32 vcc_lo, s5, v11
	s_mov_b32 s1, exec_lo
                                        ; implicit-def: $vgpr1_vgpr2
	v_cmpx_gt_u32_e64 s5, v11
	s_cbranch_execz .LBB1016_24
; %bb.23:
	v_lshlrev_b32_e32 v1, 3, v11
	ds_load_b64 v[1:2], v1
.LBB1016_24:
	s_or_b32 exec_lo, exec_lo, s1
	v_cmp_le_u32_e64 s0, s7, v12
	s_mov_b32 s2, exec_lo
                                        ; implicit-def: $vgpr3_vgpr4
	v_cmpx_gt_u32_e64 s7, v12
	s_cbranch_execz .LBB1016_26
; %bb.25:
	v_lshlrev_b32_e32 v3, 3, v12
	ds_load_b64 v[3:4], v3
.LBB1016_26:
	s_or_b32 exec_lo, exec_lo, s2
	v_cmp_lt_i64_e64 s9, s[12:13], 1
	s_or_b32 s1, vcc_lo, s0
	s_xor_b32 s2, vcc_lo, -1
	s_delay_alu instid0(VALU_DEP_1) | instskip(NEXT) | instid1(SALU_CYCLE_1)
	s_or_b32 s1, s1, s9
	s_xor_b32 s3, s1, -1
	s_or_b32 s1, s0, s2
	s_and_saveexec_b32 s16, s3
	s_cbranch_execz .LBB1016_32
; %bb.27:
	s_waitcnt lgkmcnt(0)
	v_mad_u64_u32 v[5:6], null, v3, s12, s[14:15]
	v_mul_lo_u32 v13, v3, s13
	v_mul_lo_u32 v14, v4, s12
	v_mad_u64_u32 v[7:8], null, v1, s12, s[14:15]
	v_mul_lo_u32 v15, v1, s13
	v_mul_lo_u32 v16, v2, s12
	s_mov_b32 s17, 0
	s_mov_b64 s[2:3], s[12:13]
                                        ; implicit-def: $sgpr18
                                        ; implicit-def: $sgpr19
                                        ; implicit-def: $sgpr22
                                        ; implicit-def: $sgpr23
                                        ; implicit-def: $sgpr24
	s_delay_alu instid0(VALU_DEP_4) | instskip(NEXT) | instid1(VALU_DEP_2)
	v_add3_u32 v6, v14, v6, v13
	v_add3_u32 v8, v16, v8, v15
	s_set_inst_prefetch_distance 0x1
	s_branch .LBB1016_29
	.p2align	6
.LBB1016_28:                            ;   in Loop: Header=BB1016_29 Depth=1
	s_or_b32 exec_lo, exec_lo, s0
	s_delay_alu instid0(SALU_CYCLE_1) | instskip(NEXT) | instid1(SALU_CYCLE_1)
	s_and_b32 s0, exec_lo, s19
	s_or_b32 s17, s0, s17
	s_and_not1_b32 s0, s24, exec_lo
	s_and_b32 s24, s23, exec_lo
	s_and_not1_b32 s18, s18, exec_lo
	s_and_b32 s25, s22, exec_lo
	s_or_b32 s24, s0, s24
	s_or_b32 s18, s18, s25
	s_and_not1_b32 exec_lo, exec_lo, s17
	s_cbranch_execz .LBB1016_31
.LBB1016_29:                            ; =>This Inner Loop Header: Depth=1
	global_load_u8 v13, v[5:6], off
	global_load_u8 v14, v[7:8], off
	s_and_not1_b32 s22, s22, exec_lo
	s_and_not1_b32 s23, s23, exec_lo
	s_or_b32 s19, s19, exec_lo
	s_waitcnt vmcnt(1)
	v_cmp_eq_u16_e32 vcc_lo, 0, v13
	s_waitcnt vmcnt(0)
	v_cmp_ne_u16_e64 s0, 0, v14
	s_delay_alu instid0(VALU_DEP_1) | instskip(SKIP_4) | instid1(SALU_CYCLE_1)
	s_or_b32 s25, vcc_lo, s0
	s_and_b32 s26, vcc_lo, s0
	s_and_b32 s25, s25, s24
	s_xor_b32 s27, vcc_lo, s0
	s_or_b32 s25, s26, s25
	s_and_b32 s26, s25, exec_lo
	s_delay_alu instid0(SALU_CYCLE_1)
	s_or_b32 s22, s22, s26
	s_and_saveexec_b32 s0, s27
	s_cbranch_execz .LBB1016_28
; %bb.30:                               ;   in Loop: Header=BB1016_29 Depth=1
	s_add_u32 s2, s2, -1
	s_addc_u32 s3, s3, -1
	v_add_co_u32 v5, vcc_lo, v5, 1
	s_cmp_eq_u64 s[2:3], 0
	v_add_co_ci_u32_e32 v6, vcc_lo, 0, v6, vcc_lo
	v_add_co_u32 v7, vcc_lo, v7, 1
	s_cselect_b32 s24, -1, 0
	v_add_co_ci_u32_e32 v8, vcc_lo, 0, v8, vcc_lo
	s_and_not1_b32 s23, s23, exec_lo
	s_and_b32 s25, s25, exec_lo
	s_and_not1_b32 s19, s19, exec_lo
	s_and_b32 s24, s24, exec_lo
	s_or_b32 s23, s23, s25
	s_and_not1_b32 s22, s22, exec_lo
	s_or_b32 s19, s19, s24
                                        ; implicit-def: $sgpr24
	s_branch .LBB1016_28
.LBB1016_31:
	s_set_inst_prefetch_distance 0x2
	s_or_b32 exec_lo, exec_lo, s17
	s_xor_b32 s0, s18, -1
	s_and_not1_b32 s1, s1, exec_lo
	s_and_b32 s0, s0, exec_lo
	s_delay_alu instid0(SALU_CYCLE_1)
	s_or_b32 s1, s1, s0
.LBB1016_32:
	s_or_b32 exec_lo, exec_lo, s16
	v_mov_b32_e32 v5, s5
	v_cndmask_b32_e64 v6, v12, v11, s1
	s_mov_b32 s0, -1
	s_mov_b32 s2, exec_lo
	s_delay_alu instid0(VALU_DEP_2) | instskip(NEXT) | instid1(VALU_DEP_2)
	v_cndmask_b32_e64 v7, s7, v5, s1
	v_add_nc_u32_e32 v5, 1, v6
	s_delay_alu instid0(VALU_DEP_2) | instskip(NEXT) | instid1(VALU_DEP_2)
	v_add_nc_u32_e32 v6, -1, v7
	v_cndmask_b32_e64 v8, v5, v12, s1
	s_delay_alu instid0(VALU_DEP_2) | instskip(NEXT) | instid1(VALU_DEP_1)
	v_min_u32_e32 v6, v5, v6
	v_lshlrev_b32_e32 v6, 3, v6
	ds_load_b64 v[6:7], v6
	s_waitcnt lgkmcnt(0)
	v_cndmask_b32_e64 v12, v7, v4, s1
	v_cndmask_b32_e64 v13, v6, v3, s1
	;; [unrolled: 1-line block ×4, first 2 shown]
	v_cmpx_gt_u32_e64 s7, v8
	s_cbranch_execz .LBB1016_40
; %bb.33:
	v_cndmask_b32_e64 v5, v11, v5, s1
	s_xor_b32 s0, s9, -1
	s_delay_alu instid0(VALU_DEP_1) | instskip(NEXT) | instid1(VALU_DEP_1)
	v_cmp_gt_u32_e64 s3, s5, v5
	s_and_b32 s0, s3, s0
	s_delay_alu instid0(SALU_CYCLE_1)
	s_and_saveexec_b32 s5, s0
	s_cbranch_execz .LBB1016_39
; %bb.34:
	v_mad_u64_u32 v[5:6], null, v13, s12, s[14:15]
	v_mul_lo_u32 v11, v13, s13
	v_mul_lo_u32 v16, v12, s12
	v_mad_u64_u32 v[7:8], null, v15, s12, s[14:15]
	v_mul_lo_u32 v17, v15, s13
	v_mul_lo_u32 v18, v14, s12
	s_mov_b32 s7, 0
                                        ; implicit-def: $sgpr9
                                        ; implicit-def: $sgpr14
                                        ; implicit-def: $sgpr15
                                        ; implicit-def: $sgpr16
                                        ; implicit-def: $sgpr17
	s_delay_alu instid0(VALU_DEP_4) | instskip(NEXT) | instid1(VALU_DEP_2)
	v_add3_u32 v6, v16, v6, v11
	v_add3_u32 v8, v18, v8, v17
	s_set_inst_prefetch_distance 0x1
	s_branch .LBB1016_36
	.p2align	6
.LBB1016_35:                            ;   in Loop: Header=BB1016_36 Depth=1
	s_or_b32 exec_lo, exec_lo, s0
	s_delay_alu instid0(SALU_CYCLE_1) | instskip(NEXT) | instid1(SALU_CYCLE_1)
	s_and_b32 s0, exec_lo, s14
	s_or_b32 s7, s0, s7
	s_and_not1_b32 s0, s17, exec_lo
	s_and_b32 s17, s16, exec_lo
	s_and_not1_b32 s9, s9, exec_lo
	s_and_b32 s18, s15, exec_lo
	s_or_b32 s17, s0, s17
	s_or_b32 s9, s9, s18
	s_and_not1_b32 exec_lo, exec_lo, s7
	s_cbranch_execz .LBB1016_38
.LBB1016_36:                            ; =>This Inner Loop Header: Depth=1
	global_load_u8 v11, v[5:6], off
	global_load_u8 v16, v[7:8], off
	s_and_not1_b32 s15, s15, exec_lo
	s_and_not1_b32 s16, s16, exec_lo
	s_or_b32 s14, s14, exec_lo
	s_waitcnt vmcnt(1)
	v_cmp_eq_u16_e32 vcc_lo, 0, v11
	s_waitcnt vmcnt(0)
	v_cmp_ne_u16_e64 s0, 0, v16
	s_delay_alu instid0(VALU_DEP_1) | instskip(SKIP_4) | instid1(SALU_CYCLE_1)
	s_or_b32 s18, vcc_lo, s0
	s_and_b32 s19, vcc_lo, s0
	s_and_b32 s18, s18, s17
	s_xor_b32 s22, vcc_lo, s0
	s_or_b32 s18, s19, s18
	s_and_b32 s19, s18, exec_lo
	s_delay_alu instid0(SALU_CYCLE_1)
	s_or_b32 s15, s15, s19
	s_and_saveexec_b32 s0, s22
	s_cbranch_execz .LBB1016_35
; %bb.37:                               ;   in Loop: Header=BB1016_36 Depth=1
	s_add_u32 s12, s12, -1
	s_addc_u32 s13, s13, -1
	v_add_co_u32 v5, vcc_lo, v5, 1
	s_cmp_eq_u64 s[12:13], 0
	v_add_co_ci_u32_e32 v6, vcc_lo, 0, v6, vcc_lo
	v_add_co_u32 v7, vcc_lo, v7, 1
	s_cselect_b32 s17, -1, 0
	v_add_co_ci_u32_e32 v8, vcc_lo, 0, v8, vcc_lo
	s_and_not1_b32 s16, s16, exec_lo
	s_and_b32 s18, s18, exec_lo
	s_and_not1_b32 s14, s14, exec_lo
	s_and_b32 s17, s17, exec_lo
	s_or_b32 s16, s16, s18
	s_and_not1_b32 s15, s15, exec_lo
	s_or_b32 s14, s14, s17
                                        ; implicit-def: $sgpr17
	s_branch .LBB1016_35
.LBB1016_38:
	s_set_inst_prefetch_distance 0x2
	s_or_b32 exec_lo, exec_lo, s7
	s_xor_b32 s0, s9, -1
	s_and_not1_b32 s3, s3, exec_lo
	s_and_b32 s0, s0, exec_lo
	s_delay_alu instid0(SALU_CYCLE_1)
	s_or_b32 s3, s3, s0
.LBB1016_39:
	s_or_b32 exec_lo, exec_lo, s5
	s_delay_alu instid0(SALU_CYCLE_1)
	s_or_not1_b32 s0, s3, exec_lo
.LBB1016_40:
	s_or_b32 exec_lo, exec_lo, s2
	v_cndmask_b32_e64 v2, v4, v2, s1
	v_cndmask_b32_e64 v1, v3, v1, s1
	;; [unrolled: 1-line block ×4, first 2 shown]
.LBB1016_41:
	s_or_b32 exec_lo, exec_lo, s8
	v_lshrrev_b32_e32 v3, 1, v0
	v_or_b32_e32 v7, 0x200, v0
	v_lshrrev_b32_e32 v4, 2, v0
	s_lshl_b64 s[0:1], s[20:21], 3
	s_delay_alu instid0(VALU_DEP_3) | instskip(NEXT) | instid1(VALU_DEP_3)
	v_and_b32_e32 v3, 0xf8, v3
	v_lshrrev_b32_e32 v8, 2, v7
	s_delay_alu instid0(VALU_DEP_3)
	v_and_b32_e32 v4, 0x78, v4
	s_add_u32 s0, s10, s0
	s_barrier
	v_lshl_add_u32 v3, v10, 3, v3
	v_and_b32_e32 v8, 0xf8, v8
	buffer_gl0_inv
	s_barrier
	buffer_gl0_inv
	s_addc_u32 s1, s11, s1
	ds_store_2addr_b64 v3, v[1:2], v[5:6] offset1:1
	v_add_co_u32 v1, s0, s0, v9
	v_add_nc_u32_e32 v5, v9, v4
	v_add_nc_u32_e32 v6, v9, v8
	v_add_co_ci_u32_e64 v2, null, s1, 0, s0
	s_and_b32 vcc_lo, exec_lo, s6
	s_mov_b32 s0, 0
	s_waitcnt lgkmcnt(0)
	s_cbranch_vccz .LBB1016_43
; %bb.42:
	s_barrier
	buffer_gl0_inv
	ds_load_b64 v[8:9], v5
	ds_load_b64 v[3:4], v6 offset:4096
	s_mov_b32 s0, -1
	s_waitcnt lgkmcnt(1)
	global_store_b64 v[1:2], v[8:9], off
	s_cbranch_execz .LBB1016_44
	s_branch .LBB1016_47
.LBB1016_43:
                                        ; implicit-def: $vgpr3_vgpr4
.LBB1016_44:
	s_waitcnt lgkmcnt(0)
	s_waitcnt_vscnt null, 0x0
	s_barrier
	buffer_gl0_inv
	ds_load_b64 v[3:4], v6 offset:4096
	s_sub_i32 s0, s4, s20
	s_mov_b32 s1, exec_lo
	v_cmpx_gt_u32_e64 s0, v0
	s_cbranch_execz .LBB1016_46
; %bb.45:
	ds_load_b64 v[5:6], v5
	s_waitcnt lgkmcnt(0)
	global_store_b64 v[1:2], v[5:6], off
.LBB1016_46:
	s_or_b32 exec_lo, exec_lo, s1
	v_cmp_gt_u32_e64 s0, s0, v7
.LBB1016_47:
	s_delay_alu instid0(VALU_DEP_1)
	s_and_saveexec_b32 s1, s0
	s_cbranch_execz .LBB1016_49
; %bb.48:
	v_add_co_u32 v0, vcc_lo, 0x1000, v1
	v_add_co_ci_u32_e32 v1, vcc_lo, 0, v2, vcc_lo
	s_waitcnt lgkmcnt(0)
	global_store_b64 v[0:1], v[3:4], off
.LBB1016_49:
	s_nop 0
	s_sendmsg sendmsg(MSG_DEALLOC_VGPRS)
	s_endpgm
	.section	.rodata,"a",@progbits
	.p2align	6, 0x0
	.amdhsa_kernel _ZN7rocprim17ROCPRIM_400000_NS6detail17trampoline_kernelINS0_14default_configENS1_38merge_sort_block_merge_config_selectorIlNS0_10empty_typeEEEZZNS1_27merge_sort_block_merge_implIS3_PlPS5_mZN2at6native12_GLOBAL__N_124unique_dim_cuda_templateIbEESt5tupleIJNSA_6TensorESF_SF_EERKSF_lbbbEUlllE_EE10hipError_tT0_T1_T2_jT3_P12ihipStream_tbPNSt15iterator_traitsISL_E10value_typeEPNSR_ISM_E10value_typeEPSN_NS1_7vsmem_tEENKUlT_SL_SM_SN_E_clIS8_S8_S9_S9_EESK_S10_SL_SM_SN_EUlS10_E0_NS1_11comp_targetILNS1_3genE9ELNS1_11target_archE1100ELNS1_3gpuE3ELNS1_3repE0EEENS1_38merge_mergepath_config_static_selectorELNS0_4arch9wavefront6targetE0EEEvSM_
		.amdhsa_group_segment_fixed_size 8448
		.amdhsa_private_segment_fixed_size 0
		.amdhsa_kernarg_size 344
		.amdhsa_user_sgpr_count 13
		.amdhsa_user_sgpr_dispatch_ptr 0
		.amdhsa_user_sgpr_queue_ptr 0
		.amdhsa_user_sgpr_kernarg_segment_ptr 1
		.amdhsa_user_sgpr_dispatch_id 0
		.amdhsa_user_sgpr_private_segment_size 0
		.amdhsa_wavefront_size32 1
		.amdhsa_uses_dynamic_stack 0
		.amdhsa_enable_private_segment 0
		.amdhsa_system_sgpr_workgroup_id_x 1
		.amdhsa_system_sgpr_workgroup_id_y 1
		.amdhsa_system_sgpr_workgroup_id_z 1
		.amdhsa_system_sgpr_workgroup_info 0
		.amdhsa_system_vgpr_workitem_id 0
		.amdhsa_next_free_vgpr 21
		.amdhsa_next_free_sgpr 34
		.amdhsa_reserve_vcc 1
		.amdhsa_float_round_mode_32 0
		.amdhsa_float_round_mode_16_64 0
		.amdhsa_float_denorm_mode_32 3
		.amdhsa_float_denorm_mode_16_64 3
		.amdhsa_dx10_clamp 1
		.amdhsa_ieee_mode 1
		.amdhsa_fp16_overflow 0
		.amdhsa_workgroup_processor_mode 1
		.amdhsa_memory_ordered 1
		.amdhsa_forward_progress 0
		.amdhsa_shared_vgpr_count 0
		.amdhsa_exception_fp_ieee_invalid_op 0
		.amdhsa_exception_fp_denorm_src 0
		.amdhsa_exception_fp_ieee_div_zero 0
		.amdhsa_exception_fp_ieee_overflow 0
		.amdhsa_exception_fp_ieee_underflow 0
		.amdhsa_exception_fp_ieee_inexact 0
		.amdhsa_exception_int_div_zero 0
	.end_amdhsa_kernel
	.section	.text._ZN7rocprim17ROCPRIM_400000_NS6detail17trampoline_kernelINS0_14default_configENS1_38merge_sort_block_merge_config_selectorIlNS0_10empty_typeEEEZZNS1_27merge_sort_block_merge_implIS3_PlPS5_mZN2at6native12_GLOBAL__N_124unique_dim_cuda_templateIbEESt5tupleIJNSA_6TensorESF_SF_EERKSF_lbbbEUlllE_EE10hipError_tT0_T1_T2_jT3_P12ihipStream_tbPNSt15iterator_traitsISL_E10value_typeEPNSR_ISM_E10value_typeEPSN_NS1_7vsmem_tEENKUlT_SL_SM_SN_E_clIS8_S8_S9_S9_EESK_S10_SL_SM_SN_EUlS10_E0_NS1_11comp_targetILNS1_3genE9ELNS1_11target_archE1100ELNS1_3gpuE3ELNS1_3repE0EEENS1_38merge_mergepath_config_static_selectorELNS0_4arch9wavefront6targetE0EEEvSM_,"axG",@progbits,_ZN7rocprim17ROCPRIM_400000_NS6detail17trampoline_kernelINS0_14default_configENS1_38merge_sort_block_merge_config_selectorIlNS0_10empty_typeEEEZZNS1_27merge_sort_block_merge_implIS3_PlPS5_mZN2at6native12_GLOBAL__N_124unique_dim_cuda_templateIbEESt5tupleIJNSA_6TensorESF_SF_EERKSF_lbbbEUlllE_EE10hipError_tT0_T1_T2_jT3_P12ihipStream_tbPNSt15iterator_traitsISL_E10value_typeEPNSR_ISM_E10value_typeEPSN_NS1_7vsmem_tEENKUlT_SL_SM_SN_E_clIS8_S8_S9_S9_EESK_S10_SL_SM_SN_EUlS10_E0_NS1_11comp_targetILNS1_3genE9ELNS1_11target_archE1100ELNS1_3gpuE3ELNS1_3repE0EEENS1_38merge_mergepath_config_static_selectorELNS0_4arch9wavefront6targetE0EEEvSM_,comdat
.Lfunc_end1016:
	.size	_ZN7rocprim17ROCPRIM_400000_NS6detail17trampoline_kernelINS0_14default_configENS1_38merge_sort_block_merge_config_selectorIlNS0_10empty_typeEEEZZNS1_27merge_sort_block_merge_implIS3_PlPS5_mZN2at6native12_GLOBAL__N_124unique_dim_cuda_templateIbEESt5tupleIJNSA_6TensorESF_SF_EERKSF_lbbbEUlllE_EE10hipError_tT0_T1_T2_jT3_P12ihipStream_tbPNSt15iterator_traitsISL_E10value_typeEPNSR_ISM_E10value_typeEPSN_NS1_7vsmem_tEENKUlT_SL_SM_SN_E_clIS8_S8_S9_S9_EESK_S10_SL_SM_SN_EUlS10_E0_NS1_11comp_targetILNS1_3genE9ELNS1_11target_archE1100ELNS1_3gpuE3ELNS1_3repE0EEENS1_38merge_mergepath_config_static_selectorELNS0_4arch9wavefront6targetE0EEEvSM_, .Lfunc_end1016-_ZN7rocprim17ROCPRIM_400000_NS6detail17trampoline_kernelINS0_14default_configENS1_38merge_sort_block_merge_config_selectorIlNS0_10empty_typeEEEZZNS1_27merge_sort_block_merge_implIS3_PlPS5_mZN2at6native12_GLOBAL__N_124unique_dim_cuda_templateIbEESt5tupleIJNSA_6TensorESF_SF_EERKSF_lbbbEUlllE_EE10hipError_tT0_T1_T2_jT3_P12ihipStream_tbPNSt15iterator_traitsISL_E10value_typeEPNSR_ISM_E10value_typeEPSN_NS1_7vsmem_tEENKUlT_SL_SM_SN_E_clIS8_S8_S9_S9_EESK_S10_SL_SM_SN_EUlS10_E0_NS1_11comp_targetILNS1_3genE9ELNS1_11target_archE1100ELNS1_3gpuE3ELNS1_3repE0EEENS1_38merge_mergepath_config_static_selectorELNS0_4arch9wavefront6targetE0EEEvSM_
                                        ; -- End function
	.section	.AMDGPU.csdata,"",@progbits
; Kernel info:
; codeLenInByte = 2784
; NumSgprs: 36
; NumVgprs: 21
; ScratchSize: 0
; MemoryBound: 0
; FloatMode: 240
; IeeeMode: 1
; LDSByteSize: 8448 bytes/workgroup (compile time only)
; SGPRBlocks: 4
; VGPRBlocks: 2
; NumSGPRsForWavesPerEU: 36
; NumVGPRsForWavesPerEU: 21
; Occupancy: 16
; WaveLimiterHint : 1
; COMPUTE_PGM_RSRC2:SCRATCH_EN: 0
; COMPUTE_PGM_RSRC2:USER_SGPR: 13
; COMPUTE_PGM_RSRC2:TRAP_HANDLER: 0
; COMPUTE_PGM_RSRC2:TGID_X_EN: 1
; COMPUTE_PGM_RSRC2:TGID_Y_EN: 1
; COMPUTE_PGM_RSRC2:TGID_Z_EN: 1
; COMPUTE_PGM_RSRC2:TIDIG_COMP_CNT: 0
	.section	.text._ZN7rocprim17ROCPRIM_400000_NS6detail17trampoline_kernelINS0_14default_configENS1_38merge_sort_block_merge_config_selectorIlNS0_10empty_typeEEEZZNS1_27merge_sort_block_merge_implIS3_PlPS5_mZN2at6native12_GLOBAL__N_124unique_dim_cuda_templateIbEESt5tupleIJNSA_6TensorESF_SF_EERKSF_lbbbEUlllE_EE10hipError_tT0_T1_T2_jT3_P12ihipStream_tbPNSt15iterator_traitsISL_E10value_typeEPNSR_ISM_E10value_typeEPSN_NS1_7vsmem_tEENKUlT_SL_SM_SN_E_clIS8_S8_S9_S9_EESK_S10_SL_SM_SN_EUlS10_E0_NS1_11comp_targetILNS1_3genE8ELNS1_11target_archE1030ELNS1_3gpuE2ELNS1_3repE0EEENS1_38merge_mergepath_config_static_selectorELNS0_4arch9wavefront6targetE0EEEvSM_,"axG",@progbits,_ZN7rocprim17ROCPRIM_400000_NS6detail17trampoline_kernelINS0_14default_configENS1_38merge_sort_block_merge_config_selectorIlNS0_10empty_typeEEEZZNS1_27merge_sort_block_merge_implIS3_PlPS5_mZN2at6native12_GLOBAL__N_124unique_dim_cuda_templateIbEESt5tupleIJNSA_6TensorESF_SF_EERKSF_lbbbEUlllE_EE10hipError_tT0_T1_T2_jT3_P12ihipStream_tbPNSt15iterator_traitsISL_E10value_typeEPNSR_ISM_E10value_typeEPSN_NS1_7vsmem_tEENKUlT_SL_SM_SN_E_clIS8_S8_S9_S9_EESK_S10_SL_SM_SN_EUlS10_E0_NS1_11comp_targetILNS1_3genE8ELNS1_11target_archE1030ELNS1_3gpuE2ELNS1_3repE0EEENS1_38merge_mergepath_config_static_selectorELNS0_4arch9wavefront6targetE0EEEvSM_,comdat
	.globl	_ZN7rocprim17ROCPRIM_400000_NS6detail17trampoline_kernelINS0_14default_configENS1_38merge_sort_block_merge_config_selectorIlNS0_10empty_typeEEEZZNS1_27merge_sort_block_merge_implIS3_PlPS5_mZN2at6native12_GLOBAL__N_124unique_dim_cuda_templateIbEESt5tupleIJNSA_6TensorESF_SF_EERKSF_lbbbEUlllE_EE10hipError_tT0_T1_T2_jT3_P12ihipStream_tbPNSt15iterator_traitsISL_E10value_typeEPNSR_ISM_E10value_typeEPSN_NS1_7vsmem_tEENKUlT_SL_SM_SN_E_clIS8_S8_S9_S9_EESK_S10_SL_SM_SN_EUlS10_E0_NS1_11comp_targetILNS1_3genE8ELNS1_11target_archE1030ELNS1_3gpuE2ELNS1_3repE0EEENS1_38merge_mergepath_config_static_selectorELNS0_4arch9wavefront6targetE0EEEvSM_ ; -- Begin function _ZN7rocprim17ROCPRIM_400000_NS6detail17trampoline_kernelINS0_14default_configENS1_38merge_sort_block_merge_config_selectorIlNS0_10empty_typeEEEZZNS1_27merge_sort_block_merge_implIS3_PlPS5_mZN2at6native12_GLOBAL__N_124unique_dim_cuda_templateIbEESt5tupleIJNSA_6TensorESF_SF_EERKSF_lbbbEUlllE_EE10hipError_tT0_T1_T2_jT3_P12ihipStream_tbPNSt15iterator_traitsISL_E10value_typeEPNSR_ISM_E10value_typeEPSN_NS1_7vsmem_tEENKUlT_SL_SM_SN_E_clIS8_S8_S9_S9_EESK_S10_SL_SM_SN_EUlS10_E0_NS1_11comp_targetILNS1_3genE8ELNS1_11target_archE1030ELNS1_3gpuE2ELNS1_3repE0EEENS1_38merge_mergepath_config_static_selectorELNS0_4arch9wavefront6targetE0EEEvSM_
	.p2align	8
	.type	_ZN7rocprim17ROCPRIM_400000_NS6detail17trampoline_kernelINS0_14default_configENS1_38merge_sort_block_merge_config_selectorIlNS0_10empty_typeEEEZZNS1_27merge_sort_block_merge_implIS3_PlPS5_mZN2at6native12_GLOBAL__N_124unique_dim_cuda_templateIbEESt5tupleIJNSA_6TensorESF_SF_EERKSF_lbbbEUlllE_EE10hipError_tT0_T1_T2_jT3_P12ihipStream_tbPNSt15iterator_traitsISL_E10value_typeEPNSR_ISM_E10value_typeEPSN_NS1_7vsmem_tEENKUlT_SL_SM_SN_E_clIS8_S8_S9_S9_EESK_S10_SL_SM_SN_EUlS10_E0_NS1_11comp_targetILNS1_3genE8ELNS1_11target_archE1030ELNS1_3gpuE2ELNS1_3repE0EEENS1_38merge_mergepath_config_static_selectorELNS0_4arch9wavefront6targetE0EEEvSM_,@function
_ZN7rocprim17ROCPRIM_400000_NS6detail17trampoline_kernelINS0_14default_configENS1_38merge_sort_block_merge_config_selectorIlNS0_10empty_typeEEEZZNS1_27merge_sort_block_merge_implIS3_PlPS5_mZN2at6native12_GLOBAL__N_124unique_dim_cuda_templateIbEESt5tupleIJNSA_6TensorESF_SF_EERKSF_lbbbEUlllE_EE10hipError_tT0_T1_T2_jT3_P12ihipStream_tbPNSt15iterator_traitsISL_E10value_typeEPNSR_ISM_E10value_typeEPSN_NS1_7vsmem_tEENKUlT_SL_SM_SN_E_clIS8_S8_S9_S9_EESK_S10_SL_SM_SN_EUlS10_E0_NS1_11comp_targetILNS1_3genE8ELNS1_11target_archE1030ELNS1_3gpuE2ELNS1_3repE0EEENS1_38merge_mergepath_config_static_selectorELNS0_4arch9wavefront6targetE0EEEvSM_: ; @_ZN7rocprim17ROCPRIM_400000_NS6detail17trampoline_kernelINS0_14default_configENS1_38merge_sort_block_merge_config_selectorIlNS0_10empty_typeEEEZZNS1_27merge_sort_block_merge_implIS3_PlPS5_mZN2at6native12_GLOBAL__N_124unique_dim_cuda_templateIbEESt5tupleIJNSA_6TensorESF_SF_EERKSF_lbbbEUlllE_EE10hipError_tT0_T1_T2_jT3_P12ihipStream_tbPNSt15iterator_traitsISL_E10value_typeEPNSR_ISM_E10value_typeEPSN_NS1_7vsmem_tEENKUlT_SL_SM_SN_E_clIS8_S8_S9_S9_EESK_S10_SL_SM_SN_EUlS10_E0_NS1_11comp_targetILNS1_3genE8ELNS1_11target_archE1030ELNS1_3gpuE2ELNS1_3repE0EEENS1_38merge_mergepath_config_static_selectorELNS0_4arch9wavefront6targetE0EEEvSM_
; %bb.0:
	.section	.rodata,"a",@progbits
	.p2align	6, 0x0
	.amdhsa_kernel _ZN7rocprim17ROCPRIM_400000_NS6detail17trampoline_kernelINS0_14default_configENS1_38merge_sort_block_merge_config_selectorIlNS0_10empty_typeEEEZZNS1_27merge_sort_block_merge_implIS3_PlPS5_mZN2at6native12_GLOBAL__N_124unique_dim_cuda_templateIbEESt5tupleIJNSA_6TensorESF_SF_EERKSF_lbbbEUlllE_EE10hipError_tT0_T1_T2_jT3_P12ihipStream_tbPNSt15iterator_traitsISL_E10value_typeEPNSR_ISM_E10value_typeEPSN_NS1_7vsmem_tEENKUlT_SL_SM_SN_E_clIS8_S8_S9_S9_EESK_S10_SL_SM_SN_EUlS10_E0_NS1_11comp_targetILNS1_3genE8ELNS1_11target_archE1030ELNS1_3gpuE2ELNS1_3repE0EEENS1_38merge_mergepath_config_static_selectorELNS0_4arch9wavefront6targetE0EEEvSM_
		.amdhsa_group_segment_fixed_size 0
		.amdhsa_private_segment_fixed_size 0
		.amdhsa_kernarg_size 88
		.amdhsa_user_sgpr_count 15
		.amdhsa_user_sgpr_dispatch_ptr 0
		.amdhsa_user_sgpr_queue_ptr 0
		.amdhsa_user_sgpr_kernarg_segment_ptr 1
		.amdhsa_user_sgpr_dispatch_id 0
		.amdhsa_user_sgpr_private_segment_size 0
		.amdhsa_wavefront_size32 1
		.amdhsa_uses_dynamic_stack 0
		.amdhsa_enable_private_segment 0
		.amdhsa_system_sgpr_workgroup_id_x 1
		.amdhsa_system_sgpr_workgroup_id_y 0
		.amdhsa_system_sgpr_workgroup_id_z 0
		.amdhsa_system_sgpr_workgroup_info 0
		.amdhsa_system_vgpr_workitem_id 0
		.amdhsa_next_free_vgpr 1
		.amdhsa_next_free_sgpr 1
		.amdhsa_reserve_vcc 0
		.amdhsa_float_round_mode_32 0
		.amdhsa_float_round_mode_16_64 0
		.amdhsa_float_denorm_mode_32 3
		.amdhsa_float_denorm_mode_16_64 3
		.amdhsa_dx10_clamp 1
		.amdhsa_ieee_mode 1
		.amdhsa_fp16_overflow 0
		.amdhsa_workgroup_processor_mode 1
		.amdhsa_memory_ordered 1
		.amdhsa_forward_progress 0
		.amdhsa_shared_vgpr_count 0
		.amdhsa_exception_fp_ieee_invalid_op 0
		.amdhsa_exception_fp_denorm_src 0
		.amdhsa_exception_fp_ieee_div_zero 0
		.amdhsa_exception_fp_ieee_overflow 0
		.amdhsa_exception_fp_ieee_underflow 0
		.amdhsa_exception_fp_ieee_inexact 0
		.amdhsa_exception_int_div_zero 0
	.end_amdhsa_kernel
	.section	.text._ZN7rocprim17ROCPRIM_400000_NS6detail17trampoline_kernelINS0_14default_configENS1_38merge_sort_block_merge_config_selectorIlNS0_10empty_typeEEEZZNS1_27merge_sort_block_merge_implIS3_PlPS5_mZN2at6native12_GLOBAL__N_124unique_dim_cuda_templateIbEESt5tupleIJNSA_6TensorESF_SF_EERKSF_lbbbEUlllE_EE10hipError_tT0_T1_T2_jT3_P12ihipStream_tbPNSt15iterator_traitsISL_E10value_typeEPNSR_ISM_E10value_typeEPSN_NS1_7vsmem_tEENKUlT_SL_SM_SN_E_clIS8_S8_S9_S9_EESK_S10_SL_SM_SN_EUlS10_E0_NS1_11comp_targetILNS1_3genE8ELNS1_11target_archE1030ELNS1_3gpuE2ELNS1_3repE0EEENS1_38merge_mergepath_config_static_selectorELNS0_4arch9wavefront6targetE0EEEvSM_,"axG",@progbits,_ZN7rocprim17ROCPRIM_400000_NS6detail17trampoline_kernelINS0_14default_configENS1_38merge_sort_block_merge_config_selectorIlNS0_10empty_typeEEEZZNS1_27merge_sort_block_merge_implIS3_PlPS5_mZN2at6native12_GLOBAL__N_124unique_dim_cuda_templateIbEESt5tupleIJNSA_6TensorESF_SF_EERKSF_lbbbEUlllE_EE10hipError_tT0_T1_T2_jT3_P12ihipStream_tbPNSt15iterator_traitsISL_E10value_typeEPNSR_ISM_E10value_typeEPSN_NS1_7vsmem_tEENKUlT_SL_SM_SN_E_clIS8_S8_S9_S9_EESK_S10_SL_SM_SN_EUlS10_E0_NS1_11comp_targetILNS1_3genE8ELNS1_11target_archE1030ELNS1_3gpuE2ELNS1_3repE0EEENS1_38merge_mergepath_config_static_selectorELNS0_4arch9wavefront6targetE0EEEvSM_,comdat
.Lfunc_end1017:
	.size	_ZN7rocprim17ROCPRIM_400000_NS6detail17trampoline_kernelINS0_14default_configENS1_38merge_sort_block_merge_config_selectorIlNS0_10empty_typeEEEZZNS1_27merge_sort_block_merge_implIS3_PlPS5_mZN2at6native12_GLOBAL__N_124unique_dim_cuda_templateIbEESt5tupleIJNSA_6TensorESF_SF_EERKSF_lbbbEUlllE_EE10hipError_tT0_T1_T2_jT3_P12ihipStream_tbPNSt15iterator_traitsISL_E10value_typeEPNSR_ISM_E10value_typeEPSN_NS1_7vsmem_tEENKUlT_SL_SM_SN_E_clIS8_S8_S9_S9_EESK_S10_SL_SM_SN_EUlS10_E0_NS1_11comp_targetILNS1_3genE8ELNS1_11target_archE1030ELNS1_3gpuE2ELNS1_3repE0EEENS1_38merge_mergepath_config_static_selectorELNS0_4arch9wavefront6targetE0EEEvSM_, .Lfunc_end1017-_ZN7rocprim17ROCPRIM_400000_NS6detail17trampoline_kernelINS0_14default_configENS1_38merge_sort_block_merge_config_selectorIlNS0_10empty_typeEEEZZNS1_27merge_sort_block_merge_implIS3_PlPS5_mZN2at6native12_GLOBAL__N_124unique_dim_cuda_templateIbEESt5tupleIJNSA_6TensorESF_SF_EERKSF_lbbbEUlllE_EE10hipError_tT0_T1_T2_jT3_P12ihipStream_tbPNSt15iterator_traitsISL_E10value_typeEPNSR_ISM_E10value_typeEPSN_NS1_7vsmem_tEENKUlT_SL_SM_SN_E_clIS8_S8_S9_S9_EESK_S10_SL_SM_SN_EUlS10_E0_NS1_11comp_targetILNS1_3genE8ELNS1_11target_archE1030ELNS1_3gpuE2ELNS1_3repE0EEENS1_38merge_mergepath_config_static_selectorELNS0_4arch9wavefront6targetE0EEEvSM_
                                        ; -- End function
	.section	.AMDGPU.csdata,"",@progbits
; Kernel info:
; codeLenInByte = 0
; NumSgprs: 0
; NumVgprs: 0
; ScratchSize: 0
; MemoryBound: 0
; FloatMode: 240
; IeeeMode: 1
; LDSByteSize: 0 bytes/workgroup (compile time only)
; SGPRBlocks: 0
; VGPRBlocks: 0
; NumSGPRsForWavesPerEU: 1
; NumVGPRsForWavesPerEU: 1
; Occupancy: 16
; WaveLimiterHint : 0
; COMPUTE_PGM_RSRC2:SCRATCH_EN: 0
; COMPUTE_PGM_RSRC2:USER_SGPR: 15
; COMPUTE_PGM_RSRC2:TRAP_HANDLER: 0
; COMPUTE_PGM_RSRC2:TGID_X_EN: 1
; COMPUTE_PGM_RSRC2:TGID_Y_EN: 0
; COMPUTE_PGM_RSRC2:TGID_Z_EN: 0
; COMPUTE_PGM_RSRC2:TIDIG_COMP_CNT: 0
	.section	.text._ZN7rocprim17ROCPRIM_400000_NS6detail17trampoline_kernelINS0_14default_configENS1_38merge_sort_block_merge_config_selectorIlNS0_10empty_typeEEEZZNS1_27merge_sort_block_merge_implIS3_PlPS5_mZN2at6native12_GLOBAL__N_124unique_dim_cuda_templateIbEESt5tupleIJNSA_6TensorESF_SF_EERKSF_lbbbEUlllE_EE10hipError_tT0_T1_T2_jT3_P12ihipStream_tbPNSt15iterator_traitsISL_E10value_typeEPNSR_ISM_E10value_typeEPSN_NS1_7vsmem_tEENKUlT_SL_SM_SN_E_clIS8_S8_S9_S9_EESK_S10_SL_SM_SN_EUlS10_E1_NS1_11comp_targetILNS1_3genE0ELNS1_11target_archE4294967295ELNS1_3gpuE0ELNS1_3repE0EEENS1_36merge_oddeven_config_static_selectorELNS0_4arch9wavefront6targetE0EEEvSM_,"axG",@progbits,_ZN7rocprim17ROCPRIM_400000_NS6detail17trampoline_kernelINS0_14default_configENS1_38merge_sort_block_merge_config_selectorIlNS0_10empty_typeEEEZZNS1_27merge_sort_block_merge_implIS3_PlPS5_mZN2at6native12_GLOBAL__N_124unique_dim_cuda_templateIbEESt5tupleIJNSA_6TensorESF_SF_EERKSF_lbbbEUlllE_EE10hipError_tT0_T1_T2_jT3_P12ihipStream_tbPNSt15iterator_traitsISL_E10value_typeEPNSR_ISM_E10value_typeEPSN_NS1_7vsmem_tEENKUlT_SL_SM_SN_E_clIS8_S8_S9_S9_EESK_S10_SL_SM_SN_EUlS10_E1_NS1_11comp_targetILNS1_3genE0ELNS1_11target_archE4294967295ELNS1_3gpuE0ELNS1_3repE0EEENS1_36merge_oddeven_config_static_selectorELNS0_4arch9wavefront6targetE0EEEvSM_,comdat
	.globl	_ZN7rocprim17ROCPRIM_400000_NS6detail17trampoline_kernelINS0_14default_configENS1_38merge_sort_block_merge_config_selectorIlNS0_10empty_typeEEEZZNS1_27merge_sort_block_merge_implIS3_PlPS5_mZN2at6native12_GLOBAL__N_124unique_dim_cuda_templateIbEESt5tupleIJNSA_6TensorESF_SF_EERKSF_lbbbEUlllE_EE10hipError_tT0_T1_T2_jT3_P12ihipStream_tbPNSt15iterator_traitsISL_E10value_typeEPNSR_ISM_E10value_typeEPSN_NS1_7vsmem_tEENKUlT_SL_SM_SN_E_clIS8_S8_S9_S9_EESK_S10_SL_SM_SN_EUlS10_E1_NS1_11comp_targetILNS1_3genE0ELNS1_11target_archE4294967295ELNS1_3gpuE0ELNS1_3repE0EEENS1_36merge_oddeven_config_static_selectorELNS0_4arch9wavefront6targetE0EEEvSM_ ; -- Begin function _ZN7rocprim17ROCPRIM_400000_NS6detail17trampoline_kernelINS0_14default_configENS1_38merge_sort_block_merge_config_selectorIlNS0_10empty_typeEEEZZNS1_27merge_sort_block_merge_implIS3_PlPS5_mZN2at6native12_GLOBAL__N_124unique_dim_cuda_templateIbEESt5tupleIJNSA_6TensorESF_SF_EERKSF_lbbbEUlllE_EE10hipError_tT0_T1_T2_jT3_P12ihipStream_tbPNSt15iterator_traitsISL_E10value_typeEPNSR_ISM_E10value_typeEPSN_NS1_7vsmem_tEENKUlT_SL_SM_SN_E_clIS8_S8_S9_S9_EESK_S10_SL_SM_SN_EUlS10_E1_NS1_11comp_targetILNS1_3genE0ELNS1_11target_archE4294967295ELNS1_3gpuE0ELNS1_3repE0EEENS1_36merge_oddeven_config_static_selectorELNS0_4arch9wavefront6targetE0EEEvSM_
	.p2align	8
	.type	_ZN7rocprim17ROCPRIM_400000_NS6detail17trampoline_kernelINS0_14default_configENS1_38merge_sort_block_merge_config_selectorIlNS0_10empty_typeEEEZZNS1_27merge_sort_block_merge_implIS3_PlPS5_mZN2at6native12_GLOBAL__N_124unique_dim_cuda_templateIbEESt5tupleIJNSA_6TensorESF_SF_EERKSF_lbbbEUlllE_EE10hipError_tT0_T1_T2_jT3_P12ihipStream_tbPNSt15iterator_traitsISL_E10value_typeEPNSR_ISM_E10value_typeEPSN_NS1_7vsmem_tEENKUlT_SL_SM_SN_E_clIS8_S8_S9_S9_EESK_S10_SL_SM_SN_EUlS10_E1_NS1_11comp_targetILNS1_3genE0ELNS1_11target_archE4294967295ELNS1_3gpuE0ELNS1_3repE0EEENS1_36merge_oddeven_config_static_selectorELNS0_4arch9wavefront6targetE0EEEvSM_,@function
_ZN7rocprim17ROCPRIM_400000_NS6detail17trampoline_kernelINS0_14default_configENS1_38merge_sort_block_merge_config_selectorIlNS0_10empty_typeEEEZZNS1_27merge_sort_block_merge_implIS3_PlPS5_mZN2at6native12_GLOBAL__N_124unique_dim_cuda_templateIbEESt5tupleIJNSA_6TensorESF_SF_EERKSF_lbbbEUlllE_EE10hipError_tT0_T1_T2_jT3_P12ihipStream_tbPNSt15iterator_traitsISL_E10value_typeEPNSR_ISM_E10value_typeEPSN_NS1_7vsmem_tEENKUlT_SL_SM_SN_E_clIS8_S8_S9_S9_EESK_S10_SL_SM_SN_EUlS10_E1_NS1_11comp_targetILNS1_3genE0ELNS1_11target_archE4294967295ELNS1_3gpuE0ELNS1_3repE0EEENS1_36merge_oddeven_config_static_selectorELNS0_4arch9wavefront6targetE0EEEvSM_: ; @_ZN7rocprim17ROCPRIM_400000_NS6detail17trampoline_kernelINS0_14default_configENS1_38merge_sort_block_merge_config_selectorIlNS0_10empty_typeEEEZZNS1_27merge_sort_block_merge_implIS3_PlPS5_mZN2at6native12_GLOBAL__N_124unique_dim_cuda_templateIbEESt5tupleIJNSA_6TensorESF_SF_EERKSF_lbbbEUlllE_EE10hipError_tT0_T1_T2_jT3_P12ihipStream_tbPNSt15iterator_traitsISL_E10value_typeEPNSR_ISM_E10value_typeEPSN_NS1_7vsmem_tEENKUlT_SL_SM_SN_E_clIS8_S8_S9_S9_EESK_S10_SL_SM_SN_EUlS10_E1_NS1_11comp_targetILNS1_3genE0ELNS1_11target_archE4294967295ELNS1_3gpuE0ELNS1_3repE0EEENS1_36merge_oddeven_config_static_selectorELNS0_4arch9wavefront6targetE0EEEvSM_
; %bb.0:
	.section	.rodata,"a",@progbits
	.p2align	6, 0x0
	.amdhsa_kernel _ZN7rocprim17ROCPRIM_400000_NS6detail17trampoline_kernelINS0_14default_configENS1_38merge_sort_block_merge_config_selectorIlNS0_10empty_typeEEEZZNS1_27merge_sort_block_merge_implIS3_PlPS5_mZN2at6native12_GLOBAL__N_124unique_dim_cuda_templateIbEESt5tupleIJNSA_6TensorESF_SF_EERKSF_lbbbEUlllE_EE10hipError_tT0_T1_T2_jT3_P12ihipStream_tbPNSt15iterator_traitsISL_E10value_typeEPNSR_ISM_E10value_typeEPSN_NS1_7vsmem_tEENKUlT_SL_SM_SN_E_clIS8_S8_S9_S9_EESK_S10_SL_SM_SN_EUlS10_E1_NS1_11comp_targetILNS1_3genE0ELNS1_11target_archE4294967295ELNS1_3gpuE0ELNS1_3repE0EEENS1_36merge_oddeven_config_static_selectorELNS0_4arch9wavefront6targetE0EEEvSM_
		.amdhsa_group_segment_fixed_size 0
		.amdhsa_private_segment_fixed_size 0
		.amdhsa_kernarg_size 64
		.amdhsa_user_sgpr_count 15
		.amdhsa_user_sgpr_dispatch_ptr 0
		.amdhsa_user_sgpr_queue_ptr 0
		.amdhsa_user_sgpr_kernarg_segment_ptr 1
		.amdhsa_user_sgpr_dispatch_id 0
		.amdhsa_user_sgpr_private_segment_size 0
		.amdhsa_wavefront_size32 1
		.amdhsa_uses_dynamic_stack 0
		.amdhsa_enable_private_segment 0
		.amdhsa_system_sgpr_workgroup_id_x 1
		.amdhsa_system_sgpr_workgroup_id_y 0
		.amdhsa_system_sgpr_workgroup_id_z 0
		.amdhsa_system_sgpr_workgroup_info 0
		.amdhsa_system_vgpr_workitem_id 0
		.amdhsa_next_free_vgpr 1
		.amdhsa_next_free_sgpr 1
		.amdhsa_reserve_vcc 0
		.amdhsa_float_round_mode_32 0
		.amdhsa_float_round_mode_16_64 0
		.amdhsa_float_denorm_mode_32 3
		.amdhsa_float_denorm_mode_16_64 3
		.amdhsa_dx10_clamp 1
		.amdhsa_ieee_mode 1
		.amdhsa_fp16_overflow 0
		.amdhsa_workgroup_processor_mode 1
		.amdhsa_memory_ordered 1
		.amdhsa_forward_progress 0
		.amdhsa_shared_vgpr_count 0
		.amdhsa_exception_fp_ieee_invalid_op 0
		.amdhsa_exception_fp_denorm_src 0
		.amdhsa_exception_fp_ieee_div_zero 0
		.amdhsa_exception_fp_ieee_overflow 0
		.amdhsa_exception_fp_ieee_underflow 0
		.amdhsa_exception_fp_ieee_inexact 0
		.amdhsa_exception_int_div_zero 0
	.end_amdhsa_kernel
	.section	.text._ZN7rocprim17ROCPRIM_400000_NS6detail17trampoline_kernelINS0_14default_configENS1_38merge_sort_block_merge_config_selectorIlNS0_10empty_typeEEEZZNS1_27merge_sort_block_merge_implIS3_PlPS5_mZN2at6native12_GLOBAL__N_124unique_dim_cuda_templateIbEESt5tupleIJNSA_6TensorESF_SF_EERKSF_lbbbEUlllE_EE10hipError_tT0_T1_T2_jT3_P12ihipStream_tbPNSt15iterator_traitsISL_E10value_typeEPNSR_ISM_E10value_typeEPSN_NS1_7vsmem_tEENKUlT_SL_SM_SN_E_clIS8_S8_S9_S9_EESK_S10_SL_SM_SN_EUlS10_E1_NS1_11comp_targetILNS1_3genE0ELNS1_11target_archE4294967295ELNS1_3gpuE0ELNS1_3repE0EEENS1_36merge_oddeven_config_static_selectorELNS0_4arch9wavefront6targetE0EEEvSM_,"axG",@progbits,_ZN7rocprim17ROCPRIM_400000_NS6detail17trampoline_kernelINS0_14default_configENS1_38merge_sort_block_merge_config_selectorIlNS0_10empty_typeEEEZZNS1_27merge_sort_block_merge_implIS3_PlPS5_mZN2at6native12_GLOBAL__N_124unique_dim_cuda_templateIbEESt5tupleIJNSA_6TensorESF_SF_EERKSF_lbbbEUlllE_EE10hipError_tT0_T1_T2_jT3_P12ihipStream_tbPNSt15iterator_traitsISL_E10value_typeEPNSR_ISM_E10value_typeEPSN_NS1_7vsmem_tEENKUlT_SL_SM_SN_E_clIS8_S8_S9_S9_EESK_S10_SL_SM_SN_EUlS10_E1_NS1_11comp_targetILNS1_3genE0ELNS1_11target_archE4294967295ELNS1_3gpuE0ELNS1_3repE0EEENS1_36merge_oddeven_config_static_selectorELNS0_4arch9wavefront6targetE0EEEvSM_,comdat
.Lfunc_end1018:
	.size	_ZN7rocprim17ROCPRIM_400000_NS6detail17trampoline_kernelINS0_14default_configENS1_38merge_sort_block_merge_config_selectorIlNS0_10empty_typeEEEZZNS1_27merge_sort_block_merge_implIS3_PlPS5_mZN2at6native12_GLOBAL__N_124unique_dim_cuda_templateIbEESt5tupleIJNSA_6TensorESF_SF_EERKSF_lbbbEUlllE_EE10hipError_tT0_T1_T2_jT3_P12ihipStream_tbPNSt15iterator_traitsISL_E10value_typeEPNSR_ISM_E10value_typeEPSN_NS1_7vsmem_tEENKUlT_SL_SM_SN_E_clIS8_S8_S9_S9_EESK_S10_SL_SM_SN_EUlS10_E1_NS1_11comp_targetILNS1_3genE0ELNS1_11target_archE4294967295ELNS1_3gpuE0ELNS1_3repE0EEENS1_36merge_oddeven_config_static_selectorELNS0_4arch9wavefront6targetE0EEEvSM_, .Lfunc_end1018-_ZN7rocprim17ROCPRIM_400000_NS6detail17trampoline_kernelINS0_14default_configENS1_38merge_sort_block_merge_config_selectorIlNS0_10empty_typeEEEZZNS1_27merge_sort_block_merge_implIS3_PlPS5_mZN2at6native12_GLOBAL__N_124unique_dim_cuda_templateIbEESt5tupleIJNSA_6TensorESF_SF_EERKSF_lbbbEUlllE_EE10hipError_tT0_T1_T2_jT3_P12ihipStream_tbPNSt15iterator_traitsISL_E10value_typeEPNSR_ISM_E10value_typeEPSN_NS1_7vsmem_tEENKUlT_SL_SM_SN_E_clIS8_S8_S9_S9_EESK_S10_SL_SM_SN_EUlS10_E1_NS1_11comp_targetILNS1_3genE0ELNS1_11target_archE4294967295ELNS1_3gpuE0ELNS1_3repE0EEENS1_36merge_oddeven_config_static_selectorELNS0_4arch9wavefront6targetE0EEEvSM_
                                        ; -- End function
	.section	.AMDGPU.csdata,"",@progbits
; Kernel info:
; codeLenInByte = 0
; NumSgprs: 0
; NumVgprs: 0
; ScratchSize: 0
; MemoryBound: 0
; FloatMode: 240
; IeeeMode: 1
; LDSByteSize: 0 bytes/workgroup (compile time only)
; SGPRBlocks: 0
; VGPRBlocks: 0
; NumSGPRsForWavesPerEU: 1
; NumVGPRsForWavesPerEU: 1
; Occupancy: 16
; WaveLimiterHint : 0
; COMPUTE_PGM_RSRC2:SCRATCH_EN: 0
; COMPUTE_PGM_RSRC2:USER_SGPR: 15
; COMPUTE_PGM_RSRC2:TRAP_HANDLER: 0
; COMPUTE_PGM_RSRC2:TGID_X_EN: 1
; COMPUTE_PGM_RSRC2:TGID_Y_EN: 0
; COMPUTE_PGM_RSRC2:TGID_Z_EN: 0
; COMPUTE_PGM_RSRC2:TIDIG_COMP_CNT: 0
	.section	.text._ZN7rocprim17ROCPRIM_400000_NS6detail17trampoline_kernelINS0_14default_configENS1_38merge_sort_block_merge_config_selectorIlNS0_10empty_typeEEEZZNS1_27merge_sort_block_merge_implIS3_PlPS5_mZN2at6native12_GLOBAL__N_124unique_dim_cuda_templateIbEESt5tupleIJNSA_6TensorESF_SF_EERKSF_lbbbEUlllE_EE10hipError_tT0_T1_T2_jT3_P12ihipStream_tbPNSt15iterator_traitsISL_E10value_typeEPNSR_ISM_E10value_typeEPSN_NS1_7vsmem_tEENKUlT_SL_SM_SN_E_clIS8_S8_S9_S9_EESK_S10_SL_SM_SN_EUlS10_E1_NS1_11comp_targetILNS1_3genE10ELNS1_11target_archE1201ELNS1_3gpuE5ELNS1_3repE0EEENS1_36merge_oddeven_config_static_selectorELNS0_4arch9wavefront6targetE0EEEvSM_,"axG",@progbits,_ZN7rocprim17ROCPRIM_400000_NS6detail17trampoline_kernelINS0_14default_configENS1_38merge_sort_block_merge_config_selectorIlNS0_10empty_typeEEEZZNS1_27merge_sort_block_merge_implIS3_PlPS5_mZN2at6native12_GLOBAL__N_124unique_dim_cuda_templateIbEESt5tupleIJNSA_6TensorESF_SF_EERKSF_lbbbEUlllE_EE10hipError_tT0_T1_T2_jT3_P12ihipStream_tbPNSt15iterator_traitsISL_E10value_typeEPNSR_ISM_E10value_typeEPSN_NS1_7vsmem_tEENKUlT_SL_SM_SN_E_clIS8_S8_S9_S9_EESK_S10_SL_SM_SN_EUlS10_E1_NS1_11comp_targetILNS1_3genE10ELNS1_11target_archE1201ELNS1_3gpuE5ELNS1_3repE0EEENS1_36merge_oddeven_config_static_selectorELNS0_4arch9wavefront6targetE0EEEvSM_,comdat
	.globl	_ZN7rocprim17ROCPRIM_400000_NS6detail17trampoline_kernelINS0_14default_configENS1_38merge_sort_block_merge_config_selectorIlNS0_10empty_typeEEEZZNS1_27merge_sort_block_merge_implIS3_PlPS5_mZN2at6native12_GLOBAL__N_124unique_dim_cuda_templateIbEESt5tupleIJNSA_6TensorESF_SF_EERKSF_lbbbEUlllE_EE10hipError_tT0_T1_T2_jT3_P12ihipStream_tbPNSt15iterator_traitsISL_E10value_typeEPNSR_ISM_E10value_typeEPSN_NS1_7vsmem_tEENKUlT_SL_SM_SN_E_clIS8_S8_S9_S9_EESK_S10_SL_SM_SN_EUlS10_E1_NS1_11comp_targetILNS1_3genE10ELNS1_11target_archE1201ELNS1_3gpuE5ELNS1_3repE0EEENS1_36merge_oddeven_config_static_selectorELNS0_4arch9wavefront6targetE0EEEvSM_ ; -- Begin function _ZN7rocprim17ROCPRIM_400000_NS6detail17trampoline_kernelINS0_14default_configENS1_38merge_sort_block_merge_config_selectorIlNS0_10empty_typeEEEZZNS1_27merge_sort_block_merge_implIS3_PlPS5_mZN2at6native12_GLOBAL__N_124unique_dim_cuda_templateIbEESt5tupleIJNSA_6TensorESF_SF_EERKSF_lbbbEUlllE_EE10hipError_tT0_T1_T2_jT3_P12ihipStream_tbPNSt15iterator_traitsISL_E10value_typeEPNSR_ISM_E10value_typeEPSN_NS1_7vsmem_tEENKUlT_SL_SM_SN_E_clIS8_S8_S9_S9_EESK_S10_SL_SM_SN_EUlS10_E1_NS1_11comp_targetILNS1_3genE10ELNS1_11target_archE1201ELNS1_3gpuE5ELNS1_3repE0EEENS1_36merge_oddeven_config_static_selectorELNS0_4arch9wavefront6targetE0EEEvSM_
	.p2align	8
	.type	_ZN7rocprim17ROCPRIM_400000_NS6detail17trampoline_kernelINS0_14default_configENS1_38merge_sort_block_merge_config_selectorIlNS0_10empty_typeEEEZZNS1_27merge_sort_block_merge_implIS3_PlPS5_mZN2at6native12_GLOBAL__N_124unique_dim_cuda_templateIbEESt5tupleIJNSA_6TensorESF_SF_EERKSF_lbbbEUlllE_EE10hipError_tT0_T1_T2_jT3_P12ihipStream_tbPNSt15iterator_traitsISL_E10value_typeEPNSR_ISM_E10value_typeEPSN_NS1_7vsmem_tEENKUlT_SL_SM_SN_E_clIS8_S8_S9_S9_EESK_S10_SL_SM_SN_EUlS10_E1_NS1_11comp_targetILNS1_3genE10ELNS1_11target_archE1201ELNS1_3gpuE5ELNS1_3repE0EEENS1_36merge_oddeven_config_static_selectorELNS0_4arch9wavefront6targetE0EEEvSM_,@function
_ZN7rocprim17ROCPRIM_400000_NS6detail17trampoline_kernelINS0_14default_configENS1_38merge_sort_block_merge_config_selectorIlNS0_10empty_typeEEEZZNS1_27merge_sort_block_merge_implIS3_PlPS5_mZN2at6native12_GLOBAL__N_124unique_dim_cuda_templateIbEESt5tupleIJNSA_6TensorESF_SF_EERKSF_lbbbEUlllE_EE10hipError_tT0_T1_T2_jT3_P12ihipStream_tbPNSt15iterator_traitsISL_E10value_typeEPNSR_ISM_E10value_typeEPSN_NS1_7vsmem_tEENKUlT_SL_SM_SN_E_clIS8_S8_S9_S9_EESK_S10_SL_SM_SN_EUlS10_E1_NS1_11comp_targetILNS1_3genE10ELNS1_11target_archE1201ELNS1_3gpuE5ELNS1_3repE0EEENS1_36merge_oddeven_config_static_selectorELNS0_4arch9wavefront6targetE0EEEvSM_: ; @_ZN7rocprim17ROCPRIM_400000_NS6detail17trampoline_kernelINS0_14default_configENS1_38merge_sort_block_merge_config_selectorIlNS0_10empty_typeEEEZZNS1_27merge_sort_block_merge_implIS3_PlPS5_mZN2at6native12_GLOBAL__N_124unique_dim_cuda_templateIbEESt5tupleIJNSA_6TensorESF_SF_EERKSF_lbbbEUlllE_EE10hipError_tT0_T1_T2_jT3_P12ihipStream_tbPNSt15iterator_traitsISL_E10value_typeEPNSR_ISM_E10value_typeEPSN_NS1_7vsmem_tEENKUlT_SL_SM_SN_E_clIS8_S8_S9_S9_EESK_S10_SL_SM_SN_EUlS10_E1_NS1_11comp_targetILNS1_3genE10ELNS1_11target_archE1201ELNS1_3gpuE5ELNS1_3repE0EEENS1_36merge_oddeven_config_static_selectorELNS0_4arch9wavefront6targetE0EEEvSM_
; %bb.0:
	.section	.rodata,"a",@progbits
	.p2align	6, 0x0
	.amdhsa_kernel _ZN7rocprim17ROCPRIM_400000_NS6detail17trampoline_kernelINS0_14default_configENS1_38merge_sort_block_merge_config_selectorIlNS0_10empty_typeEEEZZNS1_27merge_sort_block_merge_implIS3_PlPS5_mZN2at6native12_GLOBAL__N_124unique_dim_cuda_templateIbEESt5tupleIJNSA_6TensorESF_SF_EERKSF_lbbbEUlllE_EE10hipError_tT0_T1_T2_jT3_P12ihipStream_tbPNSt15iterator_traitsISL_E10value_typeEPNSR_ISM_E10value_typeEPSN_NS1_7vsmem_tEENKUlT_SL_SM_SN_E_clIS8_S8_S9_S9_EESK_S10_SL_SM_SN_EUlS10_E1_NS1_11comp_targetILNS1_3genE10ELNS1_11target_archE1201ELNS1_3gpuE5ELNS1_3repE0EEENS1_36merge_oddeven_config_static_selectorELNS0_4arch9wavefront6targetE0EEEvSM_
		.amdhsa_group_segment_fixed_size 0
		.amdhsa_private_segment_fixed_size 0
		.amdhsa_kernarg_size 64
		.amdhsa_user_sgpr_count 15
		.amdhsa_user_sgpr_dispatch_ptr 0
		.amdhsa_user_sgpr_queue_ptr 0
		.amdhsa_user_sgpr_kernarg_segment_ptr 1
		.amdhsa_user_sgpr_dispatch_id 0
		.amdhsa_user_sgpr_private_segment_size 0
		.amdhsa_wavefront_size32 1
		.amdhsa_uses_dynamic_stack 0
		.amdhsa_enable_private_segment 0
		.amdhsa_system_sgpr_workgroup_id_x 1
		.amdhsa_system_sgpr_workgroup_id_y 0
		.amdhsa_system_sgpr_workgroup_id_z 0
		.amdhsa_system_sgpr_workgroup_info 0
		.amdhsa_system_vgpr_workitem_id 0
		.amdhsa_next_free_vgpr 1
		.amdhsa_next_free_sgpr 1
		.amdhsa_reserve_vcc 0
		.amdhsa_float_round_mode_32 0
		.amdhsa_float_round_mode_16_64 0
		.amdhsa_float_denorm_mode_32 3
		.amdhsa_float_denorm_mode_16_64 3
		.amdhsa_dx10_clamp 1
		.amdhsa_ieee_mode 1
		.amdhsa_fp16_overflow 0
		.amdhsa_workgroup_processor_mode 1
		.amdhsa_memory_ordered 1
		.amdhsa_forward_progress 0
		.amdhsa_shared_vgpr_count 0
		.amdhsa_exception_fp_ieee_invalid_op 0
		.amdhsa_exception_fp_denorm_src 0
		.amdhsa_exception_fp_ieee_div_zero 0
		.amdhsa_exception_fp_ieee_overflow 0
		.amdhsa_exception_fp_ieee_underflow 0
		.amdhsa_exception_fp_ieee_inexact 0
		.amdhsa_exception_int_div_zero 0
	.end_amdhsa_kernel
	.section	.text._ZN7rocprim17ROCPRIM_400000_NS6detail17trampoline_kernelINS0_14default_configENS1_38merge_sort_block_merge_config_selectorIlNS0_10empty_typeEEEZZNS1_27merge_sort_block_merge_implIS3_PlPS5_mZN2at6native12_GLOBAL__N_124unique_dim_cuda_templateIbEESt5tupleIJNSA_6TensorESF_SF_EERKSF_lbbbEUlllE_EE10hipError_tT0_T1_T2_jT3_P12ihipStream_tbPNSt15iterator_traitsISL_E10value_typeEPNSR_ISM_E10value_typeEPSN_NS1_7vsmem_tEENKUlT_SL_SM_SN_E_clIS8_S8_S9_S9_EESK_S10_SL_SM_SN_EUlS10_E1_NS1_11comp_targetILNS1_3genE10ELNS1_11target_archE1201ELNS1_3gpuE5ELNS1_3repE0EEENS1_36merge_oddeven_config_static_selectorELNS0_4arch9wavefront6targetE0EEEvSM_,"axG",@progbits,_ZN7rocprim17ROCPRIM_400000_NS6detail17trampoline_kernelINS0_14default_configENS1_38merge_sort_block_merge_config_selectorIlNS0_10empty_typeEEEZZNS1_27merge_sort_block_merge_implIS3_PlPS5_mZN2at6native12_GLOBAL__N_124unique_dim_cuda_templateIbEESt5tupleIJNSA_6TensorESF_SF_EERKSF_lbbbEUlllE_EE10hipError_tT0_T1_T2_jT3_P12ihipStream_tbPNSt15iterator_traitsISL_E10value_typeEPNSR_ISM_E10value_typeEPSN_NS1_7vsmem_tEENKUlT_SL_SM_SN_E_clIS8_S8_S9_S9_EESK_S10_SL_SM_SN_EUlS10_E1_NS1_11comp_targetILNS1_3genE10ELNS1_11target_archE1201ELNS1_3gpuE5ELNS1_3repE0EEENS1_36merge_oddeven_config_static_selectorELNS0_4arch9wavefront6targetE0EEEvSM_,comdat
.Lfunc_end1019:
	.size	_ZN7rocprim17ROCPRIM_400000_NS6detail17trampoline_kernelINS0_14default_configENS1_38merge_sort_block_merge_config_selectorIlNS0_10empty_typeEEEZZNS1_27merge_sort_block_merge_implIS3_PlPS5_mZN2at6native12_GLOBAL__N_124unique_dim_cuda_templateIbEESt5tupleIJNSA_6TensorESF_SF_EERKSF_lbbbEUlllE_EE10hipError_tT0_T1_T2_jT3_P12ihipStream_tbPNSt15iterator_traitsISL_E10value_typeEPNSR_ISM_E10value_typeEPSN_NS1_7vsmem_tEENKUlT_SL_SM_SN_E_clIS8_S8_S9_S9_EESK_S10_SL_SM_SN_EUlS10_E1_NS1_11comp_targetILNS1_3genE10ELNS1_11target_archE1201ELNS1_3gpuE5ELNS1_3repE0EEENS1_36merge_oddeven_config_static_selectorELNS0_4arch9wavefront6targetE0EEEvSM_, .Lfunc_end1019-_ZN7rocprim17ROCPRIM_400000_NS6detail17trampoline_kernelINS0_14default_configENS1_38merge_sort_block_merge_config_selectorIlNS0_10empty_typeEEEZZNS1_27merge_sort_block_merge_implIS3_PlPS5_mZN2at6native12_GLOBAL__N_124unique_dim_cuda_templateIbEESt5tupleIJNSA_6TensorESF_SF_EERKSF_lbbbEUlllE_EE10hipError_tT0_T1_T2_jT3_P12ihipStream_tbPNSt15iterator_traitsISL_E10value_typeEPNSR_ISM_E10value_typeEPSN_NS1_7vsmem_tEENKUlT_SL_SM_SN_E_clIS8_S8_S9_S9_EESK_S10_SL_SM_SN_EUlS10_E1_NS1_11comp_targetILNS1_3genE10ELNS1_11target_archE1201ELNS1_3gpuE5ELNS1_3repE0EEENS1_36merge_oddeven_config_static_selectorELNS0_4arch9wavefront6targetE0EEEvSM_
                                        ; -- End function
	.section	.AMDGPU.csdata,"",@progbits
; Kernel info:
; codeLenInByte = 0
; NumSgprs: 0
; NumVgprs: 0
; ScratchSize: 0
; MemoryBound: 0
; FloatMode: 240
; IeeeMode: 1
; LDSByteSize: 0 bytes/workgroup (compile time only)
; SGPRBlocks: 0
; VGPRBlocks: 0
; NumSGPRsForWavesPerEU: 1
; NumVGPRsForWavesPerEU: 1
; Occupancy: 16
; WaveLimiterHint : 0
; COMPUTE_PGM_RSRC2:SCRATCH_EN: 0
; COMPUTE_PGM_RSRC2:USER_SGPR: 15
; COMPUTE_PGM_RSRC2:TRAP_HANDLER: 0
; COMPUTE_PGM_RSRC2:TGID_X_EN: 1
; COMPUTE_PGM_RSRC2:TGID_Y_EN: 0
; COMPUTE_PGM_RSRC2:TGID_Z_EN: 0
; COMPUTE_PGM_RSRC2:TIDIG_COMP_CNT: 0
	.section	.text._ZN7rocprim17ROCPRIM_400000_NS6detail17trampoline_kernelINS0_14default_configENS1_38merge_sort_block_merge_config_selectorIlNS0_10empty_typeEEEZZNS1_27merge_sort_block_merge_implIS3_PlPS5_mZN2at6native12_GLOBAL__N_124unique_dim_cuda_templateIbEESt5tupleIJNSA_6TensorESF_SF_EERKSF_lbbbEUlllE_EE10hipError_tT0_T1_T2_jT3_P12ihipStream_tbPNSt15iterator_traitsISL_E10value_typeEPNSR_ISM_E10value_typeEPSN_NS1_7vsmem_tEENKUlT_SL_SM_SN_E_clIS8_S8_S9_S9_EESK_S10_SL_SM_SN_EUlS10_E1_NS1_11comp_targetILNS1_3genE5ELNS1_11target_archE942ELNS1_3gpuE9ELNS1_3repE0EEENS1_36merge_oddeven_config_static_selectorELNS0_4arch9wavefront6targetE0EEEvSM_,"axG",@progbits,_ZN7rocprim17ROCPRIM_400000_NS6detail17trampoline_kernelINS0_14default_configENS1_38merge_sort_block_merge_config_selectorIlNS0_10empty_typeEEEZZNS1_27merge_sort_block_merge_implIS3_PlPS5_mZN2at6native12_GLOBAL__N_124unique_dim_cuda_templateIbEESt5tupleIJNSA_6TensorESF_SF_EERKSF_lbbbEUlllE_EE10hipError_tT0_T1_T2_jT3_P12ihipStream_tbPNSt15iterator_traitsISL_E10value_typeEPNSR_ISM_E10value_typeEPSN_NS1_7vsmem_tEENKUlT_SL_SM_SN_E_clIS8_S8_S9_S9_EESK_S10_SL_SM_SN_EUlS10_E1_NS1_11comp_targetILNS1_3genE5ELNS1_11target_archE942ELNS1_3gpuE9ELNS1_3repE0EEENS1_36merge_oddeven_config_static_selectorELNS0_4arch9wavefront6targetE0EEEvSM_,comdat
	.globl	_ZN7rocprim17ROCPRIM_400000_NS6detail17trampoline_kernelINS0_14default_configENS1_38merge_sort_block_merge_config_selectorIlNS0_10empty_typeEEEZZNS1_27merge_sort_block_merge_implIS3_PlPS5_mZN2at6native12_GLOBAL__N_124unique_dim_cuda_templateIbEESt5tupleIJNSA_6TensorESF_SF_EERKSF_lbbbEUlllE_EE10hipError_tT0_T1_T2_jT3_P12ihipStream_tbPNSt15iterator_traitsISL_E10value_typeEPNSR_ISM_E10value_typeEPSN_NS1_7vsmem_tEENKUlT_SL_SM_SN_E_clIS8_S8_S9_S9_EESK_S10_SL_SM_SN_EUlS10_E1_NS1_11comp_targetILNS1_3genE5ELNS1_11target_archE942ELNS1_3gpuE9ELNS1_3repE0EEENS1_36merge_oddeven_config_static_selectorELNS0_4arch9wavefront6targetE0EEEvSM_ ; -- Begin function _ZN7rocprim17ROCPRIM_400000_NS6detail17trampoline_kernelINS0_14default_configENS1_38merge_sort_block_merge_config_selectorIlNS0_10empty_typeEEEZZNS1_27merge_sort_block_merge_implIS3_PlPS5_mZN2at6native12_GLOBAL__N_124unique_dim_cuda_templateIbEESt5tupleIJNSA_6TensorESF_SF_EERKSF_lbbbEUlllE_EE10hipError_tT0_T1_T2_jT3_P12ihipStream_tbPNSt15iterator_traitsISL_E10value_typeEPNSR_ISM_E10value_typeEPSN_NS1_7vsmem_tEENKUlT_SL_SM_SN_E_clIS8_S8_S9_S9_EESK_S10_SL_SM_SN_EUlS10_E1_NS1_11comp_targetILNS1_3genE5ELNS1_11target_archE942ELNS1_3gpuE9ELNS1_3repE0EEENS1_36merge_oddeven_config_static_selectorELNS0_4arch9wavefront6targetE0EEEvSM_
	.p2align	8
	.type	_ZN7rocprim17ROCPRIM_400000_NS6detail17trampoline_kernelINS0_14default_configENS1_38merge_sort_block_merge_config_selectorIlNS0_10empty_typeEEEZZNS1_27merge_sort_block_merge_implIS3_PlPS5_mZN2at6native12_GLOBAL__N_124unique_dim_cuda_templateIbEESt5tupleIJNSA_6TensorESF_SF_EERKSF_lbbbEUlllE_EE10hipError_tT0_T1_T2_jT3_P12ihipStream_tbPNSt15iterator_traitsISL_E10value_typeEPNSR_ISM_E10value_typeEPSN_NS1_7vsmem_tEENKUlT_SL_SM_SN_E_clIS8_S8_S9_S9_EESK_S10_SL_SM_SN_EUlS10_E1_NS1_11comp_targetILNS1_3genE5ELNS1_11target_archE942ELNS1_3gpuE9ELNS1_3repE0EEENS1_36merge_oddeven_config_static_selectorELNS0_4arch9wavefront6targetE0EEEvSM_,@function
_ZN7rocprim17ROCPRIM_400000_NS6detail17trampoline_kernelINS0_14default_configENS1_38merge_sort_block_merge_config_selectorIlNS0_10empty_typeEEEZZNS1_27merge_sort_block_merge_implIS3_PlPS5_mZN2at6native12_GLOBAL__N_124unique_dim_cuda_templateIbEESt5tupleIJNSA_6TensorESF_SF_EERKSF_lbbbEUlllE_EE10hipError_tT0_T1_T2_jT3_P12ihipStream_tbPNSt15iterator_traitsISL_E10value_typeEPNSR_ISM_E10value_typeEPSN_NS1_7vsmem_tEENKUlT_SL_SM_SN_E_clIS8_S8_S9_S9_EESK_S10_SL_SM_SN_EUlS10_E1_NS1_11comp_targetILNS1_3genE5ELNS1_11target_archE942ELNS1_3gpuE9ELNS1_3repE0EEENS1_36merge_oddeven_config_static_selectorELNS0_4arch9wavefront6targetE0EEEvSM_: ; @_ZN7rocprim17ROCPRIM_400000_NS6detail17trampoline_kernelINS0_14default_configENS1_38merge_sort_block_merge_config_selectorIlNS0_10empty_typeEEEZZNS1_27merge_sort_block_merge_implIS3_PlPS5_mZN2at6native12_GLOBAL__N_124unique_dim_cuda_templateIbEESt5tupleIJNSA_6TensorESF_SF_EERKSF_lbbbEUlllE_EE10hipError_tT0_T1_T2_jT3_P12ihipStream_tbPNSt15iterator_traitsISL_E10value_typeEPNSR_ISM_E10value_typeEPSN_NS1_7vsmem_tEENKUlT_SL_SM_SN_E_clIS8_S8_S9_S9_EESK_S10_SL_SM_SN_EUlS10_E1_NS1_11comp_targetILNS1_3genE5ELNS1_11target_archE942ELNS1_3gpuE9ELNS1_3repE0EEENS1_36merge_oddeven_config_static_selectorELNS0_4arch9wavefront6targetE0EEEvSM_
; %bb.0:
	.section	.rodata,"a",@progbits
	.p2align	6, 0x0
	.amdhsa_kernel _ZN7rocprim17ROCPRIM_400000_NS6detail17trampoline_kernelINS0_14default_configENS1_38merge_sort_block_merge_config_selectorIlNS0_10empty_typeEEEZZNS1_27merge_sort_block_merge_implIS3_PlPS5_mZN2at6native12_GLOBAL__N_124unique_dim_cuda_templateIbEESt5tupleIJNSA_6TensorESF_SF_EERKSF_lbbbEUlllE_EE10hipError_tT0_T1_T2_jT3_P12ihipStream_tbPNSt15iterator_traitsISL_E10value_typeEPNSR_ISM_E10value_typeEPSN_NS1_7vsmem_tEENKUlT_SL_SM_SN_E_clIS8_S8_S9_S9_EESK_S10_SL_SM_SN_EUlS10_E1_NS1_11comp_targetILNS1_3genE5ELNS1_11target_archE942ELNS1_3gpuE9ELNS1_3repE0EEENS1_36merge_oddeven_config_static_selectorELNS0_4arch9wavefront6targetE0EEEvSM_
		.amdhsa_group_segment_fixed_size 0
		.amdhsa_private_segment_fixed_size 0
		.amdhsa_kernarg_size 64
		.amdhsa_user_sgpr_count 15
		.amdhsa_user_sgpr_dispatch_ptr 0
		.amdhsa_user_sgpr_queue_ptr 0
		.amdhsa_user_sgpr_kernarg_segment_ptr 1
		.amdhsa_user_sgpr_dispatch_id 0
		.amdhsa_user_sgpr_private_segment_size 0
		.amdhsa_wavefront_size32 1
		.amdhsa_uses_dynamic_stack 0
		.amdhsa_enable_private_segment 0
		.amdhsa_system_sgpr_workgroup_id_x 1
		.amdhsa_system_sgpr_workgroup_id_y 0
		.amdhsa_system_sgpr_workgroup_id_z 0
		.amdhsa_system_sgpr_workgroup_info 0
		.amdhsa_system_vgpr_workitem_id 0
		.amdhsa_next_free_vgpr 1
		.amdhsa_next_free_sgpr 1
		.amdhsa_reserve_vcc 0
		.amdhsa_float_round_mode_32 0
		.amdhsa_float_round_mode_16_64 0
		.amdhsa_float_denorm_mode_32 3
		.amdhsa_float_denorm_mode_16_64 3
		.amdhsa_dx10_clamp 1
		.amdhsa_ieee_mode 1
		.amdhsa_fp16_overflow 0
		.amdhsa_workgroup_processor_mode 1
		.amdhsa_memory_ordered 1
		.amdhsa_forward_progress 0
		.amdhsa_shared_vgpr_count 0
		.amdhsa_exception_fp_ieee_invalid_op 0
		.amdhsa_exception_fp_denorm_src 0
		.amdhsa_exception_fp_ieee_div_zero 0
		.amdhsa_exception_fp_ieee_overflow 0
		.amdhsa_exception_fp_ieee_underflow 0
		.amdhsa_exception_fp_ieee_inexact 0
		.amdhsa_exception_int_div_zero 0
	.end_amdhsa_kernel
	.section	.text._ZN7rocprim17ROCPRIM_400000_NS6detail17trampoline_kernelINS0_14default_configENS1_38merge_sort_block_merge_config_selectorIlNS0_10empty_typeEEEZZNS1_27merge_sort_block_merge_implIS3_PlPS5_mZN2at6native12_GLOBAL__N_124unique_dim_cuda_templateIbEESt5tupleIJNSA_6TensorESF_SF_EERKSF_lbbbEUlllE_EE10hipError_tT0_T1_T2_jT3_P12ihipStream_tbPNSt15iterator_traitsISL_E10value_typeEPNSR_ISM_E10value_typeEPSN_NS1_7vsmem_tEENKUlT_SL_SM_SN_E_clIS8_S8_S9_S9_EESK_S10_SL_SM_SN_EUlS10_E1_NS1_11comp_targetILNS1_3genE5ELNS1_11target_archE942ELNS1_3gpuE9ELNS1_3repE0EEENS1_36merge_oddeven_config_static_selectorELNS0_4arch9wavefront6targetE0EEEvSM_,"axG",@progbits,_ZN7rocprim17ROCPRIM_400000_NS6detail17trampoline_kernelINS0_14default_configENS1_38merge_sort_block_merge_config_selectorIlNS0_10empty_typeEEEZZNS1_27merge_sort_block_merge_implIS3_PlPS5_mZN2at6native12_GLOBAL__N_124unique_dim_cuda_templateIbEESt5tupleIJNSA_6TensorESF_SF_EERKSF_lbbbEUlllE_EE10hipError_tT0_T1_T2_jT3_P12ihipStream_tbPNSt15iterator_traitsISL_E10value_typeEPNSR_ISM_E10value_typeEPSN_NS1_7vsmem_tEENKUlT_SL_SM_SN_E_clIS8_S8_S9_S9_EESK_S10_SL_SM_SN_EUlS10_E1_NS1_11comp_targetILNS1_3genE5ELNS1_11target_archE942ELNS1_3gpuE9ELNS1_3repE0EEENS1_36merge_oddeven_config_static_selectorELNS0_4arch9wavefront6targetE0EEEvSM_,comdat
.Lfunc_end1020:
	.size	_ZN7rocprim17ROCPRIM_400000_NS6detail17trampoline_kernelINS0_14default_configENS1_38merge_sort_block_merge_config_selectorIlNS0_10empty_typeEEEZZNS1_27merge_sort_block_merge_implIS3_PlPS5_mZN2at6native12_GLOBAL__N_124unique_dim_cuda_templateIbEESt5tupleIJNSA_6TensorESF_SF_EERKSF_lbbbEUlllE_EE10hipError_tT0_T1_T2_jT3_P12ihipStream_tbPNSt15iterator_traitsISL_E10value_typeEPNSR_ISM_E10value_typeEPSN_NS1_7vsmem_tEENKUlT_SL_SM_SN_E_clIS8_S8_S9_S9_EESK_S10_SL_SM_SN_EUlS10_E1_NS1_11comp_targetILNS1_3genE5ELNS1_11target_archE942ELNS1_3gpuE9ELNS1_3repE0EEENS1_36merge_oddeven_config_static_selectorELNS0_4arch9wavefront6targetE0EEEvSM_, .Lfunc_end1020-_ZN7rocprim17ROCPRIM_400000_NS6detail17trampoline_kernelINS0_14default_configENS1_38merge_sort_block_merge_config_selectorIlNS0_10empty_typeEEEZZNS1_27merge_sort_block_merge_implIS3_PlPS5_mZN2at6native12_GLOBAL__N_124unique_dim_cuda_templateIbEESt5tupleIJNSA_6TensorESF_SF_EERKSF_lbbbEUlllE_EE10hipError_tT0_T1_T2_jT3_P12ihipStream_tbPNSt15iterator_traitsISL_E10value_typeEPNSR_ISM_E10value_typeEPSN_NS1_7vsmem_tEENKUlT_SL_SM_SN_E_clIS8_S8_S9_S9_EESK_S10_SL_SM_SN_EUlS10_E1_NS1_11comp_targetILNS1_3genE5ELNS1_11target_archE942ELNS1_3gpuE9ELNS1_3repE0EEENS1_36merge_oddeven_config_static_selectorELNS0_4arch9wavefront6targetE0EEEvSM_
                                        ; -- End function
	.section	.AMDGPU.csdata,"",@progbits
; Kernel info:
; codeLenInByte = 0
; NumSgprs: 0
; NumVgprs: 0
; ScratchSize: 0
; MemoryBound: 0
; FloatMode: 240
; IeeeMode: 1
; LDSByteSize: 0 bytes/workgroup (compile time only)
; SGPRBlocks: 0
; VGPRBlocks: 0
; NumSGPRsForWavesPerEU: 1
; NumVGPRsForWavesPerEU: 1
; Occupancy: 16
; WaveLimiterHint : 0
; COMPUTE_PGM_RSRC2:SCRATCH_EN: 0
; COMPUTE_PGM_RSRC2:USER_SGPR: 15
; COMPUTE_PGM_RSRC2:TRAP_HANDLER: 0
; COMPUTE_PGM_RSRC2:TGID_X_EN: 1
; COMPUTE_PGM_RSRC2:TGID_Y_EN: 0
; COMPUTE_PGM_RSRC2:TGID_Z_EN: 0
; COMPUTE_PGM_RSRC2:TIDIG_COMP_CNT: 0
	.section	.text._ZN7rocprim17ROCPRIM_400000_NS6detail17trampoline_kernelINS0_14default_configENS1_38merge_sort_block_merge_config_selectorIlNS0_10empty_typeEEEZZNS1_27merge_sort_block_merge_implIS3_PlPS5_mZN2at6native12_GLOBAL__N_124unique_dim_cuda_templateIbEESt5tupleIJNSA_6TensorESF_SF_EERKSF_lbbbEUlllE_EE10hipError_tT0_T1_T2_jT3_P12ihipStream_tbPNSt15iterator_traitsISL_E10value_typeEPNSR_ISM_E10value_typeEPSN_NS1_7vsmem_tEENKUlT_SL_SM_SN_E_clIS8_S8_S9_S9_EESK_S10_SL_SM_SN_EUlS10_E1_NS1_11comp_targetILNS1_3genE4ELNS1_11target_archE910ELNS1_3gpuE8ELNS1_3repE0EEENS1_36merge_oddeven_config_static_selectorELNS0_4arch9wavefront6targetE0EEEvSM_,"axG",@progbits,_ZN7rocprim17ROCPRIM_400000_NS6detail17trampoline_kernelINS0_14default_configENS1_38merge_sort_block_merge_config_selectorIlNS0_10empty_typeEEEZZNS1_27merge_sort_block_merge_implIS3_PlPS5_mZN2at6native12_GLOBAL__N_124unique_dim_cuda_templateIbEESt5tupleIJNSA_6TensorESF_SF_EERKSF_lbbbEUlllE_EE10hipError_tT0_T1_T2_jT3_P12ihipStream_tbPNSt15iterator_traitsISL_E10value_typeEPNSR_ISM_E10value_typeEPSN_NS1_7vsmem_tEENKUlT_SL_SM_SN_E_clIS8_S8_S9_S9_EESK_S10_SL_SM_SN_EUlS10_E1_NS1_11comp_targetILNS1_3genE4ELNS1_11target_archE910ELNS1_3gpuE8ELNS1_3repE0EEENS1_36merge_oddeven_config_static_selectorELNS0_4arch9wavefront6targetE0EEEvSM_,comdat
	.globl	_ZN7rocprim17ROCPRIM_400000_NS6detail17trampoline_kernelINS0_14default_configENS1_38merge_sort_block_merge_config_selectorIlNS0_10empty_typeEEEZZNS1_27merge_sort_block_merge_implIS3_PlPS5_mZN2at6native12_GLOBAL__N_124unique_dim_cuda_templateIbEESt5tupleIJNSA_6TensorESF_SF_EERKSF_lbbbEUlllE_EE10hipError_tT0_T1_T2_jT3_P12ihipStream_tbPNSt15iterator_traitsISL_E10value_typeEPNSR_ISM_E10value_typeEPSN_NS1_7vsmem_tEENKUlT_SL_SM_SN_E_clIS8_S8_S9_S9_EESK_S10_SL_SM_SN_EUlS10_E1_NS1_11comp_targetILNS1_3genE4ELNS1_11target_archE910ELNS1_3gpuE8ELNS1_3repE0EEENS1_36merge_oddeven_config_static_selectorELNS0_4arch9wavefront6targetE0EEEvSM_ ; -- Begin function _ZN7rocprim17ROCPRIM_400000_NS6detail17trampoline_kernelINS0_14default_configENS1_38merge_sort_block_merge_config_selectorIlNS0_10empty_typeEEEZZNS1_27merge_sort_block_merge_implIS3_PlPS5_mZN2at6native12_GLOBAL__N_124unique_dim_cuda_templateIbEESt5tupleIJNSA_6TensorESF_SF_EERKSF_lbbbEUlllE_EE10hipError_tT0_T1_T2_jT3_P12ihipStream_tbPNSt15iterator_traitsISL_E10value_typeEPNSR_ISM_E10value_typeEPSN_NS1_7vsmem_tEENKUlT_SL_SM_SN_E_clIS8_S8_S9_S9_EESK_S10_SL_SM_SN_EUlS10_E1_NS1_11comp_targetILNS1_3genE4ELNS1_11target_archE910ELNS1_3gpuE8ELNS1_3repE0EEENS1_36merge_oddeven_config_static_selectorELNS0_4arch9wavefront6targetE0EEEvSM_
	.p2align	8
	.type	_ZN7rocprim17ROCPRIM_400000_NS6detail17trampoline_kernelINS0_14default_configENS1_38merge_sort_block_merge_config_selectorIlNS0_10empty_typeEEEZZNS1_27merge_sort_block_merge_implIS3_PlPS5_mZN2at6native12_GLOBAL__N_124unique_dim_cuda_templateIbEESt5tupleIJNSA_6TensorESF_SF_EERKSF_lbbbEUlllE_EE10hipError_tT0_T1_T2_jT3_P12ihipStream_tbPNSt15iterator_traitsISL_E10value_typeEPNSR_ISM_E10value_typeEPSN_NS1_7vsmem_tEENKUlT_SL_SM_SN_E_clIS8_S8_S9_S9_EESK_S10_SL_SM_SN_EUlS10_E1_NS1_11comp_targetILNS1_3genE4ELNS1_11target_archE910ELNS1_3gpuE8ELNS1_3repE0EEENS1_36merge_oddeven_config_static_selectorELNS0_4arch9wavefront6targetE0EEEvSM_,@function
_ZN7rocprim17ROCPRIM_400000_NS6detail17trampoline_kernelINS0_14default_configENS1_38merge_sort_block_merge_config_selectorIlNS0_10empty_typeEEEZZNS1_27merge_sort_block_merge_implIS3_PlPS5_mZN2at6native12_GLOBAL__N_124unique_dim_cuda_templateIbEESt5tupleIJNSA_6TensorESF_SF_EERKSF_lbbbEUlllE_EE10hipError_tT0_T1_T2_jT3_P12ihipStream_tbPNSt15iterator_traitsISL_E10value_typeEPNSR_ISM_E10value_typeEPSN_NS1_7vsmem_tEENKUlT_SL_SM_SN_E_clIS8_S8_S9_S9_EESK_S10_SL_SM_SN_EUlS10_E1_NS1_11comp_targetILNS1_3genE4ELNS1_11target_archE910ELNS1_3gpuE8ELNS1_3repE0EEENS1_36merge_oddeven_config_static_selectorELNS0_4arch9wavefront6targetE0EEEvSM_: ; @_ZN7rocprim17ROCPRIM_400000_NS6detail17trampoline_kernelINS0_14default_configENS1_38merge_sort_block_merge_config_selectorIlNS0_10empty_typeEEEZZNS1_27merge_sort_block_merge_implIS3_PlPS5_mZN2at6native12_GLOBAL__N_124unique_dim_cuda_templateIbEESt5tupleIJNSA_6TensorESF_SF_EERKSF_lbbbEUlllE_EE10hipError_tT0_T1_T2_jT3_P12ihipStream_tbPNSt15iterator_traitsISL_E10value_typeEPNSR_ISM_E10value_typeEPSN_NS1_7vsmem_tEENKUlT_SL_SM_SN_E_clIS8_S8_S9_S9_EESK_S10_SL_SM_SN_EUlS10_E1_NS1_11comp_targetILNS1_3genE4ELNS1_11target_archE910ELNS1_3gpuE8ELNS1_3repE0EEENS1_36merge_oddeven_config_static_selectorELNS0_4arch9wavefront6targetE0EEEvSM_
; %bb.0:
	.section	.rodata,"a",@progbits
	.p2align	6, 0x0
	.amdhsa_kernel _ZN7rocprim17ROCPRIM_400000_NS6detail17trampoline_kernelINS0_14default_configENS1_38merge_sort_block_merge_config_selectorIlNS0_10empty_typeEEEZZNS1_27merge_sort_block_merge_implIS3_PlPS5_mZN2at6native12_GLOBAL__N_124unique_dim_cuda_templateIbEESt5tupleIJNSA_6TensorESF_SF_EERKSF_lbbbEUlllE_EE10hipError_tT0_T1_T2_jT3_P12ihipStream_tbPNSt15iterator_traitsISL_E10value_typeEPNSR_ISM_E10value_typeEPSN_NS1_7vsmem_tEENKUlT_SL_SM_SN_E_clIS8_S8_S9_S9_EESK_S10_SL_SM_SN_EUlS10_E1_NS1_11comp_targetILNS1_3genE4ELNS1_11target_archE910ELNS1_3gpuE8ELNS1_3repE0EEENS1_36merge_oddeven_config_static_selectorELNS0_4arch9wavefront6targetE0EEEvSM_
		.amdhsa_group_segment_fixed_size 0
		.amdhsa_private_segment_fixed_size 0
		.amdhsa_kernarg_size 64
		.amdhsa_user_sgpr_count 15
		.amdhsa_user_sgpr_dispatch_ptr 0
		.amdhsa_user_sgpr_queue_ptr 0
		.amdhsa_user_sgpr_kernarg_segment_ptr 1
		.amdhsa_user_sgpr_dispatch_id 0
		.amdhsa_user_sgpr_private_segment_size 0
		.amdhsa_wavefront_size32 1
		.amdhsa_uses_dynamic_stack 0
		.amdhsa_enable_private_segment 0
		.amdhsa_system_sgpr_workgroup_id_x 1
		.amdhsa_system_sgpr_workgroup_id_y 0
		.amdhsa_system_sgpr_workgroup_id_z 0
		.amdhsa_system_sgpr_workgroup_info 0
		.amdhsa_system_vgpr_workitem_id 0
		.amdhsa_next_free_vgpr 1
		.amdhsa_next_free_sgpr 1
		.amdhsa_reserve_vcc 0
		.amdhsa_float_round_mode_32 0
		.amdhsa_float_round_mode_16_64 0
		.amdhsa_float_denorm_mode_32 3
		.amdhsa_float_denorm_mode_16_64 3
		.amdhsa_dx10_clamp 1
		.amdhsa_ieee_mode 1
		.amdhsa_fp16_overflow 0
		.amdhsa_workgroup_processor_mode 1
		.amdhsa_memory_ordered 1
		.amdhsa_forward_progress 0
		.amdhsa_shared_vgpr_count 0
		.amdhsa_exception_fp_ieee_invalid_op 0
		.amdhsa_exception_fp_denorm_src 0
		.amdhsa_exception_fp_ieee_div_zero 0
		.amdhsa_exception_fp_ieee_overflow 0
		.amdhsa_exception_fp_ieee_underflow 0
		.amdhsa_exception_fp_ieee_inexact 0
		.amdhsa_exception_int_div_zero 0
	.end_amdhsa_kernel
	.section	.text._ZN7rocprim17ROCPRIM_400000_NS6detail17trampoline_kernelINS0_14default_configENS1_38merge_sort_block_merge_config_selectorIlNS0_10empty_typeEEEZZNS1_27merge_sort_block_merge_implIS3_PlPS5_mZN2at6native12_GLOBAL__N_124unique_dim_cuda_templateIbEESt5tupleIJNSA_6TensorESF_SF_EERKSF_lbbbEUlllE_EE10hipError_tT0_T1_T2_jT3_P12ihipStream_tbPNSt15iterator_traitsISL_E10value_typeEPNSR_ISM_E10value_typeEPSN_NS1_7vsmem_tEENKUlT_SL_SM_SN_E_clIS8_S8_S9_S9_EESK_S10_SL_SM_SN_EUlS10_E1_NS1_11comp_targetILNS1_3genE4ELNS1_11target_archE910ELNS1_3gpuE8ELNS1_3repE0EEENS1_36merge_oddeven_config_static_selectorELNS0_4arch9wavefront6targetE0EEEvSM_,"axG",@progbits,_ZN7rocprim17ROCPRIM_400000_NS6detail17trampoline_kernelINS0_14default_configENS1_38merge_sort_block_merge_config_selectorIlNS0_10empty_typeEEEZZNS1_27merge_sort_block_merge_implIS3_PlPS5_mZN2at6native12_GLOBAL__N_124unique_dim_cuda_templateIbEESt5tupleIJNSA_6TensorESF_SF_EERKSF_lbbbEUlllE_EE10hipError_tT0_T1_T2_jT3_P12ihipStream_tbPNSt15iterator_traitsISL_E10value_typeEPNSR_ISM_E10value_typeEPSN_NS1_7vsmem_tEENKUlT_SL_SM_SN_E_clIS8_S8_S9_S9_EESK_S10_SL_SM_SN_EUlS10_E1_NS1_11comp_targetILNS1_3genE4ELNS1_11target_archE910ELNS1_3gpuE8ELNS1_3repE0EEENS1_36merge_oddeven_config_static_selectorELNS0_4arch9wavefront6targetE0EEEvSM_,comdat
.Lfunc_end1021:
	.size	_ZN7rocprim17ROCPRIM_400000_NS6detail17trampoline_kernelINS0_14default_configENS1_38merge_sort_block_merge_config_selectorIlNS0_10empty_typeEEEZZNS1_27merge_sort_block_merge_implIS3_PlPS5_mZN2at6native12_GLOBAL__N_124unique_dim_cuda_templateIbEESt5tupleIJNSA_6TensorESF_SF_EERKSF_lbbbEUlllE_EE10hipError_tT0_T1_T2_jT3_P12ihipStream_tbPNSt15iterator_traitsISL_E10value_typeEPNSR_ISM_E10value_typeEPSN_NS1_7vsmem_tEENKUlT_SL_SM_SN_E_clIS8_S8_S9_S9_EESK_S10_SL_SM_SN_EUlS10_E1_NS1_11comp_targetILNS1_3genE4ELNS1_11target_archE910ELNS1_3gpuE8ELNS1_3repE0EEENS1_36merge_oddeven_config_static_selectorELNS0_4arch9wavefront6targetE0EEEvSM_, .Lfunc_end1021-_ZN7rocprim17ROCPRIM_400000_NS6detail17trampoline_kernelINS0_14default_configENS1_38merge_sort_block_merge_config_selectorIlNS0_10empty_typeEEEZZNS1_27merge_sort_block_merge_implIS3_PlPS5_mZN2at6native12_GLOBAL__N_124unique_dim_cuda_templateIbEESt5tupleIJNSA_6TensorESF_SF_EERKSF_lbbbEUlllE_EE10hipError_tT0_T1_T2_jT3_P12ihipStream_tbPNSt15iterator_traitsISL_E10value_typeEPNSR_ISM_E10value_typeEPSN_NS1_7vsmem_tEENKUlT_SL_SM_SN_E_clIS8_S8_S9_S9_EESK_S10_SL_SM_SN_EUlS10_E1_NS1_11comp_targetILNS1_3genE4ELNS1_11target_archE910ELNS1_3gpuE8ELNS1_3repE0EEENS1_36merge_oddeven_config_static_selectorELNS0_4arch9wavefront6targetE0EEEvSM_
                                        ; -- End function
	.section	.AMDGPU.csdata,"",@progbits
; Kernel info:
; codeLenInByte = 0
; NumSgprs: 0
; NumVgprs: 0
; ScratchSize: 0
; MemoryBound: 0
; FloatMode: 240
; IeeeMode: 1
; LDSByteSize: 0 bytes/workgroup (compile time only)
; SGPRBlocks: 0
; VGPRBlocks: 0
; NumSGPRsForWavesPerEU: 1
; NumVGPRsForWavesPerEU: 1
; Occupancy: 16
; WaveLimiterHint : 0
; COMPUTE_PGM_RSRC2:SCRATCH_EN: 0
; COMPUTE_PGM_RSRC2:USER_SGPR: 15
; COMPUTE_PGM_RSRC2:TRAP_HANDLER: 0
; COMPUTE_PGM_RSRC2:TGID_X_EN: 1
; COMPUTE_PGM_RSRC2:TGID_Y_EN: 0
; COMPUTE_PGM_RSRC2:TGID_Z_EN: 0
; COMPUTE_PGM_RSRC2:TIDIG_COMP_CNT: 0
	.section	.text._ZN7rocprim17ROCPRIM_400000_NS6detail17trampoline_kernelINS0_14default_configENS1_38merge_sort_block_merge_config_selectorIlNS0_10empty_typeEEEZZNS1_27merge_sort_block_merge_implIS3_PlPS5_mZN2at6native12_GLOBAL__N_124unique_dim_cuda_templateIbEESt5tupleIJNSA_6TensorESF_SF_EERKSF_lbbbEUlllE_EE10hipError_tT0_T1_T2_jT3_P12ihipStream_tbPNSt15iterator_traitsISL_E10value_typeEPNSR_ISM_E10value_typeEPSN_NS1_7vsmem_tEENKUlT_SL_SM_SN_E_clIS8_S8_S9_S9_EESK_S10_SL_SM_SN_EUlS10_E1_NS1_11comp_targetILNS1_3genE3ELNS1_11target_archE908ELNS1_3gpuE7ELNS1_3repE0EEENS1_36merge_oddeven_config_static_selectorELNS0_4arch9wavefront6targetE0EEEvSM_,"axG",@progbits,_ZN7rocprim17ROCPRIM_400000_NS6detail17trampoline_kernelINS0_14default_configENS1_38merge_sort_block_merge_config_selectorIlNS0_10empty_typeEEEZZNS1_27merge_sort_block_merge_implIS3_PlPS5_mZN2at6native12_GLOBAL__N_124unique_dim_cuda_templateIbEESt5tupleIJNSA_6TensorESF_SF_EERKSF_lbbbEUlllE_EE10hipError_tT0_T1_T2_jT3_P12ihipStream_tbPNSt15iterator_traitsISL_E10value_typeEPNSR_ISM_E10value_typeEPSN_NS1_7vsmem_tEENKUlT_SL_SM_SN_E_clIS8_S8_S9_S9_EESK_S10_SL_SM_SN_EUlS10_E1_NS1_11comp_targetILNS1_3genE3ELNS1_11target_archE908ELNS1_3gpuE7ELNS1_3repE0EEENS1_36merge_oddeven_config_static_selectorELNS0_4arch9wavefront6targetE0EEEvSM_,comdat
	.globl	_ZN7rocprim17ROCPRIM_400000_NS6detail17trampoline_kernelINS0_14default_configENS1_38merge_sort_block_merge_config_selectorIlNS0_10empty_typeEEEZZNS1_27merge_sort_block_merge_implIS3_PlPS5_mZN2at6native12_GLOBAL__N_124unique_dim_cuda_templateIbEESt5tupleIJNSA_6TensorESF_SF_EERKSF_lbbbEUlllE_EE10hipError_tT0_T1_T2_jT3_P12ihipStream_tbPNSt15iterator_traitsISL_E10value_typeEPNSR_ISM_E10value_typeEPSN_NS1_7vsmem_tEENKUlT_SL_SM_SN_E_clIS8_S8_S9_S9_EESK_S10_SL_SM_SN_EUlS10_E1_NS1_11comp_targetILNS1_3genE3ELNS1_11target_archE908ELNS1_3gpuE7ELNS1_3repE0EEENS1_36merge_oddeven_config_static_selectorELNS0_4arch9wavefront6targetE0EEEvSM_ ; -- Begin function _ZN7rocprim17ROCPRIM_400000_NS6detail17trampoline_kernelINS0_14default_configENS1_38merge_sort_block_merge_config_selectorIlNS0_10empty_typeEEEZZNS1_27merge_sort_block_merge_implIS3_PlPS5_mZN2at6native12_GLOBAL__N_124unique_dim_cuda_templateIbEESt5tupleIJNSA_6TensorESF_SF_EERKSF_lbbbEUlllE_EE10hipError_tT0_T1_T2_jT3_P12ihipStream_tbPNSt15iterator_traitsISL_E10value_typeEPNSR_ISM_E10value_typeEPSN_NS1_7vsmem_tEENKUlT_SL_SM_SN_E_clIS8_S8_S9_S9_EESK_S10_SL_SM_SN_EUlS10_E1_NS1_11comp_targetILNS1_3genE3ELNS1_11target_archE908ELNS1_3gpuE7ELNS1_3repE0EEENS1_36merge_oddeven_config_static_selectorELNS0_4arch9wavefront6targetE0EEEvSM_
	.p2align	8
	.type	_ZN7rocprim17ROCPRIM_400000_NS6detail17trampoline_kernelINS0_14default_configENS1_38merge_sort_block_merge_config_selectorIlNS0_10empty_typeEEEZZNS1_27merge_sort_block_merge_implIS3_PlPS5_mZN2at6native12_GLOBAL__N_124unique_dim_cuda_templateIbEESt5tupleIJNSA_6TensorESF_SF_EERKSF_lbbbEUlllE_EE10hipError_tT0_T1_T2_jT3_P12ihipStream_tbPNSt15iterator_traitsISL_E10value_typeEPNSR_ISM_E10value_typeEPSN_NS1_7vsmem_tEENKUlT_SL_SM_SN_E_clIS8_S8_S9_S9_EESK_S10_SL_SM_SN_EUlS10_E1_NS1_11comp_targetILNS1_3genE3ELNS1_11target_archE908ELNS1_3gpuE7ELNS1_3repE0EEENS1_36merge_oddeven_config_static_selectorELNS0_4arch9wavefront6targetE0EEEvSM_,@function
_ZN7rocprim17ROCPRIM_400000_NS6detail17trampoline_kernelINS0_14default_configENS1_38merge_sort_block_merge_config_selectorIlNS0_10empty_typeEEEZZNS1_27merge_sort_block_merge_implIS3_PlPS5_mZN2at6native12_GLOBAL__N_124unique_dim_cuda_templateIbEESt5tupleIJNSA_6TensorESF_SF_EERKSF_lbbbEUlllE_EE10hipError_tT0_T1_T2_jT3_P12ihipStream_tbPNSt15iterator_traitsISL_E10value_typeEPNSR_ISM_E10value_typeEPSN_NS1_7vsmem_tEENKUlT_SL_SM_SN_E_clIS8_S8_S9_S9_EESK_S10_SL_SM_SN_EUlS10_E1_NS1_11comp_targetILNS1_3genE3ELNS1_11target_archE908ELNS1_3gpuE7ELNS1_3repE0EEENS1_36merge_oddeven_config_static_selectorELNS0_4arch9wavefront6targetE0EEEvSM_: ; @_ZN7rocprim17ROCPRIM_400000_NS6detail17trampoline_kernelINS0_14default_configENS1_38merge_sort_block_merge_config_selectorIlNS0_10empty_typeEEEZZNS1_27merge_sort_block_merge_implIS3_PlPS5_mZN2at6native12_GLOBAL__N_124unique_dim_cuda_templateIbEESt5tupleIJNSA_6TensorESF_SF_EERKSF_lbbbEUlllE_EE10hipError_tT0_T1_T2_jT3_P12ihipStream_tbPNSt15iterator_traitsISL_E10value_typeEPNSR_ISM_E10value_typeEPSN_NS1_7vsmem_tEENKUlT_SL_SM_SN_E_clIS8_S8_S9_S9_EESK_S10_SL_SM_SN_EUlS10_E1_NS1_11comp_targetILNS1_3genE3ELNS1_11target_archE908ELNS1_3gpuE7ELNS1_3repE0EEENS1_36merge_oddeven_config_static_selectorELNS0_4arch9wavefront6targetE0EEEvSM_
; %bb.0:
	.section	.rodata,"a",@progbits
	.p2align	6, 0x0
	.amdhsa_kernel _ZN7rocprim17ROCPRIM_400000_NS6detail17trampoline_kernelINS0_14default_configENS1_38merge_sort_block_merge_config_selectorIlNS0_10empty_typeEEEZZNS1_27merge_sort_block_merge_implIS3_PlPS5_mZN2at6native12_GLOBAL__N_124unique_dim_cuda_templateIbEESt5tupleIJNSA_6TensorESF_SF_EERKSF_lbbbEUlllE_EE10hipError_tT0_T1_T2_jT3_P12ihipStream_tbPNSt15iterator_traitsISL_E10value_typeEPNSR_ISM_E10value_typeEPSN_NS1_7vsmem_tEENKUlT_SL_SM_SN_E_clIS8_S8_S9_S9_EESK_S10_SL_SM_SN_EUlS10_E1_NS1_11comp_targetILNS1_3genE3ELNS1_11target_archE908ELNS1_3gpuE7ELNS1_3repE0EEENS1_36merge_oddeven_config_static_selectorELNS0_4arch9wavefront6targetE0EEEvSM_
		.amdhsa_group_segment_fixed_size 0
		.amdhsa_private_segment_fixed_size 0
		.amdhsa_kernarg_size 64
		.amdhsa_user_sgpr_count 15
		.amdhsa_user_sgpr_dispatch_ptr 0
		.amdhsa_user_sgpr_queue_ptr 0
		.amdhsa_user_sgpr_kernarg_segment_ptr 1
		.amdhsa_user_sgpr_dispatch_id 0
		.amdhsa_user_sgpr_private_segment_size 0
		.amdhsa_wavefront_size32 1
		.amdhsa_uses_dynamic_stack 0
		.amdhsa_enable_private_segment 0
		.amdhsa_system_sgpr_workgroup_id_x 1
		.amdhsa_system_sgpr_workgroup_id_y 0
		.amdhsa_system_sgpr_workgroup_id_z 0
		.amdhsa_system_sgpr_workgroup_info 0
		.amdhsa_system_vgpr_workitem_id 0
		.amdhsa_next_free_vgpr 1
		.amdhsa_next_free_sgpr 1
		.amdhsa_reserve_vcc 0
		.amdhsa_float_round_mode_32 0
		.amdhsa_float_round_mode_16_64 0
		.amdhsa_float_denorm_mode_32 3
		.amdhsa_float_denorm_mode_16_64 3
		.amdhsa_dx10_clamp 1
		.amdhsa_ieee_mode 1
		.amdhsa_fp16_overflow 0
		.amdhsa_workgroup_processor_mode 1
		.amdhsa_memory_ordered 1
		.amdhsa_forward_progress 0
		.amdhsa_shared_vgpr_count 0
		.amdhsa_exception_fp_ieee_invalid_op 0
		.amdhsa_exception_fp_denorm_src 0
		.amdhsa_exception_fp_ieee_div_zero 0
		.amdhsa_exception_fp_ieee_overflow 0
		.amdhsa_exception_fp_ieee_underflow 0
		.amdhsa_exception_fp_ieee_inexact 0
		.amdhsa_exception_int_div_zero 0
	.end_amdhsa_kernel
	.section	.text._ZN7rocprim17ROCPRIM_400000_NS6detail17trampoline_kernelINS0_14default_configENS1_38merge_sort_block_merge_config_selectorIlNS0_10empty_typeEEEZZNS1_27merge_sort_block_merge_implIS3_PlPS5_mZN2at6native12_GLOBAL__N_124unique_dim_cuda_templateIbEESt5tupleIJNSA_6TensorESF_SF_EERKSF_lbbbEUlllE_EE10hipError_tT0_T1_T2_jT3_P12ihipStream_tbPNSt15iterator_traitsISL_E10value_typeEPNSR_ISM_E10value_typeEPSN_NS1_7vsmem_tEENKUlT_SL_SM_SN_E_clIS8_S8_S9_S9_EESK_S10_SL_SM_SN_EUlS10_E1_NS1_11comp_targetILNS1_3genE3ELNS1_11target_archE908ELNS1_3gpuE7ELNS1_3repE0EEENS1_36merge_oddeven_config_static_selectorELNS0_4arch9wavefront6targetE0EEEvSM_,"axG",@progbits,_ZN7rocprim17ROCPRIM_400000_NS6detail17trampoline_kernelINS0_14default_configENS1_38merge_sort_block_merge_config_selectorIlNS0_10empty_typeEEEZZNS1_27merge_sort_block_merge_implIS3_PlPS5_mZN2at6native12_GLOBAL__N_124unique_dim_cuda_templateIbEESt5tupleIJNSA_6TensorESF_SF_EERKSF_lbbbEUlllE_EE10hipError_tT0_T1_T2_jT3_P12ihipStream_tbPNSt15iterator_traitsISL_E10value_typeEPNSR_ISM_E10value_typeEPSN_NS1_7vsmem_tEENKUlT_SL_SM_SN_E_clIS8_S8_S9_S9_EESK_S10_SL_SM_SN_EUlS10_E1_NS1_11comp_targetILNS1_3genE3ELNS1_11target_archE908ELNS1_3gpuE7ELNS1_3repE0EEENS1_36merge_oddeven_config_static_selectorELNS0_4arch9wavefront6targetE0EEEvSM_,comdat
.Lfunc_end1022:
	.size	_ZN7rocprim17ROCPRIM_400000_NS6detail17trampoline_kernelINS0_14default_configENS1_38merge_sort_block_merge_config_selectorIlNS0_10empty_typeEEEZZNS1_27merge_sort_block_merge_implIS3_PlPS5_mZN2at6native12_GLOBAL__N_124unique_dim_cuda_templateIbEESt5tupleIJNSA_6TensorESF_SF_EERKSF_lbbbEUlllE_EE10hipError_tT0_T1_T2_jT3_P12ihipStream_tbPNSt15iterator_traitsISL_E10value_typeEPNSR_ISM_E10value_typeEPSN_NS1_7vsmem_tEENKUlT_SL_SM_SN_E_clIS8_S8_S9_S9_EESK_S10_SL_SM_SN_EUlS10_E1_NS1_11comp_targetILNS1_3genE3ELNS1_11target_archE908ELNS1_3gpuE7ELNS1_3repE0EEENS1_36merge_oddeven_config_static_selectorELNS0_4arch9wavefront6targetE0EEEvSM_, .Lfunc_end1022-_ZN7rocprim17ROCPRIM_400000_NS6detail17trampoline_kernelINS0_14default_configENS1_38merge_sort_block_merge_config_selectorIlNS0_10empty_typeEEEZZNS1_27merge_sort_block_merge_implIS3_PlPS5_mZN2at6native12_GLOBAL__N_124unique_dim_cuda_templateIbEESt5tupleIJNSA_6TensorESF_SF_EERKSF_lbbbEUlllE_EE10hipError_tT0_T1_T2_jT3_P12ihipStream_tbPNSt15iterator_traitsISL_E10value_typeEPNSR_ISM_E10value_typeEPSN_NS1_7vsmem_tEENKUlT_SL_SM_SN_E_clIS8_S8_S9_S9_EESK_S10_SL_SM_SN_EUlS10_E1_NS1_11comp_targetILNS1_3genE3ELNS1_11target_archE908ELNS1_3gpuE7ELNS1_3repE0EEENS1_36merge_oddeven_config_static_selectorELNS0_4arch9wavefront6targetE0EEEvSM_
                                        ; -- End function
	.section	.AMDGPU.csdata,"",@progbits
; Kernel info:
; codeLenInByte = 0
; NumSgprs: 0
; NumVgprs: 0
; ScratchSize: 0
; MemoryBound: 0
; FloatMode: 240
; IeeeMode: 1
; LDSByteSize: 0 bytes/workgroup (compile time only)
; SGPRBlocks: 0
; VGPRBlocks: 0
; NumSGPRsForWavesPerEU: 1
; NumVGPRsForWavesPerEU: 1
; Occupancy: 16
; WaveLimiterHint : 0
; COMPUTE_PGM_RSRC2:SCRATCH_EN: 0
; COMPUTE_PGM_RSRC2:USER_SGPR: 15
; COMPUTE_PGM_RSRC2:TRAP_HANDLER: 0
; COMPUTE_PGM_RSRC2:TGID_X_EN: 1
; COMPUTE_PGM_RSRC2:TGID_Y_EN: 0
; COMPUTE_PGM_RSRC2:TGID_Z_EN: 0
; COMPUTE_PGM_RSRC2:TIDIG_COMP_CNT: 0
	.section	.text._ZN7rocprim17ROCPRIM_400000_NS6detail17trampoline_kernelINS0_14default_configENS1_38merge_sort_block_merge_config_selectorIlNS0_10empty_typeEEEZZNS1_27merge_sort_block_merge_implIS3_PlPS5_mZN2at6native12_GLOBAL__N_124unique_dim_cuda_templateIbEESt5tupleIJNSA_6TensorESF_SF_EERKSF_lbbbEUlllE_EE10hipError_tT0_T1_T2_jT3_P12ihipStream_tbPNSt15iterator_traitsISL_E10value_typeEPNSR_ISM_E10value_typeEPSN_NS1_7vsmem_tEENKUlT_SL_SM_SN_E_clIS8_S8_S9_S9_EESK_S10_SL_SM_SN_EUlS10_E1_NS1_11comp_targetILNS1_3genE2ELNS1_11target_archE906ELNS1_3gpuE6ELNS1_3repE0EEENS1_36merge_oddeven_config_static_selectorELNS0_4arch9wavefront6targetE0EEEvSM_,"axG",@progbits,_ZN7rocprim17ROCPRIM_400000_NS6detail17trampoline_kernelINS0_14default_configENS1_38merge_sort_block_merge_config_selectorIlNS0_10empty_typeEEEZZNS1_27merge_sort_block_merge_implIS3_PlPS5_mZN2at6native12_GLOBAL__N_124unique_dim_cuda_templateIbEESt5tupleIJNSA_6TensorESF_SF_EERKSF_lbbbEUlllE_EE10hipError_tT0_T1_T2_jT3_P12ihipStream_tbPNSt15iterator_traitsISL_E10value_typeEPNSR_ISM_E10value_typeEPSN_NS1_7vsmem_tEENKUlT_SL_SM_SN_E_clIS8_S8_S9_S9_EESK_S10_SL_SM_SN_EUlS10_E1_NS1_11comp_targetILNS1_3genE2ELNS1_11target_archE906ELNS1_3gpuE6ELNS1_3repE0EEENS1_36merge_oddeven_config_static_selectorELNS0_4arch9wavefront6targetE0EEEvSM_,comdat
	.globl	_ZN7rocprim17ROCPRIM_400000_NS6detail17trampoline_kernelINS0_14default_configENS1_38merge_sort_block_merge_config_selectorIlNS0_10empty_typeEEEZZNS1_27merge_sort_block_merge_implIS3_PlPS5_mZN2at6native12_GLOBAL__N_124unique_dim_cuda_templateIbEESt5tupleIJNSA_6TensorESF_SF_EERKSF_lbbbEUlllE_EE10hipError_tT0_T1_T2_jT3_P12ihipStream_tbPNSt15iterator_traitsISL_E10value_typeEPNSR_ISM_E10value_typeEPSN_NS1_7vsmem_tEENKUlT_SL_SM_SN_E_clIS8_S8_S9_S9_EESK_S10_SL_SM_SN_EUlS10_E1_NS1_11comp_targetILNS1_3genE2ELNS1_11target_archE906ELNS1_3gpuE6ELNS1_3repE0EEENS1_36merge_oddeven_config_static_selectorELNS0_4arch9wavefront6targetE0EEEvSM_ ; -- Begin function _ZN7rocprim17ROCPRIM_400000_NS6detail17trampoline_kernelINS0_14default_configENS1_38merge_sort_block_merge_config_selectorIlNS0_10empty_typeEEEZZNS1_27merge_sort_block_merge_implIS3_PlPS5_mZN2at6native12_GLOBAL__N_124unique_dim_cuda_templateIbEESt5tupleIJNSA_6TensorESF_SF_EERKSF_lbbbEUlllE_EE10hipError_tT0_T1_T2_jT3_P12ihipStream_tbPNSt15iterator_traitsISL_E10value_typeEPNSR_ISM_E10value_typeEPSN_NS1_7vsmem_tEENKUlT_SL_SM_SN_E_clIS8_S8_S9_S9_EESK_S10_SL_SM_SN_EUlS10_E1_NS1_11comp_targetILNS1_3genE2ELNS1_11target_archE906ELNS1_3gpuE6ELNS1_3repE0EEENS1_36merge_oddeven_config_static_selectorELNS0_4arch9wavefront6targetE0EEEvSM_
	.p2align	8
	.type	_ZN7rocprim17ROCPRIM_400000_NS6detail17trampoline_kernelINS0_14default_configENS1_38merge_sort_block_merge_config_selectorIlNS0_10empty_typeEEEZZNS1_27merge_sort_block_merge_implIS3_PlPS5_mZN2at6native12_GLOBAL__N_124unique_dim_cuda_templateIbEESt5tupleIJNSA_6TensorESF_SF_EERKSF_lbbbEUlllE_EE10hipError_tT0_T1_T2_jT3_P12ihipStream_tbPNSt15iterator_traitsISL_E10value_typeEPNSR_ISM_E10value_typeEPSN_NS1_7vsmem_tEENKUlT_SL_SM_SN_E_clIS8_S8_S9_S9_EESK_S10_SL_SM_SN_EUlS10_E1_NS1_11comp_targetILNS1_3genE2ELNS1_11target_archE906ELNS1_3gpuE6ELNS1_3repE0EEENS1_36merge_oddeven_config_static_selectorELNS0_4arch9wavefront6targetE0EEEvSM_,@function
_ZN7rocprim17ROCPRIM_400000_NS6detail17trampoline_kernelINS0_14default_configENS1_38merge_sort_block_merge_config_selectorIlNS0_10empty_typeEEEZZNS1_27merge_sort_block_merge_implIS3_PlPS5_mZN2at6native12_GLOBAL__N_124unique_dim_cuda_templateIbEESt5tupleIJNSA_6TensorESF_SF_EERKSF_lbbbEUlllE_EE10hipError_tT0_T1_T2_jT3_P12ihipStream_tbPNSt15iterator_traitsISL_E10value_typeEPNSR_ISM_E10value_typeEPSN_NS1_7vsmem_tEENKUlT_SL_SM_SN_E_clIS8_S8_S9_S9_EESK_S10_SL_SM_SN_EUlS10_E1_NS1_11comp_targetILNS1_3genE2ELNS1_11target_archE906ELNS1_3gpuE6ELNS1_3repE0EEENS1_36merge_oddeven_config_static_selectorELNS0_4arch9wavefront6targetE0EEEvSM_: ; @_ZN7rocprim17ROCPRIM_400000_NS6detail17trampoline_kernelINS0_14default_configENS1_38merge_sort_block_merge_config_selectorIlNS0_10empty_typeEEEZZNS1_27merge_sort_block_merge_implIS3_PlPS5_mZN2at6native12_GLOBAL__N_124unique_dim_cuda_templateIbEESt5tupleIJNSA_6TensorESF_SF_EERKSF_lbbbEUlllE_EE10hipError_tT0_T1_T2_jT3_P12ihipStream_tbPNSt15iterator_traitsISL_E10value_typeEPNSR_ISM_E10value_typeEPSN_NS1_7vsmem_tEENKUlT_SL_SM_SN_E_clIS8_S8_S9_S9_EESK_S10_SL_SM_SN_EUlS10_E1_NS1_11comp_targetILNS1_3genE2ELNS1_11target_archE906ELNS1_3gpuE6ELNS1_3repE0EEENS1_36merge_oddeven_config_static_selectorELNS0_4arch9wavefront6targetE0EEEvSM_
; %bb.0:
	.section	.rodata,"a",@progbits
	.p2align	6, 0x0
	.amdhsa_kernel _ZN7rocprim17ROCPRIM_400000_NS6detail17trampoline_kernelINS0_14default_configENS1_38merge_sort_block_merge_config_selectorIlNS0_10empty_typeEEEZZNS1_27merge_sort_block_merge_implIS3_PlPS5_mZN2at6native12_GLOBAL__N_124unique_dim_cuda_templateIbEESt5tupleIJNSA_6TensorESF_SF_EERKSF_lbbbEUlllE_EE10hipError_tT0_T1_T2_jT3_P12ihipStream_tbPNSt15iterator_traitsISL_E10value_typeEPNSR_ISM_E10value_typeEPSN_NS1_7vsmem_tEENKUlT_SL_SM_SN_E_clIS8_S8_S9_S9_EESK_S10_SL_SM_SN_EUlS10_E1_NS1_11comp_targetILNS1_3genE2ELNS1_11target_archE906ELNS1_3gpuE6ELNS1_3repE0EEENS1_36merge_oddeven_config_static_selectorELNS0_4arch9wavefront6targetE0EEEvSM_
		.amdhsa_group_segment_fixed_size 0
		.amdhsa_private_segment_fixed_size 0
		.amdhsa_kernarg_size 64
		.amdhsa_user_sgpr_count 15
		.amdhsa_user_sgpr_dispatch_ptr 0
		.amdhsa_user_sgpr_queue_ptr 0
		.amdhsa_user_sgpr_kernarg_segment_ptr 1
		.amdhsa_user_sgpr_dispatch_id 0
		.amdhsa_user_sgpr_private_segment_size 0
		.amdhsa_wavefront_size32 1
		.amdhsa_uses_dynamic_stack 0
		.amdhsa_enable_private_segment 0
		.amdhsa_system_sgpr_workgroup_id_x 1
		.amdhsa_system_sgpr_workgroup_id_y 0
		.amdhsa_system_sgpr_workgroup_id_z 0
		.amdhsa_system_sgpr_workgroup_info 0
		.amdhsa_system_vgpr_workitem_id 0
		.amdhsa_next_free_vgpr 1
		.amdhsa_next_free_sgpr 1
		.amdhsa_reserve_vcc 0
		.amdhsa_float_round_mode_32 0
		.amdhsa_float_round_mode_16_64 0
		.amdhsa_float_denorm_mode_32 3
		.amdhsa_float_denorm_mode_16_64 3
		.amdhsa_dx10_clamp 1
		.amdhsa_ieee_mode 1
		.amdhsa_fp16_overflow 0
		.amdhsa_workgroup_processor_mode 1
		.amdhsa_memory_ordered 1
		.amdhsa_forward_progress 0
		.amdhsa_shared_vgpr_count 0
		.amdhsa_exception_fp_ieee_invalid_op 0
		.amdhsa_exception_fp_denorm_src 0
		.amdhsa_exception_fp_ieee_div_zero 0
		.amdhsa_exception_fp_ieee_overflow 0
		.amdhsa_exception_fp_ieee_underflow 0
		.amdhsa_exception_fp_ieee_inexact 0
		.amdhsa_exception_int_div_zero 0
	.end_amdhsa_kernel
	.section	.text._ZN7rocprim17ROCPRIM_400000_NS6detail17trampoline_kernelINS0_14default_configENS1_38merge_sort_block_merge_config_selectorIlNS0_10empty_typeEEEZZNS1_27merge_sort_block_merge_implIS3_PlPS5_mZN2at6native12_GLOBAL__N_124unique_dim_cuda_templateIbEESt5tupleIJNSA_6TensorESF_SF_EERKSF_lbbbEUlllE_EE10hipError_tT0_T1_T2_jT3_P12ihipStream_tbPNSt15iterator_traitsISL_E10value_typeEPNSR_ISM_E10value_typeEPSN_NS1_7vsmem_tEENKUlT_SL_SM_SN_E_clIS8_S8_S9_S9_EESK_S10_SL_SM_SN_EUlS10_E1_NS1_11comp_targetILNS1_3genE2ELNS1_11target_archE906ELNS1_3gpuE6ELNS1_3repE0EEENS1_36merge_oddeven_config_static_selectorELNS0_4arch9wavefront6targetE0EEEvSM_,"axG",@progbits,_ZN7rocprim17ROCPRIM_400000_NS6detail17trampoline_kernelINS0_14default_configENS1_38merge_sort_block_merge_config_selectorIlNS0_10empty_typeEEEZZNS1_27merge_sort_block_merge_implIS3_PlPS5_mZN2at6native12_GLOBAL__N_124unique_dim_cuda_templateIbEESt5tupleIJNSA_6TensorESF_SF_EERKSF_lbbbEUlllE_EE10hipError_tT0_T1_T2_jT3_P12ihipStream_tbPNSt15iterator_traitsISL_E10value_typeEPNSR_ISM_E10value_typeEPSN_NS1_7vsmem_tEENKUlT_SL_SM_SN_E_clIS8_S8_S9_S9_EESK_S10_SL_SM_SN_EUlS10_E1_NS1_11comp_targetILNS1_3genE2ELNS1_11target_archE906ELNS1_3gpuE6ELNS1_3repE0EEENS1_36merge_oddeven_config_static_selectorELNS0_4arch9wavefront6targetE0EEEvSM_,comdat
.Lfunc_end1023:
	.size	_ZN7rocprim17ROCPRIM_400000_NS6detail17trampoline_kernelINS0_14default_configENS1_38merge_sort_block_merge_config_selectorIlNS0_10empty_typeEEEZZNS1_27merge_sort_block_merge_implIS3_PlPS5_mZN2at6native12_GLOBAL__N_124unique_dim_cuda_templateIbEESt5tupleIJNSA_6TensorESF_SF_EERKSF_lbbbEUlllE_EE10hipError_tT0_T1_T2_jT3_P12ihipStream_tbPNSt15iterator_traitsISL_E10value_typeEPNSR_ISM_E10value_typeEPSN_NS1_7vsmem_tEENKUlT_SL_SM_SN_E_clIS8_S8_S9_S9_EESK_S10_SL_SM_SN_EUlS10_E1_NS1_11comp_targetILNS1_3genE2ELNS1_11target_archE906ELNS1_3gpuE6ELNS1_3repE0EEENS1_36merge_oddeven_config_static_selectorELNS0_4arch9wavefront6targetE0EEEvSM_, .Lfunc_end1023-_ZN7rocprim17ROCPRIM_400000_NS6detail17trampoline_kernelINS0_14default_configENS1_38merge_sort_block_merge_config_selectorIlNS0_10empty_typeEEEZZNS1_27merge_sort_block_merge_implIS3_PlPS5_mZN2at6native12_GLOBAL__N_124unique_dim_cuda_templateIbEESt5tupleIJNSA_6TensorESF_SF_EERKSF_lbbbEUlllE_EE10hipError_tT0_T1_T2_jT3_P12ihipStream_tbPNSt15iterator_traitsISL_E10value_typeEPNSR_ISM_E10value_typeEPSN_NS1_7vsmem_tEENKUlT_SL_SM_SN_E_clIS8_S8_S9_S9_EESK_S10_SL_SM_SN_EUlS10_E1_NS1_11comp_targetILNS1_3genE2ELNS1_11target_archE906ELNS1_3gpuE6ELNS1_3repE0EEENS1_36merge_oddeven_config_static_selectorELNS0_4arch9wavefront6targetE0EEEvSM_
                                        ; -- End function
	.section	.AMDGPU.csdata,"",@progbits
; Kernel info:
; codeLenInByte = 0
; NumSgprs: 0
; NumVgprs: 0
; ScratchSize: 0
; MemoryBound: 0
; FloatMode: 240
; IeeeMode: 1
; LDSByteSize: 0 bytes/workgroup (compile time only)
; SGPRBlocks: 0
; VGPRBlocks: 0
; NumSGPRsForWavesPerEU: 1
; NumVGPRsForWavesPerEU: 1
; Occupancy: 16
; WaveLimiterHint : 0
; COMPUTE_PGM_RSRC2:SCRATCH_EN: 0
; COMPUTE_PGM_RSRC2:USER_SGPR: 15
; COMPUTE_PGM_RSRC2:TRAP_HANDLER: 0
; COMPUTE_PGM_RSRC2:TGID_X_EN: 1
; COMPUTE_PGM_RSRC2:TGID_Y_EN: 0
; COMPUTE_PGM_RSRC2:TGID_Z_EN: 0
; COMPUTE_PGM_RSRC2:TIDIG_COMP_CNT: 0
	.section	.text._ZN7rocprim17ROCPRIM_400000_NS6detail17trampoline_kernelINS0_14default_configENS1_38merge_sort_block_merge_config_selectorIlNS0_10empty_typeEEEZZNS1_27merge_sort_block_merge_implIS3_PlPS5_mZN2at6native12_GLOBAL__N_124unique_dim_cuda_templateIbEESt5tupleIJNSA_6TensorESF_SF_EERKSF_lbbbEUlllE_EE10hipError_tT0_T1_T2_jT3_P12ihipStream_tbPNSt15iterator_traitsISL_E10value_typeEPNSR_ISM_E10value_typeEPSN_NS1_7vsmem_tEENKUlT_SL_SM_SN_E_clIS8_S8_S9_S9_EESK_S10_SL_SM_SN_EUlS10_E1_NS1_11comp_targetILNS1_3genE9ELNS1_11target_archE1100ELNS1_3gpuE3ELNS1_3repE0EEENS1_36merge_oddeven_config_static_selectorELNS0_4arch9wavefront6targetE0EEEvSM_,"axG",@progbits,_ZN7rocprim17ROCPRIM_400000_NS6detail17trampoline_kernelINS0_14default_configENS1_38merge_sort_block_merge_config_selectorIlNS0_10empty_typeEEEZZNS1_27merge_sort_block_merge_implIS3_PlPS5_mZN2at6native12_GLOBAL__N_124unique_dim_cuda_templateIbEESt5tupleIJNSA_6TensorESF_SF_EERKSF_lbbbEUlllE_EE10hipError_tT0_T1_T2_jT3_P12ihipStream_tbPNSt15iterator_traitsISL_E10value_typeEPNSR_ISM_E10value_typeEPSN_NS1_7vsmem_tEENKUlT_SL_SM_SN_E_clIS8_S8_S9_S9_EESK_S10_SL_SM_SN_EUlS10_E1_NS1_11comp_targetILNS1_3genE9ELNS1_11target_archE1100ELNS1_3gpuE3ELNS1_3repE0EEENS1_36merge_oddeven_config_static_selectorELNS0_4arch9wavefront6targetE0EEEvSM_,comdat
	.globl	_ZN7rocprim17ROCPRIM_400000_NS6detail17trampoline_kernelINS0_14default_configENS1_38merge_sort_block_merge_config_selectorIlNS0_10empty_typeEEEZZNS1_27merge_sort_block_merge_implIS3_PlPS5_mZN2at6native12_GLOBAL__N_124unique_dim_cuda_templateIbEESt5tupleIJNSA_6TensorESF_SF_EERKSF_lbbbEUlllE_EE10hipError_tT0_T1_T2_jT3_P12ihipStream_tbPNSt15iterator_traitsISL_E10value_typeEPNSR_ISM_E10value_typeEPSN_NS1_7vsmem_tEENKUlT_SL_SM_SN_E_clIS8_S8_S9_S9_EESK_S10_SL_SM_SN_EUlS10_E1_NS1_11comp_targetILNS1_3genE9ELNS1_11target_archE1100ELNS1_3gpuE3ELNS1_3repE0EEENS1_36merge_oddeven_config_static_selectorELNS0_4arch9wavefront6targetE0EEEvSM_ ; -- Begin function _ZN7rocprim17ROCPRIM_400000_NS6detail17trampoline_kernelINS0_14default_configENS1_38merge_sort_block_merge_config_selectorIlNS0_10empty_typeEEEZZNS1_27merge_sort_block_merge_implIS3_PlPS5_mZN2at6native12_GLOBAL__N_124unique_dim_cuda_templateIbEESt5tupleIJNSA_6TensorESF_SF_EERKSF_lbbbEUlllE_EE10hipError_tT0_T1_T2_jT3_P12ihipStream_tbPNSt15iterator_traitsISL_E10value_typeEPNSR_ISM_E10value_typeEPSN_NS1_7vsmem_tEENKUlT_SL_SM_SN_E_clIS8_S8_S9_S9_EESK_S10_SL_SM_SN_EUlS10_E1_NS1_11comp_targetILNS1_3genE9ELNS1_11target_archE1100ELNS1_3gpuE3ELNS1_3repE0EEENS1_36merge_oddeven_config_static_selectorELNS0_4arch9wavefront6targetE0EEEvSM_
	.p2align	8
	.type	_ZN7rocprim17ROCPRIM_400000_NS6detail17trampoline_kernelINS0_14default_configENS1_38merge_sort_block_merge_config_selectorIlNS0_10empty_typeEEEZZNS1_27merge_sort_block_merge_implIS3_PlPS5_mZN2at6native12_GLOBAL__N_124unique_dim_cuda_templateIbEESt5tupleIJNSA_6TensorESF_SF_EERKSF_lbbbEUlllE_EE10hipError_tT0_T1_T2_jT3_P12ihipStream_tbPNSt15iterator_traitsISL_E10value_typeEPNSR_ISM_E10value_typeEPSN_NS1_7vsmem_tEENKUlT_SL_SM_SN_E_clIS8_S8_S9_S9_EESK_S10_SL_SM_SN_EUlS10_E1_NS1_11comp_targetILNS1_3genE9ELNS1_11target_archE1100ELNS1_3gpuE3ELNS1_3repE0EEENS1_36merge_oddeven_config_static_selectorELNS0_4arch9wavefront6targetE0EEEvSM_,@function
_ZN7rocprim17ROCPRIM_400000_NS6detail17trampoline_kernelINS0_14default_configENS1_38merge_sort_block_merge_config_selectorIlNS0_10empty_typeEEEZZNS1_27merge_sort_block_merge_implIS3_PlPS5_mZN2at6native12_GLOBAL__N_124unique_dim_cuda_templateIbEESt5tupleIJNSA_6TensorESF_SF_EERKSF_lbbbEUlllE_EE10hipError_tT0_T1_T2_jT3_P12ihipStream_tbPNSt15iterator_traitsISL_E10value_typeEPNSR_ISM_E10value_typeEPSN_NS1_7vsmem_tEENKUlT_SL_SM_SN_E_clIS8_S8_S9_S9_EESK_S10_SL_SM_SN_EUlS10_E1_NS1_11comp_targetILNS1_3genE9ELNS1_11target_archE1100ELNS1_3gpuE3ELNS1_3repE0EEENS1_36merge_oddeven_config_static_selectorELNS0_4arch9wavefront6targetE0EEEvSM_: ; @_ZN7rocprim17ROCPRIM_400000_NS6detail17trampoline_kernelINS0_14default_configENS1_38merge_sort_block_merge_config_selectorIlNS0_10empty_typeEEEZZNS1_27merge_sort_block_merge_implIS3_PlPS5_mZN2at6native12_GLOBAL__N_124unique_dim_cuda_templateIbEESt5tupleIJNSA_6TensorESF_SF_EERKSF_lbbbEUlllE_EE10hipError_tT0_T1_T2_jT3_P12ihipStream_tbPNSt15iterator_traitsISL_E10value_typeEPNSR_ISM_E10value_typeEPSN_NS1_7vsmem_tEENKUlT_SL_SM_SN_E_clIS8_S8_S9_S9_EESK_S10_SL_SM_SN_EUlS10_E1_NS1_11comp_targetILNS1_3genE9ELNS1_11target_archE1100ELNS1_3gpuE3ELNS1_3repE0EEENS1_36merge_oddeven_config_static_selectorELNS0_4arch9wavefront6targetE0EEEvSM_
; %bb.0:
	s_load_b32 s3, s[0:1], 0x20
	s_waitcnt lgkmcnt(0)
	s_lshr_b32 s2, s3, 8
	s_delay_alu instid0(SALU_CYCLE_1) | instskip(SKIP_4) | instid1(SALU_CYCLE_1)
	s_cmp_lg_u32 s15, s2
	s_cselect_b32 s8, -1, 0
	s_cmp_eq_u32 s15, s2
	s_cselect_b32 s16, -1, 0
	s_lshl_b32 s12, s15, 8
	s_sub_i32 s2, s3, s12
	s_delay_alu instid0(SALU_CYCLE_1) | instskip(NEXT) | instid1(VALU_DEP_1)
	v_cmp_gt_u32_e64 s2, s2, v0
	s_or_b32 s4, s8, s2
	s_delay_alu instid0(SALU_CYCLE_1)
	s_and_saveexec_b32 s5, s4
	s_cbranch_execz .LBB1024_54
; %bb.1:
	s_clause 0x1
	s_load_b128 s[4:7], s[0:1], 0x0
	s_load_b32 s17, s[0:1], 0x28
	s_mov_b32 s13, 0
	v_lshlrev_b32_e32 v1, 3, v0
	s_lshl_b64 s[10:11], s[12:13], 3
	s_waitcnt lgkmcnt(0)
	s_add_u32 s10, s4, s10
	s_addc_u32 s11, s5, s11
	s_lshr_b32 s9, s17, 8
	global_load_b64 v[1:2], v1, s[10:11]
	s_sub_i32 s10, 0, s9
	s_delay_alu instid0(SALU_CYCLE_1) | instskip(NEXT) | instid1(SALU_CYCLE_1)
	s_and_b32 s10, s15, s10
	s_and_b32 s9, s10, s9
	s_delay_alu instid0(SALU_CYCLE_1)
	s_cmp_lg_u32 s9, 0
	s_cselect_b32 s14, -1, 0
	s_lshl_b32 s18, s10, 8
	s_sub_i32 s10, 0, s17
	s_cmp_eq_u32 s9, 0
	s_cselect_b32 s15, s17, s10
	s_delay_alu instid0(SALU_CYCLE_1) | instskip(NEXT) | instid1(SALU_CYCLE_1)
	s_add_i32 s15, s15, s18
	s_cmp_lt_u32 s15, s3
	s_cbranch_scc1 .LBB1024_3
; %bb.2:
	v_add_nc_u32_e32 v3, s12, v0
	s_delay_alu instid0(VALU_DEP_1) | instskip(SKIP_1) | instid1(SALU_CYCLE_1)
	v_cmp_gt_u32_e32 vcc_lo, s3, v3
	s_or_b32 s9, vcc_lo, s8
	s_and_b32 s13, s9, exec_lo
	s_cbranch_execz .LBB1024_4
	s_branch .LBB1024_52
.LBB1024_3:
                                        ; implicit-def: $vgpr3
.LBB1024_4:
	s_load_b128 s[8:11], s[0:1], 0x30
	v_add_nc_u32_e32 v0, s12, v0
	s_min_u32 s1, s15, s3
	s_and_b32 vcc_lo, exec_lo, s16
	s_add_i32 s0, s18, s1
	s_add_i32 s12, s1, s17
	v_subrev_nc_u32_e32 v0, s0, v0
	s_min_u32 s0, s18, s1
	s_min_u32 s12, s12, s3
	s_delay_alu instid0(VALU_DEP_1)
	v_add_nc_u32_e32 v0, s0, v0
	s_cbranch_vccz .LBB1024_26
; %bb.5:
                                        ; implicit-def: $vgpr3
	s_and_saveexec_b32 s16, s2
	s_cbranch_execz .LBB1024_29
; %bb.6:
	v_mov_b32_e32 v13, s1
	s_cmp_ge_u32 s15, s12
	s_cbranch_scc1 .LBB1024_28
; %bb.7:
	s_waitcnt vmcnt(0) lgkmcnt(0)
	v_mad_u64_u32 v[3:4], null, v1, s8, s[10:11]
	v_mul_lo_u32 v5, v1, s9
	v_mul_lo_u32 v7, v2, s8
	v_cmp_gt_i64_e64 s17, s[8:9], 0
	v_dual_mov_b32 v14, s12 :: v_dual_mov_b32 v13, s1
	v_mov_b32_e32 v6, 0
	s_mov_b32 s18, 0
	s_delay_alu instid0(VALU_DEP_4)
	v_add3_u32 v4, v7, v4, v5
	s_branch .LBB1024_10
.LBB1024_8:                             ;   in Loop: Header=BB1024_10 Depth=1
	s_set_inst_prefetch_distance 0x2
	s_or_b32 exec_lo, exec_lo, s20
.LBB1024_9:                             ;   in Loop: Header=BB1024_10 Depth=1
	s_waitcnt vmcnt(0)
	v_add_nc_u32_e32 v7, 1, v5
	v_cndmask_b32_e64 v14, v5, v14, s19
	s_delay_alu instid0(VALU_DEP_2) | instskip(NEXT) | instid1(VALU_DEP_1)
	v_cndmask_b32_e64 v13, v13, v7, s19
	v_cmp_ge_u32_e32 vcc_lo, v13, v14
	s_or_b32 s18, vcc_lo, s18
	s_delay_alu instid0(SALU_CYCLE_1)
	s_and_not1_b32 exec_lo, exec_lo, s18
	s_cbranch_execz .LBB1024_27
.LBB1024_10:                            ; =>This Loop Header: Depth=1
                                        ;     Child Loop BB1024_14 Depth 2
                                        ;     Child Loop BB1024_23 Depth 2
	v_add_nc_u32_e32 v5, v13, v14
	s_mov_b32 s0, -1
                                        ; implicit-def: $sgpr19
	s_delay_alu instid0(VALU_DEP_1) | instskip(NEXT) | instid1(VALU_DEP_1)
	v_lshrrev_b32_e32 v5, 1, v5
	v_lshlrev_b64 v[7:8], 3, v[5:6]
	s_delay_alu instid0(VALU_DEP_1) | instskip(NEXT) | instid1(VALU_DEP_2)
	v_add_co_u32 v7, vcc_lo, s4, v7
	v_add_co_ci_u32_e32 v8, vcc_lo, s5, v8, vcc_lo
	s_and_not1_b32 vcc_lo, exec_lo, s14
	global_load_b64 v[7:8], v[7:8], off
	s_cbranch_vccnz .LBB1024_19
; %bb.11:                               ;   in Loop: Header=BB1024_10 Depth=1
	s_and_not1_b32 vcc_lo, exec_lo, s17
	s_cbranch_vccnz .LBB1024_17
; %bb.12:                               ;   in Loop: Header=BB1024_10 Depth=1
	s_waitcnt vmcnt(0)
	v_mad_u64_u32 v[9:10], null, v7, s8, s[10:11]
	v_mul_lo_u32 v11, v7, s9
	v_mul_lo_u32 v12, v8, s8
	s_mov_b32 s20, 0
	s_mov_b64 s[2:3], s[8:9]
                                        ; implicit-def: $sgpr19
                                        ; implicit-def: $sgpr21
                                        ; implicit-def: $sgpr22
                                        ; implicit-def: $sgpr23
                                        ; implicit-def: $sgpr24
	s_delay_alu instid0(VALU_DEP_1)
	v_add3_u32 v10, v12, v10, v11
	v_dual_mov_b32 v12, v4 :: v_dual_mov_b32 v11, v3
	s_set_inst_prefetch_distance 0x1
	s_branch .LBB1024_14
	.p2align	6
.LBB1024_13:                            ;   in Loop: Header=BB1024_14 Depth=2
	s_or_b32 exec_lo, exec_lo, s0
	s_delay_alu instid0(SALU_CYCLE_1) | instskip(NEXT) | instid1(SALU_CYCLE_1)
	s_and_b32 s0, exec_lo, s21
	s_or_b32 s20, s0, s20
	s_and_not1_b32 s0, s24, exec_lo
	s_and_b32 s24, s22, exec_lo
	s_and_not1_b32 s19, s19, exec_lo
	s_and_b32 s25, s23, exec_lo
	s_or_b32 s24, s0, s24
	s_or_b32 s19, s19, s25
	s_and_not1_b32 exec_lo, exec_lo, s20
	s_cbranch_execz .LBB1024_16
.LBB1024_14:                            ;   Parent Loop BB1024_10 Depth=1
                                        ; =>  This Inner Loop Header: Depth=2
	global_load_u8 v15, v[11:12], off
	global_load_u8 v16, v[9:10], off
	s_and_not1_b32 s23, s23, exec_lo
	s_and_not1_b32 s22, s22, exec_lo
	s_or_b32 s21, s21, exec_lo
	s_waitcnt vmcnt(1)
	v_cmp_eq_u16_e32 vcc_lo, 0, v15
	s_waitcnt vmcnt(0)
	v_cmp_ne_u16_e64 s0, 0, v16
	s_delay_alu instid0(VALU_DEP_1) | instskip(SKIP_4) | instid1(SALU_CYCLE_1)
	s_or_b32 s25, vcc_lo, s0
	s_and_b32 s26, vcc_lo, s0
	s_and_b32 s25, s25, s24
	s_xor_b32 s27, vcc_lo, s0
	s_or_b32 s25, s26, s25
	s_and_b32 s26, s25, exec_lo
	s_delay_alu instid0(SALU_CYCLE_1)
	s_or_b32 s23, s23, s26
	s_and_saveexec_b32 s0, s27
	s_cbranch_execz .LBB1024_13
; %bb.15:                               ;   in Loop: Header=BB1024_14 Depth=2
	s_add_u32 s2, s2, -1
	s_addc_u32 s3, s3, -1
	v_add_co_u32 v11, vcc_lo, v11, 1
	s_cmp_eq_u64 s[2:3], 0
	v_add_co_ci_u32_e32 v12, vcc_lo, 0, v12, vcc_lo
	s_cselect_b32 s24, -1, 0
	v_add_co_u32 v9, vcc_lo, v9, 1
	s_and_not1_b32 s22, s22, exec_lo
	s_and_b32 s25, s25, exec_lo
	s_and_not1_b32 s21, s21, exec_lo
	s_and_b32 s24, s24, exec_lo
	v_add_co_ci_u32_e32 v10, vcc_lo, 0, v10, vcc_lo
	s_and_not1_b32 s23, s23, exec_lo
	s_or_b32 s22, s22, s25
	s_or_b32 s21, s21, s24
                                        ; implicit-def: $sgpr24
	s_branch .LBB1024_13
.LBB1024_16:                            ;   in Loop: Header=BB1024_10 Depth=1
	s_set_inst_prefetch_distance 0x2
	s_or_b32 exec_lo, exec_lo, s20
	s_branch .LBB1024_18
.LBB1024_17:                            ;   in Loop: Header=BB1024_10 Depth=1
	s_mov_b32 s19, 0
.LBB1024_18:                            ;   in Loop: Header=BB1024_10 Depth=1
	s_delay_alu instid0(SALU_CYCLE_1)
	s_xor_b32 s19, s19, -1
	s_mov_b32 s0, 0
.LBB1024_19:                            ;   in Loop: Header=BB1024_10 Depth=1
	s_delay_alu instid0(SALU_CYCLE_1)
	s_and_b32 vcc_lo, exec_lo, s0
	s_cbranch_vccz .LBB1024_9
; %bb.20:                               ;   in Loop: Header=BB1024_10 Depth=1
	s_and_not1_b32 vcc_lo, exec_lo, s17
	s_cbranch_vccnz .LBB1024_25
; %bb.21:                               ;   in Loop: Header=BB1024_10 Depth=1
	s_waitcnt vmcnt(0)
	v_mad_u64_u32 v[9:10], null, v7, s8, s[10:11]
	v_mul_lo_u32 v7, v7, s9
	v_mul_lo_u32 v8, v8, s8
	s_mov_b32 s20, 0
	s_mov_b64 s[2:3], s[8:9]
                                        ; implicit-def: $sgpr19
                                        ; implicit-def: $sgpr21
                                        ; implicit-def: $sgpr22
                                        ; implicit-def: $sgpr23
                                        ; implicit-def: $sgpr24
	s_delay_alu instid0(VALU_DEP_1)
	v_add3_u32 v10, v8, v10, v7
	v_dual_mov_b32 v8, v4 :: v_dual_mov_b32 v7, v3
	s_set_inst_prefetch_distance 0x1
	s_branch .LBB1024_23
	.p2align	6
.LBB1024_22:                            ;   in Loop: Header=BB1024_23 Depth=2
	s_or_b32 exec_lo, exec_lo, s0
	s_delay_alu instid0(SALU_CYCLE_1) | instskip(NEXT) | instid1(SALU_CYCLE_1)
	s_and_b32 s0, exec_lo, s21
	s_or_b32 s20, s0, s20
	s_and_not1_b32 s0, s24, exec_lo
	s_and_b32 s24, s22, exec_lo
	s_and_not1_b32 s19, s19, exec_lo
	s_and_b32 s25, s23, exec_lo
	s_or_b32 s24, s0, s24
	s_or_b32 s19, s19, s25
	s_and_not1_b32 exec_lo, exec_lo, s20
	s_cbranch_execz .LBB1024_8
.LBB1024_23:                            ;   Parent Loop BB1024_10 Depth=1
                                        ; =>  This Inner Loop Header: Depth=2
	global_load_u8 v11, v[9:10], off
	global_load_u8 v12, v[7:8], off
	s_and_not1_b32 s23, s23, exec_lo
	s_and_not1_b32 s22, s22, exec_lo
	s_or_b32 s21, s21, exec_lo
	s_waitcnt vmcnt(1)
	v_cmp_eq_u16_e32 vcc_lo, 0, v11
	s_waitcnt vmcnt(0)
	v_cmp_ne_u16_e64 s0, 0, v12
	s_delay_alu instid0(VALU_DEP_1) | instskip(SKIP_4) | instid1(SALU_CYCLE_1)
	s_or_b32 s25, vcc_lo, s0
	s_and_b32 s26, vcc_lo, s0
	s_and_b32 s25, s25, s24
	s_xor_b32 s27, vcc_lo, s0
	s_or_b32 s25, s26, s25
	s_and_b32 s26, s25, exec_lo
	s_delay_alu instid0(SALU_CYCLE_1)
	s_or_b32 s23, s23, s26
	s_and_saveexec_b32 s0, s27
	s_cbranch_execz .LBB1024_22
; %bb.24:                               ;   in Loop: Header=BB1024_23 Depth=2
	s_add_u32 s2, s2, -1
	s_addc_u32 s3, s3, -1
	v_add_co_u32 v9, vcc_lo, v9, 1
	s_cmp_eq_u64 s[2:3], 0
	v_add_co_ci_u32_e32 v10, vcc_lo, 0, v10, vcc_lo
	s_cselect_b32 s24, -1, 0
	v_add_co_u32 v7, vcc_lo, v7, 1
	s_and_not1_b32 s22, s22, exec_lo
	s_and_b32 s25, s25, exec_lo
	s_and_not1_b32 s21, s21, exec_lo
	s_and_b32 s24, s24, exec_lo
	v_add_co_ci_u32_e32 v8, vcc_lo, 0, v8, vcc_lo
	s_and_not1_b32 s23, s23, exec_lo
	s_or_b32 s22, s22, s25
	s_or_b32 s21, s21, s24
                                        ; implicit-def: $sgpr24
	s_branch .LBB1024_22
.LBB1024_25:                            ;   in Loop: Header=BB1024_10 Depth=1
	s_mov_b32 s19, 0
	s_branch .LBB1024_9
.LBB1024_26:
                                        ; implicit-def: $vgpr3
	s_cbranch_execnz .LBB1024_30
	s_branch .LBB1024_52
.LBB1024_27:
	s_or_b32 exec_lo, exec_lo, s18
.LBB1024_28:
	s_delay_alu instid0(VALU_DEP_1)
	v_add_nc_u32_e32 v3, v13, v0
	s_or_b32 s13, s13, exec_lo
.LBB1024_29:
	s_or_b32 exec_lo, exec_lo, s16
	s_branch .LBB1024_52
.LBB1024_30:
	v_mov_b32_e32 v13, s1
	s_cmp_ge_u32 s15, s12
	s_cbranch_scc1 .LBB1024_51
; %bb.31:
	s_waitcnt vmcnt(0) lgkmcnt(0)
	v_mad_u64_u32 v[3:4], null, v1, s8, s[10:11]
	v_mul_lo_u32 v5, v1, s9
	v_mul_lo_u32 v7, v2, s8
	v_dual_mov_b32 v14, s12 :: v_dual_mov_b32 v13, s1
	v_cmp_gt_i64_e64 s1, s[8:9], 0
	v_mov_b32_e32 v6, 0
	s_mov_b32 s12, 0
	s_delay_alu instid0(VALU_DEP_4) | instskip(NEXT) | instid1(VALU_DEP_3)
	v_add3_u32 v4, v7, v4, v5
	v_cndmask_b32_e64 v15, 0, 1, s1
	s_branch .LBB1024_34
.LBB1024_32:                            ;   in Loop: Header=BB1024_34 Depth=1
	s_set_inst_prefetch_distance 0x2
	s_or_b32 exec_lo, exec_lo, s15
.LBB1024_33:                            ;   in Loop: Header=BB1024_34 Depth=1
	s_waitcnt vmcnt(0)
	v_add_nc_u32_e32 v7, 1, v5
	v_cndmask_b32_e64 v14, v5, v14, s13
	s_delay_alu instid0(VALU_DEP_2) | instskip(NEXT) | instid1(VALU_DEP_1)
	v_cndmask_b32_e64 v13, v13, v7, s13
	v_cmp_ge_u32_e32 vcc_lo, v13, v14
	s_or_b32 s12, vcc_lo, s12
	s_delay_alu instid0(SALU_CYCLE_1)
	s_and_not1_b32 exec_lo, exec_lo, s12
	s_cbranch_execz .LBB1024_50
.LBB1024_34:                            ; =>This Loop Header: Depth=1
                                        ;     Child Loop BB1024_38 Depth 2
                                        ;     Child Loop BB1024_47 Depth 2
	v_add_nc_u32_e32 v5, v13, v14
	s_delay_alu instid0(VALU_DEP_2) | instskip(SKIP_1) | instid1(VALU_DEP_2)
	v_cmp_ne_u32_e64 s0, 1, v15
	s_mov_b32 s2, -1
                                        ; implicit-def: $sgpr13
	v_lshrrev_b32_e32 v5, 1, v5
	s_delay_alu instid0(VALU_DEP_1) | instskip(NEXT) | instid1(VALU_DEP_1)
	v_lshlrev_b64 v[7:8], 3, v[5:6]
	v_add_co_u32 v7, vcc_lo, s4, v7
	s_delay_alu instid0(VALU_DEP_2)
	v_add_co_ci_u32_e32 v8, vcc_lo, s5, v8, vcc_lo
	s_and_not1_b32 vcc_lo, exec_lo, s14
	global_load_b64 v[7:8], v[7:8], off
	s_cbranch_vccnz .LBB1024_43
; %bb.35:                               ;   in Loop: Header=BB1024_34 Depth=1
	s_and_b32 vcc_lo, exec_lo, s0
	s_cbranch_vccnz .LBB1024_41
; %bb.36:                               ;   in Loop: Header=BB1024_34 Depth=1
	s_waitcnt vmcnt(0)
	v_mad_u64_u32 v[9:10], null, v7, s8, s[10:11]
	v_mul_lo_u32 v11, v7, s9
	v_mul_lo_u32 v12, v8, s8
	s_mov_b32 s15, 0
	s_mov_b64 s[2:3], s[8:9]
                                        ; implicit-def: $sgpr13
                                        ; implicit-def: $sgpr16
                                        ; implicit-def: $sgpr17
                                        ; implicit-def: $sgpr18
                                        ; implicit-def: $sgpr19
	s_delay_alu instid0(VALU_DEP_1)
	v_add3_u32 v10, v12, v10, v11
	v_dual_mov_b32 v12, v4 :: v_dual_mov_b32 v11, v3
	s_set_inst_prefetch_distance 0x1
	s_branch .LBB1024_38
	.p2align	6
.LBB1024_37:                            ;   in Loop: Header=BB1024_38 Depth=2
	s_or_b32 exec_lo, exec_lo, s0
	s_delay_alu instid0(SALU_CYCLE_1) | instskip(NEXT) | instid1(SALU_CYCLE_1)
	s_and_b32 s0, exec_lo, s16
	s_or_b32 s15, s0, s15
	s_and_not1_b32 s0, s19, exec_lo
	s_and_b32 s19, s17, exec_lo
	s_and_not1_b32 s13, s13, exec_lo
	s_and_b32 s20, s18, exec_lo
	s_or_b32 s19, s0, s19
	s_or_b32 s13, s13, s20
	s_and_not1_b32 exec_lo, exec_lo, s15
	s_cbranch_execz .LBB1024_40
.LBB1024_38:                            ;   Parent Loop BB1024_34 Depth=1
                                        ; =>  This Inner Loop Header: Depth=2
	global_load_u8 v16, v[11:12], off
	global_load_u8 v17, v[9:10], off
	s_and_not1_b32 s18, s18, exec_lo
	s_and_not1_b32 s17, s17, exec_lo
	s_or_b32 s16, s16, exec_lo
	s_waitcnt vmcnt(1)
	v_cmp_eq_u16_e32 vcc_lo, 0, v16
	s_waitcnt vmcnt(0)
	v_cmp_ne_u16_e64 s0, 0, v17
	s_delay_alu instid0(VALU_DEP_1) | instskip(SKIP_4) | instid1(SALU_CYCLE_1)
	s_or_b32 s20, vcc_lo, s0
	s_and_b32 s21, vcc_lo, s0
	s_and_b32 s20, s20, s19
	s_xor_b32 s22, vcc_lo, s0
	s_or_b32 s20, s21, s20
	s_and_b32 s21, s20, exec_lo
	s_delay_alu instid0(SALU_CYCLE_1)
	s_or_b32 s18, s18, s21
	s_and_saveexec_b32 s0, s22
	s_cbranch_execz .LBB1024_37
; %bb.39:                               ;   in Loop: Header=BB1024_38 Depth=2
	s_add_u32 s2, s2, -1
	s_addc_u32 s3, s3, -1
	v_add_co_u32 v11, vcc_lo, v11, 1
	s_cmp_eq_u64 s[2:3], 0
	v_add_co_ci_u32_e32 v12, vcc_lo, 0, v12, vcc_lo
	s_cselect_b32 s19, -1, 0
	v_add_co_u32 v9, vcc_lo, v9, 1
	s_and_not1_b32 s17, s17, exec_lo
	s_and_b32 s20, s20, exec_lo
	s_and_not1_b32 s16, s16, exec_lo
	s_and_b32 s19, s19, exec_lo
	v_add_co_ci_u32_e32 v10, vcc_lo, 0, v10, vcc_lo
	s_and_not1_b32 s18, s18, exec_lo
	s_or_b32 s17, s17, s20
	s_or_b32 s16, s16, s19
                                        ; implicit-def: $sgpr19
	s_branch .LBB1024_37
.LBB1024_40:                            ;   in Loop: Header=BB1024_34 Depth=1
	s_set_inst_prefetch_distance 0x2
	s_or_b32 exec_lo, exec_lo, s15
	s_branch .LBB1024_42
.LBB1024_41:                            ;   in Loop: Header=BB1024_34 Depth=1
	s_mov_b32 s13, 0
.LBB1024_42:                            ;   in Loop: Header=BB1024_34 Depth=1
	s_delay_alu instid0(SALU_CYCLE_1)
	s_xor_b32 s13, s13, -1
	s_mov_b32 s2, 0
.LBB1024_43:                            ;   in Loop: Header=BB1024_34 Depth=1
	s_delay_alu instid0(SALU_CYCLE_1)
	s_and_b32 vcc_lo, exec_lo, s2
	s_cbranch_vccz .LBB1024_33
; %bb.44:                               ;   in Loop: Header=BB1024_34 Depth=1
	s_and_not1_b32 vcc_lo, exec_lo, s1
	s_cbranch_vccnz .LBB1024_49
; %bb.45:                               ;   in Loop: Header=BB1024_34 Depth=1
	s_waitcnt vmcnt(0)
	v_mad_u64_u32 v[9:10], null, v7, s8, s[10:11]
	v_mul_lo_u32 v7, v7, s9
	v_mul_lo_u32 v8, v8, s8
	s_mov_b32 s15, 0
	s_mov_b64 s[2:3], s[8:9]
                                        ; implicit-def: $sgpr13
                                        ; implicit-def: $sgpr16
                                        ; implicit-def: $sgpr17
                                        ; implicit-def: $sgpr18
                                        ; implicit-def: $sgpr19
	s_delay_alu instid0(VALU_DEP_1)
	v_add3_u32 v10, v8, v10, v7
	v_dual_mov_b32 v8, v4 :: v_dual_mov_b32 v7, v3
	s_set_inst_prefetch_distance 0x1
	s_branch .LBB1024_47
	.p2align	6
.LBB1024_46:                            ;   in Loop: Header=BB1024_47 Depth=2
	s_or_b32 exec_lo, exec_lo, s0
	s_delay_alu instid0(SALU_CYCLE_1) | instskip(NEXT) | instid1(SALU_CYCLE_1)
	s_and_b32 s0, exec_lo, s16
	s_or_b32 s15, s0, s15
	s_and_not1_b32 s0, s19, exec_lo
	s_and_b32 s19, s17, exec_lo
	s_and_not1_b32 s13, s13, exec_lo
	s_and_b32 s20, s18, exec_lo
	s_or_b32 s19, s0, s19
	s_or_b32 s13, s13, s20
	s_and_not1_b32 exec_lo, exec_lo, s15
	s_cbranch_execz .LBB1024_32
.LBB1024_47:                            ;   Parent Loop BB1024_34 Depth=1
                                        ; =>  This Inner Loop Header: Depth=2
	global_load_u8 v11, v[9:10], off
	global_load_u8 v12, v[7:8], off
	s_and_not1_b32 s18, s18, exec_lo
	s_and_not1_b32 s17, s17, exec_lo
	s_or_b32 s16, s16, exec_lo
	s_waitcnt vmcnt(1)
	v_cmp_eq_u16_e32 vcc_lo, 0, v11
	s_waitcnt vmcnt(0)
	v_cmp_ne_u16_e64 s0, 0, v12
	s_delay_alu instid0(VALU_DEP_1) | instskip(SKIP_4) | instid1(SALU_CYCLE_1)
	s_or_b32 s20, vcc_lo, s0
	s_and_b32 s21, vcc_lo, s0
	s_and_b32 s20, s20, s19
	s_xor_b32 s22, vcc_lo, s0
	s_or_b32 s20, s21, s20
	s_and_b32 s21, s20, exec_lo
	s_delay_alu instid0(SALU_CYCLE_1)
	s_or_b32 s18, s18, s21
	s_and_saveexec_b32 s0, s22
	s_cbranch_execz .LBB1024_46
; %bb.48:                               ;   in Loop: Header=BB1024_47 Depth=2
	s_add_u32 s2, s2, -1
	s_addc_u32 s3, s3, -1
	v_add_co_u32 v9, vcc_lo, v9, 1
	s_cmp_eq_u64 s[2:3], 0
	v_add_co_ci_u32_e32 v10, vcc_lo, 0, v10, vcc_lo
	s_cselect_b32 s19, -1, 0
	v_add_co_u32 v7, vcc_lo, v7, 1
	s_and_not1_b32 s17, s17, exec_lo
	s_and_b32 s20, s20, exec_lo
	s_and_not1_b32 s16, s16, exec_lo
	s_and_b32 s19, s19, exec_lo
	v_add_co_ci_u32_e32 v8, vcc_lo, 0, v8, vcc_lo
	s_and_not1_b32 s18, s18, exec_lo
	s_or_b32 s17, s17, s20
	s_or_b32 s16, s16, s19
                                        ; implicit-def: $sgpr19
	s_branch .LBB1024_46
.LBB1024_49:                            ;   in Loop: Header=BB1024_34 Depth=1
	s_mov_b32 s13, 0
	s_branch .LBB1024_33
.LBB1024_50:
	s_or_b32 exec_lo, exec_lo, s12
.LBB1024_51:
	s_delay_alu instid0(VALU_DEP_1)
	v_add_nc_u32_e32 v3, v13, v0
	s_mov_b32 s13, -1
.LBB1024_52:
	s_delay_alu instid0(SALU_CYCLE_1)
	s_and_b32 exec_lo, exec_lo, s13
	s_cbranch_execz .LBB1024_54
; %bb.53:
	v_mov_b32_e32 v4, 0
	s_delay_alu instid0(VALU_DEP_1) | instskip(NEXT) | instid1(VALU_DEP_1)
	v_lshlrev_b64 v[3:4], 3, v[3:4]
	v_add_co_u32 v3, vcc_lo, s6, v3
	s_delay_alu instid0(VALU_DEP_2)
	v_add_co_ci_u32_e32 v4, vcc_lo, s7, v4, vcc_lo
	s_waitcnt vmcnt(0)
	global_store_b64 v[3:4], v[1:2], off
.LBB1024_54:
	s_nop 0
	s_sendmsg sendmsg(MSG_DEALLOC_VGPRS)
	s_endpgm
	.section	.rodata,"a",@progbits
	.p2align	6, 0x0
	.amdhsa_kernel _ZN7rocprim17ROCPRIM_400000_NS6detail17trampoline_kernelINS0_14default_configENS1_38merge_sort_block_merge_config_selectorIlNS0_10empty_typeEEEZZNS1_27merge_sort_block_merge_implIS3_PlPS5_mZN2at6native12_GLOBAL__N_124unique_dim_cuda_templateIbEESt5tupleIJNSA_6TensorESF_SF_EERKSF_lbbbEUlllE_EE10hipError_tT0_T1_T2_jT3_P12ihipStream_tbPNSt15iterator_traitsISL_E10value_typeEPNSR_ISM_E10value_typeEPSN_NS1_7vsmem_tEENKUlT_SL_SM_SN_E_clIS8_S8_S9_S9_EESK_S10_SL_SM_SN_EUlS10_E1_NS1_11comp_targetILNS1_3genE9ELNS1_11target_archE1100ELNS1_3gpuE3ELNS1_3repE0EEENS1_36merge_oddeven_config_static_selectorELNS0_4arch9wavefront6targetE0EEEvSM_
		.amdhsa_group_segment_fixed_size 0
		.amdhsa_private_segment_fixed_size 0
		.amdhsa_kernarg_size 64
		.amdhsa_user_sgpr_count 15
		.amdhsa_user_sgpr_dispatch_ptr 0
		.amdhsa_user_sgpr_queue_ptr 0
		.amdhsa_user_sgpr_kernarg_segment_ptr 1
		.amdhsa_user_sgpr_dispatch_id 0
		.amdhsa_user_sgpr_private_segment_size 0
		.amdhsa_wavefront_size32 1
		.amdhsa_uses_dynamic_stack 0
		.amdhsa_enable_private_segment 0
		.amdhsa_system_sgpr_workgroup_id_x 1
		.amdhsa_system_sgpr_workgroup_id_y 0
		.amdhsa_system_sgpr_workgroup_id_z 0
		.amdhsa_system_sgpr_workgroup_info 0
		.amdhsa_system_vgpr_workitem_id 0
		.amdhsa_next_free_vgpr 18
		.amdhsa_next_free_sgpr 28
		.amdhsa_reserve_vcc 1
		.amdhsa_float_round_mode_32 0
		.amdhsa_float_round_mode_16_64 0
		.amdhsa_float_denorm_mode_32 3
		.amdhsa_float_denorm_mode_16_64 3
		.amdhsa_dx10_clamp 1
		.amdhsa_ieee_mode 1
		.amdhsa_fp16_overflow 0
		.amdhsa_workgroup_processor_mode 1
		.amdhsa_memory_ordered 1
		.amdhsa_forward_progress 0
		.amdhsa_shared_vgpr_count 0
		.amdhsa_exception_fp_ieee_invalid_op 0
		.amdhsa_exception_fp_denorm_src 0
		.amdhsa_exception_fp_ieee_div_zero 0
		.amdhsa_exception_fp_ieee_overflow 0
		.amdhsa_exception_fp_ieee_underflow 0
		.amdhsa_exception_fp_ieee_inexact 0
		.amdhsa_exception_int_div_zero 0
	.end_amdhsa_kernel
	.section	.text._ZN7rocprim17ROCPRIM_400000_NS6detail17trampoline_kernelINS0_14default_configENS1_38merge_sort_block_merge_config_selectorIlNS0_10empty_typeEEEZZNS1_27merge_sort_block_merge_implIS3_PlPS5_mZN2at6native12_GLOBAL__N_124unique_dim_cuda_templateIbEESt5tupleIJNSA_6TensorESF_SF_EERKSF_lbbbEUlllE_EE10hipError_tT0_T1_T2_jT3_P12ihipStream_tbPNSt15iterator_traitsISL_E10value_typeEPNSR_ISM_E10value_typeEPSN_NS1_7vsmem_tEENKUlT_SL_SM_SN_E_clIS8_S8_S9_S9_EESK_S10_SL_SM_SN_EUlS10_E1_NS1_11comp_targetILNS1_3genE9ELNS1_11target_archE1100ELNS1_3gpuE3ELNS1_3repE0EEENS1_36merge_oddeven_config_static_selectorELNS0_4arch9wavefront6targetE0EEEvSM_,"axG",@progbits,_ZN7rocprim17ROCPRIM_400000_NS6detail17trampoline_kernelINS0_14default_configENS1_38merge_sort_block_merge_config_selectorIlNS0_10empty_typeEEEZZNS1_27merge_sort_block_merge_implIS3_PlPS5_mZN2at6native12_GLOBAL__N_124unique_dim_cuda_templateIbEESt5tupleIJNSA_6TensorESF_SF_EERKSF_lbbbEUlllE_EE10hipError_tT0_T1_T2_jT3_P12ihipStream_tbPNSt15iterator_traitsISL_E10value_typeEPNSR_ISM_E10value_typeEPSN_NS1_7vsmem_tEENKUlT_SL_SM_SN_E_clIS8_S8_S9_S9_EESK_S10_SL_SM_SN_EUlS10_E1_NS1_11comp_targetILNS1_3genE9ELNS1_11target_archE1100ELNS1_3gpuE3ELNS1_3repE0EEENS1_36merge_oddeven_config_static_selectorELNS0_4arch9wavefront6targetE0EEEvSM_,comdat
.Lfunc_end1024:
	.size	_ZN7rocprim17ROCPRIM_400000_NS6detail17trampoline_kernelINS0_14default_configENS1_38merge_sort_block_merge_config_selectorIlNS0_10empty_typeEEEZZNS1_27merge_sort_block_merge_implIS3_PlPS5_mZN2at6native12_GLOBAL__N_124unique_dim_cuda_templateIbEESt5tupleIJNSA_6TensorESF_SF_EERKSF_lbbbEUlllE_EE10hipError_tT0_T1_T2_jT3_P12ihipStream_tbPNSt15iterator_traitsISL_E10value_typeEPNSR_ISM_E10value_typeEPSN_NS1_7vsmem_tEENKUlT_SL_SM_SN_E_clIS8_S8_S9_S9_EESK_S10_SL_SM_SN_EUlS10_E1_NS1_11comp_targetILNS1_3genE9ELNS1_11target_archE1100ELNS1_3gpuE3ELNS1_3repE0EEENS1_36merge_oddeven_config_static_selectorELNS0_4arch9wavefront6targetE0EEEvSM_, .Lfunc_end1024-_ZN7rocprim17ROCPRIM_400000_NS6detail17trampoline_kernelINS0_14default_configENS1_38merge_sort_block_merge_config_selectorIlNS0_10empty_typeEEEZZNS1_27merge_sort_block_merge_implIS3_PlPS5_mZN2at6native12_GLOBAL__N_124unique_dim_cuda_templateIbEESt5tupleIJNSA_6TensorESF_SF_EERKSF_lbbbEUlllE_EE10hipError_tT0_T1_T2_jT3_P12ihipStream_tbPNSt15iterator_traitsISL_E10value_typeEPNSR_ISM_E10value_typeEPSN_NS1_7vsmem_tEENKUlT_SL_SM_SN_E_clIS8_S8_S9_S9_EESK_S10_SL_SM_SN_EUlS10_E1_NS1_11comp_targetILNS1_3genE9ELNS1_11target_archE1100ELNS1_3gpuE3ELNS1_3repE0EEENS1_36merge_oddeven_config_static_selectorELNS0_4arch9wavefront6targetE0EEEvSM_
                                        ; -- End function
	.section	.AMDGPU.csdata,"",@progbits
; Kernel info:
; codeLenInByte = 2028
; NumSgprs: 30
; NumVgprs: 18
; ScratchSize: 0
; MemoryBound: 0
; FloatMode: 240
; IeeeMode: 1
; LDSByteSize: 0 bytes/workgroup (compile time only)
; SGPRBlocks: 3
; VGPRBlocks: 2
; NumSGPRsForWavesPerEU: 30
; NumVGPRsForWavesPerEU: 18
; Occupancy: 16
; WaveLimiterHint : 0
; COMPUTE_PGM_RSRC2:SCRATCH_EN: 0
; COMPUTE_PGM_RSRC2:USER_SGPR: 15
; COMPUTE_PGM_RSRC2:TRAP_HANDLER: 0
; COMPUTE_PGM_RSRC2:TGID_X_EN: 1
; COMPUTE_PGM_RSRC2:TGID_Y_EN: 0
; COMPUTE_PGM_RSRC2:TGID_Z_EN: 0
; COMPUTE_PGM_RSRC2:TIDIG_COMP_CNT: 0
	.section	.text._ZN7rocprim17ROCPRIM_400000_NS6detail17trampoline_kernelINS0_14default_configENS1_38merge_sort_block_merge_config_selectorIlNS0_10empty_typeEEEZZNS1_27merge_sort_block_merge_implIS3_PlPS5_mZN2at6native12_GLOBAL__N_124unique_dim_cuda_templateIbEESt5tupleIJNSA_6TensorESF_SF_EERKSF_lbbbEUlllE_EE10hipError_tT0_T1_T2_jT3_P12ihipStream_tbPNSt15iterator_traitsISL_E10value_typeEPNSR_ISM_E10value_typeEPSN_NS1_7vsmem_tEENKUlT_SL_SM_SN_E_clIS8_S8_S9_S9_EESK_S10_SL_SM_SN_EUlS10_E1_NS1_11comp_targetILNS1_3genE8ELNS1_11target_archE1030ELNS1_3gpuE2ELNS1_3repE0EEENS1_36merge_oddeven_config_static_selectorELNS0_4arch9wavefront6targetE0EEEvSM_,"axG",@progbits,_ZN7rocprim17ROCPRIM_400000_NS6detail17trampoline_kernelINS0_14default_configENS1_38merge_sort_block_merge_config_selectorIlNS0_10empty_typeEEEZZNS1_27merge_sort_block_merge_implIS3_PlPS5_mZN2at6native12_GLOBAL__N_124unique_dim_cuda_templateIbEESt5tupleIJNSA_6TensorESF_SF_EERKSF_lbbbEUlllE_EE10hipError_tT0_T1_T2_jT3_P12ihipStream_tbPNSt15iterator_traitsISL_E10value_typeEPNSR_ISM_E10value_typeEPSN_NS1_7vsmem_tEENKUlT_SL_SM_SN_E_clIS8_S8_S9_S9_EESK_S10_SL_SM_SN_EUlS10_E1_NS1_11comp_targetILNS1_3genE8ELNS1_11target_archE1030ELNS1_3gpuE2ELNS1_3repE0EEENS1_36merge_oddeven_config_static_selectorELNS0_4arch9wavefront6targetE0EEEvSM_,comdat
	.globl	_ZN7rocprim17ROCPRIM_400000_NS6detail17trampoline_kernelINS0_14default_configENS1_38merge_sort_block_merge_config_selectorIlNS0_10empty_typeEEEZZNS1_27merge_sort_block_merge_implIS3_PlPS5_mZN2at6native12_GLOBAL__N_124unique_dim_cuda_templateIbEESt5tupleIJNSA_6TensorESF_SF_EERKSF_lbbbEUlllE_EE10hipError_tT0_T1_T2_jT3_P12ihipStream_tbPNSt15iterator_traitsISL_E10value_typeEPNSR_ISM_E10value_typeEPSN_NS1_7vsmem_tEENKUlT_SL_SM_SN_E_clIS8_S8_S9_S9_EESK_S10_SL_SM_SN_EUlS10_E1_NS1_11comp_targetILNS1_3genE8ELNS1_11target_archE1030ELNS1_3gpuE2ELNS1_3repE0EEENS1_36merge_oddeven_config_static_selectorELNS0_4arch9wavefront6targetE0EEEvSM_ ; -- Begin function _ZN7rocprim17ROCPRIM_400000_NS6detail17trampoline_kernelINS0_14default_configENS1_38merge_sort_block_merge_config_selectorIlNS0_10empty_typeEEEZZNS1_27merge_sort_block_merge_implIS3_PlPS5_mZN2at6native12_GLOBAL__N_124unique_dim_cuda_templateIbEESt5tupleIJNSA_6TensorESF_SF_EERKSF_lbbbEUlllE_EE10hipError_tT0_T1_T2_jT3_P12ihipStream_tbPNSt15iterator_traitsISL_E10value_typeEPNSR_ISM_E10value_typeEPSN_NS1_7vsmem_tEENKUlT_SL_SM_SN_E_clIS8_S8_S9_S9_EESK_S10_SL_SM_SN_EUlS10_E1_NS1_11comp_targetILNS1_3genE8ELNS1_11target_archE1030ELNS1_3gpuE2ELNS1_3repE0EEENS1_36merge_oddeven_config_static_selectorELNS0_4arch9wavefront6targetE0EEEvSM_
	.p2align	8
	.type	_ZN7rocprim17ROCPRIM_400000_NS6detail17trampoline_kernelINS0_14default_configENS1_38merge_sort_block_merge_config_selectorIlNS0_10empty_typeEEEZZNS1_27merge_sort_block_merge_implIS3_PlPS5_mZN2at6native12_GLOBAL__N_124unique_dim_cuda_templateIbEESt5tupleIJNSA_6TensorESF_SF_EERKSF_lbbbEUlllE_EE10hipError_tT0_T1_T2_jT3_P12ihipStream_tbPNSt15iterator_traitsISL_E10value_typeEPNSR_ISM_E10value_typeEPSN_NS1_7vsmem_tEENKUlT_SL_SM_SN_E_clIS8_S8_S9_S9_EESK_S10_SL_SM_SN_EUlS10_E1_NS1_11comp_targetILNS1_3genE8ELNS1_11target_archE1030ELNS1_3gpuE2ELNS1_3repE0EEENS1_36merge_oddeven_config_static_selectorELNS0_4arch9wavefront6targetE0EEEvSM_,@function
_ZN7rocprim17ROCPRIM_400000_NS6detail17trampoline_kernelINS0_14default_configENS1_38merge_sort_block_merge_config_selectorIlNS0_10empty_typeEEEZZNS1_27merge_sort_block_merge_implIS3_PlPS5_mZN2at6native12_GLOBAL__N_124unique_dim_cuda_templateIbEESt5tupleIJNSA_6TensorESF_SF_EERKSF_lbbbEUlllE_EE10hipError_tT0_T1_T2_jT3_P12ihipStream_tbPNSt15iterator_traitsISL_E10value_typeEPNSR_ISM_E10value_typeEPSN_NS1_7vsmem_tEENKUlT_SL_SM_SN_E_clIS8_S8_S9_S9_EESK_S10_SL_SM_SN_EUlS10_E1_NS1_11comp_targetILNS1_3genE8ELNS1_11target_archE1030ELNS1_3gpuE2ELNS1_3repE0EEENS1_36merge_oddeven_config_static_selectorELNS0_4arch9wavefront6targetE0EEEvSM_: ; @_ZN7rocprim17ROCPRIM_400000_NS6detail17trampoline_kernelINS0_14default_configENS1_38merge_sort_block_merge_config_selectorIlNS0_10empty_typeEEEZZNS1_27merge_sort_block_merge_implIS3_PlPS5_mZN2at6native12_GLOBAL__N_124unique_dim_cuda_templateIbEESt5tupleIJNSA_6TensorESF_SF_EERKSF_lbbbEUlllE_EE10hipError_tT0_T1_T2_jT3_P12ihipStream_tbPNSt15iterator_traitsISL_E10value_typeEPNSR_ISM_E10value_typeEPSN_NS1_7vsmem_tEENKUlT_SL_SM_SN_E_clIS8_S8_S9_S9_EESK_S10_SL_SM_SN_EUlS10_E1_NS1_11comp_targetILNS1_3genE8ELNS1_11target_archE1030ELNS1_3gpuE2ELNS1_3repE0EEENS1_36merge_oddeven_config_static_selectorELNS0_4arch9wavefront6targetE0EEEvSM_
; %bb.0:
	.section	.rodata,"a",@progbits
	.p2align	6, 0x0
	.amdhsa_kernel _ZN7rocprim17ROCPRIM_400000_NS6detail17trampoline_kernelINS0_14default_configENS1_38merge_sort_block_merge_config_selectorIlNS0_10empty_typeEEEZZNS1_27merge_sort_block_merge_implIS3_PlPS5_mZN2at6native12_GLOBAL__N_124unique_dim_cuda_templateIbEESt5tupleIJNSA_6TensorESF_SF_EERKSF_lbbbEUlllE_EE10hipError_tT0_T1_T2_jT3_P12ihipStream_tbPNSt15iterator_traitsISL_E10value_typeEPNSR_ISM_E10value_typeEPSN_NS1_7vsmem_tEENKUlT_SL_SM_SN_E_clIS8_S8_S9_S9_EESK_S10_SL_SM_SN_EUlS10_E1_NS1_11comp_targetILNS1_3genE8ELNS1_11target_archE1030ELNS1_3gpuE2ELNS1_3repE0EEENS1_36merge_oddeven_config_static_selectorELNS0_4arch9wavefront6targetE0EEEvSM_
		.amdhsa_group_segment_fixed_size 0
		.amdhsa_private_segment_fixed_size 0
		.amdhsa_kernarg_size 64
		.amdhsa_user_sgpr_count 15
		.amdhsa_user_sgpr_dispatch_ptr 0
		.amdhsa_user_sgpr_queue_ptr 0
		.amdhsa_user_sgpr_kernarg_segment_ptr 1
		.amdhsa_user_sgpr_dispatch_id 0
		.amdhsa_user_sgpr_private_segment_size 0
		.amdhsa_wavefront_size32 1
		.amdhsa_uses_dynamic_stack 0
		.amdhsa_enable_private_segment 0
		.amdhsa_system_sgpr_workgroup_id_x 1
		.amdhsa_system_sgpr_workgroup_id_y 0
		.amdhsa_system_sgpr_workgroup_id_z 0
		.amdhsa_system_sgpr_workgroup_info 0
		.amdhsa_system_vgpr_workitem_id 0
		.amdhsa_next_free_vgpr 1
		.amdhsa_next_free_sgpr 1
		.amdhsa_reserve_vcc 0
		.amdhsa_float_round_mode_32 0
		.amdhsa_float_round_mode_16_64 0
		.amdhsa_float_denorm_mode_32 3
		.amdhsa_float_denorm_mode_16_64 3
		.amdhsa_dx10_clamp 1
		.amdhsa_ieee_mode 1
		.amdhsa_fp16_overflow 0
		.amdhsa_workgroup_processor_mode 1
		.amdhsa_memory_ordered 1
		.amdhsa_forward_progress 0
		.amdhsa_shared_vgpr_count 0
		.amdhsa_exception_fp_ieee_invalid_op 0
		.amdhsa_exception_fp_denorm_src 0
		.amdhsa_exception_fp_ieee_div_zero 0
		.amdhsa_exception_fp_ieee_overflow 0
		.amdhsa_exception_fp_ieee_underflow 0
		.amdhsa_exception_fp_ieee_inexact 0
		.amdhsa_exception_int_div_zero 0
	.end_amdhsa_kernel
	.section	.text._ZN7rocprim17ROCPRIM_400000_NS6detail17trampoline_kernelINS0_14default_configENS1_38merge_sort_block_merge_config_selectorIlNS0_10empty_typeEEEZZNS1_27merge_sort_block_merge_implIS3_PlPS5_mZN2at6native12_GLOBAL__N_124unique_dim_cuda_templateIbEESt5tupleIJNSA_6TensorESF_SF_EERKSF_lbbbEUlllE_EE10hipError_tT0_T1_T2_jT3_P12ihipStream_tbPNSt15iterator_traitsISL_E10value_typeEPNSR_ISM_E10value_typeEPSN_NS1_7vsmem_tEENKUlT_SL_SM_SN_E_clIS8_S8_S9_S9_EESK_S10_SL_SM_SN_EUlS10_E1_NS1_11comp_targetILNS1_3genE8ELNS1_11target_archE1030ELNS1_3gpuE2ELNS1_3repE0EEENS1_36merge_oddeven_config_static_selectorELNS0_4arch9wavefront6targetE0EEEvSM_,"axG",@progbits,_ZN7rocprim17ROCPRIM_400000_NS6detail17trampoline_kernelINS0_14default_configENS1_38merge_sort_block_merge_config_selectorIlNS0_10empty_typeEEEZZNS1_27merge_sort_block_merge_implIS3_PlPS5_mZN2at6native12_GLOBAL__N_124unique_dim_cuda_templateIbEESt5tupleIJNSA_6TensorESF_SF_EERKSF_lbbbEUlllE_EE10hipError_tT0_T1_T2_jT3_P12ihipStream_tbPNSt15iterator_traitsISL_E10value_typeEPNSR_ISM_E10value_typeEPSN_NS1_7vsmem_tEENKUlT_SL_SM_SN_E_clIS8_S8_S9_S9_EESK_S10_SL_SM_SN_EUlS10_E1_NS1_11comp_targetILNS1_3genE8ELNS1_11target_archE1030ELNS1_3gpuE2ELNS1_3repE0EEENS1_36merge_oddeven_config_static_selectorELNS0_4arch9wavefront6targetE0EEEvSM_,comdat
.Lfunc_end1025:
	.size	_ZN7rocprim17ROCPRIM_400000_NS6detail17trampoline_kernelINS0_14default_configENS1_38merge_sort_block_merge_config_selectorIlNS0_10empty_typeEEEZZNS1_27merge_sort_block_merge_implIS3_PlPS5_mZN2at6native12_GLOBAL__N_124unique_dim_cuda_templateIbEESt5tupleIJNSA_6TensorESF_SF_EERKSF_lbbbEUlllE_EE10hipError_tT0_T1_T2_jT3_P12ihipStream_tbPNSt15iterator_traitsISL_E10value_typeEPNSR_ISM_E10value_typeEPSN_NS1_7vsmem_tEENKUlT_SL_SM_SN_E_clIS8_S8_S9_S9_EESK_S10_SL_SM_SN_EUlS10_E1_NS1_11comp_targetILNS1_3genE8ELNS1_11target_archE1030ELNS1_3gpuE2ELNS1_3repE0EEENS1_36merge_oddeven_config_static_selectorELNS0_4arch9wavefront6targetE0EEEvSM_, .Lfunc_end1025-_ZN7rocprim17ROCPRIM_400000_NS6detail17trampoline_kernelINS0_14default_configENS1_38merge_sort_block_merge_config_selectorIlNS0_10empty_typeEEEZZNS1_27merge_sort_block_merge_implIS3_PlPS5_mZN2at6native12_GLOBAL__N_124unique_dim_cuda_templateIbEESt5tupleIJNSA_6TensorESF_SF_EERKSF_lbbbEUlllE_EE10hipError_tT0_T1_T2_jT3_P12ihipStream_tbPNSt15iterator_traitsISL_E10value_typeEPNSR_ISM_E10value_typeEPSN_NS1_7vsmem_tEENKUlT_SL_SM_SN_E_clIS8_S8_S9_S9_EESK_S10_SL_SM_SN_EUlS10_E1_NS1_11comp_targetILNS1_3genE8ELNS1_11target_archE1030ELNS1_3gpuE2ELNS1_3repE0EEENS1_36merge_oddeven_config_static_selectorELNS0_4arch9wavefront6targetE0EEEvSM_
                                        ; -- End function
	.section	.AMDGPU.csdata,"",@progbits
; Kernel info:
; codeLenInByte = 0
; NumSgprs: 0
; NumVgprs: 0
; ScratchSize: 0
; MemoryBound: 0
; FloatMode: 240
; IeeeMode: 1
; LDSByteSize: 0 bytes/workgroup (compile time only)
; SGPRBlocks: 0
; VGPRBlocks: 0
; NumSGPRsForWavesPerEU: 1
; NumVGPRsForWavesPerEU: 1
; Occupancy: 16
; WaveLimiterHint : 0
; COMPUTE_PGM_RSRC2:SCRATCH_EN: 0
; COMPUTE_PGM_RSRC2:USER_SGPR: 15
; COMPUTE_PGM_RSRC2:TRAP_HANDLER: 0
; COMPUTE_PGM_RSRC2:TGID_X_EN: 1
; COMPUTE_PGM_RSRC2:TGID_Y_EN: 0
; COMPUTE_PGM_RSRC2:TGID_Z_EN: 0
; COMPUTE_PGM_RSRC2:TIDIG_COMP_CNT: 0
	.section	.text._ZN7rocprim17ROCPRIM_400000_NS6detail17trampoline_kernelINS0_14default_configENS1_35adjacent_difference_config_selectorILb0ElEEZNS1_24adjacent_difference_implIS3_Lb0ELb0EPlS7_ZN2at6native12_GLOBAL__N_124unique_dim_cuda_templateIbEESt5tupleIJNS8_6TensorESD_SD_EERKSD_lbbbEUlllE1_EE10hipError_tPvRmT2_T3_mT4_P12ihipStream_tbEUlT_E_NS1_11comp_targetILNS1_3genE0ELNS1_11target_archE4294967295ELNS1_3gpuE0ELNS1_3repE0EEENS1_30default_config_static_selectorELNS0_4arch9wavefront6targetE0EEEvT1_,"axG",@progbits,_ZN7rocprim17ROCPRIM_400000_NS6detail17trampoline_kernelINS0_14default_configENS1_35adjacent_difference_config_selectorILb0ElEEZNS1_24adjacent_difference_implIS3_Lb0ELb0EPlS7_ZN2at6native12_GLOBAL__N_124unique_dim_cuda_templateIbEESt5tupleIJNS8_6TensorESD_SD_EERKSD_lbbbEUlllE1_EE10hipError_tPvRmT2_T3_mT4_P12ihipStream_tbEUlT_E_NS1_11comp_targetILNS1_3genE0ELNS1_11target_archE4294967295ELNS1_3gpuE0ELNS1_3repE0EEENS1_30default_config_static_selectorELNS0_4arch9wavefront6targetE0EEEvT1_,comdat
	.globl	_ZN7rocprim17ROCPRIM_400000_NS6detail17trampoline_kernelINS0_14default_configENS1_35adjacent_difference_config_selectorILb0ElEEZNS1_24adjacent_difference_implIS3_Lb0ELb0EPlS7_ZN2at6native12_GLOBAL__N_124unique_dim_cuda_templateIbEESt5tupleIJNS8_6TensorESD_SD_EERKSD_lbbbEUlllE1_EE10hipError_tPvRmT2_T3_mT4_P12ihipStream_tbEUlT_E_NS1_11comp_targetILNS1_3genE0ELNS1_11target_archE4294967295ELNS1_3gpuE0ELNS1_3repE0EEENS1_30default_config_static_selectorELNS0_4arch9wavefront6targetE0EEEvT1_ ; -- Begin function _ZN7rocprim17ROCPRIM_400000_NS6detail17trampoline_kernelINS0_14default_configENS1_35adjacent_difference_config_selectorILb0ElEEZNS1_24adjacent_difference_implIS3_Lb0ELb0EPlS7_ZN2at6native12_GLOBAL__N_124unique_dim_cuda_templateIbEESt5tupleIJNS8_6TensorESD_SD_EERKSD_lbbbEUlllE1_EE10hipError_tPvRmT2_T3_mT4_P12ihipStream_tbEUlT_E_NS1_11comp_targetILNS1_3genE0ELNS1_11target_archE4294967295ELNS1_3gpuE0ELNS1_3repE0EEENS1_30default_config_static_selectorELNS0_4arch9wavefront6targetE0EEEvT1_
	.p2align	8
	.type	_ZN7rocprim17ROCPRIM_400000_NS6detail17trampoline_kernelINS0_14default_configENS1_35adjacent_difference_config_selectorILb0ElEEZNS1_24adjacent_difference_implIS3_Lb0ELb0EPlS7_ZN2at6native12_GLOBAL__N_124unique_dim_cuda_templateIbEESt5tupleIJNS8_6TensorESD_SD_EERKSD_lbbbEUlllE1_EE10hipError_tPvRmT2_T3_mT4_P12ihipStream_tbEUlT_E_NS1_11comp_targetILNS1_3genE0ELNS1_11target_archE4294967295ELNS1_3gpuE0ELNS1_3repE0EEENS1_30default_config_static_selectorELNS0_4arch9wavefront6targetE0EEEvT1_,@function
_ZN7rocprim17ROCPRIM_400000_NS6detail17trampoline_kernelINS0_14default_configENS1_35adjacent_difference_config_selectorILb0ElEEZNS1_24adjacent_difference_implIS3_Lb0ELb0EPlS7_ZN2at6native12_GLOBAL__N_124unique_dim_cuda_templateIbEESt5tupleIJNS8_6TensorESD_SD_EERKSD_lbbbEUlllE1_EE10hipError_tPvRmT2_T3_mT4_P12ihipStream_tbEUlT_E_NS1_11comp_targetILNS1_3genE0ELNS1_11target_archE4294967295ELNS1_3gpuE0ELNS1_3repE0EEENS1_30default_config_static_selectorELNS0_4arch9wavefront6targetE0EEEvT1_: ; @_ZN7rocprim17ROCPRIM_400000_NS6detail17trampoline_kernelINS0_14default_configENS1_35adjacent_difference_config_selectorILb0ElEEZNS1_24adjacent_difference_implIS3_Lb0ELb0EPlS7_ZN2at6native12_GLOBAL__N_124unique_dim_cuda_templateIbEESt5tupleIJNS8_6TensorESD_SD_EERKSD_lbbbEUlllE1_EE10hipError_tPvRmT2_T3_mT4_P12ihipStream_tbEUlT_E_NS1_11comp_targetILNS1_3genE0ELNS1_11target_archE4294967295ELNS1_3gpuE0ELNS1_3repE0EEENS1_30default_config_static_selectorELNS0_4arch9wavefront6targetE0EEEvT1_
; %bb.0:
	.section	.rodata,"a",@progbits
	.p2align	6, 0x0
	.amdhsa_kernel _ZN7rocprim17ROCPRIM_400000_NS6detail17trampoline_kernelINS0_14default_configENS1_35adjacent_difference_config_selectorILb0ElEEZNS1_24adjacent_difference_implIS3_Lb0ELb0EPlS7_ZN2at6native12_GLOBAL__N_124unique_dim_cuda_templateIbEESt5tupleIJNS8_6TensorESD_SD_EERKSD_lbbbEUlllE1_EE10hipError_tPvRmT2_T3_mT4_P12ihipStream_tbEUlT_E_NS1_11comp_targetILNS1_3genE0ELNS1_11target_archE4294967295ELNS1_3gpuE0ELNS1_3repE0EEENS1_30default_config_static_selectorELNS0_4arch9wavefront6targetE0EEEvT1_
		.amdhsa_group_segment_fixed_size 0
		.amdhsa_private_segment_fixed_size 0
		.amdhsa_kernarg_size 64
		.amdhsa_user_sgpr_count 15
		.amdhsa_user_sgpr_dispatch_ptr 0
		.amdhsa_user_sgpr_queue_ptr 0
		.amdhsa_user_sgpr_kernarg_segment_ptr 1
		.amdhsa_user_sgpr_dispatch_id 0
		.amdhsa_user_sgpr_private_segment_size 0
		.amdhsa_wavefront_size32 1
		.amdhsa_uses_dynamic_stack 0
		.amdhsa_enable_private_segment 0
		.amdhsa_system_sgpr_workgroup_id_x 1
		.amdhsa_system_sgpr_workgroup_id_y 0
		.amdhsa_system_sgpr_workgroup_id_z 0
		.amdhsa_system_sgpr_workgroup_info 0
		.amdhsa_system_vgpr_workitem_id 0
		.amdhsa_next_free_vgpr 1
		.amdhsa_next_free_sgpr 1
		.amdhsa_reserve_vcc 0
		.amdhsa_float_round_mode_32 0
		.amdhsa_float_round_mode_16_64 0
		.amdhsa_float_denorm_mode_32 3
		.amdhsa_float_denorm_mode_16_64 3
		.amdhsa_dx10_clamp 1
		.amdhsa_ieee_mode 1
		.amdhsa_fp16_overflow 0
		.amdhsa_workgroup_processor_mode 1
		.amdhsa_memory_ordered 1
		.amdhsa_forward_progress 0
		.amdhsa_shared_vgpr_count 0
		.amdhsa_exception_fp_ieee_invalid_op 0
		.amdhsa_exception_fp_denorm_src 0
		.amdhsa_exception_fp_ieee_div_zero 0
		.amdhsa_exception_fp_ieee_overflow 0
		.amdhsa_exception_fp_ieee_underflow 0
		.amdhsa_exception_fp_ieee_inexact 0
		.amdhsa_exception_int_div_zero 0
	.end_amdhsa_kernel
	.section	.text._ZN7rocprim17ROCPRIM_400000_NS6detail17trampoline_kernelINS0_14default_configENS1_35adjacent_difference_config_selectorILb0ElEEZNS1_24adjacent_difference_implIS3_Lb0ELb0EPlS7_ZN2at6native12_GLOBAL__N_124unique_dim_cuda_templateIbEESt5tupleIJNS8_6TensorESD_SD_EERKSD_lbbbEUlllE1_EE10hipError_tPvRmT2_T3_mT4_P12ihipStream_tbEUlT_E_NS1_11comp_targetILNS1_3genE0ELNS1_11target_archE4294967295ELNS1_3gpuE0ELNS1_3repE0EEENS1_30default_config_static_selectorELNS0_4arch9wavefront6targetE0EEEvT1_,"axG",@progbits,_ZN7rocprim17ROCPRIM_400000_NS6detail17trampoline_kernelINS0_14default_configENS1_35adjacent_difference_config_selectorILb0ElEEZNS1_24adjacent_difference_implIS3_Lb0ELb0EPlS7_ZN2at6native12_GLOBAL__N_124unique_dim_cuda_templateIbEESt5tupleIJNS8_6TensorESD_SD_EERKSD_lbbbEUlllE1_EE10hipError_tPvRmT2_T3_mT4_P12ihipStream_tbEUlT_E_NS1_11comp_targetILNS1_3genE0ELNS1_11target_archE4294967295ELNS1_3gpuE0ELNS1_3repE0EEENS1_30default_config_static_selectorELNS0_4arch9wavefront6targetE0EEEvT1_,comdat
.Lfunc_end1026:
	.size	_ZN7rocprim17ROCPRIM_400000_NS6detail17trampoline_kernelINS0_14default_configENS1_35adjacent_difference_config_selectorILb0ElEEZNS1_24adjacent_difference_implIS3_Lb0ELb0EPlS7_ZN2at6native12_GLOBAL__N_124unique_dim_cuda_templateIbEESt5tupleIJNS8_6TensorESD_SD_EERKSD_lbbbEUlllE1_EE10hipError_tPvRmT2_T3_mT4_P12ihipStream_tbEUlT_E_NS1_11comp_targetILNS1_3genE0ELNS1_11target_archE4294967295ELNS1_3gpuE0ELNS1_3repE0EEENS1_30default_config_static_selectorELNS0_4arch9wavefront6targetE0EEEvT1_, .Lfunc_end1026-_ZN7rocprim17ROCPRIM_400000_NS6detail17trampoline_kernelINS0_14default_configENS1_35adjacent_difference_config_selectorILb0ElEEZNS1_24adjacent_difference_implIS3_Lb0ELb0EPlS7_ZN2at6native12_GLOBAL__N_124unique_dim_cuda_templateIbEESt5tupleIJNS8_6TensorESD_SD_EERKSD_lbbbEUlllE1_EE10hipError_tPvRmT2_T3_mT4_P12ihipStream_tbEUlT_E_NS1_11comp_targetILNS1_3genE0ELNS1_11target_archE4294967295ELNS1_3gpuE0ELNS1_3repE0EEENS1_30default_config_static_selectorELNS0_4arch9wavefront6targetE0EEEvT1_
                                        ; -- End function
	.section	.AMDGPU.csdata,"",@progbits
; Kernel info:
; codeLenInByte = 0
; NumSgprs: 0
; NumVgprs: 0
; ScratchSize: 0
; MemoryBound: 0
; FloatMode: 240
; IeeeMode: 1
; LDSByteSize: 0 bytes/workgroup (compile time only)
; SGPRBlocks: 0
; VGPRBlocks: 0
; NumSGPRsForWavesPerEU: 1
; NumVGPRsForWavesPerEU: 1
; Occupancy: 16
; WaveLimiterHint : 0
; COMPUTE_PGM_RSRC2:SCRATCH_EN: 0
; COMPUTE_PGM_RSRC2:USER_SGPR: 15
; COMPUTE_PGM_RSRC2:TRAP_HANDLER: 0
; COMPUTE_PGM_RSRC2:TGID_X_EN: 1
; COMPUTE_PGM_RSRC2:TGID_Y_EN: 0
; COMPUTE_PGM_RSRC2:TGID_Z_EN: 0
; COMPUTE_PGM_RSRC2:TIDIG_COMP_CNT: 0
	.section	.text._ZN7rocprim17ROCPRIM_400000_NS6detail17trampoline_kernelINS0_14default_configENS1_35adjacent_difference_config_selectorILb0ElEEZNS1_24adjacent_difference_implIS3_Lb0ELb0EPlS7_ZN2at6native12_GLOBAL__N_124unique_dim_cuda_templateIbEESt5tupleIJNS8_6TensorESD_SD_EERKSD_lbbbEUlllE1_EE10hipError_tPvRmT2_T3_mT4_P12ihipStream_tbEUlT_E_NS1_11comp_targetILNS1_3genE10ELNS1_11target_archE1201ELNS1_3gpuE5ELNS1_3repE0EEENS1_30default_config_static_selectorELNS0_4arch9wavefront6targetE0EEEvT1_,"axG",@progbits,_ZN7rocprim17ROCPRIM_400000_NS6detail17trampoline_kernelINS0_14default_configENS1_35adjacent_difference_config_selectorILb0ElEEZNS1_24adjacent_difference_implIS3_Lb0ELb0EPlS7_ZN2at6native12_GLOBAL__N_124unique_dim_cuda_templateIbEESt5tupleIJNS8_6TensorESD_SD_EERKSD_lbbbEUlllE1_EE10hipError_tPvRmT2_T3_mT4_P12ihipStream_tbEUlT_E_NS1_11comp_targetILNS1_3genE10ELNS1_11target_archE1201ELNS1_3gpuE5ELNS1_3repE0EEENS1_30default_config_static_selectorELNS0_4arch9wavefront6targetE0EEEvT1_,comdat
	.globl	_ZN7rocprim17ROCPRIM_400000_NS6detail17trampoline_kernelINS0_14default_configENS1_35adjacent_difference_config_selectorILb0ElEEZNS1_24adjacent_difference_implIS3_Lb0ELb0EPlS7_ZN2at6native12_GLOBAL__N_124unique_dim_cuda_templateIbEESt5tupleIJNS8_6TensorESD_SD_EERKSD_lbbbEUlllE1_EE10hipError_tPvRmT2_T3_mT4_P12ihipStream_tbEUlT_E_NS1_11comp_targetILNS1_3genE10ELNS1_11target_archE1201ELNS1_3gpuE5ELNS1_3repE0EEENS1_30default_config_static_selectorELNS0_4arch9wavefront6targetE0EEEvT1_ ; -- Begin function _ZN7rocprim17ROCPRIM_400000_NS6detail17trampoline_kernelINS0_14default_configENS1_35adjacent_difference_config_selectorILb0ElEEZNS1_24adjacent_difference_implIS3_Lb0ELb0EPlS7_ZN2at6native12_GLOBAL__N_124unique_dim_cuda_templateIbEESt5tupleIJNS8_6TensorESD_SD_EERKSD_lbbbEUlllE1_EE10hipError_tPvRmT2_T3_mT4_P12ihipStream_tbEUlT_E_NS1_11comp_targetILNS1_3genE10ELNS1_11target_archE1201ELNS1_3gpuE5ELNS1_3repE0EEENS1_30default_config_static_selectorELNS0_4arch9wavefront6targetE0EEEvT1_
	.p2align	8
	.type	_ZN7rocprim17ROCPRIM_400000_NS6detail17trampoline_kernelINS0_14default_configENS1_35adjacent_difference_config_selectorILb0ElEEZNS1_24adjacent_difference_implIS3_Lb0ELb0EPlS7_ZN2at6native12_GLOBAL__N_124unique_dim_cuda_templateIbEESt5tupleIJNS8_6TensorESD_SD_EERKSD_lbbbEUlllE1_EE10hipError_tPvRmT2_T3_mT4_P12ihipStream_tbEUlT_E_NS1_11comp_targetILNS1_3genE10ELNS1_11target_archE1201ELNS1_3gpuE5ELNS1_3repE0EEENS1_30default_config_static_selectorELNS0_4arch9wavefront6targetE0EEEvT1_,@function
_ZN7rocprim17ROCPRIM_400000_NS6detail17trampoline_kernelINS0_14default_configENS1_35adjacent_difference_config_selectorILb0ElEEZNS1_24adjacent_difference_implIS3_Lb0ELb0EPlS7_ZN2at6native12_GLOBAL__N_124unique_dim_cuda_templateIbEESt5tupleIJNS8_6TensorESD_SD_EERKSD_lbbbEUlllE1_EE10hipError_tPvRmT2_T3_mT4_P12ihipStream_tbEUlT_E_NS1_11comp_targetILNS1_3genE10ELNS1_11target_archE1201ELNS1_3gpuE5ELNS1_3repE0EEENS1_30default_config_static_selectorELNS0_4arch9wavefront6targetE0EEEvT1_: ; @_ZN7rocprim17ROCPRIM_400000_NS6detail17trampoline_kernelINS0_14default_configENS1_35adjacent_difference_config_selectorILb0ElEEZNS1_24adjacent_difference_implIS3_Lb0ELb0EPlS7_ZN2at6native12_GLOBAL__N_124unique_dim_cuda_templateIbEESt5tupleIJNS8_6TensorESD_SD_EERKSD_lbbbEUlllE1_EE10hipError_tPvRmT2_T3_mT4_P12ihipStream_tbEUlT_E_NS1_11comp_targetILNS1_3genE10ELNS1_11target_archE1201ELNS1_3gpuE5ELNS1_3repE0EEENS1_30default_config_static_selectorELNS0_4arch9wavefront6targetE0EEEvT1_
; %bb.0:
	.section	.rodata,"a",@progbits
	.p2align	6, 0x0
	.amdhsa_kernel _ZN7rocprim17ROCPRIM_400000_NS6detail17trampoline_kernelINS0_14default_configENS1_35adjacent_difference_config_selectorILb0ElEEZNS1_24adjacent_difference_implIS3_Lb0ELb0EPlS7_ZN2at6native12_GLOBAL__N_124unique_dim_cuda_templateIbEESt5tupleIJNS8_6TensorESD_SD_EERKSD_lbbbEUlllE1_EE10hipError_tPvRmT2_T3_mT4_P12ihipStream_tbEUlT_E_NS1_11comp_targetILNS1_3genE10ELNS1_11target_archE1201ELNS1_3gpuE5ELNS1_3repE0EEENS1_30default_config_static_selectorELNS0_4arch9wavefront6targetE0EEEvT1_
		.amdhsa_group_segment_fixed_size 0
		.amdhsa_private_segment_fixed_size 0
		.amdhsa_kernarg_size 64
		.amdhsa_user_sgpr_count 15
		.amdhsa_user_sgpr_dispatch_ptr 0
		.amdhsa_user_sgpr_queue_ptr 0
		.amdhsa_user_sgpr_kernarg_segment_ptr 1
		.amdhsa_user_sgpr_dispatch_id 0
		.amdhsa_user_sgpr_private_segment_size 0
		.amdhsa_wavefront_size32 1
		.amdhsa_uses_dynamic_stack 0
		.amdhsa_enable_private_segment 0
		.amdhsa_system_sgpr_workgroup_id_x 1
		.amdhsa_system_sgpr_workgroup_id_y 0
		.amdhsa_system_sgpr_workgroup_id_z 0
		.amdhsa_system_sgpr_workgroup_info 0
		.amdhsa_system_vgpr_workitem_id 0
		.amdhsa_next_free_vgpr 1
		.amdhsa_next_free_sgpr 1
		.amdhsa_reserve_vcc 0
		.amdhsa_float_round_mode_32 0
		.amdhsa_float_round_mode_16_64 0
		.amdhsa_float_denorm_mode_32 3
		.amdhsa_float_denorm_mode_16_64 3
		.amdhsa_dx10_clamp 1
		.amdhsa_ieee_mode 1
		.amdhsa_fp16_overflow 0
		.amdhsa_workgroup_processor_mode 1
		.amdhsa_memory_ordered 1
		.amdhsa_forward_progress 0
		.amdhsa_shared_vgpr_count 0
		.amdhsa_exception_fp_ieee_invalid_op 0
		.amdhsa_exception_fp_denorm_src 0
		.amdhsa_exception_fp_ieee_div_zero 0
		.amdhsa_exception_fp_ieee_overflow 0
		.amdhsa_exception_fp_ieee_underflow 0
		.amdhsa_exception_fp_ieee_inexact 0
		.amdhsa_exception_int_div_zero 0
	.end_amdhsa_kernel
	.section	.text._ZN7rocprim17ROCPRIM_400000_NS6detail17trampoline_kernelINS0_14default_configENS1_35adjacent_difference_config_selectorILb0ElEEZNS1_24adjacent_difference_implIS3_Lb0ELb0EPlS7_ZN2at6native12_GLOBAL__N_124unique_dim_cuda_templateIbEESt5tupleIJNS8_6TensorESD_SD_EERKSD_lbbbEUlllE1_EE10hipError_tPvRmT2_T3_mT4_P12ihipStream_tbEUlT_E_NS1_11comp_targetILNS1_3genE10ELNS1_11target_archE1201ELNS1_3gpuE5ELNS1_3repE0EEENS1_30default_config_static_selectorELNS0_4arch9wavefront6targetE0EEEvT1_,"axG",@progbits,_ZN7rocprim17ROCPRIM_400000_NS6detail17trampoline_kernelINS0_14default_configENS1_35adjacent_difference_config_selectorILb0ElEEZNS1_24adjacent_difference_implIS3_Lb0ELb0EPlS7_ZN2at6native12_GLOBAL__N_124unique_dim_cuda_templateIbEESt5tupleIJNS8_6TensorESD_SD_EERKSD_lbbbEUlllE1_EE10hipError_tPvRmT2_T3_mT4_P12ihipStream_tbEUlT_E_NS1_11comp_targetILNS1_3genE10ELNS1_11target_archE1201ELNS1_3gpuE5ELNS1_3repE0EEENS1_30default_config_static_selectorELNS0_4arch9wavefront6targetE0EEEvT1_,comdat
.Lfunc_end1027:
	.size	_ZN7rocprim17ROCPRIM_400000_NS6detail17trampoline_kernelINS0_14default_configENS1_35adjacent_difference_config_selectorILb0ElEEZNS1_24adjacent_difference_implIS3_Lb0ELb0EPlS7_ZN2at6native12_GLOBAL__N_124unique_dim_cuda_templateIbEESt5tupleIJNS8_6TensorESD_SD_EERKSD_lbbbEUlllE1_EE10hipError_tPvRmT2_T3_mT4_P12ihipStream_tbEUlT_E_NS1_11comp_targetILNS1_3genE10ELNS1_11target_archE1201ELNS1_3gpuE5ELNS1_3repE0EEENS1_30default_config_static_selectorELNS0_4arch9wavefront6targetE0EEEvT1_, .Lfunc_end1027-_ZN7rocprim17ROCPRIM_400000_NS6detail17trampoline_kernelINS0_14default_configENS1_35adjacent_difference_config_selectorILb0ElEEZNS1_24adjacent_difference_implIS3_Lb0ELb0EPlS7_ZN2at6native12_GLOBAL__N_124unique_dim_cuda_templateIbEESt5tupleIJNS8_6TensorESD_SD_EERKSD_lbbbEUlllE1_EE10hipError_tPvRmT2_T3_mT4_P12ihipStream_tbEUlT_E_NS1_11comp_targetILNS1_3genE10ELNS1_11target_archE1201ELNS1_3gpuE5ELNS1_3repE0EEENS1_30default_config_static_selectorELNS0_4arch9wavefront6targetE0EEEvT1_
                                        ; -- End function
	.section	.AMDGPU.csdata,"",@progbits
; Kernel info:
; codeLenInByte = 0
; NumSgprs: 0
; NumVgprs: 0
; ScratchSize: 0
; MemoryBound: 0
; FloatMode: 240
; IeeeMode: 1
; LDSByteSize: 0 bytes/workgroup (compile time only)
; SGPRBlocks: 0
; VGPRBlocks: 0
; NumSGPRsForWavesPerEU: 1
; NumVGPRsForWavesPerEU: 1
; Occupancy: 16
; WaveLimiterHint : 0
; COMPUTE_PGM_RSRC2:SCRATCH_EN: 0
; COMPUTE_PGM_RSRC2:USER_SGPR: 15
; COMPUTE_PGM_RSRC2:TRAP_HANDLER: 0
; COMPUTE_PGM_RSRC2:TGID_X_EN: 1
; COMPUTE_PGM_RSRC2:TGID_Y_EN: 0
; COMPUTE_PGM_RSRC2:TGID_Z_EN: 0
; COMPUTE_PGM_RSRC2:TIDIG_COMP_CNT: 0
	.section	.text._ZN7rocprim17ROCPRIM_400000_NS6detail17trampoline_kernelINS0_14default_configENS1_35adjacent_difference_config_selectorILb0ElEEZNS1_24adjacent_difference_implIS3_Lb0ELb0EPlS7_ZN2at6native12_GLOBAL__N_124unique_dim_cuda_templateIbEESt5tupleIJNS8_6TensorESD_SD_EERKSD_lbbbEUlllE1_EE10hipError_tPvRmT2_T3_mT4_P12ihipStream_tbEUlT_E_NS1_11comp_targetILNS1_3genE5ELNS1_11target_archE942ELNS1_3gpuE9ELNS1_3repE0EEENS1_30default_config_static_selectorELNS0_4arch9wavefront6targetE0EEEvT1_,"axG",@progbits,_ZN7rocprim17ROCPRIM_400000_NS6detail17trampoline_kernelINS0_14default_configENS1_35adjacent_difference_config_selectorILb0ElEEZNS1_24adjacent_difference_implIS3_Lb0ELb0EPlS7_ZN2at6native12_GLOBAL__N_124unique_dim_cuda_templateIbEESt5tupleIJNS8_6TensorESD_SD_EERKSD_lbbbEUlllE1_EE10hipError_tPvRmT2_T3_mT4_P12ihipStream_tbEUlT_E_NS1_11comp_targetILNS1_3genE5ELNS1_11target_archE942ELNS1_3gpuE9ELNS1_3repE0EEENS1_30default_config_static_selectorELNS0_4arch9wavefront6targetE0EEEvT1_,comdat
	.globl	_ZN7rocprim17ROCPRIM_400000_NS6detail17trampoline_kernelINS0_14default_configENS1_35adjacent_difference_config_selectorILb0ElEEZNS1_24adjacent_difference_implIS3_Lb0ELb0EPlS7_ZN2at6native12_GLOBAL__N_124unique_dim_cuda_templateIbEESt5tupleIJNS8_6TensorESD_SD_EERKSD_lbbbEUlllE1_EE10hipError_tPvRmT2_T3_mT4_P12ihipStream_tbEUlT_E_NS1_11comp_targetILNS1_3genE5ELNS1_11target_archE942ELNS1_3gpuE9ELNS1_3repE0EEENS1_30default_config_static_selectorELNS0_4arch9wavefront6targetE0EEEvT1_ ; -- Begin function _ZN7rocprim17ROCPRIM_400000_NS6detail17trampoline_kernelINS0_14default_configENS1_35adjacent_difference_config_selectorILb0ElEEZNS1_24adjacent_difference_implIS3_Lb0ELb0EPlS7_ZN2at6native12_GLOBAL__N_124unique_dim_cuda_templateIbEESt5tupleIJNS8_6TensorESD_SD_EERKSD_lbbbEUlllE1_EE10hipError_tPvRmT2_T3_mT4_P12ihipStream_tbEUlT_E_NS1_11comp_targetILNS1_3genE5ELNS1_11target_archE942ELNS1_3gpuE9ELNS1_3repE0EEENS1_30default_config_static_selectorELNS0_4arch9wavefront6targetE0EEEvT1_
	.p2align	8
	.type	_ZN7rocprim17ROCPRIM_400000_NS6detail17trampoline_kernelINS0_14default_configENS1_35adjacent_difference_config_selectorILb0ElEEZNS1_24adjacent_difference_implIS3_Lb0ELb0EPlS7_ZN2at6native12_GLOBAL__N_124unique_dim_cuda_templateIbEESt5tupleIJNS8_6TensorESD_SD_EERKSD_lbbbEUlllE1_EE10hipError_tPvRmT2_T3_mT4_P12ihipStream_tbEUlT_E_NS1_11comp_targetILNS1_3genE5ELNS1_11target_archE942ELNS1_3gpuE9ELNS1_3repE0EEENS1_30default_config_static_selectorELNS0_4arch9wavefront6targetE0EEEvT1_,@function
_ZN7rocprim17ROCPRIM_400000_NS6detail17trampoline_kernelINS0_14default_configENS1_35adjacent_difference_config_selectorILb0ElEEZNS1_24adjacent_difference_implIS3_Lb0ELb0EPlS7_ZN2at6native12_GLOBAL__N_124unique_dim_cuda_templateIbEESt5tupleIJNS8_6TensorESD_SD_EERKSD_lbbbEUlllE1_EE10hipError_tPvRmT2_T3_mT4_P12ihipStream_tbEUlT_E_NS1_11comp_targetILNS1_3genE5ELNS1_11target_archE942ELNS1_3gpuE9ELNS1_3repE0EEENS1_30default_config_static_selectorELNS0_4arch9wavefront6targetE0EEEvT1_: ; @_ZN7rocprim17ROCPRIM_400000_NS6detail17trampoline_kernelINS0_14default_configENS1_35adjacent_difference_config_selectorILb0ElEEZNS1_24adjacent_difference_implIS3_Lb0ELb0EPlS7_ZN2at6native12_GLOBAL__N_124unique_dim_cuda_templateIbEESt5tupleIJNS8_6TensorESD_SD_EERKSD_lbbbEUlllE1_EE10hipError_tPvRmT2_T3_mT4_P12ihipStream_tbEUlT_E_NS1_11comp_targetILNS1_3genE5ELNS1_11target_archE942ELNS1_3gpuE9ELNS1_3repE0EEENS1_30default_config_static_selectorELNS0_4arch9wavefront6targetE0EEEvT1_
; %bb.0:
	.section	.rodata,"a",@progbits
	.p2align	6, 0x0
	.amdhsa_kernel _ZN7rocprim17ROCPRIM_400000_NS6detail17trampoline_kernelINS0_14default_configENS1_35adjacent_difference_config_selectorILb0ElEEZNS1_24adjacent_difference_implIS3_Lb0ELb0EPlS7_ZN2at6native12_GLOBAL__N_124unique_dim_cuda_templateIbEESt5tupleIJNS8_6TensorESD_SD_EERKSD_lbbbEUlllE1_EE10hipError_tPvRmT2_T3_mT4_P12ihipStream_tbEUlT_E_NS1_11comp_targetILNS1_3genE5ELNS1_11target_archE942ELNS1_3gpuE9ELNS1_3repE0EEENS1_30default_config_static_selectorELNS0_4arch9wavefront6targetE0EEEvT1_
		.amdhsa_group_segment_fixed_size 0
		.amdhsa_private_segment_fixed_size 0
		.amdhsa_kernarg_size 64
		.amdhsa_user_sgpr_count 15
		.amdhsa_user_sgpr_dispatch_ptr 0
		.amdhsa_user_sgpr_queue_ptr 0
		.amdhsa_user_sgpr_kernarg_segment_ptr 1
		.amdhsa_user_sgpr_dispatch_id 0
		.amdhsa_user_sgpr_private_segment_size 0
		.amdhsa_wavefront_size32 1
		.amdhsa_uses_dynamic_stack 0
		.amdhsa_enable_private_segment 0
		.amdhsa_system_sgpr_workgroup_id_x 1
		.amdhsa_system_sgpr_workgroup_id_y 0
		.amdhsa_system_sgpr_workgroup_id_z 0
		.amdhsa_system_sgpr_workgroup_info 0
		.amdhsa_system_vgpr_workitem_id 0
		.amdhsa_next_free_vgpr 1
		.amdhsa_next_free_sgpr 1
		.amdhsa_reserve_vcc 0
		.amdhsa_float_round_mode_32 0
		.amdhsa_float_round_mode_16_64 0
		.amdhsa_float_denorm_mode_32 3
		.amdhsa_float_denorm_mode_16_64 3
		.amdhsa_dx10_clamp 1
		.amdhsa_ieee_mode 1
		.amdhsa_fp16_overflow 0
		.amdhsa_workgroup_processor_mode 1
		.amdhsa_memory_ordered 1
		.amdhsa_forward_progress 0
		.amdhsa_shared_vgpr_count 0
		.amdhsa_exception_fp_ieee_invalid_op 0
		.amdhsa_exception_fp_denorm_src 0
		.amdhsa_exception_fp_ieee_div_zero 0
		.amdhsa_exception_fp_ieee_overflow 0
		.amdhsa_exception_fp_ieee_underflow 0
		.amdhsa_exception_fp_ieee_inexact 0
		.amdhsa_exception_int_div_zero 0
	.end_amdhsa_kernel
	.section	.text._ZN7rocprim17ROCPRIM_400000_NS6detail17trampoline_kernelINS0_14default_configENS1_35adjacent_difference_config_selectorILb0ElEEZNS1_24adjacent_difference_implIS3_Lb0ELb0EPlS7_ZN2at6native12_GLOBAL__N_124unique_dim_cuda_templateIbEESt5tupleIJNS8_6TensorESD_SD_EERKSD_lbbbEUlllE1_EE10hipError_tPvRmT2_T3_mT4_P12ihipStream_tbEUlT_E_NS1_11comp_targetILNS1_3genE5ELNS1_11target_archE942ELNS1_3gpuE9ELNS1_3repE0EEENS1_30default_config_static_selectorELNS0_4arch9wavefront6targetE0EEEvT1_,"axG",@progbits,_ZN7rocprim17ROCPRIM_400000_NS6detail17trampoline_kernelINS0_14default_configENS1_35adjacent_difference_config_selectorILb0ElEEZNS1_24adjacent_difference_implIS3_Lb0ELb0EPlS7_ZN2at6native12_GLOBAL__N_124unique_dim_cuda_templateIbEESt5tupleIJNS8_6TensorESD_SD_EERKSD_lbbbEUlllE1_EE10hipError_tPvRmT2_T3_mT4_P12ihipStream_tbEUlT_E_NS1_11comp_targetILNS1_3genE5ELNS1_11target_archE942ELNS1_3gpuE9ELNS1_3repE0EEENS1_30default_config_static_selectorELNS0_4arch9wavefront6targetE0EEEvT1_,comdat
.Lfunc_end1028:
	.size	_ZN7rocprim17ROCPRIM_400000_NS6detail17trampoline_kernelINS0_14default_configENS1_35adjacent_difference_config_selectorILb0ElEEZNS1_24adjacent_difference_implIS3_Lb0ELb0EPlS7_ZN2at6native12_GLOBAL__N_124unique_dim_cuda_templateIbEESt5tupleIJNS8_6TensorESD_SD_EERKSD_lbbbEUlllE1_EE10hipError_tPvRmT2_T3_mT4_P12ihipStream_tbEUlT_E_NS1_11comp_targetILNS1_3genE5ELNS1_11target_archE942ELNS1_3gpuE9ELNS1_3repE0EEENS1_30default_config_static_selectorELNS0_4arch9wavefront6targetE0EEEvT1_, .Lfunc_end1028-_ZN7rocprim17ROCPRIM_400000_NS6detail17trampoline_kernelINS0_14default_configENS1_35adjacent_difference_config_selectorILb0ElEEZNS1_24adjacent_difference_implIS3_Lb0ELb0EPlS7_ZN2at6native12_GLOBAL__N_124unique_dim_cuda_templateIbEESt5tupleIJNS8_6TensorESD_SD_EERKSD_lbbbEUlllE1_EE10hipError_tPvRmT2_T3_mT4_P12ihipStream_tbEUlT_E_NS1_11comp_targetILNS1_3genE5ELNS1_11target_archE942ELNS1_3gpuE9ELNS1_3repE0EEENS1_30default_config_static_selectorELNS0_4arch9wavefront6targetE0EEEvT1_
                                        ; -- End function
	.section	.AMDGPU.csdata,"",@progbits
; Kernel info:
; codeLenInByte = 0
; NumSgprs: 0
; NumVgprs: 0
; ScratchSize: 0
; MemoryBound: 0
; FloatMode: 240
; IeeeMode: 1
; LDSByteSize: 0 bytes/workgroup (compile time only)
; SGPRBlocks: 0
; VGPRBlocks: 0
; NumSGPRsForWavesPerEU: 1
; NumVGPRsForWavesPerEU: 1
; Occupancy: 16
; WaveLimiterHint : 0
; COMPUTE_PGM_RSRC2:SCRATCH_EN: 0
; COMPUTE_PGM_RSRC2:USER_SGPR: 15
; COMPUTE_PGM_RSRC2:TRAP_HANDLER: 0
; COMPUTE_PGM_RSRC2:TGID_X_EN: 1
; COMPUTE_PGM_RSRC2:TGID_Y_EN: 0
; COMPUTE_PGM_RSRC2:TGID_Z_EN: 0
; COMPUTE_PGM_RSRC2:TIDIG_COMP_CNT: 0
	.section	.text._ZN7rocprim17ROCPRIM_400000_NS6detail17trampoline_kernelINS0_14default_configENS1_35adjacent_difference_config_selectorILb0ElEEZNS1_24adjacent_difference_implIS3_Lb0ELb0EPlS7_ZN2at6native12_GLOBAL__N_124unique_dim_cuda_templateIbEESt5tupleIJNS8_6TensorESD_SD_EERKSD_lbbbEUlllE1_EE10hipError_tPvRmT2_T3_mT4_P12ihipStream_tbEUlT_E_NS1_11comp_targetILNS1_3genE4ELNS1_11target_archE910ELNS1_3gpuE8ELNS1_3repE0EEENS1_30default_config_static_selectorELNS0_4arch9wavefront6targetE0EEEvT1_,"axG",@progbits,_ZN7rocprim17ROCPRIM_400000_NS6detail17trampoline_kernelINS0_14default_configENS1_35adjacent_difference_config_selectorILb0ElEEZNS1_24adjacent_difference_implIS3_Lb0ELb0EPlS7_ZN2at6native12_GLOBAL__N_124unique_dim_cuda_templateIbEESt5tupleIJNS8_6TensorESD_SD_EERKSD_lbbbEUlllE1_EE10hipError_tPvRmT2_T3_mT4_P12ihipStream_tbEUlT_E_NS1_11comp_targetILNS1_3genE4ELNS1_11target_archE910ELNS1_3gpuE8ELNS1_3repE0EEENS1_30default_config_static_selectorELNS0_4arch9wavefront6targetE0EEEvT1_,comdat
	.globl	_ZN7rocprim17ROCPRIM_400000_NS6detail17trampoline_kernelINS0_14default_configENS1_35adjacent_difference_config_selectorILb0ElEEZNS1_24adjacent_difference_implIS3_Lb0ELb0EPlS7_ZN2at6native12_GLOBAL__N_124unique_dim_cuda_templateIbEESt5tupleIJNS8_6TensorESD_SD_EERKSD_lbbbEUlllE1_EE10hipError_tPvRmT2_T3_mT4_P12ihipStream_tbEUlT_E_NS1_11comp_targetILNS1_3genE4ELNS1_11target_archE910ELNS1_3gpuE8ELNS1_3repE0EEENS1_30default_config_static_selectorELNS0_4arch9wavefront6targetE0EEEvT1_ ; -- Begin function _ZN7rocprim17ROCPRIM_400000_NS6detail17trampoline_kernelINS0_14default_configENS1_35adjacent_difference_config_selectorILb0ElEEZNS1_24adjacent_difference_implIS3_Lb0ELb0EPlS7_ZN2at6native12_GLOBAL__N_124unique_dim_cuda_templateIbEESt5tupleIJNS8_6TensorESD_SD_EERKSD_lbbbEUlllE1_EE10hipError_tPvRmT2_T3_mT4_P12ihipStream_tbEUlT_E_NS1_11comp_targetILNS1_3genE4ELNS1_11target_archE910ELNS1_3gpuE8ELNS1_3repE0EEENS1_30default_config_static_selectorELNS0_4arch9wavefront6targetE0EEEvT1_
	.p2align	8
	.type	_ZN7rocprim17ROCPRIM_400000_NS6detail17trampoline_kernelINS0_14default_configENS1_35adjacent_difference_config_selectorILb0ElEEZNS1_24adjacent_difference_implIS3_Lb0ELb0EPlS7_ZN2at6native12_GLOBAL__N_124unique_dim_cuda_templateIbEESt5tupleIJNS8_6TensorESD_SD_EERKSD_lbbbEUlllE1_EE10hipError_tPvRmT2_T3_mT4_P12ihipStream_tbEUlT_E_NS1_11comp_targetILNS1_3genE4ELNS1_11target_archE910ELNS1_3gpuE8ELNS1_3repE0EEENS1_30default_config_static_selectorELNS0_4arch9wavefront6targetE0EEEvT1_,@function
_ZN7rocprim17ROCPRIM_400000_NS6detail17trampoline_kernelINS0_14default_configENS1_35adjacent_difference_config_selectorILb0ElEEZNS1_24adjacent_difference_implIS3_Lb0ELb0EPlS7_ZN2at6native12_GLOBAL__N_124unique_dim_cuda_templateIbEESt5tupleIJNS8_6TensorESD_SD_EERKSD_lbbbEUlllE1_EE10hipError_tPvRmT2_T3_mT4_P12ihipStream_tbEUlT_E_NS1_11comp_targetILNS1_3genE4ELNS1_11target_archE910ELNS1_3gpuE8ELNS1_3repE0EEENS1_30default_config_static_selectorELNS0_4arch9wavefront6targetE0EEEvT1_: ; @_ZN7rocprim17ROCPRIM_400000_NS6detail17trampoline_kernelINS0_14default_configENS1_35adjacent_difference_config_selectorILb0ElEEZNS1_24adjacent_difference_implIS3_Lb0ELb0EPlS7_ZN2at6native12_GLOBAL__N_124unique_dim_cuda_templateIbEESt5tupleIJNS8_6TensorESD_SD_EERKSD_lbbbEUlllE1_EE10hipError_tPvRmT2_T3_mT4_P12ihipStream_tbEUlT_E_NS1_11comp_targetILNS1_3genE4ELNS1_11target_archE910ELNS1_3gpuE8ELNS1_3repE0EEENS1_30default_config_static_selectorELNS0_4arch9wavefront6targetE0EEEvT1_
; %bb.0:
	.section	.rodata,"a",@progbits
	.p2align	6, 0x0
	.amdhsa_kernel _ZN7rocprim17ROCPRIM_400000_NS6detail17trampoline_kernelINS0_14default_configENS1_35adjacent_difference_config_selectorILb0ElEEZNS1_24adjacent_difference_implIS3_Lb0ELb0EPlS7_ZN2at6native12_GLOBAL__N_124unique_dim_cuda_templateIbEESt5tupleIJNS8_6TensorESD_SD_EERKSD_lbbbEUlllE1_EE10hipError_tPvRmT2_T3_mT4_P12ihipStream_tbEUlT_E_NS1_11comp_targetILNS1_3genE4ELNS1_11target_archE910ELNS1_3gpuE8ELNS1_3repE0EEENS1_30default_config_static_selectorELNS0_4arch9wavefront6targetE0EEEvT1_
		.amdhsa_group_segment_fixed_size 0
		.amdhsa_private_segment_fixed_size 0
		.amdhsa_kernarg_size 64
		.amdhsa_user_sgpr_count 15
		.amdhsa_user_sgpr_dispatch_ptr 0
		.amdhsa_user_sgpr_queue_ptr 0
		.amdhsa_user_sgpr_kernarg_segment_ptr 1
		.amdhsa_user_sgpr_dispatch_id 0
		.amdhsa_user_sgpr_private_segment_size 0
		.amdhsa_wavefront_size32 1
		.amdhsa_uses_dynamic_stack 0
		.amdhsa_enable_private_segment 0
		.amdhsa_system_sgpr_workgroup_id_x 1
		.amdhsa_system_sgpr_workgroup_id_y 0
		.amdhsa_system_sgpr_workgroup_id_z 0
		.amdhsa_system_sgpr_workgroup_info 0
		.amdhsa_system_vgpr_workitem_id 0
		.amdhsa_next_free_vgpr 1
		.amdhsa_next_free_sgpr 1
		.amdhsa_reserve_vcc 0
		.amdhsa_float_round_mode_32 0
		.amdhsa_float_round_mode_16_64 0
		.amdhsa_float_denorm_mode_32 3
		.amdhsa_float_denorm_mode_16_64 3
		.amdhsa_dx10_clamp 1
		.amdhsa_ieee_mode 1
		.amdhsa_fp16_overflow 0
		.amdhsa_workgroup_processor_mode 1
		.amdhsa_memory_ordered 1
		.amdhsa_forward_progress 0
		.amdhsa_shared_vgpr_count 0
		.amdhsa_exception_fp_ieee_invalid_op 0
		.amdhsa_exception_fp_denorm_src 0
		.amdhsa_exception_fp_ieee_div_zero 0
		.amdhsa_exception_fp_ieee_overflow 0
		.amdhsa_exception_fp_ieee_underflow 0
		.amdhsa_exception_fp_ieee_inexact 0
		.amdhsa_exception_int_div_zero 0
	.end_amdhsa_kernel
	.section	.text._ZN7rocprim17ROCPRIM_400000_NS6detail17trampoline_kernelINS0_14default_configENS1_35adjacent_difference_config_selectorILb0ElEEZNS1_24adjacent_difference_implIS3_Lb0ELb0EPlS7_ZN2at6native12_GLOBAL__N_124unique_dim_cuda_templateIbEESt5tupleIJNS8_6TensorESD_SD_EERKSD_lbbbEUlllE1_EE10hipError_tPvRmT2_T3_mT4_P12ihipStream_tbEUlT_E_NS1_11comp_targetILNS1_3genE4ELNS1_11target_archE910ELNS1_3gpuE8ELNS1_3repE0EEENS1_30default_config_static_selectorELNS0_4arch9wavefront6targetE0EEEvT1_,"axG",@progbits,_ZN7rocprim17ROCPRIM_400000_NS6detail17trampoline_kernelINS0_14default_configENS1_35adjacent_difference_config_selectorILb0ElEEZNS1_24adjacent_difference_implIS3_Lb0ELb0EPlS7_ZN2at6native12_GLOBAL__N_124unique_dim_cuda_templateIbEESt5tupleIJNS8_6TensorESD_SD_EERKSD_lbbbEUlllE1_EE10hipError_tPvRmT2_T3_mT4_P12ihipStream_tbEUlT_E_NS1_11comp_targetILNS1_3genE4ELNS1_11target_archE910ELNS1_3gpuE8ELNS1_3repE0EEENS1_30default_config_static_selectorELNS0_4arch9wavefront6targetE0EEEvT1_,comdat
.Lfunc_end1029:
	.size	_ZN7rocprim17ROCPRIM_400000_NS6detail17trampoline_kernelINS0_14default_configENS1_35adjacent_difference_config_selectorILb0ElEEZNS1_24adjacent_difference_implIS3_Lb0ELb0EPlS7_ZN2at6native12_GLOBAL__N_124unique_dim_cuda_templateIbEESt5tupleIJNS8_6TensorESD_SD_EERKSD_lbbbEUlllE1_EE10hipError_tPvRmT2_T3_mT4_P12ihipStream_tbEUlT_E_NS1_11comp_targetILNS1_3genE4ELNS1_11target_archE910ELNS1_3gpuE8ELNS1_3repE0EEENS1_30default_config_static_selectorELNS0_4arch9wavefront6targetE0EEEvT1_, .Lfunc_end1029-_ZN7rocprim17ROCPRIM_400000_NS6detail17trampoline_kernelINS0_14default_configENS1_35adjacent_difference_config_selectorILb0ElEEZNS1_24adjacent_difference_implIS3_Lb0ELb0EPlS7_ZN2at6native12_GLOBAL__N_124unique_dim_cuda_templateIbEESt5tupleIJNS8_6TensorESD_SD_EERKSD_lbbbEUlllE1_EE10hipError_tPvRmT2_T3_mT4_P12ihipStream_tbEUlT_E_NS1_11comp_targetILNS1_3genE4ELNS1_11target_archE910ELNS1_3gpuE8ELNS1_3repE0EEENS1_30default_config_static_selectorELNS0_4arch9wavefront6targetE0EEEvT1_
                                        ; -- End function
	.section	.AMDGPU.csdata,"",@progbits
; Kernel info:
; codeLenInByte = 0
; NumSgprs: 0
; NumVgprs: 0
; ScratchSize: 0
; MemoryBound: 0
; FloatMode: 240
; IeeeMode: 1
; LDSByteSize: 0 bytes/workgroup (compile time only)
; SGPRBlocks: 0
; VGPRBlocks: 0
; NumSGPRsForWavesPerEU: 1
; NumVGPRsForWavesPerEU: 1
; Occupancy: 16
; WaveLimiterHint : 0
; COMPUTE_PGM_RSRC2:SCRATCH_EN: 0
; COMPUTE_PGM_RSRC2:USER_SGPR: 15
; COMPUTE_PGM_RSRC2:TRAP_HANDLER: 0
; COMPUTE_PGM_RSRC2:TGID_X_EN: 1
; COMPUTE_PGM_RSRC2:TGID_Y_EN: 0
; COMPUTE_PGM_RSRC2:TGID_Z_EN: 0
; COMPUTE_PGM_RSRC2:TIDIG_COMP_CNT: 0
	.section	.text._ZN7rocprim17ROCPRIM_400000_NS6detail17trampoline_kernelINS0_14default_configENS1_35adjacent_difference_config_selectorILb0ElEEZNS1_24adjacent_difference_implIS3_Lb0ELb0EPlS7_ZN2at6native12_GLOBAL__N_124unique_dim_cuda_templateIbEESt5tupleIJNS8_6TensorESD_SD_EERKSD_lbbbEUlllE1_EE10hipError_tPvRmT2_T3_mT4_P12ihipStream_tbEUlT_E_NS1_11comp_targetILNS1_3genE3ELNS1_11target_archE908ELNS1_3gpuE7ELNS1_3repE0EEENS1_30default_config_static_selectorELNS0_4arch9wavefront6targetE0EEEvT1_,"axG",@progbits,_ZN7rocprim17ROCPRIM_400000_NS6detail17trampoline_kernelINS0_14default_configENS1_35adjacent_difference_config_selectorILb0ElEEZNS1_24adjacent_difference_implIS3_Lb0ELb0EPlS7_ZN2at6native12_GLOBAL__N_124unique_dim_cuda_templateIbEESt5tupleIJNS8_6TensorESD_SD_EERKSD_lbbbEUlllE1_EE10hipError_tPvRmT2_T3_mT4_P12ihipStream_tbEUlT_E_NS1_11comp_targetILNS1_3genE3ELNS1_11target_archE908ELNS1_3gpuE7ELNS1_3repE0EEENS1_30default_config_static_selectorELNS0_4arch9wavefront6targetE0EEEvT1_,comdat
	.globl	_ZN7rocprim17ROCPRIM_400000_NS6detail17trampoline_kernelINS0_14default_configENS1_35adjacent_difference_config_selectorILb0ElEEZNS1_24adjacent_difference_implIS3_Lb0ELb0EPlS7_ZN2at6native12_GLOBAL__N_124unique_dim_cuda_templateIbEESt5tupleIJNS8_6TensorESD_SD_EERKSD_lbbbEUlllE1_EE10hipError_tPvRmT2_T3_mT4_P12ihipStream_tbEUlT_E_NS1_11comp_targetILNS1_3genE3ELNS1_11target_archE908ELNS1_3gpuE7ELNS1_3repE0EEENS1_30default_config_static_selectorELNS0_4arch9wavefront6targetE0EEEvT1_ ; -- Begin function _ZN7rocprim17ROCPRIM_400000_NS6detail17trampoline_kernelINS0_14default_configENS1_35adjacent_difference_config_selectorILb0ElEEZNS1_24adjacent_difference_implIS3_Lb0ELb0EPlS7_ZN2at6native12_GLOBAL__N_124unique_dim_cuda_templateIbEESt5tupleIJNS8_6TensorESD_SD_EERKSD_lbbbEUlllE1_EE10hipError_tPvRmT2_T3_mT4_P12ihipStream_tbEUlT_E_NS1_11comp_targetILNS1_3genE3ELNS1_11target_archE908ELNS1_3gpuE7ELNS1_3repE0EEENS1_30default_config_static_selectorELNS0_4arch9wavefront6targetE0EEEvT1_
	.p2align	8
	.type	_ZN7rocprim17ROCPRIM_400000_NS6detail17trampoline_kernelINS0_14default_configENS1_35adjacent_difference_config_selectorILb0ElEEZNS1_24adjacent_difference_implIS3_Lb0ELb0EPlS7_ZN2at6native12_GLOBAL__N_124unique_dim_cuda_templateIbEESt5tupleIJNS8_6TensorESD_SD_EERKSD_lbbbEUlllE1_EE10hipError_tPvRmT2_T3_mT4_P12ihipStream_tbEUlT_E_NS1_11comp_targetILNS1_3genE3ELNS1_11target_archE908ELNS1_3gpuE7ELNS1_3repE0EEENS1_30default_config_static_selectorELNS0_4arch9wavefront6targetE0EEEvT1_,@function
_ZN7rocprim17ROCPRIM_400000_NS6detail17trampoline_kernelINS0_14default_configENS1_35adjacent_difference_config_selectorILb0ElEEZNS1_24adjacent_difference_implIS3_Lb0ELb0EPlS7_ZN2at6native12_GLOBAL__N_124unique_dim_cuda_templateIbEESt5tupleIJNS8_6TensorESD_SD_EERKSD_lbbbEUlllE1_EE10hipError_tPvRmT2_T3_mT4_P12ihipStream_tbEUlT_E_NS1_11comp_targetILNS1_3genE3ELNS1_11target_archE908ELNS1_3gpuE7ELNS1_3repE0EEENS1_30default_config_static_selectorELNS0_4arch9wavefront6targetE0EEEvT1_: ; @_ZN7rocprim17ROCPRIM_400000_NS6detail17trampoline_kernelINS0_14default_configENS1_35adjacent_difference_config_selectorILb0ElEEZNS1_24adjacent_difference_implIS3_Lb0ELb0EPlS7_ZN2at6native12_GLOBAL__N_124unique_dim_cuda_templateIbEESt5tupleIJNS8_6TensorESD_SD_EERKSD_lbbbEUlllE1_EE10hipError_tPvRmT2_T3_mT4_P12ihipStream_tbEUlT_E_NS1_11comp_targetILNS1_3genE3ELNS1_11target_archE908ELNS1_3gpuE7ELNS1_3repE0EEENS1_30default_config_static_selectorELNS0_4arch9wavefront6targetE0EEEvT1_
; %bb.0:
	.section	.rodata,"a",@progbits
	.p2align	6, 0x0
	.amdhsa_kernel _ZN7rocprim17ROCPRIM_400000_NS6detail17trampoline_kernelINS0_14default_configENS1_35adjacent_difference_config_selectorILb0ElEEZNS1_24adjacent_difference_implIS3_Lb0ELb0EPlS7_ZN2at6native12_GLOBAL__N_124unique_dim_cuda_templateIbEESt5tupleIJNS8_6TensorESD_SD_EERKSD_lbbbEUlllE1_EE10hipError_tPvRmT2_T3_mT4_P12ihipStream_tbEUlT_E_NS1_11comp_targetILNS1_3genE3ELNS1_11target_archE908ELNS1_3gpuE7ELNS1_3repE0EEENS1_30default_config_static_selectorELNS0_4arch9wavefront6targetE0EEEvT1_
		.amdhsa_group_segment_fixed_size 0
		.amdhsa_private_segment_fixed_size 0
		.amdhsa_kernarg_size 64
		.amdhsa_user_sgpr_count 15
		.amdhsa_user_sgpr_dispatch_ptr 0
		.amdhsa_user_sgpr_queue_ptr 0
		.amdhsa_user_sgpr_kernarg_segment_ptr 1
		.amdhsa_user_sgpr_dispatch_id 0
		.amdhsa_user_sgpr_private_segment_size 0
		.amdhsa_wavefront_size32 1
		.amdhsa_uses_dynamic_stack 0
		.amdhsa_enable_private_segment 0
		.amdhsa_system_sgpr_workgroup_id_x 1
		.amdhsa_system_sgpr_workgroup_id_y 0
		.amdhsa_system_sgpr_workgroup_id_z 0
		.amdhsa_system_sgpr_workgroup_info 0
		.amdhsa_system_vgpr_workitem_id 0
		.amdhsa_next_free_vgpr 1
		.amdhsa_next_free_sgpr 1
		.amdhsa_reserve_vcc 0
		.amdhsa_float_round_mode_32 0
		.amdhsa_float_round_mode_16_64 0
		.amdhsa_float_denorm_mode_32 3
		.amdhsa_float_denorm_mode_16_64 3
		.amdhsa_dx10_clamp 1
		.amdhsa_ieee_mode 1
		.amdhsa_fp16_overflow 0
		.amdhsa_workgroup_processor_mode 1
		.amdhsa_memory_ordered 1
		.amdhsa_forward_progress 0
		.amdhsa_shared_vgpr_count 0
		.amdhsa_exception_fp_ieee_invalid_op 0
		.amdhsa_exception_fp_denorm_src 0
		.amdhsa_exception_fp_ieee_div_zero 0
		.amdhsa_exception_fp_ieee_overflow 0
		.amdhsa_exception_fp_ieee_underflow 0
		.amdhsa_exception_fp_ieee_inexact 0
		.amdhsa_exception_int_div_zero 0
	.end_amdhsa_kernel
	.section	.text._ZN7rocprim17ROCPRIM_400000_NS6detail17trampoline_kernelINS0_14default_configENS1_35adjacent_difference_config_selectorILb0ElEEZNS1_24adjacent_difference_implIS3_Lb0ELb0EPlS7_ZN2at6native12_GLOBAL__N_124unique_dim_cuda_templateIbEESt5tupleIJNS8_6TensorESD_SD_EERKSD_lbbbEUlllE1_EE10hipError_tPvRmT2_T3_mT4_P12ihipStream_tbEUlT_E_NS1_11comp_targetILNS1_3genE3ELNS1_11target_archE908ELNS1_3gpuE7ELNS1_3repE0EEENS1_30default_config_static_selectorELNS0_4arch9wavefront6targetE0EEEvT1_,"axG",@progbits,_ZN7rocprim17ROCPRIM_400000_NS6detail17trampoline_kernelINS0_14default_configENS1_35adjacent_difference_config_selectorILb0ElEEZNS1_24adjacent_difference_implIS3_Lb0ELb0EPlS7_ZN2at6native12_GLOBAL__N_124unique_dim_cuda_templateIbEESt5tupleIJNS8_6TensorESD_SD_EERKSD_lbbbEUlllE1_EE10hipError_tPvRmT2_T3_mT4_P12ihipStream_tbEUlT_E_NS1_11comp_targetILNS1_3genE3ELNS1_11target_archE908ELNS1_3gpuE7ELNS1_3repE0EEENS1_30default_config_static_selectorELNS0_4arch9wavefront6targetE0EEEvT1_,comdat
.Lfunc_end1030:
	.size	_ZN7rocprim17ROCPRIM_400000_NS6detail17trampoline_kernelINS0_14default_configENS1_35adjacent_difference_config_selectorILb0ElEEZNS1_24adjacent_difference_implIS3_Lb0ELb0EPlS7_ZN2at6native12_GLOBAL__N_124unique_dim_cuda_templateIbEESt5tupleIJNS8_6TensorESD_SD_EERKSD_lbbbEUlllE1_EE10hipError_tPvRmT2_T3_mT4_P12ihipStream_tbEUlT_E_NS1_11comp_targetILNS1_3genE3ELNS1_11target_archE908ELNS1_3gpuE7ELNS1_3repE0EEENS1_30default_config_static_selectorELNS0_4arch9wavefront6targetE0EEEvT1_, .Lfunc_end1030-_ZN7rocprim17ROCPRIM_400000_NS6detail17trampoline_kernelINS0_14default_configENS1_35adjacent_difference_config_selectorILb0ElEEZNS1_24adjacent_difference_implIS3_Lb0ELb0EPlS7_ZN2at6native12_GLOBAL__N_124unique_dim_cuda_templateIbEESt5tupleIJNS8_6TensorESD_SD_EERKSD_lbbbEUlllE1_EE10hipError_tPvRmT2_T3_mT4_P12ihipStream_tbEUlT_E_NS1_11comp_targetILNS1_3genE3ELNS1_11target_archE908ELNS1_3gpuE7ELNS1_3repE0EEENS1_30default_config_static_selectorELNS0_4arch9wavefront6targetE0EEEvT1_
                                        ; -- End function
	.section	.AMDGPU.csdata,"",@progbits
; Kernel info:
; codeLenInByte = 0
; NumSgprs: 0
; NumVgprs: 0
; ScratchSize: 0
; MemoryBound: 0
; FloatMode: 240
; IeeeMode: 1
; LDSByteSize: 0 bytes/workgroup (compile time only)
; SGPRBlocks: 0
; VGPRBlocks: 0
; NumSGPRsForWavesPerEU: 1
; NumVGPRsForWavesPerEU: 1
; Occupancy: 16
; WaveLimiterHint : 0
; COMPUTE_PGM_RSRC2:SCRATCH_EN: 0
; COMPUTE_PGM_RSRC2:USER_SGPR: 15
; COMPUTE_PGM_RSRC2:TRAP_HANDLER: 0
; COMPUTE_PGM_RSRC2:TGID_X_EN: 1
; COMPUTE_PGM_RSRC2:TGID_Y_EN: 0
; COMPUTE_PGM_RSRC2:TGID_Z_EN: 0
; COMPUTE_PGM_RSRC2:TIDIG_COMP_CNT: 0
	.section	.text._ZN7rocprim17ROCPRIM_400000_NS6detail17trampoline_kernelINS0_14default_configENS1_35adjacent_difference_config_selectorILb0ElEEZNS1_24adjacent_difference_implIS3_Lb0ELb0EPlS7_ZN2at6native12_GLOBAL__N_124unique_dim_cuda_templateIbEESt5tupleIJNS8_6TensorESD_SD_EERKSD_lbbbEUlllE1_EE10hipError_tPvRmT2_T3_mT4_P12ihipStream_tbEUlT_E_NS1_11comp_targetILNS1_3genE2ELNS1_11target_archE906ELNS1_3gpuE6ELNS1_3repE0EEENS1_30default_config_static_selectorELNS0_4arch9wavefront6targetE0EEEvT1_,"axG",@progbits,_ZN7rocprim17ROCPRIM_400000_NS6detail17trampoline_kernelINS0_14default_configENS1_35adjacent_difference_config_selectorILb0ElEEZNS1_24adjacent_difference_implIS3_Lb0ELb0EPlS7_ZN2at6native12_GLOBAL__N_124unique_dim_cuda_templateIbEESt5tupleIJNS8_6TensorESD_SD_EERKSD_lbbbEUlllE1_EE10hipError_tPvRmT2_T3_mT4_P12ihipStream_tbEUlT_E_NS1_11comp_targetILNS1_3genE2ELNS1_11target_archE906ELNS1_3gpuE6ELNS1_3repE0EEENS1_30default_config_static_selectorELNS0_4arch9wavefront6targetE0EEEvT1_,comdat
	.globl	_ZN7rocprim17ROCPRIM_400000_NS6detail17trampoline_kernelINS0_14default_configENS1_35adjacent_difference_config_selectorILb0ElEEZNS1_24adjacent_difference_implIS3_Lb0ELb0EPlS7_ZN2at6native12_GLOBAL__N_124unique_dim_cuda_templateIbEESt5tupleIJNS8_6TensorESD_SD_EERKSD_lbbbEUlllE1_EE10hipError_tPvRmT2_T3_mT4_P12ihipStream_tbEUlT_E_NS1_11comp_targetILNS1_3genE2ELNS1_11target_archE906ELNS1_3gpuE6ELNS1_3repE0EEENS1_30default_config_static_selectorELNS0_4arch9wavefront6targetE0EEEvT1_ ; -- Begin function _ZN7rocprim17ROCPRIM_400000_NS6detail17trampoline_kernelINS0_14default_configENS1_35adjacent_difference_config_selectorILb0ElEEZNS1_24adjacent_difference_implIS3_Lb0ELb0EPlS7_ZN2at6native12_GLOBAL__N_124unique_dim_cuda_templateIbEESt5tupleIJNS8_6TensorESD_SD_EERKSD_lbbbEUlllE1_EE10hipError_tPvRmT2_T3_mT4_P12ihipStream_tbEUlT_E_NS1_11comp_targetILNS1_3genE2ELNS1_11target_archE906ELNS1_3gpuE6ELNS1_3repE0EEENS1_30default_config_static_selectorELNS0_4arch9wavefront6targetE0EEEvT1_
	.p2align	8
	.type	_ZN7rocprim17ROCPRIM_400000_NS6detail17trampoline_kernelINS0_14default_configENS1_35adjacent_difference_config_selectorILb0ElEEZNS1_24adjacent_difference_implIS3_Lb0ELb0EPlS7_ZN2at6native12_GLOBAL__N_124unique_dim_cuda_templateIbEESt5tupleIJNS8_6TensorESD_SD_EERKSD_lbbbEUlllE1_EE10hipError_tPvRmT2_T3_mT4_P12ihipStream_tbEUlT_E_NS1_11comp_targetILNS1_3genE2ELNS1_11target_archE906ELNS1_3gpuE6ELNS1_3repE0EEENS1_30default_config_static_selectorELNS0_4arch9wavefront6targetE0EEEvT1_,@function
_ZN7rocprim17ROCPRIM_400000_NS6detail17trampoline_kernelINS0_14default_configENS1_35adjacent_difference_config_selectorILb0ElEEZNS1_24adjacent_difference_implIS3_Lb0ELb0EPlS7_ZN2at6native12_GLOBAL__N_124unique_dim_cuda_templateIbEESt5tupleIJNS8_6TensorESD_SD_EERKSD_lbbbEUlllE1_EE10hipError_tPvRmT2_T3_mT4_P12ihipStream_tbEUlT_E_NS1_11comp_targetILNS1_3genE2ELNS1_11target_archE906ELNS1_3gpuE6ELNS1_3repE0EEENS1_30default_config_static_selectorELNS0_4arch9wavefront6targetE0EEEvT1_: ; @_ZN7rocprim17ROCPRIM_400000_NS6detail17trampoline_kernelINS0_14default_configENS1_35adjacent_difference_config_selectorILb0ElEEZNS1_24adjacent_difference_implIS3_Lb0ELb0EPlS7_ZN2at6native12_GLOBAL__N_124unique_dim_cuda_templateIbEESt5tupleIJNS8_6TensorESD_SD_EERKSD_lbbbEUlllE1_EE10hipError_tPvRmT2_T3_mT4_P12ihipStream_tbEUlT_E_NS1_11comp_targetILNS1_3genE2ELNS1_11target_archE906ELNS1_3gpuE6ELNS1_3repE0EEENS1_30default_config_static_selectorELNS0_4arch9wavefront6targetE0EEEvT1_
; %bb.0:
	.section	.rodata,"a",@progbits
	.p2align	6, 0x0
	.amdhsa_kernel _ZN7rocprim17ROCPRIM_400000_NS6detail17trampoline_kernelINS0_14default_configENS1_35adjacent_difference_config_selectorILb0ElEEZNS1_24adjacent_difference_implIS3_Lb0ELb0EPlS7_ZN2at6native12_GLOBAL__N_124unique_dim_cuda_templateIbEESt5tupleIJNS8_6TensorESD_SD_EERKSD_lbbbEUlllE1_EE10hipError_tPvRmT2_T3_mT4_P12ihipStream_tbEUlT_E_NS1_11comp_targetILNS1_3genE2ELNS1_11target_archE906ELNS1_3gpuE6ELNS1_3repE0EEENS1_30default_config_static_selectorELNS0_4arch9wavefront6targetE0EEEvT1_
		.amdhsa_group_segment_fixed_size 0
		.amdhsa_private_segment_fixed_size 0
		.amdhsa_kernarg_size 64
		.amdhsa_user_sgpr_count 15
		.amdhsa_user_sgpr_dispatch_ptr 0
		.amdhsa_user_sgpr_queue_ptr 0
		.amdhsa_user_sgpr_kernarg_segment_ptr 1
		.amdhsa_user_sgpr_dispatch_id 0
		.amdhsa_user_sgpr_private_segment_size 0
		.amdhsa_wavefront_size32 1
		.amdhsa_uses_dynamic_stack 0
		.amdhsa_enable_private_segment 0
		.amdhsa_system_sgpr_workgroup_id_x 1
		.amdhsa_system_sgpr_workgroup_id_y 0
		.amdhsa_system_sgpr_workgroup_id_z 0
		.amdhsa_system_sgpr_workgroup_info 0
		.amdhsa_system_vgpr_workitem_id 0
		.amdhsa_next_free_vgpr 1
		.amdhsa_next_free_sgpr 1
		.amdhsa_reserve_vcc 0
		.amdhsa_float_round_mode_32 0
		.amdhsa_float_round_mode_16_64 0
		.amdhsa_float_denorm_mode_32 3
		.amdhsa_float_denorm_mode_16_64 3
		.amdhsa_dx10_clamp 1
		.amdhsa_ieee_mode 1
		.amdhsa_fp16_overflow 0
		.amdhsa_workgroup_processor_mode 1
		.amdhsa_memory_ordered 1
		.amdhsa_forward_progress 0
		.amdhsa_shared_vgpr_count 0
		.amdhsa_exception_fp_ieee_invalid_op 0
		.amdhsa_exception_fp_denorm_src 0
		.amdhsa_exception_fp_ieee_div_zero 0
		.amdhsa_exception_fp_ieee_overflow 0
		.amdhsa_exception_fp_ieee_underflow 0
		.amdhsa_exception_fp_ieee_inexact 0
		.amdhsa_exception_int_div_zero 0
	.end_amdhsa_kernel
	.section	.text._ZN7rocprim17ROCPRIM_400000_NS6detail17trampoline_kernelINS0_14default_configENS1_35adjacent_difference_config_selectorILb0ElEEZNS1_24adjacent_difference_implIS3_Lb0ELb0EPlS7_ZN2at6native12_GLOBAL__N_124unique_dim_cuda_templateIbEESt5tupleIJNS8_6TensorESD_SD_EERKSD_lbbbEUlllE1_EE10hipError_tPvRmT2_T3_mT4_P12ihipStream_tbEUlT_E_NS1_11comp_targetILNS1_3genE2ELNS1_11target_archE906ELNS1_3gpuE6ELNS1_3repE0EEENS1_30default_config_static_selectorELNS0_4arch9wavefront6targetE0EEEvT1_,"axG",@progbits,_ZN7rocprim17ROCPRIM_400000_NS6detail17trampoline_kernelINS0_14default_configENS1_35adjacent_difference_config_selectorILb0ElEEZNS1_24adjacent_difference_implIS3_Lb0ELb0EPlS7_ZN2at6native12_GLOBAL__N_124unique_dim_cuda_templateIbEESt5tupleIJNS8_6TensorESD_SD_EERKSD_lbbbEUlllE1_EE10hipError_tPvRmT2_T3_mT4_P12ihipStream_tbEUlT_E_NS1_11comp_targetILNS1_3genE2ELNS1_11target_archE906ELNS1_3gpuE6ELNS1_3repE0EEENS1_30default_config_static_selectorELNS0_4arch9wavefront6targetE0EEEvT1_,comdat
.Lfunc_end1031:
	.size	_ZN7rocprim17ROCPRIM_400000_NS6detail17trampoline_kernelINS0_14default_configENS1_35adjacent_difference_config_selectorILb0ElEEZNS1_24adjacent_difference_implIS3_Lb0ELb0EPlS7_ZN2at6native12_GLOBAL__N_124unique_dim_cuda_templateIbEESt5tupleIJNS8_6TensorESD_SD_EERKSD_lbbbEUlllE1_EE10hipError_tPvRmT2_T3_mT4_P12ihipStream_tbEUlT_E_NS1_11comp_targetILNS1_3genE2ELNS1_11target_archE906ELNS1_3gpuE6ELNS1_3repE0EEENS1_30default_config_static_selectorELNS0_4arch9wavefront6targetE0EEEvT1_, .Lfunc_end1031-_ZN7rocprim17ROCPRIM_400000_NS6detail17trampoline_kernelINS0_14default_configENS1_35adjacent_difference_config_selectorILb0ElEEZNS1_24adjacent_difference_implIS3_Lb0ELb0EPlS7_ZN2at6native12_GLOBAL__N_124unique_dim_cuda_templateIbEESt5tupleIJNS8_6TensorESD_SD_EERKSD_lbbbEUlllE1_EE10hipError_tPvRmT2_T3_mT4_P12ihipStream_tbEUlT_E_NS1_11comp_targetILNS1_3genE2ELNS1_11target_archE906ELNS1_3gpuE6ELNS1_3repE0EEENS1_30default_config_static_selectorELNS0_4arch9wavefront6targetE0EEEvT1_
                                        ; -- End function
	.section	.AMDGPU.csdata,"",@progbits
; Kernel info:
; codeLenInByte = 0
; NumSgprs: 0
; NumVgprs: 0
; ScratchSize: 0
; MemoryBound: 0
; FloatMode: 240
; IeeeMode: 1
; LDSByteSize: 0 bytes/workgroup (compile time only)
; SGPRBlocks: 0
; VGPRBlocks: 0
; NumSGPRsForWavesPerEU: 1
; NumVGPRsForWavesPerEU: 1
; Occupancy: 16
; WaveLimiterHint : 0
; COMPUTE_PGM_RSRC2:SCRATCH_EN: 0
; COMPUTE_PGM_RSRC2:USER_SGPR: 15
; COMPUTE_PGM_RSRC2:TRAP_HANDLER: 0
; COMPUTE_PGM_RSRC2:TGID_X_EN: 1
; COMPUTE_PGM_RSRC2:TGID_Y_EN: 0
; COMPUTE_PGM_RSRC2:TGID_Z_EN: 0
; COMPUTE_PGM_RSRC2:TIDIG_COMP_CNT: 0
	.section	.text._ZN7rocprim17ROCPRIM_400000_NS6detail17trampoline_kernelINS0_14default_configENS1_35adjacent_difference_config_selectorILb0ElEEZNS1_24adjacent_difference_implIS3_Lb0ELb0EPlS7_ZN2at6native12_GLOBAL__N_124unique_dim_cuda_templateIbEESt5tupleIJNS8_6TensorESD_SD_EERKSD_lbbbEUlllE1_EE10hipError_tPvRmT2_T3_mT4_P12ihipStream_tbEUlT_E_NS1_11comp_targetILNS1_3genE9ELNS1_11target_archE1100ELNS1_3gpuE3ELNS1_3repE0EEENS1_30default_config_static_selectorELNS0_4arch9wavefront6targetE0EEEvT1_,"axG",@progbits,_ZN7rocprim17ROCPRIM_400000_NS6detail17trampoline_kernelINS0_14default_configENS1_35adjacent_difference_config_selectorILb0ElEEZNS1_24adjacent_difference_implIS3_Lb0ELb0EPlS7_ZN2at6native12_GLOBAL__N_124unique_dim_cuda_templateIbEESt5tupleIJNS8_6TensorESD_SD_EERKSD_lbbbEUlllE1_EE10hipError_tPvRmT2_T3_mT4_P12ihipStream_tbEUlT_E_NS1_11comp_targetILNS1_3genE9ELNS1_11target_archE1100ELNS1_3gpuE3ELNS1_3repE0EEENS1_30default_config_static_selectorELNS0_4arch9wavefront6targetE0EEEvT1_,comdat
	.globl	_ZN7rocprim17ROCPRIM_400000_NS6detail17trampoline_kernelINS0_14default_configENS1_35adjacent_difference_config_selectorILb0ElEEZNS1_24adjacent_difference_implIS3_Lb0ELb0EPlS7_ZN2at6native12_GLOBAL__N_124unique_dim_cuda_templateIbEESt5tupleIJNS8_6TensorESD_SD_EERKSD_lbbbEUlllE1_EE10hipError_tPvRmT2_T3_mT4_P12ihipStream_tbEUlT_E_NS1_11comp_targetILNS1_3genE9ELNS1_11target_archE1100ELNS1_3gpuE3ELNS1_3repE0EEENS1_30default_config_static_selectorELNS0_4arch9wavefront6targetE0EEEvT1_ ; -- Begin function _ZN7rocprim17ROCPRIM_400000_NS6detail17trampoline_kernelINS0_14default_configENS1_35adjacent_difference_config_selectorILb0ElEEZNS1_24adjacent_difference_implIS3_Lb0ELb0EPlS7_ZN2at6native12_GLOBAL__N_124unique_dim_cuda_templateIbEESt5tupleIJNS8_6TensorESD_SD_EERKSD_lbbbEUlllE1_EE10hipError_tPvRmT2_T3_mT4_P12ihipStream_tbEUlT_E_NS1_11comp_targetILNS1_3genE9ELNS1_11target_archE1100ELNS1_3gpuE3ELNS1_3repE0EEENS1_30default_config_static_selectorELNS0_4arch9wavefront6targetE0EEEvT1_
	.p2align	8
	.type	_ZN7rocprim17ROCPRIM_400000_NS6detail17trampoline_kernelINS0_14default_configENS1_35adjacent_difference_config_selectorILb0ElEEZNS1_24adjacent_difference_implIS3_Lb0ELb0EPlS7_ZN2at6native12_GLOBAL__N_124unique_dim_cuda_templateIbEESt5tupleIJNS8_6TensorESD_SD_EERKSD_lbbbEUlllE1_EE10hipError_tPvRmT2_T3_mT4_P12ihipStream_tbEUlT_E_NS1_11comp_targetILNS1_3genE9ELNS1_11target_archE1100ELNS1_3gpuE3ELNS1_3repE0EEENS1_30default_config_static_selectorELNS0_4arch9wavefront6targetE0EEEvT1_,@function
_ZN7rocprim17ROCPRIM_400000_NS6detail17trampoline_kernelINS0_14default_configENS1_35adjacent_difference_config_selectorILb0ElEEZNS1_24adjacent_difference_implIS3_Lb0ELb0EPlS7_ZN2at6native12_GLOBAL__N_124unique_dim_cuda_templateIbEESt5tupleIJNS8_6TensorESD_SD_EERKSD_lbbbEUlllE1_EE10hipError_tPvRmT2_T3_mT4_P12ihipStream_tbEUlT_E_NS1_11comp_targetILNS1_3genE9ELNS1_11target_archE1100ELNS1_3gpuE3ELNS1_3repE0EEENS1_30default_config_static_selectorELNS0_4arch9wavefront6targetE0EEEvT1_: ; @_ZN7rocprim17ROCPRIM_400000_NS6detail17trampoline_kernelINS0_14default_configENS1_35adjacent_difference_config_selectorILb0ElEEZNS1_24adjacent_difference_implIS3_Lb0ELb0EPlS7_ZN2at6native12_GLOBAL__N_124unique_dim_cuda_templateIbEESt5tupleIJNS8_6TensorESD_SD_EERKSD_lbbbEUlllE1_EE10hipError_tPvRmT2_T3_mT4_P12ihipStream_tbEUlT_E_NS1_11comp_targetILNS1_3genE9ELNS1_11target_archE1100ELNS1_3gpuE3ELNS1_3repE0EEENS1_30default_config_static_selectorELNS0_4arch9wavefront6targetE0EEEvT1_
; %bb.0:
	s_clause 0x1
	s_load_b256 s[4:11], s[0:1], 0x0
	s_load_b64 s[18:19], s[0:1], 0x38
	s_mov_b32 s17, 0
	s_waitcnt lgkmcnt(0)
	s_lshl_b64 s[12:13], s[6:7], 3
	s_delay_alu instid0(SALU_CYCLE_1)
	s_add_u32 s20, s4, s12
	s_addc_u32 s21, s5, s13
	s_load_b128 s[4:7], s[0:1], 0x20
	s_and_b32 s16, s10, 0x1ff
	s_lshl_b32 s2, s15, 9
	s_lshr_b64 s[22:23], s[10:11], 9
	s_cmp_lg_u64 s[16:17], 0
	s_cselect_b32 s3, -1, 0
	s_delay_alu instid0(SALU_CYCLE_1) | instskip(NEXT) | instid1(VALU_DEP_1)
	v_cndmask_b32_e64 v1, 0, 1, s3
	v_readfirstlane_b32 s3, v1
	s_delay_alu instid0(VALU_DEP_1)
	s_add_u32 s16, s22, s3
	s_addc_u32 s17, s23, 0
	s_add_u32 s18, s18, s15
	s_addc_u32 s19, s19, 0
	s_add_u32 s14, s16, -1
	s_addc_u32 s15, s17, -1
	s_delay_alu instid0(SALU_CYCLE_1) | instskip(NEXT) | instid1(VALU_DEP_1)
	v_cmp_ge_u64_e64 s11, s[18:19], s[14:15]
	s_and_b32 vcc_lo, exec_lo, s11
	s_cbranch_vccz .LBB1032_4
; %bb.1:
	s_lshl_b32 s0, s14, 9
                                        ; implicit-def: $vgpr1_vgpr2
	s_delay_alu instid0(SALU_CYCLE_1) | instskip(NEXT) | instid1(SALU_CYCLE_1)
	s_sub_i32 s0, s10, s0
	v_cmp_gt_u32_e32 vcc_lo, s0, v0
	s_and_saveexec_b32 s0, vcc_lo
	s_cbranch_execz .LBB1032_3
; %bb.2:
	s_mov_b32 s3, 0
	v_lshlrev_b32_e32 v1, 3, v0
	s_lshl_b64 s[22:23], s[2:3], 3
	s_delay_alu instid0(SALU_CYCLE_1)
	s_add_u32 s22, s20, s22
	s_addc_u32 s23, s21, s23
	global_load_b64 v[1:2], v1, s[22:23]
.LBB1032_3:
	s_or_b32 exec_lo, exec_lo, s0
	v_lshlrev_b32_e32 v3, 3, v0
	s_waitcnt vmcnt(0)
	ds_store_b64 v3, v[1:2]
	s_waitcnt lgkmcnt(0)
	s_barrier
	v_lshlrev_b32_e32 v9, 3, v0
	s_branch .LBB1032_6
.LBB1032_4:
                                        ; implicit-def: $vgpr3
	v_lshlrev_b32_e32 v9, 3, v0
	s_cbranch_execz .LBB1032_6
; %bb.5:
	s_mov_b32 s3, 0
	s_delay_alu instid0(VALU_DEP_1) | instskip(SKIP_1) | instid1(SALU_CYCLE_1)
	v_mov_b32_e32 v3, v9
	s_lshl_b64 s[0:1], s[2:3], 3
	s_add_u32 s0, s20, s0
	s_addc_u32 s1, s21, s1
	global_load_b64 v[1:2], v9, s[0:1]
	s_waitcnt vmcnt(0)
	ds_store_b64 v9, v[1:2]
	s_waitcnt lgkmcnt(0)
	s_barrier
.LBB1032_6:
	s_waitcnt lgkmcnt(0)
	buffer_gl0_inv
	ds_load_b64 v[1:2], v3
	s_cmp_eq_u64 s[18:19], 0
	s_waitcnt lgkmcnt(0)
	s_barrier
	buffer_gl0_inv
	s_cbranch_scc1 .LBB1032_17
; %bb.7:
	s_mov_b32 s3, 0
	s_delay_alu instid0(SALU_CYCLE_1) | instskip(NEXT) | instid1(SALU_CYCLE_1)
	s_lshl_b64 s[0:1], s[2:3], 3
	s_add_u32 s0, s20, s0
	s_addc_u32 s1, s21, s1
	s_add_u32 s0, s0, -8
	s_addc_u32 s1, s1, -1
	s_cmp_lg_u64 s[18:19], s[14:15]
	s_load_b64 s[20:21], s[0:1], 0x0
	s_cbranch_scc0 .LBB1032_18
; %bb.8:
	s_waitcnt lgkmcnt(0)
	v_dual_mov_b32 v7, s20 :: v_dual_mov_b32 v8, s21
	s_mov_b32 s0, 0
	s_mov_b32 s1, exec_lo
	ds_store_b64 v9, v[1:2]
	s_waitcnt lgkmcnt(0)
	s_barrier
	buffer_gl0_inv
	v_cmpx_ne_u32_e32 0, v0
	s_cbranch_execz .LBB1032_10
; %bb.9:
	v_add_nc_u32_e32 v3, -8, v9
	ds_load_b64 v[7:8], v3
.LBB1032_10:
	s_or_b32 exec_lo, exec_lo, s1
	v_cmp_lt_i64_e64 s1, s[4:5], 1
	s_delay_alu instid0(VALU_DEP_1)
	s_and_b32 vcc_lo, exec_lo, s1
	s_cbranch_vccnz .LBB1032_21
; %bb.11:
	v_mad_u64_u32 v[3:4], null, v1, s4, s[6:7]
	v_mul_lo_u32 v10, v1, s5
	v_mul_lo_u32 v11, v2, s4
	s_waitcnt lgkmcnt(0)
	v_mad_u64_u32 v[5:6], null, v7, s4, s[6:7]
	v_mul_lo_u32 v7, v7, s5
	v_mul_lo_u32 v8, v8, s4
	s_mov_b32 s15, 0
	s_delay_alu instid0(VALU_DEP_4) | instskip(NEXT) | instid1(VALU_DEP_2)
	v_add3_u32 v4, v11, v4, v10
	v_add3_u32 v6, v8, v6, v7
	s_clause 0x1
	global_load_u8 v7, v[3:4], off
	global_load_u8 v8, v[5:6], off
	s_waitcnt vmcnt(1)
	v_cmp_ne_u16_e32 vcc_lo, 0, v7
	s_waitcnt vmcnt(0)
	v_cmp_ne_u16_e64 s0, 0, v8
	s_delay_alu instid0(VALU_DEP_1) | instskip(SKIP_2) | instid1(SALU_CYCLE_1)
	s_xor_b32 s1, vcc_lo, s0
	s_mov_b32 s0, -1
	s_xor_b32 s1, s1, -1
	s_and_saveexec_b32 s3, s1
	s_cbranch_execz .LBB1032_20
; %bb.12:
	s_mov_b64 s[22:23], 1
                                        ; implicit-def: $sgpr19
	s_set_inst_prefetch_distance 0x1
	s_branch .LBB1032_15
	.p2align	6
.LBB1032_13:                            ;   in Loop: Header=BB1032_15 Depth=1
	v_add_co_u32 v7, vcc_lo, v3, s22
	v_add_co_ci_u32_e32 v8, vcc_lo, s23, v4, vcc_lo
	v_add_co_u32 v10, vcc_lo, v5, s22
	v_add_co_ci_u32_e32 v11, vcc_lo, s23, v6, vcc_lo
	s_clause 0x1
	global_load_u8 v7, v[7:8], off
	global_load_u8 v8, v[10:11], off
	s_waitcnt vmcnt(1)
	v_cmp_ne_u16_e32 vcc_lo, 0, v7
	s_waitcnt vmcnt(0)
	v_cmp_ne_u16_e64 s0, 0, v8
	s_delay_alu instid0(VALU_DEP_1) | instskip(SKIP_4) | instid1(SALU_CYCLE_1)
	s_xor_b32 s24, vcc_lo, s0
	s_add_u32 s0, s22, 1
	s_addc_u32 s1, s23, 0
	s_and_not1_b32 s19, s19, exec_lo
	s_and_b32 s24, s24, exec_lo
	s_or_b32 s19, s19, s24
.LBB1032_14:                            ;   in Loop: Header=BB1032_15 Depth=1
	v_dual_mov_b32 v7, s22 :: v_dual_mov_b32 v8, s23
	s_and_b32 s24, exec_lo, s19
	s_mov_b64 s[22:23], s[0:1]
	s_or_b32 s15, s24, s15
	s_delay_alu instid0(SALU_CYCLE_1)
	s_and_not1_b32 exec_lo, exec_lo, s15
	s_cbranch_execz .LBB1032_19
.LBB1032_15:                            ; =>This Inner Loop Header: Depth=1
	s_or_b32 s19, s19, exec_lo
	s_cmp_eq_u64 s[4:5], s[22:23]
	s_cbranch_scc0 .LBB1032_13
; %bb.16:                               ;   in Loop: Header=BB1032_15 Depth=1
	s_mov_b64 s[22:23], s[4:5]
                                        ; implicit-def: $sgpr0_sgpr1
	s_branch .LBB1032_14
.LBB1032_17:
	s_mov_b32 s3, 0
                                        ; implicit-def: $sgpr0
	s_cbranch_execnz .LBB1032_38
	s_branch .LBB1032_65
.LBB1032_18:
                                        ; implicit-def: $sgpr0
	s_cbranch_execnz .LBB1032_22
	s_branch .LBB1032_37
.LBB1032_19:
	s_set_inst_prefetch_distance 0x2
	s_or_b32 exec_lo, exec_lo, s15
	v_cmp_gt_i64_e32 vcc_lo, s[4:5], v[7:8]
	s_or_not1_b32 s0, vcc_lo, exec_lo
.LBB1032_20:
	s_or_b32 exec_lo, exec_lo, s3
.LBB1032_21:
	s_mov_b32 s3, -1
	s_branch .LBB1032_37
.LBB1032_22:
	s_waitcnt lgkmcnt(0)
	v_dual_mov_b32 v7, s20 :: v_dual_mov_b32 v8, s21
	s_mov_b32 s0, exec_lo
	ds_store_b64 v9, v[1:2]
	s_waitcnt lgkmcnt(0)
	s_barrier
	buffer_gl0_inv
	v_cmpx_ne_u32_e32 0, v0
	s_cbranch_execz .LBB1032_24
; %bb.23:
	v_add_nc_u32_e32 v3, -8, v9
	ds_load_b64 v[7:8], v3
.LBB1032_24:
	s_or_b32 exec_lo, exec_lo, s0
	s_lshl_b32 s0, s18, 9
	s_delay_alu instid0(SALU_CYCLE_1) | instskip(NEXT) | instid1(SALU_CYCLE_1)
	s_sub_i32 s0, s10, s0
	v_cmp_gt_u32_e32 vcc_lo, s0, v0
                                        ; implicit-def: $sgpr0
	s_and_saveexec_b32 s15, vcc_lo
	s_cbranch_execz .LBB1032_36
; %bb.25:
	v_cmp_lt_i64_e64 s0, s[4:5], 1
	s_delay_alu instid0(VALU_DEP_1)
	s_and_b32 vcc_lo, exec_lo, s0
	s_cbranch_vccnz .LBB1032_32
; %bb.26:
	v_mad_u64_u32 v[3:4], null, v1, s4, s[6:7]
	v_mul_lo_u32 v10, v1, s5
	v_mul_lo_u32 v11, v2, s4
	s_waitcnt lgkmcnt(0)
	v_mad_u64_u32 v[5:6], null, v7, s4, s[6:7]
	v_mul_lo_u32 v7, v7, s5
	v_mul_lo_u32 v8, v8, s4
	s_mov_b32 s21, 0
	s_delay_alu instid0(VALU_DEP_4) | instskip(NEXT) | instid1(VALU_DEP_2)
	v_add3_u32 v4, v11, v4, v10
	v_add3_u32 v6, v8, v6, v7
	s_clause 0x1
	global_load_u8 v7, v[3:4], off
	global_load_u8 v8, v[5:6], off
	s_waitcnt vmcnt(1)
	v_cmp_ne_u16_e32 vcc_lo, 0, v7
	s_waitcnt vmcnt(0)
	v_cmp_ne_u16_e64 s0, 0, v8
	s_delay_alu instid0(VALU_DEP_1) | instskip(SKIP_2) | instid1(SALU_CYCLE_1)
	s_xor_b32 s1, vcc_lo, s0
	s_mov_b32 s0, -1
	s_xor_b32 s1, s1, -1
	s_and_saveexec_b32 s20, s1
	s_cbranch_execz .LBB1032_34
; %bb.27:
	s_mov_b64 s[18:19], 1
                                        ; implicit-def: $sgpr22
	s_set_inst_prefetch_distance 0x1
	s_branch .LBB1032_30
	.p2align	6
.LBB1032_28:                            ;   in Loop: Header=BB1032_30 Depth=1
	v_add_co_u32 v7, vcc_lo, v3, s18
	v_add_co_ci_u32_e32 v8, vcc_lo, s19, v4, vcc_lo
	v_add_co_u32 v10, vcc_lo, v5, s18
	v_add_co_ci_u32_e32 v11, vcc_lo, s19, v6, vcc_lo
	s_clause 0x1
	global_load_u8 v7, v[7:8], off
	global_load_u8 v8, v[10:11], off
	s_waitcnt vmcnt(1)
	v_cmp_ne_u16_e32 vcc_lo, 0, v7
	s_waitcnt vmcnt(0)
	v_cmp_ne_u16_e64 s0, 0, v8
	s_delay_alu instid0(VALU_DEP_1) | instskip(SKIP_4) | instid1(SALU_CYCLE_1)
	s_xor_b32 s23, vcc_lo, s0
	s_add_u32 s0, s18, 1
	s_addc_u32 s1, s19, 0
	s_and_not1_b32 s22, s22, exec_lo
	s_and_b32 s23, s23, exec_lo
	s_or_b32 s22, s22, s23
.LBB1032_29:                            ;   in Loop: Header=BB1032_30 Depth=1
	v_dual_mov_b32 v7, s18 :: v_dual_mov_b32 v8, s19
	s_and_b32 s23, exec_lo, s22
	s_mov_b64 s[18:19], s[0:1]
	s_or_b32 s21, s23, s21
	s_delay_alu instid0(SALU_CYCLE_1)
	s_and_not1_b32 exec_lo, exec_lo, s21
	s_cbranch_execz .LBB1032_33
.LBB1032_30:                            ; =>This Inner Loop Header: Depth=1
	s_or_b32 s22, s22, exec_lo
	s_cmp_eq_u64 s[4:5], s[18:19]
	s_cbranch_scc0 .LBB1032_28
; %bb.31:                               ;   in Loop: Header=BB1032_30 Depth=1
	s_mov_b64 s[18:19], s[4:5]
                                        ; implicit-def: $sgpr0_sgpr1
	s_branch .LBB1032_29
.LBB1032_32:
	s_mov_b32 s0, 0
	s_branch .LBB1032_35
.LBB1032_33:
	s_set_inst_prefetch_distance 0x2
	s_or_b32 exec_lo, exec_lo, s21
	v_cmp_gt_i64_e32 vcc_lo, s[4:5], v[7:8]
	s_or_not1_b32 s0, vcc_lo, exec_lo
.LBB1032_34:
	s_or_b32 exec_lo, exec_lo, s20
.LBB1032_35:
	s_delay_alu instid0(SALU_CYCLE_1)
	s_and_b32 s0, s0, exec_lo
	s_or_b32 s3, s3, exec_lo
.LBB1032_36:
	s_or_b32 exec_lo, exec_lo, s15
.LBB1032_37:
	s_branch .LBB1032_65
.LBB1032_38:
	s_cmp_lg_u64 s[16:17], 1
	s_cbranch_scc0 .LBB1032_47
; %bb.39:
	s_mov_b32 s15, 0
	s_mov_b32 s18, exec_lo
	ds_store_b64 v9, v[1:2]
	s_waitcnt lgkmcnt(0)
	s_barrier
	buffer_gl0_inv
                                        ; implicit-def: $sgpr0
	v_cmpx_ne_u32_e32 0, v0
	s_cbranch_execz .LBB1032_48
; %bb.40:
	v_cmp_lt_i64_e64 s0, s[4:5], 1
	s_delay_alu instid0(VALU_DEP_1)
	s_and_b32 vcc_lo, exec_lo, s0
	s_cbranch_vccnz .LBB1032_49
; %bb.41:
	v_add_nc_u32_e32 v3, -8, v9
	v_mul_lo_u32 v10, v1, s5
	v_mul_lo_u32 v11, v2, s4
	s_mov_b32 s20, 0
	ds_load_b64 v[7:8], v3
	v_mad_u64_u32 v[3:4], null, v1, s4, s[6:7]
	s_delay_alu instid0(VALU_DEP_1) | instskip(SKIP_4) | instid1(VALU_DEP_1)
	v_add3_u32 v4, v11, v4, v10
	s_waitcnt lgkmcnt(0)
	v_mul_lo_u32 v12, v7, s5
	v_mul_lo_u32 v8, v8, s4
	v_mad_u64_u32 v[5:6], null, v7, s4, s[6:7]
	v_add3_u32 v6, v8, v6, v12
	s_clause 0x1
	global_load_u8 v7, v[3:4], off
	global_load_u8 v8, v[5:6], off
	s_waitcnt vmcnt(1)
	v_cmp_ne_u16_e32 vcc_lo, 0, v7
	s_waitcnt vmcnt(0)
	v_cmp_ne_u16_e64 s0, 0, v8
	s_delay_alu instid0(VALU_DEP_1) | instskip(SKIP_2) | instid1(SALU_CYCLE_1)
	s_xor_b32 s1, vcc_lo, s0
	s_mov_b32 s0, -1
	s_xor_b32 s1, s1, -1
	s_and_saveexec_b32 s19, s1
	s_cbranch_execz .LBB1032_51
; %bb.42:
	s_mov_b64 s[16:17], 1
                                        ; implicit-def: $sgpr21
	s_set_inst_prefetch_distance 0x1
	s_branch .LBB1032_45
	.p2align	6
.LBB1032_43:                            ;   in Loop: Header=BB1032_45 Depth=1
	v_add_co_u32 v7, vcc_lo, v3, s16
	v_add_co_ci_u32_e32 v8, vcc_lo, s17, v4, vcc_lo
	v_add_co_u32 v10, vcc_lo, v5, s16
	v_add_co_ci_u32_e32 v11, vcc_lo, s17, v6, vcc_lo
	s_clause 0x1
	global_load_u8 v7, v[7:8], off
	global_load_u8 v8, v[10:11], off
	s_waitcnt vmcnt(1)
	v_cmp_ne_u16_e32 vcc_lo, 0, v7
	s_waitcnt vmcnt(0)
	v_cmp_ne_u16_e64 s0, 0, v8
	s_delay_alu instid0(VALU_DEP_1) | instskip(SKIP_4) | instid1(SALU_CYCLE_1)
	s_xor_b32 s22, vcc_lo, s0
	s_add_u32 s0, s16, 1
	s_addc_u32 s1, s17, 0
	s_and_not1_b32 s21, s21, exec_lo
	s_and_b32 s22, s22, exec_lo
	s_or_b32 s21, s21, s22
.LBB1032_44:                            ;   in Loop: Header=BB1032_45 Depth=1
	v_dual_mov_b32 v7, s16 :: v_dual_mov_b32 v8, s17
	s_and_b32 s22, exec_lo, s21
	s_mov_b64 s[16:17], s[0:1]
	s_or_b32 s20, s22, s20
	s_delay_alu instid0(SALU_CYCLE_1)
	s_and_not1_b32 exec_lo, exec_lo, s20
	s_cbranch_execz .LBB1032_50
.LBB1032_45:                            ; =>This Inner Loop Header: Depth=1
	s_or_b32 s21, s21, exec_lo
	s_cmp_eq_u64 s[4:5], s[16:17]
	s_cbranch_scc0 .LBB1032_43
; %bb.46:                               ;   in Loop: Header=BB1032_45 Depth=1
	s_mov_b64 s[16:17], s[4:5]
                                        ; implicit-def: $sgpr0_sgpr1
	s_branch .LBB1032_44
.LBB1032_47:
                                        ; implicit-def: $sgpr0
	s_cbranch_execnz .LBB1032_53
	s_branch .LBB1032_65
.LBB1032_48:
	s_or_b32 exec_lo, exec_lo, s18
	s_delay_alu instid0(SALU_CYCLE_1)
	s_and_b32 vcc_lo, exec_lo, s15
	s_cbranch_vccnz .LBB1032_53
	s_branch .LBB1032_65
.LBB1032_49:
	s_mov_b32 s0, 0
	s_branch .LBB1032_52
.LBB1032_50:
	s_set_inst_prefetch_distance 0x2
	s_or_b32 exec_lo, exec_lo, s20
	v_cmp_gt_i64_e32 vcc_lo, s[4:5], v[7:8]
	s_or_not1_b32 s0, vcc_lo, exec_lo
.LBB1032_51:
	s_or_b32 exec_lo, exec_lo, s19
.LBB1032_52:
	s_delay_alu instid0(SALU_CYCLE_1) | instskip(SKIP_2) | instid1(SALU_CYCLE_1)
	s_and_b32 s0, s0, exec_lo
	s_or_b32 s3, s3, exec_lo
	s_or_b32 exec_lo, exec_lo, s18
	s_and_b32 vcc_lo, exec_lo, s15
	s_cbranch_vccz .LBB1032_65
.LBB1032_53:
	v_cmp_ne_u32_e32 vcc_lo, 0, v0
	v_cmp_gt_u32_e64 s0, s10, v0
	s_mov_b32 s1, 0
	ds_store_b64 v9, v[1:2]
	s_waitcnt lgkmcnt(0)
	s_barrier
	s_and_b32 s16, vcc_lo, s0
	buffer_gl0_inv
                                        ; implicit-def: $sgpr0
	s_and_saveexec_b32 s15, s16
	s_cbranch_execz .LBB1032_64
; %bb.54:
	v_cmp_lt_i64_e64 s0, s[4:5], 1
	s_delay_alu instid0(VALU_DEP_1)
	s_and_b32 vcc_lo, exec_lo, s0
	s_cbranch_vccnz .LBB1032_63
; %bb.55:
	v_add_nc_u32_e32 v3, -8, v9
	v_mul_lo_u32 v7, v1, s5
	v_mul_lo_u32 v8, v2, s4
	s_mov_b32 s17, 0
	s_mov_b32 s1, -1
	ds_load_b64 v[5:6], v3
	v_mad_u64_u32 v[3:4], null, v1, s4, s[6:7]
	s_delay_alu instid0(VALU_DEP_1) | instskip(SKIP_4) | instid1(VALU_DEP_1)
	v_add3_u32 v4, v8, v4, v7
	s_waitcnt lgkmcnt(0)
	v_mul_lo_u32 v10, v5, s5
	v_mul_lo_u32 v6, v6, s4
	v_mad_u64_u32 v[1:2], null, v5, s4, s[6:7]
	v_add3_u32 v2, v6, v2, v10
	s_clause 0x1
	global_load_u8 v5, v[3:4], off
	global_load_u8 v6, v[1:2], off
	s_waitcnt vmcnt(1)
	v_cmp_ne_u16_e32 vcc_lo, 0, v5
	s_waitcnt vmcnt(0)
	v_cmp_ne_u16_e64 s0, 0, v6
	s_delay_alu instid0(VALU_DEP_1) | instskip(NEXT) | instid1(SALU_CYCLE_1)
	s_xor_b32 s0, vcc_lo, s0
	s_xor_b32 s0, s0, -1
	s_delay_alu instid0(SALU_CYCLE_1)
	s_and_saveexec_b32 s16, s0
	s_cbranch_execz .LBB1032_62
; %bb.56:
	s_mov_b64 s[6:7], 1
                                        ; implicit-def: $sgpr18
	s_set_inst_prefetch_distance 0x1
	s_branch .LBB1032_59
	.p2align	6
.LBB1032_57:                            ;   in Loop: Header=BB1032_59 Depth=1
	v_add_co_u32 v5, vcc_lo, v3, s6
	v_add_co_ci_u32_e32 v6, vcc_lo, s7, v4, vcc_lo
	v_add_co_u32 v7, vcc_lo, v1, s6
	v_add_co_ci_u32_e32 v8, vcc_lo, s7, v2, vcc_lo
	s_clause 0x1
	global_load_u8 v5, v[5:6], off
	global_load_u8 v6, v[7:8], off
	s_waitcnt vmcnt(1)
	v_cmp_ne_u16_e32 vcc_lo, 0, v5
	s_waitcnt vmcnt(0)
	v_cmp_ne_u16_e64 s0, 0, v6
	s_delay_alu instid0(VALU_DEP_1) | instskip(SKIP_4) | instid1(SALU_CYCLE_1)
	s_xor_b32 s19, vcc_lo, s0
	s_add_u32 s0, s6, 1
	s_addc_u32 s1, s7, 0
	s_and_not1_b32 s18, s18, exec_lo
	s_and_b32 s19, s19, exec_lo
	s_or_b32 s18, s18, s19
.LBB1032_58:                            ;   in Loop: Header=BB1032_59 Depth=1
	v_dual_mov_b32 v5, s6 :: v_dual_mov_b32 v6, s7
	s_and_b32 s19, exec_lo, s18
	s_mov_b64 s[6:7], s[0:1]
	s_or_b32 s17, s19, s17
	s_delay_alu instid0(SALU_CYCLE_1)
	s_and_not1_b32 exec_lo, exec_lo, s17
	s_cbranch_execz .LBB1032_61
.LBB1032_59:                            ; =>This Inner Loop Header: Depth=1
	s_or_b32 s18, s18, exec_lo
	s_cmp_eq_u64 s[4:5], s[6:7]
	s_cbranch_scc0 .LBB1032_57
; %bb.60:                               ;   in Loop: Header=BB1032_59 Depth=1
	s_mov_b64 s[6:7], s[4:5]
                                        ; implicit-def: $sgpr0_sgpr1
	s_branch .LBB1032_58
.LBB1032_61:
	s_set_inst_prefetch_distance 0x2
	s_or_b32 exec_lo, exec_lo, s17
	v_cmp_gt_i64_e32 vcc_lo, s[4:5], v[5:6]
	s_or_not1_b32 s1, vcc_lo, exec_lo
.LBB1032_62:
	s_or_b32 exec_lo, exec_lo, s16
.LBB1032_63:
	s_delay_alu instid0(SALU_CYCLE_1)
	s_and_b32 s0, s1, exec_lo
	s_or_b32 s3, s3, exec_lo
                                        ; implicit-def: $vgpr1_vgpr2
.LBB1032_64:
	s_or_b32 exec_lo, exec_lo, s15
.LBB1032_65:
	s_and_saveexec_b32 s1, s3
; %bb.66:
	s_mov_b32 s3, 0
	v_cndmask_b32_e64 v1, 0, 1, s0
	v_mov_b32_e32 v2, s3
; %bb.67:
	s_or_b32 exec_lo, exec_lo, s1
	s_add_u32 s0, s8, s12
	s_addc_u32 s1, s9, s13
	s_and_b32 vcc_lo, exec_lo, s11
	s_mov_b32 s3, -1
	s_waitcnt lgkmcnt(0)
	s_barrier
	buffer_gl0_inv
	s_cbranch_vccnz .LBB1032_70
; %bb.68:
	s_and_not1_b32 vcc_lo, exec_lo, s3
	s_cbranch_vccz .LBB1032_73
.LBB1032_69:
	s_nop 0
	s_sendmsg sendmsg(MSG_DEALLOC_VGPRS)
	s_endpgm
.LBB1032_70:
	s_lshl_b32 s3, s14, 9
	s_mov_b32 s4, exec_lo
	s_sub_i32 s3, s10, s3
	ds_store_b64 v9, v[1:2]
	s_waitcnt lgkmcnt(0)
	s_barrier
	buffer_gl0_inv
	v_cmpx_gt_u32_e64 s3, v0
	s_cbranch_execz .LBB1032_72
; %bb.71:
	ds_load_b64 v[3:4], v9
	s_mov_b32 s3, 0
	s_delay_alu instid0(SALU_CYCLE_1) | instskip(NEXT) | instid1(SALU_CYCLE_1)
	s_lshl_b64 s[6:7], s[2:3], 3
	s_add_u32 s6, s0, s6
	s_addc_u32 s7, s1, s7
	s_waitcnt lgkmcnt(0)
	global_store_b64 v9, v[3:4], s[6:7]
.LBB1032_72:
	s_or_b32 exec_lo, exec_lo, s4
	s_cbranch_execnz .LBB1032_69
.LBB1032_73:
	ds_store_b64 v9, v[1:2]
	s_waitcnt lgkmcnt(0)
	s_waitcnt_vscnt null, 0x0
	s_barrier
	buffer_gl0_inv
	ds_load_b64 v[0:1], v9
	s_mov_b32 s3, 0
	s_delay_alu instid0(SALU_CYCLE_1) | instskip(NEXT) | instid1(SALU_CYCLE_1)
	s_lshl_b64 s[2:3], s[2:3], 3
	s_add_u32 s0, s0, s2
	s_addc_u32 s1, s1, s3
	s_waitcnt lgkmcnt(0)
	global_store_b64 v9, v[0:1], s[0:1]
	s_nop 0
	s_sendmsg sendmsg(MSG_DEALLOC_VGPRS)
	s_endpgm
	.section	.rodata,"a",@progbits
	.p2align	6, 0x0
	.amdhsa_kernel _ZN7rocprim17ROCPRIM_400000_NS6detail17trampoline_kernelINS0_14default_configENS1_35adjacent_difference_config_selectorILb0ElEEZNS1_24adjacent_difference_implIS3_Lb0ELb0EPlS7_ZN2at6native12_GLOBAL__N_124unique_dim_cuda_templateIbEESt5tupleIJNS8_6TensorESD_SD_EERKSD_lbbbEUlllE1_EE10hipError_tPvRmT2_T3_mT4_P12ihipStream_tbEUlT_E_NS1_11comp_targetILNS1_3genE9ELNS1_11target_archE1100ELNS1_3gpuE3ELNS1_3repE0EEENS1_30default_config_static_selectorELNS0_4arch9wavefront6targetE0EEEvT1_
		.amdhsa_group_segment_fixed_size 8192
		.amdhsa_private_segment_fixed_size 0
		.amdhsa_kernarg_size 64
		.amdhsa_user_sgpr_count 15
		.amdhsa_user_sgpr_dispatch_ptr 0
		.amdhsa_user_sgpr_queue_ptr 0
		.amdhsa_user_sgpr_kernarg_segment_ptr 1
		.amdhsa_user_sgpr_dispatch_id 0
		.amdhsa_user_sgpr_private_segment_size 0
		.amdhsa_wavefront_size32 1
		.amdhsa_uses_dynamic_stack 0
		.amdhsa_enable_private_segment 0
		.amdhsa_system_sgpr_workgroup_id_x 1
		.amdhsa_system_sgpr_workgroup_id_y 0
		.amdhsa_system_sgpr_workgroup_id_z 0
		.amdhsa_system_sgpr_workgroup_info 0
		.amdhsa_system_vgpr_workitem_id 0
		.amdhsa_next_free_vgpr 13
		.amdhsa_next_free_sgpr 25
		.amdhsa_reserve_vcc 1
		.amdhsa_float_round_mode_32 0
		.amdhsa_float_round_mode_16_64 0
		.amdhsa_float_denorm_mode_32 3
		.amdhsa_float_denorm_mode_16_64 3
		.amdhsa_dx10_clamp 1
		.amdhsa_ieee_mode 1
		.amdhsa_fp16_overflow 0
		.amdhsa_workgroup_processor_mode 1
		.amdhsa_memory_ordered 1
		.amdhsa_forward_progress 0
		.amdhsa_shared_vgpr_count 0
		.amdhsa_exception_fp_ieee_invalid_op 0
		.amdhsa_exception_fp_denorm_src 0
		.amdhsa_exception_fp_ieee_div_zero 0
		.amdhsa_exception_fp_ieee_overflow 0
		.amdhsa_exception_fp_ieee_underflow 0
		.amdhsa_exception_fp_ieee_inexact 0
		.amdhsa_exception_int_div_zero 0
	.end_amdhsa_kernel
	.section	.text._ZN7rocprim17ROCPRIM_400000_NS6detail17trampoline_kernelINS0_14default_configENS1_35adjacent_difference_config_selectorILb0ElEEZNS1_24adjacent_difference_implIS3_Lb0ELb0EPlS7_ZN2at6native12_GLOBAL__N_124unique_dim_cuda_templateIbEESt5tupleIJNS8_6TensorESD_SD_EERKSD_lbbbEUlllE1_EE10hipError_tPvRmT2_T3_mT4_P12ihipStream_tbEUlT_E_NS1_11comp_targetILNS1_3genE9ELNS1_11target_archE1100ELNS1_3gpuE3ELNS1_3repE0EEENS1_30default_config_static_selectorELNS0_4arch9wavefront6targetE0EEEvT1_,"axG",@progbits,_ZN7rocprim17ROCPRIM_400000_NS6detail17trampoline_kernelINS0_14default_configENS1_35adjacent_difference_config_selectorILb0ElEEZNS1_24adjacent_difference_implIS3_Lb0ELb0EPlS7_ZN2at6native12_GLOBAL__N_124unique_dim_cuda_templateIbEESt5tupleIJNS8_6TensorESD_SD_EERKSD_lbbbEUlllE1_EE10hipError_tPvRmT2_T3_mT4_P12ihipStream_tbEUlT_E_NS1_11comp_targetILNS1_3genE9ELNS1_11target_archE1100ELNS1_3gpuE3ELNS1_3repE0EEENS1_30default_config_static_selectorELNS0_4arch9wavefront6targetE0EEEvT1_,comdat
.Lfunc_end1032:
	.size	_ZN7rocprim17ROCPRIM_400000_NS6detail17trampoline_kernelINS0_14default_configENS1_35adjacent_difference_config_selectorILb0ElEEZNS1_24adjacent_difference_implIS3_Lb0ELb0EPlS7_ZN2at6native12_GLOBAL__N_124unique_dim_cuda_templateIbEESt5tupleIJNS8_6TensorESD_SD_EERKSD_lbbbEUlllE1_EE10hipError_tPvRmT2_T3_mT4_P12ihipStream_tbEUlT_E_NS1_11comp_targetILNS1_3genE9ELNS1_11target_archE1100ELNS1_3gpuE3ELNS1_3repE0EEENS1_30default_config_static_selectorELNS0_4arch9wavefront6targetE0EEEvT1_, .Lfunc_end1032-_ZN7rocprim17ROCPRIM_400000_NS6detail17trampoline_kernelINS0_14default_configENS1_35adjacent_difference_config_selectorILb0ElEEZNS1_24adjacent_difference_implIS3_Lb0ELb0EPlS7_ZN2at6native12_GLOBAL__N_124unique_dim_cuda_templateIbEESt5tupleIJNS8_6TensorESD_SD_EERKSD_lbbbEUlllE1_EE10hipError_tPvRmT2_T3_mT4_P12ihipStream_tbEUlT_E_NS1_11comp_targetILNS1_3genE9ELNS1_11target_archE1100ELNS1_3gpuE3ELNS1_3repE0EEENS1_30default_config_static_selectorELNS0_4arch9wavefront6targetE0EEEvT1_
                                        ; -- End function
	.section	.AMDGPU.csdata,"",@progbits
; Kernel info:
; codeLenInByte = 2396
; NumSgprs: 27
; NumVgprs: 13
; ScratchSize: 0
; MemoryBound: 0
; FloatMode: 240
; IeeeMode: 1
; LDSByteSize: 8192 bytes/workgroup (compile time only)
; SGPRBlocks: 3
; VGPRBlocks: 1
; NumSGPRsForWavesPerEU: 27
; NumVGPRsForWavesPerEU: 13
; Occupancy: 16
; WaveLimiterHint : 0
; COMPUTE_PGM_RSRC2:SCRATCH_EN: 0
; COMPUTE_PGM_RSRC2:USER_SGPR: 15
; COMPUTE_PGM_RSRC2:TRAP_HANDLER: 0
; COMPUTE_PGM_RSRC2:TGID_X_EN: 1
; COMPUTE_PGM_RSRC2:TGID_Y_EN: 0
; COMPUTE_PGM_RSRC2:TGID_Z_EN: 0
; COMPUTE_PGM_RSRC2:TIDIG_COMP_CNT: 0
	.section	.text._ZN7rocprim17ROCPRIM_400000_NS6detail17trampoline_kernelINS0_14default_configENS1_35adjacent_difference_config_selectorILb0ElEEZNS1_24adjacent_difference_implIS3_Lb0ELb0EPlS7_ZN2at6native12_GLOBAL__N_124unique_dim_cuda_templateIbEESt5tupleIJNS8_6TensorESD_SD_EERKSD_lbbbEUlllE1_EE10hipError_tPvRmT2_T3_mT4_P12ihipStream_tbEUlT_E_NS1_11comp_targetILNS1_3genE8ELNS1_11target_archE1030ELNS1_3gpuE2ELNS1_3repE0EEENS1_30default_config_static_selectorELNS0_4arch9wavefront6targetE0EEEvT1_,"axG",@progbits,_ZN7rocprim17ROCPRIM_400000_NS6detail17trampoline_kernelINS0_14default_configENS1_35adjacent_difference_config_selectorILb0ElEEZNS1_24adjacent_difference_implIS3_Lb0ELb0EPlS7_ZN2at6native12_GLOBAL__N_124unique_dim_cuda_templateIbEESt5tupleIJNS8_6TensorESD_SD_EERKSD_lbbbEUlllE1_EE10hipError_tPvRmT2_T3_mT4_P12ihipStream_tbEUlT_E_NS1_11comp_targetILNS1_3genE8ELNS1_11target_archE1030ELNS1_3gpuE2ELNS1_3repE0EEENS1_30default_config_static_selectorELNS0_4arch9wavefront6targetE0EEEvT1_,comdat
	.globl	_ZN7rocprim17ROCPRIM_400000_NS6detail17trampoline_kernelINS0_14default_configENS1_35adjacent_difference_config_selectorILb0ElEEZNS1_24adjacent_difference_implIS3_Lb0ELb0EPlS7_ZN2at6native12_GLOBAL__N_124unique_dim_cuda_templateIbEESt5tupleIJNS8_6TensorESD_SD_EERKSD_lbbbEUlllE1_EE10hipError_tPvRmT2_T3_mT4_P12ihipStream_tbEUlT_E_NS1_11comp_targetILNS1_3genE8ELNS1_11target_archE1030ELNS1_3gpuE2ELNS1_3repE0EEENS1_30default_config_static_selectorELNS0_4arch9wavefront6targetE0EEEvT1_ ; -- Begin function _ZN7rocprim17ROCPRIM_400000_NS6detail17trampoline_kernelINS0_14default_configENS1_35adjacent_difference_config_selectorILb0ElEEZNS1_24adjacent_difference_implIS3_Lb0ELb0EPlS7_ZN2at6native12_GLOBAL__N_124unique_dim_cuda_templateIbEESt5tupleIJNS8_6TensorESD_SD_EERKSD_lbbbEUlllE1_EE10hipError_tPvRmT2_T3_mT4_P12ihipStream_tbEUlT_E_NS1_11comp_targetILNS1_3genE8ELNS1_11target_archE1030ELNS1_3gpuE2ELNS1_3repE0EEENS1_30default_config_static_selectorELNS0_4arch9wavefront6targetE0EEEvT1_
	.p2align	8
	.type	_ZN7rocprim17ROCPRIM_400000_NS6detail17trampoline_kernelINS0_14default_configENS1_35adjacent_difference_config_selectorILb0ElEEZNS1_24adjacent_difference_implIS3_Lb0ELb0EPlS7_ZN2at6native12_GLOBAL__N_124unique_dim_cuda_templateIbEESt5tupleIJNS8_6TensorESD_SD_EERKSD_lbbbEUlllE1_EE10hipError_tPvRmT2_T3_mT4_P12ihipStream_tbEUlT_E_NS1_11comp_targetILNS1_3genE8ELNS1_11target_archE1030ELNS1_3gpuE2ELNS1_3repE0EEENS1_30default_config_static_selectorELNS0_4arch9wavefront6targetE0EEEvT1_,@function
_ZN7rocprim17ROCPRIM_400000_NS6detail17trampoline_kernelINS0_14default_configENS1_35adjacent_difference_config_selectorILb0ElEEZNS1_24adjacent_difference_implIS3_Lb0ELb0EPlS7_ZN2at6native12_GLOBAL__N_124unique_dim_cuda_templateIbEESt5tupleIJNS8_6TensorESD_SD_EERKSD_lbbbEUlllE1_EE10hipError_tPvRmT2_T3_mT4_P12ihipStream_tbEUlT_E_NS1_11comp_targetILNS1_3genE8ELNS1_11target_archE1030ELNS1_3gpuE2ELNS1_3repE0EEENS1_30default_config_static_selectorELNS0_4arch9wavefront6targetE0EEEvT1_: ; @_ZN7rocprim17ROCPRIM_400000_NS6detail17trampoline_kernelINS0_14default_configENS1_35adjacent_difference_config_selectorILb0ElEEZNS1_24adjacent_difference_implIS3_Lb0ELb0EPlS7_ZN2at6native12_GLOBAL__N_124unique_dim_cuda_templateIbEESt5tupleIJNS8_6TensorESD_SD_EERKSD_lbbbEUlllE1_EE10hipError_tPvRmT2_T3_mT4_P12ihipStream_tbEUlT_E_NS1_11comp_targetILNS1_3genE8ELNS1_11target_archE1030ELNS1_3gpuE2ELNS1_3repE0EEENS1_30default_config_static_selectorELNS0_4arch9wavefront6targetE0EEEvT1_
; %bb.0:
	.section	.rodata,"a",@progbits
	.p2align	6, 0x0
	.amdhsa_kernel _ZN7rocprim17ROCPRIM_400000_NS6detail17trampoline_kernelINS0_14default_configENS1_35adjacent_difference_config_selectorILb0ElEEZNS1_24adjacent_difference_implIS3_Lb0ELb0EPlS7_ZN2at6native12_GLOBAL__N_124unique_dim_cuda_templateIbEESt5tupleIJNS8_6TensorESD_SD_EERKSD_lbbbEUlllE1_EE10hipError_tPvRmT2_T3_mT4_P12ihipStream_tbEUlT_E_NS1_11comp_targetILNS1_3genE8ELNS1_11target_archE1030ELNS1_3gpuE2ELNS1_3repE0EEENS1_30default_config_static_selectorELNS0_4arch9wavefront6targetE0EEEvT1_
		.amdhsa_group_segment_fixed_size 0
		.amdhsa_private_segment_fixed_size 0
		.amdhsa_kernarg_size 64
		.amdhsa_user_sgpr_count 15
		.amdhsa_user_sgpr_dispatch_ptr 0
		.amdhsa_user_sgpr_queue_ptr 0
		.amdhsa_user_sgpr_kernarg_segment_ptr 1
		.amdhsa_user_sgpr_dispatch_id 0
		.amdhsa_user_sgpr_private_segment_size 0
		.amdhsa_wavefront_size32 1
		.amdhsa_uses_dynamic_stack 0
		.amdhsa_enable_private_segment 0
		.amdhsa_system_sgpr_workgroup_id_x 1
		.amdhsa_system_sgpr_workgroup_id_y 0
		.amdhsa_system_sgpr_workgroup_id_z 0
		.amdhsa_system_sgpr_workgroup_info 0
		.amdhsa_system_vgpr_workitem_id 0
		.amdhsa_next_free_vgpr 1
		.amdhsa_next_free_sgpr 1
		.amdhsa_reserve_vcc 0
		.amdhsa_float_round_mode_32 0
		.amdhsa_float_round_mode_16_64 0
		.amdhsa_float_denorm_mode_32 3
		.amdhsa_float_denorm_mode_16_64 3
		.amdhsa_dx10_clamp 1
		.amdhsa_ieee_mode 1
		.amdhsa_fp16_overflow 0
		.amdhsa_workgroup_processor_mode 1
		.amdhsa_memory_ordered 1
		.amdhsa_forward_progress 0
		.amdhsa_shared_vgpr_count 0
		.amdhsa_exception_fp_ieee_invalid_op 0
		.amdhsa_exception_fp_denorm_src 0
		.amdhsa_exception_fp_ieee_div_zero 0
		.amdhsa_exception_fp_ieee_overflow 0
		.amdhsa_exception_fp_ieee_underflow 0
		.amdhsa_exception_fp_ieee_inexact 0
		.amdhsa_exception_int_div_zero 0
	.end_amdhsa_kernel
	.section	.text._ZN7rocprim17ROCPRIM_400000_NS6detail17trampoline_kernelINS0_14default_configENS1_35adjacent_difference_config_selectorILb0ElEEZNS1_24adjacent_difference_implIS3_Lb0ELb0EPlS7_ZN2at6native12_GLOBAL__N_124unique_dim_cuda_templateIbEESt5tupleIJNS8_6TensorESD_SD_EERKSD_lbbbEUlllE1_EE10hipError_tPvRmT2_T3_mT4_P12ihipStream_tbEUlT_E_NS1_11comp_targetILNS1_3genE8ELNS1_11target_archE1030ELNS1_3gpuE2ELNS1_3repE0EEENS1_30default_config_static_selectorELNS0_4arch9wavefront6targetE0EEEvT1_,"axG",@progbits,_ZN7rocprim17ROCPRIM_400000_NS6detail17trampoline_kernelINS0_14default_configENS1_35adjacent_difference_config_selectorILb0ElEEZNS1_24adjacent_difference_implIS3_Lb0ELb0EPlS7_ZN2at6native12_GLOBAL__N_124unique_dim_cuda_templateIbEESt5tupleIJNS8_6TensorESD_SD_EERKSD_lbbbEUlllE1_EE10hipError_tPvRmT2_T3_mT4_P12ihipStream_tbEUlT_E_NS1_11comp_targetILNS1_3genE8ELNS1_11target_archE1030ELNS1_3gpuE2ELNS1_3repE0EEENS1_30default_config_static_selectorELNS0_4arch9wavefront6targetE0EEEvT1_,comdat
.Lfunc_end1033:
	.size	_ZN7rocprim17ROCPRIM_400000_NS6detail17trampoline_kernelINS0_14default_configENS1_35adjacent_difference_config_selectorILb0ElEEZNS1_24adjacent_difference_implIS3_Lb0ELb0EPlS7_ZN2at6native12_GLOBAL__N_124unique_dim_cuda_templateIbEESt5tupleIJNS8_6TensorESD_SD_EERKSD_lbbbEUlllE1_EE10hipError_tPvRmT2_T3_mT4_P12ihipStream_tbEUlT_E_NS1_11comp_targetILNS1_3genE8ELNS1_11target_archE1030ELNS1_3gpuE2ELNS1_3repE0EEENS1_30default_config_static_selectorELNS0_4arch9wavefront6targetE0EEEvT1_, .Lfunc_end1033-_ZN7rocprim17ROCPRIM_400000_NS6detail17trampoline_kernelINS0_14default_configENS1_35adjacent_difference_config_selectorILb0ElEEZNS1_24adjacent_difference_implIS3_Lb0ELb0EPlS7_ZN2at6native12_GLOBAL__N_124unique_dim_cuda_templateIbEESt5tupleIJNS8_6TensorESD_SD_EERKSD_lbbbEUlllE1_EE10hipError_tPvRmT2_T3_mT4_P12ihipStream_tbEUlT_E_NS1_11comp_targetILNS1_3genE8ELNS1_11target_archE1030ELNS1_3gpuE2ELNS1_3repE0EEENS1_30default_config_static_selectorELNS0_4arch9wavefront6targetE0EEEvT1_
                                        ; -- End function
	.section	.AMDGPU.csdata,"",@progbits
; Kernel info:
; codeLenInByte = 0
; NumSgprs: 0
; NumVgprs: 0
; ScratchSize: 0
; MemoryBound: 0
; FloatMode: 240
; IeeeMode: 1
; LDSByteSize: 0 bytes/workgroup (compile time only)
; SGPRBlocks: 0
; VGPRBlocks: 0
; NumSGPRsForWavesPerEU: 1
; NumVGPRsForWavesPerEU: 1
; Occupancy: 16
; WaveLimiterHint : 0
; COMPUTE_PGM_RSRC2:SCRATCH_EN: 0
; COMPUTE_PGM_RSRC2:USER_SGPR: 15
; COMPUTE_PGM_RSRC2:TRAP_HANDLER: 0
; COMPUTE_PGM_RSRC2:TGID_X_EN: 1
; COMPUTE_PGM_RSRC2:TGID_Y_EN: 0
; COMPUTE_PGM_RSRC2:TGID_Z_EN: 0
; COMPUTE_PGM_RSRC2:TIDIG_COMP_CNT: 0
	.section	.text._ZN7rocprim17ROCPRIM_400000_NS6detail17trampoline_kernelINS0_14default_configENS1_25transform_config_selectorIlLb0EEEZNS1_14transform_implILb0ES3_S5_NS0_18transform_iteratorINS0_17counting_iteratorImlEEZNS1_24adjacent_difference_implIS3_Lb1ELb0EPlSB_ZN2at6native12_GLOBAL__N_124unique_dim_cuda_templateIbEESt5tupleIJNSC_6TensorESH_SH_EERKSH_lbbbEUlllE1_EE10hipError_tPvRmT2_T3_mT4_P12ihipStream_tbEUlmE_lEESB_NS0_8identityIvEEEESM_SP_SQ_mSR_ST_bEUlT_E_NS1_11comp_targetILNS1_3genE0ELNS1_11target_archE4294967295ELNS1_3gpuE0ELNS1_3repE0EEENS1_30default_config_static_selectorELNS0_4arch9wavefront6targetE0EEEvT1_,"axG",@progbits,_ZN7rocprim17ROCPRIM_400000_NS6detail17trampoline_kernelINS0_14default_configENS1_25transform_config_selectorIlLb0EEEZNS1_14transform_implILb0ES3_S5_NS0_18transform_iteratorINS0_17counting_iteratorImlEEZNS1_24adjacent_difference_implIS3_Lb1ELb0EPlSB_ZN2at6native12_GLOBAL__N_124unique_dim_cuda_templateIbEESt5tupleIJNSC_6TensorESH_SH_EERKSH_lbbbEUlllE1_EE10hipError_tPvRmT2_T3_mT4_P12ihipStream_tbEUlmE_lEESB_NS0_8identityIvEEEESM_SP_SQ_mSR_ST_bEUlT_E_NS1_11comp_targetILNS1_3genE0ELNS1_11target_archE4294967295ELNS1_3gpuE0ELNS1_3repE0EEENS1_30default_config_static_selectorELNS0_4arch9wavefront6targetE0EEEvT1_,comdat
	.globl	_ZN7rocprim17ROCPRIM_400000_NS6detail17trampoline_kernelINS0_14default_configENS1_25transform_config_selectorIlLb0EEEZNS1_14transform_implILb0ES3_S5_NS0_18transform_iteratorINS0_17counting_iteratorImlEEZNS1_24adjacent_difference_implIS3_Lb1ELb0EPlSB_ZN2at6native12_GLOBAL__N_124unique_dim_cuda_templateIbEESt5tupleIJNSC_6TensorESH_SH_EERKSH_lbbbEUlllE1_EE10hipError_tPvRmT2_T3_mT4_P12ihipStream_tbEUlmE_lEESB_NS0_8identityIvEEEESM_SP_SQ_mSR_ST_bEUlT_E_NS1_11comp_targetILNS1_3genE0ELNS1_11target_archE4294967295ELNS1_3gpuE0ELNS1_3repE0EEENS1_30default_config_static_selectorELNS0_4arch9wavefront6targetE0EEEvT1_ ; -- Begin function _ZN7rocprim17ROCPRIM_400000_NS6detail17trampoline_kernelINS0_14default_configENS1_25transform_config_selectorIlLb0EEEZNS1_14transform_implILb0ES3_S5_NS0_18transform_iteratorINS0_17counting_iteratorImlEEZNS1_24adjacent_difference_implIS3_Lb1ELb0EPlSB_ZN2at6native12_GLOBAL__N_124unique_dim_cuda_templateIbEESt5tupleIJNSC_6TensorESH_SH_EERKSH_lbbbEUlllE1_EE10hipError_tPvRmT2_T3_mT4_P12ihipStream_tbEUlmE_lEESB_NS0_8identityIvEEEESM_SP_SQ_mSR_ST_bEUlT_E_NS1_11comp_targetILNS1_3genE0ELNS1_11target_archE4294967295ELNS1_3gpuE0ELNS1_3repE0EEENS1_30default_config_static_selectorELNS0_4arch9wavefront6targetE0EEEvT1_
	.p2align	8
	.type	_ZN7rocprim17ROCPRIM_400000_NS6detail17trampoline_kernelINS0_14default_configENS1_25transform_config_selectorIlLb0EEEZNS1_14transform_implILb0ES3_S5_NS0_18transform_iteratorINS0_17counting_iteratorImlEEZNS1_24adjacent_difference_implIS3_Lb1ELb0EPlSB_ZN2at6native12_GLOBAL__N_124unique_dim_cuda_templateIbEESt5tupleIJNSC_6TensorESH_SH_EERKSH_lbbbEUlllE1_EE10hipError_tPvRmT2_T3_mT4_P12ihipStream_tbEUlmE_lEESB_NS0_8identityIvEEEESM_SP_SQ_mSR_ST_bEUlT_E_NS1_11comp_targetILNS1_3genE0ELNS1_11target_archE4294967295ELNS1_3gpuE0ELNS1_3repE0EEENS1_30default_config_static_selectorELNS0_4arch9wavefront6targetE0EEEvT1_,@function
_ZN7rocprim17ROCPRIM_400000_NS6detail17trampoline_kernelINS0_14default_configENS1_25transform_config_selectorIlLb0EEEZNS1_14transform_implILb0ES3_S5_NS0_18transform_iteratorINS0_17counting_iteratorImlEEZNS1_24adjacent_difference_implIS3_Lb1ELb0EPlSB_ZN2at6native12_GLOBAL__N_124unique_dim_cuda_templateIbEESt5tupleIJNSC_6TensorESH_SH_EERKSH_lbbbEUlllE1_EE10hipError_tPvRmT2_T3_mT4_P12ihipStream_tbEUlmE_lEESB_NS0_8identityIvEEEESM_SP_SQ_mSR_ST_bEUlT_E_NS1_11comp_targetILNS1_3genE0ELNS1_11target_archE4294967295ELNS1_3gpuE0ELNS1_3repE0EEENS1_30default_config_static_selectorELNS0_4arch9wavefront6targetE0EEEvT1_: ; @_ZN7rocprim17ROCPRIM_400000_NS6detail17trampoline_kernelINS0_14default_configENS1_25transform_config_selectorIlLb0EEEZNS1_14transform_implILb0ES3_S5_NS0_18transform_iteratorINS0_17counting_iteratorImlEEZNS1_24adjacent_difference_implIS3_Lb1ELb0EPlSB_ZN2at6native12_GLOBAL__N_124unique_dim_cuda_templateIbEESt5tupleIJNSC_6TensorESH_SH_EERKSH_lbbbEUlllE1_EE10hipError_tPvRmT2_T3_mT4_P12ihipStream_tbEUlmE_lEESB_NS0_8identityIvEEEESM_SP_SQ_mSR_ST_bEUlT_E_NS1_11comp_targetILNS1_3genE0ELNS1_11target_archE4294967295ELNS1_3gpuE0ELNS1_3repE0EEENS1_30default_config_static_selectorELNS0_4arch9wavefront6targetE0EEEvT1_
; %bb.0:
	.section	.rodata,"a",@progbits
	.p2align	6, 0x0
	.amdhsa_kernel _ZN7rocprim17ROCPRIM_400000_NS6detail17trampoline_kernelINS0_14default_configENS1_25transform_config_selectorIlLb0EEEZNS1_14transform_implILb0ES3_S5_NS0_18transform_iteratorINS0_17counting_iteratorImlEEZNS1_24adjacent_difference_implIS3_Lb1ELb0EPlSB_ZN2at6native12_GLOBAL__N_124unique_dim_cuda_templateIbEESt5tupleIJNSC_6TensorESH_SH_EERKSH_lbbbEUlllE1_EE10hipError_tPvRmT2_T3_mT4_P12ihipStream_tbEUlmE_lEESB_NS0_8identityIvEEEESM_SP_SQ_mSR_ST_bEUlT_E_NS1_11comp_targetILNS1_3genE0ELNS1_11target_archE4294967295ELNS1_3gpuE0ELNS1_3repE0EEENS1_30default_config_static_selectorELNS0_4arch9wavefront6targetE0EEEvT1_
		.amdhsa_group_segment_fixed_size 0
		.amdhsa_private_segment_fixed_size 0
		.amdhsa_kernarg_size 56
		.amdhsa_user_sgpr_count 15
		.amdhsa_user_sgpr_dispatch_ptr 0
		.amdhsa_user_sgpr_queue_ptr 0
		.amdhsa_user_sgpr_kernarg_segment_ptr 1
		.amdhsa_user_sgpr_dispatch_id 0
		.amdhsa_user_sgpr_private_segment_size 0
		.amdhsa_wavefront_size32 1
		.amdhsa_uses_dynamic_stack 0
		.amdhsa_enable_private_segment 0
		.amdhsa_system_sgpr_workgroup_id_x 1
		.amdhsa_system_sgpr_workgroup_id_y 0
		.amdhsa_system_sgpr_workgroup_id_z 0
		.amdhsa_system_sgpr_workgroup_info 0
		.amdhsa_system_vgpr_workitem_id 0
		.amdhsa_next_free_vgpr 1
		.amdhsa_next_free_sgpr 1
		.amdhsa_reserve_vcc 0
		.amdhsa_float_round_mode_32 0
		.amdhsa_float_round_mode_16_64 0
		.amdhsa_float_denorm_mode_32 3
		.amdhsa_float_denorm_mode_16_64 3
		.amdhsa_dx10_clamp 1
		.amdhsa_ieee_mode 1
		.amdhsa_fp16_overflow 0
		.amdhsa_workgroup_processor_mode 1
		.amdhsa_memory_ordered 1
		.amdhsa_forward_progress 0
		.amdhsa_shared_vgpr_count 0
		.amdhsa_exception_fp_ieee_invalid_op 0
		.amdhsa_exception_fp_denorm_src 0
		.amdhsa_exception_fp_ieee_div_zero 0
		.amdhsa_exception_fp_ieee_overflow 0
		.amdhsa_exception_fp_ieee_underflow 0
		.amdhsa_exception_fp_ieee_inexact 0
		.amdhsa_exception_int_div_zero 0
	.end_amdhsa_kernel
	.section	.text._ZN7rocprim17ROCPRIM_400000_NS6detail17trampoline_kernelINS0_14default_configENS1_25transform_config_selectorIlLb0EEEZNS1_14transform_implILb0ES3_S5_NS0_18transform_iteratorINS0_17counting_iteratorImlEEZNS1_24adjacent_difference_implIS3_Lb1ELb0EPlSB_ZN2at6native12_GLOBAL__N_124unique_dim_cuda_templateIbEESt5tupleIJNSC_6TensorESH_SH_EERKSH_lbbbEUlllE1_EE10hipError_tPvRmT2_T3_mT4_P12ihipStream_tbEUlmE_lEESB_NS0_8identityIvEEEESM_SP_SQ_mSR_ST_bEUlT_E_NS1_11comp_targetILNS1_3genE0ELNS1_11target_archE4294967295ELNS1_3gpuE0ELNS1_3repE0EEENS1_30default_config_static_selectorELNS0_4arch9wavefront6targetE0EEEvT1_,"axG",@progbits,_ZN7rocprim17ROCPRIM_400000_NS6detail17trampoline_kernelINS0_14default_configENS1_25transform_config_selectorIlLb0EEEZNS1_14transform_implILb0ES3_S5_NS0_18transform_iteratorINS0_17counting_iteratorImlEEZNS1_24adjacent_difference_implIS3_Lb1ELb0EPlSB_ZN2at6native12_GLOBAL__N_124unique_dim_cuda_templateIbEESt5tupleIJNSC_6TensorESH_SH_EERKSH_lbbbEUlllE1_EE10hipError_tPvRmT2_T3_mT4_P12ihipStream_tbEUlmE_lEESB_NS0_8identityIvEEEESM_SP_SQ_mSR_ST_bEUlT_E_NS1_11comp_targetILNS1_3genE0ELNS1_11target_archE4294967295ELNS1_3gpuE0ELNS1_3repE0EEENS1_30default_config_static_selectorELNS0_4arch9wavefront6targetE0EEEvT1_,comdat
.Lfunc_end1034:
	.size	_ZN7rocprim17ROCPRIM_400000_NS6detail17trampoline_kernelINS0_14default_configENS1_25transform_config_selectorIlLb0EEEZNS1_14transform_implILb0ES3_S5_NS0_18transform_iteratorINS0_17counting_iteratorImlEEZNS1_24adjacent_difference_implIS3_Lb1ELb0EPlSB_ZN2at6native12_GLOBAL__N_124unique_dim_cuda_templateIbEESt5tupleIJNSC_6TensorESH_SH_EERKSH_lbbbEUlllE1_EE10hipError_tPvRmT2_T3_mT4_P12ihipStream_tbEUlmE_lEESB_NS0_8identityIvEEEESM_SP_SQ_mSR_ST_bEUlT_E_NS1_11comp_targetILNS1_3genE0ELNS1_11target_archE4294967295ELNS1_3gpuE0ELNS1_3repE0EEENS1_30default_config_static_selectorELNS0_4arch9wavefront6targetE0EEEvT1_, .Lfunc_end1034-_ZN7rocprim17ROCPRIM_400000_NS6detail17trampoline_kernelINS0_14default_configENS1_25transform_config_selectorIlLb0EEEZNS1_14transform_implILb0ES3_S5_NS0_18transform_iteratorINS0_17counting_iteratorImlEEZNS1_24adjacent_difference_implIS3_Lb1ELb0EPlSB_ZN2at6native12_GLOBAL__N_124unique_dim_cuda_templateIbEESt5tupleIJNSC_6TensorESH_SH_EERKSH_lbbbEUlllE1_EE10hipError_tPvRmT2_T3_mT4_P12ihipStream_tbEUlmE_lEESB_NS0_8identityIvEEEESM_SP_SQ_mSR_ST_bEUlT_E_NS1_11comp_targetILNS1_3genE0ELNS1_11target_archE4294967295ELNS1_3gpuE0ELNS1_3repE0EEENS1_30default_config_static_selectorELNS0_4arch9wavefront6targetE0EEEvT1_
                                        ; -- End function
	.section	.AMDGPU.csdata,"",@progbits
; Kernel info:
; codeLenInByte = 0
; NumSgprs: 0
; NumVgprs: 0
; ScratchSize: 0
; MemoryBound: 0
; FloatMode: 240
; IeeeMode: 1
; LDSByteSize: 0 bytes/workgroup (compile time only)
; SGPRBlocks: 0
; VGPRBlocks: 0
; NumSGPRsForWavesPerEU: 1
; NumVGPRsForWavesPerEU: 1
; Occupancy: 16
; WaveLimiterHint : 0
; COMPUTE_PGM_RSRC2:SCRATCH_EN: 0
; COMPUTE_PGM_RSRC2:USER_SGPR: 15
; COMPUTE_PGM_RSRC2:TRAP_HANDLER: 0
; COMPUTE_PGM_RSRC2:TGID_X_EN: 1
; COMPUTE_PGM_RSRC2:TGID_Y_EN: 0
; COMPUTE_PGM_RSRC2:TGID_Z_EN: 0
; COMPUTE_PGM_RSRC2:TIDIG_COMP_CNT: 0
	.section	.text._ZN7rocprim17ROCPRIM_400000_NS6detail17trampoline_kernelINS0_14default_configENS1_25transform_config_selectorIlLb0EEEZNS1_14transform_implILb0ES3_S5_NS0_18transform_iteratorINS0_17counting_iteratorImlEEZNS1_24adjacent_difference_implIS3_Lb1ELb0EPlSB_ZN2at6native12_GLOBAL__N_124unique_dim_cuda_templateIbEESt5tupleIJNSC_6TensorESH_SH_EERKSH_lbbbEUlllE1_EE10hipError_tPvRmT2_T3_mT4_P12ihipStream_tbEUlmE_lEESB_NS0_8identityIvEEEESM_SP_SQ_mSR_ST_bEUlT_E_NS1_11comp_targetILNS1_3genE5ELNS1_11target_archE942ELNS1_3gpuE9ELNS1_3repE0EEENS1_30default_config_static_selectorELNS0_4arch9wavefront6targetE0EEEvT1_,"axG",@progbits,_ZN7rocprim17ROCPRIM_400000_NS6detail17trampoline_kernelINS0_14default_configENS1_25transform_config_selectorIlLb0EEEZNS1_14transform_implILb0ES3_S5_NS0_18transform_iteratorINS0_17counting_iteratorImlEEZNS1_24adjacent_difference_implIS3_Lb1ELb0EPlSB_ZN2at6native12_GLOBAL__N_124unique_dim_cuda_templateIbEESt5tupleIJNSC_6TensorESH_SH_EERKSH_lbbbEUlllE1_EE10hipError_tPvRmT2_T3_mT4_P12ihipStream_tbEUlmE_lEESB_NS0_8identityIvEEEESM_SP_SQ_mSR_ST_bEUlT_E_NS1_11comp_targetILNS1_3genE5ELNS1_11target_archE942ELNS1_3gpuE9ELNS1_3repE0EEENS1_30default_config_static_selectorELNS0_4arch9wavefront6targetE0EEEvT1_,comdat
	.globl	_ZN7rocprim17ROCPRIM_400000_NS6detail17trampoline_kernelINS0_14default_configENS1_25transform_config_selectorIlLb0EEEZNS1_14transform_implILb0ES3_S5_NS0_18transform_iteratorINS0_17counting_iteratorImlEEZNS1_24adjacent_difference_implIS3_Lb1ELb0EPlSB_ZN2at6native12_GLOBAL__N_124unique_dim_cuda_templateIbEESt5tupleIJNSC_6TensorESH_SH_EERKSH_lbbbEUlllE1_EE10hipError_tPvRmT2_T3_mT4_P12ihipStream_tbEUlmE_lEESB_NS0_8identityIvEEEESM_SP_SQ_mSR_ST_bEUlT_E_NS1_11comp_targetILNS1_3genE5ELNS1_11target_archE942ELNS1_3gpuE9ELNS1_3repE0EEENS1_30default_config_static_selectorELNS0_4arch9wavefront6targetE0EEEvT1_ ; -- Begin function _ZN7rocprim17ROCPRIM_400000_NS6detail17trampoline_kernelINS0_14default_configENS1_25transform_config_selectorIlLb0EEEZNS1_14transform_implILb0ES3_S5_NS0_18transform_iteratorINS0_17counting_iteratorImlEEZNS1_24adjacent_difference_implIS3_Lb1ELb0EPlSB_ZN2at6native12_GLOBAL__N_124unique_dim_cuda_templateIbEESt5tupleIJNSC_6TensorESH_SH_EERKSH_lbbbEUlllE1_EE10hipError_tPvRmT2_T3_mT4_P12ihipStream_tbEUlmE_lEESB_NS0_8identityIvEEEESM_SP_SQ_mSR_ST_bEUlT_E_NS1_11comp_targetILNS1_3genE5ELNS1_11target_archE942ELNS1_3gpuE9ELNS1_3repE0EEENS1_30default_config_static_selectorELNS0_4arch9wavefront6targetE0EEEvT1_
	.p2align	8
	.type	_ZN7rocprim17ROCPRIM_400000_NS6detail17trampoline_kernelINS0_14default_configENS1_25transform_config_selectorIlLb0EEEZNS1_14transform_implILb0ES3_S5_NS0_18transform_iteratorINS0_17counting_iteratorImlEEZNS1_24adjacent_difference_implIS3_Lb1ELb0EPlSB_ZN2at6native12_GLOBAL__N_124unique_dim_cuda_templateIbEESt5tupleIJNSC_6TensorESH_SH_EERKSH_lbbbEUlllE1_EE10hipError_tPvRmT2_T3_mT4_P12ihipStream_tbEUlmE_lEESB_NS0_8identityIvEEEESM_SP_SQ_mSR_ST_bEUlT_E_NS1_11comp_targetILNS1_3genE5ELNS1_11target_archE942ELNS1_3gpuE9ELNS1_3repE0EEENS1_30default_config_static_selectorELNS0_4arch9wavefront6targetE0EEEvT1_,@function
_ZN7rocprim17ROCPRIM_400000_NS6detail17trampoline_kernelINS0_14default_configENS1_25transform_config_selectorIlLb0EEEZNS1_14transform_implILb0ES3_S5_NS0_18transform_iteratorINS0_17counting_iteratorImlEEZNS1_24adjacent_difference_implIS3_Lb1ELb0EPlSB_ZN2at6native12_GLOBAL__N_124unique_dim_cuda_templateIbEESt5tupleIJNSC_6TensorESH_SH_EERKSH_lbbbEUlllE1_EE10hipError_tPvRmT2_T3_mT4_P12ihipStream_tbEUlmE_lEESB_NS0_8identityIvEEEESM_SP_SQ_mSR_ST_bEUlT_E_NS1_11comp_targetILNS1_3genE5ELNS1_11target_archE942ELNS1_3gpuE9ELNS1_3repE0EEENS1_30default_config_static_selectorELNS0_4arch9wavefront6targetE0EEEvT1_: ; @_ZN7rocprim17ROCPRIM_400000_NS6detail17trampoline_kernelINS0_14default_configENS1_25transform_config_selectorIlLb0EEEZNS1_14transform_implILb0ES3_S5_NS0_18transform_iteratorINS0_17counting_iteratorImlEEZNS1_24adjacent_difference_implIS3_Lb1ELb0EPlSB_ZN2at6native12_GLOBAL__N_124unique_dim_cuda_templateIbEESt5tupleIJNSC_6TensorESH_SH_EERKSH_lbbbEUlllE1_EE10hipError_tPvRmT2_T3_mT4_P12ihipStream_tbEUlmE_lEESB_NS0_8identityIvEEEESM_SP_SQ_mSR_ST_bEUlT_E_NS1_11comp_targetILNS1_3genE5ELNS1_11target_archE942ELNS1_3gpuE9ELNS1_3repE0EEENS1_30default_config_static_selectorELNS0_4arch9wavefront6targetE0EEEvT1_
; %bb.0:
	.section	.rodata,"a",@progbits
	.p2align	6, 0x0
	.amdhsa_kernel _ZN7rocprim17ROCPRIM_400000_NS6detail17trampoline_kernelINS0_14default_configENS1_25transform_config_selectorIlLb0EEEZNS1_14transform_implILb0ES3_S5_NS0_18transform_iteratorINS0_17counting_iteratorImlEEZNS1_24adjacent_difference_implIS3_Lb1ELb0EPlSB_ZN2at6native12_GLOBAL__N_124unique_dim_cuda_templateIbEESt5tupleIJNSC_6TensorESH_SH_EERKSH_lbbbEUlllE1_EE10hipError_tPvRmT2_T3_mT4_P12ihipStream_tbEUlmE_lEESB_NS0_8identityIvEEEESM_SP_SQ_mSR_ST_bEUlT_E_NS1_11comp_targetILNS1_3genE5ELNS1_11target_archE942ELNS1_3gpuE9ELNS1_3repE0EEENS1_30default_config_static_selectorELNS0_4arch9wavefront6targetE0EEEvT1_
		.amdhsa_group_segment_fixed_size 0
		.amdhsa_private_segment_fixed_size 0
		.amdhsa_kernarg_size 56
		.amdhsa_user_sgpr_count 15
		.amdhsa_user_sgpr_dispatch_ptr 0
		.amdhsa_user_sgpr_queue_ptr 0
		.amdhsa_user_sgpr_kernarg_segment_ptr 1
		.amdhsa_user_sgpr_dispatch_id 0
		.amdhsa_user_sgpr_private_segment_size 0
		.amdhsa_wavefront_size32 1
		.amdhsa_uses_dynamic_stack 0
		.amdhsa_enable_private_segment 0
		.amdhsa_system_sgpr_workgroup_id_x 1
		.amdhsa_system_sgpr_workgroup_id_y 0
		.amdhsa_system_sgpr_workgroup_id_z 0
		.amdhsa_system_sgpr_workgroup_info 0
		.amdhsa_system_vgpr_workitem_id 0
		.amdhsa_next_free_vgpr 1
		.amdhsa_next_free_sgpr 1
		.amdhsa_reserve_vcc 0
		.amdhsa_float_round_mode_32 0
		.amdhsa_float_round_mode_16_64 0
		.amdhsa_float_denorm_mode_32 3
		.amdhsa_float_denorm_mode_16_64 3
		.amdhsa_dx10_clamp 1
		.amdhsa_ieee_mode 1
		.amdhsa_fp16_overflow 0
		.amdhsa_workgroup_processor_mode 1
		.amdhsa_memory_ordered 1
		.amdhsa_forward_progress 0
		.amdhsa_shared_vgpr_count 0
		.amdhsa_exception_fp_ieee_invalid_op 0
		.amdhsa_exception_fp_denorm_src 0
		.amdhsa_exception_fp_ieee_div_zero 0
		.amdhsa_exception_fp_ieee_overflow 0
		.amdhsa_exception_fp_ieee_underflow 0
		.amdhsa_exception_fp_ieee_inexact 0
		.amdhsa_exception_int_div_zero 0
	.end_amdhsa_kernel
	.section	.text._ZN7rocprim17ROCPRIM_400000_NS6detail17trampoline_kernelINS0_14default_configENS1_25transform_config_selectorIlLb0EEEZNS1_14transform_implILb0ES3_S5_NS0_18transform_iteratorINS0_17counting_iteratorImlEEZNS1_24adjacent_difference_implIS3_Lb1ELb0EPlSB_ZN2at6native12_GLOBAL__N_124unique_dim_cuda_templateIbEESt5tupleIJNSC_6TensorESH_SH_EERKSH_lbbbEUlllE1_EE10hipError_tPvRmT2_T3_mT4_P12ihipStream_tbEUlmE_lEESB_NS0_8identityIvEEEESM_SP_SQ_mSR_ST_bEUlT_E_NS1_11comp_targetILNS1_3genE5ELNS1_11target_archE942ELNS1_3gpuE9ELNS1_3repE0EEENS1_30default_config_static_selectorELNS0_4arch9wavefront6targetE0EEEvT1_,"axG",@progbits,_ZN7rocprim17ROCPRIM_400000_NS6detail17trampoline_kernelINS0_14default_configENS1_25transform_config_selectorIlLb0EEEZNS1_14transform_implILb0ES3_S5_NS0_18transform_iteratorINS0_17counting_iteratorImlEEZNS1_24adjacent_difference_implIS3_Lb1ELb0EPlSB_ZN2at6native12_GLOBAL__N_124unique_dim_cuda_templateIbEESt5tupleIJNSC_6TensorESH_SH_EERKSH_lbbbEUlllE1_EE10hipError_tPvRmT2_T3_mT4_P12ihipStream_tbEUlmE_lEESB_NS0_8identityIvEEEESM_SP_SQ_mSR_ST_bEUlT_E_NS1_11comp_targetILNS1_3genE5ELNS1_11target_archE942ELNS1_3gpuE9ELNS1_3repE0EEENS1_30default_config_static_selectorELNS0_4arch9wavefront6targetE0EEEvT1_,comdat
.Lfunc_end1035:
	.size	_ZN7rocprim17ROCPRIM_400000_NS6detail17trampoline_kernelINS0_14default_configENS1_25transform_config_selectorIlLb0EEEZNS1_14transform_implILb0ES3_S5_NS0_18transform_iteratorINS0_17counting_iteratorImlEEZNS1_24adjacent_difference_implIS3_Lb1ELb0EPlSB_ZN2at6native12_GLOBAL__N_124unique_dim_cuda_templateIbEESt5tupleIJNSC_6TensorESH_SH_EERKSH_lbbbEUlllE1_EE10hipError_tPvRmT2_T3_mT4_P12ihipStream_tbEUlmE_lEESB_NS0_8identityIvEEEESM_SP_SQ_mSR_ST_bEUlT_E_NS1_11comp_targetILNS1_3genE5ELNS1_11target_archE942ELNS1_3gpuE9ELNS1_3repE0EEENS1_30default_config_static_selectorELNS0_4arch9wavefront6targetE0EEEvT1_, .Lfunc_end1035-_ZN7rocprim17ROCPRIM_400000_NS6detail17trampoline_kernelINS0_14default_configENS1_25transform_config_selectorIlLb0EEEZNS1_14transform_implILb0ES3_S5_NS0_18transform_iteratorINS0_17counting_iteratorImlEEZNS1_24adjacent_difference_implIS3_Lb1ELb0EPlSB_ZN2at6native12_GLOBAL__N_124unique_dim_cuda_templateIbEESt5tupleIJNSC_6TensorESH_SH_EERKSH_lbbbEUlllE1_EE10hipError_tPvRmT2_T3_mT4_P12ihipStream_tbEUlmE_lEESB_NS0_8identityIvEEEESM_SP_SQ_mSR_ST_bEUlT_E_NS1_11comp_targetILNS1_3genE5ELNS1_11target_archE942ELNS1_3gpuE9ELNS1_3repE0EEENS1_30default_config_static_selectorELNS0_4arch9wavefront6targetE0EEEvT1_
                                        ; -- End function
	.section	.AMDGPU.csdata,"",@progbits
; Kernel info:
; codeLenInByte = 0
; NumSgprs: 0
; NumVgprs: 0
; ScratchSize: 0
; MemoryBound: 0
; FloatMode: 240
; IeeeMode: 1
; LDSByteSize: 0 bytes/workgroup (compile time only)
; SGPRBlocks: 0
; VGPRBlocks: 0
; NumSGPRsForWavesPerEU: 1
; NumVGPRsForWavesPerEU: 1
; Occupancy: 16
; WaveLimiterHint : 0
; COMPUTE_PGM_RSRC2:SCRATCH_EN: 0
; COMPUTE_PGM_RSRC2:USER_SGPR: 15
; COMPUTE_PGM_RSRC2:TRAP_HANDLER: 0
; COMPUTE_PGM_RSRC2:TGID_X_EN: 1
; COMPUTE_PGM_RSRC2:TGID_Y_EN: 0
; COMPUTE_PGM_RSRC2:TGID_Z_EN: 0
; COMPUTE_PGM_RSRC2:TIDIG_COMP_CNT: 0
	.section	.text._ZN7rocprim17ROCPRIM_400000_NS6detail17trampoline_kernelINS0_14default_configENS1_25transform_config_selectorIlLb0EEEZNS1_14transform_implILb0ES3_S5_NS0_18transform_iteratorINS0_17counting_iteratorImlEEZNS1_24adjacent_difference_implIS3_Lb1ELb0EPlSB_ZN2at6native12_GLOBAL__N_124unique_dim_cuda_templateIbEESt5tupleIJNSC_6TensorESH_SH_EERKSH_lbbbEUlllE1_EE10hipError_tPvRmT2_T3_mT4_P12ihipStream_tbEUlmE_lEESB_NS0_8identityIvEEEESM_SP_SQ_mSR_ST_bEUlT_E_NS1_11comp_targetILNS1_3genE4ELNS1_11target_archE910ELNS1_3gpuE8ELNS1_3repE0EEENS1_30default_config_static_selectorELNS0_4arch9wavefront6targetE0EEEvT1_,"axG",@progbits,_ZN7rocprim17ROCPRIM_400000_NS6detail17trampoline_kernelINS0_14default_configENS1_25transform_config_selectorIlLb0EEEZNS1_14transform_implILb0ES3_S5_NS0_18transform_iteratorINS0_17counting_iteratorImlEEZNS1_24adjacent_difference_implIS3_Lb1ELb0EPlSB_ZN2at6native12_GLOBAL__N_124unique_dim_cuda_templateIbEESt5tupleIJNSC_6TensorESH_SH_EERKSH_lbbbEUlllE1_EE10hipError_tPvRmT2_T3_mT4_P12ihipStream_tbEUlmE_lEESB_NS0_8identityIvEEEESM_SP_SQ_mSR_ST_bEUlT_E_NS1_11comp_targetILNS1_3genE4ELNS1_11target_archE910ELNS1_3gpuE8ELNS1_3repE0EEENS1_30default_config_static_selectorELNS0_4arch9wavefront6targetE0EEEvT1_,comdat
	.globl	_ZN7rocprim17ROCPRIM_400000_NS6detail17trampoline_kernelINS0_14default_configENS1_25transform_config_selectorIlLb0EEEZNS1_14transform_implILb0ES3_S5_NS0_18transform_iteratorINS0_17counting_iteratorImlEEZNS1_24adjacent_difference_implIS3_Lb1ELb0EPlSB_ZN2at6native12_GLOBAL__N_124unique_dim_cuda_templateIbEESt5tupleIJNSC_6TensorESH_SH_EERKSH_lbbbEUlllE1_EE10hipError_tPvRmT2_T3_mT4_P12ihipStream_tbEUlmE_lEESB_NS0_8identityIvEEEESM_SP_SQ_mSR_ST_bEUlT_E_NS1_11comp_targetILNS1_3genE4ELNS1_11target_archE910ELNS1_3gpuE8ELNS1_3repE0EEENS1_30default_config_static_selectorELNS0_4arch9wavefront6targetE0EEEvT1_ ; -- Begin function _ZN7rocprim17ROCPRIM_400000_NS6detail17trampoline_kernelINS0_14default_configENS1_25transform_config_selectorIlLb0EEEZNS1_14transform_implILb0ES3_S5_NS0_18transform_iteratorINS0_17counting_iteratorImlEEZNS1_24adjacent_difference_implIS3_Lb1ELb0EPlSB_ZN2at6native12_GLOBAL__N_124unique_dim_cuda_templateIbEESt5tupleIJNSC_6TensorESH_SH_EERKSH_lbbbEUlllE1_EE10hipError_tPvRmT2_T3_mT4_P12ihipStream_tbEUlmE_lEESB_NS0_8identityIvEEEESM_SP_SQ_mSR_ST_bEUlT_E_NS1_11comp_targetILNS1_3genE4ELNS1_11target_archE910ELNS1_3gpuE8ELNS1_3repE0EEENS1_30default_config_static_selectorELNS0_4arch9wavefront6targetE0EEEvT1_
	.p2align	8
	.type	_ZN7rocprim17ROCPRIM_400000_NS6detail17trampoline_kernelINS0_14default_configENS1_25transform_config_selectorIlLb0EEEZNS1_14transform_implILb0ES3_S5_NS0_18transform_iteratorINS0_17counting_iteratorImlEEZNS1_24adjacent_difference_implIS3_Lb1ELb0EPlSB_ZN2at6native12_GLOBAL__N_124unique_dim_cuda_templateIbEESt5tupleIJNSC_6TensorESH_SH_EERKSH_lbbbEUlllE1_EE10hipError_tPvRmT2_T3_mT4_P12ihipStream_tbEUlmE_lEESB_NS0_8identityIvEEEESM_SP_SQ_mSR_ST_bEUlT_E_NS1_11comp_targetILNS1_3genE4ELNS1_11target_archE910ELNS1_3gpuE8ELNS1_3repE0EEENS1_30default_config_static_selectorELNS0_4arch9wavefront6targetE0EEEvT1_,@function
_ZN7rocprim17ROCPRIM_400000_NS6detail17trampoline_kernelINS0_14default_configENS1_25transform_config_selectorIlLb0EEEZNS1_14transform_implILb0ES3_S5_NS0_18transform_iteratorINS0_17counting_iteratorImlEEZNS1_24adjacent_difference_implIS3_Lb1ELb0EPlSB_ZN2at6native12_GLOBAL__N_124unique_dim_cuda_templateIbEESt5tupleIJNSC_6TensorESH_SH_EERKSH_lbbbEUlllE1_EE10hipError_tPvRmT2_T3_mT4_P12ihipStream_tbEUlmE_lEESB_NS0_8identityIvEEEESM_SP_SQ_mSR_ST_bEUlT_E_NS1_11comp_targetILNS1_3genE4ELNS1_11target_archE910ELNS1_3gpuE8ELNS1_3repE0EEENS1_30default_config_static_selectorELNS0_4arch9wavefront6targetE0EEEvT1_: ; @_ZN7rocprim17ROCPRIM_400000_NS6detail17trampoline_kernelINS0_14default_configENS1_25transform_config_selectorIlLb0EEEZNS1_14transform_implILb0ES3_S5_NS0_18transform_iteratorINS0_17counting_iteratorImlEEZNS1_24adjacent_difference_implIS3_Lb1ELb0EPlSB_ZN2at6native12_GLOBAL__N_124unique_dim_cuda_templateIbEESt5tupleIJNSC_6TensorESH_SH_EERKSH_lbbbEUlllE1_EE10hipError_tPvRmT2_T3_mT4_P12ihipStream_tbEUlmE_lEESB_NS0_8identityIvEEEESM_SP_SQ_mSR_ST_bEUlT_E_NS1_11comp_targetILNS1_3genE4ELNS1_11target_archE910ELNS1_3gpuE8ELNS1_3repE0EEENS1_30default_config_static_selectorELNS0_4arch9wavefront6targetE0EEEvT1_
; %bb.0:
	.section	.rodata,"a",@progbits
	.p2align	6, 0x0
	.amdhsa_kernel _ZN7rocprim17ROCPRIM_400000_NS6detail17trampoline_kernelINS0_14default_configENS1_25transform_config_selectorIlLb0EEEZNS1_14transform_implILb0ES3_S5_NS0_18transform_iteratorINS0_17counting_iteratorImlEEZNS1_24adjacent_difference_implIS3_Lb1ELb0EPlSB_ZN2at6native12_GLOBAL__N_124unique_dim_cuda_templateIbEESt5tupleIJNSC_6TensorESH_SH_EERKSH_lbbbEUlllE1_EE10hipError_tPvRmT2_T3_mT4_P12ihipStream_tbEUlmE_lEESB_NS0_8identityIvEEEESM_SP_SQ_mSR_ST_bEUlT_E_NS1_11comp_targetILNS1_3genE4ELNS1_11target_archE910ELNS1_3gpuE8ELNS1_3repE0EEENS1_30default_config_static_selectorELNS0_4arch9wavefront6targetE0EEEvT1_
		.amdhsa_group_segment_fixed_size 0
		.amdhsa_private_segment_fixed_size 0
		.amdhsa_kernarg_size 56
		.amdhsa_user_sgpr_count 15
		.amdhsa_user_sgpr_dispatch_ptr 0
		.amdhsa_user_sgpr_queue_ptr 0
		.amdhsa_user_sgpr_kernarg_segment_ptr 1
		.amdhsa_user_sgpr_dispatch_id 0
		.amdhsa_user_sgpr_private_segment_size 0
		.amdhsa_wavefront_size32 1
		.amdhsa_uses_dynamic_stack 0
		.amdhsa_enable_private_segment 0
		.amdhsa_system_sgpr_workgroup_id_x 1
		.amdhsa_system_sgpr_workgroup_id_y 0
		.amdhsa_system_sgpr_workgroup_id_z 0
		.amdhsa_system_sgpr_workgroup_info 0
		.amdhsa_system_vgpr_workitem_id 0
		.amdhsa_next_free_vgpr 1
		.amdhsa_next_free_sgpr 1
		.amdhsa_reserve_vcc 0
		.amdhsa_float_round_mode_32 0
		.amdhsa_float_round_mode_16_64 0
		.amdhsa_float_denorm_mode_32 3
		.amdhsa_float_denorm_mode_16_64 3
		.amdhsa_dx10_clamp 1
		.amdhsa_ieee_mode 1
		.amdhsa_fp16_overflow 0
		.amdhsa_workgroup_processor_mode 1
		.amdhsa_memory_ordered 1
		.amdhsa_forward_progress 0
		.amdhsa_shared_vgpr_count 0
		.amdhsa_exception_fp_ieee_invalid_op 0
		.amdhsa_exception_fp_denorm_src 0
		.amdhsa_exception_fp_ieee_div_zero 0
		.amdhsa_exception_fp_ieee_overflow 0
		.amdhsa_exception_fp_ieee_underflow 0
		.amdhsa_exception_fp_ieee_inexact 0
		.amdhsa_exception_int_div_zero 0
	.end_amdhsa_kernel
	.section	.text._ZN7rocprim17ROCPRIM_400000_NS6detail17trampoline_kernelINS0_14default_configENS1_25transform_config_selectorIlLb0EEEZNS1_14transform_implILb0ES3_S5_NS0_18transform_iteratorINS0_17counting_iteratorImlEEZNS1_24adjacent_difference_implIS3_Lb1ELb0EPlSB_ZN2at6native12_GLOBAL__N_124unique_dim_cuda_templateIbEESt5tupleIJNSC_6TensorESH_SH_EERKSH_lbbbEUlllE1_EE10hipError_tPvRmT2_T3_mT4_P12ihipStream_tbEUlmE_lEESB_NS0_8identityIvEEEESM_SP_SQ_mSR_ST_bEUlT_E_NS1_11comp_targetILNS1_3genE4ELNS1_11target_archE910ELNS1_3gpuE8ELNS1_3repE0EEENS1_30default_config_static_selectorELNS0_4arch9wavefront6targetE0EEEvT1_,"axG",@progbits,_ZN7rocprim17ROCPRIM_400000_NS6detail17trampoline_kernelINS0_14default_configENS1_25transform_config_selectorIlLb0EEEZNS1_14transform_implILb0ES3_S5_NS0_18transform_iteratorINS0_17counting_iteratorImlEEZNS1_24adjacent_difference_implIS3_Lb1ELb0EPlSB_ZN2at6native12_GLOBAL__N_124unique_dim_cuda_templateIbEESt5tupleIJNSC_6TensorESH_SH_EERKSH_lbbbEUlllE1_EE10hipError_tPvRmT2_T3_mT4_P12ihipStream_tbEUlmE_lEESB_NS0_8identityIvEEEESM_SP_SQ_mSR_ST_bEUlT_E_NS1_11comp_targetILNS1_3genE4ELNS1_11target_archE910ELNS1_3gpuE8ELNS1_3repE0EEENS1_30default_config_static_selectorELNS0_4arch9wavefront6targetE0EEEvT1_,comdat
.Lfunc_end1036:
	.size	_ZN7rocprim17ROCPRIM_400000_NS6detail17trampoline_kernelINS0_14default_configENS1_25transform_config_selectorIlLb0EEEZNS1_14transform_implILb0ES3_S5_NS0_18transform_iteratorINS0_17counting_iteratorImlEEZNS1_24adjacent_difference_implIS3_Lb1ELb0EPlSB_ZN2at6native12_GLOBAL__N_124unique_dim_cuda_templateIbEESt5tupleIJNSC_6TensorESH_SH_EERKSH_lbbbEUlllE1_EE10hipError_tPvRmT2_T3_mT4_P12ihipStream_tbEUlmE_lEESB_NS0_8identityIvEEEESM_SP_SQ_mSR_ST_bEUlT_E_NS1_11comp_targetILNS1_3genE4ELNS1_11target_archE910ELNS1_3gpuE8ELNS1_3repE0EEENS1_30default_config_static_selectorELNS0_4arch9wavefront6targetE0EEEvT1_, .Lfunc_end1036-_ZN7rocprim17ROCPRIM_400000_NS6detail17trampoline_kernelINS0_14default_configENS1_25transform_config_selectorIlLb0EEEZNS1_14transform_implILb0ES3_S5_NS0_18transform_iteratorINS0_17counting_iteratorImlEEZNS1_24adjacent_difference_implIS3_Lb1ELb0EPlSB_ZN2at6native12_GLOBAL__N_124unique_dim_cuda_templateIbEESt5tupleIJNSC_6TensorESH_SH_EERKSH_lbbbEUlllE1_EE10hipError_tPvRmT2_T3_mT4_P12ihipStream_tbEUlmE_lEESB_NS0_8identityIvEEEESM_SP_SQ_mSR_ST_bEUlT_E_NS1_11comp_targetILNS1_3genE4ELNS1_11target_archE910ELNS1_3gpuE8ELNS1_3repE0EEENS1_30default_config_static_selectorELNS0_4arch9wavefront6targetE0EEEvT1_
                                        ; -- End function
	.section	.AMDGPU.csdata,"",@progbits
; Kernel info:
; codeLenInByte = 0
; NumSgprs: 0
; NumVgprs: 0
; ScratchSize: 0
; MemoryBound: 0
; FloatMode: 240
; IeeeMode: 1
; LDSByteSize: 0 bytes/workgroup (compile time only)
; SGPRBlocks: 0
; VGPRBlocks: 0
; NumSGPRsForWavesPerEU: 1
; NumVGPRsForWavesPerEU: 1
; Occupancy: 16
; WaveLimiterHint : 0
; COMPUTE_PGM_RSRC2:SCRATCH_EN: 0
; COMPUTE_PGM_RSRC2:USER_SGPR: 15
; COMPUTE_PGM_RSRC2:TRAP_HANDLER: 0
; COMPUTE_PGM_RSRC2:TGID_X_EN: 1
; COMPUTE_PGM_RSRC2:TGID_Y_EN: 0
; COMPUTE_PGM_RSRC2:TGID_Z_EN: 0
; COMPUTE_PGM_RSRC2:TIDIG_COMP_CNT: 0
	.section	.text._ZN7rocprim17ROCPRIM_400000_NS6detail17trampoline_kernelINS0_14default_configENS1_25transform_config_selectorIlLb0EEEZNS1_14transform_implILb0ES3_S5_NS0_18transform_iteratorINS0_17counting_iteratorImlEEZNS1_24adjacent_difference_implIS3_Lb1ELb0EPlSB_ZN2at6native12_GLOBAL__N_124unique_dim_cuda_templateIbEESt5tupleIJNSC_6TensorESH_SH_EERKSH_lbbbEUlllE1_EE10hipError_tPvRmT2_T3_mT4_P12ihipStream_tbEUlmE_lEESB_NS0_8identityIvEEEESM_SP_SQ_mSR_ST_bEUlT_E_NS1_11comp_targetILNS1_3genE3ELNS1_11target_archE908ELNS1_3gpuE7ELNS1_3repE0EEENS1_30default_config_static_selectorELNS0_4arch9wavefront6targetE0EEEvT1_,"axG",@progbits,_ZN7rocprim17ROCPRIM_400000_NS6detail17trampoline_kernelINS0_14default_configENS1_25transform_config_selectorIlLb0EEEZNS1_14transform_implILb0ES3_S5_NS0_18transform_iteratorINS0_17counting_iteratorImlEEZNS1_24adjacent_difference_implIS3_Lb1ELb0EPlSB_ZN2at6native12_GLOBAL__N_124unique_dim_cuda_templateIbEESt5tupleIJNSC_6TensorESH_SH_EERKSH_lbbbEUlllE1_EE10hipError_tPvRmT2_T3_mT4_P12ihipStream_tbEUlmE_lEESB_NS0_8identityIvEEEESM_SP_SQ_mSR_ST_bEUlT_E_NS1_11comp_targetILNS1_3genE3ELNS1_11target_archE908ELNS1_3gpuE7ELNS1_3repE0EEENS1_30default_config_static_selectorELNS0_4arch9wavefront6targetE0EEEvT1_,comdat
	.globl	_ZN7rocprim17ROCPRIM_400000_NS6detail17trampoline_kernelINS0_14default_configENS1_25transform_config_selectorIlLb0EEEZNS1_14transform_implILb0ES3_S5_NS0_18transform_iteratorINS0_17counting_iteratorImlEEZNS1_24adjacent_difference_implIS3_Lb1ELb0EPlSB_ZN2at6native12_GLOBAL__N_124unique_dim_cuda_templateIbEESt5tupleIJNSC_6TensorESH_SH_EERKSH_lbbbEUlllE1_EE10hipError_tPvRmT2_T3_mT4_P12ihipStream_tbEUlmE_lEESB_NS0_8identityIvEEEESM_SP_SQ_mSR_ST_bEUlT_E_NS1_11comp_targetILNS1_3genE3ELNS1_11target_archE908ELNS1_3gpuE7ELNS1_3repE0EEENS1_30default_config_static_selectorELNS0_4arch9wavefront6targetE0EEEvT1_ ; -- Begin function _ZN7rocprim17ROCPRIM_400000_NS6detail17trampoline_kernelINS0_14default_configENS1_25transform_config_selectorIlLb0EEEZNS1_14transform_implILb0ES3_S5_NS0_18transform_iteratorINS0_17counting_iteratorImlEEZNS1_24adjacent_difference_implIS3_Lb1ELb0EPlSB_ZN2at6native12_GLOBAL__N_124unique_dim_cuda_templateIbEESt5tupleIJNSC_6TensorESH_SH_EERKSH_lbbbEUlllE1_EE10hipError_tPvRmT2_T3_mT4_P12ihipStream_tbEUlmE_lEESB_NS0_8identityIvEEEESM_SP_SQ_mSR_ST_bEUlT_E_NS1_11comp_targetILNS1_3genE3ELNS1_11target_archE908ELNS1_3gpuE7ELNS1_3repE0EEENS1_30default_config_static_selectorELNS0_4arch9wavefront6targetE0EEEvT1_
	.p2align	8
	.type	_ZN7rocprim17ROCPRIM_400000_NS6detail17trampoline_kernelINS0_14default_configENS1_25transform_config_selectorIlLb0EEEZNS1_14transform_implILb0ES3_S5_NS0_18transform_iteratorINS0_17counting_iteratorImlEEZNS1_24adjacent_difference_implIS3_Lb1ELb0EPlSB_ZN2at6native12_GLOBAL__N_124unique_dim_cuda_templateIbEESt5tupleIJNSC_6TensorESH_SH_EERKSH_lbbbEUlllE1_EE10hipError_tPvRmT2_T3_mT4_P12ihipStream_tbEUlmE_lEESB_NS0_8identityIvEEEESM_SP_SQ_mSR_ST_bEUlT_E_NS1_11comp_targetILNS1_3genE3ELNS1_11target_archE908ELNS1_3gpuE7ELNS1_3repE0EEENS1_30default_config_static_selectorELNS0_4arch9wavefront6targetE0EEEvT1_,@function
_ZN7rocprim17ROCPRIM_400000_NS6detail17trampoline_kernelINS0_14default_configENS1_25transform_config_selectorIlLb0EEEZNS1_14transform_implILb0ES3_S5_NS0_18transform_iteratorINS0_17counting_iteratorImlEEZNS1_24adjacent_difference_implIS3_Lb1ELb0EPlSB_ZN2at6native12_GLOBAL__N_124unique_dim_cuda_templateIbEESt5tupleIJNSC_6TensorESH_SH_EERKSH_lbbbEUlllE1_EE10hipError_tPvRmT2_T3_mT4_P12ihipStream_tbEUlmE_lEESB_NS0_8identityIvEEEESM_SP_SQ_mSR_ST_bEUlT_E_NS1_11comp_targetILNS1_3genE3ELNS1_11target_archE908ELNS1_3gpuE7ELNS1_3repE0EEENS1_30default_config_static_selectorELNS0_4arch9wavefront6targetE0EEEvT1_: ; @_ZN7rocprim17ROCPRIM_400000_NS6detail17trampoline_kernelINS0_14default_configENS1_25transform_config_selectorIlLb0EEEZNS1_14transform_implILb0ES3_S5_NS0_18transform_iteratorINS0_17counting_iteratorImlEEZNS1_24adjacent_difference_implIS3_Lb1ELb0EPlSB_ZN2at6native12_GLOBAL__N_124unique_dim_cuda_templateIbEESt5tupleIJNSC_6TensorESH_SH_EERKSH_lbbbEUlllE1_EE10hipError_tPvRmT2_T3_mT4_P12ihipStream_tbEUlmE_lEESB_NS0_8identityIvEEEESM_SP_SQ_mSR_ST_bEUlT_E_NS1_11comp_targetILNS1_3genE3ELNS1_11target_archE908ELNS1_3gpuE7ELNS1_3repE0EEENS1_30default_config_static_selectorELNS0_4arch9wavefront6targetE0EEEvT1_
; %bb.0:
	.section	.rodata,"a",@progbits
	.p2align	6, 0x0
	.amdhsa_kernel _ZN7rocprim17ROCPRIM_400000_NS6detail17trampoline_kernelINS0_14default_configENS1_25transform_config_selectorIlLb0EEEZNS1_14transform_implILb0ES3_S5_NS0_18transform_iteratorINS0_17counting_iteratorImlEEZNS1_24adjacent_difference_implIS3_Lb1ELb0EPlSB_ZN2at6native12_GLOBAL__N_124unique_dim_cuda_templateIbEESt5tupleIJNSC_6TensorESH_SH_EERKSH_lbbbEUlllE1_EE10hipError_tPvRmT2_T3_mT4_P12ihipStream_tbEUlmE_lEESB_NS0_8identityIvEEEESM_SP_SQ_mSR_ST_bEUlT_E_NS1_11comp_targetILNS1_3genE3ELNS1_11target_archE908ELNS1_3gpuE7ELNS1_3repE0EEENS1_30default_config_static_selectorELNS0_4arch9wavefront6targetE0EEEvT1_
		.amdhsa_group_segment_fixed_size 0
		.amdhsa_private_segment_fixed_size 0
		.amdhsa_kernarg_size 56
		.amdhsa_user_sgpr_count 15
		.amdhsa_user_sgpr_dispatch_ptr 0
		.amdhsa_user_sgpr_queue_ptr 0
		.amdhsa_user_sgpr_kernarg_segment_ptr 1
		.amdhsa_user_sgpr_dispatch_id 0
		.amdhsa_user_sgpr_private_segment_size 0
		.amdhsa_wavefront_size32 1
		.amdhsa_uses_dynamic_stack 0
		.amdhsa_enable_private_segment 0
		.amdhsa_system_sgpr_workgroup_id_x 1
		.amdhsa_system_sgpr_workgroup_id_y 0
		.amdhsa_system_sgpr_workgroup_id_z 0
		.amdhsa_system_sgpr_workgroup_info 0
		.amdhsa_system_vgpr_workitem_id 0
		.amdhsa_next_free_vgpr 1
		.amdhsa_next_free_sgpr 1
		.amdhsa_reserve_vcc 0
		.amdhsa_float_round_mode_32 0
		.amdhsa_float_round_mode_16_64 0
		.amdhsa_float_denorm_mode_32 3
		.amdhsa_float_denorm_mode_16_64 3
		.amdhsa_dx10_clamp 1
		.amdhsa_ieee_mode 1
		.amdhsa_fp16_overflow 0
		.amdhsa_workgroup_processor_mode 1
		.amdhsa_memory_ordered 1
		.amdhsa_forward_progress 0
		.amdhsa_shared_vgpr_count 0
		.amdhsa_exception_fp_ieee_invalid_op 0
		.amdhsa_exception_fp_denorm_src 0
		.amdhsa_exception_fp_ieee_div_zero 0
		.amdhsa_exception_fp_ieee_overflow 0
		.amdhsa_exception_fp_ieee_underflow 0
		.amdhsa_exception_fp_ieee_inexact 0
		.amdhsa_exception_int_div_zero 0
	.end_amdhsa_kernel
	.section	.text._ZN7rocprim17ROCPRIM_400000_NS6detail17trampoline_kernelINS0_14default_configENS1_25transform_config_selectorIlLb0EEEZNS1_14transform_implILb0ES3_S5_NS0_18transform_iteratorINS0_17counting_iteratorImlEEZNS1_24adjacent_difference_implIS3_Lb1ELb0EPlSB_ZN2at6native12_GLOBAL__N_124unique_dim_cuda_templateIbEESt5tupleIJNSC_6TensorESH_SH_EERKSH_lbbbEUlllE1_EE10hipError_tPvRmT2_T3_mT4_P12ihipStream_tbEUlmE_lEESB_NS0_8identityIvEEEESM_SP_SQ_mSR_ST_bEUlT_E_NS1_11comp_targetILNS1_3genE3ELNS1_11target_archE908ELNS1_3gpuE7ELNS1_3repE0EEENS1_30default_config_static_selectorELNS0_4arch9wavefront6targetE0EEEvT1_,"axG",@progbits,_ZN7rocprim17ROCPRIM_400000_NS6detail17trampoline_kernelINS0_14default_configENS1_25transform_config_selectorIlLb0EEEZNS1_14transform_implILb0ES3_S5_NS0_18transform_iteratorINS0_17counting_iteratorImlEEZNS1_24adjacent_difference_implIS3_Lb1ELb0EPlSB_ZN2at6native12_GLOBAL__N_124unique_dim_cuda_templateIbEESt5tupleIJNSC_6TensorESH_SH_EERKSH_lbbbEUlllE1_EE10hipError_tPvRmT2_T3_mT4_P12ihipStream_tbEUlmE_lEESB_NS0_8identityIvEEEESM_SP_SQ_mSR_ST_bEUlT_E_NS1_11comp_targetILNS1_3genE3ELNS1_11target_archE908ELNS1_3gpuE7ELNS1_3repE0EEENS1_30default_config_static_selectorELNS0_4arch9wavefront6targetE0EEEvT1_,comdat
.Lfunc_end1037:
	.size	_ZN7rocprim17ROCPRIM_400000_NS6detail17trampoline_kernelINS0_14default_configENS1_25transform_config_selectorIlLb0EEEZNS1_14transform_implILb0ES3_S5_NS0_18transform_iteratorINS0_17counting_iteratorImlEEZNS1_24adjacent_difference_implIS3_Lb1ELb0EPlSB_ZN2at6native12_GLOBAL__N_124unique_dim_cuda_templateIbEESt5tupleIJNSC_6TensorESH_SH_EERKSH_lbbbEUlllE1_EE10hipError_tPvRmT2_T3_mT4_P12ihipStream_tbEUlmE_lEESB_NS0_8identityIvEEEESM_SP_SQ_mSR_ST_bEUlT_E_NS1_11comp_targetILNS1_3genE3ELNS1_11target_archE908ELNS1_3gpuE7ELNS1_3repE0EEENS1_30default_config_static_selectorELNS0_4arch9wavefront6targetE0EEEvT1_, .Lfunc_end1037-_ZN7rocprim17ROCPRIM_400000_NS6detail17trampoline_kernelINS0_14default_configENS1_25transform_config_selectorIlLb0EEEZNS1_14transform_implILb0ES3_S5_NS0_18transform_iteratorINS0_17counting_iteratorImlEEZNS1_24adjacent_difference_implIS3_Lb1ELb0EPlSB_ZN2at6native12_GLOBAL__N_124unique_dim_cuda_templateIbEESt5tupleIJNSC_6TensorESH_SH_EERKSH_lbbbEUlllE1_EE10hipError_tPvRmT2_T3_mT4_P12ihipStream_tbEUlmE_lEESB_NS0_8identityIvEEEESM_SP_SQ_mSR_ST_bEUlT_E_NS1_11comp_targetILNS1_3genE3ELNS1_11target_archE908ELNS1_3gpuE7ELNS1_3repE0EEENS1_30default_config_static_selectorELNS0_4arch9wavefront6targetE0EEEvT1_
                                        ; -- End function
	.section	.AMDGPU.csdata,"",@progbits
; Kernel info:
; codeLenInByte = 0
; NumSgprs: 0
; NumVgprs: 0
; ScratchSize: 0
; MemoryBound: 0
; FloatMode: 240
; IeeeMode: 1
; LDSByteSize: 0 bytes/workgroup (compile time only)
; SGPRBlocks: 0
; VGPRBlocks: 0
; NumSGPRsForWavesPerEU: 1
; NumVGPRsForWavesPerEU: 1
; Occupancy: 16
; WaveLimiterHint : 0
; COMPUTE_PGM_RSRC2:SCRATCH_EN: 0
; COMPUTE_PGM_RSRC2:USER_SGPR: 15
; COMPUTE_PGM_RSRC2:TRAP_HANDLER: 0
; COMPUTE_PGM_RSRC2:TGID_X_EN: 1
; COMPUTE_PGM_RSRC2:TGID_Y_EN: 0
; COMPUTE_PGM_RSRC2:TGID_Z_EN: 0
; COMPUTE_PGM_RSRC2:TIDIG_COMP_CNT: 0
	.section	.text._ZN7rocprim17ROCPRIM_400000_NS6detail17trampoline_kernelINS0_14default_configENS1_25transform_config_selectorIlLb0EEEZNS1_14transform_implILb0ES3_S5_NS0_18transform_iteratorINS0_17counting_iteratorImlEEZNS1_24adjacent_difference_implIS3_Lb1ELb0EPlSB_ZN2at6native12_GLOBAL__N_124unique_dim_cuda_templateIbEESt5tupleIJNSC_6TensorESH_SH_EERKSH_lbbbEUlllE1_EE10hipError_tPvRmT2_T3_mT4_P12ihipStream_tbEUlmE_lEESB_NS0_8identityIvEEEESM_SP_SQ_mSR_ST_bEUlT_E_NS1_11comp_targetILNS1_3genE2ELNS1_11target_archE906ELNS1_3gpuE6ELNS1_3repE0EEENS1_30default_config_static_selectorELNS0_4arch9wavefront6targetE0EEEvT1_,"axG",@progbits,_ZN7rocprim17ROCPRIM_400000_NS6detail17trampoline_kernelINS0_14default_configENS1_25transform_config_selectorIlLb0EEEZNS1_14transform_implILb0ES3_S5_NS0_18transform_iteratorINS0_17counting_iteratorImlEEZNS1_24adjacent_difference_implIS3_Lb1ELb0EPlSB_ZN2at6native12_GLOBAL__N_124unique_dim_cuda_templateIbEESt5tupleIJNSC_6TensorESH_SH_EERKSH_lbbbEUlllE1_EE10hipError_tPvRmT2_T3_mT4_P12ihipStream_tbEUlmE_lEESB_NS0_8identityIvEEEESM_SP_SQ_mSR_ST_bEUlT_E_NS1_11comp_targetILNS1_3genE2ELNS1_11target_archE906ELNS1_3gpuE6ELNS1_3repE0EEENS1_30default_config_static_selectorELNS0_4arch9wavefront6targetE0EEEvT1_,comdat
	.globl	_ZN7rocprim17ROCPRIM_400000_NS6detail17trampoline_kernelINS0_14default_configENS1_25transform_config_selectorIlLb0EEEZNS1_14transform_implILb0ES3_S5_NS0_18transform_iteratorINS0_17counting_iteratorImlEEZNS1_24adjacent_difference_implIS3_Lb1ELb0EPlSB_ZN2at6native12_GLOBAL__N_124unique_dim_cuda_templateIbEESt5tupleIJNSC_6TensorESH_SH_EERKSH_lbbbEUlllE1_EE10hipError_tPvRmT2_T3_mT4_P12ihipStream_tbEUlmE_lEESB_NS0_8identityIvEEEESM_SP_SQ_mSR_ST_bEUlT_E_NS1_11comp_targetILNS1_3genE2ELNS1_11target_archE906ELNS1_3gpuE6ELNS1_3repE0EEENS1_30default_config_static_selectorELNS0_4arch9wavefront6targetE0EEEvT1_ ; -- Begin function _ZN7rocprim17ROCPRIM_400000_NS6detail17trampoline_kernelINS0_14default_configENS1_25transform_config_selectorIlLb0EEEZNS1_14transform_implILb0ES3_S5_NS0_18transform_iteratorINS0_17counting_iteratorImlEEZNS1_24adjacent_difference_implIS3_Lb1ELb0EPlSB_ZN2at6native12_GLOBAL__N_124unique_dim_cuda_templateIbEESt5tupleIJNSC_6TensorESH_SH_EERKSH_lbbbEUlllE1_EE10hipError_tPvRmT2_T3_mT4_P12ihipStream_tbEUlmE_lEESB_NS0_8identityIvEEEESM_SP_SQ_mSR_ST_bEUlT_E_NS1_11comp_targetILNS1_3genE2ELNS1_11target_archE906ELNS1_3gpuE6ELNS1_3repE0EEENS1_30default_config_static_selectorELNS0_4arch9wavefront6targetE0EEEvT1_
	.p2align	8
	.type	_ZN7rocprim17ROCPRIM_400000_NS6detail17trampoline_kernelINS0_14default_configENS1_25transform_config_selectorIlLb0EEEZNS1_14transform_implILb0ES3_S5_NS0_18transform_iteratorINS0_17counting_iteratorImlEEZNS1_24adjacent_difference_implIS3_Lb1ELb0EPlSB_ZN2at6native12_GLOBAL__N_124unique_dim_cuda_templateIbEESt5tupleIJNSC_6TensorESH_SH_EERKSH_lbbbEUlllE1_EE10hipError_tPvRmT2_T3_mT4_P12ihipStream_tbEUlmE_lEESB_NS0_8identityIvEEEESM_SP_SQ_mSR_ST_bEUlT_E_NS1_11comp_targetILNS1_3genE2ELNS1_11target_archE906ELNS1_3gpuE6ELNS1_3repE0EEENS1_30default_config_static_selectorELNS0_4arch9wavefront6targetE0EEEvT1_,@function
_ZN7rocprim17ROCPRIM_400000_NS6detail17trampoline_kernelINS0_14default_configENS1_25transform_config_selectorIlLb0EEEZNS1_14transform_implILb0ES3_S5_NS0_18transform_iteratorINS0_17counting_iteratorImlEEZNS1_24adjacent_difference_implIS3_Lb1ELb0EPlSB_ZN2at6native12_GLOBAL__N_124unique_dim_cuda_templateIbEESt5tupleIJNSC_6TensorESH_SH_EERKSH_lbbbEUlllE1_EE10hipError_tPvRmT2_T3_mT4_P12ihipStream_tbEUlmE_lEESB_NS0_8identityIvEEEESM_SP_SQ_mSR_ST_bEUlT_E_NS1_11comp_targetILNS1_3genE2ELNS1_11target_archE906ELNS1_3gpuE6ELNS1_3repE0EEENS1_30default_config_static_selectorELNS0_4arch9wavefront6targetE0EEEvT1_: ; @_ZN7rocprim17ROCPRIM_400000_NS6detail17trampoline_kernelINS0_14default_configENS1_25transform_config_selectorIlLb0EEEZNS1_14transform_implILb0ES3_S5_NS0_18transform_iteratorINS0_17counting_iteratorImlEEZNS1_24adjacent_difference_implIS3_Lb1ELb0EPlSB_ZN2at6native12_GLOBAL__N_124unique_dim_cuda_templateIbEESt5tupleIJNSC_6TensorESH_SH_EERKSH_lbbbEUlllE1_EE10hipError_tPvRmT2_T3_mT4_P12ihipStream_tbEUlmE_lEESB_NS0_8identityIvEEEESM_SP_SQ_mSR_ST_bEUlT_E_NS1_11comp_targetILNS1_3genE2ELNS1_11target_archE906ELNS1_3gpuE6ELNS1_3repE0EEENS1_30default_config_static_selectorELNS0_4arch9wavefront6targetE0EEEvT1_
; %bb.0:
	.section	.rodata,"a",@progbits
	.p2align	6, 0x0
	.amdhsa_kernel _ZN7rocprim17ROCPRIM_400000_NS6detail17trampoline_kernelINS0_14default_configENS1_25transform_config_selectorIlLb0EEEZNS1_14transform_implILb0ES3_S5_NS0_18transform_iteratorINS0_17counting_iteratorImlEEZNS1_24adjacent_difference_implIS3_Lb1ELb0EPlSB_ZN2at6native12_GLOBAL__N_124unique_dim_cuda_templateIbEESt5tupleIJNSC_6TensorESH_SH_EERKSH_lbbbEUlllE1_EE10hipError_tPvRmT2_T3_mT4_P12ihipStream_tbEUlmE_lEESB_NS0_8identityIvEEEESM_SP_SQ_mSR_ST_bEUlT_E_NS1_11comp_targetILNS1_3genE2ELNS1_11target_archE906ELNS1_3gpuE6ELNS1_3repE0EEENS1_30default_config_static_selectorELNS0_4arch9wavefront6targetE0EEEvT1_
		.amdhsa_group_segment_fixed_size 0
		.amdhsa_private_segment_fixed_size 0
		.amdhsa_kernarg_size 56
		.amdhsa_user_sgpr_count 15
		.amdhsa_user_sgpr_dispatch_ptr 0
		.amdhsa_user_sgpr_queue_ptr 0
		.amdhsa_user_sgpr_kernarg_segment_ptr 1
		.amdhsa_user_sgpr_dispatch_id 0
		.amdhsa_user_sgpr_private_segment_size 0
		.amdhsa_wavefront_size32 1
		.amdhsa_uses_dynamic_stack 0
		.amdhsa_enable_private_segment 0
		.amdhsa_system_sgpr_workgroup_id_x 1
		.amdhsa_system_sgpr_workgroup_id_y 0
		.amdhsa_system_sgpr_workgroup_id_z 0
		.amdhsa_system_sgpr_workgroup_info 0
		.amdhsa_system_vgpr_workitem_id 0
		.amdhsa_next_free_vgpr 1
		.amdhsa_next_free_sgpr 1
		.amdhsa_reserve_vcc 0
		.amdhsa_float_round_mode_32 0
		.amdhsa_float_round_mode_16_64 0
		.amdhsa_float_denorm_mode_32 3
		.amdhsa_float_denorm_mode_16_64 3
		.amdhsa_dx10_clamp 1
		.amdhsa_ieee_mode 1
		.amdhsa_fp16_overflow 0
		.amdhsa_workgroup_processor_mode 1
		.amdhsa_memory_ordered 1
		.amdhsa_forward_progress 0
		.amdhsa_shared_vgpr_count 0
		.amdhsa_exception_fp_ieee_invalid_op 0
		.amdhsa_exception_fp_denorm_src 0
		.amdhsa_exception_fp_ieee_div_zero 0
		.amdhsa_exception_fp_ieee_overflow 0
		.amdhsa_exception_fp_ieee_underflow 0
		.amdhsa_exception_fp_ieee_inexact 0
		.amdhsa_exception_int_div_zero 0
	.end_amdhsa_kernel
	.section	.text._ZN7rocprim17ROCPRIM_400000_NS6detail17trampoline_kernelINS0_14default_configENS1_25transform_config_selectorIlLb0EEEZNS1_14transform_implILb0ES3_S5_NS0_18transform_iteratorINS0_17counting_iteratorImlEEZNS1_24adjacent_difference_implIS3_Lb1ELb0EPlSB_ZN2at6native12_GLOBAL__N_124unique_dim_cuda_templateIbEESt5tupleIJNSC_6TensorESH_SH_EERKSH_lbbbEUlllE1_EE10hipError_tPvRmT2_T3_mT4_P12ihipStream_tbEUlmE_lEESB_NS0_8identityIvEEEESM_SP_SQ_mSR_ST_bEUlT_E_NS1_11comp_targetILNS1_3genE2ELNS1_11target_archE906ELNS1_3gpuE6ELNS1_3repE0EEENS1_30default_config_static_selectorELNS0_4arch9wavefront6targetE0EEEvT1_,"axG",@progbits,_ZN7rocprim17ROCPRIM_400000_NS6detail17trampoline_kernelINS0_14default_configENS1_25transform_config_selectorIlLb0EEEZNS1_14transform_implILb0ES3_S5_NS0_18transform_iteratorINS0_17counting_iteratorImlEEZNS1_24adjacent_difference_implIS3_Lb1ELb0EPlSB_ZN2at6native12_GLOBAL__N_124unique_dim_cuda_templateIbEESt5tupleIJNSC_6TensorESH_SH_EERKSH_lbbbEUlllE1_EE10hipError_tPvRmT2_T3_mT4_P12ihipStream_tbEUlmE_lEESB_NS0_8identityIvEEEESM_SP_SQ_mSR_ST_bEUlT_E_NS1_11comp_targetILNS1_3genE2ELNS1_11target_archE906ELNS1_3gpuE6ELNS1_3repE0EEENS1_30default_config_static_selectorELNS0_4arch9wavefront6targetE0EEEvT1_,comdat
.Lfunc_end1038:
	.size	_ZN7rocprim17ROCPRIM_400000_NS6detail17trampoline_kernelINS0_14default_configENS1_25transform_config_selectorIlLb0EEEZNS1_14transform_implILb0ES3_S5_NS0_18transform_iteratorINS0_17counting_iteratorImlEEZNS1_24adjacent_difference_implIS3_Lb1ELb0EPlSB_ZN2at6native12_GLOBAL__N_124unique_dim_cuda_templateIbEESt5tupleIJNSC_6TensorESH_SH_EERKSH_lbbbEUlllE1_EE10hipError_tPvRmT2_T3_mT4_P12ihipStream_tbEUlmE_lEESB_NS0_8identityIvEEEESM_SP_SQ_mSR_ST_bEUlT_E_NS1_11comp_targetILNS1_3genE2ELNS1_11target_archE906ELNS1_3gpuE6ELNS1_3repE0EEENS1_30default_config_static_selectorELNS0_4arch9wavefront6targetE0EEEvT1_, .Lfunc_end1038-_ZN7rocprim17ROCPRIM_400000_NS6detail17trampoline_kernelINS0_14default_configENS1_25transform_config_selectorIlLb0EEEZNS1_14transform_implILb0ES3_S5_NS0_18transform_iteratorINS0_17counting_iteratorImlEEZNS1_24adjacent_difference_implIS3_Lb1ELb0EPlSB_ZN2at6native12_GLOBAL__N_124unique_dim_cuda_templateIbEESt5tupleIJNSC_6TensorESH_SH_EERKSH_lbbbEUlllE1_EE10hipError_tPvRmT2_T3_mT4_P12ihipStream_tbEUlmE_lEESB_NS0_8identityIvEEEESM_SP_SQ_mSR_ST_bEUlT_E_NS1_11comp_targetILNS1_3genE2ELNS1_11target_archE906ELNS1_3gpuE6ELNS1_3repE0EEENS1_30default_config_static_selectorELNS0_4arch9wavefront6targetE0EEEvT1_
                                        ; -- End function
	.section	.AMDGPU.csdata,"",@progbits
; Kernel info:
; codeLenInByte = 0
; NumSgprs: 0
; NumVgprs: 0
; ScratchSize: 0
; MemoryBound: 0
; FloatMode: 240
; IeeeMode: 1
; LDSByteSize: 0 bytes/workgroup (compile time only)
; SGPRBlocks: 0
; VGPRBlocks: 0
; NumSGPRsForWavesPerEU: 1
; NumVGPRsForWavesPerEU: 1
; Occupancy: 16
; WaveLimiterHint : 0
; COMPUTE_PGM_RSRC2:SCRATCH_EN: 0
; COMPUTE_PGM_RSRC2:USER_SGPR: 15
; COMPUTE_PGM_RSRC2:TRAP_HANDLER: 0
; COMPUTE_PGM_RSRC2:TGID_X_EN: 1
; COMPUTE_PGM_RSRC2:TGID_Y_EN: 0
; COMPUTE_PGM_RSRC2:TGID_Z_EN: 0
; COMPUTE_PGM_RSRC2:TIDIG_COMP_CNT: 0
	.section	.text._ZN7rocprim17ROCPRIM_400000_NS6detail17trampoline_kernelINS0_14default_configENS1_25transform_config_selectorIlLb0EEEZNS1_14transform_implILb0ES3_S5_NS0_18transform_iteratorINS0_17counting_iteratorImlEEZNS1_24adjacent_difference_implIS3_Lb1ELb0EPlSB_ZN2at6native12_GLOBAL__N_124unique_dim_cuda_templateIbEESt5tupleIJNSC_6TensorESH_SH_EERKSH_lbbbEUlllE1_EE10hipError_tPvRmT2_T3_mT4_P12ihipStream_tbEUlmE_lEESB_NS0_8identityIvEEEESM_SP_SQ_mSR_ST_bEUlT_E_NS1_11comp_targetILNS1_3genE10ELNS1_11target_archE1201ELNS1_3gpuE5ELNS1_3repE0EEENS1_30default_config_static_selectorELNS0_4arch9wavefront6targetE0EEEvT1_,"axG",@progbits,_ZN7rocprim17ROCPRIM_400000_NS6detail17trampoline_kernelINS0_14default_configENS1_25transform_config_selectorIlLb0EEEZNS1_14transform_implILb0ES3_S5_NS0_18transform_iteratorINS0_17counting_iteratorImlEEZNS1_24adjacent_difference_implIS3_Lb1ELb0EPlSB_ZN2at6native12_GLOBAL__N_124unique_dim_cuda_templateIbEESt5tupleIJNSC_6TensorESH_SH_EERKSH_lbbbEUlllE1_EE10hipError_tPvRmT2_T3_mT4_P12ihipStream_tbEUlmE_lEESB_NS0_8identityIvEEEESM_SP_SQ_mSR_ST_bEUlT_E_NS1_11comp_targetILNS1_3genE10ELNS1_11target_archE1201ELNS1_3gpuE5ELNS1_3repE0EEENS1_30default_config_static_selectorELNS0_4arch9wavefront6targetE0EEEvT1_,comdat
	.globl	_ZN7rocprim17ROCPRIM_400000_NS6detail17trampoline_kernelINS0_14default_configENS1_25transform_config_selectorIlLb0EEEZNS1_14transform_implILb0ES3_S5_NS0_18transform_iteratorINS0_17counting_iteratorImlEEZNS1_24adjacent_difference_implIS3_Lb1ELb0EPlSB_ZN2at6native12_GLOBAL__N_124unique_dim_cuda_templateIbEESt5tupleIJNSC_6TensorESH_SH_EERKSH_lbbbEUlllE1_EE10hipError_tPvRmT2_T3_mT4_P12ihipStream_tbEUlmE_lEESB_NS0_8identityIvEEEESM_SP_SQ_mSR_ST_bEUlT_E_NS1_11comp_targetILNS1_3genE10ELNS1_11target_archE1201ELNS1_3gpuE5ELNS1_3repE0EEENS1_30default_config_static_selectorELNS0_4arch9wavefront6targetE0EEEvT1_ ; -- Begin function _ZN7rocprim17ROCPRIM_400000_NS6detail17trampoline_kernelINS0_14default_configENS1_25transform_config_selectorIlLb0EEEZNS1_14transform_implILb0ES3_S5_NS0_18transform_iteratorINS0_17counting_iteratorImlEEZNS1_24adjacent_difference_implIS3_Lb1ELb0EPlSB_ZN2at6native12_GLOBAL__N_124unique_dim_cuda_templateIbEESt5tupleIJNSC_6TensorESH_SH_EERKSH_lbbbEUlllE1_EE10hipError_tPvRmT2_T3_mT4_P12ihipStream_tbEUlmE_lEESB_NS0_8identityIvEEEESM_SP_SQ_mSR_ST_bEUlT_E_NS1_11comp_targetILNS1_3genE10ELNS1_11target_archE1201ELNS1_3gpuE5ELNS1_3repE0EEENS1_30default_config_static_selectorELNS0_4arch9wavefront6targetE0EEEvT1_
	.p2align	8
	.type	_ZN7rocprim17ROCPRIM_400000_NS6detail17trampoline_kernelINS0_14default_configENS1_25transform_config_selectorIlLb0EEEZNS1_14transform_implILb0ES3_S5_NS0_18transform_iteratorINS0_17counting_iteratorImlEEZNS1_24adjacent_difference_implIS3_Lb1ELb0EPlSB_ZN2at6native12_GLOBAL__N_124unique_dim_cuda_templateIbEESt5tupleIJNSC_6TensorESH_SH_EERKSH_lbbbEUlllE1_EE10hipError_tPvRmT2_T3_mT4_P12ihipStream_tbEUlmE_lEESB_NS0_8identityIvEEEESM_SP_SQ_mSR_ST_bEUlT_E_NS1_11comp_targetILNS1_3genE10ELNS1_11target_archE1201ELNS1_3gpuE5ELNS1_3repE0EEENS1_30default_config_static_selectorELNS0_4arch9wavefront6targetE0EEEvT1_,@function
_ZN7rocprim17ROCPRIM_400000_NS6detail17trampoline_kernelINS0_14default_configENS1_25transform_config_selectorIlLb0EEEZNS1_14transform_implILb0ES3_S5_NS0_18transform_iteratorINS0_17counting_iteratorImlEEZNS1_24adjacent_difference_implIS3_Lb1ELb0EPlSB_ZN2at6native12_GLOBAL__N_124unique_dim_cuda_templateIbEESt5tupleIJNSC_6TensorESH_SH_EERKSH_lbbbEUlllE1_EE10hipError_tPvRmT2_T3_mT4_P12ihipStream_tbEUlmE_lEESB_NS0_8identityIvEEEESM_SP_SQ_mSR_ST_bEUlT_E_NS1_11comp_targetILNS1_3genE10ELNS1_11target_archE1201ELNS1_3gpuE5ELNS1_3repE0EEENS1_30default_config_static_selectorELNS0_4arch9wavefront6targetE0EEEvT1_: ; @_ZN7rocprim17ROCPRIM_400000_NS6detail17trampoline_kernelINS0_14default_configENS1_25transform_config_selectorIlLb0EEEZNS1_14transform_implILb0ES3_S5_NS0_18transform_iteratorINS0_17counting_iteratorImlEEZNS1_24adjacent_difference_implIS3_Lb1ELb0EPlSB_ZN2at6native12_GLOBAL__N_124unique_dim_cuda_templateIbEESt5tupleIJNSC_6TensorESH_SH_EERKSH_lbbbEUlllE1_EE10hipError_tPvRmT2_T3_mT4_P12ihipStream_tbEUlmE_lEESB_NS0_8identityIvEEEESM_SP_SQ_mSR_ST_bEUlT_E_NS1_11comp_targetILNS1_3genE10ELNS1_11target_archE1201ELNS1_3gpuE5ELNS1_3repE0EEENS1_30default_config_static_selectorELNS0_4arch9wavefront6targetE0EEEvT1_
; %bb.0:
	.section	.rodata,"a",@progbits
	.p2align	6, 0x0
	.amdhsa_kernel _ZN7rocprim17ROCPRIM_400000_NS6detail17trampoline_kernelINS0_14default_configENS1_25transform_config_selectorIlLb0EEEZNS1_14transform_implILb0ES3_S5_NS0_18transform_iteratorINS0_17counting_iteratorImlEEZNS1_24adjacent_difference_implIS3_Lb1ELb0EPlSB_ZN2at6native12_GLOBAL__N_124unique_dim_cuda_templateIbEESt5tupleIJNSC_6TensorESH_SH_EERKSH_lbbbEUlllE1_EE10hipError_tPvRmT2_T3_mT4_P12ihipStream_tbEUlmE_lEESB_NS0_8identityIvEEEESM_SP_SQ_mSR_ST_bEUlT_E_NS1_11comp_targetILNS1_3genE10ELNS1_11target_archE1201ELNS1_3gpuE5ELNS1_3repE0EEENS1_30default_config_static_selectorELNS0_4arch9wavefront6targetE0EEEvT1_
		.amdhsa_group_segment_fixed_size 0
		.amdhsa_private_segment_fixed_size 0
		.amdhsa_kernarg_size 56
		.amdhsa_user_sgpr_count 15
		.amdhsa_user_sgpr_dispatch_ptr 0
		.amdhsa_user_sgpr_queue_ptr 0
		.amdhsa_user_sgpr_kernarg_segment_ptr 1
		.amdhsa_user_sgpr_dispatch_id 0
		.amdhsa_user_sgpr_private_segment_size 0
		.amdhsa_wavefront_size32 1
		.amdhsa_uses_dynamic_stack 0
		.amdhsa_enable_private_segment 0
		.amdhsa_system_sgpr_workgroup_id_x 1
		.amdhsa_system_sgpr_workgroup_id_y 0
		.amdhsa_system_sgpr_workgroup_id_z 0
		.amdhsa_system_sgpr_workgroup_info 0
		.amdhsa_system_vgpr_workitem_id 0
		.amdhsa_next_free_vgpr 1
		.amdhsa_next_free_sgpr 1
		.amdhsa_reserve_vcc 0
		.amdhsa_float_round_mode_32 0
		.amdhsa_float_round_mode_16_64 0
		.amdhsa_float_denorm_mode_32 3
		.amdhsa_float_denorm_mode_16_64 3
		.amdhsa_dx10_clamp 1
		.amdhsa_ieee_mode 1
		.amdhsa_fp16_overflow 0
		.amdhsa_workgroup_processor_mode 1
		.amdhsa_memory_ordered 1
		.amdhsa_forward_progress 0
		.amdhsa_shared_vgpr_count 0
		.amdhsa_exception_fp_ieee_invalid_op 0
		.amdhsa_exception_fp_denorm_src 0
		.amdhsa_exception_fp_ieee_div_zero 0
		.amdhsa_exception_fp_ieee_overflow 0
		.amdhsa_exception_fp_ieee_underflow 0
		.amdhsa_exception_fp_ieee_inexact 0
		.amdhsa_exception_int_div_zero 0
	.end_amdhsa_kernel
	.section	.text._ZN7rocprim17ROCPRIM_400000_NS6detail17trampoline_kernelINS0_14default_configENS1_25transform_config_selectorIlLb0EEEZNS1_14transform_implILb0ES3_S5_NS0_18transform_iteratorINS0_17counting_iteratorImlEEZNS1_24adjacent_difference_implIS3_Lb1ELb0EPlSB_ZN2at6native12_GLOBAL__N_124unique_dim_cuda_templateIbEESt5tupleIJNSC_6TensorESH_SH_EERKSH_lbbbEUlllE1_EE10hipError_tPvRmT2_T3_mT4_P12ihipStream_tbEUlmE_lEESB_NS0_8identityIvEEEESM_SP_SQ_mSR_ST_bEUlT_E_NS1_11comp_targetILNS1_3genE10ELNS1_11target_archE1201ELNS1_3gpuE5ELNS1_3repE0EEENS1_30default_config_static_selectorELNS0_4arch9wavefront6targetE0EEEvT1_,"axG",@progbits,_ZN7rocprim17ROCPRIM_400000_NS6detail17trampoline_kernelINS0_14default_configENS1_25transform_config_selectorIlLb0EEEZNS1_14transform_implILb0ES3_S5_NS0_18transform_iteratorINS0_17counting_iteratorImlEEZNS1_24adjacent_difference_implIS3_Lb1ELb0EPlSB_ZN2at6native12_GLOBAL__N_124unique_dim_cuda_templateIbEESt5tupleIJNSC_6TensorESH_SH_EERKSH_lbbbEUlllE1_EE10hipError_tPvRmT2_T3_mT4_P12ihipStream_tbEUlmE_lEESB_NS0_8identityIvEEEESM_SP_SQ_mSR_ST_bEUlT_E_NS1_11comp_targetILNS1_3genE10ELNS1_11target_archE1201ELNS1_3gpuE5ELNS1_3repE0EEENS1_30default_config_static_selectorELNS0_4arch9wavefront6targetE0EEEvT1_,comdat
.Lfunc_end1039:
	.size	_ZN7rocprim17ROCPRIM_400000_NS6detail17trampoline_kernelINS0_14default_configENS1_25transform_config_selectorIlLb0EEEZNS1_14transform_implILb0ES3_S5_NS0_18transform_iteratorINS0_17counting_iteratorImlEEZNS1_24adjacent_difference_implIS3_Lb1ELb0EPlSB_ZN2at6native12_GLOBAL__N_124unique_dim_cuda_templateIbEESt5tupleIJNSC_6TensorESH_SH_EERKSH_lbbbEUlllE1_EE10hipError_tPvRmT2_T3_mT4_P12ihipStream_tbEUlmE_lEESB_NS0_8identityIvEEEESM_SP_SQ_mSR_ST_bEUlT_E_NS1_11comp_targetILNS1_3genE10ELNS1_11target_archE1201ELNS1_3gpuE5ELNS1_3repE0EEENS1_30default_config_static_selectorELNS0_4arch9wavefront6targetE0EEEvT1_, .Lfunc_end1039-_ZN7rocprim17ROCPRIM_400000_NS6detail17trampoline_kernelINS0_14default_configENS1_25transform_config_selectorIlLb0EEEZNS1_14transform_implILb0ES3_S5_NS0_18transform_iteratorINS0_17counting_iteratorImlEEZNS1_24adjacent_difference_implIS3_Lb1ELb0EPlSB_ZN2at6native12_GLOBAL__N_124unique_dim_cuda_templateIbEESt5tupleIJNSC_6TensorESH_SH_EERKSH_lbbbEUlllE1_EE10hipError_tPvRmT2_T3_mT4_P12ihipStream_tbEUlmE_lEESB_NS0_8identityIvEEEESM_SP_SQ_mSR_ST_bEUlT_E_NS1_11comp_targetILNS1_3genE10ELNS1_11target_archE1201ELNS1_3gpuE5ELNS1_3repE0EEENS1_30default_config_static_selectorELNS0_4arch9wavefront6targetE0EEEvT1_
                                        ; -- End function
	.section	.AMDGPU.csdata,"",@progbits
; Kernel info:
; codeLenInByte = 0
; NumSgprs: 0
; NumVgprs: 0
; ScratchSize: 0
; MemoryBound: 0
; FloatMode: 240
; IeeeMode: 1
; LDSByteSize: 0 bytes/workgroup (compile time only)
; SGPRBlocks: 0
; VGPRBlocks: 0
; NumSGPRsForWavesPerEU: 1
; NumVGPRsForWavesPerEU: 1
; Occupancy: 16
; WaveLimiterHint : 0
; COMPUTE_PGM_RSRC2:SCRATCH_EN: 0
; COMPUTE_PGM_RSRC2:USER_SGPR: 15
; COMPUTE_PGM_RSRC2:TRAP_HANDLER: 0
; COMPUTE_PGM_RSRC2:TGID_X_EN: 1
; COMPUTE_PGM_RSRC2:TGID_Y_EN: 0
; COMPUTE_PGM_RSRC2:TGID_Z_EN: 0
; COMPUTE_PGM_RSRC2:TIDIG_COMP_CNT: 0
	.section	.text._ZN7rocprim17ROCPRIM_400000_NS6detail17trampoline_kernelINS0_14default_configENS1_25transform_config_selectorIlLb0EEEZNS1_14transform_implILb0ES3_S5_NS0_18transform_iteratorINS0_17counting_iteratorImlEEZNS1_24adjacent_difference_implIS3_Lb1ELb0EPlSB_ZN2at6native12_GLOBAL__N_124unique_dim_cuda_templateIbEESt5tupleIJNSC_6TensorESH_SH_EERKSH_lbbbEUlllE1_EE10hipError_tPvRmT2_T3_mT4_P12ihipStream_tbEUlmE_lEESB_NS0_8identityIvEEEESM_SP_SQ_mSR_ST_bEUlT_E_NS1_11comp_targetILNS1_3genE10ELNS1_11target_archE1200ELNS1_3gpuE4ELNS1_3repE0EEENS1_30default_config_static_selectorELNS0_4arch9wavefront6targetE0EEEvT1_,"axG",@progbits,_ZN7rocprim17ROCPRIM_400000_NS6detail17trampoline_kernelINS0_14default_configENS1_25transform_config_selectorIlLb0EEEZNS1_14transform_implILb0ES3_S5_NS0_18transform_iteratorINS0_17counting_iteratorImlEEZNS1_24adjacent_difference_implIS3_Lb1ELb0EPlSB_ZN2at6native12_GLOBAL__N_124unique_dim_cuda_templateIbEESt5tupleIJNSC_6TensorESH_SH_EERKSH_lbbbEUlllE1_EE10hipError_tPvRmT2_T3_mT4_P12ihipStream_tbEUlmE_lEESB_NS0_8identityIvEEEESM_SP_SQ_mSR_ST_bEUlT_E_NS1_11comp_targetILNS1_3genE10ELNS1_11target_archE1200ELNS1_3gpuE4ELNS1_3repE0EEENS1_30default_config_static_selectorELNS0_4arch9wavefront6targetE0EEEvT1_,comdat
	.globl	_ZN7rocprim17ROCPRIM_400000_NS6detail17trampoline_kernelINS0_14default_configENS1_25transform_config_selectorIlLb0EEEZNS1_14transform_implILb0ES3_S5_NS0_18transform_iteratorINS0_17counting_iteratorImlEEZNS1_24adjacent_difference_implIS3_Lb1ELb0EPlSB_ZN2at6native12_GLOBAL__N_124unique_dim_cuda_templateIbEESt5tupleIJNSC_6TensorESH_SH_EERKSH_lbbbEUlllE1_EE10hipError_tPvRmT2_T3_mT4_P12ihipStream_tbEUlmE_lEESB_NS0_8identityIvEEEESM_SP_SQ_mSR_ST_bEUlT_E_NS1_11comp_targetILNS1_3genE10ELNS1_11target_archE1200ELNS1_3gpuE4ELNS1_3repE0EEENS1_30default_config_static_selectorELNS0_4arch9wavefront6targetE0EEEvT1_ ; -- Begin function _ZN7rocprim17ROCPRIM_400000_NS6detail17trampoline_kernelINS0_14default_configENS1_25transform_config_selectorIlLb0EEEZNS1_14transform_implILb0ES3_S5_NS0_18transform_iteratorINS0_17counting_iteratorImlEEZNS1_24adjacent_difference_implIS3_Lb1ELb0EPlSB_ZN2at6native12_GLOBAL__N_124unique_dim_cuda_templateIbEESt5tupleIJNSC_6TensorESH_SH_EERKSH_lbbbEUlllE1_EE10hipError_tPvRmT2_T3_mT4_P12ihipStream_tbEUlmE_lEESB_NS0_8identityIvEEEESM_SP_SQ_mSR_ST_bEUlT_E_NS1_11comp_targetILNS1_3genE10ELNS1_11target_archE1200ELNS1_3gpuE4ELNS1_3repE0EEENS1_30default_config_static_selectorELNS0_4arch9wavefront6targetE0EEEvT1_
	.p2align	8
	.type	_ZN7rocprim17ROCPRIM_400000_NS6detail17trampoline_kernelINS0_14default_configENS1_25transform_config_selectorIlLb0EEEZNS1_14transform_implILb0ES3_S5_NS0_18transform_iteratorINS0_17counting_iteratorImlEEZNS1_24adjacent_difference_implIS3_Lb1ELb0EPlSB_ZN2at6native12_GLOBAL__N_124unique_dim_cuda_templateIbEESt5tupleIJNSC_6TensorESH_SH_EERKSH_lbbbEUlllE1_EE10hipError_tPvRmT2_T3_mT4_P12ihipStream_tbEUlmE_lEESB_NS0_8identityIvEEEESM_SP_SQ_mSR_ST_bEUlT_E_NS1_11comp_targetILNS1_3genE10ELNS1_11target_archE1200ELNS1_3gpuE4ELNS1_3repE0EEENS1_30default_config_static_selectorELNS0_4arch9wavefront6targetE0EEEvT1_,@function
_ZN7rocprim17ROCPRIM_400000_NS6detail17trampoline_kernelINS0_14default_configENS1_25transform_config_selectorIlLb0EEEZNS1_14transform_implILb0ES3_S5_NS0_18transform_iteratorINS0_17counting_iteratorImlEEZNS1_24adjacent_difference_implIS3_Lb1ELb0EPlSB_ZN2at6native12_GLOBAL__N_124unique_dim_cuda_templateIbEESt5tupleIJNSC_6TensorESH_SH_EERKSH_lbbbEUlllE1_EE10hipError_tPvRmT2_T3_mT4_P12ihipStream_tbEUlmE_lEESB_NS0_8identityIvEEEESM_SP_SQ_mSR_ST_bEUlT_E_NS1_11comp_targetILNS1_3genE10ELNS1_11target_archE1200ELNS1_3gpuE4ELNS1_3repE0EEENS1_30default_config_static_selectorELNS0_4arch9wavefront6targetE0EEEvT1_: ; @_ZN7rocprim17ROCPRIM_400000_NS6detail17trampoline_kernelINS0_14default_configENS1_25transform_config_selectorIlLb0EEEZNS1_14transform_implILb0ES3_S5_NS0_18transform_iteratorINS0_17counting_iteratorImlEEZNS1_24adjacent_difference_implIS3_Lb1ELb0EPlSB_ZN2at6native12_GLOBAL__N_124unique_dim_cuda_templateIbEESt5tupleIJNSC_6TensorESH_SH_EERKSH_lbbbEUlllE1_EE10hipError_tPvRmT2_T3_mT4_P12ihipStream_tbEUlmE_lEESB_NS0_8identityIvEEEESM_SP_SQ_mSR_ST_bEUlT_E_NS1_11comp_targetILNS1_3genE10ELNS1_11target_archE1200ELNS1_3gpuE4ELNS1_3repE0EEENS1_30default_config_static_selectorELNS0_4arch9wavefront6targetE0EEEvT1_
; %bb.0:
	.section	.rodata,"a",@progbits
	.p2align	6, 0x0
	.amdhsa_kernel _ZN7rocprim17ROCPRIM_400000_NS6detail17trampoline_kernelINS0_14default_configENS1_25transform_config_selectorIlLb0EEEZNS1_14transform_implILb0ES3_S5_NS0_18transform_iteratorINS0_17counting_iteratorImlEEZNS1_24adjacent_difference_implIS3_Lb1ELb0EPlSB_ZN2at6native12_GLOBAL__N_124unique_dim_cuda_templateIbEESt5tupleIJNSC_6TensorESH_SH_EERKSH_lbbbEUlllE1_EE10hipError_tPvRmT2_T3_mT4_P12ihipStream_tbEUlmE_lEESB_NS0_8identityIvEEEESM_SP_SQ_mSR_ST_bEUlT_E_NS1_11comp_targetILNS1_3genE10ELNS1_11target_archE1200ELNS1_3gpuE4ELNS1_3repE0EEENS1_30default_config_static_selectorELNS0_4arch9wavefront6targetE0EEEvT1_
		.amdhsa_group_segment_fixed_size 0
		.amdhsa_private_segment_fixed_size 0
		.amdhsa_kernarg_size 56
		.amdhsa_user_sgpr_count 15
		.amdhsa_user_sgpr_dispatch_ptr 0
		.amdhsa_user_sgpr_queue_ptr 0
		.amdhsa_user_sgpr_kernarg_segment_ptr 1
		.amdhsa_user_sgpr_dispatch_id 0
		.amdhsa_user_sgpr_private_segment_size 0
		.amdhsa_wavefront_size32 1
		.amdhsa_uses_dynamic_stack 0
		.amdhsa_enable_private_segment 0
		.amdhsa_system_sgpr_workgroup_id_x 1
		.amdhsa_system_sgpr_workgroup_id_y 0
		.amdhsa_system_sgpr_workgroup_id_z 0
		.amdhsa_system_sgpr_workgroup_info 0
		.amdhsa_system_vgpr_workitem_id 0
		.amdhsa_next_free_vgpr 1
		.amdhsa_next_free_sgpr 1
		.amdhsa_reserve_vcc 0
		.amdhsa_float_round_mode_32 0
		.amdhsa_float_round_mode_16_64 0
		.amdhsa_float_denorm_mode_32 3
		.amdhsa_float_denorm_mode_16_64 3
		.amdhsa_dx10_clamp 1
		.amdhsa_ieee_mode 1
		.amdhsa_fp16_overflow 0
		.amdhsa_workgroup_processor_mode 1
		.amdhsa_memory_ordered 1
		.amdhsa_forward_progress 0
		.amdhsa_shared_vgpr_count 0
		.amdhsa_exception_fp_ieee_invalid_op 0
		.amdhsa_exception_fp_denorm_src 0
		.amdhsa_exception_fp_ieee_div_zero 0
		.amdhsa_exception_fp_ieee_overflow 0
		.amdhsa_exception_fp_ieee_underflow 0
		.amdhsa_exception_fp_ieee_inexact 0
		.amdhsa_exception_int_div_zero 0
	.end_amdhsa_kernel
	.section	.text._ZN7rocprim17ROCPRIM_400000_NS6detail17trampoline_kernelINS0_14default_configENS1_25transform_config_selectorIlLb0EEEZNS1_14transform_implILb0ES3_S5_NS0_18transform_iteratorINS0_17counting_iteratorImlEEZNS1_24adjacent_difference_implIS3_Lb1ELb0EPlSB_ZN2at6native12_GLOBAL__N_124unique_dim_cuda_templateIbEESt5tupleIJNSC_6TensorESH_SH_EERKSH_lbbbEUlllE1_EE10hipError_tPvRmT2_T3_mT4_P12ihipStream_tbEUlmE_lEESB_NS0_8identityIvEEEESM_SP_SQ_mSR_ST_bEUlT_E_NS1_11comp_targetILNS1_3genE10ELNS1_11target_archE1200ELNS1_3gpuE4ELNS1_3repE0EEENS1_30default_config_static_selectorELNS0_4arch9wavefront6targetE0EEEvT1_,"axG",@progbits,_ZN7rocprim17ROCPRIM_400000_NS6detail17trampoline_kernelINS0_14default_configENS1_25transform_config_selectorIlLb0EEEZNS1_14transform_implILb0ES3_S5_NS0_18transform_iteratorINS0_17counting_iteratorImlEEZNS1_24adjacent_difference_implIS3_Lb1ELb0EPlSB_ZN2at6native12_GLOBAL__N_124unique_dim_cuda_templateIbEESt5tupleIJNSC_6TensorESH_SH_EERKSH_lbbbEUlllE1_EE10hipError_tPvRmT2_T3_mT4_P12ihipStream_tbEUlmE_lEESB_NS0_8identityIvEEEESM_SP_SQ_mSR_ST_bEUlT_E_NS1_11comp_targetILNS1_3genE10ELNS1_11target_archE1200ELNS1_3gpuE4ELNS1_3repE0EEENS1_30default_config_static_selectorELNS0_4arch9wavefront6targetE0EEEvT1_,comdat
.Lfunc_end1040:
	.size	_ZN7rocprim17ROCPRIM_400000_NS6detail17trampoline_kernelINS0_14default_configENS1_25transform_config_selectorIlLb0EEEZNS1_14transform_implILb0ES3_S5_NS0_18transform_iteratorINS0_17counting_iteratorImlEEZNS1_24adjacent_difference_implIS3_Lb1ELb0EPlSB_ZN2at6native12_GLOBAL__N_124unique_dim_cuda_templateIbEESt5tupleIJNSC_6TensorESH_SH_EERKSH_lbbbEUlllE1_EE10hipError_tPvRmT2_T3_mT4_P12ihipStream_tbEUlmE_lEESB_NS0_8identityIvEEEESM_SP_SQ_mSR_ST_bEUlT_E_NS1_11comp_targetILNS1_3genE10ELNS1_11target_archE1200ELNS1_3gpuE4ELNS1_3repE0EEENS1_30default_config_static_selectorELNS0_4arch9wavefront6targetE0EEEvT1_, .Lfunc_end1040-_ZN7rocprim17ROCPRIM_400000_NS6detail17trampoline_kernelINS0_14default_configENS1_25transform_config_selectorIlLb0EEEZNS1_14transform_implILb0ES3_S5_NS0_18transform_iteratorINS0_17counting_iteratorImlEEZNS1_24adjacent_difference_implIS3_Lb1ELb0EPlSB_ZN2at6native12_GLOBAL__N_124unique_dim_cuda_templateIbEESt5tupleIJNSC_6TensorESH_SH_EERKSH_lbbbEUlllE1_EE10hipError_tPvRmT2_T3_mT4_P12ihipStream_tbEUlmE_lEESB_NS0_8identityIvEEEESM_SP_SQ_mSR_ST_bEUlT_E_NS1_11comp_targetILNS1_3genE10ELNS1_11target_archE1200ELNS1_3gpuE4ELNS1_3repE0EEENS1_30default_config_static_selectorELNS0_4arch9wavefront6targetE0EEEvT1_
                                        ; -- End function
	.section	.AMDGPU.csdata,"",@progbits
; Kernel info:
; codeLenInByte = 0
; NumSgprs: 0
; NumVgprs: 0
; ScratchSize: 0
; MemoryBound: 0
; FloatMode: 240
; IeeeMode: 1
; LDSByteSize: 0 bytes/workgroup (compile time only)
; SGPRBlocks: 0
; VGPRBlocks: 0
; NumSGPRsForWavesPerEU: 1
; NumVGPRsForWavesPerEU: 1
; Occupancy: 16
; WaveLimiterHint : 0
; COMPUTE_PGM_RSRC2:SCRATCH_EN: 0
; COMPUTE_PGM_RSRC2:USER_SGPR: 15
; COMPUTE_PGM_RSRC2:TRAP_HANDLER: 0
; COMPUTE_PGM_RSRC2:TGID_X_EN: 1
; COMPUTE_PGM_RSRC2:TGID_Y_EN: 0
; COMPUTE_PGM_RSRC2:TGID_Z_EN: 0
; COMPUTE_PGM_RSRC2:TIDIG_COMP_CNT: 0
	.section	.text._ZN7rocprim17ROCPRIM_400000_NS6detail17trampoline_kernelINS0_14default_configENS1_25transform_config_selectorIlLb0EEEZNS1_14transform_implILb0ES3_S5_NS0_18transform_iteratorINS0_17counting_iteratorImlEEZNS1_24adjacent_difference_implIS3_Lb1ELb0EPlSB_ZN2at6native12_GLOBAL__N_124unique_dim_cuda_templateIbEESt5tupleIJNSC_6TensorESH_SH_EERKSH_lbbbEUlllE1_EE10hipError_tPvRmT2_T3_mT4_P12ihipStream_tbEUlmE_lEESB_NS0_8identityIvEEEESM_SP_SQ_mSR_ST_bEUlT_E_NS1_11comp_targetILNS1_3genE9ELNS1_11target_archE1100ELNS1_3gpuE3ELNS1_3repE0EEENS1_30default_config_static_selectorELNS0_4arch9wavefront6targetE0EEEvT1_,"axG",@progbits,_ZN7rocprim17ROCPRIM_400000_NS6detail17trampoline_kernelINS0_14default_configENS1_25transform_config_selectorIlLb0EEEZNS1_14transform_implILb0ES3_S5_NS0_18transform_iteratorINS0_17counting_iteratorImlEEZNS1_24adjacent_difference_implIS3_Lb1ELb0EPlSB_ZN2at6native12_GLOBAL__N_124unique_dim_cuda_templateIbEESt5tupleIJNSC_6TensorESH_SH_EERKSH_lbbbEUlllE1_EE10hipError_tPvRmT2_T3_mT4_P12ihipStream_tbEUlmE_lEESB_NS0_8identityIvEEEESM_SP_SQ_mSR_ST_bEUlT_E_NS1_11comp_targetILNS1_3genE9ELNS1_11target_archE1100ELNS1_3gpuE3ELNS1_3repE0EEENS1_30default_config_static_selectorELNS0_4arch9wavefront6targetE0EEEvT1_,comdat
	.globl	_ZN7rocprim17ROCPRIM_400000_NS6detail17trampoline_kernelINS0_14default_configENS1_25transform_config_selectorIlLb0EEEZNS1_14transform_implILb0ES3_S5_NS0_18transform_iteratorINS0_17counting_iteratorImlEEZNS1_24adjacent_difference_implIS3_Lb1ELb0EPlSB_ZN2at6native12_GLOBAL__N_124unique_dim_cuda_templateIbEESt5tupleIJNSC_6TensorESH_SH_EERKSH_lbbbEUlllE1_EE10hipError_tPvRmT2_T3_mT4_P12ihipStream_tbEUlmE_lEESB_NS0_8identityIvEEEESM_SP_SQ_mSR_ST_bEUlT_E_NS1_11comp_targetILNS1_3genE9ELNS1_11target_archE1100ELNS1_3gpuE3ELNS1_3repE0EEENS1_30default_config_static_selectorELNS0_4arch9wavefront6targetE0EEEvT1_ ; -- Begin function _ZN7rocprim17ROCPRIM_400000_NS6detail17trampoline_kernelINS0_14default_configENS1_25transform_config_selectorIlLb0EEEZNS1_14transform_implILb0ES3_S5_NS0_18transform_iteratorINS0_17counting_iteratorImlEEZNS1_24adjacent_difference_implIS3_Lb1ELb0EPlSB_ZN2at6native12_GLOBAL__N_124unique_dim_cuda_templateIbEESt5tupleIJNSC_6TensorESH_SH_EERKSH_lbbbEUlllE1_EE10hipError_tPvRmT2_T3_mT4_P12ihipStream_tbEUlmE_lEESB_NS0_8identityIvEEEESM_SP_SQ_mSR_ST_bEUlT_E_NS1_11comp_targetILNS1_3genE9ELNS1_11target_archE1100ELNS1_3gpuE3ELNS1_3repE0EEENS1_30default_config_static_selectorELNS0_4arch9wavefront6targetE0EEEvT1_
	.p2align	8
	.type	_ZN7rocprim17ROCPRIM_400000_NS6detail17trampoline_kernelINS0_14default_configENS1_25transform_config_selectorIlLb0EEEZNS1_14transform_implILb0ES3_S5_NS0_18transform_iteratorINS0_17counting_iteratorImlEEZNS1_24adjacent_difference_implIS3_Lb1ELb0EPlSB_ZN2at6native12_GLOBAL__N_124unique_dim_cuda_templateIbEESt5tupleIJNSC_6TensorESH_SH_EERKSH_lbbbEUlllE1_EE10hipError_tPvRmT2_T3_mT4_P12ihipStream_tbEUlmE_lEESB_NS0_8identityIvEEEESM_SP_SQ_mSR_ST_bEUlT_E_NS1_11comp_targetILNS1_3genE9ELNS1_11target_archE1100ELNS1_3gpuE3ELNS1_3repE0EEENS1_30default_config_static_selectorELNS0_4arch9wavefront6targetE0EEEvT1_,@function
_ZN7rocprim17ROCPRIM_400000_NS6detail17trampoline_kernelINS0_14default_configENS1_25transform_config_selectorIlLb0EEEZNS1_14transform_implILb0ES3_S5_NS0_18transform_iteratorINS0_17counting_iteratorImlEEZNS1_24adjacent_difference_implIS3_Lb1ELb0EPlSB_ZN2at6native12_GLOBAL__N_124unique_dim_cuda_templateIbEESt5tupleIJNSC_6TensorESH_SH_EERKSH_lbbbEUlllE1_EE10hipError_tPvRmT2_T3_mT4_P12ihipStream_tbEUlmE_lEESB_NS0_8identityIvEEEESM_SP_SQ_mSR_ST_bEUlT_E_NS1_11comp_targetILNS1_3genE9ELNS1_11target_archE1100ELNS1_3gpuE3ELNS1_3repE0EEENS1_30default_config_static_selectorELNS0_4arch9wavefront6targetE0EEEvT1_: ; @_ZN7rocprim17ROCPRIM_400000_NS6detail17trampoline_kernelINS0_14default_configENS1_25transform_config_selectorIlLb0EEEZNS1_14transform_implILb0ES3_S5_NS0_18transform_iteratorINS0_17counting_iteratorImlEEZNS1_24adjacent_difference_implIS3_Lb1ELb0EPlSB_ZN2at6native12_GLOBAL__N_124unique_dim_cuda_templateIbEESt5tupleIJNSC_6TensorESH_SH_EERKSH_lbbbEUlllE1_EE10hipError_tPvRmT2_T3_mT4_P12ihipStream_tbEUlmE_lEESB_NS0_8identityIvEEEESM_SP_SQ_mSR_ST_bEUlT_E_NS1_11comp_targetILNS1_3genE9ELNS1_11target_archE1100ELNS1_3gpuE3ELNS1_3repE0EEENS1_30default_config_static_selectorELNS0_4arch9wavefront6targetE0EEEvT1_
; %bb.0:
	s_clause 0x4
	s_load_b128 s[4:7], s[0:1], 0x0
	s_load_b64 s[2:3], s[0:1], 0x18
	s_load_b64 s[12:13], s[0:1], 0x28
	s_load_b32 s11, s[0:1], 0x38
	s_load_b32 s8, s[0:1], 0x10
	s_waitcnt lgkmcnt(0)
	s_add_u32 s9, s2, s4
	s_addc_u32 s10, s3, s5
	s_lshl_b64 s[2:3], s[2:3], 3
	s_delay_alu instid0(SALU_CYCLE_1)
	s_add_u32 s4, s12, s2
	s_addc_u32 s5, s13, s3
	s_add_i32 s11, s11, -1
	s_lshl_b32 s2, s15, 9
	s_mov_b32 s3, 0
	s_cmp_lg_u32 s15, s11
	s_mov_b32 s11, -1
	s_cbranch_scc0 .LBB1041_2
; %bb.1:
	s_add_u32 s11, s9, s2
	s_addc_u32 s12, s10, 0
	v_add_co_u32 v3, s11, s11, v0
	s_delay_alu instid0(VALU_DEP_1) | instskip(SKIP_1) | instid1(VALU_DEP_2)
	v_add_co_ci_u32_e64 v5, null, s12, 0, s11
	s_lshl_b64 s[12:13], s[2:3], 3
	v_mad_u64_u32 v[1:2], null, v3, s8, 0
	s_add_u32 s12, s4, s12
	s_addc_u32 s13, s5, s13
	s_mov_b32 s11, s3
	s_delay_alu instid0(VALU_DEP_1) | instskip(NEXT) | instid1(VALU_DEP_1)
	v_mad_u64_u32 v[3:4], null, v5, s8, v[2:3]
	v_dual_mov_b32 v2, v3 :: v_dual_lshlrev_b32 v3, 3, v0
	s_delay_alu instid0(VALU_DEP_1) | instskip(NEXT) | instid1(VALU_DEP_1)
	v_lshlrev_b64 v[1:2], 3, v[1:2]
	v_add_co_u32 v1, vcc_lo, s6, v1
	s_delay_alu instid0(VALU_DEP_2)
	v_add_co_ci_u32_e32 v2, vcc_lo, s7, v2, vcc_lo
	global_load_b64 v[1:2], v[1:2], off
	s_waitcnt vmcnt(0)
	global_store_b64 v3, v[1:2], s[12:13]
.LBB1041_2:
	s_and_not1_b32 vcc_lo, exec_lo, s11
	s_cbranch_vccnz .LBB1041_7
; %bb.3:
	s_load_b32 s0, s[0:1], 0x20
                                        ; implicit-def: $vgpr1_vgpr2
	s_waitcnt lgkmcnt(0)
	s_sub_i32 s0, s0, s2
	s_delay_alu instid0(SALU_CYCLE_1)
	v_cmp_gt_u32_e32 vcc_lo, s0, v0
	s_and_saveexec_b32 s1, vcc_lo
	s_cbranch_execz .LBB1041_5
; %bb.4:
	s_add_u32 s0, s9, s2
	s_addc_u32 s9, s10, 0
	v_add_co_u32 v3, s0, s0, v0
	s_delay_alu instid0(VALU_DEP_1) | instskip(NEXT) | instid1(VALU_DEP_2)
	v_add_co_ci_u32_e64 v5, null, s9, 0, s0
	v_mad_u64_u32 v[1:2], null, v3, s8, 0
	s_delay_alu instid0(VALU_DEP_1) | instskip(NEXT) | instid1(VALU_DEP_1)
	v_mad_u64_u32 v[3:4], null, v5, s8, v[2:3]
	v_mov_b32_e32 v2, v3
	s_delay_alu instid0(VALU_DEP_1) | instskip(NEXT) | instid1(VALU_DEP_1)
	v_lshlrev_b64 v[1:2], 3, v[1:2]
	v_add_co_u32 v1, s0, s6, v1
	s_delay_alu instid0(VALU_DEP_1)
	v_add_co_ci_u32_e64 v2, s0, s7, v2, s0
	global_load_b64 v[1:2], v[1:2], off
.LBB1041_5:
	s_or_b32 exec_lo, exec_lo, s1
	s_and_saveexec_b32 s0, vcc_lo
	s_cbranch_execz .LBB1041_7
; %bb.6:
	s_lshl_b64 s[0:1], s[2:3], 3
	v_lshlrev_b32_e32 v0, 3, v0
	s_add_u32 s0, s4, s0
	s_addc_u32 s1, s5, s1
	s_waitcnt vmcnt(0)
	global_store_b64 v0, v[1:2], s[0:1]
.LBB1041_7:
	s_nop 0
	s_sendmsg sendmsg(MSG_DEALLOC_VGPRS)
	s_endpgm
	.section	.rodata,"a",@progbits
	.p2align	6, 0x0
	.amdhsa_kernel _ZN7rocprim17ROCPRIM_400000_NS6detail17trampoline_kernelINS0_14default_configENS1_25transform_config_selectorIlLb0EEEZNS1_14transform_implILb0ES3_S5_NS0_18transform_iteratorINS0_17counting_iteratorImlEEZNS1_24adjacent_difference_implIS3_Lb1ELb0EPlSB_ZN2at6native12_GLOBAL__N_124unique_dim_cuda_templateIbEESt5tupleIJNSC_6TensorESH_SH_EERKSH_lbbbEUlllE1_EE10hipError_tPvRmT2_T3_mT4_P12ihipStream_tbEUlmE_lEESB_NS0_8identityIvEEEESM_SP_SQ_mSR_ST_bEUlT_E_NS1_11comp_targetILNS1_3genE9ELNS1_11target_archE1100ELNS1_3gpuE3ELNS1_3repE0EEENS1_30default_config_static_selectorELNS0_4arch9wavefront6targetE0EEEvT1_
		.amdhsa_group_segment_fixed_size 0
		.amdhsa_private_segment_fixed_size 0
		.amdhsa_kernarg_size 312
		.amdhsa_user_sgpr_count 15
		.amdhsa_user_sgpr_dispatch_ptr 0
		.amdhsa_user_sgpr_queue_ptr 0
		.amdhsa_user_sgpr_kernarg_segment_ptr 1
		.amdhsa_user_sgpr_dispatch_id 0
		.amdhsa_user_sgpr_private_segment_size 0
		.amdhsa_wavefront_size32 1
		.amdhsa_uses_dynamic_stack 0
		.amdhsa_enable_private_segment 0
		.amdhsa_system_sgpr_workgroup_id_x 1
		.amdhsa_system_sgpr_workgroup_id_y 0
		.amdhsa_system_sgpr_workgroup_id_z 0
		.amdhsa_system_sgpr_workgroup_info 0
		.amdhsa_system_vgpr_workitem_id 0
		.amdhsa_next_free_vgpr 6
		.amdhsa_next_free_sgpr 16
		.amdhsa_reserve_vcc 1
		.amdhsa_float_round_mode_32 0
		.amdhsa_float_round_mode_16_64 0
		.amdhsa_float_denorm_mode_32 3
		.amdhsa_float_denorm_mode_16_64 3
		.amdhsa_dx10_clamp 1
		.amdhsa_ieee_mode 1
		.amdhsa_fp16_overflow 0
		.amdhsa_workgroup_processor_mode 1
		.amdhsa_memory_ordered 1
		.amdhsa_forward_progress 0
		.amdhsa_shared_vgpr_count 0
		.amdhsa_exception_fp_ieee_invalid_op 0
		.amdhsa_exception_fp_denorm_src 0
		.amdhsa_exception_fp_ieee_div_zero 0
		.amdhsa_exception_fp_ieee_overflow 0
		.amdhsa_exception_fp_ieee_underflow 0
		.amdhsa_exception_fp_ieee_inexact 0
		.amdhsa_exception_int_div_zero 0
	.end_amdhsa_kernel
	.section	.text._ZN7rocprim17ROCPRIM_400000_NS6detail17trampoline_kernelINS0_14default_configENS1_25transform_config_selectorIlLb0EEEZNS1_14transform_implILb0ES3_S5_NS0_18transform_iteratorINS0_17counting_iteratorImlEEZNS1_24adjacent_difference_implIS3_Lb1ELb0EPlSB_ZN2at6native12_GLOBAL__N_124unique_dim_cuda_templateIbEESt5tupleIJNSC_6TensorESH_SH_EERKSH_lbbbEUlllE1_EE10hipError_tPvRmT2_T3_mT4_P12ihipStream_tbEUlmE_lEESB_NS0_8identityIvEEEESM_SP_SQ_mSR_ST_bEUlT_E_NS1_11comp_targetILNS1_3genE9ELNS1_11target_archE1100ELNS1_3gpuE3ELNS1_3repE0EEENS1_30default_config_static_selectorELNS0_4arch9wavefront6targetE0EEEvT1_,"axG",@progbits,_ZN7rocprim17ROCPRIM_400000_NS6detail17trampoline_kernelINS0_14default_configENS1_25transform_config_selectorIlLb0EEEZNS1_14transform_implILb0ES3_S5_NS0_18transform_iteratorINS0_17counting_iteratorImlEEZNS1_24adjacent_difference_implIS3_Lb1ELb0EPlSB_ZN2at6native12_GLOBAL__N_124unique_dim_cuda_templateIbEESt5tupleIJNSC_6TensorESH_SH_EERKSH_lbbbEUlllE1_EE10hipError_tPvRmT2_T3_mT4_P12ihipStream_tbEUlmE_lEESB_NS0_8identityIvEEEESM_SP_SQ_mSR_ST_bEUlT_E_NS1_11comp_targetILNS1_3genE9ELNS1_11target_archE1100ELNS1_3gpuE3ELNS1_3repE0EEENS1_30default_config_static_selectorELNS0_4arch9wavefront6targetE0EEEvT1_,comdat
.Lfunc_end1041:
	.size	_ZN7rocprim17ROCPRIM_400000_NS6detail17trampoline_kernelINS0_14default_configENS1_25transform_config_selectorIlLb0EEEZNS1_14transform_implILb0ES3_S5_NS0_18transform_iteratorINS0_17counting_iteratorImlEEZNS1_24adjacent_difference_implIS3_Lb1ELb0EPlSB_ZN2at6native12_GLOBAL__N_124unique_dim_cuda_templateIbEESt5tupleIJNSC_6TensorESH_SH_EERKSH_lbbbEUlllE1_EE10hipError_tPvRmT2_T3_mT4_P12ihipStream_tbEUlmE_lEESB_NS0_8identityIvEEEESM_SP_SQ_mSR_ST_bEUlT_E_NS1_11comp_targetILNS1_3genE9ELNS1_11target_archE1100ELNS1_3gpuE3ELNS1_3repE0EEENS1_30default_config_static_selectorELNS0_4arch9wavefront6targetE0EEEvT1_, .Lfunc_end1041-_ZN7rocprim17ROCPRIM_400000_NS6detail17trampoline_kernelINS0_14default_configENS1_25transform_config_selectorIlLb0EEEZNS1_14transform_implILb0ES3_S5_NS0_18transform_iteratorINS0_17counting_iteratorImlEEZNS1_24adjacent_difference_implIS3_Lb1ELb0EPlSB_ZN2at6native12_GLOBAL__N_124unique_dim_cuda_templateIbEESt5tupleIJNSC_6TensorESH_SH_EERKSH_lbbbEUlllE1_EE10hipError_tPvRmT2_T3_mT4_P12ihipStream_tbEUlmE_lEESB_NS0_8identityIvEEEESM_SP_SQ_mSR_ST_bEUlT_E_NS1_11comp_targetILNS1_3genE9ELNS1_11target_archE1100ELNS1_3gpuE3ELNS1_3repE0EEENS1_30default_config_static_selectorELNS0_4arch9wavefront6targetE0EEEvT1_
                                        ; -- End function
	.section	.AMDGPU.csdata,"",@progbits
; Kernel info:
; codeLenInByte = 400
; NumSgprs: 18
; NumVgprs: 6
; ScratchSize: 0
; MemoryBound: 0
; FloatMode: 240
; IeeeMode: 1
; LDSByteSize: 0 bytes/workgroup (compile time only)
; SGPRBlocks: 2
; VGPRBlocks: 0
; NumSGPRsForWavesPerEU: 18
; NumVGPRsForWavesPerEU: 6
; Occupancy: 16
; WaveLimiterHint : 0
; COMPUTE_PGM_RSRC2:SCRATCH_EN: 0
; COMPUTE_PGM_RSRC2:USER_SGPR: 15
; COMPUTE_PGM_RSRC2:TRAP_HANDLER: 0
; COMPUTE_PGM_RSRC2:TGID_X_EN: 1
; COMPUTE_PGM_RSRC2:TGID_Y_EN: 0
; COMPUTE_PGM_RSRC2:TGID_Z_EN: 0
; COMPUTE_PGM_RSRC2:TIDIG_COMP_CNT: 0
	.section	.text._ZN7rocprim17ROCPRIM_400000_NS6detail17trampoline_kernelINS0_14default_configENS1_25transform_config_selectorIlLb0EEEZNS1_14transform_implILb0ES3_S5_NS0_18transform_iteratorINS0_17counting_iteratorImlEEZNS1_24adjacent_difference_implIS3_Lb1ELb0EPlSB_ZN2at6native12_GLOBAL__N_124unique_dim_cuda_templateIbEESt5tupleIJNSC_6TensorESH_SH_EERKSH_lbbbEUlllE1_EE10hipError_tPvRmT2_T3_mT4_P12ihipStream_tbEUlmE_lEESB_NS0_8identityIvEEEESM_SP_SQ_mSR_ST_bEUlT_E_NS1_11comp_targetILNS1_3genE8ELNS1_11target_archE1030ELNS1_3gpuE2ELNS1_3repE0EEENS1_30default_config_static_selectorELNS0_4arch9wavefront6targetE0EEEvT1_,"axG",@progbits,_ZN7rocprim17ROCPRIM_400000_NS6detail17trampoline_kernelINS0_14default_configENS1_25transform_config_selectorIlLb0EEEZNS1_14transform_implILb0ES3_S5_NS0_18transform_iteratorINS0_17counting_iteratorImlEEZNS1_24adjacent_difference_implIS3_Lb1ELb0EPlSB_ZN2at6native12_GLOBAL__N_124unique_dim_cuda_templateIbEESt5tupleIJNSC_6TensorESH_SH_EERKSH_lbbbEUlllE1_EE10hipError_tPvRmT2_T3_mT4_P12ihipStream_tbEUlmE_lEESB_NS0_8identityIvEEEESM_SP_SQ_mSR_ST_bEUlT_E_NS1_11comp_targetILNS1_3genE8ELNS1_11target_archE1030ELNS1_3gpuE2ELNS1_3repE0EEENS1_30default_config_static_selectorELNS0_4arch9wavefront6targetE0EEEvT1_,comdat
	.globl	_ZN7rocprim17ROCPRIM_400000_NS6detail17trampoline_kernelINS0_14default_configENS1_25transform_config_selectorIlLb0EEEZNS1_14transform_implILb0ES3_S5_NS0_18transform_iteratorINS0_17counting_iteratorImlEEZNS1_24adjacent_difference_implIS3_Lb1ELb0EPlSB_ZN2at6native12_GLOBAL__N_124unique_dim_cuda_templateIbEESt5tupleIJNSC_6TensorESH_SH_EERKSH_lbbbEUlllE1_EE10hipError_tPvRmT2_T3_mT4_P12ihipStream_tbEUlmE_lEESB_NS0_8identityIvEEEESM_SP_SQ_mSR_ST_bEUlT_E_NS1_11comp_targetILNS1_3genE8ELNS1_11target_archE1030ELNS1_3gpuE2ELNS1_3repE0EEENS1_30default_config_static_selectorELNS0_4arch9wavefront6targetE0EEEvT1_ ; -- Begin function _ZN7rocprim17ROCPRIM_400000_NS6detail17trampoline_kernelINS0_14default_configENS1_25transform_config_selectorIlLb0EEEZNS1_14transform_implILb0ES3_S5_NS0_18transform_iteratorINS0_17counting_iteratorImlEEZNS1_24adjacent_difference_implIS3_Lb1ELb0EPlSB_ZN2at6native12_GLOBAL__N_124unique_dim_cuda_templateIbEESt5tupleIJNSC_6TensorESH_SH_EERKSH_lbbbEUlllE1_EE10hipError_tPvRmT2_T3_mT4_P12ihipStream_tbEUlmE_lEESB_NS0_8identityIvEEEESM_SP_SQ_mSR_ST_bEUlT_E_NS1_11comp_targetILNS1_3genE8ELNS1_11target_archE1030ELNS1_3gpuE2ELNS1_3repE0EEENS1_30default_config_static_selectorELNS0_4arch9wavefront6targetE0EEEvT1_
	.p2align	8
	.type	_ZN7rocprim17ROCPRIM_400000_NS6detail17trampoline_kernelINS0_14default_configENS1_25transform_config_selectorIlLb0EEEZNS1_14transform_implILb0ES3_S5_NS0_18transform_iteratorINS0_17counting_iteratorImlEEZNS1_24adjacent_difference_implIS3_Lb1ELb0EPlSB_ZN2at6native12_GLOBAL__N_124unique_dim_cuda_templateIbEESt5tupleIJNSC_6TensorESH_SH_EERKSH_lbbbEUlllE1_EE10hipError_tPvRmT2_T3_mT4_P12ihipStream_tbEUlmE_lEESB_NS0_8identityIvEEEESM_SP_SQ_mSR_ST_bEUlT_E_NS1_11comp_targetILNS1_3genE8ELNS1_11target_archE1030ELNS1_3gpuE2ELNS1_3repE0EEENS1_30default_config_static_selectorELNS0_4arch9wavefront6targetE0EEEvT1_,@function
_ZN7rocprim17ROCPRIM_400000_NS6detail17trampoline_kernelINS0_14default_configENS1_25transform_config_selectorIlLb0EEEZNS1_14transform_implILb0ES3_S5_NS0_18transform_iteratorINS0_17counting_iteratorImlEEZNS1_24adjacent_difference_implIS3_Lb1ELb0EPlSB_ZN2at6native12_GLOBAL__N_124unique_dim_cuda_templateIbEESt5tupleIJNSC_6TensorESH_SH_EERKSH_lbbbEUlllE1_EE10hipError_tPvRmT2_T3_mT4_P12ihipStream_tbEUlmE_lEESB_NS0_8identityIvEEEESM_SP_SQ_mSR_ST_bEUlT_E_NS1_11comp_targetILNS1_3genE8ELNS1_11target_archE1030ELNS1_3gpuE2ELNS1_3repE0EEENS1_30default_config_static_selectorELNS0_4arch9wavefront6targetE0EEEvT1_: ; @_ZN7rocprim17ROCPRIM_400000_NS6detail17trampoline_kernelINS0_14default_configENS1_25transform_config_selectorIlLb0EEEZNS1_14transform_implILb0ES3_S5_NS0_18transform_iteratorINS0_17counting_iteratorImlEEZNS1_24adjacent_difference_implIS3_Lb1ELb0EPlSB_ZN2at6native12_GLOBAL__N_124unique_dim_cuda_templateIbEESt5tupleIJNSC_6TensorESH_SH_EERKSH_lbbbEUlllE1_EE10hipError_tPvRmT2_T3_mT4_P12ihipStream_tbEUlmE_lEESB_NS0_8identityIvEEEESM_SP_SQ_mSR_ST_bEUlT_E_NS1_11comp_targetILNS1_3genE8ELNS1_11target_archE1030ELNS1_3gpuE2ELNS1_3repE0EEENS1_30default_config_static_selectorELNS0_4arch9wavefront6targetE0EEEvT1_
; %bb.0:
	.section	.rodata,"a",@progbits
	.p2align	6, 0x0
	.amdhsa_kernel _ZN7rocprim17ROCPRIM_400000_NS6detail17trampoline_kernelINS0_14default_configENS1_25transform_config_selectorIlLb0EEEZNS1_14transform_implILb0ES3_S5_NS0_18transform_iteratorINS0_17counting_iteratorImlEEZNS1_24adjacent_difference_implIS3_Lb1ELb0EPlSB_ZN2at6native12_GLOBAL__N_124unique_dim_cuda_templateIbEESt5tupleIJNSC_6TensorESH_SH_EERKSH_lbbbEUlllE1_EE10hipError_tPvRmT2_T3_mT4_P12ihipStream_tbEUlmE_lEESB_NS0_8identityIvEEEESM_SP_SQ_mSR_ST_bEUlT_E_NS1_11comp_targetILNS1_3genE8ELNS1_11target_archE1030ELNS1_3gpuE2ELNS1_3repE0EEENS1_30default_config_static_selectorELNS0_4arch9wavefront6targetE0EEEvT1_
		.amdhsa_group_segment_fixed_size 0
		.amdhsa_private_segment_fixed_size 0
		.amdhsa_kernarg_size 56
		.amdhsa_user_sgpr_count 15
		.amdhsa_user_sgpr_dispatch_ptr 0
		.amdhsa_user_sgpr_queue_ptr 0
		.amdhsa_user_sgpr_kernarg_segment_ptr 1
		.amdhsa_user_sgpr_dispatch_id 0
		.amdhsa_user_sgpr_private_segment_size 0
		.amdhsa_wavefront_size32 1
		.amdhsa_uses_dynamic_stack 0
		.amdhsa_enable_private_segment 0
		.amdhsa_system_sgpr_workgroup_id_x 1
		.amdhsa_system_sgpr_workgroup_id_y 0
		.amdhsa_system_sgpr_workgroup_id_z 0
		.amdhsa_system_sgpr_workgroup_info 0
		.amdhsa_system_vgpr_workitem_id 0
		.amdhsa_next_free_vgpr 1
		.amdhsa_next_free_sgpr 1
		.amdhsa_reserve_vcc 0
		.amdhsa_float_round_mode_32 0
		.amdhsa_float_round_mode_16_64 0
		.amdhsa_float_denorm_mode_32 3
		.amdhsa_float_denorm_mode_16_64 3
		.amdhsa_dx10_clamp 1
		.amdhsa_ieee_mode 1
		.amdhsa_fp16_overflow 0
		.amdhsa_workgroup_processor_mode 1
		.amdhsa_memory_ordered 1
		.amdhsa_forward_progress 0
		.amdhsa_shared_vgpr_count 0
		.amdhsa_exception_fp_ieee_invalid_op 0
		.amdhsa_exception_fp_denorm_src 0
		.amdhsa_exception_fp_ieee_div_zero 0
		.amdhsa_exception_fp_ieee_overflow 0
		.amdhsa_exception_fp_ieee_underflow 0
		.amdhsa_exception_fp_ieee_inexact 0
		.amdhsa_exception_int_div_zero 0
	.end_amdhsa_kernel
	.section	.text._ZN7rocprim17ROCPRIM_400000_NS6detail17trampoline_kernelINS0_14default_configENS1_25transform_config_selectorIlLb0EEEZNS1_14transform_implILb0ES3_S5_NS0_18transform_iteratorINS0_17counting_iteratorImlEEZNS1_24adjacent_difference_implIS3_Lb1ELb0EPlSB_ZN2at6native12_GLOBAL__N_124unique_dim_cuda_templateIbEESt5tupleIJNSC_6TensorESH_SH_EERKSH_lbbbEUlllE1_EE10hipError_tPvRmT2_T3_mT4_P12ihipStream_tbEUlmE_lEESB_NS0_8identityIvEEEESM_SP_SQ_mSR_ST_bEUlT_E_NS1_11comp_targetILNS1_3genE8ELNS1_11target_archE1030ELNS1_3gpuE2ELNS1_3repE0EEENS1_30default_config_static_selectorELNS0_4arch9wavefront6targetE0EEEvT1_,"axG",@progbits,_ZN7rocprim17ROCPRIM_400000_NS6detail17trampoline_kernelINS0_14default_configENS1_25transform_config_selectorIlLb0EEEZNS1_14transform_implILb0ES3_S5_NS0_18transform_iteratorINS0_17counting_iteratorImlEEZNS1_24adjacent_difference_implIS3_Lb1ELb0EPlSB_ZN2at6native12_GLOBAL__N_124unique_dim_cuda_templateIbEESt5tupleIJNSC_6TensorESH_SH_EERKSH_lbbbEUlllE1_EE10hipError_tPvRmT2_T3_mT4_P12ihipStream_tbEUlmE_lEESB_NS0_8identityIvEEEESM_SP_SQ_mSR_ST_bEUlT_E_NS1_11comp_targetILNS1_3genE8ELNS1_11target_archE1030ELNS1_3gpuE2ELNS1_3repE0EEENS1_30default_config_static_selectorELNS0_4arch9wavefront6targetE0EEEvT1_,comdat
.Lfunc_end1042:
	.size	_ZN7rocprim17ROCPRIM_400000_NS6detail17trampoline_kernelINS0_14default_configENS1_25transform_config_selectorIlLb0EEEZNS1_14transform_implILb0ES3_S5_NS0_18transform_iteratorINS0_17counting_iteratorImlEEZNS1_24adjacent_difference_implIS3_Lb1ELb0EPlSB_ZN2at6native12_GLOBAL__N_124unique_dim_cuda_templateIbEESt5tupleIJNSC_6TensorESH_SH_EERKSH_lbbbEUlllE1_EE10hipError_tPvRmT2_T3_mT4_P12ihipStream_tbEUlmE_lEESB_NS0_8identityIvEEEESM_SP_SQ_mSR_ST_bEUlT_E_NS1_11comp_targetILNS1_3genE8ELNS1_11target_archE1030ELNS1_3gpuE2ELNS1_3repE0EEENS1_30default_config_static_selectorELNS0_4arch9wavefront6targetE0EEEvT1_, .Lfunc_end1042-_ZN7rocprim17ROCPRIM_400000_NS6detail17trampoline_kernelINS0_14default_configENS1_25transform_config_selectorIlLb0EEEZNS1_14transform_implILb0ES3_S5_NS0_18transform_iteratorINS0_17counting_iteratorImlEEZNS1_24adjacent_difference_implIS3_Lb1ELb0EPlSB_ZN2at6native12_GLOBAL__N_124unique_dim_cuda_templateIbEESt5tupleIJNSC_6TensorESH_SH_EERKSH_lbbbEUlllE1_EE10hipError_tPvRmT2_T3_mT4_P12ihipStream_tbEUlmE_lEESB_NS0_8identityIvEEEESM_SP_SQ_mSR_ST_bEUlT_E_NS1_11comp_targetILNS1_3genE8ELNS1_11target_archE1030ELNS1_3gpuE2ELNS1_3repE0EEENS1_30default_config_static_selectorELNS0_4arch9wavefront6targetE0EEEvT1_
                                        ; -- End function
	.section	.AMDGPU.csdata,"",@progbits
; Kernel info:
; codeLenInByte = 0
; NumSgprs: 0
; NumVgprs: 0
; ScratchSize: 0
; MemoryBound: 0
; FloatMode: 240
; IeeeMode: 1
; LDSByteSize: 0 bytes/workgroup (compile time only)
; SGPRBlocks: 0
; VGPRBlocks: 0
; NumSGPRsForWavesPerEU: 1
; NumVGPRsForWavesPerEU: 1
; Occupancy: 16
; WaveLimiterHint : 0
; COMPUTE_PGM_RSRC2:SCRATCH_EN: 0
; COMPUTE_PGM_RSRC2:USER_SGPR: 15
; COMPUTE_PGM_RSRC2:TRAP_HANDLER: 0
; COMPUTE_PGM_RSRC2:TGID_X_EN: 1
; COMPUTE_PGM_RSRC2:TGID_Y_EN: 0
; COMPUTE_PGM_RSRC2:TGID_Z_EN: 0
; COMPUTE_PGM_RSRC2:TIDIG_COMP_CNT: 0
	.section	.text._ZN7rocprim17ROCPRIM_400000_NS6detail17trampoline_kernelINS0_14default_configENS1_35adjacent_difference_config_selectorILb1ElEEZNS1_24adjacent_difference_implIS3_Lb1ELb0EPlS7_ZN2at6native12_GLOBAL__N_124unique_dim_cuda_templateIbEESt5tupleIJNS8_6TensorESD_SD_EERKSD_lbbbEUlllE1_EE10hipError_tPvRmT2_T3_mT4_P12ihipStream_tbEUlT_E_NS1_11comp_targetILNS1_3genE0ELNS1_11target_archE4294967295ELNS1_3gpuE0ELNS1_3repE0EEENS1_30default_config_static_selectorELNS0_4arch9wavefront6targetE0EEEvT1_,"axG",@progbits,_ZN7rocprim17ROCPRIM_400000_NS6detail17trampoline_kernelINS0_14default_configENS1_35adjacent_difference_config_selectorILb1ElEEZNS1_24adjacent_difference_implIS3_Lb1ELb0EPlS7_ZN2at6native12_GLOBAL__N_124unique_dim_cuda_templateIbEESt5tupleIJNS8_6TensorESD_SD_EERKSD_lbbbEUlllE1_EE10hipError_tPvRmT2_T3_mT4_P12ihipStream_tbEUlT_E_NS1_11comp_targetILNS1_3genE0ELNS1_11target_archE4294967295ELNS1_3gpuE0ELNS1_3repE0EEENS1_30default_config_static_selectorELNS0_4arch9wavefront6targetE0EEEvT1_,comdat
	.globl	_ZN7rocprim17ROCPRIM_400000_NS6detail17trampoline_kernelINS0_14default_configENS1_35adjacent_difference_config_selectorILb1ElEEZNS1_24adjacent_difference_implIS3_Lb1ELb0EPlS7_ZN2at6native12_GLOBAL__N_124unique_dim_cuda_templateIbEESt5tupleIJNS8_6TensorESD_SD_EERKSD_lbbbEUlllE1_EE10hipError_tPvRmT2_T3_mT4_P12ihipStream_tbEUlT_E_NS1_11comp_targetILNS1_3genE0ELNS1_11target_archE4294967295ELNS1_3gpuE0ELNS1_3repE0EEENS1_30default_config_static_selectorELNS0_4arch9wavefront6targetE0EEEvT1_ ; -- Begin function _ZN7rocprim17ROCPRIM_400000_NS6detail17trampoline_kernelINS0_14default_configENS1_35adjacent_difference_config_selectorILb1ElEEZNS1_24adjacent_difference_implIS3_Lb1ELb0EPlS7_ZN2at6native12_GLOBAL__N_124unique_dim_cuda_templateIbEESt5tupleIJNS8_6TensorESD_SD_EERKSD_lbbbEUlllE1_EE10hipError_tPvRmT2_T3_mT4_P12ihipStream_tbEUlT_E_NS1_11comp_targetILNS1_3genE0ELNS1_11target_archE4294967295ELNS1_3gpuE0ELNS1_3repE0EEENS1_30default_config_static_selectorELNS0_4arch9wavefront6targetE0EEEvT1_
	.p2align	8
	.type	_ZN7rocprim17ROCPRIM_400000_NS6detail17trampoline_kernelINS0_14default_configENS1_35adjacent_difference_config_selectorILb1ElEEZNS1_24adjacent_difference_implIS3_Lb1ELb0EPlS7_ZN2at6native12_GLOBAL__N_124unique_dim_cuda_templateIbEESt5tupleIJNS8_6TensorESD_SD_EERKSD_lbbbEUlllE1_EE10hipError_tPvRmT2_T3_mT4_P12ihipStream_tbEUlT_E_NS1_11comp_targetILNS1_3genE0ELNS1_11target_archE4294967295ELNS1_3gpuE0ELNS1_3repE0EEENS1_30default_config_static_selectorELNS0_4arch9wavefront6targetE0EEEvT1_,@function
_ZN7rocprim17ROCPRIM_400000_NS6detail17trampoline_kernelINS0_14default_configENS1_35adjacent_difference_config_selectorILb1ElEEZNS1_24adjacent_difference_implIS3_Lb1ELb0EPlS7_ZN2at6native12_GLOBAL__N_124unique_dim_cuda_templateIbEESt5tupleIJNS8_6TensorESD_SD_EERKSD_lbbbEUlllE1_EE10hipError_tPvRmT2_T3_mT4_P12ihipStream_tbEUlT_E_NS1_11comp_targetILNS1_3genE0ELNS1_11target_archE4294967295ELNS1_3gpuE0ELNS1_3repE0EEENS1_30default_config_static_selectorELNS0_4arch9wavefront6targetE0EEEvT1_: ; @_ZN7rocprim17ROCPRIM_400000_NS6detail17trampoline_kernelINS0_14default_configENS1_35adjacent_difference_config_selectorILb1ElEEZNS1_24adjacent_difference_implIS3_Lb1ELb0EPlS7_ZN2at6native12_GLOBAL__N_124unique_dim_cuda_templateIbEESt5tupleIJNS8_6TensorESD_SD_EERKSD_lbbbEUlllE1_EE10hipError_tPvRmT2_T3_mT4_P12ihipStream_tbEUlT_E_NS1_11comp_targetILNS1_3genE0ELNS1_11target_archE4294967295ELNS1_3gpuE0ELNS1_3repE0EEENS1_30default_config_static_selectorELNS0_4arch9wavefront6targetE0EEEvT1_
; %bb.0:
	.section	.rodata,"a",@progbits
	.p2align	6, 0x0
	.amdhsa_kernel _ZN7rocprim17ROCPRIM_400000_NS6detail17trampoline_kernelINS0_14default_configENS1_35adjacent_difference_config_selectorILb1ElEEZNS1_24adjacent_difference_implIS3_Lb1ELb0EPlS7_ZN2at6native12_GLOBAL__N_124unique_dim_cuda_templateIbEESt5tupleIJNS8_6TensorESD_SD_EERKSD_lbbbEUlllE1_EE10hipError_tPvRmT2_T3_mT4_P12ihipStream_tbEUlT_E_NS1_11comp_targetILNS1_3genE0ELNS1_11target_archE4294967295ELNS1_3gpuE0ELNS1_3repE0EEENS1_30default_config_static_selectorELNS0_4arch9wavefront6targetE0EEEvT1_
		.amdhsa_group_segment_fixed_size 0
		.amdhsa_private_segment_fixed_size 0
		.amdhsa_kernarg_size 64
		.amdhsa_user_sgpr_count 15
		.amdhsa_user_sgpr_dispatch_ptr 0
		.amdhsa_user_sgpr_queue_ptr 0
		.amdhsa_user_sgpr_kernarg_segment_ptr 1
		.amdhsa_user_sgpr_dispatch_id 0
		.amdhsa_user_sgpr_private_segment_size 0
		.amdhsa_wavefront_size32 1
		.amdhsa_uses_dynamic_stack 0
		.amdhsa_enable_private_segment 0
		.amdhsa_system_sgpr_workgroup_id_x 1
		.amdhsa_system_sgpr_workgroup_id_y 0
		.amdhsa_system_sgpr_workgroup_id_z 0
		.amdhsa_system_sgpr_workgroup_info 0
		.amdhsa_system_vgpr_workitem_id 0
		.amdhsa_next_free_vgpr 1
		.amdhsa_next_free_sgpr 1
		.amdhsa_reserve_vcc 0
		.amdhsa_float_round_mode_32 0
		.amdhsa_float_round_mode_16_64 0
		.amdhsa_float_denorm_mode_32 3
		.amdhsa_float_denorm_mode_16_64 3
		.amdhsa_dx10_clamp 1
		.amdhsa_ieee_mode 1
		.amdhsa_fp16_overflow 0
		.amdhsa_workgroup_processor_mode 1
		.amdhsa_memory_ordered 1
		.amdhsa_forward_progress 0
		.amdhsa_shared_vgpr_count 0
		.amdhsa_exception_fp_ieee_invalid_op 0
		.amdhsa_exception_fp_denorm_src 0
		.amdhsa_exception_fp_ieee_div_zero 0
		.amdhsa_exception_fp_ieee_overflow 0
		.amdhsa_exception_fp_ieee_underflow 0
		.amdhsa_exception_fp_ieee_inexact 0
		.amdhsa_exception_int_div_zero 0
	.end_amdhsa_kernel
	.section	.text._ZN7rocprim17ROCPRIM_400000_NS6detail17trampoline_kernelINS0_14default_configENS1_35adjacent_difference_config_selectorILb1ElEEZNS1_24adjacent_difference_implIS3_Lb1ELb0EPlS7_ZN2at6native12_GLOBAL__N_124unique_dim_cuda_templateIbEESt5tupleIJNS8_6TensorESD_SD_EERKSD_lbbbEUlllE1_EE10hipError_tPvRmT2_T3_mT4_P12ihipStream_tbEUlT_E_NS1_11comp_targetILNS1_3genE0ELNS1_11target_archE4294967295ELNS1_3gpuE0ELNS1_3repE0EEENS1_30default_config_static_selectorELNS0_4arch9wavefront6targetE0EEEvT1_,"axG",@progbits,_ZN7rocprim17ROCPRIM_400000_NS6detail17trampoline_kernelINS0_14default_configENS1_35adjacent_difference_config_selectorILb1ElEEZNS1_24adjacent_difference_implIS3_Lb1ELb0EPlS7_ZN2at6native12_GLOBAL__N_124unique_dim_cuda_templateIbEESt5tupleIJNS8_6TensorESD_SD_EERKSD_lbbbEUlllE1_EE10hipError_tPvRmT2_T3_mT4_P12ihipStream_tbEUlT_E_NS1_11comp_targetILNS1_3genE0ELNS1_11target_archE4294967295ELNS1_3gpuE0ELNS1_3repE0EEENS1_30default_config_static_selectorELNS0_4arch9wavefront6targetE0EEEvT1_,comdat
.Lfunc_end1043:
	.size	_ZN7rocprim17ROCPRIM_400000_NS6detail17trampoline_kernelINS0_14default_configENS1_35adjacent_difference_config_selectorILb1ElEEZNS1_24adjacent_difference_implIS3_Lb1ELb0EPlS7_ZN2at6native12_GLOBAL__N_124unique_dim_cuda_templateIbEESt5tupleIJNS8_6TensorESD_SD_EERKSD_lbbbEUlllE1_EE10hipError_tPvRmT2_T3_mT4_P12ihipStream_tbEUlT_E_NS1_11comp_targetILNS1_3genE0ELNS1_11target_archE4294967295ELNS1_3gpuE0ELNS1_3repE0EEENS1_30default_config_static_selectorELNS0_4arch9wavefront6targetE0EEEvT1_, .Lfunc_end1043-_ZN7rocprim17ROCPRIM_400000_NS6detail17trampoline_kernelINS0_14default_configENS1_35adjacent_difference_config_selectorILb1ElEEZNS1_24adjacent_difference_implIS3_Lb1ELb0EPlS7_ZN2at6native12_GLOBAL__N_124unique_dim_cuda_templateIbEESt5tupleIJNS8_6TensorESD_SD_EERKSD_lbbbEUlllE1_EE10hipError_tPvRmT2_T3_mT4_P12ihipStream_tbEUlT_E_NS1_11comp_targetILNS1_3genE0ELNS1_11target_archE4294967295ELNS1_3gpuE0ELNS1_3repE0EEENS1_30default_config_static_selectorELNS0_4arch9wavefront6targetE0EEEvT1_
                                        ; -- End function
	.section	.AMDGPU.csdata,"",@progbits
; Kernel info:
; codeLenInByte = 0
; NumSgprs: 0
; NumVgprs: 0
; ScratchSize: 0
; MemoryBound: 0
; FloatMode: 240
; IeeeMode: 1
; LDSByteSize: 0 bytes/workgroup (compile time only)
; SGPRBlocks: 0
; VGPRBlocks: 0
; NumSGPRsForWavesPerEU: 1
; NumVGPRsForWavesPerEU: 1
; Occupancy: 16
; WaveLimiterHint : 0
; COMPUTE_PGM_RSRC2:SCRATCH_EN: 0
; COMPUTE_PGM_RSRC2:USER_SGPR: 15
; COMPUTE_PGM_RSRC2:TRAP_HANDLER: 0
; COMPUTE_PGM_RSRC2:TGID_X_EN: 1
; COMPUTE_PGM_RSRC2:TGID_Y_EN: 0
; COMPUTE_PGM_RSRC2:TGID_Z_EN: 0
; COMPUTE_PGM_RSRC2:TIDIG_COMP_CNT: 0
	.section	.text._ZN7rocprim17ROCPRIM_400000_NS6detail17trampoline_kernelINS0_14default_configENS1_35adjacent_difference_config_selectorILb1ElEEZNS1_24adjacent_difference_implIS3_Lb1ELb0EPlS7_ZN2at6native12_GLOBAL__N_124unique_dim_cuda_templateIbEESt5tupleIJNS8_6TensorESD_SD_EERKSD_lbbbEUlllE1_EE10hipError_tPvRmT2_T3_mT4_P12ihipStream_tbEUlT_E_NS1_11comp_targetILNS1_3genE10ELNS1_11target_archE1201ELNS1_3gpuE5ELNS1_3repE0EEENS1_30default_config_static_selectorELNS0_4arch9wavefront6targetE0EEEvT1_,"axG",@progbits,_ZN7rocprim17ROCPRIM_400000_NS6detail17trampoline_kernelINS0_14default_configENS1_35adjacent_difference_config_selectorILb1ElEEZNS1_24adjacent_difference_implIS3_Lb1ELb0EPlS7_ZN2at6native12_GLOBAL__N_124unique_dim_cuda_templateIbEESt5tupleIJNS8_6TensorESD_SD_EERKSD_lbbbEUlllE1_EE10hipError_tPvRmT2_T3_mT4_P12ihipStream_tbEUlT_E_NS1_11comp_targetILNS1_3genE10ELNS1_11target_archE1201ELNS1_3gpuE5ELNS1_3repE0EEENS1_30default_config_static_selectorELNS0_4arch9wavefront6targetE0EEEvT1_,comdat
	.globl	_ZN7rocprim17ROCPRIM_400000_NS6detail17trampoline_kernelINS0_14default_configENS1_35adjacent_difference_config_selectorILb1ElEEZNS1_24adjacent_difference_implIS3_Lb1ELb0EPlS7_ZN2at6native12_GLOBAL__N_124unique_dim_cuda_templateIbEESt5tupleIJNS8_6TensorESD_SD_EERKSD_lbbbEUlllE1_EE10hipError_tPvRmT2_T3_mT4_P12ihipStream_tbEUlT_E_NS1_11comp_targetILNS1_3genE10ELNS1_11target_archE1201ELNS1_3gpuE5ELNS1_3repE0EEENS1_30default_config_static_selectorELNS0_4arch9wavefront6targetE0EEEvT1_ ; -- Begin function _ZN7rocprim17ROCPRIM_400000_NS6detail17trampoline_kernelINS0_14default_configENS1_35adjacent_difference_config_selectorILb1ElEEZNS1_24adjacent_difference_implIS3_Lb1ELb0EPlS7_ZN2at6native12_GLOBAL__N_124unique_dim_cuda_templateIbEESt5tupleIJNS8_6TensorESD_SD_EERKSD_lbbbEUlllE1_EE10hipError_tPvRmT2_T3_mT4_P12ihipStream_tbEUlT_E_NS1_11comp_targetILNS1_3genE10ELNS1_11target_archE1201ELNS1_3gpuE5ELNS1_3repE0EEENS1_30default_config_static_selectorELNS0_4arch9wavefront6targetE0EEEvT1_
	.p2align	8
	.type	_ZN7rocprim17ROCPRIM_400000_NS6detail17trampoline_kernelINS0_14default_configENS1_35adjacent_difference_config_selectorILb1ElEEZNS1_24adjacent_difference_implIS3_Lb1ELb0EPlS7_ZN2at6native12_GLOBAL__N_124unique_dim_cuda_templateIbEESt5tupleIJNS8_6TensorESD_SD_EERKSD_lbbbEUlllE1_EE10hipError_tPvRmT2_T3_mT4_P12ihipStream_tbEUlT_E_NS1_11comp_targetILNS1_3genE10ELNS1_11target_archE1201ELNS1_3gpuE5ELNS1_3repE0EEENS1_30default_config_static_selectorELNS0_4arch9wavefront6targetE0EEEvT1_,@function
_ZN7rocprim17ROCPRIM_400000_NS6detail17trampoline_kernelINS0_14default_configENS1_35adjacent_difference_config_selectorILb1ElEEZNS1_24adjacent_difference_implIS3_Lb1ELb0EPlS7_ZN2at6native12_GLOBAL__N_124unique_dim_cuda_templateIbEESt5tupleIJNS8_6TensorESD_SD_EERKSD_lbbbEUlllE1_EE10hipError_tPvRmT2_T3_mT4_P12ihipStream_tbEUlT_E_NS1_11comp_targetILNS1_3genE10ELNS1_11target_archE1201ELNS1_3gpuE5ELNS1_3repE0EEENS1_30default_config_static_selectorELNS0_4arch9wavefront6targetE0EEEvT1_: ; @_ZN7rocprim17ROCPRIM_400000_NS6detail17trampoline_kernelINS0_14default_configENS1_35adjacent_difference_config_selectorILb1ElEEZNS1_24adjacent_difference_implIS3_Lb1ELb0EPlS7_ZN2at6native12_GLOBAL__N_124unique_dim_cuda_templateIbEESt5tupleIJNS8_6TensorESD_SD_EERKSD_lbbbEUlllE1_EE10hipError_tPvRmT2_T3_mT4_P12ihipStream_tbEUlT_E_NS1_11comp_targetILNS1_3genE10ELNS1_11target_archE1201ELNS1_3gpuE5ELNS1_3repE0EEENS1_30default_config_static_selectorELNS0_4arch9wavefront6targetE0EEEvT1_
; %bb.0:
	.section	.rodata,"a",@progbits
	.p2align	6, 0x0
	.amdhsa_kernel _ZN7rocprim17ROCPRIM_400000_NS6detail17trampoline_kernelINS0_14default_configENS1_35adjacent_difference_config_selectorILb1ElEEZNS1_24adjacent_difference_implIS3_Lb1ELb0EPlS7_ZN2at6native12_GLOBAL__N_124unique_dim_cuda_templateIbEESt5tupleIJNS8_6TensorESD_SD_EERKSD_lbbbEUlllE1_EE10hipError_tPvRmT2_T3_mT4_P12ihipStream_tbEUlT_E_NS1_11comp_targetILNS1_3genE10ELNS1_11target_archE1201ELNS1_3gpuE5ELNS1_3repE0EEENS1_30default_config_static_selectorELNS0_4arch9wavefront6targetE0EEEvT1_
		.amdhsa_group_segment_fixed_size 0
		.amdhsa_private_segment_fixed_size 0
		.amdhsa_kernarg_size 64
		.amdhsa_user_sgpr_count 15
		.amdhsa_user_sgpr_dispatch_ptr 0
		.amdhsa_user_sgpr_queue_ptr 0
		.amdhsa_user_sgpr_kernarg_segment_ptr 1
		.amdhsa_user_sgpr_dispatch_id 0
		.amdhsa_user_sgpr_private_segment_size 0
		.amdhsa_wavefront_size32 1
		.amdhsa_uses_dynamic_stack 0
		.amdhsa_enable_private_segment 0
		.amdhsa_system_sgpr_workgroup_id_x 1
		.amdhsa_system_sgpr_workgroup_id_y 0
		.amdhsa_system_sgpr_workgroup_id_z 0
		.amdhsa_system_sgpr_workgroup_info 0
		.amdhsa_system_vgpr_workitem_id 0
		.amdhsa_next_free_vgpr 1
		.amdhsa_next_free_sgpr 1
		.amdhsa_reserve_vcc 0
		.amdhsa_float_round_mode_32 0
		.amdhsa_float_round_mode_16_64 0
		.amdhsa_float_denorm_mode_32 3
		.amdhsa_float_denorm_mode_16_64 3
		.amdhsa_dx10_clamp 1
		.amdhsa_ieee_mode 1
		.amdhsa_fp16_overflow 0
		.amdhsa_workgroup_processor_mode 1
		.amdhsa_memory_ordered 1
		.amdhsa_forward_progress 0
		.amdhsa_shared_vgpr_count 0
		.amdhsa_exception_fp_ieee_invalid_op 0
		.amdhsa_exception_fp_denorm_src 0
		.amdhsa_exception_fp_ieee_div_zero 0
		.amdhsa_exception_fp_ieee_overflow 0
		.amdhsa_exception_fp_ieee_underflow 0
		.amdhsa_exception_fp_ieee_inexact 0
		.amdhsa_exception_int_div_zero 0
	.end_amdhsa_kernel
	.section	.text._ZN7rocprim17ROCPRIM_400000_NS6detail17trampoline_kernelINS0_14default_configENS1_35adjacent_difference_config_selectorILb1ElEEZNS1_24adjacent_difference_implIS3_Lb1ELb0EPlS7_ZN2at6native12_GLOBAL__N_124unique_dim_cuda_templateIbEESt5tupleIJNS8_6TensorESD_SD_EERKSD_lbbbEUlllE1_EE10hipError_tPvRmT2_T3_mT4_P12ihipStream_tbEUlT_E_NS1_11comp_targetILNS1_3genE10ELNS1_11target_archE1201ELNS1_3gpuE5ELNS1_3repE0EEENS1_30default_config_static_selectorELNS0_4arch9wavefront6targetE0EEEvT1_,"axG",@progbits,_ZN7rocprim17ROCPRIM_400000_NS6detail17trampoline_kernelINS0_14default_configENS1_35adjacent_difference_config_selectorILb1ElEEZNS1_24adjacent_difference_implIS3_Lb1ELb0EPlS7_ZN2at6native12_GLOBAL__N_124unique_dim_cuda_templateIbEESt5tupleIJNS8_6TensorESD_SD_EERKSD_lbbbEUlllE1_EE10hipError_tPvRmT2_T3_mT4_P12ihipStream_tbEUlT_E_NS1_11comp_targetILNS1_3genE10ELNS1_11target_archE1201ELNS1_3gpuE5ELNS1_3repE0EEENS1_30default_config_static_selectorELNS0_4arch9wavefront6targetE0EEEvT1_,comdat
.Lfunc_end1044:
	.size	_ZN7rocprim17ROCPRIM_400000_NS6detail17trampoline_kernelINS0_14default_configENS1_35adjacent_difference_config_selectorILb1ElEEZNS1_24adjacent_difference_implIS3_Lb1ELb0EPlS7_ZN2at6native12_GLOBAL__N_124unique_dim_cuda_templateIbEESt5tupleIJNS8_6TensorESD_SD_EERKSD_lbbbEUlllE1_EE10hipError_tPvRmT2_T3_mT4_P12ihipStream_tbEUlT_E_NS1_11comp_targetILNS1_3genE10ELNS1_11target_archE1201ELNS1_3gpuE5ELNS1_3repE0EEENS1_30default_config_static_selectorELNS0_4arch9wavefront6targetE0EEEvT1_, .Lfunc_end1044-_ZN7rocprim17ROCPRIM_400000_NS6detail17trampoline_kernelINS0_14default_configENS1_35adjacent_difference_config_selectorILb1ElEEZNS1_24adjacent_difference_implIS3_Lb1ELb0EPlS7_ZN2at6native12_GLOBAL__N_124unique_dim_cuda_templateIbEESt5tupleIJNS8_6TensorESD_SD_EERKSD_lbbbEUlllE1_EE10hipError_tPvRmT2_T3_mT4_P12ihipStream_tbEUlT_E_NS1_11comp_targetILNS1_3genE10ELNS1_11target_archE1201ELNS1_3gpuE5ELNS1_3repE0EEENS1_30default_config_static_selectorELNS0_4arch9wavefront6targetE0EEEvT1_
                                        ; -- End function
	.section	.AMDGPU.csdata,"",@progbits
; Kernel info:
; codeLenInByte = 0
; NumSgprs: 0
; NumVgprs: 0
; ScratchSize: 0
; MemoryBound: 0
; FloatMode: 240
; IeeeMode: 1
; LDSByteSize: 0 bytes/workgroup (compile time only)
; SGPRBlocks: 0
; VGPRBlocks: 0
; NumSGPRsForWavesPerEU: 1
; NumVGPRsForWavesPerEU: 1
; Occupancy: 16
; WaveLimiterHint : 0
; COMPUTE_PGM_RSRC2:SCRATCH_EN: 0
; COMPUTE_PGM_RSRC2:USER_SGPR: 15
; COMPUTE_PGM_RSRC2:TRAP_HANDLER: 0
; COMPUTE_PGM_RSRC2:TGID_X_EN: 1
; COMPUTE_PGM_RSRC2:TGID_Y_EN: 0
; COMPUTE_PGM_RSRC2:TGID_Z_EN: 0
; COMPUTE_PGM_RSRC2:TIDIG_COMP_CNT: 0
	.section	.text._ZN7rocprim17ROCPRIM_400000_NS6detail17trampoline_kernelINS0_14default_configENS1_35adjacent_difference_config_selectorILb1ElEEZNS1_24adjacent_difference_implIS3_Lb1ELb0EPlS7_ZN2at6native12_GLOBAL__N_124unique_dim_cuda_templateIbEESt5tupleIJNS8_6TensorESD_SD_EERKSD_lbbbEUlllE1_EE10hipError_tPvRmT2_T3_mT4_P12ihipStream_tbEUlT_E_NS1_11comp_targetILNS1_3genE5ELNS1_11target_archE942ELNS1_3gpuE9ELNS1_3repE0EEENS1_30default_config_static_selectorELNS0_4arch9wavefront6targetE0EEEvT1_,"axG",@progbits,_ZN7rocprim17ROCPRIM_400000_NS6detail17trampoline_kernelINS0_14default_configENS1_35adjacent_difference_config_selectorILb1ElEEZNS1_24adjacent_difference_implIS3_Lb1ELb0EPlS7_ZN2at6native12_GLOBAL__N_124unique_dim_cuda_templateIbEESt5tupleIJNS8_6TensorESD_SD_EERKSD_lbbbEUlllE1_EE10hipError_tPvRmT2_T3_mT4_P12ihipStream_tbEUlT_E_NS1_11comp_targetILNS1_3genE5ELNS1_11target_archE942ELNS1_3gpuE9ELNS1_3repE0EEENS1_30default_config_static_selectorELNS0_4arch9wavefront6targetE0EEEvT1_,comdat
	.globl	_ZN7rocprim17ROCPRIM_400000_NS6detail17trampoline_kernelINS0_14default_configENS1_35adjacent_difference_config_selectorILb1ElEEZNS1_24adjacent_difference_implIS3_Lb1ELb0EPlS7_ZN2at6native12_GLOBAL__N_124unique_dim_cuda_templateIbEESt5tupleIJNS8_6TensorESD_SD_EERKSD_lbbbEUlllE1_EE10hipError_tPvRmT2_T3_mT4_P12ihipStream_tbEUlT_E_NS1_11comp_targetILNS1_3genE5ELNS1_11target_archE942ELNS1_3gpuE9ELNS1_3repE0EEENS1_30default_config_static_selectorELNS0_4arch9wavefront6targetE0EEEvT1_ ; -- Begin function _ZN7rocprim17ROCPRIM_400000_NS6detail17trampoline_kernelINS0_14default_configENS1_35adjacent_difference_config_selectorILb1ElEEZNS1_24adjacent_difference_implIS3_Lb1ELb0EPlS7_ZN2at6native12_GLOBAL__N_124unique_dim_cuda_templateIbEESt5tupleIJNS8_6TensorESD_SD_EERKSD_lbbbEUlllE1_EE10hipError_tPvRmT2_T3_mT4_P12ihipStream_tbEUlT_E_NS1_11comp_targetILNS1_3genE5ELNS1_11target_archE942ELNS1_3gpuE9ELNS1_3repE0EEENS1_30default_config_static_selectorELNS0_4arch9wavefront6targetE0EEEvT1_
	.p2align	8
	.type	_ZN7rocprim17ROCPRIM_400000_NS6detail17trampoline_kernelINS0_14default_configENS1_35adjacent_difference_config_selectorILb1ElEEZNS1_24adjacent_difference_implIS3_Lb1ELb0EPlS7_ZN2at6native12_GLOBAL__N_124unique_dim_cuda_templateIbEESt5tupleIJNS8_6TensorESD_SD_EERKSD_lbbbEUlllE1_EE10hipError_tPvRmT2_T3_mT4_P12ihipStream_tbEUlT_E_NS1_11comp_targetILNS1_3genE5ELNS1_11target_archE942ELNS1_3gpuE9ELNS1_3repE0EEENS1_30default_config_static_selectorELNS0_4arch9wavefront6targetE0EEEvT1_,@function
_ZN7rocprim17ROCPRIM_400000_NS6detail17trampoline_kernelINS0_14default_configENS1_35adjacent_difference_config_selectorILb1ElEEZNS1_24adjacent_difference_implIS3_Lb1ELb0EPlS7_ZN2at6native12_GLOBAL__N_124unique_dim_cuda_templateIbEESt5tupleIJNS8_6TensorESD_SD_EERKSD_lbbbEUlllE1_EE10hipError_tPvRmT2_T3_mT4_P12ihipStream_tbEUlT_E_NS1_11comp_targetILNS1_3genE5ELNS1_11target_archE942ELNS1_3gpuE9ELNS1_3repE0EEENS1_30default_config_static_selectorELNS0_4arch9wavefront6targetE0EEEvT1_: ; @_ZN7rocprim17ROCPRIM_400000_NS6detail17trampoline_kernelINS0_14default_configENS1_35adjacent_difference_config_selectorILb1ElEEZNS1_24adjacent_difference_implIS3_Lb1ELb0EPlS7_ZN2at6native12_GLOBAL__N_124unique_dim_cuda_templateIbEESt5tupleIJNS8_6TensorESD_SD_EERKSD_lbbbEUlllE1_EE10hipError_tPvRmT2_T3_mT4_P12ihipStream_tbEUlT_E_NS1_11comp_targetILNS1_3genE5ELNS1_11target_archE942ELNS1_3gpuE9ELNS1_3repE0EEENS1_30default_config_static_selectorELNS0_4arch9wavefront6targetE0EEEvT1_
; %bb.0:
	.section	.rodata,"a",@progbits
	.p2align	6, 0x0
	.amdhsa_kernel _ZN7rocprim17ROCPRIM_400000_NS6detail17trampoline_kernelINS0_14default_configENS1_35adjacent_difference_config_selectorILb1ElEEZNS1_24adjacent_difference_implIS3_Lb1ELb0EPlS7_ZN2at6native12_GLOBAL__N_124unique_dim_cuda_templateIbEESt5tupleIJNS8_6TensorESD_SD_EERKSD_lbbbEUlllE1_EE10hipError_tPvRmT2_T3_mT4_P12ihipStream_tbEUlT_E_NS1_11comp_targetILNS1_3genE5ELNS1_11target_archE942ELNS1_3gpuE9ELNS1_3repE0EEENS1_30default_config_static_selectorELNS0_4arch9wavefront6targetE0EEEvT1_
		.amdhsa_group_segment_fixed_size 0
		.amdhsa_private_segment_fixed_size 0
		.amdhsa_kernarg_size 64
		.amdhsa_user_sgpr_count 15
		.amdhsa_user_sgpr_dispatch_ptr 0
		.amdhsa_user_sgpr_queue_ptr 0
		.amdhsa_user_sgpr_kernarg_segment_ptr 1
		.amdhsa_user_sgpr_dispatch_id 0
		.amdhsa_user_sgpr_private_segment_size 0
		.amdhsa_wavefront_size32 1
		.amdhsa_uses_dynamic_stack 0
		.amdhsa_enable_private_segment 0
		.amdhsa_system_sgpr_workgroup_id_x 1
		.amdhsa_system_sgpr_workgroup_id_y 0
		.amdhsa_system_sgpr_workgroup_id_z 0
		.amdhsa_system_sgpr_workgroup_info 0
		.amdhsa_system_vgpr_workitem_id 0
		.amdhsa_next_free_vgpr 1
		.amdhsa_next_free_sgpr 1
		.amdhsa_reserve_vcc 0
		.amdhsa_float_round_mode_32 0
		.amdhsa_float_round_mode_16_64 0
		.amdhsa_float_denorm_mode_32 3
		.amdhsa_float_denorm_mode_16_64 3
		.amdhsa_dx10_clamp 1
		.amdhsa_ieee_mode 1
		.amdhsa_fp16_overflow 0
		.amdhsa_workgroup_processor_mode 1
		.amdhsa_memory_ordered 1
		.amdhsa_forward_progress 0
		.amdhsa_shared_vgpr_count 0
		.amdhsa_exception_fp_ieee_invalid_op 0
		.amdhsa_exception_fp_denorm_src 0
		.amdhsa_exception_fp_ieee_div_zero 0
		.amdhsa_exception_fp_ieee_overflow 0
		.amdhsa_exception_fp_ieee_underflow 0
		.amdhsa_exception_fp_ieee_inexact 0
		.amdhsa_exception_int_div_zero 0
	.end_amdhsa_kernel
	.section	.text._ZN7rocprim17ROCPRIM_400000_NS6detail17trampoline_kernelINS0_14default_configENS1_35adjacent_difference_config_selectorILb1ElEEZNS1_24adjacent_difference_implIS3_Lb1ELb0EPlS7_ZN2at6native12_GLOBAL__N_124unique_dim_cuda_templateIbEESt5tupleIJNS8_6TensorESD_SD_EERKSD_lbbbEUlllE1_EE10hipError_tPvRmT2_T3_mT4_P12ihipStream_tbEUlT_E_NS1_11comp_targetILNS1_3genE5ELNS1_11target_archE942ELNS1_3gpuE9ELNS1_3repE0EEENS1_30default_config_static_selectorELNS0_4arch9wavefront6targetE0EEEvT1_,"axG",@progbits,_ZN7rocprim17ROCPRIM_400000_NS6detail17trampoline_kernelINS0_14default_configENS1_35adjacent_difference_config_selectorILb1ElEEZNS1_24adjacent_difference_implIS3_Lb1ELb0EPlS7_ZN2at6native12_GLOBAL__N_124unique_dim_cuda_templateIbEESt5tupleIJNS8_6TensorESD_SD_EERKSD_lbbbEUlllE1_EE10hipError_tPvRmT2_T3_mT4_P12ihipStream_tbEUlT_E_NS1_11comp_targetILNS1_3genE5ELNS1_11target_archE942ELNS1_3gpuE9ELNS1_3repE0EEENS1_30default_config_static_selectorELNS0_4arch9wavefront6targetE0EEEvT1_,comdat
.Lfunc_end1045:
	.size	_ZN7rocprim17ROCPRIM_400000_NS6detail17trampoline_kernelINS0_14default_configENS1_35adjacent_difference_config_selectorILb1ElEEZNS1_24adjacent_difference_implIS3_Lb1ELb0EPlS7_ZN2at6native12_GLOBAL__N_124unique_dim_cuda_templateIbEESt5tupleIJNS8_6TensorESD_SD_EERKSD_lbbbEUlllE1_EE10hipError_tPvRmT2_T3_mT4_P12ihipStream_tbEUlT_E_NS1_11comp_targetILNS1_3genE5ELNS1_11target_archE942ELNS1_3gpuE9ELNS1_3repE0EEENS1_30default_config_static_selectorELNS0_4arch9wavefront6targetE0EEEvT1_, .Lfunc_end1045-_ZN7rocprim17ROCPRIM_400000_NS6detail17trampoline_kernelINS0_14default_configENS1_35adjacent_difference_config_selectorILb1ElEEZNS1_24adjacent_difference_implIS3_Lb1ELb0EPlS7_ZN2at6native12_GLOBAL__N_124unique_dim_cuda_templateIbEESt5tupleIJNS8_6TensorESD_SD_EERKSD_lbbbEUlllE1_EE10hipError_tPvRmT2_T3_mT4_P12ihipStream_tbEUlT_E_NS1_11comp_targetILNS1_3genE5ELNS1_11target_archE942ELNS1_3gpuE9ELNS1_3repE0EEENS1_30default_config_static_selectorELNS0_4arch9wavefront6targetE0EEEvT1_
                                        ; -- End function
	.section	.AMDGPU.csdata,"",@progbits
; Kernel info:
; codeLenInByte = 0
; NumSgprs: 0
; NumVgprs: 0
; ScratchSize: 0
; MemoryBound: 0
; FloatMode: 240
; IeeeMode: 1
; LDSByteSize: 0 bytes/workgroup (compile time only)
; SGPRBlocks: 0
; VGPRBlocks: 0
; NumSGPRsForWavesPerEU: 1
; NumVGPRsForWavesPerEU: 1
; Occupancy: 16
; WaveLimiterHint : 0
; COMPUTE_PGM_RSRC2:SCRATCH_EN: 0
; COMPUTE_PGM_RSRC2:USER_SGPR: 15
; COMPUTE_PGM_RSRC2:TRAP_HANDLER: 0
; COMPUTE_PGM_RSRC2:TGID_X_EN: 1
; COMPUTE_PGM_RSRC2:TGID_Y_EN: 0
; COMPUTE_PGM_RSRC2:TGID_Z_EN: 0
; COMPUTE_PGM_RSRC2:TIDIG_COMP_CNT: 0
	.section	.text._ZN7rocprim17ROCPRIM_400000_NS6detail17trampoline_kernelINS0_14default_configENS1_35adjacent_difference_config_selectorILb1ElEEZNS1_24adjacent_difference_implIS3_Lb1ELb0EPlS7_ZN2at6native12_GLOBAL__N_124unique_dim_cuda_templateIbEESt5tupleIJNS8_6TensorESD_SD_EERKSD_lbbbEUlllE1_EE10hipError_tPvRmT2_T3_mT4_P12ihipStream_tbEUlT_E_NS1_11comp_targetILNS1_3genE4ELNS1_11target_archE910ELNS1_3gpuE8ELNS1_3repE0EEENS1_30default_config_static_selectorELNS0_4arch9wavefront6targetE0EEEvT1_,"axG",@progbits,_ZN7rocprim17ROCPRIM_400000_NS6detail17trampoline_kernelINS0_14default_configENS1_35adjacent_difference_config_selectorILb1ElEEZNS1_24adjacent_difference_implIS3_Lb1ELb0EPlS7_ZN2at6native12_GLOBAL__N_124unique_dim_cuda_templateIbEESt5tupleIJNS8_6TensorESD_SD_EERKSD_lbbbEUlllE1_EE10hipError_tPvRmT2_T3_mT4_P12ihipStream_tbEUlT_E_NS1_11comp_targetILNS1_3genE4ELNS1_11target_archE910ELNS1_3gpuE8ELNS1_3repE0EEENS1_30default_config_static_selectorELNS0_4arch9wavefront6targetE0EEEvT1_,comdat
	.globl	_ZN7rocprim17ROCPRIM_400000_NS6detail17trampoline_kernelINS0_14default_configENS1_35adjacent_difference_config_selectorILb1ElEEZNS1_24adjacent_difference_implIS3_Lb1ELb0EPlS7_ZN2at6native12_GLOBAL__N_124unique_dim_cuda_templateIbEESt5tupleIJNS8_6TensorESD_SD_EERKSD_lbbbEUlllE1_EE10hipError_tPvRmT2_T3_mT4_P12ihipStream_tbEUlT_E_NS1_11comp_targetILNS1_3genE4ELNS1_11target_archE910ELNS1_3gpuE8ELNS1_3repE0EEENS1_30default_config_static_selectorELNS0_4arch9wavefront6targetE0EEEvT1_ ; -- Begin function _ZN7rocprim17ROCPRIM_400000_NS6detail17trampoline_kernelINS0_14default_configENS1_35adjacent_difference_config_selectorILb1ElEEZNS1_24adjacent_difference_implIS3_Lb1ELb0EPlS7_ZN2at6native12_GLOBAL__N_124unique_dim_cuda_templateIbEESt5tupleIJNS8_6TensorESD_SD_EERKSD_lbbbEUlllE1_EE10hipError_tPvRmT2_T3_mT4_P12ihipStream_tbEUlT_E_NS1_11comp_targetILNS1_3genE4ELNS1_11target_archE910ELNS1_3gpuE8ELNS1_3repE0EEENS1_30default_config_static_selectorELNS0_4arch9wavefront6targetE0EEEvT1_
	.p2align	8
	.type	_ZN7rocprim17ROCPRIM_400000_NS6detail17trampoline_kernelINS0_14default_configENS1_35adjacent_difference_config_selectorILb1ElEEZNS1_24adjacent_difference_implIS3_Lb1ELb0EPlS7_ZN2at6native12_GLOBAL__N_124unique_dim_cuda_templateIbEESt5tupleIJNS8_6TensorESD_SD_EERKSD_lbbbEUlllE1_EE10hipError_tPvRmT2_T3_mT4_P12ihipStream_tbEUlT_E_NS1_11comp_targetILNS1_3genE4ELNS1_11target_archE910ELNS1_3gpuE8ELNS1_3repE0EEENS1_30default_config_static_selectorELNS0_4arch9wavefront6targetE0EEEvT1_,@function
_ZN7rocprim17ROCPRIM_400000_NS6detail17trampoline_kernelINS0_14default_configENS1_35adjacent_difference_config_selectorILb1ElEEZNS1_24adjacent_difference_implIS3_Lb1ELb0EPlS7_ZN2at6native12_GLOBAL__N_124unique_dim_cuda_templateIbEESt5tupleIJNS8_6TensorESD_SD_EERKSD_lbbbEUlllE1_EE10hipError_tPvRmT2_T3_mT4_P12ihipStream_tbEUlT_E_NS1_11comp_targetILNS1_3genE4ELNS1_11target_archE910ELNS1_3gpuE8ELNS1_3repE0EEENS1_30default_config_static_selectorELNS0_4arch9wavefront6targetE0EEEvT1_: ; @_ZN7rocprim17ROCPRIM_400000_NS6detail17trampoline_kernelINS0_14default_configENS1_35adjacent_difference_config_selectorILb1ElEEZNS1_24adjacent_difference_implIS3_Lb1ELb0EPlS7_ZN2at6native12_GLOBAL__N_124unique_dim_cuda_templateIbEESt5tupleIJNS8_6TensorESD_SD_EERKSD_lbbbEUlllE1_EE10hipError_tPvRmT2_T3_mT4_P12ihipStream_tbEUlT_E_NS1_11comp_targetILNS1_3genE4ELNS1_11target_archE910ELNS1_3gpuE8ELNS1_3repE0EEENS1_30default_config_static_selectorELNS0_4arch9wavefront6targetE0EEEvT1_
; %bb.0:
	.section	.rodata,"a",@progbits
	.p2align	6, 0x0
	.amdhsa_kernel _ZN7rocprim17ROCPRIM_400000_NS6detail17trampoline_kernelINS0_14default_configENS1_35adjacent_difference_config_selectorILb1ElEEZNS1_24adjacent_difference_implIS3_Lb1ELb0EPlS7_ZN2at6native12_GLOBAL__N_124unique_dim_cuda_templateIbEESt5tupleIJNS8_6TensorESD_SD_EERKSD_lbbbEUlllE1_EE10hipError_tPvRmT2_T3_mT4_P12ihipStream_tbEUlT_E_NS1_11comp_targetILNS1_3genE4ELNS1_11target_archE910ELNS1_3gpuE8ELNS1_3repE0EEENS1_30default_config_static_selectorELNS0_4arch9wavefront6targetE0EEEvT1_
		.amdhsa_group_segment_fixed_size 0
		.amdhsa_private_segment_fixed_size 0
		.amdhsa_kernarg_size 64
		.amdhsa_user_sgpr_count 15
		.amdhsa_user_sgpr_dispatch_ptr 0
		.amdhsa_user_sgpr_queue_ptr 0
		.amdhsa_user_sgpr_kernarg_segment_ptr 1
		.amdhsa_user_sgpr_dispatch_id 0
		.amdhsa_user_sgpr_private_segment_size 0
		.amdhsa_wavefront_size32 1
		.amdhsa_uses_dynamic_stack 0
		.amdhsa_enable_private_segment 0
		.amdhsa_system_sgpr_workgroup_id_x 1
		.amdhsa_system_sgpr_workgroup_id_y 0
		.amdhsa_system_sgpr_workgroup_id_z 0
		.amdhsa_system_sgpr_workgroup_info 0
		.amdhsa_system_vgpr_workitem_id 0
		.amdhsa_next_free_vgpr 1
		.amdhsa_next_free_sgpr 1
		.amdhsa_reserve_vcc 0
		.amdhsa_float_round_mode_32 0
		.amdhsa_float_round_mode_16_64 0
		.amdhsa_float_denorm_mode_32 3
		.amdhsa_float_denorm_mode_16_64 3
		.amdhsa_dx10_clamp 1
		.amdhsa_ieee_mode 1
		.amdhsa_fp16_overflow 0
		.amdhsa_workgroup_processor_mode 1
		.amdhsa_memory_ordered 1
		.amdhsa_forward_progress 0
		.amdhsa_shared_vgpr_count 0
		.amdhsa_exception_fp_ieee_invalid_op 0
		.amdhsa_exception_fp_denorm_src 0
		.amdhsa_exception_fp_ieee_div_zero 0
		.amdhsa_exception_fp_ieee_overflow 0
		.amdhsa_exception_fp_ieee_underflow 0
		.amdhsa_exception_fp_ieee_inexact 0
		.amdhsa_exception_int_div_zero 0
	.end_amdhsa_kernel
	.section	.text._ZN7rocprim17ROCPRIM_400000_NS6detail17trampoline_kernelINS0_14default_configENS1_35adjacent_difference_config_selectorILb1ElEEZNS1_24adjacent_difference_implIS3_Lb1ELb0EPlS7_ZN2at6native12_GLOBAL__N_124unique_dim_cuda_templateIbEESt5tupleIJNS8_6TensorESD_SD_EERKSD_lbbbEUlllE1_EE10hipError_tPvRmT2_T3_mT4_P12ihipStream_tbEUlT_E_NS1_11comp_targetILNS1_3genE4ELNS1_11target_archE910ELNS1_3gpuE8ELNS1_3repE0EEENS1_30default_config_static_selectorELNS0_4arch9wavefront6targetE0EEEvT1_,"axG",@progbits,_ZN7rocprim17ROCPRIM_400000_NS6detail17trampoline_kernelINS0_14default_configENS1_35adjacent_difference_config_selectorILb1ElEEZNS1_24adjacent_difference_implIS3_Lb1ELb0EPlS7_ZN2at6native12_GLOBAL__N_124unique_dim_cuda_templateIbEESt5tupleIJNS8_6TensorESD_SD_EERKSD_lbbbEUlllE1_EE10hipError_tPvRmT2_T3_mT4_P12ihipStream_tbEUlT_E_NS1_11comp_targetILNS1_3genE4ELNS1_11target_archE910ELNS1_3gpuE8ELNS1_3repE0EEENS1_30default_config_static_selectorELNS0_4arch9wavefront6targetE0EEEvT1_,comdat
.Lfunc_end1046:
	.size	_ZN7rocprim17ROCPRIM_400000_NS6detail17trampoline_kernelINS0_14default_configENS1_35adjacent_difference_config_selectorILb1ElEEZNS1_24adjacent_difference_implIS3_Lb1ELb0EPlS7_ZN2at6native12_GLOBAL__N_124unique_dim_cuda_templateIbEESt5tupleIJNS8_6TensorESD_SD_EERKSD_lbbbEUlllE1_EE10hipError_tPvRmT2_T3_mT4_P12ihipStream_tbEUlT_E_NS1_11comp_targetILNS1_3genE4ELNS1_11target_archE910ELNS1_3gpuE8ELNS1_3repE0EEENS1_30default_config_static_selectorELNS0_4arch9wavefront6targetE0EEEvT1_, .Lfunc_end1046-_ZN7rocprim17ROCPRIM_400000_NS6detail17trampoline_kernelINS0_14default_configENS1_35adjacent_difference_config_selectorILb1ElEEZNS1_24adjacent_difference_implIS3_Lb1ELb0EPlS7_ZN2at6native12_GLOBAL__N_124unique_dim_cuda_templateIbEESt5tupleIJNS8_6TensorESD_SD_EERKSD_lbbbEUlllE1_EE10hipError_tPvRmT2_T3_mT4_P12ihipStream_tbEUlT_E_NS1_11comp_targetILNS1_3genE4ELNS1_11target_archE910ELNS1_3gpuE8ELNS1_3repE0EEENS1_30default_config_static_selectorELNS0_4arch9wavefront6targetE0EEEvT1_
                                        ; -- End function
	.section	.AMDGPU.csdata,"",@progbits
; Kernel info:
; codeLenInByte = 0
; NumSgprs: 0
; NumVgprs: 0
; ScratchSize: 0
; MemoryBound: 0
; FloatMode: 240
; IeeeMode: 1
; LDSByteSize: 0 bytes/workgroup (compile time only)
; SGPRBlocks: 0
; VGPRBlocks: 0
; NumSGPRsForWavesPerEU: 1
; NumVGPRsForWavesPerEU: 1
; Occupancy: 16
; WaveLimiterHint : 0
; COMPUTE_PGM_RSRC2:SCRATCH_EN: 0
; COMPUTE_PGM_RSRC2:USER_SGPR: 15
; COMPUTE_PGM_RSRC2:TRAP_HANDLER: 0
; COMPUTE_PGM_RSRC2:TGID_X_EN: 1
; COMPUTE_PGM_RSRC2:TGID_Y_EN: 0
; COMPUTE_PGM_RSRC2:TGID_Z_EN: 0
; COMPUTE_PGM_RSRC2:TIDIG_COMP_CNT: 0
	.section	.text._ZN7rocprim17ROCPRIM_400000_NS6detail17trampoline_kernelINS0_14default_configENS1_35adjacent_difference_config_selectorILb1ElEEZNS1_24adjacent_difference_implIS3_Lb1ELb0EPlS7_ZN2at6native12_GLOBAL__N_124unique_dim_cuda_templateIbEESt5tupleIJNS8_6TensorESD_SD_EERKSD_lbbbEUlllE1_EE10hipError_tPvRmT2_T3_mT4_P12ihipStream_tbEUlT_E_NS1_11comp_targetILNS1_3genE3ELNS1_11target_archE908ELNS1_3gpuE7ELNS1_3repE0EEENS1_30default_config_static_selectorELNS0_4arch9wavefront6targetE0EEEvT1_,"axG",@progbits,_ZN7rocprim17ROCPRIM_400000_NS6detail17trampoline_kernelINS0_14default_configENS1_35adjacent_difference_config_selectorILb1ElEEZNS1_24adjacent_difference_implIS3_Lb1ELb0EPlS7_ZN2at6native12_GLOBAL__N_124unique_dim_cuda_templateIbEESt5tupleIJNS8_6TensorESD_SD_EERKSD_lbbbEUlllE1_EE10hipError_tPvRmT2_T3_mT4_P12ihipStream_tbEUlT_E_NS1_11comp_targetILNS1_3genE3ELNS1_11target_archE908ELNS1_3gpuE7ELNS1_3repE0EEENS1_30default_config_static_selectorELNS0_4arch9wavefront6targetE0EEEvT1_,comdat
	.globl	_ZN7rocprim17ROCPRIM_400000_NS6detail17trampoline_kernelINS0_14default_configENS1_35adjacent_difference_config_selectorILb1ElEEZNS1_24adjacent_difference_implIS3_Lb1ELb0EPlS7_ZN2at6native12_GLOBAL__N_124unique_dim_cuda_templateIbEESt5tupleIJNS8_6TensorESD_SD_EERKSD_lbbbEUlllE1_EE10hipError_tPvRmT2_T3_mT4_P12ihipStream_tbEUlT_E_NS1_11comp_targetILNS1_3genE3ELNS1_11target_archE908ELNS1_3gpuE7ELNS1_3repE0EEENS1_30default_config_static_selectorELNS0_4arch9wavefront6targetE0EEEvT1_ ; -- Begin function _ZN7rocprim17ROCPRIM_400000_NS6detail17trampoline_kernelINS0_14default_configENS1_35adjacent_difference_config_selectorILb1ElEEZNS1_24adjacent_difference_implIS3_Lb1ELb0EPlS7_ZN2at6native12_GLOBAL__N_124unique_dim_cuda_templateIbEESt5tupleIJNS8_6TensorESD_SD_EERKSD_lbbbEUlllE1_EE10hipError_tPvRmT2_T3_mT4_P12ihipStream_tbEUlT_E_NS1_11comp_targetILNS1_3genE3ELNS1_11target_archE908ELNS1_3gpuE7ELNS1_3repE0EEENS1_30default_config_static_selectorELNS0_4arch9wavefront6targetE0EEEvT1_
	.p2align	8
	.type	_ZN7rocprim17ROCPRIM_400000_NS6detail17trampoline_kernelINS0_14default_configENS1_35adjacent_difference_config_selectorILb1ElEEZNS1_24adjacent_difference_implIS3_Lb1ELb0EPlS7_ZN2at6native12_GLOBAL__N_124unique_dim_cuda_templateIbEESt5tupleIJNS8_6TensorESD_SD_EERKSD_lbbbEUlllE1_EE10hipError_tPvRmT2_T3_mT4_P12ihipStream_tbEUlT_E_NS1_11comp_targetILNS1_3genE3ELNS1_11target_archE908ELNS1_3gpuE7ELNS1_3repE0EEENS1_30default_config_static_selectorELNS0_4arch9wavefront6targetE0EEEvT1_,@function
_ZN7rocprim17ROCPRIM_400000_NS6detail17trampoline_kernelINS0_14default_configENS1_35adjacent_difference_config_selectorILb1ElEEZNS1_24adjacent_difference_implIS3_Lb1ELb0EPlS7_ZN2at6native12_GLOBAL__N_124unique_dim_cuda_templateIbEESt5tupleIJNS8_6TensorESD_SD_EERKSD_lbbbEUlllE1_EE10hipError_tPvRmT2_T3_mT4_P12ihipStream_tbEUlT_E_NS1_11comp_targetILNS1_3genE3ELNS1_11target_archE908ELNS1_3gpuE7ELNS1_3repE0EEENS1_30default_config_static_selectorELNS0_4arch9wavefront6targetE0EEEvT1_: ; @_ZN7rocprim17ROCPRIM_400000_NS6detail17trampoline_kernelINS0_14default_configENS1_35adjacent_difference_config_selectorILb1ElEEZNS1_24adjacent_difference_implIS3_Lb1ELb0EPlS7_ZN2at6native12_GLOBAL__N_124unique_dim_cuda_templateIbEESt5tupleIJNS8_6TensorESD_SD_EERKSD_lbbbEUlllE1_EE10hipError_tPvRmT2_T3_mT4_P12ihipStream_tbEUlT_E_NS1_11comp_targetILNS1_3genE3ELNS1_11target_archE908ELNS1_3gpuE7ELNS1_3repE0EEENS1_30default_config_static_selectorELNS0_4arch9wavefront6targetE0EEEvT1_
; %bb.0:
	.section	.rodata,"a",@progbits
	.p2align	6, 0x0
	.amdhsa_kernel _ZN7rocprim17ROCPRIM_400000_NS6detail17trampoline_kernelINS0_14default_configENS1_35adjacent_difference_config_selectorILb1ElEEZNS1_24adjacent_difference_implIS3_Lb1ELb0EPlS7_ZN2at6native12_GLOBAL__N_124unique_dim_cuda_templateIbEESt5tupleIJNS8_6TensorESD_SD_EERKSD_lbbbEUlllE1_EE10hipError_tPvRmT2_T3_mT4_P12ihipStream_tbEUlT_E_NS1_11comp_targetILNS1_3genE3ELNS1_11target_archE908ELNS1_3gpuE7ELNS1_3repE0EEENS1_30default_config_static_selectorELNS0_4arch9wavefront6targetE0EEEvT1_
		.amdhsa_group_segment_fixed_size 0
		.amdhsa_private_segment_fixed_size 0
		.amdhsa_kernarg_size 64
		.amdhsa_user_sgpr_count 15
		.amdhsa_user_sgpr_dispatch_ptr 0
		.amdhsa_user_sgpr_queue_ptr 0
		.amdhsa_user_sgpr_kernarg_segment_ptr 1
		.amdhsa_user_sgpr_dispatch_id 0
		.amdhsa_user_sgpr_private_segment_size 0
		.amdhsa_wavefront_size32 1
		.amdhsa_uses_dynamic_stack 0
		.amdhsa_enable_private_segment 0
		.amdhsa_system_sgpr_workgroup_id_x 1
		.amdhsa_system_sgpr_workgroup_id_y 0
		.amdhsa_system_sgpr_workgroup_id_z 0
		.amdhsa_system_sgpr_workgroup_info 0
		.amdhsa_system_vgpr_workitem_id 0
		.amdhsa_next_free_vgpr 1
		.amdhsa_next_free_sgpr 1
		.amdhsa_reserve_vcc 0
		.amdhsa_float_round_mode_32 0
		.amdhsa_float_round_mode_16_64 0
		.amdhsa_float_denorm_mode_32 3
		.amdhsa_float_denorm_mode_16_64 3
		.amdhsa_dx10_clamp 1
		.amdhsa_ieee_mode 1
		.amdhsa_fp16_overflow 0
		.amdhsa_workgroup_processor_mode 1
		.amdhsa_memory_ordered 1
		.amdhsa_forward_progress 0
		.amdhsa_shared_vgpr_count 0
		.amdhsa_exception_fp_ieee_invalid_op 0
		.amdhsa_exception_fp_denorm_src 0
		.amdhsa_exception_fp_ieee_div_zero 0
		.amdhsa_exception_fp_ieee_overflow 0
		.amdhsa_exception_fp_ieee_underflow 0
		.amdhsa_exception_fp_ieee_inexact 0
		.amdhsa_exception_int_div_zero 0
	.end_amdhsa_kernel
	.section	.text._ZN7rocprim17ROCPRIM_400000_NS6detail17trampoline_kernelINS0_14default_configENS1_35adjacent_difference_config_selectorILb1ElEEZNS1_24adjacent_difference_implIS3_Lb1ELb0EPlS7_ZN2at6native12_GLOBAL__N_124unique_dim_cuda_templateIbEESt5tupleIJNS8_6TensorESD_SD_EERKSD_lbbbEUlllE1_EE10hipError_tPvRmT2_T3_mT4_P12ihipStream_tbEUlT_E_NS1_11comp_targetILNS1_3genE3ELNS1_11target_archE908ELNS1_3gpuE7ELNS1_3repE0EEENS1_30default_config_static_selectorELNS0_4arch9wavefront6targetE0EEEvT1_,"axG",@progbits,_ZN7rocprim17ROCPRIM_400000_NS6detail17trampoline_kernelINS0_14default_configENS1_35adjacent_difference_config_selectorILb1ElEEZNS1_24adjacent_difference_implIS3_Lb1ELb0EPlS7_ZN2at6native12_GLOBAL__N_124unique_dim_cuda_templateIbEESt5tupleIJNS8_6TensorESD_SD_EERKSD_lbbbEUlllE1_EE10hipError_tPvRmT2_T3_mT4_P12ihipStream_tbEUlT_E_NS1_11comp_targetILNS1_3genE3ELNS1_11target_archE908ELNS1_3gpuE7ELNS1_3repE0EEENS1_30default_config_static_selectorELNS0_4arch9wavefront6targetE0EEEvT1_,comdat
.Lfunc_end1047:
	.size	_ZN7rocprim17ROCPRIM_400000_NS6detail17trampoline_kernelINS0_14default_configENS1_35adjacent_difference_config_selectorILb1ElEEZNS1_24adjacent_difference_implIS3_Lb1ELb0EPlS7_ZN2at6native12_GLOBAL__N_124unique_dim_cuda_templateIbEESt5tupleIJNS8_6TensorESD_SD_EERKSD_lbbbEUlllE1_EE10hipError_tPvRmT2_T3_mT4_P12ihipStream_tbEUlT_E_NS1_11comp_targetILNS1_3genE3ELNS1_11target_archE908ELNS1_3gpuE7ELNS1_3repE0EEENS1_30default_config_static_selectorELNS0_4arch9wavefront6targetE0EEEvT1_, .Lfunc_end1047-_ZN7rocprim17ROCPRIM_400000_NS6detail17trampoline_kernelINS0_14default_configENS1_35adjacent_difference_config_selectorILb1ElEEZNS1_24adjacent_difference_implIS3_Lb1ELb0EPlS7_ZN2at6native12_GLOBAL__N_124unique_dim_cuda_templateIbEESt5tupleIJNS8_6TensorESD_SD_EERKSD_lbbbEUlllE1_EE10hipError_tPvRmT2_T3_mT4_P12ihipStream_tbEUlT_E_NS1_11comp_targetILNS1_3genE3ELNS1_11target_archE908ELNS1_3gpuE7ELNS1_3repE0EEENS1_30default_config_static_selectorELNS0_4arch9wavefront6targetE0EEEvT1_
                                        ; -- End function
	.section	.AMDGPU.csdata,"",@progbits
; Kernel info:
; codeLenInByte = 0
; NumSgprs: 0
; NumVgprs: 0
; ScratchSize: 0
; MemoryBound: 0
; FloatMode: 240
; IeeeMode: 1
; LDSByteSize: 0 bytes/workgroup (compile time only)
; SGPRBlocks: 0
; VGPRBlocks: 0
; NumSGPRsForWavesPerEU: 1
; NumVGPRsForWavesPerEU: 1
; Occupancy: 16
; WaveLimiterHint : 0
; COMPUTE_PGM_RSRC2:SCRATCH_EN: 0
; COMPUTE_PGM_RSRC2:USER_SGPR: 15
; COMPUTE_PGM_RSRC2:TRAP_HANDLER: 0
; COMPUTE_PGM_RSRC2:TGID_X_EN: 1
; COMPUTE_PGM_RSRC2:TGID_Y_EN: 0
; COMPUTE_PGM_RSRC2:TGID_Z_EN: 0
; COMPUTE_PGM_RSRC2:TIDIG_COMP_CNT: 0
	.section	.text._ZN7rocprim17ROCPRIM_400000_NS6detail17trampoline_kernelINS0_14default_configENS1_35adjacent_difference_config_selectorILb1ElEEZNS1_24adjacent_difference_implIS3_Lb1ELb0EPlS7_ZN2at6native12_GLOBAL__N_124unique_dim_cuda_templateIbEESt5tupleIJNS8_6TensorESD_SD_EERKSD_lbbbEUlllE1_EE10hipError_tPvRmT2_T3_mT4_P12ihipStream_tbEUlT_E_NS1_11comp_targetILNS1_3genE2ELNS1_11target_archE906ELNS1_3gpuE6ELNS1_3repE0EEENS1_30default_config_static_selectorELNS0_4arch9wavefront6targetE0EEEvT1_,"axG",@progbits,_ZN7rocprim17ROCPRIM_400000_NS6detail17trampoline_kernelINS0_14default_configENS1_35adjacent_difference_config_selectorILb1ElEEZNS1_24adjacent_difference_implIS3_Lb1ELb0EPlS7_ZN2at6native12_GLOBAL__N_124unique_dim_cuda_templateIbEESt5tupleIJNS8_6TensorESD_SD_EERKSD_lbbbEUlllE1_EE10hipError_tPvRmT2_T3_mT4_P12ihipStream_tbEUlT_E_NS1_11comp_targetILNS1_3genE2ELNS1_11target_archE906ELNS1_3gpuE6ELNS1_3repE0EEENS1_30default_config_static_selectorELNS0_4arch9wavefront6targetE0EEEvT1_,comdat
	.globl	_ZN7rocprim17ROCPRIM_400000_NS6detail17trampoline_kernelINS0_14default_configENS1_35adjacent_difference_config_selectorILb1ElEEZNS1_24adjacent_difference_implIS3_Lb1ELb0EPlS7_ZN2at6native12_GLOBAL__N_124unique_dim_cuda_templateIbEESt5tupleIJNS8_6TensorESD_SD_EERKSD_lbbbEUlllE1_EE10hipError_tPvRmT2_T3_mT4_P12ihipStream_tbEUlT_E_NS1_11comp_targetILNS1_3genE2ELNS1_11target_archE906ELNS1_3gpuE6ELNS1_3repE0EEENS1_30default_config_static_selectorELNS0_4arch9wavefront6targetE0EEEvT1_ ; -- Begin function _ZN7rocprim17ROCPRIM_400000_NS6detail17trampoline_kernelINS0_14default_configENS1_35adjacent_difference_config_selectorILb1ElEEZNS1_24adjacent_difference_implIS3_Lb1ELb0EPlS7_ZN2at6native12_GLOBAL__N_124unique_dim_cuda_templateIbEESt5tupleIJNS8_6TensorESD_SD_EERKSD_lbbbEUlllE1_EE10hipError_tPvRmT2_T3_mT4_P12ihipStream_tbEUlT_E_NS1_11comp_targetILNS1_3genE2ELNS1_11target_archE906ELNS1_3gpuE6ELNS1_3repE0EEENS1_30default_config_static_selectorELNS0_4arch9wavefront6targetE0EEEvT1_
	.p2align	8
	.type	_ZN7rocprim17ROCPRIM_400000_NS6detail17trampoline_kernelINS0_14default_configENS1_35adjacent_difference_config_selectorILb1ElEEZNS1_24adjacent_difference_implIS3_Lb1ELb0EPlS7_ZN2at6native12_GLOBAL__N_124unique_dim_cuda_templateIbEESt5tupleIJNS8_6TensorESD_SD_EERKSD_lbbbEUlllE1_EE10hipError_tPvRmT2_T3_mT4_P12ihipStream_tbEUlT_E_NS1_11comp_targetILNS1_3genE2ELNS1_11target_archE906ELNS1_3gpuE6ELNS1_3repE0EEENS1_30default_config_static_selectorELNS0_4arch9wavefront6targetE0EEEvT1_,@function
_ZN7rocprim17ROCPRIM_400000_NS6detail17trampoline_kernelINS0_14default_configENS1_35adjacent_difference_config_selectorILb1ElEEZNS1_24adjacent_difference_implIS3_Lb1ELb0EPlS7_ZN2at6native12_GLOBAL__N_124unique_dim_cuda_templateIbEESt5tupleIJNS8_6TensorESD_SD_EERKSD_lbbbEUlllE1_EE10hipError_tPvRmT2_T3_mT4_P12ihipStream_tbEUlT_E_NS1_11comp_targetILNS1_3genE2ELNS1_11target_archE906ELNS1_3gpuE6ELNS1_3repE0EEENS1_30default_config_static_selectorELNS0_4arch9wavefront6targetE0EEEvT1_: ; @_ZN7rocprim17ROCPRIM_400000_NS6detail17trampoline_kernelINS0_14default_configENS1_35adjacent_difference_config_selectorILb1ElEEZNS1_24adjacent_difference_implIS3_Lb1ELb0EPlS7_ZN2at6native12_GLOBAL__N_124unique_dim_cuda_templateIbEESt5tupleIJNS8_6TensorESD_SD_EERKSD_lbbbEUlllE1_EE10hipError_tPvRmT2_T3_mT4_P12ihipStream_tbEUlT_E_NS1_11comp_targetILNS1_3genE2ELNS1_11target_archE906ELNS1_3gpuE6ELNS1_3repE0EEENS1_30default_config_static_selectorELNS0_4arch9wavefront6targetE0EEEvT1_
; %bb.0:
	.section	.rodata,"a",@progbits
	.p2align	6, 0x0
	.amdhsa_kernel _ZN7rocprim17ROCPRIM_400000_NS6detail17trampoline_kernelINS0_14default_configENS1_35adjacent_difference_config_selectorILb1ElEEZNS1_24adjacent_difference_implIS3_Lb1ELb0EPlS7_ZN2at6native12_GLOBAL__N_124unique_dim_cuda_templateIbEESt5tupleIJNS8_6TensorESD_SD_EERKSD_lbbbEUlllE1_EE10hipError_tPvRmT2_T3_mT4_P12ihipStream_tbEUlT_E_NS1_11comp_targetILNS1_3genE2ELNS1_11target_archE906ELNS1_3gpuE6ELNS1_3repE0EEENS1_30default_config_static_selectorELNS0_4arch9wavefront6targetE0EEEvT1_
		.amdhsa_group_segment_fixed_size 0
		.amdhsa_private_segment_fixed_size 0
		.amdhsa_kernarg_size 64
		.amdhsa_user_sgpr_count 15
		.amdhsa_user_sgpr_dispatch_ptr 0
		.amdhsa_user_sgpr_queue_ptr 0
		.amdhsa_user_sgpr_kernarg_segment_ptr 1
		.amdhsa_user_sgpr_dispatch_id 0
		.amdhsa_user_sgpr_private_segment_size 0
		.amdhsa_wavefront_size32 1
		.amdhsa_uses_dynamic_stack 0
		.amdhsa_enable_private_segment 0
		.amdhsa_system_sgpr_workgroup_id_x 1
		.amdhsa_system_sgpr_workgroup_id_y 0
		.amdhsa_system_sgpr_workgroup_id_z 0
		.amdhsa_system_sgpr_workgroup_info 0
		.amdhsa_system_vgpr_workitem_id 0
		.amdhsa_next_free_vgpr 1
		.amdhsa_next_free_sgpr 1
		.amdhsa_reserve_vcc 0
		.amdhsa_float_round_mode_32 0
		.amdhsa_float_round_mode_16_64 0
		.amdhsa_float_denorm_mode_32 3
		.amdhsa_float_denorm_mode_16_64 3
		.amdhsa_dx10_clamp 1
		.amdhsa_ieee_mode 1
		.amdhsa_fp16_overflow 0
		.amdhsa_workgroup_processor_mode 1
		.amdhsa_memory_ordered 1
		.amdhsa_forward_progress 0
		.amdhsa_shared_vgpr_count 0
		.amdhsa_exception_fp_ieee_invalid_op 0
		.amdhsa_exception_fp_denorm_src 0
		.amdhsa_exception_fp_ieee_div_zero 0
		.amdhsa_exception_fp_ieee_overflow 0
		.amdhsa_exception_fp_ieee_underflow 0
		.amdhsa_exception_fp_ieee_inexact 0
		.amdhsa_exception_int_div_zero 0
	.end_amdhsa_kernel
	.section	.text._ZN7rocprim17ROCPRIM_400000_NS6detail17trampoline_kernelINS0_14default_configENS1_35adjacent_difference_config_selectorILb1ElEEZNS1_24adjacent_difference_implIS3_Lb1ELb0EPlS7_ZN2at6native12_GLOBAL__N_124unique_dim_cuda_templateIbEESt5tupleIJNS8_6TensorESD_SD_EERKSD_lbbbEUlllE1_EE10hipError_tPvRmT2_T3_mT4_P12ihipStream_tbEUlT_E_NS1_11comp_targetILNS1_3genE2ELNS1_11target_archE906ELNS1_3gpuE6ELNS1_3repE0EEENS1_30default_config_static_selectorELNS0_4arch9wavefront6targetE0EEEvT1_,"axG",@progbits,_ZN7rocprim17ROCPRIM_400000_NS6detail17trampoline_kernelINS0_14default_configENS1_35adjacent_difference_config_selectorILb1ElEEZNS1_24adjacent_difference_implIS3_Lb1ELb0EPlS7_ZN2at6native12_GLOBAL__N_124unique_dim_cuda_templateIbEESt5tupleIJNS8_6TensorESD_SD_EERKSD_lbbbEUlllE1_EE10hipError_tPvRmT2_T3_mT4_P12ihipStream_tbEUlT_E_NS1_11comp_targetILNS1_3genE2ELNS1_11target_archE906ELNS1_3gpuE6ELNS1_3repE0EEENS1_30default_config_static_selectorELNS0_4arch9wavefront6targetE0EEEvT1_,comdat
.Lfunc_end1048:
	.size	_ZN7rocprim17ROCPRIM_400000_NS6detail17trampoline_kernelINS0_14default_configENS1_35adjacent_difference_config_selectorILb1ElEEZNS1_24adjacent_difference_implIS3_Lb1ELb0EPlS7_ZN2at6native12_GLOBAL__N_124unique_dim_cuda_templateIbEESt5tupleIJNS8_6TensorESD_SD_EERKSD_lbbbEUlllE1_EE10hipError_tPvRmT2_T3_mT4_P12ihipStream_tbEUlT_E_NS1_11comp_targetILNS1_3genE2ELNS1_11target_archE906ELNS1_3gpuE6ELNS1_3repE0EEENS1_30default_config_static_selectorELNS0_4arch9wavefront6targetE0EEEvT1_, .Lfunc_end1048-_ZN7rocprim17ROCPRIM_400000_NS6detail17trampoline_kernelINS0_14default_configENS1_35adjacent_difference_config_selectorILb1ElEEZNS1_24adjacent_difference_implIS3_Lb1ELb0EPlS7_ZN2at6native12_GLOBAL__N_124unique_dim_cuda_templateIbEESt5tupleIJNS8_6TensorESD_SD_EERKSD_lbbbEUlllE1_EE10hipError_tPvRmT2_T3_mT4_P12ihipStream_tbEUlT_E_NS1_11comp_targetILNS1_3genE2ELNS1_11target_archE906ELNS1_3gpuE6ELNS1_3repE0EEENS1_30default_config_static_selectorELNS0_4arch9wavefront6targetE0EEEvT1_
                                        ; -- End function
	.section	.AMDGPU.csdata,"",@progbits
; Kernel info:
; codeLenInByte = 0
; NumSgprs: 0
; NumVgprs: 0
; ScratchSize: 0
; MemoryBound: 0
; FloatMode: 240
; IeeeMode: 1
; LDSByteSize: 0 bytes/workgroup (compile time only)
; SGPRBlocks: 0
; VGPRBlocks: 0
; NumSGPRsForWavesPerEU: 1
; NumVGPRsForWavesPerEU: 1
; Occupancy: 16
; WaveLimiterHint : 0
; COMPUTE_PGM_RSRC2:SCRATCH_EN: 0
; COMPUTE_PGM_RSRC2:USER_SGPR: 15
; COMPUTE_PGM_RSRC2:TRAP_HANDLER: 0
; COMPUTE_PGM_RSRC2:TGID_X_EN: 1
; COMPUTE_PGM_RSRC2:TGID_Y_EN: 0
; COMPUTE_PGM_RSRC2:TGID_Z_EN: 0
; COMPUTE_PGM_RSRC2:TIDIG_COMP_CNT: 0
	.section	.text._ZN7rocprim17ROCPRIM_400000_NS6detail17trampoline_kernelINS0_14default_configENS1_35adjacent_difference_config_selectorILb1ElEEZNS1_24adjacent_difference_implIS3_Lb1ELb0EPlS7_ZN2at6native12_GLOBAL__N_124unique_dim_cuda_templateIbEESt5tupleIJNS8_6TensorESD_SD_EERKSD_lbbbEUlllE1_EE10hipError_tPvRmT2_T3_mT4_P12ihipStream_tbEUlT_E_NS1_11comp_targetILNS1_3genE9ELNS1_11target_archE1100ELNS1_3gpuE3ELNS1_3repE0EEENS1_30default_config_static_selectorELNS0_4arch9wavefront6targetE0EEEvT1_,"axG",@progbits,_ZN7rocprim17ROCPRIM_400000_NS6detail17trampoline_kernelINS0_14default_configENS1_35adjacent_difference_config_selectorILb1ElEEZNS1_24adjacent_difference_implIS3_Lb1ELb0EPlS7_ZN2at6native12_GLOBAL__N_124unique_dim_cuda_templateIbEESt5tupleIJNS8_6TensorESD_SD_EERKSD_lbbbEUlllE1_EE10hipError_tPvRmT2_T3_mT4_P12ihipStream_tbEUlT_E_NS1_11comp_targetILNS1_3genE9ELNS1_11target_archE1100ELNS1_3gpuE3ELNS1_3repE0EEENS1_30default_config_static_selectorELNS0_4arch9wavefront6targetE0EEEvT1_,comdat
	.globl	_ZN7rocprim17ROCPRIM_400000_NS6detail17trampoline_kernelINS0_14default_configENS1_35adjacent_difference_config_selectorILb1ElEEZNS1_24adjacent_difference_implIS3_Lb1ELb0EPlS7_ZN2at6native12_GLOBAL__N_124unique_dim_cuda_templateIbEESt5tupleIJNS8_6TensorESD_SD_EERKSD_lbbbEUlllE1_EE10hipError_tPvRmT2_T3_mT4_P12ihipStream_tbEUlT_E_NS1_11comp_targetILNS1_3genE9ELNS1_11target_archE1100ELNS1_3gpuE3ELNS1_3repE0EEENS1_30default_config_static_selectorELNS0_4arch9wavefront6targetE0EEEvT1_ ; -- Begin function _ZN7rocprim17ROCPRIM_400000_NS6detail17trampoline_kernelINS0_14default_configENS1_35adjacent_difference_config_selectorILb1ElEEZNS1_24adjacent_difference_implIS3_Lb1ELb0EPlS7_ZN2at6native12_GLOBAL__N_124unique_dim_cuda_templateIbEESt5tupleIJNS8_6TensorESD_SD_EERKSD_lbbbEUlllE1_EE10hipError_tPvRmT2_T3_mT4_P12ihipStream_tbEUlT_E_NS1_11comp_targetILNS1_3genE9ELNS1_11target_archE1100ELNS1_3gpuE3ELNS1_3repE0EEENS1_30default_config_static_selectorELNS0_4arch9wavefront6targetE0EEEvT1_
	.p2align	8
	.type	_ZN7rocprim17ROCPRIM_400000_NS6detail17trampoline_kernelINS0_14default_configENS1_35adjacent_difference_config_selectorILb1ElEEZNS1_24adjacent_difference_implIS3_Lb1ELb0EPlS7_ZN2at6native12_GLOBAL__N_124unique_dim_cuda_templateIbEESt5tupleIJNS8_6TensorESD_SD_EERKSD_lbbbEUlllE1_EE10hipError_tPvRmT2_T3_mT4_P12ihipStream_tbEUlT_E_NS1_11comp_targetILNS1_3genE9ELNS1_11target_archE1100ELNS1_3gpuE3ELNS1_3repE0EEENS1_30default_config_static_selectorELNS0_4arch9wavefront6targetE0EEEvT1_,@function
_ZN7rocprim17ROCPRIM_400000_NS6detail17trampoline_kernelINS0_14default_configENS1_35adjacent_difference_config_selectorILb1ElEEZNS1_24adjacent_difference_implIS3_Lb1ELb0EPlS7_ZN2at6native12_GLOBAL__N_124unique_dim_cuda_templateIbEESt5tupleIJNS8_6TensorESD_SD_EERKSD_lbbbEUlllE1_EE10hipError_tPvRmT2_T3_mT4_P12ihipStream_tbEUlT_E_NS1_11comp_targetILNS1_3genE9ELNS1_11target_archE1100ELNS1_3gpuE3ELNS1_3repE0EEENS1_30default_config_static_selectorELNS0_4arch9wavefront6targetE0EEEvT1_: ; @_ZN7rocprim17ROCPRIM_400000_NS6detail17trampoline_kernelINS0_14default_configENS1_35adjacent_difference_config_selectorILb1ElEEZNS1_24adjacent_difference_implIS3_Lb1ELb0EPlS7_ZN2at6native12_GLOBAL__N_124unique_dim_cuda_templateIbEESt5tupleIJNS8_6TensorESD_SD_EERKSD_lbbbEUlllE1_EE10hipError_tPvRmT2_T3_mT4_P12ihipStream_tbEUlT_E_NS1_11comp_targetILNS1_3genE9ELNS1_11target_archE1100ELNS1_3gpuE3ELNS1_3repE0EEENS1_30default_config_static_selectorELNS0_4arch9wavefront6targetE0EEEvT1_
; %bb.0:
	s_mov_b32 s22, s15
	s_load_b512 s[0:15], s[0:1], 0x0
	s_waitcnt lgkmcnt(0)
	s_lshl_b64 s[16:17], s[2:3], 3
	s_mov_b32 s2, 0x411a7a30
	s_add_u32 s27, s0, s16
	s_addc_u32 s28, s1, s17
	s_add_u32 s0, 0x76, s2
	s_addc_u32 s1, 0, 0
	v_add_co_u32 v1, s0, 0x20000000, s0
	s_delay_alu instid0(VALU_DEP_1) | instskip(SKIP_1) | instid1(VALU_DEP_1)
	s_cmp_lg_u32 s0, 0
	s_addc_u32 s1, s1, 0x11a7b9
	v_readfirstlane_b32 s0, v1
	s_mul_i32 s2, s1, 0xfffff180
	s_delay_alu instid0(VALU_DEP_1)
	s_mul_hi_u32 s3, s0, 0xfffff180
	s_mul_i32 s18, s0, 0xfffff180
	s_sub_i32 s3, s3, s0
	s_mul_hi_u32 s19, s0, s18
	s_add_i32 s3, s3, s2
	s_mul_hi_u32 s20, s1, s18
	s_mul_i32 s2, s1, s18
	s_mul_hi_u32 s18, s0, s3
	s_mul_i32 s0, s0, s3
	s_mul_hi_u32 s21, s1, s3
	s_add_u32 s0, s19, s0
	s_addc_u32 s18, 0, s18
	s_add_u32 s0, s0, s2
	s_mul_i32 s3, s1, s3
	s_addc_u32 s0, s18, s20
	s_addc_u32 s2, s21, 0
	s_add_u32 s0, s0, s3
	s_addc_u32 s2, 0, s2
	v_add_co_u32 v1, s0, v1, s0
	s_delay_alu instid0(VALU_DEP_1) | instskip(SKIP_1) | instid1(VALU_DEP_1)
	s_cmp_lg_u32 s0, 0
	s_addc_u32 s0, s1, s2
	v_readfirstlane_b32 s1, v1
	s_mul_i32 s3, s6, s0
	s_mul_hi_u32 s2, s6, s0
	s_mul_hi_u32 s18, s7, s0
	s_mul_i32 s0, s7, s0
	s_mul_hi_u32 s19, s6, s1
	s_mul_hi_u32 s20, s7, s1
	s_mul_i32 s1, s7, s1
	s_add_u32 s3, s19, s3
	s_addc_u32 s2, 0, s2
	s_add_u32 s1, s3, s1
	s_addc_u32 s1, s2, s20
	s_addc_u32 s2, s18, 0
	s_add_u32 s0, s1, s0
	s_addc_u32 s1, 0, s2
	s_mul_i32 s3, s0, 0xe80
	s_add_u32 s2, s0, 1
	v_sub_co_u32 v1, s3, s6, s3
	s_mul_hi_u32 s18, s0, 0xe80
	s_addc_u32 s19, s1, 0
	s_mul_i32 s20, s1, 0xe80
	s_delay_alu instid0(VALU_DEP_1)
	v_subrev_co_u32 v2, s21, 0xe80, v1
	s_add_u32 s23, s0, 2
	s_addc_u32 s24, s1, 0
	s_add_i32 s18, s18, s20
	s_cmp_lg_u32 s3, 0
	v_readfirstlane_b32 s3, v2
	s_subb_u32 s18, s7, s18
	s_cmp_lg_u32 s21, 0
	s_subb_u32 s20, s18, 0
	s_delay_alu instid0(VALU_DEP_1) | instskip(SKIP_4) | instid1(SALU_CYCLE_1)
	s_cmpk_gt_u32 s3, 0xe7f
	s_cselect_b32 s3, -1, 0
	s_cmp_eq_u32 s20, 0
	v_readfirstlane_b32 s20, v1
	s_cselect_b32 s3, s3, -1
	s_cmp_lg_u32 s3, 0
	s_cselect_b32 s2, s23, s2
	s_cselect_b32 s3, s24, s19
	s_cmpk_gt_u32 s20, 0xe7f
	s_mov_b32 s23, 0
	s_cselect_b32 s19, -1, 0
	s_cmp_eq_u32 s18, 0
	s_cselect_b32 s18, s19, -1
	s_delay_alu instid0(SALU_CYCLE_1)
	s_cmp_lg_u32 s18, 0
	s_cselect_b32 s3, s3, s1
	s_cselect_b32 s2, s2, s0
	s_mul_i32 s0, s3, 0xe80
	s_mul_hi_u32 s1, s2, 0xe80
	s_mul_i32 s18, s2, 0xe80
	s_add_i32 s1, s1, s0
	s_sub_u32 s0, s6, s18
	s_subb_u32 s1, s7, s1
	s_delay_alu instid0(SALU_CYCLE_1) | instskip(SKIP_1) | instid1(SALU_CYCLE_1)
	s_cmp_lg_u64 s[0:1], 0
	s_cselect_b32 s0, -1, 0
	v_cndmask_b32_e64 v1, 0, 1, s0
	s_delay_alu instid0(VALU_DEP_1) | instskip(NEXT) | instid1(VALU_DEP_1)
	v_readfirstlane_b32 s0, v1
	s_add_u32 s18, s2, s0
	s_addc_u32 s19, s3, 0
	s_add_u32 s20, s14, s22
	s_addc_u32 s21, s15, 0
	s_add_u32 s0, s18, -1
	s_addc_u32 s1, s19, -1
	s_mul_i32 s2, s22, 0xe80
	v_cmp_ge_u64_e64 s26, s[20:21], s[0:1]
	s_mov_b32 s3, -1
	s_mul_i32 s7, s0, 0xfffff180
	s_delay_alu instid0(VALU_DEP_1)
	s_and_b32 vcc_lo, exec_lo, s26
	s_cbranch_vccz .LBB1049_60
; %bb.1:
	s_mov_b32 s3, s23
	s_add_i32 s29, s7, s6
	s_lshl_b64 s[24:25], s[2:3], 3
	s_mov_b32 s3, exec_lo
	s_add_u32 s24, s27, s24
	s_addc_u32 s25, s28, s25
                                        ; implicit-def: $vgpr1_vgpr2
	v_cmpx_gt_u32_e64 s29, v0
	s_cbranch_execz .LBB1049_3
; %bb.2:
	v_lshlrev_b32_e32 v1, 3, v0
	global_load_b64 v[1:2], v1, s[24:25]
.LBB1049_3:
	s_or_b32 exec_lo, exec_lo, s3
	v_or_b32_e32 v3, 0x80, v0
	s_delay_alu instid0(VALU_DEP_1)
	v_cmp_gt_u32_e32 vcc_lo, s29, v3
                                        ; implicit-def: $vgpr3_vgpr4
	s_and_saveexec_b32 s3, vcc_lo
	s_cbranch_execz .LBB1049_5
; %bb.4:
	v_lshlrev_b32_e32 v3, 3, v0
	global_load_b64 v[3:4], v3, s[24:25] offset:1024
.LBB1049_5:
	s_or_b32 exec_lo, exec_lo, s3
	v_or_b32_e32 v5, 0x100, v0
	s_delay_alu instid0(VALU_DEP_1)
	v_cmp_gt_u32_e32 vcc_lo, s29, v5
                                        ; implicit-def: $vgpr5_vgpr6
	s_and_saveexec_b32 s3, vcc_lo
	s_cbranch_execz .LBB1049_7
; %bb.6:
	v_lshlrev_b32_e32 v5, 3, v0
	global_load_b64 v[5:6], v5, s[24:25] offset:2048
.LBB1049_7:
	s_or_b32 exec_lo, exec_lo, s3
	v_or_b32_e32 v7, 0x180, v0
	s_delay_alu instid0(VALU_DEP_1)
	v_cmp_gt_u32_e32 vcc_lo, s29, v7
                                        ; implicit-def: $vgpr7_vgpr8
	s_and_saveexec_b32 s3, vcc_lo
	s_cbranch_execz .LBB1049_9
; %bb.8:
	v_lshlrev_b32_e32 v7, 3, v0
	global_load_b64 v[7:8], v7, s[24:25] offset:3072
.LBB1049_9:
	s_or_b32 exec_lo, exec_lo, s3
	v_or_b32_e32 v11, 0x200, v0
	s_mov_b32 s3, exec_lo
                                        ; implicit-def: $vgpr9_vgpr10
	s_delay_alu instid0(VALU_DEP_1)
	v_cmpx_gt_u32_e64 s29, v11
	s_cbranch_execz .LBB1049_11
; %bb.10:
	v_lshlrev_b32_e32 v9, 3, v11
	global_load_b64 v[9:10], v9, s[24:25]
.LBB1049_11:
	s_or_b32 exec_lo, exec_lo, s3
	v_or_b32_e32 v13, 0x280, v0
	s_mov_b32 s3, exec_lo
                                        ; implicit-def: $vgpr11_vgpr12
	s_delay_alu instid0(VALU_DEP_1)
	v_cmpx_gt_u32_e64 s29, v13
	s_cbranch_execz .LBB1049_13
; %bb.12:
	v_lshlrev_b32_e32 v11, 3, v13
	global_load_b64 v[11:12], v11, s[24:25]
.LBB1049_13:
	s_or_b32 exec_lo, exec_lo, s3
	v_or_b32_e32 v15, 0x300, v0
	s_mov_b32 s3, exec_lo
                                        ; implicit-def: $vgpr13_vgpr14
	s_delay_alu instid0(VALU_DEP_1)
	v_cmpx_gt_u32_e64 s29, v15
	s_cbranch_execz .LBB1049_15
; %bb.14:
	v_lshlrev_b32_e32 v13, 3, v15
	global_load_b64 v[13:14], v13, s[24:25]
.LBB1049_15:
	s_or_b32 exec_lo, exec_lo, s3
	v_or_b32_e32 v17, 0x380, v0
	s_mov_b32 s3, exec_lo
                                        ; implicit-def: $vgpr15_vgpr16
	s_delay_alu instid0(VALU_DEP_1)
	v_cmpx_gt_u32_e64 s29, v17
	s_cbranch_execz .LBB1049_17
; %bb.16:
	v_lshlrev_b32_e32 v15, 3, v17
	global_load_b64 v[15:16], v15, s[24:25]
.LBB1049_17:
	s_or_b32 exec_lo, exec_lo, s3
	v_or_b32_e32 v19, 0x400, v0
	s_mov_b32 s3, exec_lo
                                        ; implicit-def: $vgpr17_vgpr18
	s_delay_alu instid0(VALU_DEP_1)
	v_cmpx_gt_u32_e64 s29, v19
	s_cbranch_execz .LBB1049_19
; %bb.18:
	v_lshlrev_b32_e32 v17, 3, v19
	global_load_b64 v[17:18], v17, s[24:25]
.LBB1049_19:
	s_or_b32 exec_lo, exec_lo, s3
	v_or_b32_e32 v21, 0x480, v0
	s_mov_b32 s3, exec_lo
                                        ; implicit-def: $vgpr19_vgpr20
	s_delay_alu instid0(VALU_DEP_1)
	v_cmpx_gt_u32_e64 s29, v21
	s_cbranch_execz .LBB1049_21
; %bb.20:
	v_lshlrev_b32_e32 v19, 3, v21
	global_load_b64 v[19:20], v19, s[24:25]
.LBB1049_21:
	s_or_b32 exec_lo, exec_lo, s3
	v_or_b32_e32 v23, 0x500, v0
	s_mov_b32 s3, exec_lo
                                        ; implicit-def: $vgpr21_vgpr22
	s_delay_alu instid0(VALU_DEP_1)
	v_cmpx_gt_u32_e64 s29, v23
	s_cbranch_execz .LBB1049_23
; %bb.22:
	v_lshlrev_b32_e32 v21, 3, v23
	global_load_b64 v[21:22], v21, s[24:25]
.LBB1049_23:
	s_or_b32 exec_lo, exec_lo, s3
	v_or_b32_e32 v25, 0x580, v0
	s_mov_b32 s3, exec_lo
                                        ; implicit-def: $vgpr23_vgpr24
	s_delay_alu instid0(VALU_DEP_1)
	v_cmpx_gt_u32_e64 s29, v25
	s_cbranch_execz .LBB1049_25
; %bb.24:
	v_lshlrev_b32_e32 v23, 3, v25
	global_load_b64 v[23:24], v23, s[24:25]
.LBB1049_25:
	s_or_b32 exec_lo, exec_lo, s3
	v_or_b32_e32 v27, 0x600, v0
	s_mov_b32 s3, exec_lo
                                        ; implicit-def: $vgpr25_vgpr26
	s_delay_alu instid0(VALU_DEP_1)
	v_cmpx_gt_u32_e64 s29, v27
	s_cbranch_execz .LBB1049_27
; %bb.26:
	v_lshlrev_b32_e32 v25, 3, v27
	global_load_b64 v[25:26], v25, s[24:25]
.LBB1049_27:
	s_or_b32 exec_lo, exec_lo, s3
	v_or_b32_e32 v29, 0x680, v0
	s_mov_b32 s3, exec_lo
                                        ; implicit-def: $vgpr27_vgpr28
	s_delay_alu instid0(VALU_DEP_1)
	v_cmpx_gt_u32_e64 s29, v29
	s_cbranch_execz .LBB1049_29
; %bb.28:
	v_lshlrev_b32_e32 v27, 3, v29
	global_load_b64 v[27:28], v27, s[24:25]
.LBB1049_29:
	s_or_b32 exec_lo, exec_lo, s3
	v_or_b32_e32 v31, 0x700, v0
	s_mov_b32 s3, exec_lo
                                        ; implicit-def: $vgpr29_vgpr30
	s_delay_alu instid0(VALU_DEP_1)
	v_cmpx_gt_u32_e64 s29, v31
	s_cbranch_execz .LBB1049_31
; %bb.30:
	v_lshlrev_b32_e32 v29, 3, v31
	global_load_b64 v[29:30], v29, s[24:25]
.LBB1049_31:
	s_or_b32 exec_lo, exec_lo, s3
	v_or_b32_e32 v33, 0x780, v0
	s_mov_b32 s3, exec_lo
                                        ; implicit-def: $vgpr31_vgpr32
	s_delay_alu instid0(VALU_DEP_1)
	v_cmpx_gt_u32_e64 s29, v33
	s_cbranch_execz .LBB1049_33
; %bb.32:
	v_lshlrev_b32_e32 v31, 3, v33
	global_load_b64 v[31:32], v31, s[24:25]
.LBB1049_33:
	s_or_b32 exec_lo, exec_lo, s3
	v_or_b32_e32 v35, 0x800, v0
	s_mov_b32 s3, exec_lo
                                        ; implicit-def: $vgpr33_vgpr34
	s_delay_alu instid0(VALU_DEP_1)
	v_cmpx_gt_u32_e64 s29, v35
	s_cbranch_execz .LBB1049_35
; %bb.34:
	v_lshlrev_b32_e32 v33, 3, v35
	global_load_b64 v[33:34], v33, s[24:25]
.LBB1049_35:
	s_or_b32 exec_lo, exec_lo, s3
	v_or_b32_e32 v37, 0x880, v0
	s_mov_b32 s3, exec_lo
                                        ; implicit-def: $vgpr35_vgpr36
	s_delay_alu instid0(VALU_DEP_1)
	v_cmpx_gt_u32_e64 s29, v37
	s_cbranch_execz .LBB1049_37
; %bb.36:
	v_lshlrev_b32_e32 v35, 3, v37
	global_load_b64 v[35:36], v35, s[24:25]
.LBB1049_37:
	s_or_b32 exec_lo, exec_lo, s3
	v_or_b32_e32 v39, 0x900, v0
	s_mov_b32 s3, exec_lo
                                        ; implicit-def: $vgpr37_vgpr38
	s_delay_alu instid0(VALU_DEP_1)
	v_cmpx_gt_u32_e64 s29, v39
	s_cbranch_execz .LBB1049_39
; %bb.38:
	v_lshlrev_b32_e32 v37, 3, v39
	global_load_b64 v[37:38], v37, s[24:25]
.LBB1049_39:
	s_or_b32 exec_lo, exec_lo, s3
	v_or_b32_e32 v41, 0x980, v0
	s_mov_b32 s3, exec_lo
                                        ; implicit-def: $vgpr39_vgpr40
	s_delay_alu instid0(VALU_DEP_1)
	v_cmpx_gt_u32_e64 s29, v41
	s_cbranch_execz .LBB1049_41
; %bb.40:
	v_lshlrev_b32_e32 v39, 3, v41
	global_load_b64 v[39:40], v39, s[24:25]
.LBB1049_41:
	s_or_b32 exec_lo, exec_lo, s3
	v_or_b32_e32 v43, 0xa00, v0
	s_mov_b32 s3, exec_lo
                                        ; implicit-def: $vgpr41_vgpr42
	s_delay_alu instid0(VALU_DEP_1)
	v_cmpx_gt_u32_e64 s29, v43
	s_cbranch_execz .LBB1049_43
; %bb.42:
	v_lshlrev_b32_e32 v41, 3, v43
	global_load_b64 v[41:42], v41, s[24:25]
.LBB1049_43:
	s_or_b32 exec_lo, exec_lo, s3
	v_or_b32_e32 v45, 0xa80, v0
	s_mov_b32 s3, exec_lo
                                        ; implicit-def: $vgpr43_vgpr44
	s_delay_alu instid0(VALU_DEP_1)
	v_cmpx_gt_u32_e64 s29, v45
	s_cbranch_execz .LBB1049_45
; %bb.44:
	v_lshlrev_b32_e32 v43, 3, v45
	global_load_b64 v[43:44], v43, s[24:25]
.LBB1049_45:
	s_or_b32 exec_lo, exec_lo, s3
	v_or_b32_e32 v47, 0xb00, v0
	s_mov_b32 s3, exec_lo
                                        ; implicit-def: $vgpr45_vgpr46
	s_delay_alu instid0(VALU_DEP_1)
	v_cmpx_gt_u32_e64 s29, v47
	s_cbranch_execz .LBB1049_47
; %bb.46:
	v_lshlrev_b32_e32 v45, 3, v47
	global_load_b64 v[45:46], v45, s[24:25]
.LBB1049_47:
	s_or_b32 exec_lo, exec_lo, s3
	v_or_b32_e32 v49, 0xb80, v0
	s_mov_b32 s3, exec_lo
                                        ; implicit-def: $vgpr47_vgpr48
	s_delay_alu instid0(VALU_DEP_1)
	v_cmpx_gt_u32_e64 s29, v49
	s_cbranch_execz .LBB1049_49
; %bb.48:
	v_lshlrev_b32_e32 v47, 3, v49
	global_load_b64 v[47:48], v47, s[24:25]
.LBB1049_49:
	s_or_b32 exec_lo, exec_lo, s3
	v_or_b32_e32 v51, 0xc00, v0
	s_mov_b32 s3, exec_lo
                                        ; implicit-def: $vgpr49_vgpr50
	s_delay_alu instid0(VALU_DEP_1)
	v_cmpx_gt_u32_e64 s29, v51
	s_cbranch_execz .LBB1049_51
; %bb.50:
	v_lshlrev_b32_e32 v49, 3, v51
	global_load_b64 v[49:50], v49, s[24:25]
.LBB1049_51:
	s_or_b32 exec_lo, exec_lo, s3
	v_or_b32_e32 v53, 0xc80, v0
	s_mov_b32 s3, exec_lo
                                        ; implicit-def: $vgpr51_vgpr52
	s_delay_alu instid0(VALU_DEP_1)
	v_cmpx_gt_u32_e64 s29, v53
	s_cbranch_execz .LBB1049_53
; %bb.52:
	v_lshlrev_b32_e32 v51, 3, v53
	global_load_b64 v[51:52], v51, s[24:25]
.LBB1049_53:
	s_or_b32 exec_lo, exec_lo, s3
	v_or_b32_e32 v55, 0xd00, v0
	s_mov_b32 s3, exec_lo
                                        ; implicit-def: $vgpr53_vgpr54
	s_delay_alu instid0(VALU_DEP_1)
	v_cmpx_gt_u32_e64 s29, v55
	s_cbranch_execz .LBB1049_55
; %bb.54:
	v_lshlrev_b32_e32 v53, 3, v55
	global_load_b64 v[53:54], v53, s[24:25]
.LBB1049_55:
	s_or_b32 exec_lo, exec_lo, s3
	v_or_b32_e32 v57, 0xd80, v0
	s_mov_b32 s3, exec_lo
                                        ; implicit-def: $vgpr55_vgpr56
	s_delay_alu instid0(VALU_DEP_1)
	v_cmpx_gt_u32_e64 s29, v57
	s_cbranch_execz .LBB1049_57
; %bb.56:
	v_lshlrev_b32_e32 v55, 3, v57
	global_load_b64 v[55:56], v55, s[24:25]
.LBB1049_57:
	s_or_b32 exec_lo, exec_lo, s3
	v_or_b32_e32 v59, 0xe00, v0
	s_mov_b32 s3, exec_lo
                                        ; implicit-def: $vgpr57_vgpr58
	s_delay_alu instid0(VALU_DEP_1)
	v_cmpx_gt_u32_e64 s29, v59
	s_cbranch_execz .LBB1049_59
; %bb.58:
	v_lshlrev_b32_e32 v57, 3, v59
	global_load_b64 v[57:58], v57, s[24:25]
.LBB1049_59:
	s_or_b32 exec_lo, exec_lo, s3
	v_lshlrev_b32_e32 v59, 3, v0
	s_mov_b32 s3, 0
	s_waitcnt vmcnt(0)
	ds_store_2addr_stride64_b64 v59, v[1:2], v[3:4] offset1:2
	ds_store_2addr_stride64_b64 v59, v[5:6], v[7:8] offset0:4 offset1:6
	ds_store_2addr_stride64_b64 v59, v[9:10], v[11:12] offset0:8 offset1:10
	;; [unrolled: 1-line block ×13, first 2 shown]
	ds_store_b64 v59, v[57:58] offset:28672
	s_waitcnt lgkmcnt(0)
	s_barrier
.LBB1049_60:
	v_lshlrev_b32_e32 v141, 3, v0
	s_and_b32 vcc_lo, exec_lo, s3
	s_cbranch_vccz .LBB1049_62
; %bb.61:
	s_mov_b32 s3, 0
	s_delay_alu instid0(SALU_CYCLE_1) | instskip(NEXT) | instid1(SALU_CYCLE_1)
	s_lshl_b64 s[24:25], s[2:3], 3
	s_add_u32 s24, s27, s24
	s_addc_u32 s25, s28, s25
	v_add_co_u32 v49, s3, s24, v141
	s_delay_alu instid0(VALU_DEP_1)
	v_add_co_ci_u32_e64 v50, null, s25, 0, s3
	s_clause 0x3
	global_load_b64 v[1:2], v141, s[24:25]
	global_load_b64 v[3:4], v141, s[24:25] offset:1024
	global_load_b64 v[5:6], v141, s[24:25] offset:2048
	;; [unrolled: 1-line block ×3, first 2 shown]
	v_add_co_u32 v9, vcc_lo, 0x1000, v49
	v_add_co_ci_u32_e32 v10, vcc_lo, 0, v50, vcc_lo
	v_add_co_u32 v11, vcc_lo, v49, 0x2000
	v_add_co_ci_u32_e32 v12, vcc_lo, 0, v50, vcc_lo
	;; [unrolled: 2-line block ×10, first 2 shown]
	s_clause 0x18
	global_load_b64 v[15:16], v[11:12], off offset:-4096
	global_load_b64 v[17:18], v[9:10], off offset:1024
	global_load_b64 v[19:20], v[9:10], off offset:2048
	;; [unrolled: 1-line block ×12, first 2 shown]
	global_load_b64 v[11:12], v[11:12], off
	global_load_b64 v[43:44], v[25:26], off offset:-4096
	global_load_b64 v[25:26], v[25:26], off
	global_load_b64 v[45:46], v[39:40], off offset:-4096
	global_load_b64 v[39:40], v[39:40], off
	global_load_b64 v[51:52], v[41:42], off offset:1024
	global_load_b64 v[53:54], v[41:42], off offset:2048
	;; [unrolled: 1-line block ×6, first 2 shown]
	global_load_b64 v[49:50], v[49:50], off
	s_waitcnt vmcnt(27)
	ds_store_2addr_stride64_b64 v141, v[1:2], v[3:4] offset1:2
	s_waitcnt vmcnt(25)
	ds_store_2addr_stride64_b64 v141, v[5:6], v[7:8] offset0:4 offset1:6
	s_waitcnt vmcnt(23)
	ds_store_2addr_stride64_b64 v141, v[15:16], v[17:18] offset0:8 offset1:10
	;; [unrolled: 2-line block ×4, first 2 shown]
	ds_store_2addr_stride64_b64 v141, v[29:30], v[13:14] offset0:20 offset1:22
	s_waitcnt vmcnt(10)
	ds_store_2addr_stride64_b64 v141, v[43:44], v[31:32] offset0:24 offset1:26
	ds_store_2addr_stride64_b64 v141, v[33:34], v[23:24] offset0:28 offset1:30
	s_waitcnt vmcnt(9)
	ds_store_2addr_stride64_b64 v141, v[25:26], v[35:36] offset0:32 offset1:34
	;; [unrolled: 3-line block ×3, first 2 shown]
	s_waitcnt vmcnt(4)
	ds_store_2addr_stride64_b64 v141, v[53:54], v[41:42] offset0:44 offset1:46
	s_waitcnt vmcnt(3)
	ds_store_2addr_stride64_b64 v141, v[39:40], v[55:56] offset0:48 offset1:50
	;; [unrolled: 2-line block ×3, first 2 shown]
	s_waitcnt vmcnt(0)
	ds_store_b64 v141, v[49:50] offset:28672
	s_waitcnt lgkmcnt(0)
	s_barrier
.LBB1049_62:
	v_mul_u32_u24_e32 v1, 29, v0
	buffer_gl0_inv
	s_cmp_eq_u64 s[20:21], 0
	v_lshlrev_b32_e32 v5, 3, v1
	ds_load_b64 v[119:120], v5 offset:224
	ds_load_2addr_b64 v[69:72], v5 offset0:26 offset1:27
	ds_load_2addr_b64 v[65:68], v5 offset0:24 offset1:25
	ds_load_2addr_b64 v[1:4], v5 offset1:1
	ds_load_2addr_b64 v[9:12], v5 offset0:2 offset1:3
	ds_load_2addr_b64 v[17:20], v5 offset0:4 offset1:5
	;; [unrolled: 1-line block ×11, first 2 shown]
	s_waitcnt lgkmcnt(0)
	s_barrier
	buffer_gl0_inv
	s_cbranch_scc1 .LBB1049_71
; %bb.63:
	s_lshl_b64 s[14:15], s[14:15], 3
	s_delay_alu instid0(SALU_CYCLE_1) | instskip(SKIP_2) | instid1(SALU_CYCLE_1)
	s_add_u32 s3, s12, s14
	s_addc_u32 s14, s13, s15
	s_lshl_b64 s[12:13], s[22:23], 3
	s_add_u32 s3, s3, s12
	s_addc_u32 s13, s14, s13
	s_add_u32 s12, s3, -8
	s_addc_u32 s13, s13, -1
	s_cmp_lg_u64 s[20:21], s[0:1]
	s_load_b64 s[12:13], s[12:13], 0x0
	s_cbranch_scc0 .LBB1049_72
; %bb.64:
	v_mov_b32_e32 v7, 0
	v_mov_b32_e32 v8, 0
	v_cmp_lt_i64_e64 s0, s[8:9], 1
	v_cmp_gt_i64_e64 s3, s[8:9], 0
	ds_store_b64 v141, v[119:120]
	v_dual_mov_b32 v110, v8 :: v_dual_mov_b32 v109, v7
	s_and_b32 vcc_lo, exec_lo, s0
	s_cbranch_vccnz .LBB1049_82
; %bb.65:
	v_mad_u64_u32 v[7:8], null, v119, s8, s[10:11]
	v_mul_lo_u32 v13, v119, s9
	v_mul_lo_u32 v14, v120, s8
	v_mad_u64_u32 v[5:6], null, v71, s8, s[10:11]
	v_mul_lo_u32 v15, v71, s9
	v_mul_lo_u32 v16, v72, s8
	v_mov_b32_e32 v109, 1
	v_mov_b32_e32 v110, 0
	s_mov_b32 s22, 0
	v_add3_u32 v8, v14, v8, v13
	s_delay_alu instid0(VALU_DEP_4)
	v_add3_u32 v6, v16, v6, v15
	s_clause 0x1
	global_load_u8 v13, v[7:8], off
	global_load_u8 v14, v[5:6], off
	s_waitcnt vmcnt(1)
	v_cmp_ne_u16_e64 s0, 0, v13
	s_waitcnt vmcnt(0)
	v_cmp_ne_u16_e32 vcc_lo, 0, v14
	s_delay_alu instid0(VALU_DEP_2) | instskip(NEXT) | instid1(SALU_CYCLE_1)
	s_xor_b32 s0, s0, vcc_lo
	s_xor_b32 s0, s0, -1
	s_delay_alu instid0(SALU_CYCLE_1)
	s_and_saveexec_b32 s21, s0
	s_cbranch_execz .LBB1049_74
; %bb.66:
	s_mov_b64 s[14:15], 1
                                        ; implicit-def: $sgpr23
	s_set_inst_prefetch_distance 0x1
	s_branch .LBB1049_69
	.p2align	6
.LBB1049_67:                            ;   in Loop: Header=BB1049_69 Depth=1
	v_add_co_u32 v13, s0, v7, s14
	s_delay_alu instid0(VALU_DEP_1) | instskip(SKIP_1) | instid1(VALU_DEP_1)
	v_add_co_ci_u32_e64 v14, s0, s15, v8, s0
	v_add_co_u32 v15, s0, v5, s14
	v_add_co_ci_u32_e64 v16, s0, s15, v6, s0
	s_clause 0x1
	global_load_u8 v13, v[13:14], off
	global_load_u8 v14, v[15:16], off
	s_waitcnt vmcnt(1)
	v_cmp_ne_u16_e64 s0, 0, v13
	s_waitcnt vmcnt(0)
	v_cmp_ne_u16_e64 s1, 0, v14
	s_delay_alu instid0(VALU_DEP_1) | instskip(SKIP_4) | instid1(SALU_CYCLE_1)
	s_xor_b32 s24, s0, s1
	s_add_u32 s0, s14, 1
	s_addc_u32 s1, s15, 0
	s_and_not1_b32 s23, s23, exec_lo
	s_and_b32 s24, s24, exec_lo
	s_or_b32 s23, s23, s24
.LBB1049_68:                            ;   in Loop: Header=BB1049_69 Depth=1
	v_dual_mov_b32 v13, s14 :: v_dual_mov_b32 v14, s15
	s_and_b32 s24, exec_lo, s23
	s_mov_b64 s[14:15], s[0:1]
	s_or_b32 s22, s24, s22
	s_delay_alu instid0(SALU_CYCLE_1)
	s_and_not1_b32 exec_lo, exec_lo, s22
	s_cbranch_execz .LBB1049_73
.LBB1049_69:                            ; =>This Inner Loop Header: Depth=1
	s_or_b32 s23, s23, exec_lo
	s_cmp_eq_u64 s[8:9], s[14:15]
	s_cbranch_scc0 .LBB1049_67
; %bb.70:                               ;   in Loop: Header=BB1049_69 Depth=1
	s_mov_b64 s[14:15], s[8:9]
                                        ; implicit-def: $sgpr0_sgpr1
	s_branch .LBB1049_68
.LBB1049_71:
	s_mov_b32 s3, 0
                                        ; implicit-def: $sgpr0
                                        ; implicit-def: $vgpr139_vgpr140
                                        ; implicit-def: $vgpr137_vgpr138
                                        ; implicit-def: $vgpr135_vgpr136
                                        ; implicit-def: $vgpr133_vgpr134
                                        ; implicit-def: $vgpr131_vgpr132
                                        ; implicit-def: $vgpr129_vgpr130
                                        ; implicit-def: $vgpr127_vgpr128
                                        ; implicit-def: $vgpr125_vgpr126
                                        ; implicit-def: $vgpr123_vgpr124
                                        ; implicit-def: $vgpr121_vgpr122
                                        ; implicit-def: $vgpr117_vgpr118
                                        ; implicit-def: $vgpr115_vgpr116
                                        ; implicit-def: $vgpr113_vgpr114
                                        ; implicit-def: $vgpr111_vgpr112
                                        ; implicit-def: $vgpr109_vgpr110
                                        ; implicit-def: $vgpr5_vgpr6_vgpr7_vgpr8
                                        ; implicit-def: $vgpr13_vgpr14_vgpr15_vgpr16
                                        ; implicit-def: $vgpr33_vgpr34_vgpr35_vgpr36
                                        ; implicit-def: $vgpr53_vgpr54_vgpr55_vgpr56
                                        ; implicit-def: $vgpr73_vgpr74_vgpr75_vgpr76
                                        ; implicit-def: $vgpr77_vgpr78_vgpr79_vgpr80
                                        ; implicit-def: $vgpr81_vgpr82_vgpr83_vgpr84
                                        ; implicit-def: $vgpr85_vgpr86_vgpr87_vgpr88
                                        ; implicit-def: $vgpr89_vgpr90_vgpr91_vgpr92
                                        ; implicit-def: $vgpr93_vgpr94_vgpr95_vgpr96
                                        ; implicit-def: $vgpr97_vgpr98_vgpr99_vgpr100
                                        ; implicit-def: $vgpr101_vgpr102_vgpr103_vgpr104
                                        ; implicit-def: $vgpr105_vgpr106_vgpr107_vgpr108
	s_cbranch_execnz .LBB1049_569
	s_branch .LBB1049_1072
.LBB1049_72:
	s_mov_b32 s3, 0
                                        ; implicit-def: $sgpr0
                                        ; implicit-def: $vgpr139_vgpr140
                                        ; implicit-def: $vgpr137_vgpr138
                                        ; implicit-def: $vgpr135_vgpr136
                                        ; implicit-def: $vgpr133_vgpr134
                                        ; implicit-def: $vgpr131_vgpr132
                                        ; implicit-def: $vgpr129_vgpr130
                                        ; implicit-def: $vgpr127_vgpr128
                                        ; implicit-def: $vgpr125_vgpr126
                                        ; implicit-def: $vgpr123_vgpr124
                                        ; implicit-def: $vgpr121_vgpr122
                                        ; implicit-def: $vgpr117_vgpr118
                                        ; implicit-def: $vgpr115_vgpr116
                                        ; implicit-def: $vgpr113_vgpr114
                                        ; implicit-def: $vgpr111_vgpr112
                                        ; implicit-def: $vgpr109_vgpr110
                                        ; implicit-def: $vgpr5_vgpr6_vgpr7_vgpr8
                                        ; implicit-def: $vgpr13_vgpr14_vgpr15_vgpr16
                                        ; implicit-def: $vgpr33_vgpr34_vgpr35_vgpr36
                                        ; implicit-def: $vgpr53_vgpr54_vgpr55_vgpr56
                                        ; implicit-def: $vgpr73_vgpr74_vgpr75_vgpr76
                                        ; implicit-def: $vgpr77_vgpr78_vgpr79_vgpr80
                                        ; implicit-def: $vgpr81_vgpr82_vgpr83_vgpr84
                                        ; implicit-def: $vgpr85_vgpr86_vgpr87_vgpr88
                                        ; implicit-def: $vgpr89_vgpr90_vgpr91_vgpr92
                                        ; implicit-def: $vgpr93_vgpr94_vgpr95_vgpr96
                                        ; implicit-def: $vgpr97_vgpr98_vgpr99_vgpr100
                                        ; implicit-def: $vgpr101_vgpr102_vgpr103_vgpr104
                                        ; implicit-def: $vgpr105_vgpr106_vgpr107_vgpr108
	s_cbranch_execnz .LBB1049_302
	s_branch .LBB1049_568
.LBB1049_73:
	s_set_inst_prefetch_distance 0x2
	s_or_b32 exec_lo, exec_lo, s22
	v_cmp_gt_i64_e64 s0, s[8:9], v[13:14]
	s_mov_b32 s1, 0
	s_delay_alu instid0(SALU_CYCLE_1) | instskip(NEXT) | instid1(VALU_DEP_2)
	v_mov_b32_e32 v110, s1
	v_cndmask_b32_e64 v109, 0, 1, s0
.LBB1049_74:
	s_or_b32 exec_lo, exec_lo, s21
	v_mad_u64_u32 v[13:14], null, v69, s8, s[10:11]
	v_mul_lo_u32 v7, v69, s9
	v_mul_lo_u32 v8, v70, s8
	s_mov_b32 s22, 0
	s_delay_alu instid0(VALU_DEP_1)
	v_add3_u32 v14, v8, v14, v7
	global_load_u8 v7, v[13:14], off
	s_waitcnt vmcnt(0)
	v_cmp_ne_u16_e64 s0, 0, v7
	v_mov_b32_e32 v7, 1
	v_mov_b32_e32 v8, 0
	s_delay_alu instid0(VALU_DEP_3) | instskip(NEXT) | instid1(SALU_CYCLE_1)
	s_xor_b32 s0, vcc_lo, s0
	s_xor_b32 s0, s0, -1
	s_delay_alu instid0(SALU_CYCLE_1)
	s_and_saveexec_b32 s21, s0
	s_cbranch_execz .LBB1049_81
; %bb.75:
	s_mov_b64 s[14:15], 1
                                        ; implicit-def: $sgpr23
	s_set_inst_prefetch_distance 0x1
	s_branch .LBB1049_78
	.p2align	6
.LBB1049_76:                            ;   in Loop: Header=BB1049_78 Depth=1
	v_add_co_u32 v7, vcc_lo, v5, s14
	v_add_co_ci_u32_e32 v8, vcc_lo, s15, v6, vcc_lo
	v_add_co_u32 v15, vcc_lo, v13, s14
	v_add_co_ci_u32_e32 v16, vcc_lo, s15, v14, vcc_lo
	s_clause 0x1
	global_load_u8 v7, v[7:8], off
	global_load_u8 v8, v[15:16], off
	s_waitcnt vmcnt(1)
	v_cmp_ne_u16_e32 vcc_lo, 0, v7
	s_waitcnt vmcnt(0)
	v_cmp_ne_u16_e64 s0, 0, v8
	s_delay_alu instid0(VALU_DEP_1) | instskip(SKIP_4) | instid1(SALU_CYCLE_1)
	s_xor_b32 s24, vcc_lo, s0
	s_add_u32 s0, s14, 1
	s_addc_u32 s1, s15, 0
	s_and_not1_b32 s23, s23, exec_lo
	s_and_b32 s24, s24, exec_lo
	s_or_b32 s23, s23, s24
.LBB1049_77:                            ;   in Loop: Header=BB1049_78 Depth=1
	v_dual_mov_b32 v7, s14 :: v_dual_mov_b32 v8, s15
	s_and_b32 s24, exec_lo, s23
	s_mov_b64 s[14:15], s[0:1]
	s_or_b32 s22, s24, s22
	s_delay_alu instid0(SALU_CYCLE_1)
	s_and_not1_b32 exec_lo, exec_lo, s22
	s_cbranch_execz .LBB1049_80
.LBB1049_78:                            ; =>This Inner Loop Header: Depth=1
	s_or_b32 s23, s23, exec_lo
	s_cmp_eq_u64 s[8:9], s[14:15]
	s_cbranch_scc0 .LBB1049_76
; %bb.79:                               ;   in Loop: Header=BB1049_78 Depth=1
	s_mov_b64 s[14:15], s[8:9]
                                        ; implicit-def: $sgpr0_sgpr1
	s_branch .LBB1049_77
.LBB1049_80:
	s_set_inst_prefetch_distance 0x2
	s_or_b32 exec_lo, exec_lo, s22
	v_cmp_gt_i64_e32 vcc_lo, s[8:9], v[7:8]
	s_mov_b32 s0, 0
	s_delay_alu instid0(SALU_CYCLE_1)
	v_mov_b32_e32 v8, s0
	v_cndmask_b32_e64 v7, 0, 1, vcc_lo
.LBB1049_81:
	s_or_b32 exec_lo, exec_lo, s21
.LBB1049_82:
	v_mov_b32_e32 v15, 0
	v_mov_b32_e32 v16, 0
	v_cndmask_b32_e64 v53, 0, 1, s3
	s_and_not1_b32 vcc_lo, exec_lo, s3
	s_delay_alu instid0(VALU_DEP_2)
	v_dual_mov_b32 v112, v16 :: v_dual_mov_b32 v111, v15
	s_cbranch_vccnz .LBB1049_98
; %bb.83:
	v_mad_u64_u32 v[13:14], null, v69, s8, s[10:11]
	v_mul_lo_u32 v15, v69, s9
	v_mul_lo_u32 v16, v70, s8
	v_mad_u64_u32 v[5:6], null, v67, s8, s[10:11]
	v_mul_lo_u32 v33, v67, s9
	v_mul_lo_u32 v34, v68, s8
	v_mov_b32_e32 v111, 1
	v_mov_b32_e32 v112, 0
	s_mov_b32 s21, 0
	v_add3_u32 v14, v16, v14, v15
	s_delay_alu instid0(VALU_DEP_4)
	v_add3_u32 v6, v34, v6, v33
	s_clause 0x1
	global_load_u8 v15, v[13:14], off
	global_load_u8 v16, v[5:6], off
	s_waitcnt vmcnt(1)
	v_cmp_ne_u16_e64 s0, 0, v15
	s_waitcnt vmcnt(0)
	v_cmp_ne_u16_e32 vcc_lo, 0, v16
	s_delay_alu instid0(VALU_DEP_2) | instskip(NEXT) | instid1(SALU_CYCLE_1)
	s_xor_b32 s0, s0, vcc_lo
	s_xor_b32 s0, s0, -1
	s_delay_alu instid0(SALU_CYCLE_1)
	s_and_saveexec_b32 s3, s0
	s_cbranch_execz .LBB1049_90
; %bb.84:
	s_mov_b64 s[14:15], 1
                                        ; implicit-def: $sgpr22
	s_set_inst_prefetch_distance 0x1
	s_branch .LBB1049_87
	.p2align	6
.LBB1049_85:                            ;   in Loop: Header=BB1049_87 Depth=1
	v_add_co_u32 v15, s0, v13, s14
	s_delay_alu instid0(VALU_DEP_1) | instskip(SKIP_1) | instid1(VALU_DEP_1)
	v_add_co_ci_u32_e64 v16, s0, s15, v14, s0
	v_add_co_u32 v33, s0, v5, s14
	v_add_co_ci_u32_e64 v34, s0, s15, v6, s0
	s_clause 0x1
	global_load_u8 v15, v[15:16], off
	global_load_u8 v16, v[33:34], off
	s_waitcnt vmcnt(1)
	v_cmp_ne_u16_e64 s0, 0, v15
	s_waitcnt vmcnt(0)
	v_cmp_ne_u16_e64 s1, 0, v16
	s_delay_alu instid0(VALU_DEP_1) | instskip(SKIP_4) | instid1(SALU_CYCLE_1)
	s_xor_b32 s23, s0, s1
	s_add_u32 s0, s14, 1
	s_addc_u32 s1, s15, 0
	s_and_not1_b32 s22, s22, exec_lo
	s_and_b32 s23, s23, exec_lo
	s_or_b32 s22, s22, s23
.LBB1049_86:                            ;   in Loop: Header=BB1049_87 Depth=1
	v_dual_mov_b32 v16, s15 :: v_dual_mov_b32 v15, s14
	s_and_b32 s23, exec_lo, s22
	s_mov_b64 s[14:15], s[0:1]
	s_or_b32 s21, s23, s21
	s_delay_alu instid0(SALU_CYCLE_1)
	s_and_not1_b32 exec_lo, exec_lo, s21
	s_cbranch_execz .LBB1049_89
.LBB1049_87:                            ; =>This Inner Loop Header: Depth=1
	s_or_b32 s22, s22, exec_lo
	s_cmp_eq_u64 s[8:9], s[14:15]
	s_cbranch_scc0 .LBB1049_85
; %bb.88:                               ;   in Loop: Header=BB1049_87 Depth=1
	s_mov_b64 s[14:15], s[8:9]
                                        ; implicit-def: $sgpr0_sgpr1
	s_branch .LBB1049_86
.LBB1049_89:
	s_set_inst_prefetch_distance 0x2
	s_or_b32 exec_lo, exec_lo, s21
	v_cmp_gt_i64_e64 s0, s[8:9], v[15:16]
	s_mov_b32 s1, 0
	s_delay_alu instid0(SALU_CYCLE_1) | instskip(NEXT) | instid1(VALU_DEP_2)
	v_mov_b32_e32 v112, s1
	v_cndmask_b32_e64 v111, 0, 1, s0
.LBB1049_90:
	s_or_b32 exec_lo, exec_lo, s3
	v_mad_u64_u32 v[13:14], null, v65, s8, s[10:11]
	v_mul_lo_u32 v15, v65, s9
	v_mul_lo_u32 v16, v66, s8
	s_mov_b32 s21, 0
	s_delay_alu instid0(VALU_DEP_1)
	v_add3_u32 v14, v16, v14, v15
	global_load_u8 v15, v[13:14], off
	s_waitcnt vmcnt(0)
	v_cmp_ne_u16_e64 s0, 0, v15
	v_mov_b32_e32 v15, 1
	v_mov_b32_e32 v16, 0
	s_delay_alu instid0(VALU_DEP_3) | instskip(NEXT) | instid1(SALU_CYCLE_1)
	s_xor_b32 s0, vcc_lo, s0
	s_xor_b32 s0, s0, -1
	s_delay_alu instid0(SALU_CYCLE_1)
	s_and_saveexec_b32 s3, s0
	s_cbranch_execz .LBB1049_97
; %bb.91:
	s_mov_b64 s[14:15], 1
                                        ; implicit-def: $sgpr22
	s_set_inst_prefetch_distance 0x1
	s_branch .LBB1049_94
	.p2align	6
.LBB1049_92:                            ;   in Loop: Header=BB1049_94 Depth=1
	v_add_co_u32 v15, vcc_lo, v5, s14
	v_add_co_ci_u32_e32 v16, vcc_lo, s15, v6, vcc_lo
	v_add_co_u32 v33, vcc_lo, v13, s14
	v_add_co_ci_u32_e32 v34, vcc_lo, s15, v14, vcc_lo
	s_clause 0x1
	global_load_u8 v15, v[15:16], off
	global_load_u8 v16, v[33:34], off
	s_waitcnt vmcnt(1)
	v_cmp_ne_u16_e32 vcc_lo, 0, v15
	s_waitcnt vmcnt(0)
	v_cmp_ne_u16_e64 s0, 0, v16
	s_delay_alu instid0(VALU_DEP_1) | instskip(SKIP_4) | instid1(SALU_CYCLE_1)
	s_xor_b32 s23, vcc_lo, s0
	s_add_u32 s0, s14, 1
	s_addc_u32 s1, s15, 0
	s_and_not1_b32 s22, s22, exec_lo
	s_and_b32 s23, s23, exec_lo
	s_or_b32 s22, s22, s23
.LBB1049_93:                            ;   in Loop: Header=BB1049_94 Depth=1
	v_dual_mov_b32 v16, s15 :: v_dual_mov_b32 v15, s14
	s_and_b32 s23, exec_lo, s22
	s_mov_b64 s[14:15], s[0:1]
	s_or_b32 s21, s23, s21
	s_delay_alu instid0(SALU_CYCLE_1)
	s_and_not1_b32 exec_lo, exec_lo, s21
	s_cbranch_execz .LBB1049_96
.LBB1049_94:                            ; =>This Inner Loop Header: Depth=1
	s_or_b32 s22, s22, exec_lo
	s_cmp_eq_u64 s[8:9], s[14:15]
	s_cbranch_scc0 .LBB1049_92
; %bb.95:                               ;   in Loop: Header=BB1049_94 Depth=1
	s_mov_b64 s[14:15], s[8:9]
                                        ; implicit-def: $sgpr0_sgpr1
	s_branch .LBB1049_93
.LBB1049_96:
	s_set_inst_prefetch_distance 0x2
	s_or_b32 exec_lo, exec_lo, s21
	v_cmp_gt_i64_e32 vcc_lo, s[8:9], v[15:16]
	s_mov_b32 s0, 0
	s_delay_alu instid0(SALU_CYCLE_1)
	v_mov_b32_e32 v16, s0
	v_cndmask_b32_e64 v15, 0, 1, vcc_lo
.LBB1049_97:
	s_or_b32 exec_lo, exec_lo, s3
.LBB1049_98:
	v_mov_b32_e32 v35, 0
	v_mov_b32_e32 v36, 0
	v_cmp_ne_u32_e32 vcc_lo, 1, v53
	s_delay_alu instid0(VALU_DEP_2)
	v_dual_mov_b32 v114, v36 :: v_dual_mov_b32 v113, v35
	s_cbranch_vccnz .LBB1049_114
; %bb.99:
	v_mad_u64_u32 v[13:14], null, v65, s8, s[10:11]
	v_mul_lo_u32 v33, v65, s9
	v_mul_lo_u32 v34, v66, s8
	v_mad_u64_u32 v[5:6], null, v63, s8, s[10:11]
	v_mul_lo_u32 v35, v63, s9
	v_mul_lo_u32 v36, v64, s8
	v_mov_b32_e32 v113, 1
	v_mov_b32_e32 v114, 0
	s_mov_b32 s21, 0
	v_add3_u32 v14, v34, v14, v33
	s_delay_alu instid0(VALU_DEP_4)
	v_add3_u32 v6, v36, v6, v35
	s_clause 0x1
	global_load_u8 v33, v[13:14], off
	global_load_u8 v34, v[5:6], off
	s_waitcnt vmcnt(1)
	v_cmp_ne_u16_e64 s0, 0, v33
	s_waitcnt vmcnt(0)
	v_cmp_ne_u16_e32 vcc_lo, 0, v34
	s_delay_alu instid0(VALU_DEP_2) | instskip(NEXT) | instid1(SALU_CYCLE_1)
	s_xor_b32 s0, s0, vcc_lo
	s_xor_b32 s0, s0, -1
	s_delay_alu instid0(SALU_CYCLE_1)
	s_and_saveexec_b32 s3, s0
	s_cbranch_execz .LBB1049_106
; %bb.100:
	s_mov_b64 s[14:15], 1
                                        ; implicit-def: $sgpr22
	s_set_inst_prefetch_distance 0x1
	s_branch .LBB1049_103
	.p2align	6
.LBB1049_101:                           ;   in Loop: Header=BB1049_103 Depth=1
	v_add_co_u32 v33, s0, v13, s14
	s_delay_alu instid0(VALU_DEP_1) | instskip(SKIP_1) | instid1(VALU_DEP_1)
	v_add_co_ci_u32_e64 v34, s0, s15, v14, s0
	v_add_co_u32 v35, s0, v5, s14
	v_add_co_ci_u32_e64 v36, s0, s15, v6, s0
	s_clause 0x1
	global_load_u8 v33, v[33:34], off
	global_load_u8 v34, v[35:36], off
	s_waitcnt vmcnt(1)
	v_cmp_ne_u16_e64 s0, 0, v33
	s_waitcnt vmcnt(0)
	v_cmp_ne_u16_e64 s1, 0, v34
	s_delay_alu instid0(VALU_DEP_1) | instskip(SKIP_4) | instid1(SALU_CYCLE_1)
	s_xor_b32 s23, s0, s1
	s_add_u32 s0, s14, 1
	s_addc_u32 s1, s15, 0
	s_and_not1_b32 s22, s22, exec_lo
	s_and_b32 s23, s23, exec_lo
	s_or_b32 s22, s22, s23
.LBB1049_102:                           ;   in Loop: Header=BB1049_103 Depth=1
	v_dual_mov_b32 v34, s15 :: v_dual_mov_b32 v33, s14
	s_and_b32 s23, exec_lo, s22
	s_mov_b64 s[14:15], s[0:1]
	s_or_b32 s21, s23, s21
	s_delay_alu instid0(SALU_CYCLE_1)
	s_and_not1_b32 exec_lo, exec_lo, s21
	s_cbranch_execz .LBB1049_105
.LBB1049_103:                           ; =>This Inner Loop Header: Depth=1
	s_or_b32 s22, s22, exec_lo
	s_cmp_eq_u64 s[8:9], s[14:15]
	s_cbranch_scc0 .LBB1049_101
; %bb.104:                              ;   in Loop: Header=BB1049_103 Depth=1
	s_mov_b64 s[14:15], s[8:9]
                                        ; implicit-def: $sgpr0_sgpr1
	s_branch .LBB1049_102
.LBB1049_105:
	s_set_inst_prefetch_distance 0x2
	s_or_b32 exec_lo, exec_lo, s21
	v_cmp_gt_i64_e64 s0, s[8:9], v[33:34]
	s_mov_b32 s1, 0
	s_delay_alu instid0(SALU_CYCLE_1) | instskip(NEXT) | instid1(VALU_DEP_2)
	v_mov_b32_e32 v114, s1
	v_cndmask_b32_e64 v113, 0, 1, s0
.LBB1049_106:
	s_or_b32 exec_lo, exec_lo, s3
	v_mad_u64_u32 v[13:14], null, v61, s8, s[10:11]
	v_mul_lo_u32 v33, v61, s9
	v_mul_lo_u32 v34, v62, s8
	v_mov_b32_e32 v35, 1
	v_mov_b32_e32 v36, 0
	s_mov_b32 s21, 0
	s_delay_alu instid0(VALU_DEP_3) | instskip(SKIP_3) | instid1(VALU_DEP_1)
	v_add3_u32 v14, v34, v14, v33
	global_load_u8 v33, v[13:14], off
	s_waitcnt vmcnt(0)
	v_cmp_ne_u16_e64 s0, 0, v33
	s_xor_b32 s0, vcc_lo, s0
	s_delay_alu instid0(SALU_CYCLE_1) | instskip(NEXT) | instid1(SALU_CYCLE_1)
	s_xor_b32 s0, s0, -1
	s_and_saveexec_b32 s3, s0
	s_cbranch_execz .LBB1049_113
; %bb.107:
	s_mov_b64 s[14:15], 1
                                        ; implicit-def: $sgpr22
	s_set_inst_prefetch_distance 0x1
	s_branch .LBB1049_110
	.p2align	6
.LBB1049_108:                           ;   in Loop: Header=BB1049_110 Depth=1
	v_add_co_u32 v33, vcc_lo, v5, s14
	v_add_co_ci_u32_e32 v34, vcc_lo, s15, v6, vcc_lo
	v_add_co_u32 v35, vcc_lo, v13, s14
	v_add_co_ci_u32_e32 v36, vcc_lo, s15, v14, vcc_lo
	s_clause 0x1
	global_load_u8 v33, v[33:34], off
	global_load_u8 v34, v[35:36], off
	s_waitcnt vmcnt(1)
	v_cmp_ne_u16_e32 vcc_lo, 0, v33
	s_waitcnt vmcnt(0)
	v_cmp_ne_u16_e64 s0, 0, v34
	s_delay_alu instid0(VALU_DEP_1) | instskip(SKIP_4) | instid1(SALU_CYCLE_1)
	s_xor_b32 s23, vcc_lo, s0
	s_add_u32 s0, s14, 1
	s_addc_u32 s1, s15, 0
	s_and_not1_b32 s22, s22, exec_lo
	s_and_b32 s23, s23, exec_lo
	s_or_b32 s22, s22, s23
.LBB1049_109:                           ;   in Loop: Header=BB1049_110 Depth=1
	v_dual_mov_b32 v34, s15 :: v_dual_mov_b32 v33, s14
	s_and_b32 s23, exec_lo, s22
	s_mov_b64 s[14:15], s[0:1]
	s_or_b32 s21, s23, s21
	s_delay_alu instid0(SALU_CYCLE_1)
	s_and_not1_b32 exec_lo, exec_lo, s21
	s_cbranch_execz .LBB1049_112
.LBB1049_110:                           ; =>This Inner Loop Header: Depth=1
	s_or_b32 s22, s22, exec_lo
	s_cmp_eq_u64 s[8:9], s[14:15]
	s_cbranch_scc0 .LBB1049_108
; %bb.111:                              ;   in Loop: Header=BB1049_110 Depth=1
	s_mov_b64 s[14:15], s[8:9]
                                        ; implicit-def: $sgpr0_sgpr1
	s_branch .LBB1049_109
.LBB1049_112:
	s_set_inst_prefetch_distance 0x2
	s_or_b32 exec_lo, exec_lo, s21
	v_cmp_gt_i64_e32 vcc_lo, s[8:9], v[33:34]
	s_mov_b32 s0, 0
	s_delay_alu instid0(SALU_CYCLE_1)
	v_mov_b32_e32 v36, s0
	v_cndmask_b32_e64 v35, 0, 1, vcc_lo
.LBB1049_113:
	s_or_b32 exec_lo, exec_lo, s3
.LBB1049_114:
	v_mov_b32_e32 v55, 0
	v_mov_b32_e32 v56, 0
	v_cmp_ne_u32_e32 vcc_lo, 1, v53
	s_delay_alu instid0(VALU_DEP_2)
	v_dual_mov_b32 v116, v56 :: v_dual_mov_b32 v115, v55
	s_cbranch_vccnz .LBB1049_130
; %bb.115:
	v_mad_u64_u32 v[13:14], null, v61, s8, s[10:11]
	v_mul_lo_u32 v33, v61, s9
	v_mul_lo_u32 v34, v62, s8
	v_mad_u64_u32 v[5:6], null, v59, s8, s[10:11]
	v_mul_lo_u32 v54, v59, s9
	v_mul_lo_u32 v55, v60, s8
	v_mov_b32_e32 v115, 1
	v_mov_b32_e32 v116, 0
	s_mov_b32 s21, 0
	v_add3_u32 v14, v34, v14, v33
	s_delay_alu instid0(VALU_DEP_4)
	v_add3_u32 v6, v55, v6, v54
	s_clause 0x1
	global_load_u8 v33, v[13:14], off
	global_load_u8 v34, v[5:6], off
	s_waitcnt vmcnt(1)
	v_cmp_ne_u16_e64 s0, 0, v33
	s_waitcnt vmcnt(0)
	v_cmp_ne_u16_e32 vcc_lo, 0, v34
	s_delay_alu instid0(VALU_DEP_2) | instskip(NEXT) | instid1(SALU_CYCLE_1)
	s_xor_b32 s0, s0, vcc_lo
	s_xor_b32 s0, s0, -1
	s_delay_alu instid0(SALU_CYCLE_1)
	s_and_saveexec_b32 s3, s0
	s_cbranch_execz .LBB1049_122
; %bb.116:
	s_mov_b64 s[14:15], 1
                                        ; implicit-def: $sgpr22
	s_set_inst_prefetch_distance 0x1
	s_branch .LBB1049_119
	.p2align	6
.LBB1049_117:                           ;   in Loop: Header=BB1049_119 Depth=1
	v_add_co_u32 v33, s0, v13, s14
	s_delay_alu instid0(VALU_DEP_1) | instskip(SKIP_1) | instid1(VALU_DEP_1)
	v_add_co_ci_u32_e64 v34, s0, s15, v14, s0
	v_add_co_u32 v54, s0, v5, s14
	v_add_co_ci_u32_e64 v55, s0, s15, v6, s0
	s_clause 0x1
	global_load_u8 v33, v[33:34], off
	global_load_u8 v34, v[54:55], off
	s_waitcnt vmcnt(1)
	v_cmp_ne_u16_e64 s0, 0, v33
	s_waitcnt vmcnt(0)
	v_cmp_ne_u16_e64 s1, 0, v34
	s_delay_alu instid0(VALU_DEP_1) | instskip(SKIP_4) | instid1(SALU_CYCLE_1)
	s_xor_b32 s23, s0, s1
	s_add_u32 s0, s14, 1
	s_addc_u32 s1, s15, 0
	s_and_not1_b32 s22, s22, exec_lo
	s_and_b32 s23, s23, exec_lo
	s_or_b32 s22, s22, s23
.LBB1049_118:                           ;   in Loop: Header=BB1049_119 Depth=1
	v_dual_mov_b32 v34, s15 :: v_dual_mov_b32 v33, s14
	s_and_b32 s23, exec_lo, s22
	s_mov_b64 s[14:15], s[0:1]
	s_or_b32 s21, s23, s21
	s_delay_alu instid0(SALU_CYCLE_1)
	s_and_not1_b32 exec_lo, exec_lo, s21
	s_cbranch_execz .LBB1049_121
.LBB1049_119:                           ; =>This Inner Loop Header: Depth=1
	s_or_b32 s22, s22, exec_lo
	s_cmp_eq_u64 s[8:9], s[14:15]
	s_cbranch_scc0 .LBB1049_117
; %bb.120:                              ;   in Loop: Header=BB1049_119 Depth=1
	s_mov_b64 s[14:15], s[8:9]
                                        ; implicit-def: $sgpr0_sgpr1
	s_branch .LBB1049_118
.LBB1049_121:
	s_set_inst_prefetch_distance 0x2
	s_or_b32 exec_lo, exec_lo, s21
	v_cmp_gt_i64_e64 s0, s[8:9], v[33:34]
	s_mov_b32 s1, 0
	s_delay_alu instid0(SALU_CYCLE_1) | instskip(NEXT) | instid1(VALU_DEP_2)
	v_mov_b32_e32 v116, s1
	v_cndmask_b32_e64 v115, 0, 1, s0
.LBB1049_122:
	s_or_b32 exec_lo, exec_lo, s3
	v_mad_u64_u32 v[13:14], null, v57, s8, s[10:11]
	v_mul_lo_u32 v33, v57, s9
	v_mul_lo_u32 v34, v58, s8
	v_mov_b32_e32 v55, 1
	v_mov_b32_e32 v56, 0
	s_mov_b32 s21, 0
	s_delay_alu instid0(VALU_DEP_3) | instskip(SKIP_3) | instid1(VALU_DEP_1)
	v_add3_u32 v14, v34, v14, v33
	global_load_u8 v33, v[13:14], off
	s_waitcnt vmcnt(0)
	v_cmp_ne_u16_e64 s0, 0, v33
	s_xor_b32 s0, vcc_lo, s0
	s_delay_alu instid0(SALU_CYCLE_1) | instskip(NEXT) | instid1(SALU_CYCLE_1)
	s_xor_b32 s0, s0, -1
	s_and_saveexec_b32 s3, s0
	s_cbranch_execz .LBB1049_129
; %bb.123:
	s_mov_b64 s[14:15], 1
                                        ; implicit-def: $sgpr22
	s_set_inst_prefetch_distance 0x1
	s_branch .LBB1049_126
	.p2align	6
.LBB1049_124:                           ;   in Loop: Header=BB1049_126 Depth=1
	v_add_co_u32 v33, vcc_lo, v5, s14
	v_add_co_ci_u32_e32 v34, vcc_lo, s15, v6, vcc_lo
	v_add_co_u32 v54, vcc_lo, v13, s14
	v_add_co_ci_u32_e32 v55, vcc_lo, s15, v14, vcc_lo
	s_clause 0x1
	global_load_u8 v33, v[33:34], off
	global_load_u8 v34, v[54:55], off
	s_waitcnt vmcnt(1)
	v_cmp_ne_u16_e32 vcc_lo, 0, v33
	s_waitcnt vmcnt(0)
	v_cmp_ne_u16_e64 s0, 0, v34
	s_delay_alu instid0(VALU_DEP_1) | instskip(SKIP_4) | instid1(SALU_CYCLE_1)
	s_xor_b32 s23, vcc_lo, s0
	s_add_u32 s0, s14, 1
	s_addc_u32 s1, s15, 0
	s_and_not1_b32 s22, s22, exec_lo
	s_and_b32 s23, s23, exec_lo
	s_or_b32 s22, s22, s23
.LBB1049_125:                           ;   in Loop: Header=BB1049_126 Depth=1
	v_dual_mov_b32 v34, s15 :: v_dual_mov_b32 v33, s14
	s_and_b32 s23, exec_lo, s22
	s_mov_b64 s[14:15], s[0:1]
	s_or_b32 s21, s23, s21
	s_delay_alu instid0(SALU_CYCLE_1)
	s_and_not1_b32 exec_lo, exec_lo, s21
	s_cbranch_execz .LBB1049_128
.LBB1049_126:                           ; =>This Inner Loop Header: Depth=1
	s_or_b32 s22, s22, exec_lo
	s_cmp_eq_u64 s[8:9], s[14:15]
	s_cbranch_scc0 .LBB1049_124
; %bb.127:                              ;   in Loop: Header=BB1049_126 Depth=1
	s_mov_b64 s[14:15], s[8:9]
                                        ; implicit-def: $sgpr0_sgpr1
	s_branch .LBB1049_125
.LBB1049_128:
	s_set_inst_prefetch_distance 0x2
	s_or_b32 exec_lo, exec_lo, s21
	v_cmp_gt_i64_e32 vcc_lo, s[8:9], v[33:34]
	s_mov_b32 s0, 0
	s_delay_alu instid0(SALU_CYCLE_1)
	v_mov_b32_e32 v56, s0
	v_cndmask_b32_e64 v55, 0, 1, vcc_lo
.LBB1049_129:
	s_or_b32 exec_lo, exec_lo, s3
.LBB1049_130:
	v_mov_b32_e32 v75, 0
	v_mov_b32_e32 v76, 0
	v_cmp_ne_u32_e32 vcc_lo, 1, v53
	s_delay_alu instid0(VALU_DEP_2)
	v_dual_mov_b32 v118, v76 :: v_dual_mov_b32 v117, v75
	s_cbranch_vccnz .LBB1049_146
; %bb.131:
	v_mad_u64_u32 v[13:14], null, v57, s8, s[10:11]
	v_mul_lo_u32 v33, v57, s9
	v_mul_lo_u32 v34, v58, s8
	v_mad_u64_u32 v[5:6], null, v51, s8, s[10:11]
	v_mul_lo_u32 v54, v51, s9
	v_mul_lo_u32 v73, v52, s8
	v_mov_b32_e32 v117, 1
	v_mov_b32_e32 v118, 0
	s_mov_b32 s21, 0
	v_add3_u32 v14, v34, v14, v33
	s_delay_alu instid0(VALU_DEP_4)
	v_add3_u32 v6, v73, v6, v54
	s_clause 0x1
	global_load_u8 v33, v[13:14], off
	global_load_u8 v34, v[5:6], off
	s_waitcnt vmcnt(1)
	v_cmp_ne_u16_e64 s0, 0, v33
	s_waitcnt vmcnt(0)
	v_cmp_ne_u16_e32 vcc_lo, 0, v34
	s_delay_alu instid0(VALU_DEP_2) | instskip(NEXT) | instid1(SALU_CYCLE_1)
	s_xor_b32 s0, s0, vcc_lo
	s_xor_b32 s0, s0, -1
	s_delay_alu instid0(SALU_CYCLE_1)
	s_and_saveexec_b32 s3, s0
	s_cbranch_execz .LBB1049_138
; %bb.132:
	s_mov_b64 s[14:15], 1
                                        ; implicit-def: $sgpr22
	s_set_inst_prefetch_distance 0x1
	s_branch .LBB1049_135
	.p2align	6
.LBB1049_133:                           ;   in Loop: Header=BB1049_135 Depth=1
	v_add_co_u32 v33, s0, v13, s14
	s_delay_alu instid0(VALU_DEP_1) | instskip(SKIP_1) | instid1(VALU_DEP_1)
	v_add_co_ci_u32_e64 v34, s0, s15, v14, s0
	v_add_co_u32 v73, s0, v5, s14
	v_add_co_ci_u32_e64 v74, s0, s15, v6, s0
	s_clause 0x1
	global_load_u8 v33, v[33:34], off
	global_load_u8 v34, v[73:74], off
	s_waitcnt vmcnt(1)
	v_cmp_ne_u16_e64 s0, 0, v33
	s_waitcnt vmcnt(0)
	v_cmp_ne_u16_e64 s1, 0, v34
	s_delay_alu instid0(VALU_DEP_1) | instskip(SKIP_4) | instid1(SALU_CYCLE_1)
	s_xor_b32 s23, s0, s1
	s_add_u32 s0, s14, 1
	s_addc_u32 s1, s15, 0
	s_and_not1_b32 s22, s22, exec_lo
	s_and_b32 s23, s23, exec_lo
	s_or_b32 s22, s22, s23
.LBB1049_134:                           ;   in Loop: Header=BB1049_135 Depth=1
	v_dual_mov_b32 v34, s15 :: v_dual_mov_b32 v33, s14
	s_and_b32 s23, exec_lo, s22
	s_mov_b64 s[14:15], s[0:1]
	s_or_b32 s21, s23, s21
	s_delay_alu instid0(SALU_CYCLE_1)
	s_and_not1_b32 exec_lo, exec_lo, s21
	s_cbranch_execz .LBB1049_137
.LBB1049_135:                           ; =>This Inner Loop Header: Depth=1
	s_or_b32 s22, s22, exec_lo
	s_cmp_eq_u64 s[8:9], s[14:15]
	s_cbranch_scc0 .LBB1049_133
; %bb.136:                              ;   in Loop: Header=BB1049_135 Depth=1
	s_mov_b64 s[14:15], s[8:9]
                                        ; implicit-def: $sgpr0_sgpr1
	s_branch .LBB1049_134
.LBB1049_137:
	s_set_inst_prefetch_distance 0x2
	s_or_b32 exec_lo, exec_lo, s21
	v_cmp_gt_i64_e64 s0, s[8:9], v[33:34]
	s_mov_b32 s1, 0
	s_delay_alu instid0(SALU_CYCLE_1) | instskip(NEXT) | instid1(VALU_DEP_2)
	v_mov_b32_e32 v118, s1
	v_cndmask_b32_e64 v117, 0, 1, s0
.LBB1049_138:
	s_or_b32 exec_lo, exec_lo, s3
	v_mad_u64_u32 v[13:14], null, v49, s8, s[10:11]
	v_mul_lo_u32 v33, v49, s9
	v_mul_lo_u32 v34, v50, s8
	v_mov_b32_e32 v75, 1
	v_mov_b32_e32 v76, 0
	s_mov_b32 s21, 0
	s_delay_alu instid0(VALU_DEP_3) | instskip(SKIP_3) | instid1(VALU_DEP_1)
	v_add3_u32 v14, v34, v14, v33
	global_load_u8 v33, v[13:14], off
	s_waitcnt vmcnt(0)
	v_cmp_ne_u16_e64 s0, 0, v33
	s_xor_b32 s0, vcc_lo, s0
	s_delay_alu instid0(SALU_CYCLE_1) | instskip(NEXT) | instid1(SALU_CYCLE_1)
	s_xor_b32 s0, s0, -1
	s_and_saveexec_b32 s3, s0
	s_cbranch_execz .LBB1049_145
; %bb.139:
	s_mov_b64 s[14:15], 1
                                        ; implicit-def: $sgpr22
	s_set_inst_prefetch_distance 0x1
	s_branch .LBB1049_142
	.p2align	6
.LBB1049_140:                           ;   in Loop: Header=BB1049_142 Depth=1
	v_add_co_u32 v33, vcc_lo, v5, s14
	v_add_co_ci_u32_e32 v34, vcc_lo, s15, v6, vcc_lo
	v_add_co_u32 v73, vcc_lo, v13, s14
	v_add_co_ci_u32_e32 v74, vcc_lo, s15, v14, vcc_lo
	s_clause 0x1
	global_load_u8 v33, v[33:34], off
	global_load_u8 v34, v[73:74], off
	s_waitcnt vmcnt(1)
	v_cmp_ne_u16_e32 vcc_lo, 0, v33
	s_waitcnt vmcnt(0)
	v_cmp_ne_u16_e64 s0, 0, v34
	s_delay_alu instid0(VALU_DEP_1) | instskip(SKIP_4) | instid1(SALU_CYCLE_1)
	s_xor_b32 s23, vcc_lo, s0
	s_add_u32 s0, s14, 1
	s_addc_u32 s1, s15, 0
	s_and_not1_b32 s22, s22, exec_lo
	s_and_b32 s23, s23, exec_lo
	s_or_b32 s22, s22, s23
.LBB1049_141:                           ;   in Loop: Header=BB1049_142 Depth=1
	v_dual_mov_b32 v34, s15 :: v_dual_mov_b32 v33, s14
	s_and_b32 s23, exec_lo, s22
	s_mov_b64 s[14:15], s[0:1]
	s_or_b32 s21, s23, s21
	s_delay_alu instid0(SALU_CYCLE_1)
	s_and_not1_b32 exec_lo, exec_lo, s21
	s_cbranch_execz .LBB1049_144
.LBB1049_142:                           ; =>This Inner Loop Header: Depth=1
	s_or_b32 s22, s22, exec_lo
	s_cmp_eq_u64 s[8:9], s[14:15]
	s_cbranch_scc0 .LBB1049_140
; %bb.143:                              ;   in Loop: Header=BB1049_142 Depth=1
	s_mov_b64 s[14:15], s[8:9]
                                        ; implicit-def: $sgpr0_sgpr1
	s_branch .LBB1049_141
.LBB1049_144:
	s_set_inst_prefetch_distance 0x2
	s_or_b32 exec_lo, exec_lo, s21
	v_cmp_gt_i64_e32 vcc_lo, s[8:9], v[33:34]
	s_mov_b32 s0, 0
	s_delay_alu instid0(SALU_CYCLE_1)
	v_mov_b32_e32 v76, s0
	v_cndmask_b32_e64 v75, 0, 1, vcc_lo
.LBB1049_145:
	s_or_b32 exec_lo, exec_lo, s3
.LBB1049_146:
	v_mov_b32_e32 v79, 0
	v_mov_b32_e32 v80, 0
	v_cmp_ne_u32_e32 vcc_lo, 1, v53
	s_delay_alu instid0(VALU_DEP_2)
	v_dual_mov_b32 v122, v80 :: v_dual_mov_b32 v121, v79
	s_cbranch_vccnz .LBB1049_162
; %bb.147:
	v_mad_u64_u32 v[13:14], null, v49, s8, s[10:11]
	v_mul_lo_u32 v33, v49, s9
	v_mul_lo_u32 v34, v50, s8
	v_mad_u64_u32 v[5:6], null, v47, s8, s[10:11]
	v_mul_lo_u32 v54, v47, s9
	v_mul_lo_u32 v73, v48, s8
	v_mov_b32_e32 v121, 1
	v_mov_b32_e32 v122, 0
	s_mov_b32 s21, 0
	v_add3_u32 v14, v34, v14, v33
	s_delay_alu instid0(VALU_DEP_4)
	v_add3_u32 v6, v73, v6, v54
	s_clause 0x1
	global_load_u8 v33, v[13:14], off
	global_load_u8 v34, v[5:6], off
	s_waitcnt vmcnt(1)
	v_cmp_ne_u16_e64 s0, 0, v33
	s_waitcnt vmcnt(0)
	v_cmp_ne_u16_e32 vcc_lo, 0, v34
	s_delay_alu instid0(VALU_DEP_2) | instskip(NEXT) | instid1(SALU_CYCLE_1)
	s_xor_b32 s0, s0, vcc_lo
	s_xor_b32 s0, s0, -1
	s_delay_alu instid0(SALU_CYCLE_1)
	s_and_saveexec_b32 s3, s0
	s_cbranch_execz .LBB1049_154
; %bb.148:
	s_mov_b64 s[14:15], 1
                                        ; implicit-def: $sgpr22
	s_set_inst_prefetch_distance 0x1
	s_branch .LBB1049_151
	.p2align	6
.LBB1049_149:                           ;   in Loop: Header=BB1049_151 Depth=1
	v_add_co_u32 v33, s0, v13, s14
	s_delay_alu instid0(VALU_DEP_1) | instskip(SKIP_1) | instid1(VALU_DEP_1)
	v_add_co_ci_u32_e64 v34, s0, s15, v14, s0
	v_add_co_u32 v73, s0, v5, s14
	v_add_co_ci_u32_e64 v74, s0, s15, v6, s0
	s_clause 0x1
	global_load_u8 v33, v[33:34], off
	global_load_u8 v34, v[73:74], off
	s_waitcnt vmcnt(1)
	v_cmp_ne_u16_e64 s0, 0, v33
	s_waitcnt vmcnt(0)
	v_cmp_ne_u16_e64 s1, 0, v34
	s_delay_alu instid0(VALU_DEP_1) | instskip(SKIP_4) | instid1(SALU_CYCLE_1)
	s_xor_b32 s23, s0, s1
	s_add_u32 s0, s14, 1
	s_addc_u32 s1, s15, 0
	s_and_not1_b32 s22, s22, exec_lo
	s_and_b32 s23, s23, exec_lo
	s_or_b32 s22, s22, s23
.LBB1049_150:                           ;   in Loop: Header=BB1049_151 Depth=1
	v_dual_mov_b32 v34, s15 :: v_dual_mov_b32 v33, s14
	s_and_b32 s23, exec_lo, s22
	s_mov_b64 s[14:15], s[0:1]
	s_or_b32 s21, s23, s21
	s_delay_alu instid0(SALU_CYCLE_1)
	s_and_not1_b32 exec_lo, exec_lo, s21
	s_cbranch_execz .LBB1049_153
.LBB1049_151:                           ; =>This Inner Loop Header: Depth=1
	s_or_b32 s22, s22, exec_lo
	s_cmp_eq_u64 s[8:9], s[14:15]
	s_cbranch_scc0 .LBB1049_149
; %bb.152:                              ;   in Loop: Header=BB1049_151 Depth=1
	s_mov_b64 s[14:15], s[8:9]
                                        ; implicit-def: $sgpr0_sgpr1
	s_branch .LBB1049_150
.LBB1049_153:
	s_set_inst_prefetch_distance 0x2
	s_or_b32 exec_lo, exec_lo, s21
	v_cmp_gt_i64_e64 s0, s[8:9], v[33:34]
	s_mov_b32 s1, 0
	s_delay_alu instid0(SALU_CYCLE_1) | instskip(NEXT) | instid1(VALU_DEP_2)
	v_mov_b32_e32 v122, s1
	v_cndmask_b32_e64 v121, 0, 1, s0
.LBB1049_154:
	s_or_b32 exec_lo, exec_lo, s3
	v_mad_u64_u32 v[13:14], null, v45, s8, s[10:11]
	v_mul_lo_u32 v33, v45, s9
	v_mul_lo_u32 v34, v46, s8
	v_mov_b32_e32 v79, 1
	v_mov_b32_e32 v80, 0
	s_mov_b32 s21, 0
	s_delay_alu instid0(VALU_DEP_3) | instskip(SKIP_3) | instid1(VALU_DEP_1)
	v_add3_u32 v14, v34, v14, v33
	global_load_u8 v33, v[13:14], off
	s_waitcnt vmcnt(0)
	v_cmp_ne_u16_e64 s0, 0, v33
	s_xor_b32 s0, vcc_lo, s0
	s_delay_alu instid0(SALU_CYCLE_1) | instskip(NEXT) | instid1(SALU_CYCLE_1)
	s_xor_b32 s0, s0, -1
	s_and_saveexec_b32 s3, s0
	s_cbranch_execz .LBB1049_161
; %bb.155:
	s_mov_b64 s[14:15], 1
                                        ; implicit-def: $sgpr22
	s_set_inst_prefetch_distance 0x1
	s_branch .LBB1049_158
	.p2align	6
.LBB1049_156:                           ;   in Loop: Header=BB1049_158 Depth=1
	v_add_co_u32 v33, vcc_lo, v5, s14
	v_add_co_ci_u32_e32 v34, vcc_lo, s15, v6, vcc_lo
	v_add_co_u32 v73, vcc_lo, v13, s14
	v_add_co_ci_u32_e32 v74, vcc_lo, s15, v14, vcc_lo
	s_clause 0x1
	global_load_u8 v33, v[33:34], off
	global_load_u8 v34, v[73:74], off
	s_waitcnt vmcnt(1)
	v_cmp_ne_u16_e32 vcc_lo, 0, v33
	s_waitcnt vmcnt(0)
	v_cmp_ne_u16_e64 s0, 0, v34
	s_delay_alu instid0(VALU_DEP_1) | instskip(SKIP_4) | instid1(SALU_CYCLE_1)
	s_xor_b32 s23, vcc_lo, s0
	s_add_u32 s0, s14, 1
	s_addc_u32 s1, s15, 0
	s_and_not1_b32 s22, s22, exec_lo
	s_and_b32 s23, s23, exec_lo
	s_or_b32 s22, s22, s23
.LBB1049_157:                           ;   in Loop: Header=BB1049_158 Depth=1
	v_dual_mov_b32 v34, s15 :: v_dual_mov_b32 v33, s14
	s_and_b32 s23, exec_lo, s22
	s_mov_b64 s[14:15], s[0:1]
	s_or_b32 s21, s23, s21
	s_delay_alu instid0(SALU_CYCLE_1)
	s_and_not1_b32 exec_lo, exec_lo, s21
	s_cbranch_execz .LBB1049_160
.LBB1049_158:                           ; =>This Inner Loop Header: Depth=1
	s_or_b32 s22, s22, exec_lo
	s_cmp_eq_u64 s[8:9], s[14:15]
	s_cbranch_scc0 .LBB1049_156
; %bb.159:                              ;   in Loop: Header=BB1049_158 Depth=1
	s_mov_b64 s[14:15], s[8:9]
                                        ; implicit-def: $sgpr0_sgpr1
	s_branch .LBB1049_157
.LBB1049_160:
	s_set_inst_prefetch_distance 0x2
	s_or_b32 exec_lo, exec_lo, s21
	v_cmp_gt_i64_e32 vcc_lo, s[8:9], v[33:34]
	s_mov_b32 s0, 0
	s_delay_alu instid0(SALU_CYCLE_1)
	v_mov_b32_e32 v80, s0
	v_cndmask_b32_e64 v79, 0, 1, vcc_lo
.LBB1049_161:
	s_or_b32 exec_lo, exec_lo, s3
.LBB1049_162:
	v_mov_b32_e32 v83, 0
	v_mov_b32_e32 v84, 0
	v_cmp_ne_u32_e32 vcc_lo, 1, v53
	s_delay_alu instid0(VALU_DEP_2)
	v_dual_mov_b32 v124, v84 :: v_dual_mov_b32 v123, v83
	s_cbranch_vccnz .LBB1049_178
; %bb.163:
	v_mad_u64_u32 v[13:14], null, v45, s8, s[10:11]
	v_mul_lo_u32 v33, v45, s9
	v_mul_lo_u32 v34, v46, s8
	v_mad_u64_u32 v[5:6], null, v43, s8, s[10:11]
	v_mul_lo_u32 v54, v43, s9
	v_mul_lo_u32 v73, v44, s8
	v_mov_b32_e32 v123, 1
	v_mov_b32_e32 v124, 0
	s_mov_b32 s21, 0
	v_add3_u32 v14, v34, v14, v33
	s_delay_alu instid0(VALU_DEP_4)
	v_add3_u32 v6, v73, v6, v54
	s_clause 0x1
	global_load_u8 v33, v[13:14], off
	global_load_u8 v34, v[5:6], off
	s_waitcnt vmcnt(1)
	v_cmp_ne_u16_e64 s0, 0, v33
	s_waitcnt vmcnt(0)
	v_cmp_ne_u16_e32 vcc_lo, 0, v34
	s_delay_alu instid0(VALU_DEP_2) | instskip(NEXT) | instid1(SALU_CYCLE_1)
	s_xor_b32 s0, s0, vcc_lo
	s_xor_b32 s0, s0, -1
	s_delay_alu instid0(SALU_CYCLE_1)
	s_and_saveexec_b32 s3, s0
	s_cbranch_execz .LBB1049_170
; %bb.164:
	s_mov_b64 s[14:15], 1
                                        ; implicit-def: $sgpr22
	s_set_inst_prefetch_distance 0x1
	s_branch .LBB1049_167
	.p2align	6
.LBB1049_165:                           ;   in Loop: Header=BB1049_167 Depth=1
	v_add_co_u32 v33, s0, v13, s14
	s_delay_alu instid0(VALU_DEP_1) | instskip(SKIP_1) | instid1(VALU_DEP_1)
	v_add_co_ci_u32_e64 v34, s0, s15, v14, s0
	v_add_co_u32 v73, s0, v5, s14
	v_add_co_ci_u32_e64 v74, s0, s15, v6, s0
	s_clause 0x1
	global_load_u8 v33, v[33:34], off
	global_load_u8 v34, v[73:74], off
	s_waitcnt vmcnt(1)
	v_cmp_ne_u16_e64 s0, 0, v33
	s_waitcnt vmcnt(0)
	v_cmp_ne_u16_e64 s1, 0, v34
	s_delay_alu instid0(VALU_DEP_1) | instskip(SKIP_4) | instid1(SALU_CYCLE_1)
	s_xor_b32 s23, s0, s1
	s_add_u32 s0, s14, 1
	s_addc_u32 s1, s15, 0
	s_and_not1_b32 s22, s22, exec_lo
	s_and_b32 s23, s23, exec_lo
	s_or_b32 s22, s22, s23
.LBB1049_166:                           ;   in Loop: Header=BB1049_167 Depth=1
	v_dual_mov_b32 v34, s15 :: v_dual_mov_b32 v33, s14
	s_and_b32 s23, exec_lo, s22
	s_mov_b64 s[14:15], s[0:1]
	s_or_b32 s21, s23, s21
	s_delay_alu instid0(SALU_CYCLE_1)
	s_and_not1_b32 exec_lo, exec_lo, s21
	s_cbranch_execz .LBB1049_169
.LBB1049_167:                           ; =>This Inner Loop Header: Depth=1
	s_or_b32 s22, s22, exec_lo
	s_cmp_eq_u64 s[8:9], s[14:15]
	s_cbranch_scc0 .LBB1049_165
; %bb.168:                              ;   in Loop: Header=BB1049_167 Depth=1
	s_mov_b64 s[14:15], s[8:9]
                                        ; implicit-def: $sgpr0_sgpr1
	s_branch .LBB1049_166
.LBB1049_169:
	s_set_inst_prefetch_distance 0x2
	s_or_b32 exec_lo, exec_lo, s21
	v_cmp_gt_i64_e64 s0, s[8:9], v[33:34]
	s_mov_b32 s1, 0
	s_delay_alu instid0(SALU_CYCLE_1) | instskip(NEXT) | instid1(VALU_DEP_2)
	v_mov_b32_e32 v124, s1
	v_cndmask_b32_e64 v123, 0, 1, s0
.LBB1049_170:
	s_or_b32 exec_lo, exec_lo, s3
	v_mad_u64_u32 v[13:14], null, v41, s8, s[10:11]
	v_mul_lo_u32 v33, v41, s9
	v_mul_lo_u32 v34, v42, s8
	v_mov_b32_e32 v83, 1
	v_mov_b32_e32 v84, 0
	s_mov_b32 s21, 0
	s_delay_alu instid0(VALU_DEP_3) | instskip(SKIP_3) | instid1(VALU_DEP_1)
	v_add3_u32 v14, v34, v14, v33
	global_load_u8 v33, v[13:14], off
	s_waitcnt vmcnt(0)
	v_cmp_ne_u16_e64 s0, 0, v33
	s_xor_b32 s0, vcc_lo, s0
	s_delay_alu instid0(SALU_CYCLE_1) | instskip(NEXT) | instid1(SALU_CYCLE_1)
	s_xor_b32 s0, s0, -1
	s_and_saveexec_b32 s3, s0
	s_cbranch_execz .LBB1049_177
; %bb.171:
	s_mov_b64 s[14:15], 1
                                        ; implicit-def: $sgpr22
	s_set_inst_prefetch_distance 0x1
	s_branch .LBB1049_174
	.p2align	6
.LBB1049_172:                           ;   in Loop: Header=BB1049_174 Depth=1
	v_add_co_u32 v33, vcc_lo, v5, s14
	v_add_co_ci_u32_e32 v34, vcc_lo, s15, v6, vcc_lo
	v_add_co_u32 v73, vcc_lo, v13, s14
	v_add_co_ci_u32_e32 v74, vcc_lo, s15, v14, vcc_lo
	s_clause 0x1
	global_load_u8 v33, v[33:34], off
	global_load_u8 v34, v[73:74], off
	s_waitcnt vmcnt(1)
	v_cmp_ne_u16_e32 vcc_lo, 0, v33
	s_waitcnt vmcnt(0)
	v_cmp_ne_u16_e64 s0, 0, v34
	s_delay_alu instid0(VALU_DEP_1) | instskip(SKIP_4) | instid1(SALU_CYCLE_1)
	s_xor_b32 s23, vcc_lo, s0
	s_add_u32 s0, s14, 1
	s_addc_u32 s1, s15, 0
	s_and_not1_b32 s22, s22, exec_lo
	s_and_b32 s23, s23, exec_lo
	s_or_b32 s22, s22, s23
.LBB1049_173:                           ;   in Loop: Header=BB1049_174 Depth=1
	v_dual_mov_b32 v34, s15 :: v_dual_mov_b32 v33, s14
	s_and_b32 s23, exec_lo, s22
	s_mov_b64 s[14:15], s[0:1]
	s_or_b32 s21, s23, s21
	s_delay_alu instid0(SALU_CYCLE_1)
	s_and_not1_b32 exec_lo, exec_lo, s21
	s_cbranch_execz .LBB1049_176
.LBB1049_174:                           ; =>This Inner Loop Header: Depth=1
	s_or_b32 s22, s22, exec_lo
	s_cmp_eq_u64 s[8:9], s[14:15]
	s_cbranch_scc0 .LBB1049_172
; %bb.175:                              ;   in Loop: Header=BB1049_174 Depth=1
	s_mov_b64 s[14:15], s[8:9]
                                        ; implicit-def: $sgpr0_sgpr1
	s_branch .LBB1049_173
.LBB1049_176:
	s_set_inst_prefetch_distance 0x2
	s_or_b32 exec_lo, exec_lo, s21
	v_cmp_gt_i64_e32 vcc_lo, s[8:9], v[33:34]
	s_mov_b32 s0, 0
	s_delay_alu instid0(SALU_CYCLE_1)
	v_mov_b32_e32 v84, s0
	v_cndmask_b32_e64 v83, 0, 1, vcc_lo
.LBB1049_177:
	s_or_b32 exec_lo, exec_lo, s3
.LBB1049_178:
	v_mov_b32_e32 v87, 0
	v_mov_b32_e32 v88, 0
	v_cmp_ne_u32_e32 vcc_lo, 1, v53
	s_delay_alu instid0(VALU_DEP_2)
	v_dual_mov_b32 v126, v88 :: v_dual_mov_b32 v125, v87
	s_cbranch_vccnz .LBB1049_194
; %bb.179:
	v_mad_u64_u32 v[13:14], null, v41, s8, s[10:11]
	v_mul_lo_u32 v33, v41, s9
	v_mul_lo_u32 v34, v42, s8
	v_mad_u64_u32 v[5:6], null, v39, s8, s[10:11]
	v_mul_lo_u32 v54, v39, s9
	v_mul_lo_u32 v73, v40, s8
	v_mov_b32_e32 v125, 1
	v_mov_b32_e32 v126, 0
	s_mov_b32 s21, 0
	v_add3_u32 v14, v34, v14, v33
	s_delay_alu instid0(VALU_DEP_4)
	v_add3_u32 v6, v73, v6, v54
	s_clause 0x1
	global_load_u8 v33, v[13:14], off
	global_load_u8 v34, v[5:6], off
	s_waitcnt vmcnt(1)
	v_cmp_ne_u16_e64 s0, 0, v33
	s_waitcnt vmcnt(0)
	v_cmp_ne_u16_e32 vcc_lo, 0, v34
	s_delay_alu instid0(VALU_DEP_2) | instskip(NEXT) | instid1(SALU_CYCLE_1)
	s_xor_b32 s0, s0, vcc_lo
	s_xor_b32 s0, s0, -1
	s_delay_alu instid0(SALU_CYCLE_1)
	s_and_saveexec_b32 s3, s0
	s_cbranch_execz .LBB1049_186
; %bb.180:
	s_mov_b64 s[14:15], 1
                                        ; implicit-def: $sgpr22
	s_set_inst_prefetch_distance 0x1
	s_branch .LBB1049_183
	.p2align	6
.LBB1049_181:                           ;   in Loop: Header=BB1049_183 Depth=1
	v_add_co_u32 v33, s0, v13, s14
	s_delay_alu instid0(VALU_DEP_1) | instskip(SKIP_1) | instid1(VALU_DEP_1)
	v_add_co_ci_u32_e64 v34, s0, s15, v14, s0
	v_add_co_u32 v73, s0, v5, s14
	v_add_co_ci_u32_e64 v74, s0, s15, v6, s0
	s_clause 0x1
	global_load_u8 v33, v[33:34], off
	global_load_u8 v34, v[73:74], off
	s_waitcnt vmcnt(1)
	v_cmp_ne_u16_e64 s0, 0, v33
	s_waitcnt vmcnt(0)
	v_cmp_ne_u16_e64 s1, 0, v34
	s_delay_alu instid0(VALU_DEP_1) | instskip(SKIP_4) | instid1(SALU_CYCLE_1)
	s_xor_b32 s23, s0, s1
	s_add_u32 s0, s14, 1
	s_addc_u32 s1, s15, 0
	s_and_not1_b32 s22, s22, exec_lo
	s_and_b32 s23, s23, exec_lo
	s_or_b32 s22, s22, s23
.LBB1049_182:                           ;   in Loop: Header=BB1049_183 Depth=1
	v_dual_mov_b32 v34, s15 :: v_dual_mov_b32 v33, s14
	s_and_b32 s23, exec_lo, s22
	s_mov_b64 s[14:15], s[0:1]
	s_or_b32 s21, s23, s21
	s_delay_alu instid0(SALU_CYCLE_1)
	s_and_not1_b32 exec_lo, exec_lo, s21
	s_cbranch_execz .LBB1049_185
.LBB1049_183:                           ; =>This Inner Loop Header: Depth=1
	s_or_b32 s22, s22, exec_lo
	s_cmp_eq_u64 s[8:9], s[14:15]
	s_cbranch_scc0 .LBB1049_181
; %bb.184:                              ;   in Loop: Header=BB1049_183 Depth=1
	s_mov_b64 s[14:15], s[8:9]
                                        ; implicit-def: $sgpr0_sgpr1
	s_branch .LBB1049_182
.LBB1049_185:
	s_set_inst_prefetch_distance 0x2
	s_or_b32 exec_lo, exec_lo, s21
	v_cmp_gt_i64_e64 s0, s[8:9], v[33:34]
	s_mov_b32 s1, 0
	s_delay_alu instid0(SALU_CYCLE_1) | instskip(NEXT) | instid1(VALU_DEP_2)
	v_mov_b32_e32 v126, s1
	v_cndmask_b32_e64 v125, 0, 1, s0
.LBB1049_186:
	s_or_b32 exec_lo, exec_lo, s3
	v_mad_u64_u32 v[13:14], null, v37, s8, s[10:11]
	v_mul_lo_u32 v33, v37, s9
	v_mul_lo_u32 v34, v38, s8
	v_mov_b32_e32 v87, 1
	v_mov_b32_e32 v88, 0
	s_mov_b32 s21, 0
	s_delay_alu instid0(VALU_DEP_3) | instskip(SKIP_3) | instid1(VALU_DEP_1)
	v_add3_u32 v14, v34, v14, v33
	global_load_u8 v33, v[13:14], off
	s_waitcnt vmcnt(0)
	v_cmp_ne_u16_e64 s0, 0, v33
	s_xor_b32 s0, vcc_lo, s0
	s_delay_alu instid0(SALU_CYCLE_1) | instskip(NEXT) | instid1(SALU_CYCLE_1)
	s_xor_b32 s0, s0, -1
	s_and_saveexec_b32 s3, s0
	s_cbranch_execz .LBB1049_193
; %bb.187:
	s_mov_b64 s[14:15], 1
                                        ; implicit-def: $sgpr22
	s_set_inst_prefetch_distance 0x1
	s_branch .LBB1049_190
	.p2align	6
.LBB1049_188:                           ;   in Loop: Header=BB1049_190 Depth=1
	v_add_co_u32 v33, vcc_lo, v5, s14
	v_add_co_ci_u32_e32 v34, vcc_lo, s15, v6, vcc_lo
	v_add_co_u32 v73, vcc_lo, v13, s14
	v_add_co_ci_u32_e32 v74, vcc_lo, s15, v14, vcc_lo
	s_clause 0x1
	global_load_u8 v33, v[33:34], off
	global_load_u8 v34, v[73:74], off
	s_waitcnt vmcnt(1)
	v_cmp_ne_u16_e32 vcc_lo, 0, v33
	s_waitcnt vmcnt(0)
	v_cmp_ne_u16_e64 s0, 0, v34
	s_delay_alu instid0(VALU_DEP_1) | instskip(SKIP_4) | instid1(SALU_CYCLE_1)
	s_xor_b32 s23, vcc_lo, s0
	s_add_u32 s0, s14, 1
	s_addc_u32 s1, s15, 0
	s_and_not1_b32 s22, s22, exec_lo
	s_and_b32 s23, s23, exec_lo
	s_or_b32 s22, s22, s23
.LBB1049_189:                           ;   in Loop: Header=BB1049_190 Depth=1
	v_dual_mov_b32 v34, s15 :: v_dual_mov_b32 v33, s14
	s_and_b32 s23, exec_lo, s22
	s_mov_b64 s[14:15], s[0:1]
	s_or_b32 s21, s23, s21
	s_delay_alu instid0(SALU_CYCLE_1)
	s_and_not1_b32 exec_lo, exec_lo, s21
	s_cbranch_execz .LBB1049_192
.LBB1049_190:                           ; =>This Inner Loop Header: Depth=1
	s_or_b32 s22, s22, exec_lo
	s_cmp_eq_u64 s[8:9], s[14:15]
	s_cbranch_scc0 .LBB1049_188
; %bb.191:                              ;   in Loop: Header=BB1049_190 Depth=1
	s_mov_b64 s[14:15], s[8:9]
                                        ; implicit-def: $sgpr0_sgpr1
	s_branch .LBB1049_189
.LBB1049_192:
	s_set_inst_prefetch_distance 0x2
	s_or_b32 exec_lo, exec_lo, s21
	v_cmp_gt_i64_e32 vcc_lo, s[8:9], v[33:34]
	s_mov_b32 s0, 0
	s_delay_alu instid0(SALU_CYCLE_1)
	v_mov_b32_e32 v88, s0
	v_cndmask_b32_e64 v87, 0, 1, vcc_lo
.LBB1049_193:
	s_or_b32 exec_lo, exec_lo, s3
.LBB1049_194:
	v_mov_b32_e32 v91, 0
	v_mov_b32_e32 v92, 0
	v_cmp_ne_u32_e32 vcc_lo, 1, v53
	s_delay_alu instid0(VALU_DEP_2)
	v_dual_mov_b32 v128, v92 :: v_dual_mov_b32 v127, v91
	s_cbranch_vccnz .LBB1049_210
; %bb.195:
	v_mad_u64_u32 v[13:14], null, v37, s8, s[10:11]
	v_mul_lo_u32 v33, v37, s9
	v_mul_lo_u32 v34, v38, s8
	v_mad_u64_u32 v[5:6], null, v31, s8, s[10:11]
	v_mul_lo_u32 v54, v31, s9
	v_mul_lo_u32 v73, v32, s8
	v_mov_b32_e32 v127, 1
	v_mov_b32_e32 v128, 0
	s_mov_b32 s21, 0
	v_add3_u32 v14, v34, v14, v33
	s_delay_alu instid0(VALU_DEP_4)
	v_add3_u32 v6, v73, v6, v54
	s_clause 0x1
	global_load_u8 v33, v[13:14], off
	global_load_u8 v34, v[5:6], off
	s_waitcnt vmcnt(1)
	v_cmp_ne_u16_e64 s0, 0, v33
	s_waitcnt vmcnt(0)
	v_cmp_ne_u16_e32 vcc_lo, 0, v34
	s_delay_alu instid0(VALU_DEP_2) | instskip(NEXT) | instid1(SALU_CYCLE_1)
	s_xor_b32 s0, s0, vcc_lo
	s_xor_b32 s0, s0, -1
	s_delay_alu instid0(SALU_CYCLE_1)
	s_and_saveexec_b32 s3, s0
	s_cbranch_execz .LBB1049_202
; %bb.196:
	s_mov_b64 s[14:15], 1
                                        ; implicit-def: $sgpr22
	s_set_inst_prefetch_distance 0x1
	s_branch .LBB1049_199
	.p2align	6
.LBB1049_197:                           ;   in Loop: Header=BB1049_199 Depth=1
	v_add_co_u32 v33, s0, v13, s14
	s_delay_alu instid0(VALU_DEP_1) | instskip(SKIP_1) | instid1(VALU_DEP_1)
	v_add_co_ci_u32_e64 v34, s0, s15, v14, s0
	v_add_co_u32 v73, s0, v5, s14
	v_add_co_ci_u32_e64 v74, s0, s15, v6, s0
	s_clause 0x1
	global_load_u8 v33, v[33:34], off
	global_load_u8 v34, v[73:74], off
	s_waitcnt vmcnt(1)
	v_cmp_ne_u16_e64 s0, 0, v33
	s_waitcnt vmcnt(0)
	v_cmp_ne_u16_e64 s1, 0, v34
	s_delay_alu instid0(VALU_DEP_1) | instskip(SKIP_4) | instid1(SALU_CYCLE_1)
	s_xor_b32 s23, s0, s1
	s_add_u32 s0, s14, 1
	s_addc_u32 s1, s15, 0
	s_and_not1_b32 s22, s22, exec_lo
	s_and_b32 s23, s23, exec_lo
	s_or_b32 s22, s22, s23
.LBB1049_198:                           ;   in Loop: Header=BB1049_199 Depth=1
	v_dual_mov_b32 v34, s15 :: v_dual_mov_b32 v33, s14
	s_and_b32 s23, exec_lo, s22
	s_mov_b64 s[14:15], s[0:1]
	s_or_b32 s21, s23, s21
	s_delay_alu instid0(SALU_CYCLE_1)
	s_and_not1_b32 exec_lo, exec_lo, s21
	s_cbranch_execz .LBB1049_201
.LBB1049_199:                           ; =>This Inner Loop Header: Depth=1
	s_or_b32 s22, s22, exec_lo
	s_cmp_eq_u64 s[8:9], s[14:15]
	s_cbranch_scc0 .LBB1049_197
; %bb.200:                              ;   in Loop: Header=BB1049_199 Depth=1
	s_mov_b64 s[14:15], s[8:9]
                                        ; implicit-def: $sgpr0_sgpr1
	s_branch .LBB1049_198
.LBB1049_201:
	s_set_inst_prefetch_distance 0x2
	s_or_b32 exec_lo, exec_lo, s21
	v_cmp_gt_i64_e64 s0, s[8:9], v[33:34]
	s_mov_b32 s1, 0
	s_delay_alu instid0(SALU_CYCLE_1) | instskip(NEXT) | instid1(VALU_DEP_2)
	v_mov_b32_e32 v128, s1
	v_cndmask_b32_e64 v127, 0, 1, s0
.LBB1049_202:
	s_or_b32 exec_lo, exec_lo, s3
	v_mad_u64_u32 v[13:14], null, v29, s8, s[10:11]
	v_mul_lo_u32 v33, v29, s9
	v_mul_lo_u32 v34, v30, s8
	v_mov_b32_e32 v91, 1
	v_mov_b32_e32 v92, 0
	s_mov_b32 s21, 0
	s_delay_alu instid0(VALU_DEP_3) | instskip(SKIP_3) | instid1(VALU_DEP_1)
	v_add3_u32 v14, v34, v14, v33
	global_load_u8 v33, v[13:14], off
	s_waitcnt vmcnt(0)
	v_cmp_ne_u16_e64 s0, 0, v33
	s_xor_b32 s0, vcc_lo, s0
	s_delay_alu instid0(SALU_CYCLE_1) | instskip(NEXT) | instid1(SALU_CYCLE_1)
	s_xor_b32 s0, s0, -1
	s_and_saveexec_b32 s3, s0
	s_cbranch_execz .LBB1049_209
; %bb.203:
	s_mov_b64 s[14:15], 1
                                        ; implicit-def: $sgpr22
	s_set_inst_prefetch_distance 0x1
	s_branch .LBB1049_206
	.p2align	6
.LBB1049_204:                           ;   in Loop: Header=BB1049_206 Depth=1
	v_add_co_u32 v33, vcc_lo, v5, s14
	v_add_co_ci_u32_e32 v34, vcc_lo, s15, v6, vcc_lo
	v_add_co_u32 v73, vcc_lo, v13, s14
	v_add_co_ci_u32_e32 v74, vcc_lo, s15, v14, vcc_lo
	s_clause 0x1
	global_load_u8 v33, v[33:34], off
	global_load_u8 v34, v[73:74], off
	s_waitcnt vmcnt(1)
	v_cmp_ne_u16_e32 vcc_lo, 0, v33
	s_waitcnt vmcnt(0)
	v_cmp_ne_u16_e64 s0, 0, v34
	s_delay_alu instid0(VALU_DEP_1) | instskip(SKIP_4) | instid1(SALU_CYCLE_1)
	s_xor_b32 s23, vcc_lo, s0
	s_add_u32 s0, s14, 1
	s_addc_u32 s1, s15, 0
	s_and_not1_b32 s22, s22, exec_lo
	s_and_b32 s23, s23, exec_lo
	s_or_b32 s22, s22, s23
.LBB1049_205:                           ;   in Loop: Header=BB1049_206 Depth=1
	v_dual_mov_b32 v34, s15 :: v_dual_mov_b32 v33, s14
	s_and_b32 s23, exec_lo, s22
	s_mov_b64 s[14:15], s[0:1]
	s_or_b32 s21, s23, s21
	s_delay_alu instid0(SALU_CYCLE_1)
	s_and_not1_b32 exec_lo, exec_lo, s21
	s_cbranch_execz .LBB1049_208
.LBB1049_206:                           ; =>This Inner Loop Header: Depth=1
	s_or_b32 s22, s22, exec_lo
	s_cmp_eq_u64 s[8:9], s[14:15]
	s_cbranch_scc0 .LBB1049_204
; %bb.207:                              ;   in Loop: Header=BB1049_206 Depth=1
	s_mov_b64 s[14:15], s[8:9]
                                        ; implicit-def: $sgpr0_sgpr1
	s_branch .LBB1049_205
.LBB1049_208:
	s_set_inst_prefetch_distance 0x2
	s_or_b32 exec_lo, exec_lo, s21
	v_cmp_gt_i64_e32 vcc_lo, s[8:9], v[33:34]
	s_mov_b32 s0, 0
	s_delay_alu instid0(SALU_CYCLE_1)
	v_mov_b32_e32 v92, s0
	v_cndmask_b32_e64 v91, 0, 1, vcc_lo
.LBB1049_209:
	s_or_b32 exec_lo, exec_lo, s3
.LBB1049_210:
	v_mov_b32_e32 v95, 0
	v_mov_b32_e32 v96, 0
	v_cmp_ne_u32_e32 vcc_lo, 1, v53
	s_delay_alu instid0(VALU_DEP_2)
	v_dual_mov_b32 v130, v96 :: v_dual_mov_b32 v129, v95
	s_cbranch_vccnz .LBB1049_226
; %bb.211:
	v_mad_u64_u32 v[13:14], null, v29, s8, s[10:11]
	v_mul_lo_u32 v33, v29, s9
	v_mul_lo_u32 v34, v30, s8
	v_mad_u64_u32 v[5:6], null, v27, s8, s[10:11]
	v_mul_lo_u32 v54, v27, s9
	v_mul_lo_u32 v73, v28, s8
	v_mov_b32_e32 v129, 1
	v_mov_b32_e32 v130, 0
	s_mov_b32 s21, 0
	v_add3_u32 v14, v34, v14, v33
	s_delay_alu instid0(VALU_DEP_4)
	v_add3_u32 v6, v73, v6, v54
	s_clause 0x1
	global_load_u8 v33, v[13:14], off
	global_load_u8 v34, v[5:6], off
	s_waitcnt vmcnt(1)
	v_cmp_ne_u16_e64 s0, 0, v33
	s_waitcnt vmcnt(0)
	v_cmp_ne_u16_e32 vcc_lo, 0, v34
	s_delay_alu instid0(VALU_DEP_2) | instskip(NEXT) | instid1(SALU_CYCLE_1)
	s_xor_b32 s0, s0, vcc_lo
	s_xor_b32 s0, s0, -1
	s_delay_alu instid0(SALU_CYCLE_1)
	s_and_saveexec_b32 s3, s0
	s_cbranch_execz .LBB1049_218
; %bb.212:
	s_mov_b64 s[14:15], 1
                                        ; implicit-def: $sgpr22
	s_set_inst_prefetch_distance 0x1
	s_branch .LBB1049_215
	.p2align	6
.LBB1049_213:                           ;   in Loop: Header=BB1049_215 Depth=1
	v_add_co_u32 v33, s0, v13, s14
	s_delay_alu instid0(VALU_DEP_1) | instskip(SKIP_1) | instid1(VALU_DEP_1)
	v_add_co_ci_u32_e64 v34, s0, s15, v14, s0
	v_add_co_u32 v73, s0, v5, s14
	v_add_co_ci_u32_e64 v74, s0, s15, v6, s0
	s_clause 0x1
	global_load_u8 v33, v[33:34], off
	global_load_u8 v34, v[73:74], off
	s_waitcnt vmcnt(1)
	v_cmp_ne_u16_e64 s0, 0, v33
	s_waitcnt vmcnt(0)
	v_cmp_ne_u16_e64 s1, 0, v34
	s_delay_alu instid0(VALU_DEP_1) | instskip(SKIP_4) | instid1(SALU_CYCLE_1)
	s_xor_b32 s23, s0, s1
	s_add_u32 s0, s14, 1
	s_addc_u32 s1, s15, 0
	s_and_not1_b32 s22, s22, exec_lo
	s_and_b32 s23, s23, exec_lo
	s_or_b32 s22, s22, s23
.LBB1049_214:                           ;   in Loop: Header=BB1049_215 Depth=1
	v_dual_mov_b32 v34, s15 :: v_dual_mov_b32 v33, s14
	s_and_b32 s23, exec_lo, s22
	s_mov_b64 s[14:15], s[0:1]
	s_or_b32 s21, s23, s21
	s_delay_alu instid0(SALU_CYCLE_1)
	s_and_not1_b32 exec_lo, exec_lo, s21
	s_cbranch_execz .LBB1049_217
.LBB1049_215:                           ; =>This Inner Loop Header: Depth=1
	s_or_b32 s22, s22, exec_lo
	s_cmp_eq_u64 s[8:9], s[14:15]
	s_cbranch_scc0 .LBB1049_213
; %bb.216:                              ;   in Loop: Header=BB1049_215 Depth=1
	s_mov_b64 s[14:15], s[8:9]
                                        ; implicit-def: $sgpr0_sgpr1
	s_branch .LBB1049_214
.LBB1049_217:
	s_set_inst_prefetch_distance 0x2
	s_or_b32 exec_lo, exec_lo, s21
	v_cmp_gt_i64_e64 s0, s[8:9], v[33:34]
	s_mov_b32 s1, 0
	s_delay_alu instid0(SALU_CYCLE_1) | instskip(NEXT) | instid1(VALU_DEP_2)
	v_mov_b32_e32 v130, s1
	v_cndmask_b32_e64 v129, 0, 1, s0
.LBB1049_218:
	s_or_b32 exec_lo, exec_lo, s3
	v_mad_u64_u32 v[13:14], null, v25, s8, s[10:11]
	v_mul_lo_u32 v33, v25, s9
	v_mul_lo_u32 v34, v26, s8
	v_mov_b32_e32 v95, 1
	v_mov_b32_e32 v96, 0
	s_mov_b32 s21, 0
	s_delay_alu instid0(VALU_DEP_3) | instskip(SKIP_3) | instid1(VALU_DEP_1)
	v_add3_u32 v14, v34, v14, v33
	global_load_u8 v33, v[13:14], off
	s_waitcnt vmcnt(0)
	v_cmp_ne_u16_e64 s0, 0, v33
	s_xor_b32 s0, vcc_lo, s0
	s_delay_alu instid0(SALU_CYCLE_1) | instskip(NEXT) | instid1(SALU_CYCLE_1)
	s_xor_b32 s0, s0, -1
	s_and_saveexec_b32 s3, s0
	s_cbranch_execz .LBB1049_225
; %bb.219:
	s_mov_b64 s[14:15], 1
                                        ; implicit-def: $sgpr22
	s_set_inst_prefetch_distance 0x1
	s_branch .LBB1049_222
	.p2align	6
.LBB1049_220:                           ;   in Loop: Header=BB1049_222 Depth=1
	v_add_co_u32 v33, vcc_lo, v5, s14
	v_add_co_ci_u32_e32 v34, vcc_lo, s15, v6, vcc_lo
	v_add_co_u32 v73, vcc_lo, v13, s14
	v_add_co_ci_u32_e32 v74, vcc_lo, s15, v14, vcc_lo
	s_clause 0x1
	global_load_u8 v33, v[33:34], off
	global_load_u8 v34, v[73:74], off
	s_waitcnt vmcnt(1)
	v_cmp_ne_u16_e32 vcc_lo, 0, v33
	s_waitcnt vmcnt(0)
	v_cmp_ne_u16_e64 s0, 0, v34
	s_delay_alu instid0(VALU_DEP_1) | instskip(SKIP_4) | instid1(SALU_CYCLE_1)
	s_xor_b32 s23, vcc_lo, s0
	s_add_u32 s0, s14, 1
	s_addc_u32 s1, s15, 0
	s_and_not1_b32 s22, s22, exec_lo
	s_and_b32 s23, s23, exec_lo
	s_or_b32 s22, s22, s23
.LBB1049_221:                           ;   in Loop: Header=BB1049_222 Depth=1
	v_dual_mov_b32 v34, s15 :: v_dual_mov_b32 v33, s14
	s_and_b32 s23, exec_lo, s22
	s_mov_b64 s[14:15], s[0:1]
	s_or_b32 s21, s23, s21
	s_delay_alu instid0(SALU_CYCLE_1)
	s_and_not1_b32 exec_lo, exec_lo, s21
	s_cbranch_execz .LBB1049_224
.LBB1049_222:                           ; =>This Inner Loop Header: Depth=1
	s_or_b32 s22, s22, exec_lo
	s_cmp_eq_u64 s[8:9], s[14:15]
	s_cbranch_scc0 .LBB1049_220
; %bb.223:                              ;   in Loop: Header=BB1049_222 Depth=1
	s_mov_b64 s[14:15], s[8:9]
                                        ; implicit-def: $sgpr0_sgpr1
	s_branch .LBB1049_221
.LBB1049_224:
	s_set_inst_prefetch_distance 0x2
	s_or_b32 exec_lo, exec_lo, s21
	v_cmp_gt_i64_e32 vcc_lo, s[8:9], v[33:34]
	s_mov_b32 s0, 0
	s_delay_alu instid0(SALU_CYCLE_1)
	v_mov_b32_e32 v96, s0
	v_cndmask_b32_e64 v95, 0, 1, vcc_lo
.LBB1049_225:
	s_or_b32 exec_lo, exec_lo, s3
.LBB1049_226:
	v_mov_b32_e32 v99, 0
	v_mov_b32_e32 v100, 0
	v_cmp_ne_u32_e32 vcc_lo, 1, v53
	s_delay_alu instid0(VALU_DEP_2)
	v_dual_mov_b32 v132, v100 :: v_dual_mov_b32 v131, v99
	s_cbranch_vccnz .LBB1049_242
; %bb.227:
	v_mad_u64_u32 v[13:14], null, v25, s8, s[10:11]
	v_mul_lo_u32 v33, v25, s9
	v_mul_lo_u32 v34, v26, s8
	v_mad_u64_u32 v[5:6], null, v23, s8, s[10:11]
	v_mul_lo_u32 v54, v23, s9
	v_mul_lo_u32 v73, v24, s8
	v_mov_b32_e32 v131, 1
	v_mov_b32_e32 v132, 0
	s_mov_b32 s21, 0
	v_add3_u32 v14, v34, v14, v33
	s_delay_alu instid0(VALU_DEP_4)
	v_add3_u32 v6, v73, v6, v54
	s_clause 0x1
	global_load_u8 v33, v[13:14], off
	global_load_u8 v34, v[5:6], off
	s_waitcnt vmcnt(1)
	v_cmp_ne_u16_e64 s0, 0, v33
	s_waitcnt vmcnt(0)
	v_cmp_ne_u16_e32 vcc_lo, 0, v34
	s_delay_alu instid0(VALU_DEP_2) | instskip(NEXT) | instid1(SALU_CYCLE_1)
	s_xor_b32 s0, s0, vcc_lo
	s_xor_b32 s0, s0, -1
	s_delay_alu instid0(SALU_CYCLE_1)
	s_and_saveexec_b32 s3, s0
	s_cbranch_execz .LBB1049_234
; %bb.228:
	s_mov_b64 s[14:15], 1
                                        ; implicit-def: $sgpr22
	s_set_inst_prefetch_distance 0x1
	s_branch .LBB1049_231
	.p2align	6
.LBB1049_229:                           ;   in Loop: Header=BB1049_231 Depth=1
	v_add_co_u32 v33, s0, v13, s14
	s_delay_alu instid0(VALU_DEP_1) | instskip(SKIP_1) | instid1(VALU_DEP_1)
	v_add_co_ci_u32_e64 v34, s0, s15, v14, s0
	v_add_co_u32 v73, s0, v5, s14
	v_add_co_ci_u32_e64 v74, s0, s15, v6, s0
	s_clause 0x1
	global_load_u8 v33, v[33:34], off
	global_load_u8 v34, v[73:74], off
	s_waitcnt vmcnt(1)
	v_cmp_ne_u16_e64 s0, 0, v33
	s_waitcnt vmcnt(0)
	v_cmp_ne_u16_e64 s1, 0, v34
	s_delay_alu instid0(VALU_DEP_1) | instskip(SKIP_4) | instid1(SALU_CYCLE_1)
	s_xor_b32 s23, s0, s1
	s_add_u32 s0, s14, 1
	s_addc_u32 s1, s15, 0
	s_and_not1_b32 s22, s22, exec_lo
	s_and_b32 s23, s23, exec_lo
	s_or_b32 s22, s22, s23
.LBB1049_230:                           ;   in Loop: Header=BB1049_231 Depth=1
	v_dual_mov_b32 v34, s15 :: v_dual_mov_b32 v33, s14
	s_and_b32 s23, exec_lo, s22
	s_mov_b64 s[14:15], s[0:1]
	s_or_b32 s21, s23, s21
	s_delay_alu instid0(SALU_CYCLE_1)
	s_and_not1_b32 exec_lo, exec_lo, s21
	s_cbranch_execz .LBB1049_233
.LBB1049_231:                           ; =>This Inner Loop Header: Depth=1
	s_or_b32 s22, s22, exec_lo
	s_cmp_eq_u64 s[8:9], s[14:15]
	s_cbranch_scc0 .LBB1049_229
; %bb.232:                              ;   in Loop: Header=BB1049_231 Depth=1
	s_mov_b64 s[14:15], s[8:9]
                                        ; implicit-def: $sgpr0_sgpr1
	s_branch .LBB1049_230
.LBB1049_233:
	s_set_inst_prefetch_distance 0x2
	s_or_b32 exec_lo, exec_lo, s21
	v_cmp_gt_i64_e64 s0, s[8:9], v[33:34]
	s_mov_b32 s1, 0
	s_delay_alu instid0(SALU_CYCLE_1) | instskip(NEXT) | instid1(VALU_DEP_2)
	v_mov_b32_e32 v132, s1
	v_cndmask_b32_e64 v131, 0, 1, s0
.LBB1049_234:
	s_or_b32 exec_lo, exec_lo, s3
	v_mad_u64_u32 v[13:14], null, v21, s8, s[10:11]
	v_mul_lo_u32 v33, v21, s9
	v_mul_lo_u32 v34, v22, s8
	v_mov_b32_e32 v99, 1
	v_mov_b32_e32 v100, 0
	s_mov_b32 s21, 0
	s_delay_alu instid0(VALU_DEP_3) | instskip(SKIP_3) | instid1(VALU_DEP_1)
	v_add3_u32 v14, v34, v14, v33
	global_load_u8 v33, v[13:14], off
	s_waitcnt vmcnt(0)
	v_cmp_ne_u16_e64 s0, 0, v33
	s_xor_b32 s0, vcc_lo, s0
	s_delay_alu instid0(SALU_CYCLE_1) | instskip(NEXT) | instid1(SALU_CYCLE_1)
	s_xor_b32 s0, s0, -1
	s_and_saveexec_b32 s3, s0
	s_cbranch_execz .LBB1049_241
; %bb.235:
	s_mov_b64 s[14:15], 1
                                        ; implicit-def: $sgpr22
	s_set_inst_prefetch_distance 0x1
	s_branch .LBB1049_238
	.p2align	6
.LBB1049_236:                           ;   in Loop: Header=BB1049_238 Depth=1
	v_add_co_u32 v33, vcc_lo, v5, s14
	v_add_co_ci_u32_e32 v34, vcc_lo, s15, v6, vcc_lo
	v_add_co_u32 v73, vcc_lo, v13, s14
	v_add_co_ci_u32_e32 v74, vcc_lo, s15, v14, vcc_lo
	s_clause 0x1
	global_load_u8 v33, v[33:34], off
	global_load_u8 v34, v[73:74], off
	s_waitcnt vmcnt(1)
	v_cmp_ne_u16_e32 vcc_lo, 0, v33
	s_waitcnt vmcnt(0)
	v_cmp_ne_u16_e64 s0, 0, v34
	s_delay_alu instid0(VALU_DEP_1) | instskip(SKIP_4) | instid1(SALU_CYCLE_1)
	s_xor_b32 s23, vcc_lo, s0
	s_add_u32 s0, s14, 1
	s_addc_u32 s1, s15, 0
	s_and_not1_b32 s22, s22, exec_lo
	s_and_b32 s23, s23, exec_lo
	s_or_b32 s22, s22, s23
.LBB1049_237:                           ;   in Loop: Header=BB1049_238 Depth=1
	v_dual_mov_b32 v34, s15 :: v_dual_mov_b32 v33, s14
	s_and_b32 s23, exec_lo, s22
	s_mov_b64 s[14:15], s[0:1]
	s_or_b32 s21, s23, s21
	s_delay_alu instid0(SALU_CYCLE_1)
	s_and_not1_b32 exec_lo, exec_lo, s21
	s_cbranch_execz .LBB1049_240
.LBB1049_238:                           ; =>This Inner Loop Header: Depth=1
	s_or_b32 s22, s22, exec_lo
	s_cmp_eq_u64 s[8:9], s[14:15]
	s_cbranch_scc0 .LBB1049_236
; %bb.239:                              ;   in Loop: Header=BB1049_238 Depth=1
	s_mov_b64 s[14:15], s[8:9]
                                        ; implicit-def: $sgpr0_sgpr1
	s_branch .LBB1049_237
.LBB1049_240:
	s_set_inst_prefetch_distance 0x2
	s_or_b32 exec_lo, exec_lo, s21
	v_cmp_gt_i64_e32 vcc_lo, s[8:9], v[33:34]
	s_mov_b32 s0, 0
	s_delay_alu instid0(SALU_CYCLE_1)
	v_mov_b32_e32 v100, s0
	v_cndmask_b32_e64 v99, 0, 1, vcc_lo
.LBB1049_241:
	s_or_b32 exec_lo, exec_lo, s3
.LBB1049_242:
	v_mov_b32_e32 v103, 0
	v_mov_b32_e32 v104, 0
	v_cmp_ne_u32_e32 vcc_lo, 1, v53
	s_delay_alu instid0(VALU_DEP_2)
	v_dual_mov_b32 v134, v104 :: v_dual_mov_b32 v133, v103
	s_cbranch_vccnz .LBB1049_258
; %bb.243:
	v_mad_u64_u32 v[13:14], null, v21, s8, s[10:11]
	v_mul_lo_u32 v33, v21, s9
	v_mul_lo_u32 v34, v22, s8
	v_mad_u64_u32 v[5:6], null, v19, s8, s[10:11]
	v_mul_lo_u32 v54, v19, s9
	v_mul_lo_u32 v73, v20, s8
	v_mov_b32_e32 v133, 1
	v_mov_b32_e32 v134, 0
	s_mov_b32 s21, 0
	v_add3_u32 v14, v34, v14, v33
	s_delay_alu instid0(VALU_DEP_4)
	v_add3_u32 v6, v73, v6, v54
	s_clause 0x1
	global_load_u8 v33, v[13:14], off
	global_load_u8 v34, v[5:6], off
	s_waitcnt vmcnt(1)
	v_cmp_ne_u16_e64 s0, 0, v33
	s_waitcnt vmcnt(0)
	v_cmp_ne_u16_e32 vcc_lo, 0, v34
	s_delay_alu instid0(VALU_DEP_2) | instskip(NEXT) | instid1(SALU_CYCLE_1)
	s_xor_b32 s0, s0, vcc_lo
	s_xor_b32 s0, s0, -1
	s_delay_alu instid0(SALU_CYCLE_1)
	s_and_saveexec_b32 s3, s0
	s_cbranch_execz .LBB1049_250
; %bb.244:
	s_mov_b64 s[14:15], 1
                                        ; implicit-def: $sgpr22
	s_set_inst_prefetch_distance 0x1
	s_branch .LBB1049_247
	.p2align	6
.LBB1049_245:                           ;   in Loop: Header=BB1049_247 Depth=1
	v_add_co_u32 v33, s0, v13, s14
	s_delay_alu instid0(VALU_DEP_1) | instskip(SKIP_1) | instid1(VALU_DEP_1)
	v_add_co_ci_u32_e64 v34, s0, s15, v14, s0
	v_add_co_u32 v73, s0, v5, s14
	v_add_co_ci_u32_e64 v74, s0, s15, v6, s0
	s_clause 0x1
	global_load_u8 v33, v[33:34], off
	global_load_u8 v34, v[73:74], off
	s_waitcnt vmcnt(1)
	v_cmp_ne_u16_e64 s0, 0, v33
	s_waitcnt vmcnt(0)
	v_cmp_ne_u16_e64 s1, 0, v34
	s_delay_alu instid0(VALU_DEP_1) | instskip(SKIP_4) | instid1(SALU_CYCLE_1)
	s_xor_b32 s23, s0, s1
	s_add_u32 s0, s14, 1
	s_addc_u32 s1, s15, 0
	s_and_not1_b32 s22, s22, exec_lo
	s_and_b32 s23, s23, exec_lo
	s_or_b32 s22, s22, s23
.LBB1049_246:                           ;   in Loop: Header=BB1049_247 Depth=1
	v_dual_mov_b32 v34, s15 :: v_dual_mov_b32 v33, s14
	s_and_b32 s23, exec_lo, s22
	s_mov_b64 s[14:15], s[0:1]
	s_or_b32 s21, s23, s21
	s_delay_alu instid0(SALU_CYCLE_1)
	s_and_not1_b32 exec_lo, exec_lo, s21
	s_cbranch_execz .LBB1049_249
.LBB1049_247:                           ; =>This Inner Loop Header: Depth=1
	s_or_b32 s22, s22, exec_lo
	s_cmp_eq_u64 s[8:9], s[14:15]
	s_cbranch_scc0 .LBB1049_245
; %bb.248:                              ;   in Loop: Header=BB1049_247 Depth=1
	s_mov_b64 s[14:15], s[8:9]
                                        ; implicit-def: $sgpr0_sgpr1
	s_branch .LBB1049_246
.LBB1049_249:
	s_set_inst_prefetch_distance 0x2
	s_or_b32 exec_lo, exec_lo, s21
	v_cmp_gt_i64_e64 s0, s[8:9], v[33:34]
	s_mov_b32 s1, 0
	s_delay_alu instid0(SALU_CYCLE_1) | instskip(NEXT) | instid1(VALU_DEP_2)
	v_mov_b32_e32 v134, s1
	v_cndmask_b32_e64 v133, 0, 1, s0
.LBB1049_250:
	s_or_b32 exec_lo, exec_lo, s3
	v_mad_u64_u32 v[13:14], null, v17, s8, s[10:11]
	v_mul_lo_u32 v33, v17, s9
	v_mul_lo_u32 v34, v18, s8
	v_mov_b32_e32 v103, 1
	v_mov_b32_e32 v104, 0
	s_mov_b32 s21, 0
	s_delay_alu instid0(VALU_DEP_3) | instskip(SKIP_3) | instid1(VALU_DEP_1)
	v_add3_u32 v14, v34, v14, v33
	global_load_u8 v33, v[13:14], off
	s_waitcnt vmcnt(0)
	v_cmp_ne_u16_e64 s0, 0, v33
	s_xor_b32 s0, vcc_lo, s0
	s_delay_alu instid0(SALU_CYCLE_1) | instskip(NEXT) | instid1(SALU_CYCLE_1)
	s_xor_b32 s0, s0, -1
	s_and_saveexec_b32 s3, s0
	s_cbranch_execz .LBB1049_257
; %bb.251:
	s_mov_b64 s[14:15], 1
                                        ; implicit-def: $sgpr22
	s_set_inst_prefetch_distance 0x1
	s_branch .LBB1049_254
	.p2align	6
.LBB1049_252:                           ;   in Loop: Header=BB1049_254 Depth=1
	v_add_co_u32 v33, vcc_lo, v5, s14
	v_add_co_ci_u32_e32 v34, vcc_lo, s15, v6, vcc_lo
	v_add_co_u32 v73, vcc_lo, v13, s14
	v_add_co_ci_u32_e32 v74, vcc_lo, s15, v14, vcc_lo
	s_clause 0x1
	global_load_u8 v33, v[33:34], off
	global_load_u8 v34, v[73:74], off
	s_waitcnt vmcnt(1)
	v_cmp_ne_u16_e32 vcc_lo, 0, v33
	s_waitcnt vmcnt(0)
	v_cmp_ne_u16_e64 s0, 0, v34
	s_delay_alu instid0(VALU_DEP_1) | instskip(SKIP_4) | instid1(SALU_CYCLE_1)
	s_xor_b32 s23, vcc_lo, s0
	s_add_u32 s0, s14, 1
	s_addc_u32 s1, s15, 0
	s_and_not1_b32 s22, s22, exec_lo
	s_and_b32 s23, s23, exec_lo
	s_or_b32 s22, s22, s23
.LBB1049_253:                           ;   in Loop: Header=BB1049_254 Depth=1
	v_dual_mov_b32 v34, s15 :: v_dual_mov_b32 v33, s14
	s_and_b32 s23, exec_lo, s22
	s_mov_b64 s[14:15], s[0:1]
	s_or_b32 s21, s23, s21
	s_delay_alu instid0(SALU_CYCLE_1)
	s_and_not1_b32 exec_lo, exec_lo, s21
	s_cbranch_execz .LBB1049_256
.LBB1049_254:                           ; =>This Inner Loop Header: Depth=1
	s_or_b32 s22, s22, exec_lo
	s_cmp_eq_u64 s[8:9], s[14:15]
	s_cbranch_scc0 .LBB1049_252
; %bb.255:                              ;   in Loop: Header=BB1049_254 Depth=1
	s_mov_b64 s[14:15], s[8:9]
                                        ; implicit-def: $sgpr0_sgpr1
	s_branch .LBB1049_253
.LBB1049_256:
	s_set_inst_prefetch_distance 0x2
	s_or_b32 exec_lo, exec_lo, s21
	v_cmp_gt_i64_e32 vcc_lo, s[8:9], v[33:34]
	s_mov_b32 s0, 0
	s_delay_alu instid0(SALU_CYCLE_1)
	v_mov_b32_e32 v104, s0
	v_cndmask_b32_e64 v103, 0, 1, vcc_lo
.LBB1049_257:
	s_or_b32 exec_lo, exec_lo, s3
.LBB1049_258:
	v_mov_b32_e32 v107, 0
	v_mov_b32_e32 v108, 0
	v_cmp_ne_u32_e32 vcc_lo, 1, v53
	s_delay_alu instid0(VALU_DEP_2)
	v_dual_mov_b32 v136, v108 :: v_dual_mov_b32 v135, v107
	s_cbranch_vccnz .LBB1049_274
; %bb.259:
	v_mad_u64_u32 v[13:14], null, v17, s8, s[10:11]
	v_mul_lo_u32 v33, v17, s9
	v_mul_lo_u32 v34, v18, s8
	v_mad_u64_u32 v[5:6], null, v11, s8, s[10:11]
	v_mul_lo_u32 v54, v11, s9
	v_mul_lo_u32 v73, v12, s8
	v_mov_b32_e32 v135, 1
	v_mov_b32_e32 v136, 0
	s_mov_b32 s21, 0
	v_add3_u32 v14, v34, v14, v33
	s_delay_alu instid0(VALU_DEP_4)
	v_add3_u32 v6, v73, v6, v54
	s_clause 0x1
	global_load_u8 v33, v[13:14], off
	global_load_u8 v34, v[5:6], off
	s_waitcnt vmcnt(1)
	v_cmp_ne_u16_e64 s0, 0, v33
	s_waitcnt vmcnt(0)
	v_cmp_ne_u16_e32 vcc_lo, 0, v34
	s_delay_alu instid0(VALU_DEP_2) | instskip(NEXT) | instid1(SALU_CYCLE_1)
	s_xor_b32 s0, s0, vcc_lo
	s_xor_b32 s0, s0, -1
	s_delay_alu instid0(SALU_CYCLE_1)
	s_and_saveexec_b32 s3, s0
	s_cbranch_execz .LBB1049_266
; %bb.260:
	s_mov_b64 s[14:15], 1
                                        ; implicit-def: $sgpr22
	s_set_inst_prefetch_distance 0x1
	s_branch .LBB1049_263
	.p2align	6
.LBB1049_261:                           ;   in Loop: Header=BB1049_263 Depth=1
	v_add_co_u32 v33, s0, v13, s14
	s_delay_alu instid0(VALU_DEP_1) | instskip(SKIP_1) | instid1(VALU_DEP_1)
	v_add_co_ci_u32_e64 v34, s0, s15, v14, s0
	v_add_co_u32 v73, s0, v5, s14
	v_add_co_ci_u32_e64 v74, s0, s15, v6, s0
	s_clause 0x1
	global_load_u8 v33, v[33:34], off
	global_load_u8 v34, v[73:74], off
	s_waitcnt vmcnt(1)
	v_cmp_ne_u16_e64 s0, 0, v33
	s_waitcnt vmcnt(0)
	v_cmp_ne_u16_e64 s1, 0, v34
	s_delay_alu instid0(VALU_DEP_1) | instskip(SKIP_4) | instid1(SALU_CYCLE_1)
	s_xor_b32 s23, s0, s1
	s_add_u32 s0, s14, 1
	s_addc_u32 s1, s15, 0
	s_and_not1_b32 s22, s22, exec_lo
	s_and_b32 s23, s23, exec_lo
	s_or_b32 s22, s22, s23
.LBB1049_262:                           ;   in Loop: Header=BB1049_263 Depth=1
	v_dual_mov_b32 v34, s15 :: v_dual_mov_b32 v33, s14
	s_and_b32 s23, exec_lo, s22
	s_mov_b64 s[14:15], s[0:1]
	s_or_b32 s21, s23, s21
	s_delay_alu instid0(SALU_CYCLE_1)
	s_and_not1_b32 exec_lo, exec_lo, s21
	s_cbranch_execz .LBB1049_265
.LBB1049_263:                           ; =>This Inner Loop Header: Depth=1
	s_or_b32 s22, s22, exec_lo
	s_cmp_eq_u64 s[8:9], s[14:15]
	s_cbranch_scc0 .LBB1049_261
; %bb.264:                              ;   in Loop: Header=BB1049_263 Depth=1
	s_mov_b64 s[14:15], s[8:9]
                                        ; implicit-def: $sgpr0_sgpr1
	s_branch .LBB1049_262
.LBB1049_265:
	s_set_inst_prefetch_distance 0x2
	s_or_b32 exec_lo, exec_lo, s21
	v_cmp_gt_i64_e64 s0, s[8:9], v[33:34]
	s_mov_b32 s1, 0
	s_delay_alu instid0(SALU_CYCLE_1) | instskip(NEXT) | instid1(VALU_DEP_2)
	v_mov_b32_e32 v136, s1
	v_cndmask_b32_e64 v135, 0, 1, s0
.LBB1049_266:
	s_or_b32 exec_lo, exec_lo, s3
	v_mad_u64_u32 v[13:14], null, v9, s8, s[10:11]
	v_mul_lo_u32 v33, v9, s9
	v_mul_lo_u32 v34, v10, s8
	v_mov_b32_e32 v107, 1
	v_mov_b32_e32 v108, 0
	s_mov_b32 s21, 0
	s_delay_alu instid0(VALU_DEP_3) | instskip(SKIP_3) | instid1(VALU_DEP_1)
	v_add3_u32 v14, v34, v14, v33
	global_load_u8 v33, v[13:14], off
	s_waitcnt vmcnt(0)
	v_cmp_ne_u16_e64 s0, 0, v33
	s_xor_b32 s0, vcc_lo, s0
	s_delay_alu instid0(SALU_CYCLE_1) | instskip(NEXT) | instid1(SALU_CYCLE_1)
	s_xor_b32 s0, s0, -1
	s_and_saveexec_b32 s3, s0
	s_cbranch_execz .LBB1049_273
; %bb.267:
	s_mov_b64 s[14:15], 1
                                        ; implicit-def: $sgpr22
	s_set_inst_prefetch_distance 0x1
	s_branch .LBB1049_270
	.p2align	6
.LBB1049_268:                           ;   in Loop: Header=BB1049_270 Depth=1
	v_add_co_u32 v33, vcc_lo, v5, s14
	v_add_co_ci_u32_e32 v34, vcc_lo, s15, v6, vcc_lo
	v_add_co_u32 v73, vcc_lo, v13, s14
	v_add_co_ci_u32_e32 v74, vcc_lo, s15, v14, vcc_lo
	s_clause 0x1
	global_load_u8 v33, v[33:34], off
	global_load_u8 v34, v[73:74], off
	s_waitcnt vmcnt(1)
	v_cmp_ne_u16_e32 vcc_lo, 0, v33
	s_waitcnt vmcnt(0)
	v_cmp_ne_u16_e64 s0, 0, v34
	s_delay_alu instid0(VALU_DEP_1) | instskip(SKIP_4) | instid1(SALU_CYCLE_1)
	s_xor_b32 s23, vcc_lo, s0
	s_add_u32 s0, s14, 1
	s_addc_u32 s1, s15, 0
	s_and_not1_b32 s22, s22, exec_lo
	s_and_b32 s23, s23, exec_lo
	s_or_b32 s22, s22, s23
.LBB1049_269:                           ;   in Loop: Header=BB1049_270 Depth=1
	v_dual_mov_b32 v34, s15 :: v_dual_mov_b32 v33, s14
	s_and_b32 s23, exec_lo, s22
	s_mov_b64 s[14:15], s[0:1]
	s_or_b32 s21, s23, s21
	s_delay_alu instid0(SALU_CYCLE_1)
	s_and_not1_b32 exec_lo, exec_lo, s21
	s_cbranch_execz .LBB1049_272
.LBB1049_270:                           ; =>This Inner Loop Header: Depth=1
	s_or_b32 s22, s22, exec_lo
	s_cmp_eq_u64 s[8:9], s[14:15]
	s_cbranch_scc0 .LBB1049_268
; %bb.271:                              ;   in Loop: Header=BB1049_270 Depth=1
	s_mov_b64 s[14:15], s[8:9]
                                        ; implicit-def: $sgpr0_sgpr1
	s_branch .LBB1049_269
.LBB1049_272:
	s_set_inst_prefetch_distance 0x2
	s_or_b32 exec_lo, exec_lo, s21
	v_cmp_gt_i64_e32 vcc_lo, s[8:9], v[33:34]
	s_mov_b32 s0, 0
	s_delay_alu instid0(SALU_CYCLE_1)
	v_mov_b32_e32 v108, s0
	v_cndmask_b32_e64 v107, 0, 1, vcc_lo
.LBB1049_273:
	s_or_b32 exec_lo, exec_lo, s3
.LBB1049_274:
	v_mov_b32_e32 v139, 0
	v_mov_b32_e32 v140, 0
	v_cmp_ne_u32_e32 vcc_lo, 1, v53
	s_delay_alu instid0(VALU_DEP_2)
	v_dual_mov_b32 v137, v139 :: v_dual_mov_b32 v138, v140
	s_cbranch_vccnz .LBB1049_290
; %bb.275:
	v_mad_u64_u32 v[13:14], null, v9, s8, s[10:11]
	v_mul_lo_u32 v33, v9, s9
	v_mul_lo_u32 v34, v10, s8
	v_mad_u64_u32 v[5:6], null, v3, s8, s[10:11]
	v_mul_lo_u32 v54, v3, s9
	v_mul_lo_u32 v73, v4, s8
	v_mov_b32_e32 v137, 1
	v_mov_b32_e32 v138, 0
	s_mov_b32 s21, 0
	v_add3_u32 v14, v34, v14, v33
	s_delay_alu instid0(VALU_DEP_4)
	v_add3_u32 v6, v73, v6, v54
	s_clause 0x1
	global_load_u8 v33, v[13:14], off
	global_load_u8 v34, v[5:6], off
	s_waitcnt vmcnt(1)
	v_cmp_ne_u16_e64 s0, 0, v33
	s_waitcnt vmcnt(0)
	v_cmp_ne_u16_e32 vcc_lo, 0, v34
	s_delay_alu instid0(VALU_DEP_2) | instskip(NEXT) | instid1(SALU_CYCLE_1)
	s_xor_b32 s0, s0, vcc_lo
	s_xor_b32 s0, s0, -1
	s_delay_alu instid0(SALU_CYCLE_1)
	s_and_saveexec_b32 s3, s0
	s_cbranch_execz .LBB1049_282
; %bb.276:
	s_mov_b64 s[14:15], 1
                                        ; implicit-def: $sgpr22
	s_set_inst_prefetch_distance 0x1
	s_branch .LBB1049_279
	.p2align	6
.LBB1049_277:                           ;   in Loop: Header=BB1049_279 Depth=1
	v_add_co_u32 v33, s0, v13, s14
	s_delay_alu instid0(VALU_DEP_1) | instskip(SKIP_1) | instid1(VALU_DEP_1)
	v_add_co_ci_u32_e64 v34, s0, s15, v14, s0
	v_add_co_u32 v73, s0, v5, s14
	v_add_co_ci_u32_e64 v74, s0, s15, v6, s0
	s_clause 0x1
	global_load_u8 v33, v[33:34], off
	global_load_u8 v34, v[73:74], off
	s_waitcnt vmcnt(1)
	v_cmp_ne_u16_e64 s0, 0, v33
	s_waitcnt vmcnt(0)
	v_cmp_ne_u16_e64 s1, 0, v34
	s_delay_alu instid0(VALU_DEP_1) | instskip(SKIP_4) | instid1(SALU_CYCLE_1)
	s_xor_b32 s23, s0, s1
	s_add_u32 s0, s14, 1
	s_addc_u32 s1, s15, 0
	s_and_not1_b32 s22, s22, exec_lo
	s_and_b32 s23, s23, exec_lo
	s_or_b32 s22, s22, s23
.LBB1049_278:                           ;   in Loop: Header=BB1049_279 Depth=1
	v_dual_mov_b32 v34, s15 :: v_dual_mov_b32 v33, s14
	s_and_b32 s23, exec_lo, s22
	s_mov_b64 s[14:15], s[0:1]
	s_or_b32 s21, s23, s21
	s_delay_alu instid0(SALU_CYCLE_1)
	s_and_not1_b32 exec_lo, exec_lo, s21
	s_cbranch_execz .LBB1049_281
.LBB1049_279:                           ; =>This Inner Loop Header: Depth=1
	s_or_b32 s22, s22, exec_lo
	s_cmp_eq_u64 s[8:9], s[14:15]
	s_cbranch_scc0 .LBB1049_277
; %bb.280:                              ;   in Loop: Header=BB1049_279 Depth=1
	s_mov_b64 s[14:15], s[8:9]
                                        ; implicit-def: $sgpr0_sgpr1
	s_branch .LBB1049_278
.LBB1049_281:
	s_set_inst_prefetch_distance 0x2
	s_or_b32 exec_lo, exec_lo, s21
	v_cmp_gt_i64_e64 s0, s[8:9], v[33:34]
	s_mov_b32 s1, 0
	s_delay_alu instid0(SALU_CYCLE_1) | instskip(NEXT) | instid1(VALU_DEP_2)
	v_mov_b32_e32 v138, s1
	v_cndmask_b32_e64 v137, 0, 1, s0
.LBB1049_282:
	s_or_b32 exec_lo, exec_lo, s3
	v_mad_u64_u32 v[13:14], null, v1, s8, s[10:11]
	v_mul_lo_u32 v33, v1, s9
	v_mul_lo_u32 v34, v2, s8
	v_mov_b32_e32 v139, 1
	v_mov_b32_e32 v140, 0
	s_mov_b32 s21, 0
	s_delay_alu instid0(VALU_DEP_3) | instskip(SKIP_3) | instid1(VALU_DEP_1)
	v_add3_u32 v14, v34, v14, v33
	global_load_u8 v33, v[13:14], off
	s_waitcnt vmcnt(0)
	v_cmp_ne_u16_e64 s0, 0, v33
	s_xor_b32 s0, vcc_lo, s0
	s_delay_alu instid0(SALU_CYCLE_1) | instskip(NEXT) | instid1(SALU_CYCLE_1)
	s_xor_b32 s0, s0, -1
	s_and_saveexec_b32 s3, s0
	s_cbranch_execz .LBB1049_289
; %bb.283:
	s_mov_b64 s[14:15], 1
                                        ; implicit-def: $sgpr22
	s_set_inst_prefetch_distance 0x1
	s_branch .LBB1049_286
	.p2align	6
.LBB1049_284:                           ;   in Loop: Header=BB1049_286 Depth=1
	v_add_co_u32 v33, vcc_lo, v5, s14
	v_add_co_ci_u32_e32 v34, vcc_lo, s15, v6, vcc_lo
	v_add_co_u32 v73, vcc_lo, v13, s14
	v_add_co_ci_u32_e32 v74, vcc_lo, s15, v14, vcc_lo
	s_clause 0x1
	global_load_u8 v33, v[33:34], off
	global_load_u8 v34, v[73:74], off
	s_waitcnt vmcnt(1)
	v_cmp_ne_u16_e32 vcc_lo, 0, v33
	s_waitcnt vmcnt(0)
	v_cmp_ne_u16_e64 s0, 0, v34
	s_delay_alu instid0(VALU_DEP_1) | instskip(SKIP_4) | instid1(SALU_CYCLE_1)
	s_xor_b32 s23, vcc_lo, s0
	s_add_u32 s0, s14, 1
	s_addc_u32 s1, s15, 0
	s_and_not1_b32 s22, s22, exec_lo
	s_and_b32 s23, s23, exec_lo
	s_or_b32 s22, s22, s23
.LBB1049_285:                           ;   in Loop: Header=BB1049_286 Depth=1
	v_dual_mov_b32 v34, s15 :: v_dual_mov_b32 v33, s14
	s_and_b32 s23, exec_lo, s22
	s_mov_b64 s[14:15], s[0:1]
	s_or_b32 s21, s23, s21
	s_delay_alu instid0(SALU_CYCLE_1)
	s_and_not1_b32 exec_lo, exec_lo, s21
	s_cbranch_execz .LBB1049_288
.LBB1049_286:                           ; =>This Inner Loop Header: Depth=1
	s_or_b32 s22, s22, exec_lo
	s_cmp_eq_u64 s[8:9], s[14:15]
	s_cbranch_scc0 .LBB1049_284
; %bb.287:                              ;   in Loop: Header=BB1049_286 Depth=1
	s_mov_b64 s[14:15], s[8:9]
                                        ; implicit-def: $sgpr0_sgpr1
	s_branch .LBB1049_285
.LBB1049_288:
	s_set_inst_prefetch_distance 0x2
	s_or_b32 exec_lo, exec_lo, s21
	v_cmp_gt_i64_e32 vcc_lo, s[8:9], v[33:34]
	s_mov_b32 s0, 0
	s_delay_alu instid0(SALU_CYCLE_1)
	v_mov_b32_e32 v140, s0
	v_cndmask_b32_e64 v139, 0, 1, vcc_lo
.LBB1049_289:
	s_or_b32 exec_lo, exec_lo, s3
.LBB1049_290:
	s_waitcnt lgkmcnt(0)
	v_dual_mov_b32 v34, s13 :: v_dual_mov_b32 v33, s12
	s_mov_b32 s0, 0
	s_mov_b32 s1, exec_lo
	s_barrier
	buffer_gl0_inv
	v_cmpx_ne_u32_e32 0, v0
	s_cbranch_execz .LBB1049_292
; %bb.291:
	v_add_nc_u32_e32 v5, -8, v141
	ds_load_b64 v[33:34], v5
.LBB1049_292:
	s_or_b32 exec_lo, exec_lo, s1
	v_cmp_ne_u32_e32 vcc_lo, 1, v53
	s_cbranch_vccnz .LBB1049_301
; %bb.293:
	v_mad_u64_u32 v[5:6], null, v1, s8, s[10:11]
	v_mul_lo_u32 v53, v1, s9
	v_mul_lo_u32 v54, v2, s8
	s_waitcnt lgkmcnt(0)
	v_mad_u64_u32 v[13:14], null, v33, s8, s[10:11]
	v_mul_lo_u32 v33, v33, s9
	v_mul_lo_u32 v34, v34, s8
	s_mov_b32 s21, 0
	s_delay_alu instid0(VALU_DEP_4) | instskip(NEXT) | instid1(VALU_DEP_2)
	v_add3_u32 v6, v54, v6, v53
	v_add3_u32 v14, v34, v14, v33
	s_clause 0x1
	global_load_u8 v33, v[5:6], off
	global_load_u8 v34, v[13:14], off
	s_waitcnt vmcnt(1)
	v_cmp_ne_u16_e32 vcc_lo, 0, v33
	s_waitcnt vmcnt(0)
	v_cmp_ne_u16_e64 s0, 0, v34
	s_delay_alu instid0(VALU_DEP_1) | instskip(SKIP_2) | instid1(SALU_CYCLE_1)
	s_xor_b32 s1, vcc_lo, s0
	s_mov_b32 s0, -1
	s_xor_b32 s1, s1, -1
	s_and_saveexec_b32 s3, s1
	s_cbranch_execz .LBB1049_300
; %bb.294:
	s_mov_b64 s[14:15], 1
                                        ; implicit-def: $sgpr22
	s_set_inst_prefetch_distance 0x1
	s_branch .LBB1049_297
	.p2align	6
.LBB1049_295:                           ;   in Loop: Header=BB1049_297 Depth=1
	v_add_co_u32 v33, vcc_lo, v5, s14
	v_add_co_ci_u32_e32 v34, vcc_lo, s15, v6, vcc_lo
	v_add_co_u32 v53, vcc_lo, v13, s14
	v_add_co_ci_u32_e32 v54, vcc_lo, s15, v14, vcc_lo
	s_clause 0x1
	global_load_u8 v33, v[33:34], off
	global_load_u8 v34, v[53:54], off
	s_waitcnt vmcnt(1)
	v_cmp_ne_u16_e32 vcc_lo, 0, v33
	s_waitcnt vmcnt(0)
	v_cmp_ne_u16_e64 s0, 0, v34
	s_delay_alu instid0(VALU_DEP_1) | instskip(SKIP_4) | instid1(SALU_CYCLE_1)
	s_xor_b32 s23, vcc_lo, s0
	s_add_u32 s0, s14, 1
	s_addc_u32 s1, s15, 0
	s_and_not1_b32 s22, s22, exec_lo
	s_and_b32 s23, s23, exec_lo
	s_or_b32 s22, s22, s23
.LBB1049_296:                           ;   in Loop: Header=BB1049_297 Depth=1
	v_dual_mov_b32 v34, s15 :: v_dual_mov_b32 v33, s14
	s_and_b32 s23, exec_lo, s22
	s_mov_b64 s[14:15], s[0:1]
	s_or_b32 s21, s23, s21
	s_delay_alu instid0(SALU_CYCLE_1)
	s_and_not1_b32 exec_lo, exec_lo, s21
	s_cbranch_execz .LBB1049_299
.LBB1049_297:                           ; =>This Inner Loop Header: Depth=1
	s_or_b32 s22, s22, exec_lo
	s_cmp_eq_u64 s[8:9], s[14:15]
	s_cbranch_scc0 .LBB1049_295
; %bb.298:                              ;   in Loop: Header=BB1049_297 Depth=1
	s_mov_b64 s[14:15], s[8:9]
                                        ; implicit-def: $sgpr0_sgpr1
	s_branch .LBB1049_296
.LBB1049_299:
	s_set_inst_prefetch_distance 0x2
	s_or_b32 exec_lo, exec_lo, s21
	v_cmp_gt_i64_e32 vcc_lo, s[8:9], v[33:34]
	s_or_not1_b32 s0, vcc_lo, exec_lo
.LBB1049_300:
	s_or_b32 exec_lo, exec_lo, s3
.LBB1049_301:
	s_mov_b32 s3, -1
	s_branch .LBB1049_568
.LBB1049_302:
	v_mad_u32_u24 v5, v0, 29, 28
	s_mul_i32 s21, s20, 0xfffff180
	v_cmp_lt_i64_e64 s22, s[8:9], 1
	s_add_i32 s21, s21, s6
	v_cmp_gt_i64_e64 s20, s[8:9], 0
	v_cmp_le_u32_e32 vcc_lo, s21, v5
	v_mul_u32_u24_e32 v53, 29, v0
	ds_store_b64 v141, v[119:120]
	v_dual_cndmask_b32 v110, 0, v120 :: v_dual_cndmask_b32 v109, 0, v119
	s_or_b32 s0, vcc_lo, s22
	s_delay_alu instid0(SALU_CYCLE_1) | instskip(NEXT) | instid1(SALU_CYCLE_1)
	s_xor_b32 s0, s0, -1
	s_and_saveexec_b32 s23, s0
	s_cbranch_execz .LBB1049_311
; %bb.303:
	v_mad_u64_u32 v[5:6], null, v119, s8, s[10:11]
	v_mul_lo_u32 v13, v119, s9
	v_mul_lo_u32 v14, v120, s8
	v_mad_u64_u32 v[7:8], null, v71, s8, s[10:11]
	v_mul_lo_u32 v15, v71, s9
	v_mul_lo_u32 v16, v72, s8
	v_mov_b32_e32 v109, 1
	v_mov_b32_e32 v110, 0
	v_add3_u32 v6, v14, v6, v13
	s_delay_alu instid0(VALU_DEP_4)
	v_add3_u32 v8, v16, v8, v15
	s_clause 0x1
	global_load_u8 v13, v[5:6], off
	global_load_u8 v14, v[7:8], off
	s_waitcnt vmcnt(1)
	v_cmp_ne_u16_e32 vcc_lo, 0, v13
	s_waitcnt vmcnt(0)
	v_cmp_ne_u16_e64 s0, 0, v14
	s_delay_alu instid0(VALU_DEP_1) | instskip(NEXT) | instid1(SALU_CYCLE_1)
	s_xor_b32 s0, vcc_lo, s0
	s_xor_b32 s0, s0, -1
	s_delay_alu instid0(SALU_CYCLE_1)
	s_and_saveexec_b32 s24, s0
	s_cbranch_execz .LBB1049_310
; %bb.304:
	s_mov_b64 s[14:15], 1
	s_mov_b32 s25, 0
                                        ; implicit-def: $sgpr27
	s_set_inst_prefetch_distance 0x1
	s_branch .LBB1049_307
	.p2align	6
.LBB1049_305:                           ;   in Loop: Header=BB1049_307 Depth=1
	v_add_co_u32 v13, vcc_lo, v5, s14
	v_add_co_ci_u32_e32 v14, vcc_lo, s15, v6, vcc_lo
	v_add_co_u32 v15, vcc_lo, v7, s14
	v_add_co_ci_u32_e32 v16, vcc_lo, s15, v8, vcc_lo
	s_clause 0x1
	global_load_u8 v13, v[13:14], off
	global_load_u8 v14, v[15:16], off
	s_waitcnt vmcnt(1)
	v_cmp_ne_u16_e32 vcc_lo, 0, v13
	s_waitcnt vmcnt(0)
	v_cmp_ne_u16_e64 s0, 0, v14
	s_delay_alu instid0(VALU_DEP_1) | instskip(SKIP_4) | instid1(SALU_CYCLE_1)
	s_xor_b32 s28, vcc_lo, s0
	s_add_u32 s0, s14, 1
	s_addc_u32 s1, s15, 0
	s_and_not1_b32 s27, s27, exec_lo
	s_and_b32 s28, s28, exec_lo
	s_or_b32 s27, s27, s28
.LBB1049_306:                           ;   in Loop: Header=BB1049_307 Depth=1
	v_dual_mov_b32 v13, s14 :: v_dual_mov_b32 v14, s15
	s_and_b32 s28, exec_lo, s27
	s_mov_b64 s[14:15], s[0:1]
	s_or_b32 s25, s28, s25
	s_delay_alu instid0(SALU_CYCLE_1)
	s_and_not1_b32 exec_lo, exec_lo, s25
	s_cbranch_execz .LBB1049_309
.LBB1049_307:                           ; =>This Inner Loop Header: Depth=1
	s_or_b32 s27, s27, exec_lo
	s_cmp_eq_u64 s[8:9], s[14:15]
	s_cbranch_scc0 .LBB1049_305
; %bb.308:                              ;   in Loop: Header=BB1049_307 Depth=1
	s_mov_b64 s[14:15], s[8:9]
                                        ; implicit-def: $sgpr0_sgpr1
	s_branch .LBB1049_306
.LBB1049_309:
	s_set_inst_prefetch_distance 0x2
	s_or_b32 exec_lo, exec_lo, s25
	v_cmp_gt_i64_e32 vcc_lo, s[8:9], v[13:14]
	s_mov_b32 s0, 0
	s_delay_alu instid0(SALU_CYCLE_1)
	v_mov_b32_e32 v110, s0
	v_cndmask_b32_e64 v109, 0, 1, vcc_lo
.LBB1049_310:
	s_or_b32 exec_lo, exec_lo, s24
.LBB1049_311:
	s_delay_alu instid0(SALU_CYCLE_1) | instskip(SKIP_1) | instid1(VALU_DEP_1)
	s_or_b32 exec_lo, exec_lo, s23
	v_add_nc_u32_e32 v5, 27, v53
	v_cmp_le_u32_e32 vcc_lo, s21, v5
	v_dual_cndmask_b32 v8, 0, v72 :: v_dual_cndmask_b32 v7, 0, v71
	s_or_b32 s0, vcc_lo, s22
	s_delay_alu instid0(SALU_CYCLE_1) | instskip(NEXT) | instid1(SALU_CYCLE_1)
	s_xor_b32 s0, s0, -1
	s_and_saveexec_b32 s23, s0
	s_cbranch_execz .LBB1049_320
; %bb.312:
	v_mad_u64_u32 v[5:6], null, v71, s8, s[10:11]
	v_mul_lo_u32 v7, v71, s9
	v_mul_lo_u32 v8, v72, s8
	v_mad_u64_u32 v[13:14], null, v69, s8, s[10:11]
	v_mul_lo_u32 v15, v69, s9
	v_mul_lo_u32 v16, v70, s8
	s_mov_b32 s25, 0
	s_delay_alu instid0(VALU_DEP_4) | instskip(NEXT) | instid1(VALU_DEP_2)
	v_add3_u32 v6, v8, v6, v7
	v_add3_u32 v14, v16, v14, v15
	s_clause 0x1
	global_load_u8 v7, v[5:6], off
	global_load_u8 v8, v[13:14], off
	s_waitcnt vmcnt(1)
	v_cmp_ne_u16_e32 vcc_lo, 0, v7
	s_waitcnt vmcnt(0)
	v_cmp_ne_u16_e64 s0, 0, v8
	v_mov_b32_e32 v7, 1
	v_mov_b32_e32 v8, 0
	s_delay_alu instid0(VALU_DEP_3) | instskip(NEXT) | instid1(SALU_CYCLE_1)
	s_xor_b32 s0, vcc_lo, s0
	s_xor_b32 s0, s0, -1
	s_delay_alu instid0(SALU_CYCLE_1)
	s_and_saveexec_b32 s24, s0
	s_cbranch_execz .LBB1049_319
; %bb.313:
	s_mov_b64 s[14:15], 1
                                        ; implicit-def: $sgpr27
	s_set_inst_prefetch_distance 0x1
	s_branch .LBB1049_316
	.p2align	6
.LBB1049_314:                           ;   in Loop: Header=BB1049_316 Depth=1
	v_add_co_u32 v7, vcc_lo, v5, s14
	v_add_co_ci_u32_e32 v8, vcc_lo, s15, v6, vcc_lo
	v_add_co_u32 v15, vcc_lo, v13, s14
	v_add_co_ci_u32_e32 v16, vcc_lo, s15, v14, vcc_lo
	s_clause 0x1
	global_load_u8 v7, v[7:8], off
	global_load_u8 v8, v[15:16], off
	s_waitcnt vmcnt(1)
	v_cmp_ne_u16_e32 vcc_lo, 0, v7
	s_waitcnt vmcnt(0)
	v_cmp_ne_u16_e64 s0, 0, v8
	s_delay_alu instid0(VALU_DEP_1) | instskip(SKIP_4) | instid1(SALU_CYCLE_1)
	s_xor_b32 s28, vcc_lo, s0
	s_add_u32 s0, s14, 1
	s_addc_u32 s1, s15, 0
	s_and_not1_b32 s27, s27, exec_lo
	s_and_b32 s28, s28, exec_lo
	s_or_b32 s27, s27, s28
.LBB1049_315:                           ;   in Loop: Header=BB1049_316 Depth=1
	v_dual_mov_b32 v7, s14 :: v_dual_mov_b32 v8, s15
	s_and_b32 s28, exec_lo, s27
	s_mov_b64 s[14:15], s[0:1]
	s_or_b32 s25, s28, s25
	s_delay_alu instid0(SALU_CYCLE_1)
	s_and_not1_b32 exec_lo, exec_lo, s25
	s_cbranch_execz .LBB1049_318
.LBB1049_316:                           ; =>This Inner Loop Header: Depth=1
	s_or_b32 s27, s27, exec_lo
	s_cmp_eq_u64 s[8:9], s[14:15]
	s_cbranch_scc0 .LBB1049_314
; %bb.317:                              ;   in Loop: Header=BB1049_316 Depth=1
	s_mov_b64 s[14:15], s[8:9]
                                        ; implicit-def: $sgpr0_sgpr1
	s_branch .LBB1049_315
.LBB1049_318:
	s_set_inst_prefetch_distance 0x2
	s_or_b32 exec_lo, exec_lo, s25
	v_cmp_gt_i64_e32 vcc_lo, s[8:9], v[7:8]
	s_mov_b32 s0, 0
	s_delay_alu instid0(SALU_CYCLE_1)
	v_mov_b32_e32 v8, s0
	v_cndmask_b32_e64 v7, 0, 1, vcc_lo
.LBB1049_319:
	s_or_b32 exec_lo, exec_lo, s24
.LBB1049_320:
	s_delay_alu instid0(SALU_CYCLE_1) | instskip(SKIP_1) | instid1(VALU_DEP_1)
	s_or_b32 exec_lo, exec_lo, s23
	v_add_nc_u32_e32 v5, 26, v53
	v_cmp_le_u32_e32 vcc_lo, s21, v5
	v_dual_cndmask_b32 v112, 0, v70 :: v_dual_cndmask_b32 v111, 0, v69
	s_or_b32 s0, vcc_lo, s22
	s_delay_alu instid0(SALU_CYCLE_1) | instskip(NEXT) | instid1(SALU_CYCLE_1)
	s_xor_b32 s0, s0, -1
	s_and_saveexec_b32 s23, s0
	s_cbranch_execz .LBB1049_329
; %bb.321:
	v_mad_u64_u32 v[5:6], null, v69, s8, s[10:11]
	v_mul_lo_u32 v15, v69, s9
	v_mul_lo_u32 v16, v70, s8
	v_mad_u64_u32 v[13:14], null, v67, s8, s[10:11]
	s_waitcnt lgkmcnt(0)
	v_mul_lo_u32 v33, v67, s9
	v_mul_lo_u32 v34, v68, s8
	v_mov_b32_e32 v111, 1
	v_mov_b32_e32 v112, 0
	v_add3_u32 v6, v16, v6, v15
	s_delay_alu instid0(VALU_DEP_4)
	v_add3_u32 v14, v34, v14, v33
	s_clause 0x1
	global_load_u8 v15, v[5:6], off
	global_load_u8 v16, v[13:14], off
	s_waitcnt vmcnt(1)
	v_cmp_ne_u16_e32 vcc_lo, 0, v15
	s_waitcnt vmcnt(0)
	v_cmp_ne_u16_e64 s0, 0, v16
	s_delay_alu instid0(VALU_DEP_1) | instskip(NEXT) | instid1(SALU_CYCLE_1)
	s_xor_b32 s0, vcc_lo, s0
	s_xor_b32 s0, s0, -1
	s_delay_alu instid0(SALU_CYCLE_1)
	s_and_saveexec_b32 s24, s0
	s_cbranch_execz .LBB1049_328
; %bb.322:
	s_mov_b64 s[14:15], 1
	s_mov_b32 s25, 0
                                        ; implicit-def: $sgpr27
	s_set_inst_prefetch_distance 0x1
	s_branch .LBB1049_325
	.p2align	6
.LBB1049_323:                           ;   in Loop: Header=BB1049_325 Depth=1
	v_add_co_u32 v15, vcc_lo, v5, s14
	v_add_co_ci_u32_e32 v16, vcc_lo, s15, v6, vcc_lo
	v_add_co_u32 v33, vcc_lo, v13, s14
	v_add_co_ci_u32_e32 v34, vcc_lo, s15, v14, vcc_lo
	s_clause 0x1
	global_load_u8 v15, v[15:16], off
	global_load_u8 v16, v[33:34], off
	s_waitcnt vmcnt(1)
	v_cmp_ne_u16_e32 vcc_lo, 0, v15
	s_waitcnt vmcnt(0)
	v_cmp_ne_u16_e64 s0, 0, v16
	s_delay_alu instid0(VALU_DEP_1) | instskip(SKIP_4) | instid1(SALU_CYCLE_1)
	s_xor_b32 s28, vcc_lo, s0
	s_add_u32 s0, s14, 1
	s_addc_u32 s1, s15, 0
	s_and_not1_b32 s27, s27, exec_lo
	s_and_b32 s28, s28, exec_lo
	s_or_b32 s27, s27, s28
.LBB1049_324:                           ;   in Loop: Header=BB1049_325 Depth=1
	v_dual_mov_b32 v16, s15 :: v_dual_mov_b32 v15, s14
	s_and_b32 s28, exec_lo, s27
	s_mov_b64 s[14:15], s[0:1]
	s_or_b32 s25, s28, s25
	s_delay_alu instid0(SALU_CYCLE_1)
	s_and_not1_b32 exec_lo, exec_lo, s25
	s_cbranch_execz .LBB1049_327
.LBB1049_325:                           ; =>This Inner Loop Header: Depth=1
	s_or_b32 s27, s27, exec_lo
	s_cmp_eq_u64 s[8:9], s[14:15]
	s_cbranch_scc0 .LBB1049_323
; %bb.326:                              ;   in Loop: Header=BB1049_325 Depth=1
	s_mov_b64 s[14:15], s[8:9]
                                        ; implicit-def: $sgpr0_sgpr1
	s_branch .LBB1049_324
.LBB1049_327:
	s_set_inst_prefetch_distance 0x2
	s_or_b32 exec_lo, exec_lo, s25
	v_cmp_gt_i64_e32 vcc_lo, s[8:9], v[15:16]
	s_mov_b32 s0, 0
	s_delay_alu instid0(SALU_CYCLE_1)
	v_mov_b32_e32 v112, s0
	v_cndmask_b32_e64 v111, 0, 1, vcc_lo
.LBB1049_328:
	s_or_b32 exec_lo, exec_lo, s24
.LBB1049_329:
	s_delay_alu instid0(SALU_CYCLE_1) | instskip(SKIP_1) | instid1(VALU_DEP_1)
	s_or_b32 exec_lo, exec_lo, s23
	v_add_nc_u32_e32 v5, 25, v53
	v_cmp_le_u32_e32 vcc_lo, s21, v5
	v_dual_cndmask_b32 v16, 0, v68 :: v_dual_cndmask_b32 v15, 0, v67
	s_or_b32 s0, vcc_lo, s22
	s_delay_alu instid0(SALU_CYCLE_1) | instskip(NEXT) | instid1(SALU_CYCLE_1)
	s_xor_b32 s0, s0, -1
	s_and_saveexec_b32 s23, s0
	s_cbranch_execz .LBB1049_338
; %bb.330:
	v_mad_u64_u32 v[5:6], null, v67, s8, s[10:11]
	v_mul_lo_u32 v15, v67, s9
	v_mul_lo_u32 v16, v68, s8
	v_mad_u64_u32 v[13:14], null, v65, s8, s[10:11]
	s_waitcnt lgkmcnt(0)
	v_mul_lo_u32 v33, v65, s9
	v_mul_lo_u32 v34, v66, s8
	s_mov_b32 s25, 0
	s_delay_alu instid0(VALU_DEP_4) | instskip(NEXT) | instid1(VALU_DEP_2)
	v_add3_u32 v6, v16, v6, v15
	v_add3_u32 v14, v34, v14, v33
	s_clause 0x1
	global_load_u8 v15, v[5:6], off
	global_load_u8 v16, v[13:14], off
	s_waitcnt vmcnt(1)
	v_cmp_ne_u16_e32 vcc_lo, 0, v15
	s_waitcnt vmcnt(0)
	v_cmp_ne_u16_e64 s0, 0, v16
	v_mov_b32_e32 v15, 1
	v_mov_b32_e32 v16, 0
	s_delay_alu instid0(VALU_DEP_3) | instskip(NEXT) | instid1(SALU_CYCLE_1)
	s_xor_b32 s0, vcc_lo, s0
	s_xor_b32 s0, s0, -1
	s_delay_alu instid0(SALU_CYCLE_1)
	s_and_saveexec_b32 s24, s0
	s_cbranch_execz .LBB1049_337
; %bb.331:
	s_mov_b64 s[14:15], 1
                                        ; implicit-def: $sgpr27
	s_set_inst_prefetch_distance 0x1
	s_branch .LBB1049_334
	.p2align	6
.LBB1049_332:                           ;   in Loop: Header=BB1049_334 Depth=1
	v_add_co_u32 v15, vcc_lo, v5, s14
	v_add_co_ci_u32_e32 v16, vcc_lo, s15, v6, vcc_lo
	v_add_co_u32 v33, vcc_lo, v13, s14
	v_add_co_ci_u32_e32 v34, vcc_lo, s15, v14, vcc_lo
	s_clause 0x1
	global_load_u8 v15, v[15:16], off
	global_load_u8 v16, v[33:34], off
	s_waitcnt vmcnt(1)
	v_cmp_ne_u16_e32 vcc_lo, 0, v15
	s_waitcnt vmcnt(0)
	v_cmp_ne_u16_e64 s0, 0, v16
	s_delay_alu instid0(VALU_DEP_1) | instskip(SKIP_4) | instid1(SALU_CYCLE_1)
	s_xor_b32 s28, vcc_lo, s0
	s_add_u32 s0, s14, 1
	s_addc_u32 s1, s15, 0
	s_and_not1_b32 s27, s27, exec_lo
	s_and_b32 s28, s28, exec_lo
	s_or_b32 s27, s27, s28
.LBB1049_333:                           ;   in Loop: Header=BB1049_334 Depth=1
	v_dual_mov_b32 v16, s15 :: v_dual_mov_b32 v15, s14
	s_and_b32 s28, exec_lo, s27
	s_mov_b64 s[14:15], s[0:1]
	s_or_b32 s25, s28, s25
	s_delay_alu instid0(SALU_CYCLE_1)
	s_and_not1_b32 exec_lo, exec_lo, s25
	s_cbranch_execz .LBB1049_336
.LBB1049_334:                           ; =>This Inner Loop Header: Depth=1
	s_or_b32 s27, s27, exec_lo
	s_cmp_eq_u64 s[8:9], s[14:15]
	s_cbranch_scc0 .LBB1049_332
; %bb.335:                              ;   in Loop: Header=BB1049_334 Depth=1
	s_mov_b64 s[14:15], s[8:9]
                                        ; implicit-def: $sgpr0_sgpr1
	s_branch .LBB1049_333
.LBB1049_336:
	s_set_inst_prefetch_distance 0x2
	s_or_b32 exec_lo, exec_lo, s25
	v_cmp_gt_i64_e32 vcc_lo, s[8:9], v[15:16]
	s_mov_b32 s0, 0
	s_delay_alu instid0(SALU_CYCLE_1)
	v_mov_b32_e32 v16, s0
	v_cndmask_b32_e64 v15, 0, 1, vcc_lo
.LBB1049_337:
	s_or_b32 exec_lo, exec_lo, s24
.LBB1049_338:
	s_delay_alu instid0(SALU_CYCLE_1) | instskip(SKIP_1) | instid1(VALU_DEP_1)
	s_or_b32 exec_lo, exec_lo, s23
	v_add_nc_u32_e32 v5, 24, v53
	v_cmp_le_u32_e32 vcc_lo, s21, v5
	v_dual_cndmask_b32 v114, 0, v66 :: v_dual_cndmask_b32 v113, 0, v65
	s_or_b32 s0, vcc_lo, s22
	s_delay_alu instid0(SALU_CYCLE_1) | instskip(NEXT) | instid1(SALU_CYCLE_1)
	s_xor_b32 s0, s0, -1
	s_and_saveexec_b32 s23, s0
	s_cbranch_execz .LBB1049_347
; %bb.339:
	v_mad_u64_u32 v[5:6], null, v65, s8, s[10:11]
	s_waitcnt lgkmcnt(0)
	v_mul_lo_u32 v33, v65, s9
	v_mul_lo_u32 v34, v66, s8
	v_mad_u64_u32 v[13:14], null, v63, s8, s[10:11]
	v_mul_lo_u32 v35, v63, s9
	v_mul_lo_u32 v36, v64, s8
	v_mov_b32_e32 v113, 1
	v_mov_b32_e32 v114, 0
	v_add3_u32 v6, v34, v6, v33
	s_delay_alu instid0(VALU_DEP_4)
	v_add3_u32 v14, v36, v14, v35
	s_clause 0x1
	global_load_u8 v33, v[5:6], off
	global_load_u8 v34, v[13:14], off
	s_waitcnt vmcnt(1)
	v_cmp_ne_u16_e32 vcc_lo, 0, v33
	s_waitcnt vmcnt(0)
	v_cmp_ne_u16_e64 s0, 0, v34
	s_delay_alu instid0(VALU_DEP_1) | instskip(NEXT) | instid1(SALU_CYCLE_1)
	s_xor_b32 s0, vcc_lo, s0
	s_xor_b32 s0, s0, -1
	s_delay_alu instid0(SALU_CYCLE_1)
	s_and_saveexec_b32 s24, s0
	s_cbranch_execz .LBB1049_346
; %bb.340:
	s_mov_b64 s[14:15], 1
	s_mov_b32 s25, 0
                                        ; implicit-def: $sgpr27
	s_set_inst_prefetch_distance 0x1
	s_branch .LBB1049_343
	.p2align	6
.LBB1049_341:                           ;   in Loop: Header=BB1049_343 Depth=1
	v_add_co_u32 v33, vcc_lo, v5, s14
	v_add_co_ci_u32_e32 v34, vcc_lo, s15, v6, vcc_lo
	v_add_co_u32 v35, vcc_lo, v13, s14
	v_add_co_ci_u32_e32 v36, vcc_lo, s15, v14, vcc_lo
	s_clause 0x1
	global_load_u8 v33, v[33:34], off
	global_load_u8 v34, v[35:36], off
	s_waitcnt vmcnt(1)
	v_cmp_ne_u16_e32 vcc_lo, 0, v33
	s_waitcnt vmcnt(0)
	v_cmp_ne_u16_e64 s0, 0, v34
	s_delay_alu instid0(VALU_DEP_1) | instskip(SKIP_4) | instid1(SALU_CYCLE_1)
	s_xor_b32 s28, vcc_lo, s0
	s_add_u32 s0, s14, 1
	s_addc_u32 s1, s15, 0
	s_and_not1_b32 s27, s27, exec_lo
	s_and_b32 s28, s28, exec_lo
	s_or_b32 s27, s27, s28
.LBB1049_342:                           ;   in Loop: Header=BB1049_343 Depth=1
	v_dual_mov_b32 v34, s15 :: v_dual_mov_b32 v33, s14
	s_and_b32 s28, exec_lo, s27
	s_mov_b64 s[14:15], s[0:1]
	s_or_b32 s25, s28, s25
	s_delay_alu instid0(SALU_CYCLE_1)
	s_and_not1_b32 exec_lo, exec_lo, s25
	s_cbranch_execz .LBB1049_345
.LBB1049_343:                           ; =>This Inner Loop Header: Depth=1
	s_or_b32 s27, s27, exec_lo
	s_cmp_eq_u64 s[8:9], s[14:15]
	s_cbranch_scc0 .LBB1049_341
; %bb.344:                              ;   in Loop: Header=BB1049_343 Depth=1
	s_mov_b64 s[14:15], s[8:9]
                                        ; implicit-def: $sgpr0_sgpr1
	s_branch .LBB1049_342
.LBB1049_345:
	s_set_inst_prefetch_distance 0x2
	s_or_b32 exec_lo, exec_lo, s25
	v_cmp_gt_i64_e32 vcc_lo, s[8:9], v[33:34]
	s_mov_b32 s0, 0
	s_delay_alu instid0(SALU_CYCLE_1)
	v_mov_b32_e32 v114, s0
	v_cndmask_b32_e64 v113, 0, 1, vcc_lo
.LBB1049_346:
	s_or_b32 exec_lo, exec_lo, s24
.LBB1049_347:
	s_delay_alu instid0(SALU_CYCLE_1) | instskip(SKIP_1) | instid1(VALU_DEP_1)
	s_or_b32 exec_lo, exec_lo, s23
	v_add_nc_u32_e32 v5, 23, v53
	v_cmp_le_u32_e32 vcc_lo, s21, v5
	v_dual_cndmask_b32 v36, 0, v64 :: v_dual_cndmask_b32 v35, 0, v63
	s_or_b32 s0, vcc_lo, s22
	s_delay_alu instid0(SALU_CYCLE_1) | instskip(NEXT) | instid1(SALU_CYCLE_1)
	s_xor_b32 s0, s0, -1
	s_and_saveexec_b32 s23, s0
	s_cbranch_execz .LBB1049_356
; %bb.348:
	v_mad_u64_u32 v[5:6], null, v63, s8, s[10:11]
	s_waitcnt lgkmcnt(0)
	v_mul_lo_u32 v33, v63, s9
	v_mul_lo_u32 v34, v64, s8
	v_mad_u64_u32 v[13:14], null, v61, s8, s[10:11]
	v_mul_lo_u32 v35, v61, s9
	v_mul_lo_u32 v36, v62, s8
	s_mov_b32 s25, 0
	s_delay_alu instid0(VALU_DEP_4) | instskip(NEXT) | instid1(VALU_DEP_2)
	v_add3_u32 v6, v34, v6, v33
	v_add3_u32 v14, v36, v14, v35
	s_clause 0x1
	global_load_u8 v33, v[5:6], off
	global_load_u8 v34, v[13:14], off
	v_mov_b32_e32 v35, 1
	v_mov_b32_e32 v36, 0
	s_waitcnt vmcnt(1)
	v_cmp_ne_u16_e32 vcc_lo, 0, v33
	s_waitcnt vmcnt(0)
	v_cmp_ne_u16_e64 s0, 0, v34
	s_delay_alu instid0(VALU_DEP_1) | instskip(NEXT) | instid1(SALU_CYCLE_1)
	s_xor_b32 s0, vcc_lo, s0
	s_xor_b32 s0, s0, -1
	s_delay_alu instid0(SALU_CYCLE_1)
	s_and_saveexec_b32 s24, s0
	s_cbranch_execz .LBB1049_355
; %bb.349:
	s_mov_b64 s[14:15], 1
                                        ; implicit-def: $sgpr27
	s_set_inst_prefetch_distance 0x1
	s_branch .LBB1049_352
	.p2align	6
.LBB1049_350:                           ;   in Loop: Header=BB1049_352 Depth=1
	v_add_co_u32 v33, vcc_lo, v5, s14
	v_add_co_ci_u32_e32 v34, vcc_lo, s15, v6, vcc_lo
	v_add_co_u32 v35, vcc_lo, v13, s14
	v_add_co_ci_u32_e32 v36, vcc_lo, s15, v14, vcc_lo
	s_clause 0x1
	global_load_u8 v33, v[33:34], off
	global_load_u8 v34, v[35:36], off
	s_waitcnt vmcnt(1)
	v_cmp_ne_u16_e32 vcc_lo, 0, v33
	s_waitcnt vmcnt(0)
	v_cmp_ne_u16_e64 s0, 0, v34
	s_delay_alu instid0(VALU_DEP_1) | instskip(SKIP_4) | instid1(SALU_CYCLE_1)
	s_xor_b32 s28, vcc_lo, s0
	s_add_u32 s0, s14, 1
	s_addc_u32 s1, s15, 0
	s_and_not1_b32 s27, s27, exec_lo
	s_and_b32 s28, s28, exec_lo
	s_or_b32 s27, s27, s28
.LBB1049_351:                           ;   in Loop: Header=BB1049_352 Depth=1
	v_dual_mov_b32 v34, s15 :: v_dual_mov_b32 v33, s14
	s_and_b32 s28, exec_lo, s27
	s_mov_b64 s[14:15], s[0:1]
	s_or_b32 s25, s28, s25
	s_delay_alu instid0(SALU_CYCLE_1)
	s_and_not1_b32 exec_lo, exec_lo, s25
	s_cbranch_execz .LBB1049_354
.LBB1049_352:                           ; =>This Inner Loop Header: Depth=1
	s_or_b32 s27, s27, exec_lo
	s_cmp_eq_u64 s[8:9], s[14:15]
	s_cbranch_scc0 .LBB1049_350
; %bb.353:                              ;   in Loop: Header=BB1049_352 Depth=1
	s_mov_b64 s[14:15], s[8:9]
                                        ; implicit-def: $sgpr0_sgpr1
	s_branch .LBB1049_351
.LBB1049_354:
	s_set_inst_prefetch_distance 0x2
	s_or_b32 exec_lo, exec_lo, s25
	v_cmp_gt_i64_e32 vcc_lo, s[8:9], v[33:34]
	s_mov_b32 s0, 0
	s_delay_alu instid0(SALU_CYCLE_1)
	v_mov_b32_e32 v36, s0
	v_cndmask_b32_e64 v35, 0, 1, vcc_lo
.LBB1049_355:
	s_or_b32 exec_lo, exec_lo, s24
.LBB1049_356:
	s_delay_alu instid0(SALU_CYCLE_1) | instskip(SKIP_1) | instid1(VALU_DEP_1)
	s_or_b32 exec_lo, exec_lo, s23
	v_add_nc_u32_e32 v5, 22, v53
	v_cmp_le_u32_e32 vcc_lo, s21, v5
	v_dual_cndmask_b32 v116, 0, v62 :: v_dual_cndmask_b32 v115, 0, v61
	s_or_b32 s0, vcc_lo, s22
	s_delay_alu instid0(SALU_CYCLE_1) | instskip(NEXT) | instid1(SALU_CYCLE_1)
	s_xor_b32 s0, s0, -1
	s_and_saveexec_b32 s23, s0
	s_cbranch_execz .LBB1049_365
; %bb.357:
	v_mad_u64_u32 v[5:6], null, v61, s8, s[10:11]
	s_waitcnt lgkmcnt(0)
	v_mul_lo_u32 v33, v61, s9
	v_mul_lo_u32 v34, v62, s8
	v_mad_u64_u32 v[13:14], null, v59, s8, s[10:11]
	v_mul_lo_u32 v54, v59, s9
	v_mul_lo_u32 v55, v60, s8
	v_mov_b32_e32 v115, 1
	v_mov_b32_e32 v116, 0
	v_add3_u32 v6, v34, v6, v33
	s_delay_alu instid0(VALU_DEP_4)
	v_add3_u32 v14, v55, v14, v54
	s_clause 0x1
	global_load_u8 v33, v[5:6], off
	global_load_u8 v34, v[13:14], off
	s_waitcnt vmcnt(1)
	v_cmp_ne_u16_e32 vcc_lo, 0, v33
	s_waitcnt vmcnt(0)
	v_cmp_ne_u16_e64 s0, 0, v34
	s_delay_alu instid0(VALU_DEP_1) | instskip(NEXT) | instid1(SALU_CYCLE_1)
	s_xor_b32 s0, vcc_lo, s0
	s_xor_b32 s0, s0, -1
	s_delay_alu instid0(SALU_CYCLE_1)
	s_and_saveexec_b32 s24, s0
	s_cbranch_execz .LBB1049_364
; %bb.358:
	s_mov_b64 s[14:15], 1
	s_mov_b32 s25, 0
                                        ; implicit-def: $sgpr27
	s_set_inst_prefetch_distance 0x1
	s_branch .LBB1049_361
	.p2align	6
.LBB1049_359:                           ;   in Loop: Header=BB1049_361 Depth=1
	v_add_co_u32 v33, vcc_lo, v5, s14
	v_add_co_ci_u32_e32 v34, vcc_lo, s15, v6, vcc_lo
	v_add_co_u32 v54, vcc_lo, v13, s14
	v_add_co_ci_u32_e32 v55, vcc_lo, s15, v14, vcc_lo
	s_clause 0x1
	global_load_u8 v33, v[33:34], off
	global_load_u8 v34, v[54:55], off
	s_waitcnt vmcnt(1)
	v_cmp_ne_u16_e32 vcc_lo, 0, v33
	s_waitcnt vmcnt(0)
	v_cmp_ne_u16_e64 s0, 0, v34
	s_delay_alu instid0(VALU_DEP_1) | instskip(SKIP_4) | instid1(SALU_CYCLE_1)
	s_xor_b32 s28, vcc_lo, s0
	s_add_u32 s0, s14, 1
	s_addc_u32 s1, s15, 0
	s_and_not1_b32 s27, s27, exec_lo
	s_and_b32 s28, s28, exec_lo
	s_or_b32 s27, s27, s28
.LBB1049_360:                           ;   in Loop: Header=BB1049_361 Depth=1
	v_dual_mov_b32 v34, s15 :: v_dual_mov_b32 v33, s14
	s_and_b32 s28, exec_lo, s27
	s_mov_b64 s[14:15], s[0:1]
	s_or_b32 s25, s28, s25
	s_delay_alu instid0(SALU_CYCLE_1)
	s_and_not1_b32 exec_lo, exec_lo, s25
	s_cbranch_execz .LBB1049_363
.LBB1049_361:                           ; =>This Inner Loop Header: Depth=1
	s_or_b32 s27, s27, exec_lo
	s_cmp_eq_u64 s[8:9], s[14:15]
	s_cbranch_scc0 .LBB1049_359
; %bb.362:                              ;   in Loop: Header=BB1049_361 Depth=1
	s_mov_b64 s[14:15], s[8:9]
                                        ; implicit-def: $sgpr0_sgpr1
	s_branch .LBB1049_360
.LBB1049_363:
	s_set_inst_prefetch_distance 0x2
	s_or_b32 exec_lo, exec_lo, s25
	v_cmp_gt_i64_e32 vcc_lo, s[8:9], v[33:34]
	s_mov_b32 s0, 0
	s_delay_alu instid0(SALU_CYCLE_1)
	v_mov_b32_e32 v116, s0
	v_cndmask_b32_e64 v115, 0, 1, vcc_lo
.LBB1049_364:
	s_or_b32 exec_lo, exec_lo, s24
.LBB1049_365:
	s_delay_alu instid0(SALU_CYCLE_1) | instskip(SKIP_1) | instid1(VALU_DEP_1)
	s_or_b32 exec_lo, exec_lo, s23
	v_add_nc_u32_e32 v5, 21, v53
	v_cmp_le_u32_e32 vcc_lo, s21, v5
	v_dual_cndmask_b32 v56, 0, v60 :: v_dual_cndmask_b32 v55, 0, v59
	s_or_b32 s0, vcc_lo, s22
	s_delay_alu instid0(SALU_CYCLE_1) | instskip(NEXT) | instid1(SALU_CYCLE_1)
	s_xor_b32 s0, s0, -1
	s_and_saveexec_b32 s23, s0
	s_cbranch_execz .LBB1049_374
; %bb.366:
	v_mad_u64_u32 v[5:6], null, v59, s8, s[10:11]
	s_waitcnt lgkmcnt(0)
	v_mul_lo_u32 v33, v59, s9
	v_mul_lo_u32 v34, v60, s8
	v_mad_u64_u32 v[13:14], null, v57, s8, s[10:11]
	v_mul_lo_u32 v54, v57, s9
	v_mul_lo_u32 v55, v58, s8
	s_mov_b32 s25, 0
	s_delay_alu instid0(VALU_DEP_4) | instskip(NEXT) | instid1(VALU_DEP_2)
	v_add3_u32 v6, v34, v6, v33
	v_add3_u32 v14, v55, v14, v54
	s_clause 0x1
	global_load_u8 v33, v[5:6], off
	global_load_u8 v34, v[13:14], off
	v_mov_b32_e32 v55, 1
	v_mov_b32_e32 v56, 0
	s_waitcnt vmcnt(1)
	v_cmp_ne_u16_e32 vcc_lo, 0, v33
	s_waitcnt vmcnt(0)
	v_cmp_ne_u16_e64 s0, 0, v34
	s_delay_alu instid0(VALU_DEP_1) | instskip(NEXT) | instid1(SALU_CYCLE_1)
	s_xor_b32 s0, vcc_lo, s0
	s_xor_b32 s0, s0, -1
	s_delay_alu instid0(SALU_CYCLE_1)
	s_and_saveexec_b32 s24, s0
	s_cbranch_execz .LBB1049_373
; %bb.367:
	s_mov_b64 s[14:15], 1
                                        ; implicit-def: $sgpr27
	s_set_inst_prefetch_distance 0x1
	s_branch .LBB1049_370
	.p2align	6
.LBB1049_368:                           ;   in Loop: Header=BB1049_370 Depth=1
	v_add_co_u32 v33, vcc_lo, v5, s14
	v_add_co_ci_u32_e32 v34, vcc_lo, s15, v6, vcc_lo
	v_add_co_u32 v54, vcc_lo, v13, s14
	v_add_co_ci_u32_e32 v55, vcc_lo, s15, v14, vcc_lo
	s_clause 0x1
	global_load_u8 v33, v[33:34], off
	global_load_u8 v34, v[54:55], off
	s_waitcnt vmcnt(1)
	v_cmp_ne_u16_e32 vcc_lo, 0, v33
	s_waitcnt vmcnt(0)
	v_cmp_ne_u16_e64 s0, 0, v34
	s_delay_alu instid0(VALU_DEP_1) | instskip(SKIP_4) | instid1(SALU_CYCLE_1)
	s_xor_b32 s28, vcc_lo, s0
	s_add_u32 s0, s14, 1
	s_addc_u32 s1, s15, 0
	s_and_not1_b32 s27, s27, exec_lo
	s_and_b32 s28, s28, exec_lo
	s_or_b32 s27, s27, s28
.LBB1049_369:                           ;   in Loop: Header=BB1049_370 Depth=1
	v_dual_mov_b32 v34, s15 :: v_dual_mov_b32 v33, s14
	s_and_b32 s28, exec_lo, s27
	s_mov_b64 s[14:15], s[0:1]
	s_or_b32 s25, s28, s25
	s_delay_alu instid0(SALU_CYCLE_1)
	s_and_not1_b32 exec_lo, exec_lo, s25
	s_cbranch_execz .LBB1049_372
.LBB1049_370:                           ; =>This Inner Loop Header: Depth=1
	s_or_b32 s27, s27, exec_lo
	s_cmp_eq_u64 s[8:9], s[14:15]
	s_cbranch_scc0 .LBB1049_368
; %bb.371:                              ;   in Loop: Header=BB1049_370 Depth=1
	s_mov_b64 s[14:15], s[8:9]
                                        ; implicit-def: $sgpr0_sgpr1
	s_branch .LBB1049_369
.LBB1049_372:
	s_set_inst_prefetch_distance 0x2
	s_or_b32 exec_lo, exec_lo, s25
	v_cmp_gt_i64_e32 vcc_lo, s[8:9], v[33:34]
	s_mov_b32 s0, 0
	s_delay_alu instid0(SALU_CYCLE_1)
	v_mov_b32_e32 v56, s0
	v_cndmask_b32_e64 v55, 0, 1, vcc_lo
.LBB1049_373:
	s_or_b32 exec_lo, exec_lo, s24
.LBB1049_374:
	s_delay_alu instid0(SALU_CYCLE_1) | instskip(SKIP_1) | instid1(VALU_DEP_1)
	s_or_b32 exec_lo, exec_lo, s23
	v_add_nc_u32_e32 v5, 20, v53
	v_cmp_le_u32_e32 vcc_lo, s21, v5
	v_dual_cndmask_b32 v118, 0, v58 :: v_dual_cndmask_b32 v117, 0, v57
	s_or_b32 s0, vcc_lo, s22
	s_delay_alu instid0(SALU_CYCLE_1) | instskip(NEXT) | instid1(SALU_CYCLE_1)
	s_xor_b32 s0, s0, -1
	s_and_saveexec_b32 s23, s0
	s_cbranch_execz .LBB1049_383
; %bb.375:
	v_mad_u64_u32 v[5:6], null, v57, s8, s[10:11]
	s_waitcnt lgkmcnt(0)
	v_mul_lo_u32 v33, v57, s9
	v_mul_lo_u32 v34, v58, s8
	v_mad_u64_u32 v[13:14], null, v51, s8, s[10:11]
	v_mul_lo_u32 v54, v51, s9
	v_mul_lo_u32 v73, v52, s8
	v_mov_b32_e32 v117, 1
	v_mov_b32_e32 v118, 0
	v_add3_u32 v6, v34, v6, v33
	s_delay_alu instid0(VALU_DEP_4)
	v_add3_u32 v14, v73, v14, v54
	s_clause 0x1
	global_load_u8 v33, v[5:6], off
	global_load_u8 v34, v[13:14], off
	s_waitcnt vmcnt(1)
	v_cmp_ne_u16_e32 vcc_lo, 0, v33
	s_waitcnt vmcnt(0)
	v_cmp_ne_u16_e64 s0, 0, v34
	s_delay_alu instid0(VALU_DEP_1) | instskip(NEXT) | instid1(SALU_CYCLE_1)
	s_xor_b32 s0, vcc_lo, s0
	s_xor_b32 s0, s0, -1
	s_delay_alu instid0(SALU_CYCLE_1)
	s_and_saveexec_b32 s24, s0
	s_cbranch_execz .LBB1049_382
; %bb.376:
	s_mov_b64 s[14:15], 1
	s_mov_b32 s25, 0
                                        ; implicit-def: $sgpr27
	s_set_inst_prefetch_distance 0x1
	s_branch .LBB1049_379
	.p2align	6
.LBB1049_377:                           ;   in Loop: Header=BB1049_379 Depth=1
	v_add_co_u32 v33, vcc_lo, v5, s14
	v_add_co_ci_u32_e32 v34, vcc_lo, s15, v6, vcc_lo
	v_add_co_u32 v73, vcc_lo, v13, s14
	v_add_co_ci_u32_e32 v74, vcc_lo, s15, v14, vcc_lo
	s_clause 0x1
	global_load_u8 v33, v[33:34], off
	global_load_u8 v34, v[73:74], off
	s_waitcnt vmcnt(1)
	v_cmp_ne_u16_e32 vcc_lo, 0, v33
	s_waitcnt vmcnt(0)
	v_cmp_ne_u16_e64 s0, 0, v34
	s_delay_alu instid0(VALU_DEP_1) | instskip(SKIP_4) | instid1(SALU_CYCLE_1)
	s_xor_b32 s28, vcc_lo, s0
	s_add_u32 s0, s14, 1
	s_addc_u32 s1, s15, 0
	s_and_not1_b32 s27, s27, exec_lo
	s_and_b32 s28, s28, exec_lo
	s_or_b32 s27, s27, s28
.LBB1049_378:                           ;   in Loop: Header=BB1049_379 Depth=1
	v_dual_mov_b32 v34, s15 :: v_dual_mov_b32 v33, s14
	s_and_b32 s28, exec_lo, s27
	s_mov_b64 s[14:15], s[0:1]
	s_or_b32 s25, s28, s25
	s_delay_alu instid0(SALU_CYCLE_1)
	s_and_not1_b32 exec_lo, exec_lo, s25
	s_cbranch_execz .LBB1049_381
.LBB1049_379:                           ; =>This Inner Loop Header: Depth=1
	s_or_b32 s27, s27, exec_lo
	s_cmp_eq_u64 s[8:9], s[14:15]
	s_cbranch_scc0 .LBB1049_377
; %bb.380:                              ;   in Loop: Header=BB1049_379 Depth=1
	s_mov_b64 s[14:15], s[8:9]
                                        ; implicit-def: $sgpr0_sgpr1
	s_branch .LBB1049_378
.LBB1049_381:
	s_set_inst_prefetch_distance 0x2
	s_or_b32 exec_lo, exec_lo, s25
	v_cmp_gt_i64_e32 vcc_lo, s[8:9], v[33:34]
	s_mov_b32 s0, 0
	s_delay_alu instid0(SALU_CYCLE_1)
	v_mov_b32_e32 v118, s0
	v_cndmask_b32_e64 v117, 0, 1, vcc_lo
.LBB1049_382:
	s_or_b32 exec_lo, exec_lo, s24
.LBB1049_383:
	s_delay_alu instid0(SALU_CYCLE_1) | instskip(SKIP_1) | instid1(VALU_DEP_1)
	s_or_b32 exec_lo, exec_lo, s23
	v_add_nc_u32_e32 v5, 19, v53
	v_cmp_le_u32_e32 vcc_lo, s21, v5
	v_dual_cndmask_b32 v76, 0, v52 :: v_dual_cndmask_b32 v75, 0, v51
	s_or_b32 s0, vcc_lo, s22
	s_delay_alu instid0(SALU_CYCLE_1) | instskip(NEXT) | instid1(SALU_CYCLE_1)
	s_xor_b32 s0, s0, -1
	s_and_saveexec_b32 s23, s0
	s_cbranch_execz .LBB1049_392
; %bb.384:
	v_mad_u64_u32 v[5:6], null, v51, s8, s[10:11]
	s_waitcnt lgkmcnt(0)
	v_mul_lo_u32 v33, v51, s9
	v_mul_lo_u32 v34, v52, s8
	v_mad_u64_u32 v[13:14], null, v49, s8, s[10:11]
	v_mul_lo_u32 v54, v49, s9
	v_mul_lo_u32 v73, v50, s8
	v_mov_b32_e32 v75, 1
	v_mov_b32_e32 v76, 0
	s_mov_b32 s25, 0
	v_add3_u32 v6, v34, v6, v33
	s_delay_alu instid0(VALU_DEP_4)
	v_add3_u32 v14, v73, v14, v54
	s_clause 0x1
	global_load_u8 v33, v[5:6], off
	global_load_u8 v34, v[13:14], off
	s_waitcnt vmcnt(1)
	v_cmp_ne_u16_e32 vcc_lo, 0, v33
	s_waitcnt vmcnt(0)
	v_cmp_ne_u16_e64 s0, 0, v34
	s_delay_alu instid0(VALU_DEP_1) | instskip(NEXT) | instid1(SALU_CYCLE_1)
	s_xor_b32 s0, vcc_lo, s0
	s_xor_b32 s0, s0, -1
	s_delay_alu instid0(SALU_CYCLE_1)
	s_and_saveexec_b32 s24, s0
	s_cbranch_execz .LBB1049_391
; %bb.385:
	s_mov_b64 s[14:15], 1
                                        ; implicit-def: $sgpr27
	s_set_inst_prefetch_distance 0x1
	s_branch .LBB1049_388
	.p2align	6
.LBB1049_386:                           ;   in Loop: Header=BB1049_388 Depth=1
	v_add_co_u32 v33, vcc_lo, v5, s14
	v_add_co_ci_u32_e32 v34, vcc_lo, s15, v6, vcc_lo
	v_add_co_u32 v73, vcc_lo, v13, s14
	v_add_co_ci_u32_e32 v74, vcc_lo, s15, v14, vcc_lo
	s_clause 0x1
	global_load_u8 v33, v[33:34], off
	global_load_u8 v34, v[73:74], off
	s_waitcnt vmcnt(1)
	v_cmp_ne_u16_e32 vcc_lo, 0, v33
	s_waitcnt vmcnt(0)
	v_cmp_ne_u16_e64 s0, 0, v34
	s_delay_alu instid0(VALU_DEP_1) | instskip(SKIP_4) | instid1(SALU_CYCLE_1)
	s_xor_b32 s28, vcc_lo, s0
	s_add_u32 s0, s14, 1
	s_addc_u32 s1, s15, 0
	s_and_not1_b32 s27, s27, exec_lo
	s_and_b32 s28, s28, exec_lo
	s_or_b32 s27, s27, s28
.LBB1049_387:                           ;   in Loop: Header=BB1049_388 Depth=1
	v_dual_mov_b32 v34, s15 :: v_dual_mov_b32 v33, s14
	s_and_b32 s28, exec_lo, s27
	s_mov_b64 s[14:15], s[0:1]
	s_or_b32 s25, s28, s25
	s_delay_alu instid0(SALU_CYCLE_1)
	s_and_not1_b32 exec_lo, exec_lo, s25
	s_cbranch_execz .LBB1049_390
.LBB1049_388:                           ; =>This Inner Loop Header: Depth=1
	s_or_b32 s27, s27, exec_lo
	s_cmp_eq_u64 s[8:9], s[14:15]
	s_cbranch_scc0 .LBB1049_386
; %bb.389:                              ;   in Loop: Header=BB1049_388 Depth=1
	s_mov_b64 s[14:15], s[8:9]
                                        ; implicit-def: $sgpr0_sgpr1
	s_branch .LBB1049_387
.LBB1049_390:
	s_set_inst_prefetch_distance 0x2
	s_or_b32 exec_lo, exec_lo, s25
	v_cmp_gt_i64_e32 vcc_lo, s[8:9], v[33:34]
	s_mov_b32 s0, 0
	s_delay_alu instid0(SALU_CYCLE_1)
	v_mov_b32_e32 v76, s0
	v_cndmask_b32_e64 v75, 0, 1, vcc_lo
.LBB1049_391:
	s_or_b32 exec_lo, exec_lo, s24
.LBB1049_392:
	s_delay_alu instid0(SALU_CYCLE_1) | instskip(SKIP_1) | instid1(VALU_DEP_1)
	s_or_b32 exec_lo, exec_lo, s23
	v_add_nc_u32_e32 v5, 18, v53
	v_cmp_le_u32_e32 vcc_lo, s21, v5
	v_dual_cndmask_b32 v122, 0, v50 :: v_dual_cndmask_b32 v121, 0, v49
	s_or_b32 s0, vcc_lo, s22
	s_delay_alu instid0(SALU_CYCLE_1) | instskip(NEXT) | instid1(SALU_CYCLE_1)
	s_xor_b32 s0, s0, -1
	s_and_saveexec_b32 s23, s0
	s_cbranch_execz .LBB1049_401
; %bb.393:
	v_mad_u64_u32 v[5:6], null, v49, s8, s[10:11]
	s_waitcnt lgkmcnt(0)
	v_mul_lo_u32 v33, v49, s9
	v_mul_lo_u32 v34, v50, s8
	v_mad_u64_u32 v[13:14], null, v47, s8, s[10:11]
	v_mul_lo_u32 v54, v47, s9
	v_mul_lo_u32 v73, v48, s8
	v_mov_b32_e32 v121, 1
	v_mov_b32_e32 v122, 0
	v_add3_u32 v6, v34, v6, v33
	s_delay_alu instid0(VALU_DEP_4)
	v_add3_u32 v14, v73, v14, v54
	s_clause 0x1
	global_load_u8 v33, v[5:6], off
	global_load_u8 v34, v[13:14], off
	s_waitcnt vmcnt(1)
	v_cmp_ne_u16_e32 vcc_lo, 0, v33
	s_waitcnt vmcnt(0)
	v_cmp_ne_u16_e64 s0, 0, v34
	s_delay_alu instid0(VALU_DEP_1) | instskip(NEXT) | instid1(SALU_CYCLE_1)
	s_xor_b32 s0, vcc_lo, s0
	s_xor_b32 s0, s0, -1
	s_delay_alu instid0(SALU_CYCLE_1)
	s_and_saveexec_b32 s24, s0
	s_cbranch_execz .LBB1049_400
; %bb.394:
	s_mov_b64 s[14:15], 1
	s_mov_b32 s25, 0
                                        ; implicit-def: $sgpr27
	s_set_inst_prefetch_distance 0x1
	s_branch .LBB1049_397
	.p2align	6
.LBB1049_395:                           ;   in Loop: Header=BB1049_397 Depth=1
	v_add_co_u32 v33, vcc_lo, v5, s14
	v_add_co_ci_u32_e32 v34, vcc_lo, s15, v6, vcc_lo
	v_add_co_u32 v73, vcc_lo, v13, s14
	v_add_co_ci_u32_e32 v74, vcc_lo, s15, v14, vcc_lo
	s_clause 0x1
	global_load_u8 v33, v[33:34], off
	global_load_u8 v34, v[73:74], off
	s_waitcnt vmcnt(1)
	v_cmp_ne_u16_e32 vcc_lo, 0, v33
	s_waitcnt vmcnt(0)
	v_cmp_ne_u16_e64 s0, 0, v34
	s_delay_alu instid0(VALU_DEP_1) | instskip(SKIP_4) | instid1(SALU_CYCLE_1)
	s_xor_b32 s28, vcc_lo, s0
	s_add_u32 s0, s14, 1
	s_addc_u32 s1, s15, 0
	s_and_not1_b32 s27, s27, exec_lo
	s_and_b32 s28, s28, exec_lo
	s_or_b32 s27, s27, s28
.LBB1049_396:                           ;   in Loop: Header=BB1049_397 Depth=1
	v_dual_mov_b32 v34, s15 :: v_dual_mov_b32 v33, s14
	s_and_b32 s28, exec_lo, s27
	s_mov_b64 s[14:15], s[0:1]
	s_or_b32 s25, s28, s25
	s_delay_alu instid0(SALU_CYCLE_1)
	s_and_not1_b32 exec_lo, exec_lo, s25
	s_cbranch_execz .LBB1049_399
.LBB1049_397:                           ; =>This Inner Loop Header: Depth=1
	s_or_b32 s27, s27, exec_lo
	s_cmp_eq_u64 s[8:9], s[14:15]
	s_cbranch_scc0 .LBB1049_395
; %bb.398:                              ;   in Loop: Header=BB1049_397 Depth=1
	s_mov_b64 s[14:15], s[8:9]
                                        ; implicit-def: $sgpr0_sgpr1
	s_branch .LBB1049_396
.LBB1049_399:
	s_set_inst_prefetch_distance 0x2
	s_or_b32 exec_lo, exec_lo, s25
	v_cmp_gt_i64_e32 vcc_lo, s[8:9], v[33:34]
	s_mov_b32 s0, 0
	s_delay_alu instid0(SALU_CYCLE_1)
	v_mov_b32_e32 v122, s0
	v_cndmask_b32_e64 v121, 0, 1, vcc_lo
.LBB1049_400:
	s_or_b32 exec_lo, exec_lo, s24
.LBB1049_401:
	s_delay_alu instid0(SALU_CYCLE_1) | instskip(SKIP_1) | instid1(VALU_DEP_1)
	s_or_b32 exec_lo, exec_lo, s23
	v_add_nc_u32_e32 v5, 17, v53
	v_cmp_le_u32_e32 vcc_lo, s21, v5
	v_dual_cndmask_b32 v80, 0, v48 :: v_dual_cndmask_b32 v79, 0, v47
	s_or_b32 s0, vcc_lo, s22
	s_delay_alu instid0(SALU_CYCLE_1) | instskip(NEXT) | instid1(SALU_CYCLE_1)
	s_xor_b32 s0, s0, -1
	s_and_saveexec_b32 s23, s0
	s_cbranch_execz .LBB1049_410
; %bb.402:
	v_mad_u64_u32 v[5:6], null, v47, s8, s[10:11]
	s_waitcnt lgkmcnt(0)
	v_mul_lo_u32 v33, v47, s9
	v_mul_lo_u32 v34, v48, s8
	v_mad_u64_u32 v[13:14], null, v45, s8, s[10:11]
	v_mul_lo_u32 v54, v45, s9
	v_mul_lo_u32 v73, v46, s8
	v_mov_b32_e32 v79, 1
	v_mov_b32_e32 v80, 0
	s_mov_b32 s25, 0
	v_add3_u32 v6, v34, v6, v33
	s_delay_alu instid0(VALU_DEP_4)
	v_add3_u32 v14, v73, v14, v54
	s_clause 0x1
	global_load_u8 v33, v[5:6], off
	global_load_u8 v34, v[13:14], off
	s_waitcnt vmcnt(1)
	v_cmp_ne_u16_e32 vcc_lo, 0, v33
	s_waitcnt vmcnt(0)
	v_cmp_ne_u16_e64 s0, 0, v34
	s_delay_alu instid0(VALU_DEP_1) | instskip(NEXT) | instid1(SALU_CYCLE_1)
	s_xor_b32 s0, vcc_lo, s0
	s_xor_b32 s0, s0, -1
	s_delay_alu instid0(SALU_CYCLE_1)
	s_and_saveexec_b32 s24, s0
	s_cbranch_execz .LBB1049_409
; %bb.403:
	s_mov_b64 s[14:15], 1
                                        ; implicit-def: $sgpr27
	s_set_inst_prefetch_distance 0x1
	s_branch .LBB1049_406
	.p2align	6
.LBB1049_404:                           ;   in Loop: Header=BB1049_406 Depth=1
	v_add_co_u32 v33, vcc_lo, v5, s14
	v_add_co_ci_u32_e32 v34, vcc_lo, s15, v6, vcc_lo
	v_add_co_u32 v73, vcc_lo, v13, s14
	v_add_co_ci_u32_e32 v74, vcc_lo, s15, v14, vcc_lo
	s_clause 0x1
	global_load_u8 v33, v[33:34], off
	global_load_u8 v34, v[73:74], off
	s_waitcnt vmcnt(1)
	v_cmp_ne_u16_e32 vcc_lo, 0, v33
	s_waitcnt vmcnt(0)
	v_cmp_ne_u16_e64 s0, 0, v34
	s_delay_alu instid0(VALU_DEP_1) | instskip(SKIP_4) | instid1(SALU_CYCLE_1)
	s_xor_b32 s28, vcc_lo, s0
	s_add_u32 s0, s14, 1
	s_addc_u32 s1, s15, 0
	s_and_not1_b32 s27, s27, exec_lo
	s_and_b32 s28, s28, exec_lo
	s_or_b32 s27, s27, s28
.LBB1049_405:                           ;   in Loop: Header=BB1049_406 Depth=1
	v_dual_mov_b32 v34, s15 :: v_dual_mov_b32 v33, s14
	s_and_b32 s28, exec_lo, s27
	s_mov_b64 s[14:15], s[0:1]
	s_or_b32 s25, s28, s25
	s_delay_alu instid0(SALU_CYCLE_1)
	s_and_not1_b32 exec_lo, exec_lo, s25
	s_cbranch_execz .LBB1049_408
.LBB1049_406:                           ; =>This Inner Loop Header: Depth=1
	s_or_b32 s27, s27, exec_lo
	s_cmp_eq_u64 s[8:9], s[14:15]
	s_cbranch_scc0 .LBB1049_404
; %bb.407:                              ;   in Loop: Header=BB1049_406 Depth=1
	s_mov_b64 s[14:15], s[8:9]
                                        ; implicit-def: $sgpr0_sgpr1
	s_branch .LBB1049_405
.LBB1049_408:
	s_set_inst_prefetch_distance 0x2
	s_or_b32 exec_lo, exec_lo, s25
	v_cmp_gt_i64_e32 vcc_lo, s[8:9], v[33:34]
	s_mov_b32 s0, 0
	s_delay_alu instid0(SALU_CYCLE_1)
	v_mov_b32_e32 v80, s0
	v_cndmask_b32_e64 v79, 0, 1, vcc_lo
.LBB1049_409:
	s_or_b32 exec_lo, exec_lo, s24
.LBB1049_410:
	s_delay_alu instid0(SALU_CYCLE_1) | instskip(SKIP_1) | instid1(VALU_DEP_1)
	s_or_b32 exec_lo, exec_lo, s23
	v_add_nc_u32_e32 v5, 16, v53
	v_cmp_le_u32_e32 vcc_lo, s21, v5
	v_dual_cndmask_b32 v124, 0, v46 :: v_dual_cndmask_b32 v123, 0, v45
	s_or_b32 s0, vcc_lo, s22
	s_delay_alu instid0(SALU_CYCLE_1) | instskip(NEXT) | instid1(SALU_CYCLE_1)
	s_xor_b32 s0, s0, -1
	s_and_saveexec_b32 s23, s0
	s_cbranch_execz .LBB1049_419
; %bb.411:
	v_mad_u64_u32 v[5:6], null, v45, s8, s[10:11]
	s_waitcnt lgkmcnt(0)
	v_mul_lo_u32 v33, v45, s9
	v_mul_lo_u32 v34, v46, s8
	v_mad_u64_u32 v[13:14], null, v43, s8, s[10:11]
	v_mul_lo_u32 v54, v43, s9
	v_mul_lo_u32 v73, v44, s8
	v_mov_b32_e32 v123, 1
	v_mov_b32_e32 v124, 0
	v_add3_u32 v6, v34, v6, v33
	s_delay_alu instid0(VALU_DEP_4)
	v_add3_u32 v14, v73, v14, v54
	s_clause 0x1
	global_load_u8 v33, v[5:6], off
	global_load_u8 v34, v[13:14], off
	s_waitcnt vmcnt(1)
	v_cmp_ne_u16_e32 vcc_lo, 0, v33
	s_waitcnt vmcnt(0)
	v_cmp_ne_u16_e64 s0, 0, v34
	s_delay_alu instid0(VALU_DEP_1) | instskip(NEXT) | instid1(SALU_CYCLE_1)
	s_xor_b32 s0, vcc_lo, s0
	s_xor_b32 s0, s0, -1
	s_delay_alu instid0(SALU_CYCLE_1)
	s_and_saveexec_b32 s24, s0
	s_cbranch_execz .LBB1049_418
; %bb.412:
	s_mov_b64 s[14:15], 1
	s_mov_b32 s25, 0
                                        ; implicit-def: $sgpr27
	s_set_inst_prefetch_distance 0x1
	s_branch .LBB1049_415
	.p2align	6
.LBB1049_413:                           ;   in Loop: Header=BB1049_415 Depth=1
	v_add_co_u32 v33, vcc_lo, v5, s14
	v_add_co_ci_u32_e32 v34, vcc_lo, s15, v6, vcc_lo
	v_add_co_u32 v73, vcc_lo, v13, s14
	v_add_co_ci_u32_e32 v74, vcc_lo, s15, v14, vcc_lo
	s_clause 0x1
	global_load_u8 v33, v[33:34], off
	global_load_u8 v34, v[73:74], off
	s_waitcnt vmcnt(1)
	v_cmp_ne_u16_e32 vcc_lo, 0, v33
	s_waitcnt vmcnt(0)
	v_cmp_ne_u16_e64 s0, 0, v34
	s_delay_alu instid0(VALU_DEP_1) | instskip(SKIP_4) | instid1(SALU_CYCLE_1)
	s_xor_b32 s28, vcc_lo, s0
	s_add_u32 s0, s14, 1
	s_addc_u32 s1, s15, 0
	s_and_not1_b32 s27, s27, exec_lo
	s_and_b32 s28, s28, exec_lo
	s_or_b32 s27, s27, s28
.LBB1049_414:                           ;   in Loop: Header=BB1049_415 Depth=1
	v_dual_mov_b32 v34, s15 :: v_dual_mov_b32 v33, s14
	s_and_b32 s28, exec_lo, s27
	s_mov_b64 s[14:15], s[0:1]
	s_or_b32 s25, s28, s25
	s_delay_alu instid0(SALU_CYCLE_1)
	s_and_not1_b32 exec_lo, exec_lo, s25
	s_cbranch_execz .LBB1049_417
.LBB1049_415:                           ; =>This Inner Loop Header: Depth=1
	s_or_b32 s27, s27, exec_lo
	s_cmp_eq_u64 s[8:9], s[14:15]
	s_cbranch_scc0 .LBB1049_413
; %bb.416:                              ;   in Loop: Header=BB1049_415 Depth=1
	s_mov_b64 s[14:15], s[8:9]
                                        ; implicit-def: $sgpr0_sgpr1
	s_branch .LBB1049_414
.LBB1049_417:
	s_set_inst_prefetch_distance 0x2
	s_or_b32 exec_lo, exec_lo, s25
	v_cmp_gt_i64_e32 vcc_lo, s[8:9], v[33:34]
	s_mov_b32 s0, 0
	s_delay_alu instid0(SALU_CYCLE_1)
	v_mov_b32_e32 v124, s0
	v_cndmask_b32_e64 v123, 0, 1, vcc_lo
.LBB1049_418:
	s_or_b32 exec_lo, exec_lo, s24
.LBB1049_419:
	s_delay_alu instid0(SALU_CYCLE_1) | instskip(SKIP_1) | instid1(VALU_DEP_1)
	s_or_b32 exec_lo, exec_lo, s23
	v_add_nc_u32_e32 v5, 15, v53
	v_cmp_le_u32_e32 vcc_lo, s21, v5
	v_dual_cndmask_b32 v84, 0, v44 :: v_dual_cndmask_b32 v83, 0, v43
	s_or_b32 s0, vcc_lo, s22
	s_delay_alu instid0(SALU_CYCLE_1) | instskip(NEXT) | instid1(SALU_CYCLE_1)
	s_xor_b32 s0, s0, -1
	s_and_saveexec_b32 s23, s0
	s_cbranch_execz .LBB1049_428
; %bb.420:
	v_mad_u64_u32 v[5:6], null, v43, s8, s[10:11]
	s_waitcnt lgkmcnt(0)
	v_mul_lo_u32 v33, v43, s9
	v_mul_lo_u32 v34, v44, s8
	v_mad_u64_u32 v[13:14], null, v41, s8, s[10:11]
	v_mul_lo_u32 v54, v41, s9
	v_mul_lo_u32 v73, v42, s8
	v_mov_b32_e32 v83, 1
	v_mov_b32_e32 v84, 0
	s_mov_b32 s25, 0
	v_add3_u32 v6, v34, v6, v33
	s_delay_alu instid0(VALU_DEP_4)
	v_add3_u32 v14, v73, v14, v54
	s_clause 0x1
	global_load_u8 v33, v[5:6], off
	global_load_u8 v34, v[13:14], off
	s_waitcnt vmcnt(1)
	v_cmp_ne_u16_e32 vcc_lo, 0, v33
	s_waitcnt vmcnt(0)
	v_cmp_ne_u16_e64 s0, 0, v34
	s_delay_alu instid0(VALU_DEP_1) | instskip(NEXT) | instid1(SALU_CYCLE_1)
	s_xor_b32 s0, vcc_lo, s0
	s_xor_b32 s0, s0, -1
	s_delay_alu instid0(SALU_CYCLE_1)
	s_and_saveexec_b32 s24, s0
	s_cbranch_execz .LBB1049_427
; %bb.421:
	s_mov_b64 s[14:15], 1
                                        ; implicit-def: $sgpr27
	s_set_inst_prefetch_distance 0x1
	s_branch .LBB1049_424
	.p2align	6
.LBB1049_422:                           ;   in Loop: Header=BB1049_424 Depth=1
	v_add_co_u32 v33, vcc_lo, v5, s14
	v_add_co_ci_u32_e32 v34, vcc_lo, s15, v6, vcc_lo
	v_add_co_u32 v73, vcc_lo, v13, s14
	v_add_co_ci_u32_e32 v74, vcc_lo, s15, v14, vcc_lo
	s_clause 0x1
	global_load_u8 v33, v[33:34], off
	global_load_u8 v34, v[73:74], off
	s_waitcnt vmcnt(1)
	v_cmp_ne_u16_e32 vcc_lo, 0, v33
	s_waitcnt vmcnt(0)
	v_cmp_ne_u16_e64 s0, 0, v34
	s_delay_alu instid0(VALU_DEP_1) | instskip(SKIP_4) | instid1(SALU_CYCLE_1)
	s_xor_b32 s28, vcc_lo, s0
	s_add_u32 s0, s14, 1
	s_addc_u32 s1, s15, 0
	s_and_not1_b32 s27, s27, exec_lo
	s_and_b32 s28, s28, exec_lo
	s_or_b32 s27, s27, s28
.LBB1049_423:                           ;   in Loop: Header=BB1049_424 Depth=1
	v_dual_mov_b32 v34, s15 :: v_dual_mov_b32 v33, s14
	s_and_b32 s28, exec_lo, s27
	s_mov_b64 s[14:15], s[0:1]
	s_or_b32 s25, s28, s25
	s_delay_alu instid0(SALU_CYCLE_1)
	s_and_not1_b32 exec_lo, exec_lo, s25
	s_cbranch_execz .LBB1049_426
.LBB1049_424:                           ; =>This Inner Loop Header: Depth=1
	s_or_b32 s27, s27, exec_lo
	s_cmp_eq_u64 s[8:9], s[14:15]
	s_cbranch_scc0 .LBB1049_422
; %bb.425:                              ;   in Loop: Header=BB1049_424 Depth=1
	s_mov_b64 s[14:15], s[8:9]
                                        ; implicit-def: $sgpr0_sgpr1
	s_branch .LBB1049_423
.LBB1049_426:
	s_set_inst_prefetch_distance 0x2
	s_or_b32 exec_lo, exec_lo, s25
	v_cmp_gt_i64_e32 vcc_lo, s[8:9], v[33:34]
	s_mov_b32 s0, 0
	s_delay_alu instid0(SALU_CYCLE_1)
	v_mov_b32_e32 v84, s0
	v_cndmask_b32_e64 v83, 0, 1, vcc_lo
.LBB1049_427:
	s_or_b32 exec_lo, exec_lo, s24
.LBB1049_428:
	s_delay_alu instid0(SALU_CYCLE_1) | instskip(SKIP_1) | instid1(VALU_DEP_1)
	s_or_b32 exec_lo, exec_lo, s23
	v_add_nc_u32_e32 v5, 14, v53
	v_cmp_le_u32_e32 vcc_lo, s21, v5
	v_dual_cndmask_b32 v126, 0, v42 :: v_dual_cndmask_b32 v125, 0, v41
	s_or_b32 s0, vcc_lo, s22
	s_delay_alu instid0(SALU_CYCLE_1) | instskip(NEXT) | instid1(SALU_CYCLE_1)
	s_xor_b32 s0, s0, -1
	s_and_saveexec_b32 s23, s0
	s_cbranch_execz .LBB1049_437
; %bb.429:
	v_mad_u64_u32 v[5:6], null, v41, s8, s[10:11]
	s_waitcnt lgkmcnt(0)
	v_mul_lo_u32 v33, v41, s9
	v_mul_lo_u32 v34, v42, s8
	v_mad_u64_u32 v[13:14], null, v39, s8, s[10:11]
	v_mul_lo_u32 v54, v39, s9
	v_mul_lo_u32 v73, v40, s8
	v_mov_b32_e32 v125, 1
	v_mov_b32_e32 v126, 0
	v_add3_u32 v6, v34, v6, v33
	s_delay_alu instid0(VALU_DEP_4)
	v_add3_u32 v14, v73, v14, v54
	s_clause 0x1
	global_load_u8 v33, v[5:6], off
	global_load_u8 v34, v[13:14], off
	s_waitcnt vmcnt(1)
	v_cmp_ne_u16_e32 vcc_lo, 0, v33
	s_waitcnt vmcnt(0)
	v_cmp_ne_u16_e64 s0, 0, v34
	s_delay_alu instid0(VALU_DEP_1) | instskip(NEXT) | instid1(SALU_CYCLE_1)
	s_xor_b32 s0, vcc_lo, s0
	s_xor_b32 s0, s0, -1
	s_delay_alu instid0(SALU_CYCLE_1)
	s_and_saveexec_b32 s24, s0
	s_cbranch_execz .LBB1049_436
; %bb.430:
	s_mov_b64 s[14:15], 1
	s_mov_b32 s25, 0
                                        ; implicit-def: $sgpr27
	s_set_inst_prefetch_distance 0x1
	s_branch .LBB1049_433
	.p2align	6
.LBB1049_431:                           ;   in Loop: Header=BB1049_433 Depth=1
	v_add_co_u32 v33, vcc_lo, v5, s14
	v_add_co_ci_u32_e32 v34, vcc_lo, s15, v6, vcc_lo
	v_add_co_u32 v73, vcc_lo, v13, s14
	v_add_co_ci_u32_e32 v74, vcc_lo, s15, v14, vcc_lo
	s_clause 0x1
	global_load_u8 v33, v[33:34], off
	global_load_u8 v34, v[73:74], off
	s_waitcnt vmcnt(1)
	v_cmp_ne_u16_e32 vcc_lo, 0, v33
	s_waitcnt vmcnt(0)
	v_cmp_ne_u16_e64 s0, 0, v34
	s_delay_alu instid0(VALU_DEP_1) | instskip(SKIP_4) | instid1(SALU_CYCLE_1)
	s_xor_b32 s28, vcc_lo, s0
	s_add_u32 s0, s14, 1
	s_addc_u32 s1, s15, 0
	s_and_not1_b32 s27, s27, exec_lo
	s_and_b32 s28, s28, exec_lo
	s_or_b32 s27, s27, s28
.LBB1049_432:                           ;   in Loop: Header=BB1049_433 Depth=1
	v_dual_mov_b32 v34, s15 :: v_dual_mov_b32 v33, s14
	s_and_b32 s28, exec_lo, s27
	s_mov_b64 s[14:15], s[0:1]
	s_or_b32 s25, s28, s25
	s_delay_alu instid0(SALU_CYCLE_1)
	s_and_not1_b32 exec_lo, exec_lo, s25
	s_cbranch_execz .LBB1049_435
.LBB1049_433:                           ; =>This Inner Loop Header: Depth=1
	s_or_b32 s27, s27, exec_lo
	s_cmp_eq_u64 s[8:9], s[14:15]
	s_cbranch_scc0 .LBB1049_431
; %bb.434:                              ;   in Loop: Header=BB1049_433 Depth=1
	s_mov_b64 s[14:15], s[8:9]
                                        ; implicit-def: $sgpr0_sgpr1
	s_branch .LBB1049_432
.LBB1049_435:
	s_set_inst_prefetch_distance 0x2
	s_or_b32 exec_lo, exec_lo, s25
	v_cmp_gt_i64_e32 vcc_lo, s[8:9], v[33:34]
	s_mov_b32 s0, 0
	s_delay_alu instid0(SALU_CYCLE_1)
	v_mov_b32_e32 v126, s0
	v_cndmask_b32_e64 v125, 0, 1, vcc_lo
.LBB1049_436:
	s_or_b32 exec_lo, exec_lo, s24
.LBB1049_437:
	s_delay_alu instid0(SALU_CYCLE_1) | instskip(SKIP_1) | instid1(VALU_DEP_1)
	s_or_b32 exec_lo, exec_lo, s23
	v_add_nc_u32_e32 v5, 13, v53
	v_cmp_le_u32_e32 vcc_lo, s21, v5
	v_dual_cndmask_b32 v88, 0, v40 :: v_dual_cndmask_b32 v87, 0, v39
	s_or_b32 s0, vcc_lo, s22
	s_delay_alu instid0(SALU_CYCLE_1) | instskip(NEXT) | instid1(SALU_CYCLE_1)
	s_xor_b32 s0, s0, -1
	s_and_saveexec_b32 s23, s0
	s_cbranch_execz .LBB1049_446
; %bb.438:
	v_mad_u64_u32 v[5:6], null, v39, s8, s[10:11]
	s_waitcnt lgkmcnt(0)
	v_mul_lo_u32 v33, v39, s9
	v_mul_lo_u32 v34, v40, s8
	v_mad_u64_u32 v[13:14], null, v37, s8, s[10:11]
	v_mul_lo_u32 v54, v37, s9
	v_mul_lo_u32 v73, v38, s8
	v_mov_b32_e32 v87, 1
	v_mov_b32_e32 v88, 0
	s_mov_b32 s25, 0
	v_add3_u32 v6, v34, v6, v33
	s_delay_alu instid0(VALU_DEP_4)
	v_add3_u32 v14, v73, v14, v54
	s_clause 0x1
	global_load_u8 v33, v[5:6], off
	global_load_u8 v34, v[13:14], off
	s_waitcnt vmcnt(1)
	v_cmp_ne_u16_e32 vcc_lo, 0, v33
	s_waitcnt vmcnt(0)
	v_cmp_ne_u16_e64 s0, 0, v34
	s_delay_alu instid0(VALU_DEP_1) | instskip(NEXT) | instid1(SALU_CYCLE_1)
	s_xor_b32 s0, vcc_lo, s0
	s_xor_b32 s0, s0, -1
	s_delay_alu instid0(SALU_CYCLE_1)
	s_and_saveexec_b32 s24, s0
	s_cbranch_execz .LBB1049_445
; %bb.439:
	s_mov_b64 s[14:15], 1
                                        ; implicit-def: $sgpr27
	s_set_inst_prefetch_distance 0x1
	s_branch .LBB1049_442
	.p2align	6
.LBB1049_440:                           ;   in Loop: Header=BB1049_442 Depth=1
	v_add_co_u32 v33, vcc_lo, v5, s14
	v_add_co_ci_u32_e32 v34, vcc_lo, s15, v6, vcc_lo
	v_add_co_u32 v73, vcc_lo, v13, s14
	v_add_co_ci_u32_e32 v74, vcc_lo, s15, v14, vcc_lo
	s_clause 0x1
	global_load_u8 v33, v[33:34], off
	global_load_u8 v34, v[73:74], off
	s_waitcnt vmcnt(1)
	v_cmp_ne_u16_e32 vcc_lo, 0, v33
	s_waitcnt vmcnt(0)
	v_cmp_ne_u16_e64 s0, 0, v34
	s_delay_alu instid0(VALU_DEP_1) | instskip(SKIP_4) | instid1(SALU_CYCLE_1)
	s_xor_b32 s28, vcc_lo, s0
	s_add_u32 s0, s14, 1
	s_addc_u32 s1, s15, 0
	s_and_not1_b32 s27, s27, exec_lo
	s_and_b32 s28, s28, exec_lo
	s_or_b32 s27, s27, s28
.LBB1049_441:                           ;   in Loop: Header=BB1049_442 Depth=1
	v_dual_mov_b32 v34, s15 :: v_dual_mov_b32 v33, s14
	s_and_b32 s28, exec_lo, s27
	s_mov_b64 s[14:15], s[0:1]
	s_or_b32 s25, s28, s25
	s_delay_alu instid0(SALU_CYCLE_1)
	s_and_not1_b32 exec_lo, exec_lo, s25
	s_cbranch_execz .LBB1049_444
.LBB1049_442:                           ; =>This Inner Loop Header: Depth=1
	s_or_b32 s27, s27, exec_lo
	s_cmp_eq_u64 s[8:9], s[14:15]
	s_cbranch_scc0 .LBB1049_440
; %bb.443:                              ;   in Loop: Header=BB1049_442 Depth=1
	s_mov_b64 s[14:15], s[8:9]
                                        ; implicit-def: $sgpr0_sgpr1
	s_branch .LBB1049_441
.LBB1049_444:
	s_set_inst_prefetch_distance 0x2
	s_or_b32 exec_lo, exec_lo, s25
	v_cmp_gt_i64_e32 vcc_lo, s[8:9], v[33:34]
	s_mov_b32 s0, 0
	s_delay_alu instid0(SALU_CYCLE_1)
	v_mov_b32_e32 v88, s0
	v_cndmask_b32_e64 v87, 0, 1, vcc_lo
.LBB1049_445:
	s_or_b32 exec_lo, exec_lo, s24
.LBB1049_446:
	s_delay_alu instid0(SALU_CYCLE_1) | instskip(SKIP_1) | instid1(VALU_DEP_1)
	s_or_b32 exec_lo, exec_lo, s23
	v_add_nc_u32_e32 v5, 12, v53
	v_cmp_le_u32_e32 vcc_lo, s21, v5
	v_dual_cndmask_b32 v128, 0, v38 :: v_dual_cndmask_b32 v127, 0, v37
	s_or_b32 s0, vcc_lo, s22
	s_delay_alu instid0(SALU_CYCLE_1) | instskip(NEXT) | instid1(SALU_CYCLE_1)
	s_xor_b32 s0, s0, -1
	s_and_saveexec_b32 s23, s0
	s_cbranch_execz .LBB1049_455
; %bb.447:
	v_mad_u64_u32 v[5:6], null, v37, s8, s[10:11]
	s_waitcnt lgkmcnt(0)
	v_mul_lo_u32 v33, v37, s9
	v_mul_lo_u32 v34, v38, s8
	v_mad_u64_u32 v[13:14], null, v31, s8, s[10:11]
	v_mul_lo_u32 v54, v31, s9
	v_mul_lo_u32 v73, v32, s8
	v_mov_b32_e32 v127, 1
	v_mov_b32_e32 v128, 0
	v_add3_u32 v6, v34, v6, v33
	s_delay_alu instid0(VALU_DEP_4)
	v_add3_u32 v14, v73, v14, v54
	s_clause 0x1
	global_load_u8 v33, v[5:6], off
	global_load_u8 v34, v[13:14], off
	s_waitcnt vmcnt(1)
	v_cmp_ne_u16_e32 vcc_lo, 0, v33
	s_waitcnt vmcnt(0)
	v_cmp_ne_u16_e64 s0, 0, v34
	s_delay_alu instid0(VALU_DEP_1) | instskip(NEXT) | instid1(SALU_CYCLE_1)
	s_xor_b32 s0, vcc_lo, s0
	s_xor_b32 s0, s0, -1
	s_delay_alu instid0(SALU_CYCLE_1)
	s_and_saveexec_b32 s24, s0
	s_cbranch_execz .LBB1049_454
; %bb.448:
	s_mov_b64 s[14:15], 1
	s_mov_b32 s25, 0
                                        ; implicit-def: $sgpr27
	s_set_inst_prefetch_distance 0x1
	s_branch .LBB1049_451
	.p2align	6
.LBB1049_449:                           ;   in Loop: Header=BB1049_451 Depth=1
	v_add_co_u32 v33, vcc_lo, v5, s14
	v_add_co_ci_u32_e32 v34, vcc_lo, s15, v6, vcc_lo
	v_add_co_u32 v73, vcc_lo, v13, s14
	v_add_co_ci_u32_e32 v74, vcc_lo, s15, v14, vcc_lo
	s_clause 0x1
	global_load_u8 v33, v[33:34], off
	global_load_u8 v34, v[73:74], off
	s_waitcnt vmcnt(1)
	v_cmp_ne_u16_e32 vcc_lo, 0, v33
	s_waitcnt vmcnt(0)
	v_cmp_ne_u16_e64 s0, 0, v34
	s_delay_alu instid0(VALU_DEP_1) | instskip(SKIP_4) | instid1(SALU_CYCLE_1)
	s_xor_b32 s28, vcc_lo, s0
	s_add_u32 s0, s14, 1
	s_addc_u32 s1, s15, 0
	s_and_not1_b32 s27, s27, exec_lo
	s_and_b32 s28, s28, exec_lo
	s_or_b32 s27, s27, s28
.LBB1049_450:                           ;   in Loop: Header=BB1049_451 Depth=1
	v_dual_mov_b32 v34, s15 :: v_dual_mov_b32 v33, s14
	s_and_b32 s28, exec_lo, s27
	s_mov_b64 s[14:15], s[0:1]
	s_or_b32 s25, s28, s25
	s_delay_alu instid0(SALU_CYCLE_1)
	s_and_not1_b32 exec_lo, exec_lo, s25
	s_cbranch_execz .LBB1049_453
.LBB1049_451:                           ; =>This Inner Loop Header: Depth=1
	s_or_b32 s27, s27, exec_lo
	s_cmp_eq_u64 s[8:9], s[14:15]
	s_cbranch_scc0 .LBB1049_449
; %bb.452:                              ;   in Loop: Header=BB1049_451 Depth=1
	s_mov_b64 s[14:15], s[8:9]
                                        ; implicit-def: $sgpr0_sgpr1
	s_branch .LBB1049_450
.LBB1049_453:
	s_set_inst_prefetch_distance 0x2
	s_or_b32 exec_lo, exec_lo, s25
	v_cmp_gt_i64_e32 vcc_lo, s[8:9], v[33:34]
	s_mov_b32 s0, 0
	s_delay_alu instid0(SALU_CYCLE_1)
	v_mov_b32_e32 v128, s0
	v_cndmask_b32_e64 v127, 0, 1, vcc_lo
.LBB1049_454:
	s_or_b32 exec_lo, exec_lo, s24
.LBB1049_455:
	s_delay_alu instid0(SALU_CYCLE_1) | instskip(SKIP_1) | instid1(VALU_DEP_1)
	s_or_b32 exec_lo, exec_lo, s23
	v_add_nc_u32_e32 v5, 11, v53
	v_cmp_le_u32_e32 vcc_lo, s21, v5
	v_dual_cndmask_b32 v92, 0, v32 :: v_dual_cndmask_b32 v91, 0, v31
	s_or_b32 s0, vcc_lo, s22
	s_delay_alu instid0(SALU_CYCLE_1) | instskip(NEXT) | instid1(SALU_CYCLE_1)
	s_xor_b32 s0, s0, -1
	s_and_saveexec_b32 s23, s0
	s_cbranch_execz .LBB1049_464
; %bb.456:
	v_mad_u64_u32 v[5:6], null, v31, s8, s[10:11]
	s_waitcnt lgkmcnt(0)
	v_mul_lo_u32 v33, v31, s9
	v_mul_lo_u32 v34, v32, s8
	v_mad_u64_u32 v[13:14], null, v29, s8, s[10:11]
	v_mul_lo_u32 v54, v29, s9
	v_mul_lo_u32 v73, v30, s8
	v_mov_b32_e32 v91, 1
	v_mov_b32_e32 v92, 0
	s_mov_b32 s25, 0
	v_add3_u32 v6, v34, v6, v33
	s_delay_alu instid0(VALU_DEP_4)
	v_add3_u32 v14, v73, v14, v54
	s_clause 0x1
	global_load_u8 v33, v[5:6], off
	global_load_u8 v34, v[13:14], off
	s_waitcnt vmcnt(1)
	v_cmp_ne_u16_e32 vcc_lo, 0, v33
	s_waitcnt vmcnt(0)
	v_cmp_ne_u16_e64 s0, 0, v34
	s_delay_alu instid0(VALU_DEP_1) | instskip(NEXT) | instid1(SALU_CYCLE_1)
	s_xor_b32 s0, vcc_lo, s0
	s_xor_b32 s0, s0, -1
	s_delay_alu instid0(SALU_CYCLE_1)
	s_and_saveexec_b32 s24, s0
	s_cbranch_execz .LBB1049_463
; %bb.457:
	s_mov_b64 s[14:15], 1
                                        ; implicit-def: $sgpr27
	s_set_inst_prefetch_distance 0x1
	s_branch .LBB1049_460
	.p2align	6
.LBB1049_458:                           ;   in Loop: Header=BB1049_460 Depth=1
	v_add_co_u32 v33, vcc_lo, v5, s14
	v_add_co_ci_u32_e32 v34, vcc_lo, s15, v6, vcc_lo
	v_add_co_u32 v73, vcc_lo, v13, s14
	v_add_co_ci_u32_e32 v74, vcc_lo, s15, v14, vcc_lo
	s_clause 0x1
	global_load_u8 v33, v[33:34], off
	global_load_u8 v34, v[73:74], off
	s_waitcnt vmcnt(1)
	v_cmp_ne_u16_e32 vcc_lo, 0, v33
	s_waitcnt vmcnt(0)
	v_cmp_ne_u16_e64 s0, 0, v34
	s_delay_alu instid0(VALU_DEP_1) | instskip(SKIP_4) | instid1(SALU_CYCLE_1)
	s_xor_b32 s28, vcc_lo, s0
	s_add_u32 s0, s14, 1
	s_addc_u32 s1, s15, 0
	s_and_not1_b32 s27, s27, exec_lo
	s_and_b32 s28, s28, exec_lo
	s_or_b32 s27, s27, s28
.LBB1049_459:                           ;   in Loop: Header=BB1049_460 Depth=1
	v_dual_mov_b32 v34, s15 :: v_dual_mov_b32 v33, s14
	s_and_b32 s28, exec_lo, s27
	s_mov_b64 s[14:15], s[0:1]
	s_or_b32 s25, s28, s25
	s_delay_alu instid0(SALU_CYCLE_1)
	s_and_not1_b32 exec_lo, exec_lo, s25
	s_cbranch_execz .LBB1049_462
.LBB1049_460:                           ; =>This Inner Loop Header: Depth=1
	s_or_b32 s27, s27, exec_lo
	s_cmp_eq_u64 s[8:9], s[14:15]
	s_cbranch_scc0 .LBB1049_458
; %bb.461:                              ;   in Loop: Header=BB1049_460 Depth=1
	s_mov_b64 s[14:15], s[8:9]
                                        ; implicit-def: $sgpr0_sgpr1
	s_branch .LBB1049_459
.LBB1049_462:
	s_set_inst_prefetch_distance 0x2
	s_or_b32 exec_lo, exec_lo, s25
	v_cmp_gt_i64_e32 vcc_lo, s[8:9], v[33:34]
	s_mov_b32 s0, 0
	s_delay_alu instid0(SALU_CYCLE_1)
	v_mov_b32_e32 v92, s0
	v_cndmask_b32_e64 v91, 0, 1, vcc_lo
.LBB1049_463:
	s_or_b32 exec_lo, exec_lo, s24
.LBB1049_464:
	s_delay_alu instid0(SALU_CYCLE_1) | instskip(SKIP_1) | instid1(VALU_DEP_1)
	s_or_b32 exec_lo, exec_lo, s23
	v_add_nc_u32_e32 v5, 10, v53
	v_cmp_le_u32_e32 vcc_lo, s21, v5
	v_dual_cndmask_b32 v130, 0, v30 :: v_dual_cndmask_b32 v129, 0, v29
	s_or_b32 s0, vcc_lo, s22
	s_delay_alu instid0(SALU_CYCLE_1) | instskip(NEXT) | instid1(SALU_CYCLE_1)
	s_xor_b32 s0, s0, -1
	s_and_saveexec_b32 s23, s0
	s_cbranch_execz .LBB1049_473
; %bb.465:
	v_mad_u64_u32 v[5:6], null, v29, s8, s[10:11]
	s_waitcnt lgkmcnt(0)
	v_mul_lo_u32 v33, v29, s9
	v_mul_lo_u32 v34, v30, s8
	v_mad_u64_u32 v[13:14], null, v27, s8, s[10:11]
	v_mul_lo_u32 v54, v27, s9
	v_mul_lo_u32 v73, v28, s8
	v_mov_b32_e32 v129, 1
	v_mov_b32_e32 v130, 0
	v_add3_u32 v6, v34, v6, v33
	s_delay_alu instid0(VALU_DEP_4)
	v_add3_u32 v14, v73, v14, v54
	s_clause 0x1
	global_load_u8 v33, v[5:6], off
	global_load_u8 v34, v[13:14], off
	s_waitcnt vmcnt(1)
	v_cmp_ne_u16_e32 vcc_lo, 0, v33
	s_waitcnt vmcnt(0)
	v_cmp_ne_u16_e64 s0, 0, v34
	s_delay_alu instid0(VALU_DEP_1) | instskip(NEXT) | instid1(SALU_CYCLE_1)
	s_xor_b32 s0, vcc_lo, s0
	s_xor_b32 s0, s0, -1
	s_delay_alu instid0(SALU_CYCLE_1)
	s_and_saveexec_b32 s24, s0
	s_cbranch_execz .LBB1049_472
; %bb.466:
	s_mov_b64 s[14:15], 1
	s_mov_b32 s25, 0
                                        ; implicit-def: $sgpr27
	s_set_inst_prefetch_distance 0x1
	s_branch .LBB1049_469
	.p2align	6
.LBB1049_467:                           ;   in Loop: Header=BB1049_469 Depth=1
	v_add_co_u32 v33, vcc_lo, v5, s14
	v_add_co_ci_u32_e32 v34, vcc_lo, s15, v6, vcc_lo
	v_add_co_u32 v73, vcc_lo, v13, s14
	v_add_co_ci_u32_e32 v74, vcc_lo, s15, v14, vcc_lo
	s_clause 0x1
	global_load_u8 v33, v[33:34], off
	global_load_u8 v34, v[73:74], off
	s_waitcnt vmcnt(1)
	v_cmp_ne_u16_e32 vcc_lo, 0, v33
	s_waitcnt vmcnt(0)
	v_cmp_ne_u16_e64 s0, 0, v34
	s_delay_alu instid0(VALU_DEP_1) | instskip(SKIP_4) | instid1(SALU_CYCLE_1)
	s_xor_b32 s28, vcc_lo, s0
	s_add_u32 s0, s14, 1
	s_addc_u32 s1, s15, 0
	s_and_not1_b32 s27, s27, exec_lo
	s_and_b32 s28, s28, exec_lo
	s_or_b32 s27, s27, s28
.LBB1049_468:                           ;   in Loop: Header=BB1049_469 Depth=1
	v_dual_mov_b32 v34, s15 :: v_dual_mov_b32 v33, s14
	s_and_b32 s28, exec_lo, s27
	s_mov_b64 s[14:15], s[0:1]
	s_or_b32 s25, s28, s25
	s_delay_alu instid0(SALU_CYCLE_1)
	s_and_not1_b32 exec_lo, exec_lo, s25
	s_cbranch_execz .LBB1049_471
.LBB1049_469:                           ; =>This Inner Loop Header: Depth=1
	s_or_b32 s27, s27, exec_lo
	s_cmp_eq_u64 s[8:9], s[14:15]
	s_cbranch_scc0 .LBB1049_467
; %bb.470:                              ;   in Loop: Header=BB1049_469 Depth=1
	s_mov_b64 s[14:15], s[8:9]
                                        ; implicit-def: $sgpr0_sgpr1
	s_branch .LBB1049_468
.LBB1049_471:
	s_set_inst_prefetch_distance 0x2
	s_or_b32 exec_lo, exec_lo, s25
	v_cmp_gt_i64_e32 vcc_lo, s[8:9], v[33:34]
	s_mov_b32 s0, 0
	s_delay_alu instid0(SALU_CYCLE_1)
	v_mov_b32_e32 v130, s0
	v_cndmask_b32_e64 v129, 0, 1, vcc_lo
.LBB1049_472:
	s_or_b32 exec_lo, exec_lo, s24
.LBB1049_473:
	s_delay_alu instid0(SALU_CYCLE_1) | instskip(SKIP_1) | instid1(VALU_DEP_1)
	s_or_b32 exec_lo, exec_lo, s23
	v_add_nc_u32_e32 v5, 9, v53
	v_cmp_le_u32_e32 vcc_lo, s21, v5
	v_dual_cndmask_b32 v96, 0, v28 :: v_dual_cndmask_b32 v95, 0, v27
	s_or_b32 s0, vcc_lo, s22
	s_delay_alu instid0(SALU_CYCLE_1) | instskip(NEXT) | instid1(SALU_CYCLE_1)
	s_xor_b32 s0, s0, -1
	s_and_saveexec_b32 s23, s0
	s_cbranch_execz .LBB1049_482
; %bb.474:
	v_mad_u64_u32 v[5:6], null, v27, s8, s[10:11]
	s_waitcnt lgkmcnt(0)
	v_mul_lo_u32 v33, v27, s9
	v_mul_lo_u32 v34, v28, s8
	v_mad_u64_u32 v[13:14], null, v25, s8, s[10:11]
	v_mul_lo_u32 v54, v25, s9
	v_mul_lo_u32 v73, v26, s8
	v_mov_b32_e32 v95, 1
	v_mov_b32_e32 v96, 0
	s_mov_b32 s25, 0
	v_add3_u32 v6, v34, v6, v33
	s_delay_alu instid0(VALU_DEP_4)
	v_add3_u32 v14, v73, v14, v54
	s_clause 0x1
	global_load_u8 v33, v[5:6], off
	global_load_u8 v34, v[13:14], off
	s_waitcnt vmcnt(1)
	v_cmp_ne_u16_e32 vcc_lo, 0, v33
	s_waitcnt vmcnt(0)
	v_cmp_ne_u16_e64 s0, 0, v34
	s_delay_alu instid0(VALU_DEP_1) | instskip(NEXT) | instid1(SALU_CYCLE_1)
	s_xor_b32 s0, vcc_lo, s0
	s_xor_b32 s0, s0, -1
	s_delay_alu instid0(SALU_CYCLE_1)
	s_and_saveexec_b32 s24, s0
	s_cbranch_execz .LBB1049_481
; %bb.475:
	s_mov_b64 s[14:15], 1
                                        ; implicit-def: $sgpr27
	s_set_inst_prefetch_distance 0x1
	s_branch .LBB1049_478
	.p2align	6
.LBB1049_476:                           ;   in Loop: Header=BB1049_478 Depth=1
	v_add_co_u32 v33, vcc_lo, v5, s14
	v_add_co_ci_u32_e32 v34, vcc_lo, s15, v6, vcc_lo
	v_add_co_u32 v73, vcc_lo, v13, s14
	v_add_co_ci_u32_e32 v74, vcc_lo, s15, v14, vcc_lo
	s_clause 0x1
	global_load_u8 v33, v[33:34], off
	global_load_u8 v34, v[73:74], off
	s_waitcnt vmcnt(1)
	v_cmp_ne_u16_e32 vcc_lo, 0, v33
	s_waitcnt vmcnt(0)
	v_cmp_ne_u16_e64 s0, 0, v34
	s_delay_alu instid0(VALU_DEP_1) | instskip(SKIP_4) | instid1(SALU_CYCLE_1)
	s_xor_b32 s28, vcc_lo, s0
	s_add_u32 s0, s14, 1
	s_addc_u32 s1, s15, 0
	s_and_not1_b32 s27, s27, exec_lo
	s_and_b32 s28, s28, exec_lo
	s_or_b32 s27, s27, s28
.LBB1049_477:                           ;   in Loop: Header=BB1049_478 Depth=1
	v_dual_mov_b32 v34, s15 :: v_dual_mov_b32 v33, s14
	s_and_b32 s28, exec_lo, s27
	s_mov_b64 s[14:15], s[0:1]
	s_or_b32 s25, s28, s25
	s_delay_alu instid0(SALU_CYCLE_1)
	s_and_not1_b32 exec_lo, exec_lo, s25
	s_cbranch_execz .LBB1049_480
.LBB1049_478:                           ; =>This Inner Loop Header: Depth=1
	s_or_b32 s27, s27, exec_lo
	s_cmp_eq_u64 s[8:9], s[14:15]
	s_cbranch_scc0 .LBB1049_476
; %bb.479:                              ;   in Loop: Header=BB1049_478 Depth=1
	s_mov_b64 s[14:15], s[8:9]
                                        ; implicit-def: $sgpr0_sgpr1
	s_branch .LBB1049_477
.LBB1049_480:
	s_set_inst_prefetch_distance 0x2
	s_or_b32 exec_lo, exec_lo, s25
	v_cmp_gt_i64_e32 vcc_lo, s[8:9], v[33:34]
	s_mov_b32 s0, 0
	s_delay_alu instid0(SALU_CYCLE_1)
	v_mov_b32_e32 v96, s0
	v_cndmask_b32_e64 v95, 0, 1, vcc_lo
.LBB1049_481:
	s_or_b32 exec_lo, exec_lo, s24
.LBB1049_482:
	s_delay_alu instid0(SALU_CYCLE_1) | instskip(SKIP_1) | instid1(VALU_DEP_1)
	s_or_b32 exec_lo, exec_lo, s23
	v_add_nc_u32_e32 v5, 8, v53
	v_cmp_le_u32_e32 vcc_lo, s21, v5
	v_dual_cndmask_b32 v132, 0, v26 :: v_dual_cndmask_b32 v131, 0, v25
	s_or_b32 s0, vcc_lo, s22
	s_delay_alu instid0(SALU_CYCLE_1) | instskip(NEXT) | instid1(SALU_CYCLE_1)
	s_xor_b32 s0, s0, -1
	s_and_saveexec_b32 s23, s0
	s_cbranch_execz .LBB1049_491
; %bb.483:
	v_mad_u64_u32 v[5:6], null, v25, s8, s[10:11]
	s_waitcnt lgkmcnt(0)
	v_mul_lo_u32 v33, v25, s9
	v_mul_lo_u32 v34, v26, s8
	v_mad_u64_u32 v[13:14], null, v23, s8, s[10:11]
	v_mul_lo_u32 v54, v23, s9
	v_mul_lo_u32 v73, v24, s8
	v_mov_b32_e32 v131, 1
	v_mov_b32_e32 v132, 0
	v_add3_u32 v6, v34, v6, v33
	s_delay_alu instid0(VALU_DEP_4)
	v_add3_u32 v14, v73, v14, v54
	s_clause 0x1
	global_load_u8 v33, v[5:6], off
	global_load_u8 v34, v[13:14], off
	s_waitcnt vmcnt(1)
	v_cmp_ne_u16_e32 vcc_lo, 0, v33
	s_waitcnt vmcnt(0)
	v_cmp_ne_u16_e64 s0, 0, v34
	s_delay_alu instid0(VALU_DEP_1) | instskip(NEXT) | instid1(SALU_CYCLE_1)
	s_xor_b32 s0, vcc_lo, s0
	s_xor_b32 s0, s0, -1
	s_delay_alu instid0(SALU_CYCLE_1)
	s_and_saveexec_b32 s24, s0
	s_cbranch_execz .LBB1049_490
; %bb.484:
	s_mov_b64 s[14:15], 1
	s_mov_b32 s25, 0
                                        ; implicit-def: $sgpr27
	s_set_inst_prefetch_distance 0x1
	s_branch .LBB1049_487
	.p2align	6
.LBB1049_485:                           ;   in Loop: Header=BB1049_487 Depth=1
	v_add_co_u32 v33, vcc_lo, v5, s14
	v_add_co_ci_u32_e32 v34, vcc_lo, s15, v6, vcc_lo
	v_add_co_u32 v73, vcc_lo, v13, s14
	v_add_co_ci_u32_e32 v74, vcc_lo, s15, v14, vcc_lo
	s_clause 0x1
	global_load_u8 v33, v[33:34], off
	global_load_u8 v34, v[73:74], off
	s_waitcnt vmcnt(1)
	v_cmp_ne_u16_e32 vcc_lo, 0, v33
	s_waitcnt vmcnt(0)
	v_cmp_ne_u16_e64 s0, 0, v34
	s_delay_alu instid0(VALU_DEP_1) | instskip(SKIP_4) | instid1(SALU_CYCLE_1)
	s_xor_b32 s28, vcc_lo, s0
	s_add_u32 s0, s14, 1
	s_addc_u32 s1, s15, 0
	s_and_not1_b32 s27, s27, exec_lo
	s_and_b32 s28, s28, exec_lo
	s_or_b32 s27, s27, s28
.LBB1049_486:                           ;   in Loop: Header=BB1049_487 Depth=1
	v_dual_mov_b32 v34, s15 :: v_dual_mov_b32 v33, s14
	s_and_b32 s28, exec_lo, s27
	s_mov_b64 s[14:15], s[0:1]
	s_or_b32 s25, s28, s25
	s_delay_alu instid0(SALU_CYCLE_1)
	s_and_not1_b32 exec_lo, exec_lo, s25
	s_cbranch_execz .LBB1049_489
.LBB1049_487:                           ; =>This Inner Loop Header: Depth=1
	s_or_b32 s27, s27, exec_lo
	s_cmp_eq_u64 s[8:9], s[14:15]
	s_cbranch_scc0 .LBB1049_485
; %bb.488:                              ;   in Loop: Header=BB1049_487 Depth=1
	s_mov_b64 s[14:15], s[8:9]
                                        ; implicit-def: $sgpr0_sgpr1
	s_branch .LBB1049_486
.LBB1049_489:
	s_set_inst_prefetch_distance 0x2
	s_or_b32 exec_lo, exec_lo, s25
	v_cmp_gt_i64_e32 vcc_lo, s[8:9], v[33:34]
	s_mov_b32 s0, 0
	s_delay_alu instid0(SALU_CYCLE_1)
	v_mov_b32_e32 v132, s0
	v_cndmask_b32_e64 v131, 0, 1, vcc_lo
.LBB1049_490:
	s_or_b32 exec_lo, exec_lo, s24
.LBB1049_491:
	s_delay_alu instid0(SALU_CYCLE_1) | instskip(SKIP_1) | instid1(VALU_DEP_1)
	s_or_b32 exec_lo, exec_lo, s23
	v_add_nc_u32_e32 v5, 7, v53
	v_cmp_le_u32_e32 vcc_lo, s21, v5
	v_dual_cndmask_b32 v100, 0, v24 :: v_dual_cndmask_b32 v99, 0, v23
	s_or_b32 s0, vcc_lo, s22
	s_delay_alu instid0(SALU_CYCLE_1) | instskip(NEXT) | instid1(SALU_CYCLE_1)
	s_xor_b32 s0, s0, -1
	s_and_saveexec_b32 s23, s0
	s_cbranch_execz .LBB1049_500
; %bb.492:
	v_mad_u64_u32 v[5:6], null, v23, s8, s[10:11]
	s_waitcnt lgkmcnt(0)
	v_mul_lo_u32 v33, v23, s9
	v_mul_lo_u32 v34, v24, s8
	v_mad_u64_u32 v[13:14], null, v21, s8, s[10:11]
	v_mul_lo_u32 v54, v21, s9
	v_mul_lo_u32 v73, v22, s8
	v_mov_b32_e32 v99, 1
	v_mov_b32_e32 v100, 0
	s_mov_b32 s25, 0
	v_add3_u32 v6, v34, v6, v33
	s_delay_alu instid0(VALU_DEP_4)
	v_add3_u32 v14, v73, v14, v54
	s_clause 0x1
	global_load_u8 v33, v[5:6], off
	global_load_u8 v34, v[13:14], off
	s_waitcnt vmcnt(1)
	v_cmp_ne_u16_e32 vcc_lo, 0, v33
	s_waitcnt vmcnt(0)
	v_cmp_ne_u16_e64 s0, 0, v34
	s_delay_alu instid0(VALU_DEP_1) | instskip(NEXT) | instid1(SALU_CYCLE_1)
	s_xor_b32 s0, vcc_lo, s0
	s_xor_b32 s0, s0, -1
	s_delay_alu instid0(SALU_CYCLE_1)
	s_and_saveexec_b32 s24, s0
	s_cbranch_execz .LBB1049_499
; %bb.493:
	s_mov_b64 s[14:15], 1
                                        ; implicit-def: $sgpr27
	s_set_inst_prefetch_distance 0x1
	s_branch .LBB1049_496
	.p2align	6
.LBB1049_494:                           ;   in Loop: Header=BB1049_496 Depth=1
	v_add_co_u32 v33, vcc_lo, v5, s14
	v_add_co_ci_u32_e32 v34, vcc_lo, s15, v6, vcc_lo
	v_add_co_u32 v73, vcc_lo, v13, s14
	v_add_co_ci_u32_e32 v74, vcc_lo, s15, v14, vcc_lo
	s_clause 0x1
	global_load_u8 v33, v[33:34], off
	global_load_u8 v34, v[73:74], off
	s_waitcnt vmcnt(1)
	v_cmp_ne_u16_e32 vcc_lo, 0, v33
	s_waitcnt vmcnt(0)
	v_cmp_ne_u16_e64 s0, 0, v34
	s_delay_alu instid0(VALU_DEP_1) | instskip(SKIP_4) | instid1(SALU_CYCLE_1)
	s_xor_b32 s28, vcc_lo, s0
	s_add_u32 s0, s14, 1
	s_addc_u32 s1, s15, 0
	s_and_not1_b32 s27, s27, exec_lo
	s_and_b32 s28, s28, exec_lo
	s_or_b32 s27, s27, s28
.LBB1049_495:                           ;   in Loop: Header=BB1049_496 Depth=1
	v_dual_mov_b32 v34, s15 :: v_dual_mov_b32 v33, s14
	s_and_b32 s28, exec_lo, s27
	s_mov_b64 s[14:15], s[0:1]
	s_or_b32 s25, s28, s25
	s_delay_alu instid0(SALU_CYCLE_1)
	s_and_not1_b32 exec_lo, exec_lo, s25
	s_cbranch_execz .LBB1049_498
.LBB1049_496:                           ; =>This Inner Loop Header: Depth=1
	s_or_b32 s27, s27, exec_lo
	s_cmp_eq_u64 s[8:9], s[14:15]
	s_cbranch_scc0 .LBB1049_494
; %bb.497:                              ;   in Loop: Header=BB1049_496 Depth=1
	s_mov_b64 s[14:15], s[8:9]
                                        ; implicit-def: $sgpr0_sgpr1
	s_branch .LBB1049_495
.LBB1049_498:
	s_set_inst_prefetch_distance 0x2
	s_or_b32 exec_lo, exec_lo, s25
	v_cmp_gt_i64_e32 vcc_lo, s[8:9], v[33:34]
	s_mov_b32 s0, 0
	s_delay_alu instid0(SALU_CYCLE_1)
	v_mov_b32_e32 v100, s0
	v_cndmask_b32_e64 v99, 0, 1, vcc_lo
.LBB1049_499:
	s_or_b32 exec_lo, exec_lo, s24
.LBB1049_500:
	s_delay_alu instid0(SALU_CYCLE_1) | instskip(SKIP_1) | instid1(VALU_DEP_1)
	s_or_b32 exec_lo, exec_lo, s23
	v_add_nc_u32_e32 v5, 6, v53
	v_cmp_le_u32_e32 vcc_lo, s21, v5
	v_dual_cndmask_b32 v134, 0, v22 :: v_dual_cndmask_b32 v133, 0, v21
	s_or_b32 s0, vcc_lo, s22
	s_delay_alu instid0(SALU_CYCLE_1) | instskip(NEXT) | instid1(SALU_CYCLE_1)
	s_xor_b32 s0, s0, -1
	s_and_saveexec_b32 s23, s0
	s_cbranch_execz .LBB1049_509
; %bb.501:
	v_mad_u64_u32 v[5:6], null, v21, s8, s[10:11]
	s_waitcnt lgkmcnt(0)
	v_mul_lo_u32 v33, v21, s9
	v_mul_lo_u32 v34, v22, s8
	v_mad_u64_u32 v[13:14], null, v19, s8, s[10:11]
	v_mul_lo_u32 v54, v19, s9
	v_mul_lo_u32 v73, v20, s8
	v_mov_b32_e32 v133, 1
	v_mov_b32_e32 v134, 0
	v_add3_u32 v6, v34, v6, v33
	s_delay_alu instid0(VALU_DEP_4)
	v_add3_u32 v14, v73, v14, v54
	s_clause 0x1
	global_load_u8 v33, v[5:6], off
	global_load_u8 v34, v[13:14], off
	s_waitcnt vmcnt(1)
	v_cmp_ne_u16_e32 vcc_lo, 0, v33
	s_waitcnt vmcnt(0)
	v_cmp_ne_u16_e64 s0, 0, v34
	s_delay_alu instid0(VALU_DEP_1) | instskip(NEXT) | instid1(SALU_CYCLE_1)
	s_xor_b32 s0, vcc_lo, s0
	s_xor_b32 s0, s0, -1
	s_delay_alu instid0(SALU_CYCLE_1)
	s_and_saveexec_b32 s24, s0
	s_cbranch_execz .LBB1049_508
; %bb.502:
	s_mov_b64 s[14:15], 1
	s_mov_b32 s25, 0
                                        ; implicit-def: $sgpr27
	s_set_inst_prefetch_distance 0x1
	s_branch .LBB1049_505
	.p2align	6
.LBB1049_503:                           ;   in Loop: Header=BB1049_505 Depth=1
	v_add_co_u32 v33, vcc_lo, v5, s14
	v_add_co_ci_u32_e32 v34, vcc_lo, s15, v6, vcc_lo
	v_add_co_u32 v73, vcc_lo, v13, s14
	v_add_co_ci_u32_e32 v74, vcc_lo, s15, v14, vcc_lo
	s_clause 0x1
	global_load_u8 v33, v[33:34], off
	global_load_u8 v34, v[73:74], off
	s_waitcnt vmcnt(1)
	v_cmp_ne_u16_e32 vcc_lo, 0, v33
	s_waitcnt vmcnt(0)
	v_cmp_ne_u16_e64 s0, 0, v34
	s_delay_alu instid0(VALU_DEP_1) | instskip(SKIP_4) | instid1(SALU_CYCLE_1)
	s_xor_b32 s28, vcc_lo, s0
	s_add_u32 s0, s14, 1
	s_addc_u32 s1, s15, 0
	s_and_not1_b32 s27, s27, exec_lo
	s_and_b32 s28, s28, exec_lo
	s_or_b32 s27, s27, s28
.LBB1049_504:                           ;   in Loop: Header=BB1049_505 Depth=1
	v_dual_mov_b32 v34, s15 :: v_dual_mov_b32 v33, s14
	s_and_b32 s28, exec_lo, s27
	s_mov_b64 s[14:15], s[0:1]
	s_or_b32 s25, s28, s25
	s_delay_alu instid0(SALU_CYCLE_1)
	s_and_not1_b32 exec_lo, exec_lo, s25
	s_cbranch_execz .LBB1049_507
.LBB1049_505:                           ; =>This Inner Loop Header: Depth=1
	s_or_b32 s27, s27, exec_lo
	s_cmp_eq_u64 s[8:9], s[14:15]
	s_cbranch_scc0 .LBB1049_503
; %bb.506:                              ;   in Loop: Header=BB1049_505 Depth=1
	s_mov_b64 s[14:15], s[8:9]
                                        ; implicit-def: $sgpr0_sgpr1
	s_branch .LBB1049_504
.LBB1049_507:
	s_set_inst_prefetch_distance 0x2
	s_or_b32 exec_lo, exec_lo, s25
	v_cmp_gt_i64_e32 vcc_lo, s[8:9], v[33:34]
	s_mov_b32 s0, 0
	s_delay_alu instid0(SALU_CYCLE_1)
	v_mov_b32_e32 v134, s0
	v_cndmask_b32_e64 v133, 0, 1, vcc_lo
.LBB1049_508:
	s_or_b32 exec_lo, exec_lo, s24
.LBB1049_509:
	s_delay_alu instid0(SALU_CYCLE_1) | instskip(SKIP_1) | instid1(VALU_DEP_1)
	s_or_b32 exec_lo, exec_lo, s23
	v_add_nc_u32_e32 v5, 5, v53
	v_cmp_le_u32_e32 vcc_lo, s21, v5
	v_dual_cndmask_b32 v104, 0, v20 :: v_dual_cndmask_b32 v103, 0, v19
	s_or_b32 s0, vcc_lo, s22
	s_delay_alu instid0(SALU_CYCLE_1) | instskip(NEXT) | instid1(SALU_CYCLE_1)
	s_xor_b32 s0, s0, -1
	s_and_saveexec_b32 s23, s0
	s_cbranch_execz .LBB1049_518
; %bb.510:
	v_mad_u64_u32 v[5:6], null, v19, s8, s[10:11]
	s_waitcnt lgkmcnt(0)
	v_mul_lo_u32 v33, v19, s9
	v_mul_lo_u32 v34, v20, s8
	v_mad_u64_u32 v[13:14], null, v17, s8, s[10:11]
	v_mul_lo_u32 v54, v17, s9
	v_mul_lo_u32 v73, v18, s8
	v_mov_b32_e32 v103, 1
	v_mov_b32_e32 v104, 0
	s_mov_b32 s25, 0
	v_add3_u32 v6, v34, v6, v33
	s_delay_alu instid0(VALU_DEP_4)
	v_add3_u32 v14, v73, v14, v54
	s_clause 0x1
	global_load_u8 v33, v[5:6], off
	global_load_u8 v34, v[13:14], off
	s_waitcnt vmcnt(1)
	v_cmp_ne_u16_e32 vcc_lo, 0, v33
	s_waitcnt vmcnt(0)
	v_cmp_ne_u16_e64 s0, 0, v34
	s_delay_alu instid0(VALU_DEP_1) | instskip(NEXT) | instid1(SALU_CYCLE_1)
	s_xor_b32 s0, vcc_lo, s0
	s_xor_b32 s0, s0, -1
	s_delay_alu instid0(SALU_CYCLE_1)
	s_and_saveexec_b32 s24, s0
	s_cbranch_execz .LBB1049_517
; %bb.511:
	s_mov_b64 s[14:15], 1
                                        ; implicit-def: $sgpr27
	s_set_inst_prefetch_distance 0x1
	s_branch .LBB1049_514
	.p2align	6
.LBB1049_512:                           ;   in Loop: Header=BB1049_514 Depth=1
	v_add_co_u32 v33, vcc_lo, v5, s14
	v_add_co_ci_u32_e32 v34, vcc_lo, s15, v6, vcc_lo
	v_add_co_u32 v73, vcc_lo, v13, s14
	v_add_co_ci_u32_e32 v74, vcc_lo, s15, v14, vcc_lo
	s_clause 0x1
	global_load_u8 v33, v[33:34], off
	global_load_u8 v34, v[73:74], off
	s_waitcnt vmcnt(1)
	v_cmp_ne_u16_e32 vcc_lo, 0, v33
	s_waitcnt vmcnt(0)
	v_cmp_ne_u16_e64 s0, 0, v34
	s_delay_alu instid0(VALU_DEP_1) | instskip(SKIP_4) | instid1(SALU_CYCLE_1)
	s_xor_b32 s28, vcc_lo, s0
	s_add_u32 s0, s14, 1
	s_addc_u32 s1, s15, 0
	s_and_not1_b32 s27, s27, exec_lo
	s_and_b32 s28, s28, exec_lo
	s_or_b32 s27, s27, s28
.LBB1049_513:                           ;   in Loop: Header=BB1049_514 Depth=1
	v_dual_mov_b32 v34, s15 :: v_dual_mov_b32 v33, s14
	s_and_b32 s28, exec_lo, s27
	s_mov_b64 s[14:15], s[0:1]
	s_or_b32 s25, s28, s25
	s_delay_alu instid0(SALU_CYCLE_1)
	s_and_not1_b32 exec_lo, exec_lo, s25
	s_cbranch_execz .LBB1049_516
.LBB1049_514:                           ; =>This Inner Loop Header: Depth=1
	s_or_b32 s27, s27, exec_lo
	s_cmp_eq_u64 s[8:9], s[14:15]
	s_cbranch_scc0 .LBB1049_512
; %bb.515:                              ;   in Loop: Header=BB1049_514 Depth=1
	s_mov_b64 s[14:15], s[8:9]
                                        ; implicit-def: $sgpr0_sgpr1
	s_branch .LBB1049_513
.LBB1049_516:
	s_set_inst_prefetch_distance 0x2
	s_or_b32 exec_lo, exec_lo, s25
	v_cmp_gt_i64_e32 vcc_lo, s[8:9], v[33:34]
	s_mov_b32 s0, 0
	s_delay_alu instid0(SALU_CYCLE_1)
	v_mov_b32_e32 v104, s0
	v_cndmask_b32_e64 v103, 0, 1, vcc_lo
.LBB1049_517:
	s_or_b32 exec_lo, exec_lo, s24
.LBB1049_518:
	s_delay_alu instid0(SALU_CYCLE_1) | instskip(SKIP_1) | instid1(VALU_DEP_1)
	s_or_b32 exec_lo, exec_lo, s23
	v_add_nc_u32_e32 v5, 4, v53
	v_cmp_le_u32_e32 vcc_lo, s21, v5
	v_dual_cndmask_b32 v136, 0, v18 :: v_dual_cndmask_b32 v135, 0, v17
	s_or_b32 s0, vcc_lo, s22
	s_delay_alu instid0(SALU_CYCLE_1) | instskip(NEXT) | instid1(SALU_CYCLE_1)
	s_xor_b32 s0, s0, -1
	s_and_saveexec_b32 s23, s0
	s_cbranch_execz .LBB1049_527
; %bb.519:
	v_mad_u64_u32 v[5:6], null, v17, s8, s[10:11]
	s_waitcnt lgkmcnt(0)
	v_mul_lo_u32 v33, v17, s9
	v_mul_lo_u32 v34, v18, s8
	v_mad_u64_u32 v[13:14], null, v11, s8, s[10:11]
	v_mul_lo_u32 v54, v11, s9
	v_mul_lo_u32 v73, v12, s8
	v_mov_b32_e32 v135, 1
	v_mov_b32_e32 v136, 0
	v_add3_u32 v6, v34, v6, v33
	s_delay_alu instid0(VALU_DEP_4)
	v_add3_u32 v14, v73, v14, v54
	s_clause 0x1
	global_load_u8 v33, v[5:6], off
	global_load_u8 v34, v[13:14], off
	s_waitcnt vmcnt(1)
	v_cmp_ne_u16_e32 vcc_lo, 0, v33
	s_waitcnt vmcnt(0)
	v_cmp_ne_u16_e64 s0, 0, v34
	s_delay_alu instid0(VALU_DEP_1) | instskip(NEXT) | instid1(SALU_CYCLE_1)
	s_xor_b32 s0, vcc_lo, s0
	s_xor_b32 s0, s0, -1
	s_delay_alu instid0(SALU_CYCLE_1)
	s_and_saveexec_b32 s24, s0
	s_cbranch_execz .LBB1049_526
; %bb.520:
	s_mov_b64 s[14:15], 1
	s_mov_b32 s25, 0
                                        ; implicit-def: $sgpr27
	s_set_inst_prefetch_distance 0x1
	s_branch .LBB1049_523
	.p2align	6
.LBB1049_521:                           ;   in Loop: Header=BB1049_523 Depth=1
	v_add_co_u32 v33, vcc_lo, v5, s14
	v_add_co_ci_u32_e32 v34, vcc_lo, s15, v6, vcc_lo
	v_add_co_u32 v73, vcc_lo, v13, s14
	v_add_co_ci_u32_e32 v74, vcc_lo, s15, v14, vcc_lo
	s_clause 0x1
	global_load_u8 v33, v[33:34], off
	global_load_u8 v34, v[73:74], off
	s_waitcnt vmcnt(1)
	v_cmp_ne_u16_e32 vcc_lo, 0, v33
	s_waitcnt vmcnt(0)
	v_cmp_ne_u16_e64 s0, 0, v34
	s_delay_alu instid0(VALU_DEP_1) | instskip(SKIP_4) | instid1(SALU_CYCLE_1)
	s_xor_b32 s28, vcc_lo, s0
	s_add_u32 s0, s14, 1
	s_addc_u32 s1, s15, 0
	s_and_not1_b32 s27, s27, exec_lo
	s_and_b32 s28, s28, exec_lo
	s_or_b32 s27, s27, s28
.LBB1049_522:                           ;   in Loop: Header=BB1049_523 Depth=1
	v_dual_mov_b32 v34, s15 :: v_dual_mov_b32 v33, s14
	s_and_b32 s28, exec_lo, s27
	s_mov_b64 s[14:15], s[0:1]
	s_or_b32 s25, s28, s25
	s_delay_alu instid0(SALU_CYCLE_1)
	s_and_not1_b32 exec_lo, exec_lo, s25
	s_cbranch_execz .LBB1049_525
.LBB1049_523:                           ; =>This Inner Loop Header: Depth=1
	s_or_b32 s27, s27, exec_lo
	s_cmp_eq_u64 s[8:9], s[14:15]
	s_cbranch_scc0 .LBB1049_521
; %bb.524:                              ;   in Loop: Header=BB1049_523 Depth=1
	s_mov_b64 s[14:15], s[8:9]
                                        ; implicit-def: $sgpr0_sgpr1
	s_branch .LBB1049_522
.LBB1049_525:
	s_set_inst_prefetch_distance 0x2
	s_or_b32 exec_lo, exec_lo, s25
	v_cmp_gt_i64_e32 vcc_lo, s[8:9], v[33:34]
	s_mov_b32 s0, 0
	s_delay_alu instid0(SALU_CYCLE_1)
	v_mov_b32_e32 v136, s0
	v_cndmask_b32_e64 v135, 0, 1, vcc_lo
.LBB1049_526:
	s_or_b32 exec_lo, exec_lo, s24
.LBB1049_527:
	s_delay_alu instid0(SALU_CYCLE_1) | instskip(SKIP_1) | instid1(VALU_DEP_1)
	s_or_b32 exec_lo, exec_lo, s23
	v_add_nc_u32_e32 v5, 3, v53
	v_cmp_le_u32_e32 vcc_lo, s21, v5
	v_dual_cndmask_b32 v108, 0, v12 :: v_dual_cndmask_b32 v107, 0, v11
	s_or_b32 s0, vcc_lo, s22
	s_delay_alu instid0(SALU_CYCLE_1) | instskip(NEXT) | instid1(SALU_CYCLE_1)
	s_xor_b32 s0, s0, -1
	s_and_saveexec_b32 s23, s0
	s_cbranch_execz .LBB1049_536
; %bb.528:
	v_mad_u64_u32 v[5:6], null, v11, s8, s[10:11]
	s_waitcnt lgkmcnt(0)
	v_mul_lo_u32 v33, v11, s9
	v_mul_lo_u32 v34, v12, s8
	v_mad_u64_u32 v[13:14], null, v9, s8, s[10:11]
	v_mul_lo_u32 v54, v9, s9
	v_mul_lo_u32 v73, v10, s8
	v_mov_b32_e32 v107, 1
	v_mov_b32_e32 v108, 0
	s_mov_b32 s25, 0
	v_add3_u32 v6, v34, v6, v33
	s_delay_alu instid0(VALU_DEP_4)
	v_add3_u32 v14, v73, v14, v54
	s_clause 0x1
	global_load_u8 v33, v[5:6], off
	global_load_u8 v34, v[13:14], off
	s_waitcnt vmcnt(1)
	v_cmp_ne_u16_e32 vcc_lo, 0, v33
	s_waitcnt vmcnt(0)
	v_cmp_ne_u16_e64 s0, 0, v34
	s_delay_alu instid0(VALU_DEP_1) | instskip(NEXT) | instid1(SALU_CYCLE_1)
	s_xor_b32 s0, vcc_lo, s0
	s_xor_b32 s0, s0, -1
	s_delay_alu instid0(SALU_CYCLE_1)
	s_and_saveexec_b32 s24, s0
	s_cbranch_execz .LBB1049_535
; %bb.529:
	s_mov_b64 s[14:15], 1
                                        ; implicit-def: $sgpr27
	s_set_inst_prefetch_distance 0x1
	s_branch .LBB1049_532
	.p2align	6
.LBB1049_530:                           ;   in Loop: Header=BB1049_532 Depth=1
	v_add_co_u32 v33, vcc_lo, v5, s14
	v_add_co_ci_u32_e32 v34, vcc_lo, s15, v6, vcc_lo
	v_add_co_u32 v73, vcc_lo, v13, s14
	v_add_co_ci_u32_e32 v74, vcc_lo, s15, v14, vcc_lo
	s_clause 0x1
	global_load_u8 v33, v[33:34], off
	global_load_u8 v34, v[73:74], off
	s_waitcnt vmcnt(1)
	v_cmp_ne_u16_e32 vcc_lo, 0, v33
	s_waitcnt vmcnt(0)
	v_cmp_ne_u16_e64 s0, 0, v34
	s_delay_alu instid0(VALU_DEP_1) | instskip(SKIP_4) | instid1(SALU_CYCLE_1)
	s_xor_b32 s28, vcc_lo, s0
	s_add_u32 s0, s14, 1
	s_addc_u32 s1, s15, 0
	s_and_not1_b32 s27, s27, exec_lo
	s_and_b32 s28, s28, exec_lo
	s_or_b32 s27, s27, s28
.LBB1049_531:                           ;   in Loop: Header=BB1049_532 Depth=1
	v_dual_mov_b32 v34, s15 :: v_dual_mov_b32 v33, s14
	s_and_b32 s28, exec_lo, s27
	s_mov_b64 s[14:15], s[0:1]
	s_or_b32 s25, s28, s25
	s_delay_alu instid0(SALU_CYCLE_1)
	s_and_not1_b32 exec_lo, exec_lo, s25
	s_cbranch_execz .LBB1049_534
.LBB1049_532:                           ; =>This Inner Loop Header: Depth=1
	s_or_b32 s27, s27, exec_lo
	s_cmp_eq_u64 s[8:9], s[14:15]
	s_cbranch_scc0 .LBB1049_530
; %bb.533:                              ;   in Loop: Header=BB1049_532 Depth=1
	s_mov_b64 s[14:15], s[8:9]
                                        ; implicit-def: $sgpr0_sgpr1
	s_branch .LBB1049_531
.LBB1049_534:
	s_set_inst_prefetch_distance 0x2
	s_or_b32 exec_lo, exec_lo, s25
	v_cmp_gt_i64_e32 vcc_lo, s[8:9], v[33:34]
	s_mov_b32 s0, 0
	s_delay_alu instid0(SALU_CYCLE_1)
	v_mov_b32_e32 v108, s0
	v_cndmask_b32_e64 v107, 0, 1, vcc_lo
.LBB1049_535:
	s_or_b32 exec_lo, exec_lo, s24
.LBB1049_536:
	s_delay_alu instid0(SALU_CYCLE_1) | instskip(SKIP_1) | instid1(VALU_DEP_1)
	s_or_b32 exec_lo, exec_lo, s23
	v_add_nc_u32_e32 v5, 2, v53
	v_cmp_le_u32_e32 vcc_lo, s21, v5
	v_dual_cndmask_b32 v138, 0, v10 :: v_dual_cndmask_b32 v137, 0, v9
	s_or_b32 s0, vcc_lo, s22
	s_delay_alu instid0(SALU_CYCLE_1) | instskip(NEXT) | instid1(SALU_CYCLE_1)
	s_xor_b32 s0, s0, -1
	s_and_saveexec_b32 s23, s0
	s_cbranch_execz .LBB1049_545
; %bb.537:
	v_mad_u64_u32 v[5:6], null, v9, s8, s[10:11]
	s_waitcnt lgkmcnt(0)
	v_mul_lo_u32 v33, v9, s9
	v_mul_lo_u32 v34, v10, s8
	v_mad_u64_u32 v[13:14], null, v3, s8, s[10:11]
	v_mul_lo_u32 v54, v3, s9
	v_mul_lo_u32 v73, v4, s8
	v_mov_b32_e32 v137, 1
	v_mov_b32_e32 v138, 0
	v_add3_u32 v6, v34, v6, v33
	s_delay_alu instid0(VALU_DEP_4)
	v_add3_u32 v14, v73, v14, v54
	s_clause 0x1
	global_load_u8 v33, v[5:6], off
	global_load_u8 v34, v[13:14], off
	s_waitcnt vmcnt(1)
	v_cmp_ne_u16_e32 vcc_lo, 0, v33
	s_waitcnt vmcnt(0)
	v_cmp_ne_u16_e64 s0, 0, v34
	s_delay_alu instid0(VALU_DEP_1) | instskip(NEXT) | instid1(SALU_CYCLE_1)
	s_xor_b32 s0, vcc_lo, s0
	s_xor_b32 s0, s0, -1
	s_delay_alu instid0(SALU_CYCLE_1)
	s_and_saveexec_b32 s24, s0
	s_cbranch_execz .LBB1049_544
; %bb.538:
	s_mov_b64 s[14:15], 1
	s_mov_b32 s25, 0
                                        ; implicit-def: $sgpr27
	s_set_inst_prefetch_distance 0x1
	s_branch .LBB1049_541
	.p2align	6
.LBB1049_539:                           ;   in Loop: Header=BB1049_541 Depth=1
	v_add_co_u32 v33, vcc_lo, v5, s14
	v_add_co_ci_u32_e32 v34, vcc_lo, s15, v6, vcc_lo
	v_add_co_u32 v73, vcc_lo, v13, s14
	v_add_co_ci_u32_e32 v74, vcc_lo, s15, v14, vcc_lo
	s_clause 0x1
	global_load_u8 v33, v[33:34], off
	global_load_u8 v34, v[73:74], off
	s_waitcnt vmcnt(1)
	v_cmp_ne_u16_e32 vcc_lo, 0, v33
	s_waitcnt vmcnt(0)
	v_cmp_ne_u16_e64 s0, 0, v34
	s_delay_alu instid0(VALU_DEP_1) | instskip(SKIP_4) | instid1(SALU_CYCLE_1)
	s_xor_b32 s28, vcc_lo, s0
	s_add_u32 s0, s14, 1
	s_addc_u32 s1, s15, 0
	s_and_not1_b32 s27, s27, exec_lo
	s_and_b32 s28, s28, exec_lo
	s_or_b32 s27, s27, s28
.LBB1049_540:                           ;   in Loop: Header=BB1049_541 Depth=1
	v_dual_mov_b32 v34, s15 :: v_dual_mov_b32 v33, s14
	s_and_b32 s28, exec_lo, s27
	s_mov_b64 s[14:15], s[0:1]
	s_or_b32 s25, s28, s25
	s_delay_alu instid0(SALU_CYCLE_1)
	s_and_not1_b32 exec_lo, exec_lo, s25
	s_cbranch_execz .LBB1049_543
.LBB1049_541:                           ; =>This Inner Loop Header: Depth=1
	s_or_b32 s27, s27, exec_lo
	s_cmp_eq_u64 s[8:9], s[14:15]
	s_cbranch_scc0 .LBB1049_539
; %bb.542:                              ;   in Loop: Header=BB1049_541 Depth=1
	s_mov_b64 s[14:15], s[8:9]
                                        ; implicit-def: $sgpr0_sgpr1
	s_branch .LBB1049_540
.LBB1049_543:
	s_set_inst_prefetch_distance 0x2
	s_or_b32 exec_lo, exec_lo, s25
	v_cmp_gt_i64_e32 vcc_lo, s[8:9], v[33:34]
	s_mov_b32 s0, 0
	s_delay_alu instid0(SALU_CYCLE_1)
	v_mov_b32_e32 v138, s0
	v_cndmask_b32_e64 v137, 0, 1, vcc_lo
.LBB1049_544:
	s_or_b32 exec_lo, exec_lo, s24
.LBB1049_545:
	s_delay_alu instid0(SALU_CYCLE_1) | instskip(SKIP_1) | instid1(VALU_DEP_1)
	s_or_b32 exec_lo, exec_lo, s23
	v_add_nc_u32_e32 v5, 1, v53
	v_cmp_le_u32_e32 vcc_lo, s21, v5
	v_dual_cndmask_b32 v140, 0, v4 :: v_dual_cndmask_b32 v139, 0, v3
	s_or_b32 s0, vcc_lo, s22
	s_delay_alu instid0(SALU_CYCLE_1) | instskip(NEXT) | instid1(SALU_CYCLE_1)
	s_xor_b32 s0, s0, -1
	s_and_saveexec_b32 s22, s0
	s_cbranch_execz .LBB1049_554
; %bb.546:
	v_mad_u64_u32 v[5:6], null, v3, s8, s[10:11]
	s_waitcnt lgkmcnt(0)
	v_mul_lo_u32 v33, v3, s9
	v_mul_lo_u32 v34, v4, s8
	v_mad_u64_u32 v[13:14], null, v1, s8, s[10:11]
	v_mul_lo_u32 v54, v1, s9
	v_mul_lo_u32 v73, v2, s8
	v_mov_b32_e32 v139, 1
	v_mov_b32_e32 v140, 0
	s_mov_b32 s24, 0
	v_add3_u32 v6, v34, v6, v33
	s_delay_alu instid0(VALU_DEP_4)
	v_add3_u32 v14, v73, v14, v54
	s_clause 0x1
	global_load_u8 v33, v[5:6], off
	global_load_u8 v34, v[13:14], off
	s_waitcnt vmcnt(1)
	v_cmp_ne_u16_e32 vcc_lo, 0, v33
	s_waitcnt vmcnt(0)
	v_cmp_ne_u16_e64 s0, 0, v34
	s_delay_alu instid0(VALU_DEP_1) | instskip(NEXT) | instid1(SALU_CYCLE_1)
	s_xor_b32 s0, vcc_lo, s0
	s_xor_b32 s0, s0, -1
	s_delay_alu instid0(SALU_CYCLE_1)
	s_and_saveexec_b32 s23, s0
	s_cbranch_execz .LBB1049_553
; %bb.547:
	s_mov_b64 s[14:15], 1
                                        ; implicit-def: $sgpr25
	s_set_inst_prefetch_distance 0x1
	s_branch .LBB1049_550
	.p2align	6
.LBB1049_548:                           ;   in Loop: Header=BB1049_550 Depth=1
	v_add_co_u32 v33, vcc_lo, v5, s14
	v_add_co_ci_u32_e32 v34, vcc_lo, s15, v6, vcc_lo
	v_add_co_u32 v73, vcc_lo, v13, s14
	v_add_co_ci_u32_e32 v74, vcc_lo, s15, v14, vcc_lo
	s_clause 0x1
	global_load_u8 v33, v[33:34], off
	global_load_u8 v34, v[73:74], off
	s_waitcnt vmcnt(1)
	v_cmp_ne_u16_e32 vcc_lo, 0, v33
	s_waitcnt vmcnt(0)
	v_cmp_ne_u16_e64 s0, 0, v34
	s_delay_alu instid0(VALU_DEP_1) | instskip(SKIP_4) | instid1(SALU_CYCLE_1)
	s_xor_b32 s27, vcc_lo, s0
	s_add_u32 s0, s14, 1
	s_addc_u32 s1, s15, 0
	s_and_not1_b32 s25, s25, exec_lo
	s_and_b32 s27, s27, exec_lo
	s_or_b32 s25, s25, s27
.LBB1049_549:                           ;   in Loop: Header=BB1049_550 Depth=1
	v_dual_mov_b32 v34, s15 :: v_dual_mov_b32 v33, s14
	s_and_b32 s27, exec_lo, s25
	s_mov_b64 s[14:15], s[0:1]
	s_or_b32 s24, s27, s24
	s_delay_alu instid0(SALU_CYCLE_1)
	s_and_not1_b32 exec_lo, exec_lo, s24
	s_cbranch_execz .LBB1049_552
.LBB1049_550:                           ; =>This Inner Loop Header: Depth=1
	s_or_b32 s25, s25, exec_lo
	s_cmp_eq_u64 s[8:9], s[14:15]
	s_cbranch_scc0 .LBB1049_548
; %bb.551:                              ;   in Loop: Header=BB1049_550 Depth=1
	s_mov_b64 s[14:15], s[8:9]
                                        ; implicit-def: $sgpr0_sgpr1
	s_branch .LBB1049_549
.LBB1049_552:
	s_set_inst_prefetch_distance 0x2
	s_or_b32 exec_lo, exec_lo, s24
	v_cmp_gt_i64_e32 vcc_lo, s[8:9], v[33:34]
	s_mov_b32 s0, 0
	s_delay_alu instid0(SALU_CYCLE_1)
	v_mov_b32_e32 v140, s0
	v_cndmask_b32_e64 v139, 0, 1, vcc_lo
.LBB1049_553:
	s_or_b32 exec_lo, exec_lo, s23
.LBB1049_554:
	s_delay_alu instid0(SALU_CYCLE_1)
	s_or_b32 exec_lo, exec_lo, s22
	s_waitcnt lgkmcnt(0)
	v_dual_mov_b32 v5, s12 :: v_dual_mov_b32 v6, s13
	s_mov_b32 s0, exec_lo
	s_barrier
	buffer_gl0_inv
	v_cmpx_ne_u32_e32 0, v0
	s_cbranch_execz .LBB1049_556
; %bb.555:
	v_add_nc_u32_e32 v5, -8, v141
	ds_load_b64 v[5:6], v5
.LBB1049_556:
	s_or_b32 exec_lo, exec_lo, s0
	s_delay_alu instid0(SALU_CYCLE_1)
	s_mov_b32 s14, exec_lo
                                        ; implicit-def: $sgpr0
	v_cmpx_gt_u32_e64 s21, v53
	s_cbranch_execz .LBB1049_567
; %bb.557:
	s_and_not1_b32 vcc_lo, exec_lo, s20
	s_mov_b32 s0, 0
	s_cbranch_vccnz .LBB1049_566
; %bb.558:
	v_mad_u64_u32 v[13:14], null, v1, s8, s[10:11]
	v_mul_lo_u32 v53, v1, s9
	v_mul_lo_u32 v54, v2, s8
	s_waitcnt lgkmcnt(0)
	v_mad_u64_u32 v[33:34], null, v5, s8, s[10:11]
	v_mul_lo_u32 v5, v5, s9
	v_mul_lo_u32 v6, v6, s8
	s_mov_b32 s20, 0
	s_delay_alu instid0(VALU_DEP_4) | instskip(NEXT) | instid1(VALU_DEP_2)
	v_add3_u32 v14, v54, v14, v53
	v_add3_u32 v34, v6, v34, v5
	s_clause 0x1
	global_load_u8 v5, v[13:14], off
	global_load_u8 v6, v[33:34], off
	s_waitcnt vmcnt(1)
	v_cmp_ne_u16_e32 vcc_lo, 0, v5
	s_waitcnt vmcnt(0)
	v_cmp_ne_u16_e64 s0, 0, v6
	s_delay_alu instid0(VALU_DEP_1) | instskip(SKIP_2) | instid1(SALU_CYCLE_1)
	s_xor_b32 s1, vcc_lo, s0
	s_mov_b32 s0, -1
	s_xor_b32 s1, s1, -1
	s_and_saveexec_b32 s15, s1
	s_cbranch_execz .LBB1049_565
; %bb.559:
	s_mov_b64 s[12:13], 1
                                        ; implicit-def: $sgpr21
	s_set_inst_prefetch_distance 0x1
	s_branch .LBB1049_562
	.p2align	6
.LBB1049_560:                           ;   in Loop: Header=BB1049_562 Depth=1
	v_add_co_u32 v5, vcc_lo, v13, s12
	v_add_co_ci_u32_e32 v6, vcc_lo, s13, v14, vcc_lo
	v_add_co_u32 v53, vcc_lo, v33, s12
	v_add_co_ci_u32_e32 v54, vcc_lo, s13, v34, vcc_lo
	s_clause 0x1
	global_load_u8 v5, v[5:6], off
	global_load_u8 v6, v[53:54], off
	s_waitcnt vmcnt(1)
	v_cmp_ne_u16_e32 vcc_lo, 0, v5
	s_waitcnt vmcnt(0)
	v_cmp_ne_u16_e64 s0, 0, v6
	s_delay_alu instid0(VALU_DEP_1) | instskip(SKIP_4) | instid1(SALU_CYCLE_1)
	s_xor_b32 s22, vcc_lo, s0
	s_add_u32 s0, s12, 1
	s_addc_u32 s1, s13, 0
	s_and_not1_b32 s21, s21, exec_lo
	s_and_b32 s22, s22, exec_lo
	s_or_b32 s21, s21, s22
.LBB1049_561:                           ;   in Loop: Header=BB1049_562 Depth=1
	v_dual_mov_b32 v5, s12 :: v_dual_mov_b32 v6, s13
	s_and_b32 s22, exec_lo, s21
	s_mov_b64 s[12:13], s[0:1]
	s_or_b32 s20, s22, s20
	s_delay_alu instid0(SALU_CYCLE_1)
	s_and_not1_b32 exec_lo, exec_lo, s20
	s_cbranch_execz .LBB1049_564
.LBB1049_562:                           ; =>This Inner Loop Header: Depth=1
	s_or_b32 s21, s21, exec_lo
	s_cmp_eq_u64 s[8:9], s[12:13]
	s_cbranch_scc0 .LBB1049_560
; %bb.563:                              ;   in Loop: Header=BB1049_562 Depth=1
	s_mov_b64 s[12:13], s[8:9]
                                        ; implicit-def: $sgpr0_sgpr1
	s_branch .LBB1049_561
.LBB1049_564:
	s_set_inst_prefetch_distance 0x2
	s_or_b32 exec_lo, exec_lo, s20
	v_cmp_gt_i64_e32 vcc_lo, s[8:9], v[5:6]
	s_or_not1_b32 s0, vcc_lo, exec_lo
.LBB1049_565:
	s_or_b32 exec_lo, exec_lo, s15
.LBB1049_566:
	s_delay_alu instid0(SALU_CYCLE_1)
	s_and_b32 s0, s0, exec_lo
	s_or_b32 s3, s3, exec_lo
.LBB1049_567:
	s_or_b32 exec_lo, exec_lo, s14
.LBB1049_568:
	s_branch .LBB1049_1072
.LBB1049_569:
	s_cmp_lg_u64 s[18:19], 1
	s_cbranch_scc0 .LBB1049_577
; %bb.570:
	v_mov_b32_e32 v7, 0
	v_mov_b32_e32 v8, 0
	v_cmp_lt_i64_e64 s0, s[8:9], 1
	v_cmp_gt_i64_e64 s14, s[8:9], 0
	ds_store_b64 v141, v[119:120]
	v_dual_mov_b32 v110, v8 :: v_dual_mov_b32 v109, v7
	s_and_b32 vcc_lo, exec_lo, s0
	s_cbranch_vccnz .LBB1049_587
; %bb.571:
	v_mad_u64_u32 v[7:8], null, v119, s8, s[10:11]
	v_mul_lo_u32 v13, v119, s9
	v_mul_lo_u32 v14, v120, s8
	s_waitcnt lgkmcnt(0)
	v_mad_u64_u32 v[5:6], null, v71, s8, s[10:11]
	v_mul_lo_u32 v15, v71, s9
	v_mul_lo_u32 v16, v72, s8
	v_mov_b32_e32 v109, 1
	v_mov_b32_e32 v110, 0
	s_mov_b32 s18, 0
	v_add3_u32 v8, v14, v8, v13
	s_delay_alu instid0(VALU_DEP_4)
	v_add3_u32 v6, v16, v6, v15
	s_clause 0x1
	global_load_u8 v13, v[7:8], off
	global_load_u8 v14, v[5:6], off
	s_waitcnt vmcnt(1)
	v_cmp_ne_u16_e64 s0, 0, v13
	s_waitcnt vmcnt(0)
	v_cmp_ne_u16_e32 vcc_lo, 0, v14
	s_delay_alu instid0(VALU_DEP_2) | instskip(NEXT) | instid1(SALU_CYCLE_1)
	s_xor_b32 s0, s0, vcc_lo
	s_xor_b32 s0, s0, -1
	s_delay_alu instid0(SALU_CYCLE_1)
	s_and_saveexec_b32 s15, s0
	s_cbranch_execz .LBB1049_579
; %bb.572:
	s_mov_b64 s[12:13], 1
                                        ; implicit-def: $sgpr19
	s_set_inst_prefetch_distance 0x1
	s_branch .LBB1049_575
	.p2align	6
.LBB1049_573:                           ;   in Loop: Header=BB1049_575 Depth=1
	v_add_co_u32 v13, s0, v7, s12
	s_delay_alu instid0(VALU_DEP_1) | instskip(SKIP_1) | instid1(VALU_DEP_1)
	v_add_co_ci_u32_e64 v14, s0, s13, v8, s0
	v_add_co_u32 v15, s0, v5, s12
	v_add_co_ci_u32_e64 v16, s0, s13, v6, s0
	s_clause 0x1
	global_load_u8 v13, v[13:14], off
	global_load_u8 v14, v[15:16], off
	s_waitcnt vmcnt(1)
	v_cmp_ne_u16_e64 s0, 0, v13
	s_waitcnt vmcnt(0)
	v_cmp_ne_u16_e64 s1, 0, v14
	s_delay_alu instid0(VALU_DEP_1) | instskip(SKIP_4) | instid1(SALU_CYCLE_1)
	s_xor_b32 s20, s0, s1
	s_add_u32 s0, s12, 1
	s_addc_u32 s1, s13, 0
	s_and_not1_b32 s19, s19, exec_lo
	s_and_b32 s20, s20, exec_lo
	s_or_b32 s19, s19, s20
.LBB1049_574:                           ;   in Loop: Header=BB1049_575 Depth=1
	v_dual_mov_b32 v14, s13 :: v_dual_mov_b32 v13, s12
	s_and_b32 s20, exec_lo, s19
	s_mov_b64 s[12:13], s[0:1]
	s_or_b32 s18, s20, s18
	s_delay_alu instid0(SALU_CYCLE_1)
	s_and_not1_b32 exec_lo, exec_lo, s18
	s_cbranch_execz .LBB1049_578
.LBB1049_575:                           ; =>This Inner Loop Header: Depth=1
	s_or_b32 s19, s19, exec_lo
	s_cmp_eq_u64 s[8:9], s[12:13]
	s_cbranch_scc0 .LBB1049_573
; %bb.576:                              ;   in Loop: Header=BB1049_575 Depth=1
	s_mov_b64 s[12:13], s[8:9]
                                        ; implicit-def: $sgpr0_sgpr1
	s_branch .LBB1049_574
.LBB1049_577:
                                        ; implicit-def: $sgpr0
                                        ; implicit-def: $vgpr139_vgpr140
                                        ; implicit-def: $vgpr137_vgpr138
                                        ; implicit-def: $vgpr135_vgpr136
                                        ; implicit-def: $vgpr133_vgpr134
                                        ; implicit-def: $vgpr131_vgpr132
                                        ; implicit-def: $vgpr129_vgpr130
                                        ; implicit-def: $vgpr127_vgpr128
                                        ; implicit-def: $vgpr125_vgpr126
                                        ; implicit-def: $vgpr123_vgpr124
                                        ; implicit-def: $vgpr121_vgpr122
                                        ; implicit-def: $vgpr117_vgpr118
                                        ; implicit-def: $vgpr115_vgpr116
                                        ; implicit-def: $vgpr113_vgpr114
                                        ; implicit-def: $vgpr111_vgpr112
                                        ; implicit-def: $vgpr109_vgpr110
                                        ; implicit-def: $vgpr5_vgpr6_vgpr7_vgpr8
                                        ; implicit-def: $vgpr13_vgpr14_vgpr15_vgpr16
                                        ; implicit-def: $vgpr33_vgpr34_vgpr35_vgpr36
                                        ; implicit-def: $vgpr53_vgpr54_vgpr55_vgpr56
                                        ; implicit-def: $vgpr73_vgpr74_vgpr75_vgpr76
                                        ; implicit-def: $vgpr77_vgpr78_vgpr79_vgpr80
                                        ; implicit-def: $vgpr81_vgpr82_vgpr83_vgpr84
                                        ; implicit-def: $vgpr85_vgpr86_vgpr87_vgpr88
                                        ; implicit-def: $vgpr89_vgpr90_vgpr91_vgpr92
                                        ; implicit-def: $vgpr93_vgpr94_vgpr95_vgpr96
                                        ; implicit-def: $vgpr97_vgpr98_vgpr99_vgpr100
                                        ; implicit-def: $vgpr101_vgpr102_vgpr103_vgpr104
                                        ; implicit-def: $vgpr105_vgpr106_vgpr107_vgpr108
	s_cbranch_execnz .LBB1049_808
	s_branch .LBB1049_1072
.LBB1049_578:
	s_set_inst_prefetch_distance 0x2
	s_or_b32 exec_lo, exec_lo, s18
	v_cmp_gt_i64_e64 s0, s[8:9], v[13:14]
	s_mov_b32 s1, 0
	s_delay_alu instid0(SALU_CYCLE_1) | instskip(NEXT) | instid1(VALU_DEP_2)
	v_mov_b32_e32 v110, s1
	v_cndmask_b32_e64 v109, 0, 1, s0
.LBB1049_579:
	s_or_b32 exec_lo, exec_lo, s15
	v_mad_u64_u32 v[13:14], null, v69, s8, s[10:11]
	v_mul_lo_u32 v7, v69, s9
	v_mul_lo_u32 v8, v70, s8
	s_mov_b32 s18, 0
	s_delay_alu instid0(VALU_DEP_1)
	v_add3_u32 v14, v8, v14, v7
	global_load_u8 v7, v[13:14], off
	s_waitcnt vmcnt(0)
	v_cmp_ne_u16_e64 s0, 0, v7
	v_mov_b32_e32 v7, 1
	v_mov_b32_e32 v8, 0
	s_delay_alu instid0(VALU_DEP_3) | instskip(NEXT) | instid1(SALU_CYCLE_1)
	s_xor_b32 s0, vcc_lo, s0
	s_xor_b32 s0, s0, -1
	s_delay_alu instid0(SALU_CYCLE_1)
	s_and_saveexec_b32 s15, s0
	s_cbranch_execz .LBB1049_586
; %bb.580:
	s_mov_b64 s[12:13], 1
                                        ; implicit-def: $sgpr19
	s_set_inst_prefetch_distance 0x1
	s_branch .LBB1049_583
	.p2align	6
.LBB1049_581:                           ;   in Loop: Header=BB1049_583 Depth=1
	v_add_co_u32 v7, vcc_lo, v5, s12
	v_add_co_ci_u32_e32 v8, vcc_lo, s13, v6, vcc_lo
	v_add_co_u32 v15, vcc_lo, v13, s12
	v_add_co_ci_u32_e32 v16, vcc_lo, s13, v14, vcc_lo
	s_clause 0x1
	global_load_u8 v7, v[7:8], off
	global_load_u8 v8, v[15:16], off
	s_waitcnt vmcnt(1)
	v_cmp_ne_u16_e32 vcc_lo, 0, v7
	s_waitcnt vmcnt(0)
	v_cmp_ne_u16_e64 s0, 0, v8
	s_delay_alu instid0(VALU_DEP_1) | instskip(SKIP_4) | instid1(SALU_CYCLE_1)
	s_xor_b32 s20, vcc_lo, s0
	s_add_u32 s0, s12, 1
	s_addc_u32 s1, s13, 0
	s_and_not1_b32 s19, s19, exec_lo
	s_and_b32 s20, s20, exec_lo
	s_or_b32 s19, s19, s20
.LBB1049_582:                           ;   in Loop: Header=BB1049_583 Depth=1
	v_dual_mov_b32 v7, s12 :: v_dual_mov_b32 v8, s13
	s_and_b32 s20, exec_lo, s19
	s_mov_b64 s[12:13], s[0:1]
	s_or_b32 s18, s20, s18
	s_delay_alu instid0(SALU_CYCLE_1)
	s_and_not1_b32 exec_lo, exec_lo, s18
	s_cbranch_execz .LBB1049_585
.LBB1049_583:                           ; =>This Inner Loop Header: Depth=1
	s_or_b32 s19, s19, exec_lo
	s_cmp_eq_u64 s[8:9], s[12:13]
	s_cbranch_scc0 .LBB1049_581
; %bb.584:                              ;   in Loop: Header=BB1049_583 Depth=1
	s_mov_b64 s[12:13], s[8:9]
                                        ; implicit-def: $sgpr0_sgpr1
	s_branch .LBB1049_582
.LBB1049_585:
	s_set_inst_prefetch_distance 0x2
	s_or_b32 exec_lo, exec_lo, s18
	v_cmp_gt_i64_e32 vcc_lo, s[8:9], v[7:8]
	s_mov_b32 s0, 0
	s_delay_alu instid0(SALU_CYCLE_1)
	v_mov_b32_e32 v8, s0
	v_cndmask_b32_e64 v7, 0, 1, vcc_lo
.LBB1049_586:
	s_or_b32 exec_lo, exec_lo, s15
.LBB1049_587:
	v_mov_b32_e32 v15, 0
	v_mov_b32_e32 v16, 0
	v_cndmask_b32_e64 v53, 0, 1, s14
	s_and_not1_b32 vcc_lo, exec_lo, s14
	s_delay_alu instid0(VALU_DEP_2)
	v_dual_mov_b32 v112, v16 :: v_dual_mov_b32 v111, v15
	s_cbranch_vccnz .LBB1049_603
; %bb.588:
	v_mad_u64_u32 v[13:14], null, v69, s8, s[10:11]
	v_mul_lo_u32 v15, v69, s9
	v_mul_lo_u32 v16, v70, s8
	s_waitcnt lgkmcnt(0)
	v_mad_u64_u32 v[5:6], null, v67, s8, s[10:11]
	v_mul_lo_u32 v33, v67, s9
	v_mul_lo_u32 v34, v68, s8
	v_mov_b32_e32 v111, 1
	v_mov_b32_e32 v112, 0
	s_mov_b32 s15, 0
	v_add3_u32 v14, v16, v14, v15
	s_delay_alu instid0(VALU_DEP_4)
	v_add3_u32 v6, v34, v6, v33
	s_clause 0x1
	global_load_u8 v15, v[13:14], off
	global_load_u8 v16, v[5:6], off
	s_waitcnt vmcnt(1)
	v_cmp_ne_u16_e64 s0, 0, v15
	s_waitcnt vmcnt(0)
	v_cmp_ne_u16_e32 vcc_lo, 0, v16
	s_delay_alu instid0(VALU_DEP_2) | instskip(NEXT) | instid1(SALU_CYCLE_1)
	s_xor_b32 s0, s0, vcc_lo
	s_xor_b32 s0, s0, -1
	s_delay_alu instid0(SALU_CYCLE_1)
	s_and_saveexec_b32 s14, s0
	s_cbranch_execz .LBB1049_595
; %bb.589:
	s_mov_b64 s[12:13], 1
                                        ; implicit-def: $sgpr18
	s_set_inst_prefetch_distance 0x1
	s_branch .LBB1049_592
	.p2align	6
.LBB1049_590:                           ;   in Loop: Header=BB1049_592 Depth=1
	v_add_co_u32 v15, s0, v13, s12
	s_delay_alu instid0(VALU_DEP_1) | instskip(SKIP_1) | instid1(VALU_DEP_1)
	v_add_co_ci_u32_e64 v16, s0, s13, v14, s0
	v_add_co_u32 v33, s0, v5, s12
	v_add_co_ci_u32_e64 v34, s0, s13, v6, s0
	s_clause 0x1
	global_load_u8 v15, v[15:16], off
	global_load_u8 v16, v[33:34], off
	s_waitcnt vmcnt(1)
	v_cmp_ne_u16_e64 s0, 0, v15
	s_waitcnt vmcnt(0)
	v_cmp_ne_u16_e64 s1, 0, v16
	s_delay_alu instid0(VALU_DEP_1) | instskip(SKIP_4) | instid1(SALU_CYCLE_1)
	s_xor_b32 s19, s0, s1
	s_add_u32 s0, s12, 1
	s_addc_u32 s1, s13, 0
	s_and_not1_b32 s18, s18, exec_lo
	s_and_b32 s19, s19, exec_lo
	s_or_b32 s18, s18, s19
.LBB1049_591:                           ;   in Loop: Header=BB1049_592 Depth=1
	v_dual_mov_b32 v16, s13 :: v_dual_mov_b32 v15, s12
	s_and_b32 s19, exec_lo, s18
	s_mov_b64 s[12:13], s[0:1]
	s_or_b32 s15, s19, s15
	s_delay_alu instid0(SALU_CYCLE_1)
	s_and_not1_b32 exec_lo, exec_lo, s15
	s_cbranch_execz .LBB1049_594
.LBB1049_592:                           ; =>This Inner Loop Header: Depth=1
	s_or_b32 s18, s18, exec_lo
	s_cmp_eq_u64 s[8:9], s[12:13]
	s_cbranch_scc0 .LBB1049_590
; %bb.593:                              ;   in Loop: Header=BB1049_592 Depth=1
	s_mov_b64 s[12:13], s[8:9]
                                        ; implicit-def: $sgpr0_sgpr1
	s_branch .LBB1049_591
.LBB1049_594:
	s_set_inst_prefetch_distance 0x2
	s_or_b32 exec_lo, exec_lo, s15
	v_cmp_gt_i64_e64 s0, s[8:9], v[15:16]
	s_mov_b32 s1, 0
	s_delay_alu instid0(SALU_CYCLE_1) | instskip(NEXT) | instid1(VALU_DEP_2)
	v_mov_b32_e32 v112, s1
	v_cndmask_b32_e64 v111, 0, 1, s0
.LBB1049_595:
	s_or_b32 exec_lo, exec_lo, s14
	v_mad_u64_u32 v[13:14], null, v65, s8, s[10:11]
	v_mul_lo_u32 v15, v65, s9
	v_mul_lo_u32 v16, v66, s8
	s_mov_b32 s15, 0
	s_delay_alu instid0(VALU_DEP_1)
	v_add3_u32 v14, v16, v14, v15
	global_load_u8 v15, v[13:14], off
	s_waitcnt vmcnt(0)
	v_cmp_ne_u16_e64 s0, 0, v15
	v_mov_b32_e32 v15, 1
	v_mov_b32_e32 v16, 0
	s_delay_alu instid0(VALU_DEP_3) | instskip(NEXT) | instid1(SALU_CYCLE_1)
	s_xor_b32 s0, vcc_lo, s0
	s_xor_b32 s0, s0, -1
	s_delay_alu instid0(SALU_CYCLE_1)
	s_and_saveexec_b32 s14, s0
	s_cbranch_execz .LBB1049_602
; %bb.596:
	s_mov_b64 s[12:13], 1
                                        ; implicit-def: $sgpr18
	s_set_inst_prefetch_distance 0x1
	s_branch .LBB1049_599
	.p2align	6
.LBB1049_597:                           ;   in Loop: Header=BB1049_599 Depth=1
	v_add_co_u32 v15, vcc_lo, v5, s12
	v_add_co_ci_u32_e32 v16, vcc_lo, s13, v6, vcc_lo
	v_add_co_u32 v33, vcc_lo, v13, s12
	v_add_co_ci_u32_e32 v34, vcc_lo, s13, v14, vcc_lo
	s_clause 0x1
	global_load_u8 v15, v[15:16], off
	global_load_u8 v16, v[33:34], off
	s_waitcnt vmcnt(1)
	v_cmp_ne_u16_e32 vcc_lo, 0, v15
	s_waitcnt vmcnt(0)
	v_cmp_ne_u16_e64 s0, 0, v16
	s_delay_alu instid0(VALU_DEP_1) | instskip(SKIP_4) | instid1(SALU_CYCLE_1)
	s_xor_b32 s19, vcc_lo, s0
	s_add_u32 s0, s12, 1
	s_addc_u32 s1, s13, 0
	s_and_not1_b32 s18, s18, exec_lo
	s_and_b32 s19, s19, exec_lo
	s_or_b32 s18, s18, s19
.LBB1049_598:                           ;   in Loop: Header=BB1049_599 Depth=1
	v_dual_mov_b32 v16, s13 :: v_dual_mov_b32 v15, s12
	s_and_b32 s19, exec_lo, s18
	s_mov_b64 s[12:13], s[0:1]
	s_or_b32 s15, s19, s15
	s_delay_alu instid0(SALU_CYCLE_1)
	s_and_not1_b32 exec_lo, exec_lo, s15
	s_cbranch_execz .LBB1049_601
.LBB1049_599:                           ; =>This Inner Loop Header: Depth=1
	s_or_b32 s18, s18, exec_lo
	s_cmp_eq_u64 s[8:9], s[12:13]
	s_cbranch_scc0 .LBB1049_597
; %bb.600:                              ;   in Loop: Header=BB1049_599 Depth=1
	s_mov_b64 s[12:13], s[8:9]
                                        ; implicit-def: $sgpr0_sgpr1
	s_branch .LBB1049_598
.LBB1049_601:
	s_set_inst_prefetch_distance 0x2
	s_or_b32 exec_lo, exec_lo, s15
	v_cmp_gt_i64_e32 vcc_lo, s[8:9], v[15:16]
	s_mov_b32 s0, 0
	s_delay_alu instid0(SALU_CYCLE_1)
	v_mov_b32_e32 v16, s0
	v_cndmask_b32_e64 v15, 0, 1, vcc_lo
.LBB1049_602:
	s_or_b32 exec_lo, exec_lo, s14
.LBB1049_603:
	v_mov_b32_e32 v35, 0
	v_mov_b32_e32 v36, 0
	v_cmp_ne_u32_e32 vcc_lo, 1, v53
	s_delay_alu instid0(VALU_DEP_2)
	v_dual_mov_b32 v114, v36 :: v_dual_mov_b32 v113, v35
	s_cbranch_vccnz .LBB1049_619
; %bb.604:
	v_mad_u64_u32 v[13:14], null, v65, s8, s[10:11]
	s_waitcnt lgkmcnt(0)
	v_mul_lo_u32 v33, v65, s9
	v_mul_lo_u32 v34, v66, s8
	v_mad_u64_u32 v[5:6], null, v63, s8, s[10:11]
	v_mul_lo_u32 v35, v63, s9
	v_mul_lo_u32 v36, v64, s8
	v_mov_b32_e32 v113, 1
	v_mov_b32_e32 v114, 0
	s_mov_b32 s15, 0
	v_add3_u32 v14, v34, v14, v33
	s_delay_alu instid0(VALU_DEP_4)
	v_add3_u32 v6, v36, v6, v35
	s_clause 0x1
	global_load_u8 v33, v[13:14], off
	global_load_u8 v34, v[5:6], off
	s_waitcnt vmcnt(1)
	v_cmp_ne_u16_e64 s0, 0, v33
	s_waitcnt vmcnt(0)
	v_cmp_ne_u16_e32 vcc_lo, 0, v34
	s_delay_alu instid0(VALU_DEP_2) | instskip(NEXT) | instid1(SALU_CYCLE_1)
	s_xor_b32 s0, s0, vcc_lo
	s_xor_b32 s0, s0, -1
	s_delay_alu instid0(SALU_CYCLE_1)
	s_and_saveexec_b32 s14, s0
	s_cbranch_execz .LBB1049_611
; %bb.605:
	s_mov_b64 s[12:13], 1
                                        ; implicit-def: $sgpr18
	s_set_inst_prefetch_distance 0x1
	s_branch .LBB1049_608
	.p2align	6
.LBB1049_606:                           ;   in Loop: Header=BB1049_608 Depth=1
	v_add_co_u32 v33, s0, v13, s12
	s_delay_alu instid0(VALU_DEP_1) | instskip(SKIP_1) | instid1(VALU_DEP_1)
	v_add_co_ci_u32_e64 v34, s0, s13, v14, s0
	v_add_co_u32 v35, s0, v5, s12
	v_add_co_ci_u32_e64 v36, s0, s13, v6, s0
	s_clause 0x1
	global_load_u8 v33, v[33:34], off
	global_load_u8 v34, v[35:36], off
	s_waitcnt vmcnt(1)
	v_cmp_ne_u16_e64 s0, 0, v33
	s_waitcnt vmcnt(0)
	v_cmp_ne_u16_e64 s1, 0, v34
	s_delay_alu instid0(VALU_DEP_1) | instskip(SKIP_4) | instid1(SALU_CYCLE_1)
	s_xor_b32 s19, s0, s1
	s_add_u32 s0, s12, 1
	s_addc_u32 s1, s13, 0
	s_and_not1_b32 s18, s18, exec_lo
	s_and_b32 s19, s19, exec_lo
	s_or_b32 s18, s18, s19
.LBB1049_607:                           ;   in Loop: Header=BB1049_608 Depth=1
	v_dual_mov_b32 v34, s13 :: v_dual_mov_b32 v33, s12
	s_and_b32 s19, exec_lo, s18
	s_mov_b64 s[12:13], s[0:1]
	s_or_b32 s15, s19, s15
	s_delay_alu instid0(SALU_CYCLE_1)
	s_and_not1_b32 exec_lo, exec_lo, s15
	s_cbranch_execz .LBB1049_610
.LBB1049_608:                           ; =>This Inner Loop Header: Depth=1
	s_or_b32 s18, s18, exec_lo
	s_cmp_eq_u64 s[8:9], s[12:13]
	s_cbranch_scc0 .LBB1049_606
; %bb.609:                              ;   in Loop: Header=BB1049_608 Depth=1
	s_mov_b64 s[12:13], s[8:9]
                                        ; implicit-def: $sgpr0_sgpr1
	s_branch .LBB1049_607
.LBB1049_610:
	s_set_inst_prefetch_distance 0x2
	s_or_b32 exec_lo, exec_lo, s15
	v_cmp_gt_i64_e64 s0, s[8:9], v[33:34]
	s_mov_b32 s1, 0
	s_delay_alu instid0(SALU_CYCLE_1) | instskip(NEXT) | instid1(VALU_DEP_2)
	v_mov_b32_e32 v114, s1
	v_cndmask_b32_e64 v113, 0, 1, s0
.LBB1049_611:
	s_or_b32 exec_lo, exec_lo, s14
	v_mad_u64_u32 v[13:14], null, v61, s8, s[10:11]
	v_mul_lo_u32 v33, v61, s9
	v_mul_lo_u32 v34, v62, s8
	v_mov_b32_e32 v35, 1
	v_mov_b32_e32 v36, 0
	s_mov_b32 s15, 0
	s_delay_alu instid0(VALU_DEP_3) | instskip(SKIP_3) | instid1(VALU_DEP_1)
	v_add3_u32 v14, v34, v14, v33
	global_load_u8 v33, v[13:14], off
	s_waitcnt vmcnt(0)
	v_cmp_ne_u16_e64 s0, 0, v33
	s_xor_b32 s0, vcc_lo, s0
	s_delay_alu instid0(SALU_CYCLE_1) | instskip(NEXT) | instid1(SALU_CYCLE_1)
	s_xor_b32 s0, s0, -1
	s_and_saveexec_b32 s14, s0
	s_cbranch_execz .LBB1049_618
; %bb.612:
	s_mov_b64 s[12:13], 1
                                        ; implicit-def: $sgpr18
	s_set_inst_prefetch_distance 0x1
	s_branch .LBB1049_615
	.p2align	6
.LBB1049_613:                           ;   in Loop: Header=BB1049_615 Depth=1
	v_add_co_u32 v33, vcc_lo, v5, s12
	v_add_co_ci_u32_e32 v34, vcc_lo, s13, v6, vcc_lo
	v_add_co_u32 v35, vcc_lo, v13, s12
	v_add_co_ci_u32_e32 v36, vcc_lo, s13, v14, vcc_lo
	s_clause 0x1
	global_load_u8 v33, v[33:34], off
	global_load_u8 v34, v[35:36], off
	s_waitcnt vmcnt(1)
	v_cmp_ne_u16_e32 vcc_lo, 0, v33
	s_waitcnt vmcnt(0)
	v_cmp_ne_u16_e64 s0, 0, v34
	s_delay_alu instid0(VALU_DEP_1) | instskip(SKIP_4) | instid1(SALU_CYCLE_1)
	s_xor_b32 s19, vcc_lo, s0
	s_add_u32 s0, s12, 1
	s_addc_u32 s1, s13, 0
	s_and_not1_b32 s18, s18, exec_lo
	s_and_b32 s19, s19, exec_lo
	s_or_b32 s18, s18, s19
.LBB1049_614:                           ;   in Loop: Header=BB1049_615 Depth=1
	v_dual_mov_b32 v34, s13 :: v_dual_mov_b32 v33, s12
	s_and_b32 s19, exec_lo, s18
	s_mov_b64 s[12:13], s[0:1]
	s_or_b32 s15, s19, s15
	s_delay_alu instid0(SALU_CYCLE_1)
	s_and_not1_b32 exec_lo, exec_lo, s15
	s_cbranch_execz .LBB1049_617
.LBB1049_615:                           ; =>This Inner Loop Header: Depth=1
	s_or_b32 s18, s18, exec_lo
	s_cmp_eq_u64 s[8:9], s[12:13]
	s_cbranch_scc0 .LBB1049_613
; %bb.616:                              ;   in Loop: Header=BB1049_615 Depth=1
	s_mov_b64 s[12:13], s[8:9]
                                        ; implicit-def: $sgpr0_sgpr1
	s_branch .LBB1049_614
.LBB1049_617:
	s_set_inst_prefetch_distance 0x2
	s_or_b32 exec_lo, exec_lo, s15
	v_cmp_gt_i64_e32 vcc_lo, s[8:9], v[33:34]
	s_mov_b32 s0, 0
	s_delay_alu instid0(SALU_CYCLE_1)
	v_mov_b32_e32 v36, s0
	v_cndmask_b32_e64 v35, 0, 1, vcc_lo
.LBB1049_618:
	s_or_b32 exec_lo, exec_lo, s14
.LBB1049_619:
	v_mov_b32_e32 v55, 0
	v_mov_b32_e32 v56, 0
	v_cmp_ne_u32_e32 vcc_lo, 1, v53
	s_delay_alu instid0(VALU_DEP_2)
	v_dual_mov_b32 v116, v56 :: v_dual_mov_b32 v115, v55
	s_cbranch_vccnz .LBB1049_635
; %bb.620:
	v_mad_u64_u32 v[13:14], null, v61, s8, s[10:11]
	s_waitcnt lgkmcnt(0)
	v_mul_lo_u32 v33, v61, s9
	v_mul_lo_u32 v34, v62, s8
	v_mad_u64_u32 v[5:6], null, v59, s8, s[10:11]
	v_mul_lo_u32 v54, v59, s9
	v_mul_lo_u32 v55, v60, s8
	v_mov_b32_e32 v115, 1
	v_mov_b32_e32 v116, 0
	s_mov_b32 s15, 0
	v_add3_u32 v14, v34, v14, v33
	s_delay_alu instid0(VALU_DEP_4)
	v_add3_u32 v6, v55, v6, v54
	s_clause 0x1
	global_load_u8 v33, v[13:14], off
	global_load_u8 v34, v[5:6], off
	s_waitcnt vmcnt(1)
	v_cmp_ne_u16_e64 s0, 0, v33
	s_waitcnt vmcnt(0)
	v_cmp_ne_u16_e32 vcc_lo, 0, v34
	s_delay_alu instid0(VALU_DEP_2) | instskip(NEXT) | instid1(SALU_CYCLE_1)
	s_xor_b32 s0, s0, vcc_lo
	s_xor_b32 s0, s0, -1
	s_delay_alu instid0(SALU_CYCLE_1)
	s_and_saveexec_b32 s14, s0
	s_cbranch_execz .LBB1049_627
; %bb.621:
	s_mov_b64 s[12:13], 1
                                        ; implicit-def: $sgpr18
	s_set_inst_prefetch_distance 0x1
	s_branch .LBB1049_624
	.p2align	6
.LBB1049_622:                           ;   in Loop: Header=BB1049_624 Depth=1
	v_add_co_u32 v33, s0, v13, s12
	s_delay_alu instid0(VALU_DEP_1) | instskip(SKIP_1) | instid1(VALU_DEP_1)
	v_add_co_ci_u32_e64 v34, s0, s13, v14, s0
	v_add_co_u32 v54, s0, v5, s12
	v_add_co_ci_u32_e64 v55, s0, s13, v6, s0
	s_clause 0x1
	global_load_u8 v33, v[33:34], off
	global_load_u8 v34, v[54:55], off
	s_waitcnt vmcnt(1)
	v_cmp_ne_u16_e64 s0, 0, v33
	s_waitcnt vmcnt(0)
	v_cmp_ne_u16_e64 s1, 0, v34
	s_delay_alu instid0(VALU_DEP_1) | instskip(SKIP_4) | instid1(SALU_CYCLE_1)
	s_xor_b32 s19, s0, s1
	s_add_u32 s0, s12, 1
	s_addc_u32 s1, s13, 0
	s_and_not1_b32 s18, s18, exec_lo
	s_and_b32 s19, s19, exec_lo
	s_or_b32 s18, s18, s19
.LBB1049_623:                           ;   in Loop: Header=BB1049_624 Depth=1
	v_dual_mov_b32 v34, s13 :: v_dual_mov_b32 v33, s12
	s_and_b32 s19, exec_lo, s18
	s_mov_b64 s[12:13], s[0:1]
	s_or_b32 s15, s19, s15
	s_delay_alu instid0(SALU_CYCLE_1)
	s_and_not1_b32 exec_lo, exec_lo, s15
	s_cbranch_execz .LBB1049_626
.LBB1049_624:                           ; =>This Inner Loop Header: Depth=1
	s_or_b32 s18, s18, exec_lo
	s_cmp_eq_u64 s[8:9], s[12:13]
	s_cbranch_scc0 .LBB1049_622
; %bb.625:                              ;   in Loop: Header=BB1049_624 Depth=1
	s_mov_b64 s[12:13], s[8:9]
                                        ; implicit-def: $sgpr0_sgpr1
	s_branch .LBB1049_623
.LBB1049_626:
	s_set_inst_prefetch_distance 0x2
	s_or_b32 exec_lo, exec_lo, s15
	v_cmp_gt_i64_e64 s0, s[8:9], v[33:34]
	s_mov_b32 s1, 0
	s_delay_alu instid0(SALU_CYCLE_1) | instskip(NEXT) | instid1(VALU_DEP_2)
	v_mov_b32_e32 v116, s1
	v_cndmask_b32_e64 v115, 0, 1, s0
.LBB1049_627:
	s_or_b32 exec_lo, exec_lo, s14
	v_mad_u64_u32 v[13:14], null, v57, s8, s[10:11]
	v_mul_lo_u32 v33, v57, s9
	v_mul_lo_u32 v34, v58, s8
	v_mov_b32_e32 v55, 1
	v_mov_b32_e32 v56, 0
	s_mov_b32 s15, 0
	s_delay_alu instid0(VALU_DEP_3) | instskip(SKIP_3) | instid1(VALU_DEP_1)
	v_add3_u32 v14, v34, v14, v33
	global_load_u8 v33, v[13:14], off
	s_waitcnt vmcnt(0)
	v_cmp_ne_u16_e64 s0, 0, v33
	s_xor_b32 s0, vcc_lo, s0
	s_delay_alu instid0(SALU_CYCLE_1) | instskip(NEXT) | instid1(SALU_CYCLE_1)
	s_xor_b32 s0, s0, -1
	s_and_saveexec_b32 s14, s0
	s_cbranch_execz .LBB1049_634
; %bb.628:
	s_mov_b64 s[12:13], 1
                                        ; implicit-def: $sgpr18
	s_set_inst_prefetch_distance 0x1
	s_branch .LBB1049_631
	.p2align	6
.LBB1049_629:                           ;   in Loop: Header=BB1049_631 Depth=1
	v_add_co_u32 v33, vcc_lo, v5, s12
	v_add_co_ci_u32_e32 v34, vcc_lo, s13, v6, vcc_lo
	v_add_co_u32 v54, vcc_lo, v13, s12
	v_add_co_ci_u32_e32 v55, vcc_lo, s13, v14, vcc_lo
	s_clause 0x1
	global_load_u8 v33, v[33:34], off
	global_load_u8 v34, v[54:55], off
	s_waitcnt vmcnt(1)
	v_cmp_ne_u16_e32 vcc_lo, 0, v33
	s_waitcnt vmcnt(0)
	v_cmp_ne_u16_e64 s0, 0, v34
	s_delay_alu instid0(VALU_DEP_1) | instskip(SKIP_4) | instid1(SALU_CYCLE_1)
	s_xor_b32 s19, vcc_lo, s0
	s_add_u32 s0, s12, 1
	s_addc_u32 s1, s13, 0
	s_and_not1_b32 s18, s18, exec_lo
	s_and_b32 s19, s19, exec_lo
	s_or_b32 s18, s18, s19
.LBB1049_630:                           ;   in Loop: Header=BB1049_631 Depth=1
	v_dual_mov_b32 v34, s13 :: v_dual_mov_b32 v33, s12
	s_and_b32 s19, exec_lo, s18
	s_mov_b64 s[12:13], s[0:1]
	s_or_b32 s15, s19, s15
	s_delay_alu instid0(SALU_CYCLE_1)
	s_and_not1_b32 exec_lo, exec_lo, s15
	s_cbranch_execz .LBB1049_633
.LBB1049_631:                           ; =>This Inner Loop Header: Depth=1
	s_or_b32 s18, s18, exec_lo
	s_cmp_eq_u64 s[8:9], s[12:13]
	s_cbranch_scc0 .LBB1049_629
; %bb.632:                              ;   in Loop: Header=BB1049_631 Depth=1
	s_mov_b64 s[12:13], s[8:9]
                                        ; implicit-def: $sgpr0_sgpr1
	s_branch .LBB1049_630
.LBB1049_633:
	s_set_inst_prefetch_distance 0x2
	s_or_b32 exec_lo, exec_lo, s15
	v_cmp_gt_i64_e32 vcc_lo, s[8:9], v[33:34]
	s_mov_b32 s0, 0
	s_delay_alu instid0(SALU_CYCLE_1)
	v_mov_b32_e32 v56, s0
	v_cndmask_b32_e64 v55, 0, 1, vcc_lo
.LBB1049_634:
	s_or_b32 exec_lo, exec_lo, s14
.LBB1049_635:
	v_mov_b32_e32 v75, 0
	v_mov_b32_e32 v76, 0
	v_cmp_ne_u32_e32 vcc_lo, 1, v53
	s_delay_alu instid0(VALU_DEP_2)
	v_dual_mov_b32 v118, v76 :: v_dual_mov_b32 v117, v75
	s_cbranch_vccnz .LBB1049_651
; %bb.636:
	v_mad_u64_u32 v[13:14], null, v57, s8, s[10:11]
	s_waitcnt lgkmcnt(0)
	v_mul_lo_u32 v33, v57, s9
	v_mul_lo_u32 v34, v58, s8
	v_mad_u64_u32 v[5:6], null, v51, s8, s[10:11]
	v_mul_lo_u32 v54, v51, s9
	v_mul_lo_u32 v73, v52, s8
	v_mov_b32_e32 v117, 1
	v_mov_b32_e32 v118, 0
	s_mov_b32 s15, 0
	v_add3_u32 v14, v34, v14, v33
	s_delay_alu instid0(VALU_DEP_4)
	v_add3_u32 v6, v73, v6, v54
	s_clause 0x1
	global_load_u8 v33, v[13:14], off
	global_load_u8 v34, v[5:6], off
	s_waitcnt vmcnt(1)
	v_cmp_ne_u16_e64 s0, 0, v33
	s_waitcnt vmcnt(0)
	v_cmp_ne_u16_e32 vcc_lo, 0, v34
	s_delay_alu instid0(VALU_DEP_2) | instskip(NEXT) | instid1(SALU_CYCLE_1)
	s_xor_b32 s0, s0, vcc_lo
	s_xor_b32 s0, s0, -1
	s_delay_alu instid0(SALU_CYCLE_1)
	s_and_saveexec_b32 s14, s0
	s_cbranch_execz .LBB1049_643
; %bb.637:
	s_mov_b64 s[12:13], 1
                                        ; implicit-def: $sgpr18
	s_set_inst_prefetch_distance 0x1
	s_branch .LBB1049_640
	.p2align	6
.LBB1049_638:                           ;   in Loop: Header=BB1049_640 Depth=1
	v_add_co_u32 v33, s0, v13, s12
	s_delay_alu instid0(VALU_DEP_1) | instskip(SKIP_1) | instid1(VALU_DEP_1)
	v_add_co_ci_u32_e64 v34, s0, s13, v14, s0
	v_add_co_u32 v73, s0, v5, s12
	v_add_co_ci_u32_e64 v74, s0, s13, v6, s0
	s_clause 0x1
	global_load_u8 v33, v[33:34], off
	global_load_u8 v34, v[73:74], off
	s_waitcnt vmcnt(1)
	v_cmp_ne_u16_e64 s0, 0, v33
	s_waitcnt vmcnt(0)
	v_cmp_ne_u16_e64 s1, 0, v34
	s_delay_alu instid0(VALU_DEP_1) | instskip(SKIP_4) | instid1(SALU_CYCLE_1)
	s_xor_b32 s19, s0, s1
	s_add_u32 s0, s12, 1
	s_addc_u32 s1, s13, 0
	s_and_not1_b32 s18, s18, exec_lo
	s_and_b32 s19, s19, exec_lo
	s_or_b32 s18, s18, s19
.LBB1049_639:                           ;   in Loop: Header=BB1049_640 Depth=1
	v_dual_mov_b32 v34, s13 :: v_dual_mov_b32 v33, s12
	s_and_b32 s19, exec_lo, s18
	s_mov_b64 s[12:13], s[0:1]
	s_or_b32 s15, s19, s15
	s_delay_alu instid0(SALU_CYCLE_1)
	s_and_not1_b32 exec_lo, exec_lo, s15
	s_cbranch_execz .LBB1049_642
.LBB1049_640:                           ; =>This Inner Loop Header: Depth=1
	s_or_b32 s18, s18, exec_lo
	s_cmp_eq_u64 s[8:9], s[12:13]
	s_cbranch_scc0 .LBB1049_638
; %bb.641:                              ;   in Loop: Header=BB1049_640 Depth=1
	s_mov_b64 s[12:13], s[8:9]
                                        ; implicit-def: $sgpr0_sgpr1
	s_branch .LBB1049_639
.LBB1049_642:
	s_set_inst_prefetch_distance 0x2
	s_or_b32 exec_lo, exec_lo, s15
	v_cmp_gt_i64_e64 s0, s[8:9], v[33:34]
	s_mov_b32 s1, 0
	s_delay_alu instid0(SALU_CYCLE_1) | instskip(NEXT) | instid1(VALU_DEP_2)
	v_mov_b32_e32 v118, s1
	v_cndmask_b32_e64 v117, 0, 1, s0
.LBB1049_643:
	s_or_b32 exec_lo, exec_lo, s14
	v_mad_u64_u32 v[13:14], null, v49, s8, s[10:11]
	v_mul_lo_u32 v33, v49, s9
	v_mul_lo_u32 v34, v50, s8
	v_mov_b32_e32 v75, 1
	v_mov_b32_e32 v76, 0
	s_mov_b32 s15, 0
	s_delay_alu instid0(VALU_DEP_3) | instskip(SKIP_3) | instid1(VALU_DEP_1)
	v_add3_u32 v14, v34, v14, v33
	global_load_u8 v33, v[13:14], off
	s_waitcnt vmcnt(0)
	v_cmp_ne_u16_e64 s0, 0, v33
	s_xor_b32 s0, vcc_lo, s0
	s_delay_alu instid0(SALU_CYCLE_1) | instskip(NEXT) | instid1(SALU_CYCLE_1)
	s_xor_b32 s0, s0, -1
	s_and_saveexec_b32 s14, s0
	s_cbranch_execz .LBB1049_650
; %bb.644:
	s_mov_b64 s[12:13], 1
                                        ; implicit-def: $sgpr18
	s_set_inst_prefetch_distance 0x1
	s_branch .LBB1049_647
	.p2align	6
.LBB1049_645:                           ;   in Loop: Header=BB1049_647 Depth=1
	v_add_co_u32 v33, vcc_lo, v5, s12
	v_add_co_ci_u32_e32 v34, vcc_lo, s13, v6, vcc_lo
	v_add_co_u32 v73, vcc_lo, v13, s12
	v_add_co_ci_u32_e32 v74, vcc_lo, s13, v14, vcc_lo
	s_clause 0x1
	global_load_u8 v33, v[33:34], off
	global_load_u8 v34, v[73:74], off
	s_waitcnt vmcnt(1)
	v_cmp_ne_u16_e32 vcc_lo, 0, v33
	s_waitcnt vmcnt(0)
	v_cmp_ne_u16_e64 s0, 0, v34
	s_delay_alu instid0(VALU_DEP_1) | instskip(SKIP_4) | instid1(SALU_CYCLE_1)
	s_xor_b32 s19, vcc_lo, s0
	s_add_u32 s0, s12, 1
	s_addc_u32 s1, s13, 0
	s_and_not1_b32 s18, s18, exec_lo
	s_and_b32 s19, s19, exec_lo
	s_or_b32 s18, s18, s19
.LBB1049_646:                           ;   in Loop: Header=BB1049_647 Depth=1
	v_dual_mov_b32 v34, s13 :: v_dual_mov_b32 v33, s12
	s_and_b32 s19, exec_lo, s18
	s_mov_b64 s[12:13], s[0:1]
	s_or_b32 s15, s19, s15
	s_delay_alu instid0(SALU_CYCLE_1)
	s_and_not1_b32 exec_lo, exec_lo, s15
	s_cbranch_execz .LBB1049_649
.LBB1049_647:                           ; =>This Inner Loop Header: Depth=1
	s_or_b32 s18, s18, exec_lo
	s_cmp_eq_u64 s[8:9], s[12:13]
	s_cbranch_scc0 .LBB1049_645
; %bb.648:                              ;   in Loop: Header=BB1049_647 Depth=1
	s_mov_b64 s[12:13], s[8:9]
                                        ; implicit-def: $sgpr0_sgpr1
	s_branch .LBB1049_646
.LBB1049_649:
	s_set_inst_prefetch_distance 0x2
	s_or_b32 exec_lo, exec_lo, s15
	v_cmp_gt_i64_e32 vcc_lo, s[8:9], v[33:34]
	s_mov_b32 s0, 0
	s_delay_alu instid0(SALU_CYCLE_1)
	v_mov_b32_e32 v76, s0
	v_cndmask_b32_e64 v75, 0, 1, vcc_lo
.LBB1049_650:
	s_or_b32 exec_lo, exec_lo, s14
.LBB1049_651:
	v_mov_b32_e32 v79, 0
	v_mov_b32_e32 v80, 0
	v_cmp_ne_u32_e32 vcc_lo, 1, v53
	s_delay_alu instid0(VALU_DEP_2)
	v_dual_mov_b32 v122, v80 :: v_dual_mov_b32 v121, v79
	s_cbranch_vccnz .LBB1049_667
; %bb.652:
	v_mad_u64_u32 v[13:14], null, v49, s8, s[10:11]
	s_waitcnt lgkmcnt(0)
	v_mul_lo_u32 v33, v49, s9
	v_mul_lo_u32 v34, v50, s8
	v_mad_u64_u32 v[5:6], null, v47, s8, s[10:11]
	v_mul_lo_u32 v54, v47, s9
	v_mul_lo_u32 v73, v48, s8
	v_mov_b32_e32 v121, 1
	v_mov_b32_e32 v122, 0
	s_mov_b32 s15, 0
	v_add3_u32 v14, v34, v14, v33
	s_delay_alu instid0(VALU_DEP_4)
	v_add3_u32 v6, v73, v6, v54
	s_clause 0x1
	global_load_u8 v33, v[13:14], off
	global_load_u8 v34, v[5:6], off
	s_waitcnt vmcnt(1)
	v_cmp_ne_u16_e64 s0, 0, v33
	s_waitcnt vmcnt(0)
	v_cmp_ne_u16_e32 vcc_lo, 0, v34
	s_delay_alu instid0(VALU_DEP_2) | instskip(NEXT) | instid1(SALU_CYCLE_1)
	s_xor_b32 s0, s0, vcc_lo
	s_xor_b32 s0, s0, -1
	s_delay_alu instid0(SALU_CYCLE_1)
	s_and_saveexec_b32 s14, s0
	s_cbranch_execz .LBB1049_659
; %bb.653:
	s_mov_b64 s[12:13], 1
                                        ; implicit-def: $sgpr18
	s_set_inst_prefetch_distance 0x1
	s_branch .LBB1049_656
	.p2align	6
.LBB1049_654:                           ;   in Loop: Header=BB1049_656 Depth=1
	v_add_co_u32 v33, s0, v13, s12
	s_delay_alu instid0(VALU_DEP_1) | instskip(SKIP_1) | instid1(VALU_DEP_1)
	v_add_co_ci_u32_e64 v34, s0, s13, v14, s0
	v_add_co_u32 v73, s0, v5, s12
	v_add_co_ci_u32_e64 v74, s0, s13, v6, s0
	s_clause 0x1
	global_load_u8 v33, v[33:34], off
	global_load_u8 v34, v[73:74], off
	s_waitcnt vmcnt(1)
	v_cmp_ne_u16_e64 s0, 0, v33
	s_waitcnt vmcnt(0)
	v_cmp_ne_u16_e64 s1, 0, v34
	s_delay_alu instid0(VALU_DEP_1) | instskip(SKIP_4) | instid1(SALU_CYCLE_1)
	s_xor_b32 s19, s0, s1
	s_add_u32 s0, s12, 1
	s_addc_u32 s1, s13, 0
	s_and_not1_b32 s18, s18, exec_lo
	s_and_b32 s19, s19, exec_lo
	s_or_b32 s18, s18, s19
.LBB1049_655:                           ;   in Loop: Header=BB1049_656 Depth=1
	v_dual_mov_b32 v34, s13 :: v_dual_mov_b32 v33, s12
	s_and_b32 s19, exec_lo, s18
	s_mov_b64 s[12:13], s[0:1]
	s_or_b32 s15, s19, s15
	s_delay_alu instid0(SALU_CYCLE_1)
	s_and_not1_b32 exec_lo, exec_lo, s15
	s_cbranch_execz .LBB1049_658
.LBB1049_656:                           ; =>This Inner Loop Header: Depth=1
	s_or_b32 s18, s18, exec_lo
	s_cmp_eq_u64 s[8:9], s[12:13]
	s_cbranch_scc0 .LBB1049_654
; %bb.657:                              ;   in Loop: Header=BB1049_656 Depth=1
	s_mov_b64 s[12:13], s[8:9]
                                        ; implicit-def: $sgpr0_sgpr1
	s_branch .LBB1049_655
.LBB1049_658:
	s_set_inst_prefetch_distance 0x2
	s_or_b32 exec_lo, exec_lo, s15
	v_cmp_gt_i64_e64 s0, s[8:9], v[33:34]
	s_mov_b32 s1, 0
	s_delay_alu instid0(SALU_CYCLE_1) | instskip(NEXT) | instid1(VALU_DEP_2)
	v_mov_b32_e32 v122, s1
	v_cndmask_b32_e64 v121, 0, 1, s0
.LBB1049_659:
	s_or_b32 exec_lo, exec_lo, s14
	v_mad_u64_u32 v[13:14], null, v45, s8, s[10:11]
	v_mul_lo_u32 v33, v45, s9
	v_mul_lo_u32 v34, v46, s8
	v_mov_b32_e32 v79, 1
	v_mov_b32_e32 v80, 0
	s_mov_b32 s15, 0
	s_delay_alu instid0(VALU_DEP_3) | instskip(SKIP_3) | instid1(VALU_DEP_1)
	v_add3_u32 v14, v34, v14, v33
	global_load_u8 v33, v[13:14], off
	s_waitcnt vmcnt(0)
	v_cmp_ne_u16_e64 s0, 0, v33
	s_xor_b32 s0, vcc_lo, s0
	s_delay_alu instid0(SALU_CYCLE_1) | instskip(NEXT) | instid1(SALU_CYCLE_1)
	s_xor_b32 s0, s0, -1
	s_and_saveexec_b32 s14, s0
	s_cbranch_execz .LBB1049_666
; %bb.660:
	s_mov_b64 s[12:13], 1
                                        ; implicit-def: $sgpr18
	s_set_inst_prefetch_distance 0x1
	s_branch .LBB1049_663
	.p2align	6
.LBB1049_661:                           ;   in Loop: Header=BB1049_663 Depth=1
	v_add_co_u32 v33, vcc_lo, v5, s12
	v_add_co_ci_u32_e32 v34, vcc_lo, s13, v6, vcc_lo
	v_add_co_u32 v73, vcc_lo, v13, s12
	v_add_co_ci_u32_e32 v74, vcc_lo, s13, v14, vcc_lo
	s_clause 0x1
	global_load_u8 v33, v[33:34], off
	global_load_u8 v34, v[73:74], off
	s_waitcnt vmcnt(1)
	v_cmp_ne_u16_e32 vcc_lo, 0, v33
	s_waitcnt vmcnt(0)
	v_cmp_ne_u16_e64 s0, 0, v34
	s_delay_alu instid0(VALU_DEP_1) | instskip(SKIP_4) | instid1(SALU_CYCLE_1)
	s_xor_b32 s19, vcc_lo, s0
	s_add_u32 s0, s12, 1
	s_addc_u32 s1, s13, 0
	s_and_not1_b32 s18, s18, exec_lo
	s_and_b32 s19, s19, exec_lo
	s_or_b32 s18, s18, s19
.LBB1049_662:                           ;   in Loop: Header=BB1049_663 Depth=1
	v_dual_mov_b32 v34, s13 :: v_dual_mov_b32 v33, s12
	s_and_b32 s19, exec_lo, s18
	s_mov_b64 s[12:13], s[0:1]
	s_or_b32 s15, s19, s15
	s_delay_alu instid0(SALU_CYCLE_1)
	s_and_not1_b32 exec_lo, exec_lo, s15
	s_cbranch_execz .LBB1049_665
.LBB1049_663:                           ; =>This Inner Loop Header: Depth=1
	s_or_b32 s18, s18, exec_lo
	s_cmp_eq_u64 s[8:9], s[12:13]
	s_cbranch_scc0 .LBB1049_661
; %bb.664:                              ;   in Loop: Header=BB1049_663 Depth=1
	s_mov_b64 s[12:13], s[8:9]
                                        ; implicit-def: $sgpr0_sgpr1
	s_branch .LBB1049_662
.LBB1049_665:
	s_set_inst_prefetch_distance 0x2
	s_or_b32 exec_lo, exec_lo, s15
	v_cmp_gt_i64_e32 vcc_lo, s[8:9], v[33:34]
	s_mov_b32 s0, 0
	s_delay_alu instid0(SALU_CYCLE_1)
	v_mov_b32_e32 v80, s0
	v_cndmask_b32_e64 v79, 0, 1, vcc_lo
.LBB1049_666:
	s_or_b32 exec_lo, exec_lo, s14
.LBB1049_667:
	v_mov_b32_e32 v83, 0
	v_mov_b32_e32 v84, 0
	v_cmp_ne_u32_e32 vcc_lo, 1, v53
	s_delay_alu instid0(VALU_DEP_2)
	v_dual_mov_b32 v124, v84 :: v_dual_mov_b32 v123, v83
	s_cbranch_vccnz .LBB1049_683
; %bb.668:
	v_mad_u64_u32 v[13:14], null, v45, s8, s[10:11]
	s_waitcnt lgkmcnt(0)
	v_mul_lo_u32 v33, v45, s9
	v_mul_lo_u32 v34, v46, s8
	v_mad_u64_u32 v[5:6], null, v43, s8, s[10:11]
	v_mul_lo_u32 v54, v43, s9
	v_mul_lo_u32 v73, v44, s8
	v_mov_b32_e32 v123, 1
	v_mov_b32_e32 v124, 0
	s_mov_b32 s15, 0
	v_add3_u32 v14, v34, v14, v33
	s_delay_alu instid0(VALU_DEP_4)
	v_add3_u32 v6, v73, v6, v54
	s_clause 0x1
	global_load_u8 v33, v[13:14], off
	global_load_u8 v34, v[5:6], off
	s_waitcnt vmcnt(1)
	v_cmp_ne_u16_e64 s0, 0, v33
	s_waitcnt vmcnt(0)
	v_cmp_ne_u16_e32 vcc_lo, 0, v34
	s_delay_alu instid0(VALU_DEP_2) | instskip(NEXT) | instid1(SALU_CYCLE_1)
	s_xor_b32 s0, s0, vcc_lo
	s_xor_b32 s0, s0, -1
	s_delay_alu instid0(SALU_CYCLE_1)
	s_and_saveexec_b32 s14, s0
	s_cbranch_execz .LBB1049_675
; %bb.669:
	s_mov_b64 s[12:13], 1
                                        ; implicit-def: $sgpr18
	s_set_inst_prefetch_distance 0x1
	s_branch .LBB1049_672
	.p2align	6
.LBB1049_670:                           ;   in Loop: Header=BB1049_672 Depth=1
	v_add_co_u32 v33, s0, v13, s12
	s_delay_alu instid0(VALU_DEP_1) | instskip(SKIP_1) | instid1(VALU_DEP_1)
	v_add_co_ci_u32_e64 v34, s0, s13, v14, s0
	v_add_co_u32 v73, s0, v5, s12
	v_add_co_ci_u32_e64 v74, s0, s13, v6, s0
	s_clause 0x1
	global_load_u8 v33, v[33:34], off
	global_load_u8 v34, v[73:74], off
	s_waitcnt vmcnt(1)
	v_cmp_ne_u16_e64 s0, 0, v33
	s_waitcnt vmcnt(0)
	v_cmp_ne_u16_e64 s1, 0, v34
	s_delay_alu instid0(VALU_DEP_1) | instskip(SKIP_4) | instid1(SALU_CYCLE_1)
	s_xor_b32 s19, s0, s1
	s_add_u32 s0, s12, 1
	s_addc_u32 s1, s13, 0
	s_and_not1_b32 s18, s18, exec_lo
	s_and_b32 s19, s19, exec_lo
	s_or_b32 s18, s18, s19
.LBB1049_671:                           ;   in Loop: Header=BB1049_672 Depth=1
	v_dual_mov_b32 v34, s13 :: v_dual_mov_b32 v33, s12
	s_and_b32 s19, exec_lo, s18
	s_mov_b64 s[12:13], s[0:1]
	s_or_b32 s15, s19, s15
	s_delay_alu instid0(SALU_CYCLE_1)
	s_and_not1_b32 exec_lo, exec_lo, s15
	s_cbranch_execz .LBB1049_674
.LBB1049_672:                           ; =>This Inner Loop Header: Depth=1
	s_or_b32 s18, s18, exec_lo
	s_cmp_eq_u64 s[8:9], s[12:13]
	s_cbranch_scc0 .LBB1049_670
; %bb.673:                              ;   in Loop: Header=BB1049_672 Depth=1
	s_mov_b64 s[12:13], s[8:9]
                                        ; implicit-def: $sgpr0_sgpr1
	s_branch .LBB1049_671
.LBB1049_674:
	s_set_inst_prefetch_distance 0x2
	s_or_b32 exec_lo, exec_lo, s15
	v_cmp_gt_i64_e64 s0, s[8:9], v[33:34]
	s_mov_b32 s1, 0
	s_delay_alu instid0(SALU_CYCLE_1) | instskip(NEXT) | instid1(VALU_DEP_2)
	v_mov_b32_e32 v124, s1
	v_cndmask_b32_e64 v123, 0, 1, s0
.LBB1049_675:
	s_or_b32 exec_lo, exec_lo, s14
	v_mad_u64_u32 v[13:14], null, v41, s8, s[10:11]
	v_mul_lo_u32 v33, v41, s9
	v_mul_lo_u32 v34, v42, s8
	v_mov_b32_e32 v83, 1
	v_mov_b32_e32 v84, 0
	s_mov_b32 s15, 0
	s_delay_alu instid0(VALU_DEP_3) | instskip(SKIP_3) | instid1(VALU_DEP_1)
	v_add3_u32 v14, v34, v14, v33
	global_load_u8 v33, v[13:14], off
	s_waitcnt vmcnt(0)
	v_cmp_ne_u16_e64 s0, 0, v33
	s_xor_b32 s0, vcc_lo, s0
	s_delay_alu instid0(SALU_CYCLE_1) | instskip(NEXT) | instid1(SALU_CYCLE_1)
	s_xor_b32 s0, s0, -1
	s_and_saveexec_b32 s14, s0
	s_cbranch_execz .LBB1049_682
; %bb.676:
	s_mov_b64 s[12:13], 1
                                        ; implicit-def: $sgpr18
	s_set_inst_prefetch_distance 0x1
	s_branch .LBB1049_679
	.p2align	6
.LBB1049_677:                           ;   in Loop: Header=BB1049_679 Depth=1
	v_add_co_u32 v33, vcc_lo, v5, s12
	v_add_co_ci_u32_e32 v34, vcc_lo, s13, v6, vcc_lo
	v_add_co_u32 v73, vcc_lo, v13, s12
	v_add_co_ci_u32_e32 v74, vcc_lo, s13, v14, vcc_lo
	s_clause 0x1
	global_load_u8 v33, v[33:34], off
	global_load_u8 v34, v[73:74], off
	s_waitcnt vmcnt(1)
	v_cmp_ne_u16_e32 vcc_lo, 0, v33
	s_waitcnt vmcnt(0)
	v_cmp_ne_u16_e64 s0, 0, v34
	s_delay_alu instid0(VALU_DEP_1) | instskip(SKIP_4) | instid1(SALU_CYCLE_1)
	s_xor_b32 s19, vcc_lo, s0
	s_add_u32 s0, s12, 1
	s_addc_u32 s1, s13, 0
	s_and_not1_b32 s18, s18, exec_lo
	s_and_b32 s19, s19, exec_lo
	s_or_b32 s18, s18, s19
.LBB1049_678:                           ;   in Loop: Header=BB1049_679 Depth=1
	v_dual_mov_b32 v34, s13 :: v_dual_mov_b32 v33, s12
	s_and_b32 s19, exec_lo, s18
	s_mov_b64 s[12:13], s[0:1]
	s_or_b32 s15, s19, s15
	s_delay_alu instid0(SALU_CYCLE_1)
	s_and_not1_b32 exec_lo, exec_lo, s15
	s_cbranch_execz .LBB1049_681
.LBB1049_679:                           ; =>This Inner Loop Header: Depth=1
	s_or_b32 s18, s18, exec_lo
	s_cmp_eq_u64 s[8:9], s[12:13]
	s_cbranch_scc0 .LBB1049_677
; %bb.680:                              ;   in Loop: Header=BB1049_679 Depth=1
	s_mov_b64 s[12:13], s[8:9]
                                        ; implicit-def: $sgpr0_sgpr1
	s_branch .LBB1049_678
.LBB1049_681:
	s_set_inst_prefetch_distance 0x2
	s_or_b32 exec_lo, exec_lo, s15
	v_cmp_gt_i64_e32 vcc_lo, s[8:9], v[33:34]
	s_mov_b32 s0, 0
	s_delay_alu instid0(SALU_CYCLE_1)
	v_mov_b32_e32 v84, s0
	v_cndmask_b32_e64 v83, 0, 1, vcc_lo
.LBB1049_682:
	s_or_b32 exec_lo, exec_lo, s14
.LBB1049_683:
	v_mov_b32_e32 v87, 0
	v_mov_b32_e32 v88, 0
	v_cmp_ne_u32_e32 vcc_lo, 1, v53
	s_delay_alu instid0(VALU_DEP_2)
	v_dual_mov_b32 v126, v88 :: v_dual_mov_b32 v125, v87
	s_cbranch_vccnz .LBB1049_699
; %bb.684:
	v_mad_u64_u32 v[13:14], null, v41, s8, s[10:11]
	s_waitcnt lgkmcnt(0)
	v_mul_lo_u32 v33, v41, s9
	v_mul_lo_u32 v34, v42, s8
	v_mad_u64_u32 v[5:6], null, v39, s8, s[10:11]
	v_mul_lo_u32 v54, v39, s9
	v_mul_lo_u32 v73, v40, s8
	v_mov_b32_e32 v125, 1
	v_mov_b32_e32 v126, 0
	s_mov_b32 s15, 0
	v_add3_u32 v14, v34, v14, v33
	s_delay_alu instid0(VALU_DEP_4)
	v_add3_u32 v6, v73, v6, v54
	s_clause 0x1
	global_load_u8 v33, v[13:14], off
	global_load_u8 v34, v[5:6], off
	s_waitcnt vmcnt(1)
	v_cmp_ne_u16_e64 s0, 0, v33
	s_waitcnt vmcnt(0)
	v_cmp_ne_u16_e32 vcc_lo, 0, v34
	s_delay_alu instid0(VALU_DEP_2) | instskip(NEXT) | instid1(SALU_CYCLE_1)
	s_xor_b32 s0, s0, vcc_lo
	s_xor_b32 s0, s0, -1
	s_delay_alu instid0(SALU_CYCLE_1)
	s_and_saveexec_b32 s14, s0
	s_cbranch_execz .LBB1049_691
; %bb.685:
	s_mov_b64 s[12:13], 1
                                        ; implicit-def: $sgpr18
	s_set_inst_prefetch_distance 0x1
	s_branch .LBB1049_688
	.p2align	6
.LBB1049_686:                           ;   in Loop: Header=BB1049_688 Depth=1
	v_add_co_u32 v33, s0, v13, s12
	s_delay_alu instid0(VALU_DEP_1) | instskip(SKIP_1) | instid1(VALU_DEP_1)
	v_add_co_ci_u32_e64 v34, s0, s13, v14, s0
	v_add_co_u32 v73, s0, v5, s12
	v_add_co_ci_u32_e64 v74, s0, s13, v6, s0
	s_clause 0x1
	global_load_u8 v33, v[33:34], off
	global_load_u8 v34, v[73:74], off
	s_waitcnt vmcnt(1)
	v_cmp_ne_u16_e64 s0, 0, v33
	s_waitcnt vmcnt(0)
	v_cmp_ne_u16_e64 s1, 0, v34
	s_delay_alu instid0(VALU_DEP_1) | instskip(SKIP_4) | instid1(SALU_CYCLE_1)
	s_xor_b32 s19, s0, s1
	s_add_u32 s0, s12, 1
	s_addc_u32 s1, s13, 0
	s_and_not1_b32 s18, s18, exec_lo
	s_and_b32 s19, s19, exec_lo
	s_or_b32 s18, s18, s19
.LBB1049_687:                           ;   in Loop: Header=BB1049_688 Depth=1
	v_dual_mov_b32 v34, s13 :: v_dual_mov_b32 v33, s12
	s_and_b32 s19, exec_lo, s18
	s_mov_b64 s[12:13], s[0:1]
	s_or_b32 s15, s19, s15
	s_delay_alu instid0(SALU_CYCLE_1)
	s_and_not1_b32 exec_lo, exec_lo, s15
	s_cbranch_execz .LBB1049_690
.LBB1049_688:                           ; =>This Inner Loop Header: Depth=1
	s_or_b32 s18, s18, exec_lo
	s_cmp_eq_u64 s[8:9], s[12:13]
	s_cbranch_scc0 .LBB1049_686
; %bb.689:                              ;   in Loop: Header=BB1049_688 Depth=1
	s_mov_b64 s[12:13], s[8:9]
                                        ; implicit-def: $sgpr0_sgpr1
	s_branch .LBB1049_687
.LBB1049_690:
	s_set_inst_prefetch_distance 0x2
	s_or_b32 exec_lo, exec_lo, s15
	v_cmp_gt_i64_e64 s0, s[8:9], v[33:34]
	s_mov_b32 s1, 0
	s_delay_alu instid0(SALU_CYCLE_1) | instskip(NEXT) | instid1(VALU_DEP_2)
	v_mov_b32_e32 v126, s1
	v_cndmask_b32_e64 v125, 0, 1, s0
.LBB1049_691:
	s_or_b32 exec_lo, exec_lo, s14
	v_mad_u64_u32 v[13:14], null, v37, s8, s[10:11]
	v_mul_lo_u32 v33, v37, s9
	v_mul_lo_u32 v34, v38, s8
	v_mov_b32_e32 v87, 1
	v_mov_b32_e32 v88, 0
	s_mov_b32 s15, 0
	s_delay_alu instid0(VALU_DEP_3) | instskip(SKIP_3) | instid1(VALU_DEP_1)
	v_add3_u32 v14, v34, v14, v33
	global_load_u8 v33, v[13:14], off
	s_waitcnt vmcnt(0)
	v_cmp_ne_u16_e64 s0, 0, v33
	s_xor_b32 s0, vcc_lo, s0
	s_delay_alu instid0(SALU_CYCLE_1) | instskip(NEXT) | instid1(SALU_CYCLE_1)
	s_xor_b32 s0, s0, -1
	s_and_saveexec_b32 s14, s0
	s_cbranch_execz .LBB1049_698
; %bb.692:
	s_mov_b64 s[12:13], 1
                                        ; implicit-def: $sgpr18
	s_set_inst_prefetch_distance 0x1
	s_branch .LBB1049_695
	.p2align	6
.LBB1049_693:                           ;   in Loop: Header=BB1049_695 Depth=1
	v_add_co_u32 v33, vcc_lo, v5, s12
	v_add_co_ci_u32_e32 v34, vcc_lo, s13, v6, vcc_lo
	v_add_co_u32 v73, vcc_lo, v13, s12
	v_add_co_ci_u32_e32 v74, vcc_lo, s13, v14, vcc_lo
	s_clause 0x1
	global_load_u8 v33, v[33:34], off
	global_load_u8 v34, v[73:74], off
	s_waitcnt vmcnt(1)
	v_cmp_ne_u16_e32 vcc_lo, 0, v33
	s_waitcnt vmcnt(0)
	v_cmp_ne_u16_e64 s0, 0, v34
	s_delay_alu instid0(VALU_DEP_1) | instskip(SKIP_4) | instid1(SALU_CYCLE_1)
	s_xor_b32 s19, vcc_lo, s0
	s_add_u32 s0, s12, 1
	s_addc_u32 s1, s13, 0
	s_and_not1_b32 s18, s18, exec_lo
	s_and_b32 s19, s19, exec_lo
	s_or_b32 s18, s18, s19
.LBB1049_694:                           ;   in Loop: Header=BB1049_695 Depth=1
	v_dual_mov_b32 v34, s13 :: v_dual_mov_b32 v33, s12
	s_and_b32 s19, exec_lo, s18
	s_mov_b64 s[12:13], s[0:1]
	s_or_b32 s15, s19, s15
	s_delay_alu instid0(SALU_CYCLE_1)
	s_and_not1_b32 exec_lo, exec_lo, s15
	s_cbranch_execz .LBB1049_697
.LBB1049_695:                           ; =>This Inner Loop Header: Depth=1
	s_or_b32 s18, s18, exec_lo
	s_cmp_eq_u64 s[8:9], s[12:13]
	s_cbranch_scc0 .LBB1049_693
; %bb.696:                              ;   in Loop: Header=BB1049_695 Depth=1
	s_mov_b64 s[12:13], s[8:9]
                                        ; implicit-def: $sgpr0_sgpr1
	s_branch .LBB1049_694
.LBB1049_697:
	s_set_inst_prefetch_distance 0x2
	s_or_b32 exec_lo, exec_lo, s15
	v_cmp_gt_i64_e32 vcc_lo, s[8:9], v[33:34]
	s_mov_b32 s0, 0
	s_delay_alu instid0(SALU_CYCLE_1)
	v_mov_b32_e32 v88, s0
	v_cndmask_b32_e64 v87, 0, 1, vcc_lo
.LBB1049_698:
	s_or_b32 exec_lo, exec_lo, s14
.LBB1049_699:
	v_mov_b32_e32 v91, 0
	v_mov_b32_e32 v92, 0
	v_cmp_ne_u32_e32 vcc_lo, 1, v53
	s_delay_alu instid0(VALU_DEP_2)
	v_dual_mov_b32 v128, v92 :: v_dual_mov_b32 v127, v91
	s_cbranch_vccnz .LBB1049_715
; %bb.700:
	v_mad_u64_u32 v[13:14], null, v37, s8, s[10:11]
	s_waitcnt lgkmcnt(0)
	v_mul_lo_u32 v33, v37, s9
	v_mul_lo_u32 v34, v38, s8
	v_mad_u64_u32 v[5:6], null, v31, s8, s[10:11]
	v_mul_lo_u32 v54, v31, s9
	v_mul_lo_u32 v73, v32, s8
	v_mov_b32_e32 v127, 1
	v_mov_b32_e32 v128, 0
	s_mov_b32 s15, 0
	v_add3_u32 v14, v34, v14, v33
	s_delay_alu instid0(VALU_DEP_4)
	v_add3_u32 v6, v73, v6, v54
	s_clause 0x1
	global_load_u8 v33, v[13:14], off
	global_load_u8 v34, v[5:6], off
	s_waitcnt vmcnt(1)
	v_cmp_ne_u16_e64 s0, 0, v33
	s_waitcnt vmcnt(0)
	v_cmp_ne_u16_e32 vcc_lo, 0, v34
	s_delay_alu instid0(VALU_DEP_2) | instskip(NEXT) | instid1(SALU_CYCLE_1)
	s_xor_b32 s0, s0, vcc_lo
	s_xor_b32 s0, s0, -1
	s_delay_alu instid0(SALU_CYCLE_1)
	s_and_saveexec_b32 s14, s0
	s_cbranch_execz .LBB1049_707
; %bb.701:
	s_mov_b64 s[12:13], 1
                                        ; implicit-def: $sgpr18
	s_set_inst_prefetch_distance 0x1
	s_branch .LBB1049_704
	.p2align	6
.LBB1049_702:                           ;   in Loop: Header=BB1049_704 Depth=1
	v_add_co_u32 v33, s0, v13, s12
	s_delay_alu instid0(VALU_DEP_1) | instskip(SKIP_1) | instid1(VALU_DEP_1)
	v_add_co_ci_u32_e64 v34, s0, s13, v14, s0
	v_add_co_u32 v73, s0, v5, s12
	v_add_co_ci_u32_e64 v74, s0, s13, v6, s0
	s_clause 0x1
	global_load_u8 v33, v[33:34], off
	global_load_u8 v34, v[73:74], off
	s_waitcnt vmcnt(1)
	v_cmp_ne_u16_e64 s0, 0, v33
	s_waitcnt vmcnt(0)
	v_cmp_ne_u16_e64 s1, 0, v34
	s_delay_alu instid0(VALU_DEP_1) | instskip(SKIP_4) | instid1(SALU_CYCLE_1)
	s_xor_b32 s19, s0, s1
	s_add_u32 s0, s12, 1
	s_addc_u32 s1, s13, 0
	s_and_not1_b32 s18, s18, exec_lo
	s_and_b32 s19, s19, exec_lo
	s_or_b32 s18, s18, s19
.LBB1049_703:                           ;   in Loop: Header=BB1049_704 Depth=1
	v_dual_mov_b32 v34, s13 :: v_dual_mov_b32 v33, s12
	s_and_b32 s19, exec_lo, s18
	s_mov_b64 s[12:13], s[0:1]
	s_or_b32 s15, s19, s15
	s_delay_alu instid0(SALU_CYCLE_1)
	s_and_not1_b32 exec_lo, exec_lo, s15
	s_cbranch_execz .LBB1049_706
.LBB1049_704:                           ; =>This Inner Loop Header: Depth=1
	s_or_b32 s18, s18, exec_lo
	s_cmp_eq_u64 s[8:9], s[12:13]
	s_cbranch_scc0 .LBB1049_702
; %bb.705:                              ;   in Loop: Header=BB1049_704 Depth=1
	s_mov_b64 s[12:13], s[8:9]
                                        ; implicit-def: $sgpr0_sgpr1
	s_branch .LBB1049_703
.LBB1049_706:
	s_set_inst_prefetch_distance 0x2
	s_or_b32 exec_lo, exec_lo, s15
	v_cmp_gt_i64_e64 s0, s[8:9], v[33:34]
	s_mov_b32 s1, 0
	s_delay_alu instid0(SALU_CYCLE_1) | instskip(NEXT) | instid1(VALU_DEP_2)
	v_mov_b32_e32 v128, s1
	v_cndmask_b32_e64 v127, 0, 1, s0
.LBB1049_707:
	s_or_b32 exec_lo, exec_lo, s14
	v_mad_u64_u32 v[13:14], null, v29, s8, s[10:11]
	v_mul_lo_u32 v33, v29, s9
	v_mul_lo_u32 v34, v30, s8
	v_mov_b32_e32 v91, 1
	v_mov_b32_e32 v92, 0
	s_mov_b32 s15, 0
	s_delay_alu instid0(VALU_DEP_3) | instskip(SKIP_3) | instid1(VALU_DEP_1)
	v_add3_u32 v14, v34, v14, v33
	global_load_u8 v33, v[13:14], off
	s_waitcnt vmcnt(0)
	v_cmp_ne_u16_e64 s0, 0, v33
	s_xor_b32 s0, vcc_lo, s0
	s_delay_alu instid0(SALU_CYCLE_1) | instskip(NEXT) | instid1(SALU_CYCLE_1)
	s_xor_b32 s0, s0, -1
	s_and_saveexec_b32 s14, s0
	s_cbranch_execz .LBB1049_714
; %bb.708:
	s_mov_b64 s[12:13], 1
                                        ; implicit-def: $sgpr18
	s_set_inst_prefetch_distance 0x1
	s_branch .LBB1049_711
	.p2align	6
.LBB1049_709:                           ;   in Loop: Header=BB1049_711 Depth=1
	v_add_co_u32 v33, vcc_lo, v5, s12
	v_add_co_ci_u32_e32 v34, vcc_lo, s13, v6, vcc_lo
	v_add_co_u32 v73, vcc_lo, v13, s12
	v_add_co_ci_u32_e32 v74, vcc_lo, s13, v14, vcc_lo
	s_clause 0x1
	global_load_u8 v33, v[33:34], off
	global_load_u8 v34, v[73:74], off
	s_waitcnt vmcnt(1)
	v_cmp_ne_u16_e32 vcc_lo, 0, v33
	s_waitcnt vmcnt(0)
	v_cmp_ne_u16_e64 s0, 0, v34
	s_delay_alu instid0(VALU_DEP_1) | instskip(SKIP_4) | instid1(SALU_CYCLE_1)
	s_xor_b32 s19, vcc_lo, s0
	s_add_u32 s0, s12, 1
	s_addc_u32 s1, s13, 0
	s_and_not1_b32 s18, s18, exec_lo
	s_and_b32 s19, s19, exec_lo
	s_or_b32 s18, s18, s19
.LBB1049_710:                           ;   in Loop: Header=BB1049_711 Depth=1
	v_dual_mov_b32 v34, s13 :: v_dual_mov_b32 v33, s12
	s_and_b32 s19, exec_lo, s18
	s_mov_b64 s[12:13], s[0:1]
	s_or_b32 s15, s19, s15
	s_delay_alu instid0(SALU_CYCLE_1)
	s_and_not1_b32 exec_lo, exec_lo, s15
	s_cbranch_execz .LBB1049_713
.LBB1049_711:                           ; =>This Inner Loop Header: Depth=1
	s_or_b32 s18, s18, exec_lo
	s_cmp_eq_u64 s[8:9], s[12:13]
	s_cbranch_scc0 .LBB1049_709
; %bb.712:                              ;   in Loop: Header=BB1049_711 Depth=1
	s_mov_b64 s[12:13], s[8:9]
                                        ; implicit-def: $sgpr0_sgpr1
	s_branch .LBB1049_710
.LBB1049_713:
	s_set_inst_prefetch_distance 0x2
	s_or_b32 exec_lo, exec_lo, s15
	v_cmp_gt_i64_e32 vcc_lo, s[8:9], v[33:34]
	s_mov_b32 s0, 0
	s_delay_alu instid0(SALU_CYCLE_1)
	v_mov_b32_e32 v92, s0
	v_cndmask_b32_e64 v91, 0, 1, vcc_lo
.LBB1049_714:
	s_or_b32 exec_lo, exec_lo, s14
.LBB1049_715:
	v_mov_b32_e32 v95, 0
	v_mov_b32_e32 v96, 0
	v_cmp_ne_u32_e32 vcc_lo, 1, v53
	s_delay_alu instid0(VALU_DEP_2)
	v_dual_mov_b32 v130, v96 :: v_dual_mov_b32 v129, v95
	s_cbranch_vccnz .LBB1049_731
; %bb.716:
	v_mad_u64_u32 v[13:14], null, v29, s8, s[10:11]
	s_waitcnt lgkmcnt(0)
	v_mul_lo_u32 v33, v29, s9
	v_mul_lo_u32 v34, v30, s8
	v_mad_u64_u32 v[5:6], null, v27, s8, s[10:11]
	v_mul_lo_u32 v54, v27, s9
	v_mul_lo_u32 v73, v28, s8
	v_mov_b32_e32 v129, 1
	v_mov_b32_e32 v130, 0
	s_mov_b32 s15, 0
	v_add3_u32 v14, v34, v14, v33
	s_delay_alu instid0(VALU_DEP_4)
	v_add3_u32 v6, v73, v6, v54
	s_clause 0x1
	global_load_u8 v33, v[13:14], off
	global_load_u8 v34, v[5:6], off
	s_waitcnt vmcnt(1)
	v_cmp_ne_u16_e64 s0, 0, v33
	s_waitcnt vmcnt(0)
	v_cmp_ne_u16_e32 vcc_lo, 0, v34
	s_delay_alu instid0(VALU_DEP_2) | instskip(NEXT) | instid1(SALU_CYCLE_1)
	s_xor_b32 s0, s0, vcc_lo
	s_xor_b32 s0, s0, -1
	s_delay_alu instid0(SALU_CYCLE_1)
	s_and_saveexec_b32 s14, s0
	s_cbranch_execz .LBB1049_723
; %bb.717:
	s_mov_b64 s[12:13], 1
                                        ; implicit-def: $sgpr18
	s_set_inst_prefetch_distance 0x1
	s_branch .LBB1049_720
	.p2align	6
.LBB1049_718:                           ;   in Loop: Header=BB1049_720 Depth=1
	v_add_co_u32 v33, s0, v13, s12
	s_delay_alu instid0(VALU_DEP_1) | instskip(SKIP_1) | instid1(VALU_DEP_1)
	v_add_co_ci_u32_e64 v34, s0, s13, v14, s0
	v_add_co_u32 v73, s0, v5, s12
	v_add_co_ci_u32_e64 v74, s0, s13, v6, s0
	s_clause 0x1
	global_load_u8 v33, v[33:34], off
	global_load_u8 v34, v[73:74], off
	s_waitcnt vmcnt(1)
	v_cmp_ne_u16_e64 s0, 0, v33
	s_waitcnt vmcnt(0)
	v_cmp_ne_u16_e64 s1, 0, v34
	s_delay_alu instid0(VALU_DEP_1) | instskip(SKIP_4) | instid1(SALU_CYCLE_1)
	s_xor_b32 s19, s0, s1
	s_add_u32 s0, s12, 1
	s_addc_u32 s1, s13, 0
	s_and_not1_b32 s18, s18, exec_lo
	s_and_b32 s19, s19, exec_lo
	s_or_b32 s18, s18, s19
.LBB1049_719:                           ;   in Loop: Header=BB1049_720 Depth=1
	v_dual_mov_b32 v34, s13 :: v_dual_mov_b32 v33, s12
	s_and_b32 s19, exec_lo, s18
	s_mov_b64 s[12:13], s[0:1]
	s_or_b32 s15, s19, s15
	s_delay_alu instid0(SALU_CYCLE_1)
	s_and_not1_b32 exec_lo, exec_lo, s15
	s_cbranch_execz .LBB1049_722
.LBB1049_720:                           ; =>This Inner Loop Header: Depth=1
	s_or_b32 s18, s18, exec_lo
	s_cmp_eq_u64 s[8:9], s[12:13]
	s_cbranch_scc0 .LBB1049_718
; %bb.721:                              ;   in Loop: Header=BB1049_720 Depth=1
	s_mov_b64 s[12:13], s[8:9]
                                        ; implicit-def: $sgpr0_sgpr1
	s_branch .LBB1049_719
.LBB1049_722:
	s_set_inst_prefetch_distance 0x2
	s_or_b32 exec_lo, exec_lo, s15
	v_cmp_gt_i64_e64 s0, s[8:9], v[33:34]
	s_mov_b32 s1, 0
	s_delay_alu instid0(SALU_CYCLE_1) | instskip(NEXT) | instid1(VALU_DEP_2)
	v_mov_b32_e32 v130, s1
	v_cndmask_b32_e64 v129, 0, 1, s0
.LBB1049_723:
	s_or_b32 exec_lo, exec_lo, s14
	v_mad_u64_u32 v[13:14], null, v25, s8, s[10:11]
	v_mul_lo_u32 v33, v25, s9
	v_mul_lo_u32 v34, v26, s8
	v_mov_b32_e32 v95, 1
	v_mov_b32_e32 v96, 0
	s_mov_b32 s15, 0
	s_delay_alu instid0(VALU_DEP_3) | instskip(SKIP_3) | instid1(VALU_DEP_1)
	v_add3_u32 v14, v34, v14, v33
	global_load_u8 v33, v[13:14], off
	s_waitcnt vmcnt(0)
	v_cmp_ne_u16_e64 s0, 0, v33
	s_xor_b32 s0, vcc_lo, s0
	s_delay_alu instid0(SALU_CYCLE_1) | instskip(NEXT) | instid1(SALU_CYCLE_1)
	s_xor_b32 s0, s0, -1
	s_and_saveexec_b32 s14, s0
	s_cbranch_execz .LBB1049_730
; %bb.724:
	s_mov_b64 s[12:13], 1
                                        ; implicit-def: $sgpr18
	s_set_inst_prefetch_distance 0x1
	s_branch .LBB1049_727
	.p2align	6
.LBB1049_725:                           ;   in Loop: Header=BB1049_727 Depth=1
	v_add_co_u32 v33, vcc_lo, v5, s12
	v_add_co_ci_u32_e32 v34, vcc_lo, s13, v6, vcc_lo
	v_add_co_u32 v73, vcc_lo, v13, s12
	v_add_co_ci_u32_e32 v74, vcc_lo, s13, v14, vcc_lo
	s_clause 0x1
	global_load_u8 v33, v[33:34], off
	global_load_u8 v34, v[73:74], off
	s_waitcnt vmcnt(1)
	v_cmp_ne_u16_e32 vcc_lo, 0, v33
	s_waitcnt vmcnt(0)
	v_cmp_ne_u16_e64 s0, 0, v34
	s_delay_alu instid0(VALU_DEP_1) | instskip(SKIP_4) | instid1(SALU_CYCLE_1)
	s_xor_b32 s19, vcc_lo, s0
	s_add_u32 s0, s12, 1
	s_addc_u32 s1, s13, 0
	s_and_not1_b32 s18, s18, exec_lo
	s_and_b32 s19, s19, exec_lo
	s_or_b32 s18, s18, s19
.LBB1049_726:                           ;   in Loop: Header=BB1049_727 Depth=1
	v_dual_mov_b32 v34, s13 :: v_dual_mov_b32 v33, s12
	s_and_b32 s19, exec_lo, s18
	s_mov_b64 s[12:13], s[0:1]
	s_or_b32 s15, s19, s15
	s_delay_alu instid0(SALU_CYCLE_1)
	s_and_not1_b32 exec_lo, exec_lo, s15
	s_cbranch_execz .LBB1049_729
.LBB1049_727:                           ; =>This Inner Loop Header: Depth=1
	s_or_b32 s18, s18, exec_lo
	s_cmp_eq_u64 s[8:9], s[12:13]
	s_cbranch_scc0 .LBB1049_725
; %bb.728:                              ;   in Loop: Header=BB1049_727 Depth=1
	s_mov_b64 s[12:13], s[8:9]
                                        ; implicit-def: $sgpr0_sgpr1
	s_branch .LBB1049_726
.LBB1049_729:
	s_set_inst_prefetch_distance 0x2
	s_or_b32 exec_lo, exec_lo, s15
	v_cmp_gt_i64_e32 vcc_lo, s[8:9], v[33:34]
	s_mov_b32 s0, 0
	s_delay_alu instid0(SALU_CYCLE_1)
	v_mov_b32_e32 v96, s0
	v_cndmask_b32_e64 v95, 0, 1, vcc_lo
.LBB1049_730:
	s_or_b32 exec_lo, exec_lo, s14
.LBB1049_731:
	v_mov_b32_e32 v99, 0
	v_mov_b32_e32 v100, 0
	v_cmp_ne_u32_e32 vcc_lo, 1, v53
	s_delay_alu instid0(VALU_DEP_2)
	v_dual_mov_b32 v132, v100 :: v_dual_mov_b32 v131, v99
	s_cbranch_vccnz .LBB1049_747
; %bb.732:
	v_mad_u64_u32 v[13:14], null, v25, s8, s[10:11]
	s_waitcnt lgkmcnt(0)
	v_mul_lo_u32 v33, v25, s9
	v_mul_lo_u32 v34, v26, s8
	v_mad_u64_u32 v[5:6], null, v23, s8, s[10:11]
	v_mul_lo_u32 v54, v23, s9
	v_mul_lo_u32 v73, v24, s8
	v_mov_b32_e32 v131, 1
	v_mov_b32_e32 v132, 0
	s_mov_b32 s15, 0
	v_add3_u32 v14, v34, v14, v33
	s_delay_alu instid0(VALU_DEP_4)
	v_add3_u32 v6, v73, v6, v54
	s_clause 0x1
	global_load_u8 v33, v[13:14], off
	global_load_u8 v34, v[5:6], off
	s_waitcnt vmcnt(1)
	v_cmp_ne_u16_e64 s0, 0, v33
	s_waitcnt vmcnt(0)
	v_cmp_ne_u16_e32 vcc_lo, 0, v34
	s_delay_alu instid0(VALU_DEP_2) | instskip(NEXT) | instid1(SALU_CYCLE_1)
	s_xor_b32 s0, s0, vcc_lo
	s_xor_b32 s0, s0, -1
	s_delay_alu instid0(SALU_CYCLE_1)
	s_and_saveexec_b32 s14, s0
	s_cbranch_execz .LBB1049_739
; %bb.733:
	s_mov_b64 s[12:13], 1
                                        ; implicit-def: $sgpr18
	s_set_inst_prefetch_distance 0x1
	s_branch .LBB1049_736
	.p2align	6
.LBB1049_734:                           ;   in Loop: Header=BB1049_736 Depth=1
	v_add_co_u32 v33, s0, v13, s12
	s_delay_alu instid0(VALU_DEP_1) | instskip(SKIP_1) | instid1(VALU_DEP_1)
	v_add_co_ci_u32_e64 v34, s0, s13, v14, s0
	v_add_co_u32 v73, s0, v5, s12
	v_add_co_ci_u32_e64 v74, s0, s13, v6, s0
	s_clause 0x1
	global_load_u8 v33, v[33:34], off
	global_load_u8 v34, v[73:74], off
	s_waitcnt vmcnt(1)
	v_cmp_ne_u16_e64 s0, 0, v33
	s_waitcnt vmcnt(0)
	v_cmp_ne_u16_e64 s1, 0, v34
	s_delay_alu instid0(VALU_DEP_1) | instskip(SKIP_4) | instid1(SALU_CYCLE_1)
	s_xor_b32 s19, s0, s1
	s_add_u32 s0, s12, 1
	s_addc_u32 s1, s13, 0
	s_and_not1_b32 s18, s18, exec_lo
	s_and_b32 s19, s19, exec_lo
	s_or_b32 s18, s18, s19
.LBB1049_735:                           ;   in Loop: Header=BB1049_736 Depth=1
	v_dual_mov_b32 v34, s13 :: v_dual_mov_b32 v33, s12
	s_and_b32 s19, exec_lo, s18
	s_mov_b64 s[12:13], s[0:1]
	s_or_b32 s15, s19, s15
	s_delay_alu instid0(SALU_CYCLE_1)
	s_and_not1_b32 exec_lo, exec_lo, s15
	s_cbranch_execz .LBB1049_738
.LBB1049_736:                           ; =>This Inner Loop Header: Depth=1
	s_or_b32 s18, s18, exec_lo
	s_cmp_eq_u64 s[8:9], s[12:13]
	s_cbranch_scc0 .LBB1049_734
; %bb.737:                              ;   in Loop: Header=BB1049_736 Depth=1
	s_mov_b64 s[12:13], s[8:9]
                                        ; implicit-def: $sgpr0_sgpr1
	s_branch .LBB1049_735
.LBB1049_738:
	s_set_inst_prefetch_distance 0x2
	s_or_b32 exec_lo, exec_lo, s15
	v_cmp_gt_i64_e64 s0, s[8:9], v[33:34]
	s_mov_b32 s1, 0
	s_delay_alu instid0(SALU_CYCLE_1) | instskip(NEXT) | instid1(VALU_DEP_2)
	v_mov_b32_e32 v132, s1
	v_cndmask_b32_e64 v131, 0, 1, s0
.LBB1049_739:
	s_or_b32 exec_lo, exec_lo, s14
	v_mad_u64_u32 v[13:14], null, v21, s8, s[10:11]
	v_mul_lo_u32 v33, v21, s9
	v_mul_lo_u32 v34, v22, s8
	v_mov_b32_e32 v99, 1
	v_mov_b32_e32 v100, 0
	s_mov_b32 s15, 0
	s_delay_alu instid0(VALU_DEP_3) | instskip(SKIP_3) | instid1(VALU_DEP_1)
	v_add3_u32 v14, v34, v14, v33
	global_load_u8 v33, v[13:14], off
	s_waitcnt vmcnt(0)
	v_cmp_ne_u16_e64 s0, 0, v33
	s_xor_b32 s0, vcc_lo, s0
	s_delay_alu instid0(SALU_CYCLE_1) | instskip(NEXT) | instid1(SALU_CYCLE_1)
	s_xor_b32 s0, s0, -1
	s_and_saveexec_b32 s14, s0
	s_cbranch_execz .LBB1049_746
; %bb.740:
	s_mov_b64 s[12:13], 1
                                        ; implicit-def: $sgpr18
	s_set_inst_prefetch_distance 0x1
	s_branch .LBB1049_743
	.p2align	6
.LBB1049_741:                           ;   in Loop: Header=BB1049_743 Depth=1
	v_add_co_u32 v33, vcc_lo, v5, s12
	v_add_co_ci_u32_e32 v34, vcc_lo, s13, v6, vcc_lo
	v_add_co_u32 v73, vcc_lo, v13, s12
	v_add_co_ci_u32_e32 v74, vcc_lo, s13, v14, vcc_lo
	s_clause 0x1
	global_load_u8 v33, v[33:34], off
	global_load_u8 v34, v[73:74], off
	s_waitcnt vmcnt(1)
	v_cmp_ne_u16_e32 vcc_lo, 0, v33
	s_waitcnt vmcnt(0)
	v_cmp_ne_u16_e64 s0, 0, v34
	s_delay_alu instid0(VALU_DEP_1) | instskip(SKIP_4) | instid1(SALU_CYCLE_1)
	s_xor_b32 s19, vcc_lo, s0
	s_add_u32 s0, s12, 1
	s_addc_u32 s1, s13, 0
	s_and_not1_b32 s18, s18, exec_lo
	s_and_b32 s19, s19, exec_lo
	s_or_b32 s18, s18, s19
.LBB1049_742:                           ;   in Loop: Header=BB1049_743 Depth=1
	v_dual_mov_b32 v34, s13 :: v_dual_mov_b32 v33, s12
	s_and_b32 s19, exec_lo, s18
	s_mov_b64 s[12:13], s[0:1]
	s_or_b32 s15, s19, s15
	s_delay_alu instid0(SALU_CYCLE_1)
	s_and_not1_b32 exec_lo, exec_lo, s15
	s_cbranch_execz .LBB1049_745
.LBB1049_743:                           ; =>This Inner Loop Header: Depth=1
	s_or_b32 s18, s18, exec_lo
	s_cmp_eq_u64 s[8:9], s[12:13]
	s_cbranch_scc0 .LBB1049_741
; %bb.744:                              ;   in Loop: Header=BB1049_743 Depth=1
	s_mov_b64 s[12:13], s[8:9]
                                        ; implicit-def: $sgpr0_sgpr1
	s_branch .LBB1049_742
.LBB1049_745:
	s_set_inst_prefetch_distance 0x2
	s_or_b32 exec_lo, exec_lo, s15
	v_cmp_gt_i64_e32 vcc_lo, s[8:9], v[33:34]
	s_mov_b32 s0, 0
	s_delay_alu instid0(SALU_CYCLE_1)
	v_mov_b32_e32 v100, s0
	v_cndmask_b32_e64 v99, 0, 1, vcc_lo
.LBB1049_746:
	s_or_b32 exec_lo, exec_lo, s14
.LBB1049_747:
	v_mov_b32_e32 v103, 0
	v_mov_b32_e32 v104, 0
	v_cmp_ne_u32_e32 vcc_lo, 1, v53
	s_delay_alu instid0(VALU_DEP_2)
	v_dual_mov_b32 v134, v104 :: v_dual_mov_b32 v133, v103
	s_cbranch_vccnz .LBB1049_763
; %bb.748:
	v_mad_u64_u32 v[13:14], null, v21, s8, s[10:11]
	s_waitcnt lgkmcnt(0)
	v_mul_lo_u32 v33, v21, s9
	v_mul_lo_u32 v34, v22, s8
	v_mad_u64_u32 v[5:6], null, v19, s8, s[10:11]
	v_mul_lo_u32 v54, v19, s9
	v_mul_lo_u32 v73, v20, s8
	v_mov_b32_e32 v133, 1
	v_mov_b32_e32 v134, 0
	s_mov_b32 s15, 0
	v_add3_u32 v14, v34, v14, v33
	s_delay_alu instid0(VALU_DEP_4)
	v_add3_u32 v6, v73, v6, v54
	s_clause 0x1
	global_load_u8 v33, v[13:14], off
	global_load_u8 v34, v[5:6], off
	s_waitcnt vmcnt(1)
	v_cmp_ne_u16_e64 s0, 0, v33
	s_waitcnt vmcnt(0)
	v_cmp_ne_u16_e32 vcc_lo, 0, v34
	s_delay_alu instid0(VALU_DEP_2) | instskip(NEXT) | instid1(SALU_CYCLE_1)
	s_xor_b32 s0, s0, vcc_lo
	s_xor_b32 s0, s0, -1
	s_delay_alu instid0(SALU_CYCLE_1)
	s_and_saveexec_b32 s14, s0
	s_cbranch_execz .LBB1049_755
; %bb.749:
	s_mov_b64 s[12:13], 1
                                        ; implicit-def: $sgpr18
	s_set_inst_prefetch_distance 0x1
	s_branch .LBB1049_752
	.p2align	6
.LBB1049_750:                           ;   in Loop: Header=BB1049_752 Depth=1
	v_add_co_u32 v33, s0, v13, s12
	s_delay_alu instid0(VALU_DEP_1) | instskip(SKIP_1) | instid1(VALU_DEP_1)
	v_add_co_ci_u32_e64 v34, s0, s13, v14, s0
	v_add_co_u32 v73, s0, v5, s12
	v_add_co_ci_u32_e64 v74, s0, s13, v6, s0
	s_clause 0x1
	global_load_u8 v33, v[33:34], off
	global_load_u8 v34, v[73:74], off
	s_waitcnt vmcnt(1)
	v_cmp_ne_u16_e64 s0, 0, v33
	s_waitcnt vmcnt(0)
	v_cmp_ne_u16_e64 s1, 0, v34
	s_delay_alu instid0(VALU_DEP_1) | instskip(SKIP_4) | instid1(SALU_CYCLE_1)
	s_xor_b32 s19, s0, s1
	s_add_u32 s0, s12, 1
	s_addc_u32 s1, s13, 0
	s_and_not1_b32 s18, s18, exec_lo
	s_and_b32 s19, s19, exec_lo
	s_or_b32 s18, s18, s19
.LBB1049_751:                           ;   in Loop: Header=BB1049_752 Depth=1
	v_dual_mov_b32 v34, s13 :: v_dual_mov_b32 v33, s12
	s_and_b32 s19, exec_lo, s18
	s_mov_b64 s[12:13], s[0:1]
	s_or_b32 s15, s19, s15
	s_delay_alu instid0(SALU_CYCLE_1)
	s_and_not1_b32 exec_lo, exec_lo, s15
	s_cbranch_execz .LBB1049_754
.LBB1049_752:                           ; =>This Inner Loop Header: Depth=1
	s_or_b32 s18, s18, exec_lo
	s_cmp_eq_u64 s[8:9], s[12:13]
	s_cbranch_scc0 .LBB1049_750
; %bb.753:                              ;   in Loop: Header=BB1049_752 Depth=1
	s_mov_b64 s[12:13], s[8:9]
                                        ; implicit-def: $sgpr0_sgpr1
	s_branch .LBB1049_751
.LBB1049_754:
	s_set_inst_prefetch_distance 0x2
	s_or_b32 exec_lo, exec_lo, s15
	v_cmp_gt_i64_e64 s0, s[8:9], v[33:34]
	s_mov_b32 s1, 0
	s_delay_alu instid0(SALU_CYCLE_1) | instskip(NEXT) | instid1(VALU_DEP_2)
	v_mov_b32_e32 v134, s1
	v_cndmask_b32_e64 v133, 0, 1, s0
.LBB1049_755:
	s_or_b32 exec_lo, exec_lo, s14
	v_mad_u64_u32 v[13:14], null, v17, s8, s[10:11]
	v_mul_lo_u32 v33, v17, s9
	v_mul_lo_u32 v34, v18, s8
	v_mov_b32_e32 v103, 1
	v_mov_b32_e32 v104, 0
	s_mov_b32 s15, 0
	s_delay_alu instid0(VALU_DEP_3) | instskip(SKIP_3) | instid1(VALU_DEP_1)
	v_add3_u32 v14, v34, v14, v33
	global_load_u8 v33, v[13:14], off
	s_waitcnt vmcnt(0)
	v_cmp_ne_u16_e64 s0, 0, v33
	s_xor_b32 s0, vcc_lo, s0
	s_delay_alu instid0(SALU_CYCLE_1) | instskip(NEXT) | instid1(SALU_CYCLE_1)
	s_xor_b32 s0, s0, -1
	s_and_saveexec_b32 s14, s0
	s_cbranch_execz .LBB1049_762
; %bb.756:
	s_mov_b64 s[12:13], 1
                                        ; implicit-def: $sgpr18
	s_set_inst_prefetch_distance 0x1
	s_branch .LBB1049_759
	.p2align	6
.LBB1049_757:                           ;   in Loop: Header=BB1049_759 Depth=1
	v_add_co_u32 v33, vcc_lo, v5, s12
	v_add_co_ci_u32_e32 v34, vcc_lo, s13, v6, vcc_lo
	v_add_co_u32 v73, vcc_lo, v13, s12
	v_add_co_ci_u32_e32 v74, vcc_lo, s13, v14, vcc_lo
	s_clause 0x1
	global_load_u8 v33, v[33:34], off
	global_load_u8 v34, v[73:74], off
	s_waitcnt vmcnt(1)
	v_cmp_ne_u16_e32 vcc_lo, 0, v33
	s_waitcnt vmcnt(0)
	v_cmp_ne_u16_e64 s0, 0, v34
	s_delay_alu instid0(VALU_DEP_1) | instskip(SKIP_4) | instid1(SALU_CYCLE_1)
	s_xor_b32 s19, vcc_lo, s0
	s_add_u32 s0, s12, 1
	s_addc_u32 s1, s13, 0
	s_and_not1_b32 s18, s18, exec_lo
	s_and_b32 s19, s19, exec_lo
	s_or_b32 s18, s18, s19
.LBB1049_758:                           ;   in Loop: Header=BB1049_759 Depth=1
	v_dual_mov_b32 v34, s13 :: v_dual_mov_b32 v33, s12
	s_and_b32 s19, exec_lo, s18
	s_mov_b64 s[12:13], s[0:1]
	s_or_b32 s15, s19, s15
	s_delay_alu instid0(SALU_CYCLE_1)
	s_and_not1_b32 exec_lo, exec_lo, s15
	s_cbranch_execz .LBB1049_761
.LBB1049_759:                           ; =>This Inner Loop Header: Depth=1
	s_or_b32 s18, s18, exec_lo
	s_cmp_eq_u64 s[8:9], s[12:13]
	s_cbranch_scc0 .LBB1049_757
; %bb.760:                              ;   in Loop: Header=BB1049_759 Depth=1
	s_mov_b64 s[12:13], s[8:9]
                                        ; implicit-def: $sgpr0_sgpr1
	s_branch .LBB1049_758
.LBB1049_761:
	s_set_inst_prefetch_distance 0x2
	s_or_b32 exec_lo, exec_lo, s15
	v_cmp_gt_i64_e32 vcc_lo, s[8:9], v[33:34]
	s_mov_b32 s0, 0
	s_delay_alu instid0(SALU_CYCLE_1)
	v_mov_b32_e32 v104, s0
	v_cndmask_b32_e64 v103, 0, 1, vcc_lo
.LBB1049_762:
	s_or_b32 exec_lo, exec_lo, s14
.LBB1049_763:
	v_mov_b32_e32 v107, 0
	v_mov_b32_e32 v108, 0
	v_cmp_ne_u32_e32 vcc_lo, 1, v53
	s_delay_alu instid0(VALU_DEP_2)
	v_dual_mov_b32 v136, v108 :: v_dual_mov_b32 v135, v107
	s_cbranch_vccnz .LBB1049_779
; %bb.764:
	v_mad_u64_u32 v[13:14], null, v17, s8, s[10:11]
	s_waitcnt lgkmcnt(0)
	v_mul_lo_u32 v33, v17, s9
	v_mul_lo_u32 v34, v18, s8
	v_mad_u64_u32 v[5:6], null, v11, s8, s[10:11]
	v_mul_lo_u32 v54, v11, s9
	v_mul_lo_u32 v73, v12, s8
	v_mov_b32_e32 v135, 1
	v_mov_b32_e32 v136, 0
	s_mov_b32 s15, 0
	v_add3_u32 v14, v34, v14, v33
	s_delay_alu instid0(VALU_DEP_4)
	v_add3_u32 v6, v73, v6, v54
	s_clause 0x1
	global_load_u8 v33, v[13:14], off
	global_load_u8 v34, v[5:6], off
	s_waitcnt vmcnt(1)
	v_cmp_ne_u16_e64 s0, 0, v33
	s_waitcnt vmcnt(0)
	v_cmp_ne_u16_e32 vcc_lo, 0, v34
	s_delay_alu instid0(VALU_DEP_2) | instskip(NEXT) | instid1(SALU_CYCLE_1)
	s_xor_b32 s0, s0, vcc_lo
	s_xor_b32 s0, s0, -1
	s_delay_alu instid0(SALU_CYCLE_1)
	s_and_saveexec_b32 s14, s0
	s_cbranch_execz .LBB1049_771
; %bb.765:
	s_mov_b64 s[12:13], 1
                                        ; implicit-def: $sgpr18
	s_set_inst_prefetch_distance 0x1
	s_branch .LBB1049_768
	.p2align	6
.LBB1049_766:                           ;   in Loop: Header=BB1049_768 Depth=1
	v_add_co_u32 v33, s0, v13, s12
	s_delay_alu instid0(VALU_DEP_1) | instskip(SKIP_1) | instid1(VALU_DEP_1)
	v_add_co_ci_u32_e64 v34, s0, s13, v14, s0
	v_add_co_u32 v73, s0, v5, s12
	v_add_co_ci_u32_e64 v74, s0, s13, v6, s0
	s_clause 0x1
	global_load_u8 v33, v[33:34], off
	global_load_u8 v34, v[73:74], off
	s_waitcnt vmcnt(1)
	v_cmp_ne_u16_e64 s0, 0, v33
	s_waitcnt vmcnt(0)
	v_cmp_ne_u16_e64 s1, 0, v34
	s_delay_alu instid0(VALU_DEP_1) | instskip(SKIP_4) | instid1(SALU_CYCLE_1)
	s_xor_b32 s19, s0, s1
	s_add_u32 s0, s12, 1
	s_addc_u32 s1, s13, 0
	s_and_not1_b32 s18, s18, exec_lo
	s_and_b32 s19, s19, exec_lo
	s_or_b32 s18, s18, s19
.LBB1049_767:                           ;   in Loop: Header=BB1049_768 Depth=1
	v_dual_mov_b32 v34, s13 :: v_dual_mov_b32 v33, s12
	s_and_b32 s19, exec_lo, s18
	s_mov_b64 s[12:13], s[0:1]
	s_or_b32 s15, s19, s15
	s_delay_alu instid0(SALU_CYCLE_1)
	s_and_not1_b32 exec_lo, exec_lo, s15
	s_cbranch_execz .LBB1049_770
.LBB1049_768:                           ; =>This Inner Loop Header: Depth=1
	s_or_b32 s18, s18, exec_lo
	s_cmp_eq_u64 s[8:9], s[12:13]
	s_cbranch_scc0 .LBB1049_766
; %bb.769:                              ;   in Loop: Header=BB1049_768 Depth=1
	s_mov_b64 s[12:13], s[8:9]
                                        ; implicit-def: $sgpr0_sgpr1
	s_branch .LBB1049_767
.LBB1049_770:
	s_set_inst_prefetch_distance 0x2
	s_or_b32 exec_lo, exec_lo, s15
	v_cmp_gt_i64_e64 s0, s[8:9], v[33:34]
	s_mov_b32 s1, 0
	s_delay_alu instid0(SALU_CYCLE_1) | instskip(NEXT) | instid1(VALU_DEP_2)
	v_mov_b32_e32 v136, s1
	v_cndmask_b32_e64 v135, 0, 1, s0
.LBB1049_771:
	s_or_b32 exec_lo, exec_lo, s14
	v_mad_u64_u32 v[13:14], null, v9, s8, s[10:11]
	v_mul_lo_u32 v33, v9, s9
	v_mul_lo_u32 v34, v10, s8
	v_mov_b32_e32 v107, 1
	v_mov_b32_e32 v108, 0
	s_mov_b32 s15, 0
	s_delay_alu instid0(VALU_DEP_3) | instskip(SKIP_3) | instid1(VALU_DEP_1)
	v_add3_u32 v14, v34, v14, v33
	global_load_u8 v33, v[13:14], off
	s_waitcnt vmcnt(0)
	v_cmp_ne_u16_e64 s0, 0, v33
	s_xor_b32 s0, vcc_lo, s0
	s_delay_alu instid0(SALU_CYCLE_1) | instskip(NEXT) | instid1(SALU_CYCLE_1)
	s_xor_b32 s0, s0, -1
	s_and_saveexec_b32 s14, s0
	s_cbranch_execz .LBB1049_778
; %bb.772:
	s_mov_b64 s[12:13], 1
                                        ; implicit-def: $sgpr18
	s_set_inst_prefetch_distance 0x1
	s_branch .LBB1049_775
	.p2align	6
.LBB1049_773:                           ;   in Loop: Header=BB1049_775 Depth=1
	v_add_co_u32 v33, vcc_lo, v5, s12
	v_add_co_ci_u32_e32 v34, vcc_lo, s13, v6, vcc_lo
	v_add_co_u32 v73, vcc_lo, v13, s12
	v_add_co_ci_u32_e32 v74, vcc_lo, s13, v14, vcc_lo
	s_clause 0x1
	global_load_u8 v33, v[33:34], off
	global_load_u8 v34, v[73:74], off
	s_waitcnt vmcnt(1)
	v_cmp_ne_u16_e32 vcc_lo, 0, v33
	s_waitcnt vmcnt(0)
	v_cmp_ne_u16_e64 s0, 0, v34
	s_delay_alu instid0(VALU_DEP_1) | instskip(SKIP_4) | instid1(SALU_CYCLE_1)
	s_xor_b32 s19, vcc_lo, s0
	s_add_u32 s0, s12, 1
	s_addc_u32 s1, s13, 0
	s_and_not1_b32 s18, s18, exec_lo
	s_and_b32 s19, s19, exec_lo
	s_or_b32 s18, s18, s19
.LBB1049_774:                           ;   in Loop: Header=BB1049_775 Depth=1
	v_dual_mov_b32 v34, s13 :: v_dual_mov_b32 v33, s12
	s_and_b32 s19, exec_lo, s18
	s_mov_b64 s[12:13], s[0:1]
	s_or_b32 s15, s19, s15
	s_delay_alu instid0(SALU_CYCLE_1)
	s_and_not1_b32 exec_lo, exec_lo, s15
	s_cbranch_execz .LBB1049_777
.LBB1049_775:                           ; =>This Inner Loop Header: Depth=1
	s_or_b32 s18, s18, exec_lo
	s_cmp_eq_u64 s[8:9], s[12:13]
	s_cbranch_scc0 .LBB1049_773
; %bb.776:                              ;   in Loop: Header=BB1049_775 Depth=1
	s_mov_b64 s[12:13], s[8:9]
                                        ; implicit-def: $sgpr0_sgpr1
	s_branch .LBB1049_774
.LBB1049_777:
	s_set_inst_prefetch_distance 0x2
	s_or_b32 exec_lo, exec_lo, s15
	v_cmp_gt_i64_e32 vcc_lo, s[8:9], v[33:34]
	s_mov_b32 s0, 0
	s_delay_alu instid0(SALU_CYCLE_1)
	v_mov_b32_e32 v108, s0
	v_cndmask_b32_e64 v107, 0, 1, vcc_lo
.LBB1049_778:
	s_or_b32 exec_lo, exec_lo, s14
.LBB1049_779:
	v_mov_b32_e32 v139, 0
	v_mov_b32_e32 v140, 0
	v_cmp_ne_u32_e32 vcc_lo, 1, v53
	s_delay_alu instid0(VALU_DEP_2)
	v_dual_mov_b32 v137, v139 :: v_dual_mov_b32 v138, v140
	s_cbranch_vccnz .LBB1049_795
; %bb.780:
	v_mad_u64_u32 v[13:14], null, v9, s8, s[10:11]
	s_waitcnt lgkmcnt(0)
	v_mul_lo_u32 v33, v9, s9
	v_mul_lo_u32 v34, v10, s8
	v_mad_u64_u32 v[5:6], null, v3, s8, s[10:11]
	v_mul_lo_u32 v54, v3, s9
	v_mul_lo_u32 v73, v4, s8
	v_mov_b32_e32 v137, 1
	v_mov_b32_e32 v138, 0
	s_mov_b32 s15, 0
	v_add3_u32 v14, v34, v14, v33
	s_delay_alu instid0(VALU_DEP_4)
	v_add3_u32 v6, v73, v6, v54
	s_clause 0x1
	global_load_u8 v33, v[13:14], off
	global_load_u8 v34, v[5:6], off
	s_waitcnt vmcnt(1)
	v_cmp_ne_u16_e64 s0, 0, v33
	s_waitcnt vmcnt(0)
	v_cmp_ne_u16_e32 vcc_lo, 0, v34
	s_delay_alu instid0(VALU_DEP_2) | instskip(NEXT) | instid1(SALU_CYCLE_1)
	s_xor_b32 s0, s0, vcc_lo
	s_xor_b32 s0, s0, -1
	s_delay_alu instid0(SALU_CYCLE_1)
	s_and_saveexec_b32 s14, s0
	s_cbranch_execz .LBB1049_787
; %bb.781:
	s_mov_b64 s[12:13], 1
                                        ; implicit-def: $sgpr18
	s_set_inst_prefetch_distance 0x1
	s_branch .LBB1049_784
	.p2align	6
.LBB1049_782:                           ;   in Loop: Header=BB1049_784 Depth=1
	v_add_co_u32 v33, s0, v13, s12
	s_delay_alu instid0(VALU_DEP_1) | instskip(SKIP_1) | instid1(VALU_DEP_1)
	v_add_co_ci_u32_e64 v34, s0, s13, v14, s0
	v_add_co_u32 v73, s0, v5, s12
	v_add_co_ci_u32_e64 v74, s0, s13, v6, s0
	s_clause 0x1
	global_load_u8 v33, v[33:34], off
	global_load_u8 v34, v[73:74], off
	s_waitcnt vmcnt(1)
	v_cmp_ne_u16_e64 s0, 0, v33
	s_waitcnt vmcnt(0)
	v_cmp_ne_u16_e64 s1, 0, v34
	s_delay_alu instid0(VALU_DEP_1) | instskip(SKIP_4) | instid1(SALU_CYCLE_1)
	s_xor_b32 s19, s0, s1
	s_add_u32 s0, s12, 1
	s_addc_u32 s1, s13, 0
	s_and_not1_b32 s18, s18, exec_lo
	s_and_b32 s19, s19, exec_lo
	s_or_b32 s18, s18, s19
.LBB1049_783:                           ;   in Loop: Header=BB1049_784 Depth=1
	v_dual_mov_b32 v34, s13 :: v_dual_mov_b32 v33, s12
	s_and_b32 s19, exec_lo, s18
	s_mov_b64 s[12:13], s[0:1]
	s_or_b32 s15, s19, s15
	s_delay_alu instid0(SALU_CYCLE_1)
	s_and_not1_b32 exec_lo, exec_lo, s15
	s_cbranch_execz .LBB1049_786
.LBB1049_784:                           ; =>This Inner Loop Header: Depth=1
	s_or_b32 s18, s18, exec_lo
	s_cmp_eq_u64 s[8:9], s[12:13]
	s_cbranch_scc0 .LBB1049_782
; %bb.785:                              ;   in Loop: Header=BB1049_784 Depth=1
	s_mov_b64 s[12:13], s[8:9]
                                        ; implicit-def: $sgpr0_sgpr1
	s_branch .LBB1049_783
.LBB1049_786:
	s_set_inst_prefetch_distance 0x2
	s_or_b32 exec_lo, exec_lo, s15
	v_cmp_gt_i64_e64 s0, s[8:9], v[33:34]
	s_mov_b32 s1, 0
	s_delay_alu instid0(SALU_CYCLE_1) | instskip(NEXT) | instid1(VALU_DEP_2)
	v_mov_b32_e32 v138, s1
	v_cndmask_b32_e64 v137, 0, 1, s0
.LBB1049_787:
	s_or_b32 exec_lo, exec_lo, s14
	v_mad_u64_u32 v[13:14], null, v1, s8, s[10:11]
	v_mul_lo_u32 v33, v1, s9
	v_mul_lo_u32 v34, v2, s8
	v_mov_b32_e32 v139, 1
	v_mov_b32_e32 v140, 0
	s_mov_b32 s15, 0
	s_delay_alu instid0(VALU_DEP_3) | instskip(SKIP_3) | instid1(VALU_DEP_1)
	v_add3_u32 v14, v34, v14, v33
	global_load_u8 v33, v[13:14], off
	s_waitcnt vmcnt(0)
	v_cmp_ne_u16_e64 s0, 0, v33
	s_xor_b32 s0, vcc_lo, s0
	s_delay_alu instid0(SALU_CYCLE_1) | instskip(NEXT) | instid1(SALU_CYCLE_1)
	s_xor_b32 s0, s0, -1
	s_and_saveexec_b32 s14, s0
	s_cbranch_execz .LBB1049_794
; %bb.788:
	s_mov_b64 s[12:13], 1
                                        ; implicit-def: $sgpr18
	s_set_inst_prefetch_distance 0x1
	s_branch .LBB1049_791
	.p2align	6
.LBB1049_789:                           ;   in Loop: Header=BB1049_791 Depth=1
	v_add_co_u32 v33, vcc_lo, v5, s12
	v_add_co_ci_u32_e32 v34, vcc_lo, s13, v6, vcc_lo
	v_add_co_u32 v73, vcc_lo, v13, s12
	v_add_co_ci_u32_e32 v74, vcc_lo, s13, v14, vcc_lo
	s_clause 0x1
	global_load_u8 v33, v[33:34], off
	global_load_u8 v34, v[73:74], off
	s_waitcnt vmcnt(1)
	v_cmp_ne_u16_e32 vcc_lo, 0, v33
	s_waitcnt vmcnt(0)
	v_cmp_ne_u16_e64 s0, 0, v34
	s_delay_alu instid0(VALU_DEP_1) | instskip(SKIP_4) | instid1(SALU_CYCLE_1)
	s_xor_b32 s19, vcc_lo, s0
	s_add_u32 s0, s12, 1
	s_addc_u32 s1, s13, 0
	s_and_not1_b32 s18, s18, exec_lo
	s_and_b32 s19, s19, exec_lo
	s_or_b32 s18, s18, s19
.LBB1049_790:                           ;   in Loop: Header=BB1049_791 Depth=1
	v_dual_mov_b32 v34, s13 :: v_dual_mov_b32 v33, s12
	s_and_b32 s19, exec_lo, s18
	s_mov_b64 s[12:13], s[0:1]
	s_or_b32 s15, s19, s15
	s_delay_alu instid0(SALU_CYCLE_1)
	s_and_not1_b32 exec_lo, exec_lo, s15
	s_cbranch_execz .LBB1049_793
.LBB1049_791:                           ; =>This Inner Loop Header: Depth=1
	s_or_b32 s18, s18, exec_lo
	s_cmp_eq_u64 s[8:9], s[12:13]
	s_cbranch_scc0 .LBB1049_789
; %bb.792:                              ;   in Loop: Header=BB1049_791 Depth=1
	s_mov_b64 s[12:13], s[8:9]
                                        ; implicit-def: $sgpr0_sgpr1
	s_branch .LBB1049_790
.LBB1049_793:
	s_set_inst_prefetch_distance 0x2
	s_or_b32 exec_lo, exec_lo, s15
	v_cmp_gt_i64_e32 vcc_lo, s[8:9], v[33:34]
	s_mov_b32 s0, 0
	s_delay_alu instid0(SALU_CYCLE_1)
	v_mov_b32_e32 v140, s0
	v_cndmask_b32_e64 v139, 0, 1, vcc_lo
.LBB1049_794:
	s_or_b32 exec_lo, exec_lo, s14
.LBB1049_795:
	s_mov_b32 s14, 0
	s_mov_b32 s15, exec_lo
	s_waitcnt lgkmcnt(0)
	s_barrier
	buffer_gl0_inv
                                        ; implicit-def: $sgpr0
	v_cmpx_ne_u32_e32 0, v0
	s_cbranch_execz .LBB1049_807
; %bb.796:
	v_cmp_ne_u32_e32 vcc_lo, 1, v53
	s_cbranch_vccnz .LBB1049_803
; %bb.797:
	v_add_nc_u32_e32 v5, -8, v141
	v_mul_lo_u32 v53, v1, s9
	v_mul_lo_u32 v54, v2, s8
	s_mov_b32 s19, 0
	ds_load_b64 v[33:34], v5
	v_mad_u64_u32 v[5:6], null, v1, s8, s[10:11]
	s_delay_alu instid0(VALU_DEP_1) | instskip(SKIP_4) | instid1(VALU_DEP_1)
	v_add3_u32 v6, v54, v6, v53
	s_waitcnt lgkmcnt(0)
	v_mul_lo_u32 v73, v33, s9
	v_mul_lo_u32 v34, v34, s8
	v_mad_u64_u32 v[13:14], null, v33, s8, s[10:11]
	v_add3_u32 v14, v34, v14, v73
	s_clause 0x1
	global_load_u8 v33, v[5:6], off
	global_load_u8 v34, v[13:14], off
	s_waitcnt vmcnt(1)
	v_cmp_ne_u16_e32 vcc_lo, 0, v33
	s_waitcnt vmcnt(0)
	v_cmp_ne_u16_e64 s0, 0, v34
	s_delay_alu instid0(VALU_DEP_1) | instskip(SKIP_2) | instid1(SALU_CYCLE_1)
	s_xor_b32 s1, vcc_lo, s0
	s_mov_b32 s0, -1
	s_xor_b32 s1, s1, -1
	s_and_saveexec_b32 s18, s1
	s_cbranch_execz .LBB1049_805
; %bb.798:
	s_mov_b64 s[12:13], 1
                                        ; implicit-def: $sgpr20
	s_set_inst_prefetch_distance 0x1
	s_branch .LBB1049_801
	.p2align	6
.LBB1049_799:                           ;   in Loop: Header=BB1049_801 Depth=1
	v_add_co_u32 v33, vcc_lo, v5, s12
	v_add_co_ci_u32_e32 v34, vcc_lo, s13, v6, vcc_lo
	v_add_co_u32 v53, vcc_lo, v13, s12
	v_add_co_ci_u32_e32 v54, vcc_lo, s13, v14, vcc_lo
	s_clause 0x1
	global_load_u8 v33, v[33:34], off
	global_load_u8 v34, v[53:54], off
	s_waitcnt vmcnt(1)
	v_cmp_ne_u16_e32 vcc_lo, 0, v33
	s_waitcnt vmcnt(0)
	v_cmp_ne_u16_e64 s0, 0, v34
	s_delay_alu instid0(VALU_DEP_1) | instskip(SKIP_4) | instid1(SALU_CYCLE_1)
	s_xor_b32 s21, vcc_lo, s0
	s_add_u32 s0, s12, 1
	s_addc_u32 s1, s13, 0
	s_and_not1_b32 s20, s20, exec_lo
	s_and_b32 s21, s21, exec_lo
	s_or_b32 s20, s20, s21
.LBB1049_800:                           ;   in Loop: Header=BB1049_801 Depth=1
	v_dual_mov_b32 v34, s13 :: v_dual_mov_b32 v33, s12
	s_and_b32 s21, exec_lo, s20
	s_mov_b64 s[12:13], s[0:1]
	s_or_b32 s19, s21, s19
	s_delay_alu instid0(SALU_CYCLE_1)
	s_and_not1_b32 exec_lo, exec_lo, s19
	s_cbranch_execz .LBB1049_804
.LBB1049_801:                           ; =>This Inner Loop Header: Depth=1
	s_or_b32 s20, s20, exec_lo
	s_cmp_eq_u64 s[8:9], s[12:13]
	s_cbranch_scc0 .LBB1049_799
; %bb.802:                              ;   in Loop: Header=BB1049_801 Depth=1
	s_mov_b64 s[12:13], s[8:9]
                                        ; implicit-def: $sgpr0_sgpr1
	s_branch .LBB1049_800
.LBB1049_803:
	s_mov_b32 s0, 0
	s_branch .LBB1049_806
.LBB1049_804:
	s_set_inst_prefetch_distance 0x2
	s_or_b32 exec_lo, exec_lo, s19
	v_cmp_gt_i64_e32 vcc_lo, s[8:9], v[33:34]
	s_or_not1_b32 s0, vcc_lo, exec_lo
.LBB1049_805:
	s_or_b32 exec_lo, exec_lo, s18
.LBB1049_806:
	s_delay_alu instid0(SALU_CYCLE_1)
	s_and_b32 s0, s0, exec_lo
	s_or_b32 s3, s3, exec_lo
.LBB1049_807:
	s_or_b32 exec_lo, exec_lo, s15
	s_delay_alu instid0(SALU_CYCLE_1)
	s_and_b32 vcc_lo, exec_lo, s14
	s_cbranch_vccz .LBB1049_1072
.LBB1049_808:
	s_waitcnt lgkmcnt(0)
	v_mad_u32_u24 v5, v0, 29, 28
	v_cmp_lt_i64_e64 s15, s[8:9], 1
	v_mul_lo_u32 v15, v71, s9
	v_mul_lo_u32 v16, v72, s8
	v_cmp_gt_i64_e64 s14, s[8:9], 0
	v_cmp_le_u32_e32 vcc_lo, s6, v5
	v_mul_u32_u24_e32 v53, 29, v0
	ds_store_b64 v141, v[119:120]
	v_dual_cndmask_b32 v110, 0, v120 :: v_dual_cndmask_b32 v109, 0, v119
	s_or_b32 s0, vcc_lo, s15
	s_delay_alu instid0(SALU_CYCLE_1) | instskip(NEXT) | instid1(SALU_CYCLE_1)
	s_xor_b32 s0, s0, -1
	s_and_saveexec_b32 s18, s0
	s_cbranch_execz .LBB1049_817
; %bb.809:
	v_mad_u64_u32 v[5:6], null, v119, s8, s[10:11]
	v_mul_lo_u32 v13, v119, s9
	v_mul_lo_u32 v14, v120, s8
	v_mad_u64_u32 v[7:8], null, v71, s8, s[10:11]
	v_mov_b32_e32 v109, 1
	v_mov_b32_e32 v110, 0
	s_delay_alu instid0(VALU_DEP_4) | instskip(NEXT) | instid1(VALU_DEP_4)
	v_add3_u32 v6, v14, v6, v13
	v_add3_u32 v8, v16, v8, v15
	s_clause 0x1
	global_load_u8 v13, v[5:6], off
	global_load_u8 v14, v[7:8], off
	s_waitcnt vmcnt(1)
	v_cmp_ne_u16_e32 vcc_lo, 0, v13
	s_waitcnt vmcnt(0)
	v_cmp_ne_u16_e64 s0, 0, v14
	s_delay_alu instid0(VALU_DEP_1) | instskip(NEXT) | instid1(SALU_CYCLE_1)
	s_xor_b32 s0, vcc_lo, s0
	s_xor_b32 s0, s0, -1
	s_delay_alu instid0(SALU_CYCLE_1)
	s_and_saveexec_b32 s19, s0
	s_cbranch_execz .LBB1049_816
; %bb.810:
	s_mov_b64 s[12:13], 1
	s_mov_b32 s20, 0
                                        ; implicit-def: $sgpr21
	s_set_inst_prefetch_distance 0x1
	s_branch .LBB1049_813
	.p2align	6
.LBB1049_811:                           ;   in Loop: Header=BB1049_813 Depth=1
	v_add_co_u32 v13, vcc_lo, v5, s12
	v_add_co_ci_u32_e32 v14, vcc_lo, s13, v6, vcc_lo
	v_add_co_u32 v33, vcc_lo, v7, s12
	v_add_co_ci_u32_e32 v34, vcc_lo, s13, v8, vcc_lo
	s_clause 0x1
	global_load_u8 v13, v[13:14], off
	global_load_u8 v14, v[33:34], off
	s_waitcnt vmcnt(1)
	v_cmp_ne_u16_e32 vcc_lo, 0, v13
	s_waitcnt vmcnt(0)
	v_cmp_ne_u16_e64 s0, 0, v14
	s_delay_alu instid0(VALU_DEP_1) | instskip(SKIP_4) | instid1(SALU_CYCLE_1)
	s_xor_b32 s22, vcc_lo, s0
	s_add_u32 s0, s12, 1
	s_addc_u32 s1, s13, 0
	s_and_not1_b32 s21, s21, exec_lo
	s_and_b32 s22, s22, exec_lo
	s_or_b32 s21, s21, s22
.LBB1049_812:                           ;   in Loop: Header=BB1049_813 Depth=1
	v_dual_mov_b32 v14, s13 :: v_dual_mov_b32 v13, s12
	s_and_b32 s22, exec_lo, s21
	s_mov_b64 s[12:13], s[0:1]
	s_or_b32 s20, s22, s20
	s_delay_alu instid0(SALU_CYCLE_1)
	s_and_not1_b32 exec_lo, exec_lo, s20
	s_cbranch_execz .LBB1049_815
.LBB1049_813:                           ; =>This Inner Loop Header: Depth=1
	s_or_b32 s21, s21, exec_lo
	s_cmp_eq_u64 s[8:9], s[12:13]
	s_cbranch_scc0 .LBB1049_811
; %bb.814:                              ;   in Loop: Header=BB1049_813 Depth=1
	s_mov_b64 s[12:13], s[8:9]
                                        ; implicit-def: $sgpr0_sgpr1
	s_branch .LBB1049_812
.LBB1049_815:
	s_set_inst_prefetch_distance 0x2
	s_or_b32 exec_lo, exec_lo, s20
	v_cmp_gt_i64_e32 vcc_lo, s[8:9], v[13:14]
	s_mov_b32 s0, 0
	s_delay_alu instid0(SALU_CYCLE_1)
	v_mov_b32_e32 v110, s0
	v_cndmask_b32_e64 v109, 0, 1, vcc_lo
.LBB1049_816:
	s_or_b32 exec_lo, exec_lo, s19
.LBB1049_817:
	s_delay_alu instid0(SALU_CYCLE_1) | instskip(SKIP_3) | instid1(VALU_DEP_3)
	s_or_b32 exec_lo, exec_lo, s18
	v_add_nc_u32_e32 v5, 27, v53
	v_mul_lo_u32 v33, v69, s9
	v_mul_lo_u32 v35, v70, s8
	v_cmp_le_u32_e32 vcc_lo, s6, v5
	v_dual_cndmask_b32 v8, 0, v72 :: v_dual_cndmask_b32 v7, 0, v71
	s_or_b32 s0, vcc_lo, s15
	s_delay_alu instid0(SALU_CYCLE_1) | instskip(NEXT) | instid1(SALU_CYCLE_1)
	s_xor_b32 s0, s0, -1
	s_and_saveexec_b32 s18, s0
	s_cbranch_execz .LBB1049_826
; %bb.818:
	v_mad_u64_u32 v[5:6], null, v71, s8, s[10:11]
	v_mad_u64_u32 v[13:14], null, v69, s8, s[10:11]
	s_mov_b32 s20, 0
	s_delay_alu instid0(VALU_DEP_2) | instskip(NEXT) | instid1(VALU_DEP_2)
	v_add3_u32 v6, v16, v6, v15
	v_add3_u32 v14, v35, v14, v33
	s_clause 0x1
	global_load_u8 v7, v[5:6], off
	global_load_u8 v8, v[13:14], off
	s_waitcnt vmcnt(1)
	v_cmp_ne_u16_e32 vcc_lo, 0, v7
	s_waitcnt vmcnt(0)
	v_cmp_ne_u16_e64 s0, 0, v8
	v_mov_b32_e32 v7, 1
	v_mov_b32_e32 v8, 0
	s_delay_alu instid0(VALU_DEP_3) | instskip(NEXT) | instid1(SALU_CYCLE_1)
	s_xor_b32 s0, vcc_lo, s0
	s_xor_b32 s0, s0, -1
	s_delay_alu instid0(SALU_CYCLE_1)
	s_and_saveexec_b32 s19, s0
	s_cbranch_execz .LBB1049_825
; %bb.819:
	s_mov_b64 s[12:13], 1
                                        ; implicit-def: $sgpr21
	s_set_inst_prefetch_distance 0x1
	s_branch .LBB1049_822
	.p2align	6
.LBB1049_820:                           ;   in Loop: Header=BB1049_822 Depth=1
	v_add_co_u32 v7, vcc_lo, v5, s12
	v_add_co_ci_u32_e32 v8, vcc_lo, s13, v6, vcc_lo
	v_add_co_u32 v15, vcc_lo, v13, s12
	v_add_co_ci_u32_e32 v16, vcc_lo, s13, v14, vcc_lo
	s_clause 0x1
	global_load_u8 v7, v[7:8], off
	global_load_u8 v8, v[15:16], off
	s_waitcnt vmcnt(1)
	v_cmp_ne_u16_e32 vcc_lo, 0, v7
	s_waitcnt vmcnt(0)
	v_cmp_ne_u16_e64 s0, 0, v8
	s_delay_alu instid0(VALU_DEP_1) | instskip(SKIP_4) | instid1(SALU_CYCLE_1)
	s_xor_b32 s22, vcc_lo, s0
	s_add_u32 s0, s12, 1
	s_addc_u32 s1, s13, 0
	s_and_not1_b32 s21, s21, exec_lo
	s_and_b32 s22, s22, exec_lo
	s_or_b32 s21, s21, s22
.LBB1049_821:                           ;   in Loop: Header=BB1049_822 Depth=1
	v_dual_mov_b32 v7, s12 :: v_dual_mov_b32 v8, s13
	s_and_b32 s22, exec_lo, s21
	s_mov_b64 s[12:13], s[0:1]
	s_or_b32 s20, s22, s20
	s_delay_alu instid0(SALU_CYCLE_1)
	s_and_not1_b32 exec_lo, exec_lo, s20
	s_cbranch_execz .LBB1049_824
.LBB1049_822:                           ; =>This Inner Loop Header: Depth=1
	s_or_b32 s21, s21, exec_lo
	s_cmp_eq_u64 s[8:9], s[12:13]
	s_cbranch_scc0 .LBB1049_820
; %bb.823:                              ;   in Loop: Header=BB1049_822 Depth=1
	s_mov_b64 s[12:13], s[8:9]
                                        ; implicit-def: $sgpr0_sgpr1
	s_branch .LBB1049_821
.LBB1049_824:
	s_set_inst_prefetch_distance 0x2
	s_or_b32 exec_lo, exec_lo, s20
	v_cmp_gt_i64_e32 vcc_lo, s[8:9], v[7:8]
	s_mov_b32 s0, 0
	s_delay_alu instid0(SALU_CYCLE_1)
	v_mov_b32_e32 v8, s0
	v_cndmask_b32_e64 v7, 0, 1, vcc_lo
.LBB1049_825:
	s_or_b32 exec_lo, exec_lo, s19
.LBB1049_826:
	s_delay_alu instid0(SALU_CYCLE_1) | instskip(SKIP_3) | instid1(VALU_DEP_3)
	s_or_b32 exec_lo, exec_lo, s18
	v_add_nc_u32_e32 v5, 26, v53
	v_mul_lo_u32 v34, v67, s9
	v_mul_lo_u32 v36, v68, s8
	v_cmp_le_u32_e32 vcc_lo, s6, v5
	v_dual_cndmask_b32 v112, 0, v70 :: v_dual_cndmask_b32 v111, 0, v69
	s_or_b32 s0, vcc_lo, s15
	s_delay_alu instid0(SALU_CYCLE_1) | instskip(NEXT) | instid1(SALU_CYCLE_1)
	s_xor_b32 s0, s0, -1
	s_and_saveexec_b32 s18, s0
	s_cbranch_execz .LBB1049_835
; %bb.827:
	v_mad_u64_u32 v[5:6], null, v69, s8, s[10:11]
	v_mad_u64_u32 v[13:14], null, v67, s8, s[10:11]
	v_mov_b32_e32 v111, 1
	v_mov_b32_e32 v112, 0
	s_delay_alu instid0(VALU_DEP_4) | instskip(NEXT) | instid1(VALU_DEP_4)
	v_add3_u32 v6, v35, v6, v33
	v_add3_u32 v14, v36, v14, v34
	s_clause 0x1
	global_load_u8 v15, v[5:6], off
	global_load_u8 v16, v[13:14], off
	s_waitcnt vmcnt(1)
	v_cmp_ne_u16_e32 vcc_lo, 0, v15
	s_waitcnt vmcnt(0)
	v_cmp_ne_u16_e64 s0, 0, v16
	s_delay_alu instid0(VALU_DEP_1) | instskip(NEXT) | instid1(SALU_CYCLE_1)
	s_xor_b32 s0, vcc_lo, s0
	s_xor_b32 s0, s0, -1
	s_delay_alu instid0(SALU_CYCLE_1)
	s_and_saveexec_b32 s19, s0
	s_cbranch_execz .LBB1049_834
; %bb.828:
	s_mov_b64 s[12:13], 1
	s_mov_b32 s20, 0
                                        ; implicit-def: $sgpr21
	s_set_inst_prefetch_distance 0x1
	s_branch .LBB1049_831
	.p2align	6
.LBB1049_829:                           ;   in Loop: Header=BB1049_831 Depth=1
	v_add_co_u32 v15, vcc_lo, v5, s12
	v_add_co_ci_u32_e32 v16, vcc_lo, s13, v6, vcc_lo
	v_add_co_u32 v54, vcc_lo, v13, s12
	v_add_co_ci_u32_e32 v55, vcc_lo, s13, v14, vcc_lo
	s_clause 0x1
	global_load_u8 v15, v[15:16], off
	global_load_u8 v16, v[54:55], off
	s_waitcnt vmcnt(1)
	v_cmp_ne_u16_e32 vcc_lo, 0, v15
	s_waitcnt vmcnt(0)
	v_cmp_ne_u16_e64 s0, 0, v16
	s_delay_alu instid0(VALU_DEP_1) | instskip(SKIP_4) | instid1(SALU_CYCLE_1)
	s_xor_b32 s22, vcc_lo, s0
	s_add_u32 s0, s12, 1
	s_addc_u32 s1, s13, 0
	s_and_not1_b32 s21, s21, exec_lo
	s_and_b32 s22, s22, exec_lo
	s_or_b32 s21, s21, s22
.LBB1049_830:                           ;   in Loop: Header=BB1049_831 Depth=1
	v_dual_mov_b32 v16, s13 :: v_dual_mov_b32 v15, s12
	s_and_b32 s22, exec_lo, s21
	s_mov_b64 s[12:13], s[0:1]
	s_or_b32 s20, s22, s20
	s_delay_alu instid0(SALU_CYCLE_1)
	s_and_not1_b32 exec_lo, exec_lo, s20
	s_cbranch_execz .LBB1049_833
.LBB1049_831:                           ; =>This Inner Loop Header: Depth=1
	s_or_b32 s21, s21, exec_lo
	s_cmp_eq_u64 s[8:9], s[12:13]
	s_cbranch_scc0 .LBB1049_829
; %bb.832:                              ;   in Loop: Header=BB1049_831 Depth=1
	s_mov_b64 s[12:13], s[8:9]
                                        ; implicit-def: $sgpr0_sgpr1
	s_branch .LBB1049_830
.LBB1049_833:
	s_set_inst_prefetch_distance 0x2
	s_or_b32 exec_lo, exec_lo, s20
	v_cmp_gt_i64_e32 vcc_lo, s[8:9], v[15:16]
	s_mov_b32 s0, 0
	s_delay_alu instid0(SALU_CYCLE_1)
	v_mov_b32_e32 v112, s0
	v_cndmask_b32_e64 v111, 0, 1, vcc_lo
.LBB1049_834:
	s_or_b32 exec_lo, exec_lo, s19
.LBB1049_835:
	s_delay_alu instid0(SALU_CYCLE_1) | instskip(SKIP_3) | instid1(VALU_DEP_3)
	s_or_b32 exec_lo, exec_lo, s18
	v_add_nc_u32_e32 v5, 25, v53
	v_mul_lo_u32 v33, v65, s9
	v_mul_lo_u32 v35, v66, s8
	v_cmp_le_u32_e32 vcc_lo, s6, v5
	v_dual_cndmask_b32 v16, 0, v68 :: v_dual_cndmask_b32 v15, 0, v67
	s_or_b32 s0, vcc_lo, s15
	s_delay_alu instid0(SALU_CYCLE_1) | instskip(NEXT) | instid1(SALU_CYCLE_1)
	s_xor_b32 s0, s0, -1
	s_and_saveexec_b32 s18, s0
	s_cbranch_execz .LBB1049_844
; %bb.836:
	v_mad_u64_u32 v[5:6], null, v67, s8, s[10:11]
	v_mad_u64_u32 v[13:14], null, v65, s8, s[10:11]
	s_mov_b32 s20, 0
	s_delay_alu instid0(VALU_DEP_2) | instskip(NEXT) | instid1(VALU_DEP_2)
	v_add3_u32 v6, v36, v6, v34
	v_add3_u32 v14, v35, v14, v33
	s_clause 0x1
	global_load_u8 v15, v[5:6], off
	global_load_u8 v16, v[13:14], off
	s_waitcnt vmcnt(1)
	v_cmp_ne_u16_e32 vcc_lo, 0, v15
	s_waitcnt vmcnt(0)
	v_cmp_ne_u16_e64 s0, 0, v16
	v_mov_b32_e32 v15, 1
	v_mov_b32_e32 v16, 0
	s_delay_alu instid0(VALU_DEP_3) | instskip(NEXT) | instid1(SALU_CYCLE_1)
	s_xor_b32 s0, vcc_lo, s0
	s_xor_b32 s0, s0, -1
	s_delay_alu instid0(SALU_CYCLE_1)
	s_and_saveexec_b32 s19, s0
	s_cbranch_execz .LBB1049_843
; %bb.837:
	s_mov_b64 s[12:13], 1
                                        ; implicit-def: $sgpr21
	s_set_inst_prefetch_distance 0x1
	s_branch .LBB1049_840
	.p2align	6
.LBB1049_838:                           ;   in Loop: Header=BB1049_840 Depth=1
	v_add_co_u32 v15, vcc_lo, v5, s12
	v_add_co_ci_u32_e32 v16, vcc_lo, s13, v6, vcc_lo
	v_add_co_u32 v54, vcc_lo, v13, s12
	v_add_co_ci_u32_e32 v55, vcc_lo, s13, v14, vcc_lo
	s_clause 0x1
	global_load_u8 v15, v[15:16], off
	global_load_u8 v16, v[54:55], off
	s_waitcnt vmcnt(1)
	v_cmp_ne_u16_e32 vcc_lo, 0, v15
	s_waitcnt vmcnt(0)
	v_cmp_ne_u16_e64 s0, 0, v16
	s_delay_alu instid0(VALU_DEP_1) | instskip(SKIP_4) | instid1(SALU_CYCLE_1)
	s_xor_b32 s22, vcc_lo, s0
	s_add_u32 s0, s12, 1
	s_addc_u32 s1, s13, 0
	s_and_not1_b32 s21, s21, exec_lo
	s_and_b32 s22, s22, exec_lo
	s_or_b32 s21, s21, s22
.LBB1049_839:                           ;   in Loop: Header=BB1049_840 Depth=1
	v_dual_mov_b32 v16, s13 :: v_dual_mov_b32 v15, s12
	s_and_b32 s22, exec_lo, s21
	s_mov_b64 s[12:13], s[0:1]
	s_or_b32 s20, s22, s20
	s_delay_alu instid0(SALU_CYCLE_1)
	s_and_not1_b32 exec_lo, exec_lo, s20
	s_cbranch_execz .LBB1049_842
.LBB1049_840:                           ; =>This Inner Loop Header: Depth=1
	s_or_b32 s21, s21, exec_lo
	s_cmp_eq_u64 s[8:9], s[12:13]
	s_cbranch_scc0 .LBB1049_838
; %bb.841:                              ;   in Loop: Header=BB1049_840 Depth=1
	s_mov_b64 s[12:13], s[8:9]
                                        ; implicit-def: $sgpr0_sgpr1
	s_branch .LBB1049_839
.LBB1049_842:
	s_set_inst_prefetch_distance 0x2
	s_or_b32 exec_lo, exec_lo, s20
	v_cmp_gt_i64_e32 vcc_lo, s[8:9], v[15:16]
	s_mov_b32 s0, 0
	s_delay_alu instid0(SALU_CYCLE_1)
	v_mov_b32_e32 v16, s0
	v_cndmask_b32_e64 v15, 0, 1, vcc_lo
.LBB1049_843:
	s_or_b32 exec_lo, exec_lo, s19
.LBB1049_844:
	s_delay_alu instid0(SALU_CYCLE_1) | instskip(SKIP_3) | instid1(VALU_DEP_3)
	s_or_b32 exec_lo, exec_lo, s18
	v_add_nc_u32_e32 v5, 24, v53
	v_mul_lo_u32 v55, v63, s9
	v_mul_lo_u32 v67, v64, s8
	v_cmp_le_u32_e32 vcc_lo, s6, v5
	v_dual_cndmask_b32 v114, 0, v66 :: v_dual_cndmask_b32 v113, 0, v65
	s_or_b32 s0, vcc_lo, s15
	s_delay_alu instid0(SALU_CYCLE_1) | instskip(NEXT) | instid1(SALU_CYCLE_1)
	s_xor_b32 s0, s0, -1
	s_and_saveexec_b32 s18, s0
	s_cbranch_execz .LBB1049_853
; %bb.845:
	v_mad_u64_u32 v[5:6], null, v65, s8, s[10:11]
	v_mad_u64_u32 v[13:14], null, v63, s8, s[10:11]
	v_mov_b32_e32 v113, 1
	v_mov_b32_e32 v114, 0
	s_delay_alu instid0(VALU_DEP_4) | instskip(NEXT) | instid1(VALU_DEP_4)
	v_add3_u32 v6, v35, v6, v33
	v_add3_u32 v14, v67, v14, v55
	s_clause 0x1
	global_load_u8 v33, v[5:6], off
	global_load_u8 v34, v[13:14], off
	s_waitcnt vmcnt(1)
	v_cmp_ne_u16_e32 vcc_lo, 0, v33
	s_waitcnt vmcnt(0)
	v_cmp_ne_u16_e64 s0, 0, v34
	s_delay_alu instid0(VALU_DEP_1) | instskip(NEXT) | instid1(SALU_CYCLE_1)
	s_xor_b32 s0, vcc_lo, s0
	s_xor_b32 s0, s0, -1
	s_delay_alu instid0(SALU_CYCLE_1)
	s_and_saveexec_b32 s19, s0
	s_cbranch_execz .LBB1049_852
; %bb.846:
	s_mov_b64 s[12:13], 1
	s_mov_b32 s20, 0
                                        ; implicit-def: $sgpr21
	s_set_inst_prefetch_distance 0x1
	s_branch .LBB1049_849
	.p2align	6
.LBB1049_847:                           ;   in Loop: Header=BB1049_849 Depth=1
	v_add_co_u32 v33, vcc_lo, v5, s12
	v_add_co_ci_u32_e32 v34, vcc_lo, s13, v6, vcc_lo
	v_add_co_u32 v35, vcc_lo, v13, s12
	v_add_co_ci_u32_e32 v36, vcc_lo, s13, v14, vcc_lo
	s_clause 0x1
	global_load_u8 v33, v[33:34], off
	global_load_u8 v34, v[35:36], off
	s_waitcnt vmcnt(1)
	v_cmp_ne_u16_e32 vcc_lo, 0, v33
	s_waitcnt vmcnt(0)
	v_cmp_ne_u16_e64 s0, 0, v34
	s_delay_alu instid0(VALU_DEP_1) | instskip(SKIP_4) | instid1(SALU_CYCLE_1)
	s_xor_b32 s22, vcc_lo, s0
	s_add_u32 s0, s12, 1
	s_addc_u32 s1, s13, 0
	s_and_not1_b32 s21, s21, exec_lo
	s_and_b32 s22, s22, exec_lo
	s_or_b32 s21, s21, s22
.LBB1049_848:                           ;   in Loop: Header=BB1049_849 Depth=1
	v_dual_mov_b32 v34, s13 :: v_dual_mov_b32 v33, s12
	s_and_b32 s22, exec_lo, s21
	s_mov_b64 s[12:13], s[0:1]
	s_or_b32 s20, s22, s20
	s_delay_alu instid0(SALU_CYCLE_1)
	s_and_not1_b32 exec_lo, exec_lo, s20
	s_cbranch_execz .LBB1049_851
.LBB1049_849:                           ; =>This Inner Loop Header: Depth=1
	s_or_b32 s21, s21, exec_lo
	s_cmp_eq_u64 s[8:9], s[12:13]
	s_cbranch_scc0 .LBB1049_847
; %bb.850:                              ;   in Loop: Header=BB1049_849 Depth=1
	s_mov_b64 s[12:13], s[8:9]
                                        ; implicit-def: $sgpr0_sgpr1
	s_branch .LBB1049_848
.LBB1049_851:
	s_set_inst_prefetch_distance 0x2
	s_or_b32 exec_lo, exec_lo, s20
	v_cmp_gt_i64_e32 vcc_lo, s[8:9], v[33:34]
	s_mov_b32 s0, 0
	s_delay_alu instid0(SALU_CYCLE_1)
	v_mov_b32_e32 v114, s0
	v_cndmask_b32_e64 v113, 0, 1, vcc_lo
.LBB1049_852:
	s_or_b32 exec_lo, exec_lo, s19
.LBB1049_853:
	s_delay_alu instid0(SALU_CYCLE_1) | instskip(SKIP_3) | instid1(VALU_DEP_3)
	s_or_b32 exec_lo, exec_lo, s18
	v_add_nc_u32_e32 v5, 23, v53
	v_mul_lo_u32 v54, v61, s9
	v_mul_lo_u32 v56, v62, s8
	v_cmp_le_u32_e32 vcc_lo, s6, v5
	v_dual_cndmask_b32 v36, 0, v64 :: v_dual_cndmask_b32 v35, 0, v63
	s_or_b32 s0, vcc_lo, s15
	s_delay_alu instid0(SALU_CYCLE_1) | instskip(NEXT) | instid1(SALU_CYCLE_1)
	s_xor_b32 s0, s0, -1
	s_and_saveexec_b32 s18, s0
	s_cbranch_execz .LBB1049_862
; %bb.854:
	v_mad_u64_u32 v[5:6], null, v63, s8, s[10:11]
	v_mad_u64_u32 v[13:14], null, v61, s8, s[10:11]
	v_mov_b32_e32 v35, 1
	v_mov_b32_e32 v36, 0
	s_mov_b32 s20, 0
	s_delay_alu instid0(VALU_DEP_4) | instskip(NEXT) | instid1(VALU_DEP_4)
	v_add3_u32 v6, v67, v6, v55
	v_add3_u32 v14, v56, v14, v54
	s_clause 0x1
	global_load_u8 v33, v[5:6], off
	global_load_u8 v34, v[13:14], off
	s_waitcnt vmcnt(1)
	v_cmp_ne_u16_e32 vcc_lo, 0, v33
	s_waitcnt vmcnt(0)
	v_cmp_ne_u16_e64 s0, 0, v34
	s_delay_alu instid0(VALU_DEP_1) | instskip(NEXT) | instid1(SALU_CYCLE_1)
	s_xor_b32 s0, vcc_lo, s0
	s_xor_b32 s0, s0, -1
	s_delay_alu instid0(SALU_CYCLE_1)
	s_and_saveexec_b32 s19, s0
	s_cbranch_execz .LBB1049_861
; %bb.855:
	s_mov_b64 s[12:13], 1
                                        ; implicit-def: $sgpr21
	s_set_inst_prefetch_distance 0x1
	s_branch .LBB1049_858
	.p2align	6
.LBB1049_856:                           ;   in Loop: Header=BB1049_858 Depth=1
	v_add_co_u32 v33, vcc_lo, v5, s12
	v_add_co_ci_u32_e32 v34, vcc_lo, s13, v6, vcc_lo
	v_add_co_u32 v35, vcc_lo, v13, s12
	v_add_co_ci_u32_e32 v36, vcc_lo, s13, v14, vcc_lo
	s_clause 0x1
	global_load_u8 v33, v[33:34], off
	global_load_u8 v34, v[35:36], off
	s_waitcnt vmcnt(1)
	v_cmp_ne_u16_e32 vcc_lo, 0, v33
	s_waitcnt vmcnt(0)
	v_cmp_ne_u16_e64 s0, 0, v34
	s_delay_alu instid0(VALU_DEP_1) | instskip(SKIP_4) | instid1(SALU_CYCLE_1)
	s_xor_b32 s22, vcc_lo, s0
	s_add_u32 s0, s12, 1
	s_addc_u32 s1, s13, 0
	s_and_not1_b32 s21, s21, exec_lo
	s_and_b32 s22, s22, exec_lo
	s_or_b32 s21, s21, s22
.LBB1049_857:                           ;   in Loop: Header=BB1049_858 Depth=1
	v_dual_mov_b32 v34, s13 :: v_dual_mov_b32 v33, s12
	s_and_b32 s22, exec_lo, s21
	s_mov_b64 s[12:13], s[0:1]
	s_or_b32 s20, s22, s20
	s_delay_alu instid0(SALU_CYCLE_1)
	s_and_not1_b32 exec_lo, exec_lo, s20
	s_cbranch_execz .LBB1049_860
.LBB1049_858:                           ; =>This Inner Loop Header: Depth=1
	s_or_b32 s21, s21, exec_lo
	s_cmp_eq_u64 s[8:9], s[12:13]
	s_cbranch_scc0 .LBB1049_856
; %bb.859:                              ;   in Loop: Header=BB1049_858 Depth=1
	s_mov_b64 s[12:13], s[8:9]
                                        ; implicit-def: $sgpr0_sgpr1
	s_branch .LBB1049_857
.LBB1049_860:
	s_set_inst_prefetch_distance 0x2
	s_or_b32 exec_lo, exec_lo, s20
	v_cmp_gt_i64_e32 vcc_lo, s[8:9], v[33:34]
	s_mov_b32 s0, 0
	s_delay_alu instid0(SALU_CYCLE_1)
	v_mov_b32_e32 v36, s0
	v_cndmask_b32_e64 v35, 0, 1, vcc_lo
.LBB1049_861:
	s_or_b32 exec_lo, exec_lo, s19
.LBB1049_862:
	s_delay_alu instid0(SALU_CYCLE_1) | instskip(SKIP_3) | instid1(VALU_DEP_3)
	s_or_b32 exec_lo, exec_lo, s18
	v_add_nc_u32_e32 v5, 22, v53
	v_mul_lo_u32 v63, v59, s9
	v_mul_lo_u32 v64, v60, s8
	v_cmp_le_u32_e32 vcc_lo, s6, v5
	v_dual_cndmask_b32 v116, 0, v62 :: v_dual_cndmask_b32 v115, 0, v61
	s_or_b32 s0, vcc_lo, s15
	s_delay_alu instid0(SALU_CYCLE_1) | instskip(NEXT) | instid1(SALU_CYCLE_1)
	s_xor_b32 s0, s0, -1
	s_and_saveexec_b32 s18, s0
	s_cbranch_execz .LBB1049_871
; %bb.863:
	v_mad_u64_u32 v[5:6], null, v61, s8, s[10:11]
	v_mad_u64_u32 v[13:14], null, v59, s8, s[10:11]
	v_mov_b32_e32 v115, 1
	v_mov_b32_e32 v116, 0
	s_delay_alu instid0(VALU_DEP_4) | instskip(NEXT) | instid1(VALU_DEP_4)
	v_add3_u32 v6, v56, v6, v54
	v_add3_u32 v14, v64, v14, v63
	s_clause 0x1
	global_load_u8 v33, v[5:6], off
	global_load_u8 v34, v[13:14], off
	s_waitcnt vmcnt(1)
	v_cmp_ne_u16_e32 vcc_lo, 0, v33
	s_waitcnt vmcnt(0)
	v_cmp_ne_u16_e64 s0, 0, v34
	s_delay_alu instid0(VALU_DEP_1) | instskip(NEXT) | instid1(SALU_CYCLE_1)
	s_xor_b32 s0, vcc_lo, s0
	s_xor_b32 s0, s0, -1
	s_delay_alu instid0(SALU_CYCLE_1)
	s_and_saveexec_b32 s19, s0
	s_cbranch_execz .LBB1049_870
; %bb.864:
	s_mov_b64 s[12:13], 1
	s_mov_b32 s20, 0
                                        ; implicit-def: $sgpr21
	s_set_inst_prefetch_distance 0x1
	s_branch .LBB1049_867
	.p2align	6
.LBB1049_865:                           ;   in Loop: Header=BB1049_867 Depth=1
	v_add_co_u32 v33, vcc_lo, v5, s12
	v_add_co_ci_u32_e32 v34, vcc_lo, s13, v6, vcc_lo
	v_add_co_u32 v54, vcc_lo, v13, s12
	v_add_co_ci_u32_e32 v55, vcc_lo, s13, v14, vcc_lo
	s_clause 0x1
	global_load_u8 v33, v[33:34], off
	global_load_u8 v34, v[54:55], off
	s_waitcnt vmcnt(1)
	v_cmp_ne_u16_e32 vcc_lo, 0, v33
	s_waitcnt vmcnt(0)
	v_cmp_ne_u16_e64 s0, 0, v34
	s_delay_alu instid0(VALU_DEP_1) | instskip(SKIP_4) | instid1(SALU_CYCLE_1)
	s_xor_b32 s22, vcc_lo, s0
	s_add_u32 s0, s12, 1
	s_addc_u32 s1, s13, 0
	s_and_not1_b32 s21, s21, exec_lo
	s_and_b32 s22, s22, exec_lo
	s_or_b32 s21, s21, s22
.LBB1049_866:                           ;   in Loop: Header=BB1049_867 Depth=1
	v_dual_mov_b32 v34, s13 :: v_dual_mov_b32 v33, s12
	s_and_b32 s22, exec_lo, s21
	s_mov_b64 s[12:13], s[0:1]
	s_or_b32 s20, s22, s20
	s_delay_alu instid0(SALU_CYCLE_1)
	s_and_not1_b32 exec_lo, exec_lo, s20
	s_cbranch_execz .LBB1049_869
.LBB1049_867:                           ; =>This Inner Loop Header: Depth=1
	s_or_b32 s21, s21, exec_lo
	s_cmp_eq_u64 s[8:9], s[12:13]
	s_cbranch_scc0 .LBB1049_865
; %bb.868:                              ;   in Loop: Header=BB1049_867 Depth=1
	s_mov_b64 s[12:13], s[8:9]
                                        ; implicit-def: $sgpr0_sgpr1
	s_branch .LBB1049_866
.LBB1049_869:
	s_set_inst_prefetch_distance 0x2
	s_or_b32 exec_lo, exec_lo, s20
	v_cmp_gt_i64_e32 vcc_lo, s[8:9], v[33:34]
	s_mov_b32 s0, 0
	s_delay_alu instid0(SALU_CYCLE_1)
	v_mov_b32_e32 v116, s0
	v_cndmask_b32_e64 v115, 0, 1, vcc_lo
.LBB1049_870:
	s_or_b32 exec_lo, exec_lo, s19
.LBB1049_871:
	s_delay_alu instid0(SALU_CYCLE_1) | instskip(SKIP_3) | instid1(VALU_DEP_3)
	s_or_b32 exec_lo, exec_lo, s18
	v_add_nc_u32_e32 v5, 21, v53
	v_mul_lo_u32 v54, v57, s9
	v_mul_lo_u32 v61, v58, s8
	v_cmp_le_u32_e32 vcc_lo, s6, v5
	v_dual_cndmask_b32 v56, 0, v60 :: v_dual_cndmask_b32 v55, 0, v59
	s_or_b32 s0, vcc_lo, s15
	s_delay_alu instid0(SALU_CYCLE_1) | instskip(NEXT) | instid1(SALU_CYCLE_1)
	s_xor_b32 s0, s0, -1
	s_and_saveexec_b32 s18, s0
	s_cbranch_execz .LBB1049_880
; %bb.872:
	v_mad_u64_u32 v[5:6], null, v59, s8, s[10:11]
	v_mad_u64_u32 v[13:14], null, v57, s8, s[10:11]
	v_mov_b32_e32 v55, 1
	v_mov_b32_e32 v56, 0
	s_mov_b32 s20, 0
	s_delay_alu instid0(VALU_DEP_4) | instskip(NEXT) | instid1(VALU_DEP_4)
	v_add3_u32 v6, v64, v6, v63
	v_add3_u32 v14, v61, v14, v54
	s_clause 0x1
	global_load_u8 v33, v[5:6], off
	global_load_u8 v34, v[13:14], off
	s_waitcnt vmcnt(1)
	v_cmp_ne_u16_e32 vcc_lo, 0, v33
	s_waitcnt vmcnt(0)
	v_cmp_ne_u16_e64 s0, 0, v34
	s_delay_alu instid0(VALU_DEP_1) | instskip(NEXT) | instid1(SALU_CYCLE_1)
	s_xor_b32 s0, vcc_lo, s0
	s_xor_b32 s0, s0, -1
	s_delay_alu instid0(SALU_CYCLE_1)
	s_and_saveexec_b32 s19, s0
	s_cbranch_execz .LBB1049_879
; %bb.873:
	s_mov_b64 s[12:13], 1
                                        ; implicit-def: $sgpr21
	s_set_inst_prefetch_distance 0x1
	s_branch .LBB1049_876
	.p2align	6
.LBB1049_874:                           ;   in Loop: Header=BB1049_876 Depth=1
	v_add_co_u32 v33, vcc_lo, v5, s12
	v_add_co_ci_u32_e32 v34, vcc_lo, s13, v6, vcc_lo
	v_add_co_u32 v55, vcc_lo, v13, s12
	v_add_co_ci_u32_e32 v56, vcc_lo, s13, v14, vcc_lo
	s_clause 0x1
	global_load_u8 v33, v[33:34], off
	global_load_u8 v34, v[55:56], off
	s_waitcnt vmcnt(1)
	v_cmp_ne_u16_e32 vcc_lo, 0, v33
	s_waitcnt vmcnt(0)
	v_cmp_ne_u16_e64 s0, 0, v34
	s_delay_alu instid0(VALU_DEP_1) | instskip(SKIP_4) | instid1(SALU_CYCLE_1)
	s_xor_b32 s22, vcc_lo, s0
	s_add_u32 s0, s12, 1
	s_addc_u32 s1, s13, 0
	s_and_not1_b32 s21, s21, exec_lo
	s_and_b32 s22, s22, exec_lo
	s_or_b32 s21, s21, s22
.LBB1049_875:                           ;   in Loop: Header=BB1049_876 Depth=1
	v_dual_mov_b32 v34, s13 :: v_dual_mov_b32 v33, s12
	s_and_b32 s22, exec_lo, s21
	s_mov_b64 s[12:13], s[0:1]
	s_or_b32 s20, s22, s20
	s_delay_alu instid0(SALU_CYCLE_1)
	s_and_not1_b32 exec_lo, exec_lo, s20
	s_cbranch_execz .LBB1049_878
.LBB1049_876:                           ; =>This Inner Loop Header: Depth=1
	s_or_b32 s21, s21, exec_lo
	s_cmp_eq_u64 s[8:9], s[12:13]
	s_cbranch_scc0 .LBB1049_874
; %bb.877:                              ;   in Loop: Header=BB1049_876 Depth=1
	s_mov_b64 s[12:13], s[8:9]
                                        ; implicit-def: $sgpr0_sgpr1
	s_branch .LBB1049_875
.LBB1049_878:
	s_set_inst_prefetch_distance 0x2
	s_or_b32 exec_lo, exec_lo, s20
	v_cmp_gt_i64_e32 vcc_lo, s[8:9], v[33:34]
	s_mov_b32 s0, 0
	s_delay_alu instid0(SALU_CYCLE_1)
	v_mov_b32_e32 v56, s0
	v_cndmask_b32_e64 v55, 0, 1, vcc_lo
.LBB1049_879:
	s_or_b32 exec_lo, exec_lo, s19
.LBB1049_880:
	s_delay_alu instid0(SALU_CYCLE_1) | instskip(SKIP_3) | instid1(VALU_DEP_3)
	s_or_b32 exec_lo, exec_lo, s18
	v_add_nc_u32_e32 v5, 20, v53
	v_mul_lo_u32 v59, v51, s9
	v_mul_lo_u32 v60, v52, s8
	v_cmp_le_u32_e32 vcc_lo, s6, v5
	v_dual_cndmask_b32 v118, 0, v58 :: v_dual_cndmask_b32 v117, 0, v57
	s_or_b32 s0, vcc_lo, s15
	s_delay_alu instid0(SALU_CYCLE_1) | instskip(NEXT) | instid1(SALU_CYCLE_1)
	s_xor_b32 s0, s0, -1
	s_and_saveexec_b32 s18, s0
	s_cbranch_execz .LBB1049_889
; %bb.881:
	v_mad_u64_u32 v[5:6], null, v57, s8, s[10:11]
	v_mad_u64_u32 v[13:14], null, v51, s8, s[10:11]
	v_mov_b32_e32 v117, 1
	v_mov_b32_e32 v118, 0
	s_delay_alu instid0(VALU_DEP_4) | instskip(NEXT) | instid1(VALU_DEP_4)
	v_add3_u32 v6, v61, v6, v54
	v_add3_u32 v14, v60, v14, v59
	s_clause 0x1
	global_load_u8 v33, v[5:6], off
	global_load_u8 v34, v[13:14], off
	s_waitcnt vmcnt(1)
	v_cmp_ne_u16_e32 vcc_lo, 0, v33
	s_waitcnt vmcnt(0)
	v_cmp_ne_u16_e64 s0, 0, v34
	s_delay_alu instid0(VALU_DEP_1) | instskip(NEXT) | instid1(SALU_CYCLE_1)
	s_xor_b32 s0, vcc_lo, s0
	s_xor_b32 s0, s0, -1
	s_delay_alu instid0(SALU_CYCLE_1)
	s_and_saveexec_b32 s19, s0
	s_cbranch_execz .LBB1049_888
; %bb.882:
	s_mov_b64 s[12:13], 1
	s_mov_b32 s20, 0
                                        ; implicit-def: $sgpr21
	s_set_inst_prefetch_distance 0x1
	s_branch .LBB1049_885
	.p2align	6
.LBB1049_883:                           ;   in Loop: Header=BB1049_885 Depth=1
	v_add_co_u32 v33, vcc_lo, v5, s12
	v_add_co_ci_u32_e32 v34, vcc_lo, s13, v6, vcc_lo
	v_add_co_u32 v57, vcc_lo, v13, s12
	v_add_co_ci_u32_e32 v58, vcc_lo, s13, v14, vcc_lo
	s_clause 0x1
	global_load_u8 v33, v[33:34], off
	global_load_u8 v34, v[57:58], off
	s_waitcnt vmcnt(1)
	v_cmp_ne_u16_e32 vcc_lo, 0, v33
	s_waitcnt vmcnt(0)
	v_cmp_ne_u16_e64 s0, 0, v34
	s_delay_alu instid0(VALU_DEP_1) | instskip(SKIP_4) | instid1(SALU_CYCLE_1)
	s_xor_b32 s22, vcc_lo, s0
	s_add_u32 s0, s12, 1
	s_addc_u32 s1, s13, 0
	s_and_not1_b32 s21, s21, exec_lo
	s_and_b32 s22, s22, exec_lo
	s_or_b32 s21, s21, s22
.LBB1049_884:                           ;   in Loop: Header=BB1049_885 Depth=1
	v_dual_mov_b32 v34, s13 :: v_dual_mov_b32 v33, s12
	s_and_b32 s22, exec_lo, s21
	s_mov_b64 s[12:13], s[0:1]
	s_or_b32 s20, s22, s20
	s_delay_alu instid0(SALU_CYCLE_1)
	s_and_not1_b32 exec_lo, exec_lo, s20
	s_cbranch_execz .LBB1049_887
.LBB1049_885:                           ; =>This Inner Loop Header: Depth=1
	s_or_b32 s21, s21, exec_lo
	s_cmp_eq_u64 s[8:9], s[12:13]
	s_cbranch_scc0 .LBB1049_883
; %bb.886:                              ;   in Loop: Header=BB1049_885 Depth=1
	s_mov_b64 s[12:13], s[8:9]
                                        ; implicit-def: $sgpr0_sgpr1
	s_branch .LBB1049_884
.LBB1049_887:
	s_set_inst_prefetch_distance 0x2
	s_or_b32 exec_lo, exec_lo, s20
	v_cmp_gt_i64_e32 vcc_lo, s[8:9], v[33:34]
	s_mov_b32 s0, 0
	s_delay_alu instid0(SALU_CYCLE_1)
	v_mov_b32_e32 v118, s0
	v_cndmask_b32_e64 v117, 0, 1, vcc_lo
.LBB1049_888:
	s_or_b32 exec_lo, exec_lo, s19
.LBB1049_889:
	s_delay_alu instid0(SALU_CYCLE_1) | instskip(SKIP_3) | instid1(VALU_DEP_3)
	s_or_b32 exec_lo, exec_lo, s18
	v_add_nc_u32_e32 v5, 19, v53
	v_mul_lo_u32 v54, v49, s9
	v_mul_lo_u32 v57, v50, s8
	v_cmp_le_u32_e32 vcc_lo, s6, v5
	v_dual_cndmask_b32 v76, 0, v52 :: v_dual_cndmask_b32 v75, 0, v51
	s_or_b32 s0, vcc_lo, s15
	s_delay_alu instid0(SALU_CYCLE_1) | instskip(NEXT) | instid1(SALU_CYCLE_1)
	s_xor_b32 s0, s0, -1
	s_and_saveexec_b32 s18, s0
	s_cbranch_execz .LBB1049_898
; %bb.890:
	v_mad_u64_u32 v[5:6], null, v51, s8, s[10:11]
	v_mad_u64_u32 v[13:14], null, v49, s8, s[10:11]
	v_mov_b32_e32 v75, 1
	v_mov_b32_e32 v76, 0
	s_mov_b32 s20, 0
	s_delay_alu instid0(VALU_DEP_4) | instskip(NEXT) | instid1(VALU_DEP_4)
	v_add3_u32 v6, v60, v6, v59
	v_add3_u32 v14, v57, v14, v54
	s_clause 0x1
	global_load_u8 v33, v[5:6], off
	global_load_u8 v34, v[13:14], off
	s_waitcnt vmcnt(1)
	v_cmp_ne_u16_e32 vcc_lo, 0, v33
	s_waitcnt vmcnt(0)
	v_cmp_ne_u16_e64 s0, 0, v34
	s_delay_alu instid0(VALU_DEP_1) | instskip(NEXT) | instid1(SALU_CYCLE_1)
	s_xor_b32 s0, vcc_lo, s0
	s_xor_b32 s0, s0, -1
	s_delay_alu instid0(SALU_CYCLE_1)
	s_and_saveexec_b32 s19, s0
	s_cbranch_execz .LBB1049_897
; %bb.891:
	s_mov_b64 s[12:13], 1
                                        ; implicit-def: $sgpr21
	s_set_inst_prefetch_distance 0x1
	s_branch .LBB1049_894
	.p2align	6
.LBB1049_892:                           ;   in Loop: Header=BB1049_894 Depth=1
	v_add_co_u32 v33, vcc_lo, v5, s12
	v_add_co_ci_u32_e32 v34, vcc_lo, s13, v6, vcc_lo
	v_add_co_u32 v51, vcc_lo, v13, s12
	v_add_co_ci_u32_e32 v52, vcc_lo, s13, v14, vcc_lo
	s_clause 0x1
	global_load_u8 v33, v[33:34], off
	global_load_u8 v34, v[51:52], off
	s_waitcnt vmcnt(1)
	v_cmp_ne_u16_e32 vcc_lo, 0, v33
	s_waitcnt vmcnt(0)
	v_cmp_ne_u16_e64 s0, 0, v34
	s_delay_alu instid0(VALU_DEP_1) | instskip(SKIP_4) | instid1(SALU_CYCLE_1)
	s_xor_b32 s22, vcc_lo, s0
	s_add_u32 s0, s12, 1
	s_addc_u32 s1, s13, 0
	s_and_not1_b32 s21, s21, exec_lo
	s_and_b32 s22, s22, exec_lo
	s_or_b32 s21, s21, s22
.LBB1049_893:                           ;   in Loop: Header=BB1049_894 Depth=1
	v_dual_mov_b32 v34, s13 :: v_dual_mov_b32 v33, s12
	s_and_b32 s22, exec_lo, s21
	s_mov_b64 s[12:13], s[0:1]
	s_or_b32 s20, s22, s20
	s_delay_alu instid0(SALU_CYCLE_1)
	s_and_not1_b32 exec_lo, exec_lo, s20
	s_cbranch_execz .LBB1049_896
.LBB1049_894:                           ; =>This Inner Loop Header: Depth=1
	s_or_b32 s21, s21, exec_lo
	s_cmp_eq_u64 s[8:9], s[12:13]
	s_cbranch_scc0 .LBB1049_892
; %bb.895:                              ;   in Loop: Header=BB1049_894 Depth=1
	s_mov_b64 s[12:13], s[8:9]
                                        ; implicit-def: $sgpr0_sgpr1
	s_branch .LBB1049_893
.LBB1049_896:
	s_set_inst_prefetch_distance 0x2
	s_or_b32 exec_lo, exec_lo, s20
	v_cmp_gt_i64_e32 vcc_lo, s[8:9], v[33:34]
	s_mov_b32 s0, 0
	s_delay_alu instid0(SALU_CYCLE_1)
	v_mov_b32_e32 v76, s0
	v_cndmask_b32_e64 v75, 0, 1, vcc_lo
.LBB1049_897:
	s_or_b32 exec_lo, exec_lo, s19
.LBB1049_898:
	s_delay_alu instid0(SALU_CYCLE_1) | instskip(SKIP_3) | instid1(VALU_DEP_3)
	s_or_b32 exec_lo, exec_lo, s18
	v_add_nc_u32_e32 v5, 18, v53
	v_mul_lo_u32 v51, v47, s9
	v_mul_lo_u32 v52, v48, s8
	v_cmp_le_u32_e32 vcc_lo, s6, v5
	v_dual_cndmask_b32 v122, 0, v50 :: v_dual_cndmask_b32 v121, 0, v49
	s_or_b32 s0, vcc_lo, s15
	s_delay_alu instid0(SALU_CYCLE_1) | instskip(NEXT) | instid1(SALU_CYCLE_1)
	s_xor_b32 s0, s0, -1
	s_and_saveexec_b32 s18, s0
	s_cbranch_execz .LBB1049_907
; %bb.899:
	v_mad_u64_u32 v[5:6], null, v49, s8, s[10:11]
	v_mad_u64_u32 v[13:14], null, v47, s8, s[10:11]
	v_mov_b32_e32 v121, 1
	v_mov_b32_e32 v122, 0
	s_delay_alu instid0(VALU_DEP_4) | instskip(NEXT) | instid1(VALU_DEP_4)
	v_add3_u32 v6, v57, v6, v54
	v_add3_u32 v14, v52, v14, v51
	s_clause 0x1
	global_load_u8 v33, v[5:6], off
	global_load_u8 v34, v[13:14], off
	s_waitcnt vmcnt(1)
	v_cmp_ne_u16_e32 vcc_lo, 0, v33
	s_waitcnt vmcnt(0)
	v_cmp_ne_u16_e64 s0, 0, v34
	s_delay_alu instid0(VALU_DEP_1) | instskip(NEXT) | instid1(SALU_CYCLE_1)
	s_xor_b32 s0, vcc_lo, s0
	s_xor_b32 s0, s0, -1
	s_delay_alu instid0(SALU_CYCLE_1)
	s_and_saveexec_b32 s19, s0
	s_cbranch_execz .LBB1049_906
; %bb.900:
	s_mov_b64 s[12:13], 1
	s_mov_b32 s20, 0
                                        ; implicit-def: $sgpr21
	s_set_inst_prefetch_distance 0x1
	s_branch .LBB1049_903
	.p2align	6
.LBB1049_901:                           ;   in Loop: Header=BB1049_903 Depth=1
	v_add_co_u32 v33, vcc_lo, v5, s12
	v_add_co_ci_u32_e32 v34, vcc_lo, s13, v6, vcc_lo
	v_add_co_u32 v49, vcc_lo, v13, s12
	v_add_co_ci_u32_e32 v50, vcc_lo, s13, v14, vcc_lo
	s_clause 0x1
	global_load_u8 v33, v[33:34], off
	global_load_u8 v34, v[49:50], off
	s_waitcnt vmcnt(1)
	v_cmp_ne_u16_e32 vcc_lo, 0, v33
	s_waitcnt vmcnt(0)
	v_cmp_ne_u16_e64 s0, 0, v34
	s_delay_alu instid0(VALU_DEP_1) | instskip(SKIP_4) | instid1(SALU_CYCLE_1)
	s_xor_b32 s22, vcc_lo, s0
	s_add_u32 s0, s12, 1
	s_addc_u32 s1, s13, 0
	s_and_not1_b32 s21, s21, exec_lo
	s_and_b32 s22, s22, exec_lo
	s_or_b32 s21, s21, s22
.LBB1049_902:                           ;   in Loop: Header=BB1049_903 Depth=1
	v_dual_mov_b32 v34, s13 :: v_dual_mov_b32 v33, s12
	s_and_b32 s22, exec_lo, s21
	s_mov_b64 s[12:13], s[0:1]
	s_or_b32 s20, s22, s20
	s_delay_alu instid0(SALU_CYCLE_1)
	s_and_not1_b32 exec_lo, exec_lo, s20
	s_cbranch_execz .LBB1049_905
.LBB1049_903:                           ; =>This Inner Loop Header: Depth=1
	s_or_b32 s21, s21, exec_lo
	s_cmp_eq_u64 s[8:9], s[12:13]
	s_cbranch_scc0 .LBB1049_901
; %bb.904:                              ;   in Loop: Header=BB1049_903 Depth=1
	s_mov_b64 s[12:13], s[8:9]
                                        ; implicit-def: $sgpr0_sgpr1
	s_branch .LBB1049_902
.LBB1049_905:
	s_set_inst_prefetch_distance 0x2
	s_or_b32 exec_lo, exec_lo, s20
	v_cmp_gt_i64_e32 vcc_lo, s[8:9], v[33:34]
	s_mov_b32 s0, 0
	s_delay_alu instid0(SALU_CYCLE_1)
	v_mov_b32_e32 v122, s0
	v_cndmask_b32_e64 v121, 0, 1, vcc_lo
.LBB1049_906:
	s_or_b32 exec_lo, exec_lo, s19
.LBB1049_907:
	s_delay_alu instid0(SALU_CYCLE_1) | instskip(SKIP_3) | instid1(VALU_DEP_3)
	s_or_b32 exec_lo, exec_lo, s18
	v_add_nc_u32_e32 v5, 17, v53
	v_mul_lo_u32 v49, v45, s9
	v_mul_lo_u32 v50, v46, s8
	v_cmp_le_u32_e32 vcc_lo, s6, v5
	v_dual_cndmask_b32 v80, 0, v48 :: v_dual_cndmask_b32 v79, 0, v47
	s_or_b32 s0, vcc_lo, s15
	s_delay_alu instid0(SALU_CYCLE_1) | instskip(NEXT) | instid1(SALU_CYCLE_1)
	s_xor_b32 s0, s0, -1
	s_and_saveexec_b32 s18, s0
	s_cbranch_execz .LBB1049_916
; %bb.908:
	v_mad_u64_u32 v[5:6], null, v47, s8, s[10:11]
	v_mad_u64_u32 v[13:14], null, v45, s8, s[10:11]
	v_mov_b32_e32 v79, 1
	v_mov_b32_e32 v80, 0
	s_mov_b32 s20, 0
	s_delay_alu instid0(VALU_DEP_4) | instskip(NEXT) | instid1(VALU_DEP_4)
	v_add3_u32 v6, v52, v6, v51
	v_add3_u32 v14, v50, v14, v49
	s_clause 0x1
	global_load_u8 v33, v[5:6], off
	global_load_u8 v34, v[13:14], off
	s_waitcnt vmcnt(1)
	v_cmp_ne_u16_e32 vcc_lo, 0, v33
	s_waitcnt vmcnt(0)
	v_cmp_ne_u16_e64 s0, 0, v34
	s_delay_alu instid0(VALU_DEP_1) | instskip(NEXT) | instid1(SALU_CYCLE_1)
	s_xor_b32 s0, vcc_lo, s0
	s_xor_b32 s0, s0, -1
	s_delay_alu instid0(SALU_CYCLE_1)
	s_and_saveexec_b32 s19, s0
	s_cbranch_execz .LBB1049_915
; %bb.909:
	s_mov_b64 s[12:13], 1
                                        ; implicit-def: $sgpr21
	s_set_inst_prefetch_distance 0x1
	s_branch .LBB1049_912
	.p2align	6
.LBB1049_910:                           ;   in Loop: Header=BB1049_912 Depth=1
	v_add_co_u32 v33, vcc_lo, v5, s12
	v_add_co_ci_u32_e32 v34, vcc_lo, s13, v6, vcc_lo
	v_add_co_u32 v47, vcc_lo, v13, s12
	v_add_co_ci_u32_e32 v48, vcc_lo, s13, v14, vcc_lo
	s_clause 0x1
	global_load_u8 v33, v[33:34], off
	global_load_u8 v34, v[47:48], off
	s_waitcnt vmcnt(1)
	v_cmp_ne_u16_e32 vcc_lo, 0, v33
	s_waitcnt vmcnt(0)
	v_cmp_ne_u16_e64 s0, 0, v34
	s_delay_alu instid0(VALU_DEP_1) | instskip(SKIP_4) | instid1(SALU_CYCLE_1)
	s_xor_b32 s22, vcc_lo, s0
	s_add_u32 s0, s12, 1
	s_addc_u32 s1, s13, 0
	s_and_not1_b32 s21, s21, exec_lo
	s_and_b32 s22, s22, exec_lo
	s_or_b32 s21, s21, s22
.LBB1049_911:                           ;   in Loop: Header=BB1049_912 Depth=1
	v_dual_mov_b32 v34, s13 :: v_dual_mov_b32 v33, s12
	s_and_b32 s22, exec_lo, s21
	s_mov_b64 s[12:13], s[0:1]
	s_or_b32 s20, s22, s20
	s_delay_alu instid0(SALU_CYCLE_1)
	s_and_not1_b32 exec_lo, exec_lo, s20
	s_cbranch_execz .LBB1049_914
.LBB1049_912:                           ; =>This Inner Loop Header: Depth=1
	s_or_b32 s21, s21, exec_lo
	s_cmp_eq_u64 s[8:9], s[12:13]
	s_cbranch_scc0 .LBB1049_910
; %bb.913:                              ;   in Loop: Header=BB1049_912 Depth=1
	s_mov_b64 s[12:13], s[8:9]
                                        ; implicit-def: $sgpr0_sgpr1
	s_branch .LBB1049_911
.LBB1049_914:
	s_set_inst_prefetch_distance 0x2
	s_or_b32 exec_lo, exec_lo, s20
	v_cmp_gt_i64_e32 vcc_lo, s[8:9], v[33:34]
	s_mov_b32 s0, 0
	s_delay_alu instid0(SALU_CYCLE_1)
	v_mov_b32_e32 v80, s0
	v_cndmask_b32_e64 v79, 0, 1, vcc_lo
.LBB1049_915:
	s_or_b32 exec_lo, exec_lo, s19
.LBB1049_916:
	s_delay_alu instid0(SALU_CYCLE_1) | instskip(SKIP_3) | instid1(VALU_DEP_3)
	s_or_b32 exec_lo, exec_lo, s18
	v_add_nc_u32_e32 v5, 16, v53
	v_mul_lo_u32 v47, v43, s9
	v_mul_lo_u32 v48, v44, s8
	v_cmp_le_u32_e32 vcc_lo, s6, v5
	v_dual_cndmask_b32 v124, 0, v46 :: v_dual_cndmask_b32 v123, 0, v45
	s_or_b32 s0, vcc_lo, s15
	s_delay_alu instid0(SALU_CYCLE_1) | instskip(NEXT) | instid1(SALU_CYCLE_1)
	s_xor_b32 s0, s0, -1
	s_and_saveexec_b32 s18, s0
	s_cbranch_execz .LBB1049_925
; %bb.917:
	v_mad_u64_u32 v[5:6], null, v45, s8, s[10:11]
	v_mad_u64_u32 v[13:14], null, v43, s8, s[10:11]
	v_mov_b32_e32 v123, 1
	v_mov_b32_e32 v124, 0
	s_delay_alu instid0(VALU_DEP_4) | instskip(NEXT) | instid1(VALU_DEP_4)
	v_add3_u32 v6, v50, v6, v49
	v_add3_u32 v14, v48, v14, v47
	s_clause 0x1
	global_load_u8 v33, v[5:6], off
	global_load_u8 v34, v[13:14], off
	s_waitcnt vmcnt(1)
	v_cmp_ne_u16_e32 vcc_lo, 0, v33
	s_waitcnt vmcnt(0)
	v_cmp_ne_u16_e64 s0, 0, v34
	s_delay_alu instid0(VALU_DEP_1) | instskip(NEXT) | instid1(SALU_CYCLE_1)
	s_xor_b32 s0, vcc_lo, s0
	s_xor_b32 s0, s0, -1
	s_delay_alu instid0(SALU_CYCLE_1)
	s_and_saveexec_b32 s19, s0
	s_cbranch_execz .LBB1049_924
; %bb.918:
	s_mov_b64 s[12:13], 1
	s_mov_b32 s20, 0
                                        ; implicit-def: $sgpr21
	s_set_inst_prefetch_distance 0x1
	s_branch .LBB1049_921
	.p2align	6
.LBB1049_919:                           ;   in Loop: Header=BB1049_921 Depth=1
	v_add_co_u32 v33, vcc_lo, v5, s12
	v_add_co_ci_u32_e32 v34, vcc_lo, s13, v6, vcc_lo
	v_add_co_u32 v45, vcc_lo, v13, s12
	v_add_co_ci_u32_e32 v46, vcc_lo, s13, v14, vcc_lo
	s_clause 0x1
	global_load_u8 v33, v[33:34], off
	global_load_u8 v34, v[45:46], off
	s_waitcnt vmcnt(1)
	v_cmp_ne_u16_e32 vcc_lo, 0, v33
	s_waitcnt vmcnt(0)
	v_cmp_ne_u16_e64 s0, 0, v34
	s_delay_alu instid0(VALU_DEP_1) | instskip(SKIP_4) | instid1(SALU_CYCLE_1)
	s_xor_b32 s22, vcc_lo, s0
	s_add_u32 s0, s12, 1
	s_addc_u32 s1, s13, 0
	s_and_not1_b32 s21, s21, exec_lo
	s_and_b32 s22, s22, exec_lo
	s_or_b32 s21, s21, s22
.LBB1049_920:                           ;   in Loop: Header=BB1049_921 Depth=1
	v_dual_mov_b32 v34, s13 :: v_dual_mov_b32 v33, s12
	s_and_b32 s22, exec_lo, s21
	s_mov_b64 s[12:13], s[0:1]
	s_or_b32 s20, s22, s20
	s_delay_alu instid0(SALU_CYCLE_1)
	s_and_not1_b32 exec_lo, exec_lo, s20
	s_cbranch_execz .LBB1049_923
.LBB1049_921:                           ; =>This Inner Loop Header: Depth=1
	s_or_b32 s21, s21, exec_lo
	s_cmp_eq_u64 s[8:9], s[12:13]
	s_cbranch_scc0 .LBB1049_919
; %bb.922:                              ;   in Loop: Header=BB1049_921 Depth=1
	s_mov_b64 s[12:13], s[8:9]
                                        ; implicit-def: $sgpr0_sgpr1
	s_branch .LBB1049_920
.LBB1049_923:
	s_set_inst_prefetch_distance 0x2
	s_or_b32 exec_lo, exec_lo, s20
	v_cmp_gt_i64_e32 vcc_lo, s[8:9], v[33:34]
	s_mov_b32 s0, 0
	s_delay_alu instid0(SALU_CYCLE_1)
	v_mov_b32_e32 v124, s0
	v_cndmask_b32_e64 v123, 0, 1, vcc_lo
.LBB1049_924:
	s_or_b32 exec_lo, exec_lo, s19
.LBB1049_925:
	s_delay_alu instid0(SALU_CYCLE_1) | instskip(SKIP_3) | instid1(VALU_DEP_3)
	s_or_b32 exec_lo, exec_lo, s18
	v_add_nc_u32_e32 v5, 15, v53
	v_mul_lo_u32 v45, v41, s9
	v_mul_lo_u32 v46, v42, s8
	v_cmp_le_u32_e32 vcc_lo, s6, v5
	v_dual_cndmask_b32 v84, 0, v44 :: v_dual_cndmask_b32 v83, 0, v43
	s_or_b32 s0, vcc_lo, s15
	s_delay_alu instid0(SALU_CYCLE_1) | instskip(NEXT) | instid1(SALU_CYCLE_1)
	s_xor_b32 s0, s0, -1
	s_and_saveexec_b32 s18, s0
	s_cbranch_execz .LBB1049_934
; %bb.926:
	v_mad_u64_u32 v[5:6], null, v43, s8, s[10:11]
	v_mad_u64_u32 v[13:14], null, v41, s8, s[10:11]
	v_mov_b32_e32 v83, 1
	v_mov_b32_e32 v84, 0
	s_mov_b32 s20, 0
	s_delay_alu instid0(VALU_DEP_4) | instskip(NEXT) | instid1(VALU_DEP_4)
	v_add3_u32 v6, v48, v6, v47
	v_add3_u32 v14, v46, v14, v45
	s_clause 0x1
	global_load_u8 v33, v[5:6], off
	global_load_u8 v34, v[13:14], off
	s_waitcnt vmcnt(1)
	v_cmp_ne_u16_e32 vcc_lo, 0, v33
	s_waitcnt vmcnt(0)
	v_cmp_ne_u16_e64 s0, 0, v34
	s_delay_alu instid0(VALU_DEP_1) | instskip(NEXT) | instid1(SALU_CYCLE_1)
	s_xor_b32 s0, vcc_lo, s0
	s_xor_b32 s0, s0, -1
	s_delay_alu instid0(SALU_CYCLE_1)
	s_and_saveexec_b32 s19, s0
	s_cbranch_execz .LBB1049_933
; %bb.927:
	s_mov_b64 s[12:13], 1
                                        ; implicit-def: $sgpr21
	s_set_inst_prefetch_distance 0x1
	s_branch .LBB1049_930
	.p2align	6
.LBB1049_928:                           ;   in Loop: Header=BB1049_930 Depth=1
	v_add_co_u32 v33, vcc_lo, v5, s12
	v_add_co_ci_u32_e32 v34, vcc_lo, s13, v6, vcc_lo
	v_add_co_u32 v43, vcc_lo, v13, s12
	v_add_co_ci_u32_e32 v44, vcc_lo, s13, v14, vcc_lo
	s_clause 0x1
	global_load_u8 v33, v[33:34], off
	global_load_u8 v34, v[43:44], off
	s_waitcnt vmcnt(1)
	v_cmp_ne_u16_e32 vcc_lo, 0, v33
	s_waitcnt vmcnt(0)
	v_cmp_ne_u16_e64 s0, 0, v34
	s_delay_alu instid0(VALU_DEP_1) | instskip(SKIP_4) | instid1(SALU_CYCLE_1)
	s_xor_b32 s22, vcc_lo, s0
	s_add_u32 s0, s12, 1
	s_addc_u32 s1, s13, 0
	s_and_not1_b32 s21, s21, exec_lo
	s_and_b32 s22, s22, exec_lo
	s_or_b32 s21, s21, s22
.LBB1049_929:                           ;   in Loop: Header=BB1049_930 Depth=1
	v_dual_mov_b32 v34, s13 :: v_dual_mov_b32 v33, s12
	s_and_b32 s22, exec_lo, s21
	s_mov_b64 s[12:13], s[0:1]
	s_or_b32 s20, s22, s20
	s_delay_alu instid0(SALU_CYCLE_1)
	s_and_not1_b32 exec_lo, exec_lo, s20
	s_cbranch_execz .LBB1049_932
.LBB1049_930:                           ; =>This Inner Loop Header: Depth=1
	s_or_b32 s21, s21, exec_lo
	s_cmp_eq_u64 s[8:9], s[12:13]
	s_cbranch_scc0 .LBB1049_928
; %bb.931:                              ;   in Loop: Header=BB1049_930 Depth=1
	s_mov_b64 s[12:13], s[8:9]
                                        ; implicit-def: $sgpr0_sgpr1
	s_branch .LBB1049_929
.LBB1049_932:
	s_set_inst_prefetch_distance 0x2
	s_or_b32 exec_lo, exec_lo, s20
	v_cmp_gt_i64_e32 vcc_lo, s[8:9], v[33:34]
	s_mov_b32 s0, 0
	s_delay_alu instid0(SALU_CYCLE_1)
	v_mov_b32_e32 v84, s0
	v_cndmask_b32_e64 v83, 0, 1, vcc_lo
.LBB1049_933:
	s_or_b32 exec_lo, exec_lo, s19
.LBB1049_934:
	s_delay_alu instid0(SALU_CYCLE_1) | instskip(SKIP_3) | instid1(VALU_DEP_3)
	s_or_b32 exec_lo, exec_lo, s18
	v_add_nc_u32_e32 v5, 14, v53
	v_mul_lo_u32 v43, v39, s9
	v_mul_lo_u32 v44, v40, s8
	v_cmp_le_u32_e32 vcc_lo, s6, v5
	v_dual_cndmask_b32 v126, 0, v42 :: v_dual_cndmask_b32 v125, 0, v41
	s_or_b32 s0, vcc_lo, s15
	s_delay_alu instid0(SALU_CYCLE_1) | instskip(NEXT) | instid1(SALU_CYCLE_1)
	s_xor_b32 s0, s0, -1
	s_and_saveexec_b32 s18, s0
	s_cbranch_execz .LBB1049_943
; %bb.935:
	v_mad_u64_u32 v[5:6], null, v41, s8, s[10:11]
	v_mad_u64_u32 v[13:14], null, v39, s8, s[10:11]
	v_mov_b32_e32 v125, 1
	v_mov_b32_e32 v126, 0
	s_delay_alu instid0(VALU_DEP_4) | instskip(NEXT) | instid1(VALU_DEP_4)
	v_add3_u32 v6, v46, v6, v45
	v_add3_u32 v14, v44, v14, v43
	s_clause 0x1
	global_load_u8 v33, v[5:6], off
	global_load_u8 v34, v[13:14], off
	s_waitcnt vmcnt(1)
	v_cmp_ne_u16_e32 vcc_lo, 0, v33
	s_waitcnt vmcnt(0)
	v_cmp_ne_u16_e64 s0, 0, v34
	s_delay_alu instid0(VALU_DEP_1) | instskip(NEXT) | instid1(SALU_CYCLE_1)
	s_xor_b32 s0, vcc_lo, s0
	s_xor_b32 s0, s0, -1
	s_delay_alu instid0(SALU_CYCLE_1)
	s_and_saveexec_b32 s19, s0
	s_cbranch_execz .LBB1049_942
; %bb.936:
	s_mov_b64 s[12:13], 1
	s_mov_b32 s20, 0
                                        ; implicit-def: $sgpr21
	s_set_inst_prefetch_distance 0x1
	s_branch .LBB1049_939
	.p2align	6
.LBB1049_937:                           ;   in Loop: Header=BB1049_939 Depth=1
	v_add_co_u32 v33, vcc_lo, v5, s12
	v_add_co_ci_u32_e32 v34, vcc_lo, s13, v6, vcc_lo
	v_add_co_u32 v41, vcc_lo, v13, s12
	v_add_co_ci_u32_e32 v42, vcc_lo, s13, v14, vcc_lo
	s_clause 0x1
	global_load_u8 v33, v[33:34], off
	global_load_u8 v34, v[41:42], off
	s_waitcnt vmcnt(1)
	v_cmp_ne_u16_e32 vcc_lo, 0, v33
	s_waitcnt vmcnt(0)
	v_cmp_ne_u16_e64 s0, 0, v34
	s_delay_alu instid0(VALU_DEP_1) | instskip(SKIP_4) | instid1(SALU_CYCLE_1)
	s_xor_b32 s22, vcc_lo, s0
	s_add_u32 s0, s12, 1
	s_addc_u32 s1, s13, 0
	s_and_not1_b32 s21, s21, exec_lo
	s_and_b32 s22, s22, exec_lo
	s_or_b32 s21, s21, s22
.LBB1049_938:                           ;   in Loop: Header=BB1049_939 Depth=1
	v_dual_mov_b32 v34, s13 :: v_dual_mov_b32 v33, s12
	s_and_b32 s22, exec_lo, s21
	s_mov_b64 s[12:13], s[0:1]
	s_or_b32 s20, s22, s20
	s_delay_alu instid0(SALU_CYCLE_1)
	s_and_not1_b32 exec_lo, exec_lo, s20
	s_cbranch_execz .LBB1049_941
.LBB1049_939:                           ; =>This Inner Loop Header: Depth=1
	s_or_b32 s21, s21, exec_lo
	s_cmp_eq_u64 s[8:9], s[12:13]
	s_cbranch_scc0 .LBB1049_937
; %bb.940:                              ;   in Loop: Header=BB1049_939 Depth=1
	s_mov_b64 s[12:13], s[8:9]
                                        ; implicit-def: $sgpr0_sgpr1
	s_branch .LBB1049_938
.LBB1049_941:
	s_set_inst_prefetch_distance 0x2
	s_or_b32 exec_lo, exec_lo, s20
	v_cmp_gt_i64_e32 vcc_lo, s[8:9], v[33:34]
	s_mov_b32 s0, 0
	s_delay_alu instid0(SALU_CYCLE_1)
	v_mov_b32_e32 v126, s0
	v_cndmask_b32_e64 v125, 0, 1, vcc_lo
.LBB1049_942:
	s_or_b32 exec_lo, exec_lo, s19
.LBB1049_943:
	s_delay_alu instid0(SALU_CYCLE_1) | instskip(SKIP_3) | instid1(VALU_DEP_3)
	s_or_b32 exec_lo, exec_lo, s18
	v_add_nc_u32_e32 v5, 13, v53
	v_mul_lo_u32 v41, v37, s9
	v_mul_lo_u32 v42, v38, s8
	v_cmp_le_u32_e32 vcc_lo, s6, v5
	v_dual_cndmask_b32 v88, 0, v40 :: v_dual_cndmask_b32 v87, 0, v39
	s_or_b32 s0, vcc_lo, s15
	s_delay_alu instid0(SALU_CYCLE_1) | instskip(NEXT) | instid1(SALU_CYCLE_1)
	s_xor_b32 s0, s0, -1
	s_and_saveexec_b32 s18, s0
	s_cbranch_execz .LBB1049_952
; %bb.944:
	v_mad_u64_u32 v[5:6], null, v39, s8, s[10:11]
	v_mad_u64_u32 v[13:14], null, v37, s8, s[10:11]
	v_mov_b32_e32 v87, 1
	v_mov_b32_e32 v88, 0
	s_mov_b32 s20, 0
	s_delay_alu instid0(VALU_DEP_4) | instskip(NEXT) | instid1(VALU_DEP_4)
	v_add3_u32 v6, v44, v6, v43
	v_add3_u32 v14, v42, v14, v41
	s_clause 0x1
	global_load_u8 v33, v[5:6], off
	global_load_u8 v34, v[13:14], off
	s_waitcnt vmcnt(1)
	v_cmp_ne_u16_e32 vcc_lo, 0, v33
	s_waitcnt vmcnt(0)
	v_cmp_ne_u16_e64 s0, 0, v34
	s_delay_alu instid0(VALU_DEP_1) | instskip(NEXT) | instid1(SALU_CYCLE_1)
	s_xor_b32 s0, vcc_lo, s0
	s_xor_b32 s0, s0, -1
	s_delay_alu instid0(SALU_CYCLE_1)
	s_and_saveexec_b32 s19, s0
	s_cbranch_execz .LBB1049_951
; %bb.945:
	s_mov_b64 s[12:13], 1
                                        ; implicit-def: $sgpr21
	s_set_inst_prefetch_distance 0x1
	s_branch .LBB1049_948
	.p2align	6
.LBB1049_946:                           ;   in Loop: Header=BB1049_948 Depth=1
	v_add_co_u32 v33, vcc_lo, v5, s12
	v_add_co_ci_u32_e32 v34, vcc_lo, s13, v6, vcc_lo
	v_add_co_u32 v39, vcc_lo, v13, s12
	v_add_co_ci_u32_e32 v40, vcc_lo, s13, v14, vcc_lo
	s_clause 0x1
	global_load_u8 v33, v[33:34], off
	global_load_u8 v34, v[39:40], off
	s_waitcnt vmcnt(1)
	v_cmp_ne_u16_e32 vcc_lo, 0, v33
	s_waitcnt vmcnt(0)
	v_cmp_ne_u16_e64 s0, 0, v34
	s_delay_alu instid0(VALU_DEP_1) | instskip(SKIP_4) | instid1(SALU_CYCLE_1)
	s_xor_b32 s22, vcc_lo, s0
	s_add_u32 s0, s12, 1
	s_addc_u32 s1, s13, 0
	s_and_not1_b32 s21, s21, exec_lo
	s_and_b32 s22, s22, exec_lo
	s_or_b32 s21, s21, s22
.LBB1049_947:                           ;   in Loop: Header=BB1049_948 Depth=1
	v_dual_mov_b32 v34, s13 :: v_dual_mov_b32 v33, s12
	s_and_b32 s22, exec_lo, s21
	s_mov_b64 s[12:13], s[0:1]
	s_or_b32 s20, s22, s20
	s_delay_alu instid0(SALU_CYCLE_1)
	s_and_not1_b32 exec_lo, exec_lo, s20
	s_cbranch_execz .LBB1049_950
.LBB1049_948:                           ; =>This Inner Loop Header: Depth=1
	s_or_b32 s21, s21, exec_lo
	s_cmp_eq_u64 s[8:9], s[12:13]
	s_cbranch_scc0 .LBB1049_946
; %bb.949:                              ;   in Loop: Header=BB1049_948 Depth=1
	s_mov_b64 s[12:13], s[8:9]
                                        ; implicit-def: $sgpr0_sgpr1
	s_branch .LBB1049_947
.LBB1049_950:
	s_set_inst_prefetch_distance 0x2
	s_or_b32 exec_lo, exec_lo, s20
	v_cmp_gt_i64_e32 vcc_lo, s[8:9], v[33:34]
	s_mov_b32 s0, 0
	s_delay_alu instid0(SALU_CYCLE_1)
	v_mov_b32_e32 v88, s0
	v_cndmask_b32_e64 v87, 0, 1, vcc_lo
.LBB1049_951:
	s_or_b32 exec_lo, exec_lo, s19
.LBB1049_952:
	s_delay_alu instid0(SALU_CYCLE_1) | instskip(SKIP_3) | instid1(VALU_DEP_3)
	s_or_b32 exec_lo, exec_lo, s18
	v_add_nc_u32_e32 v5, 12, v53
	v_mul_lo_u32 v39, v31, s9
	v_mul_lo_u32 v40, v32, s8
	v_cmp_le_u32_e32 vcc_lo, s6, v5
	v_dual_cndmask_b32 v128, 0, v38 :: v_dual_cndmask_b32 v127, 0, v37
	s_or_b32 s0, vcc_lo, s15
	s_delay_alu instid0(SALU_CYCLE_1) | instskip(NEXT) | instid1(SALU_CYCLE_1)
	s_xor_b32 s0, s0, -1
	s_and_saveexec_b32 s18, s0
	s_cbranch_execz .LBB1049_961
; %bb.953:
	v_mad_u64_u32 v[5:6], null, v37, s8, s[10:11]
	v_mad_u64_u32 v[13:14], null, v31, s8, s[10:11]
	v_mov_b32_e32 v127, 1
	v_mov_b32_e32 v128, 0
	s_delay_alu instid0(VALU_DEP_4) | instskip(NEXT) | instid1(VALU_DEP_4)
	v_add3_u32 v6, v42, v6, v41
	v_add3_u32 v14, v40, v14, v39
	s_clause 0x1
	global_load_u8 v33, v[5:6], off
	global_load_u8 v34, v[13:14], off
	s_waitcnt vmcnt(1)
	v_cmp_ne_u16_e32 vcc_lo, 0, v33
	s_waitcnt vmcnt(0)
	v_cmp_ne_u16_e64 s0, 0, v34
	s_delay_alu instid0(VALU_DEP_1) | instskip(NEXT) | instid1(SALU_CYCLE_1)
	s_xor_b32 s0, vcc_lo, s0
	s_xor_b32 s0, s0, -1
	s_delay_alu instid0(SALU_CYCLE_1)
	s_and_saveexec_b32 s19, s0
	s_cbranch_execz .LBB1049_960
; %bb.954:
	s_mov_b64 s[12:13], 1
	s_mov_b32 s20, 0
                                        ; implicit-def: $sgpr21
	s_set_inst_prefetch_distance 0x1
	s_branch .LBB1049_957
	.p2align	6
.LBB1049_955:                           ;   in Loop: Header=BB1049_957 Depth=1
	v_add_co_u32 v33, vcc_lo, v5, s12
	v_add_co_ci_u32_e32 v34, vcc_lo, s13, v6, vcc_lo
	v_add_co_u32 v37, vcc_lo, v13, s12
	v_add_co_ci_u32_e32 v38, vcc_lo, s13, v14, vcc_lo
	s_clause 0x1
	global_load_u8 v33, v[33:34], off
	global_load_u8 v34, v[37:38], off
	s_waitcnt vmcnt(1)
	v_cmp_ne_u16_e32 vcc_lo, 0, v33
	s_waitcnt vmcnt(0)
	v_cmp_ne_u16_e64 s0, 0, v34
	s_delay_alu instid0(VALU_DEP_1) | instskip(SKIP_4) | instid1(SALU_CYCLE_1)
	s_xor_b32 s22, vcc_lo, s0
	s_add_u32 s0, s12, 1
	s_addc_u32 s1, s13, 0
	s_and_not1_b32 s21, s21, exec_lo
	s_and_b32 s22, s22, exec_lo
	s_or_b32 s21, s21, s22
.LBB1049_956:                           ;   in Loop: Header=BB1049_957 Depth=1
	v_dual_mov_b32 v34, s13 :: v_dual_mov_b32 v33, s12
	s_and_b32 s22, exec_lo, s21
	s_mov_b64 s[12:13], s[0:1]
	s_or_b32 s20, s22, s20
	s_delay_alu instid0(SALU_CYCLE_1)
	s_and_not1_b32 exec_lo, exec_lo, s20
	s_cbranch_execz .LBB1049_959
.LBB1049_957:                           ; =>This Inner Loop Header: Depth=1
	s_or_b32 s21, s21, exec_lo
	s_cmp_eq_u64 s[8:9], s[12:13]
	s_cbranch_scc0 .LBB1049_955
; %bb.958:                              ;   in Loop: Header=BB1049_957 Depth=1
	s_mov_b64 s[12:13], s[8:9]
                                        ; implicit-def: $sgpr0_sgpr1
	s_branch .LBB1049_956
.LBB1049_959:
	s_set_inst_prefetch_distance 0x2
	s_or_b32 exec_lo, exec_lo, s20
	v_cmp_gt_i64_e32 vcc_lo, s[8:9], v[33:34]
	s_mov_b32 s0, 0
	s_delay_alu instid0(SALU_CYCLE_1)
	v_mov_b32_e32 v128, s0
	v_cndmask_b32_e64 v127, 0, 1, vcc_lo
.LBB1049_960:
	s_or_b32 exec_lo, exec_lo, s19
.LBB1049_961:
	s_delay_alu instid0(SALU_CYCLE_1) | instskip(SKIP_3) | instid1(VALU_DEP_3)
	s_or_b32 exec_lo, exec_lo, s18
	v_add_nc_u32_e32 v5, 11, v53
	v_mul_lo_u32 v33, v29, s9
	v_mul_lo_u32 v34, v30, s8
	v_cmp_le_u32_e32 vcc_lo, s6, v5
	v_dual_cndmask_b32 v92, 0, v32 :: v_dual_cndmask_b32 v91, 0, v31
	s_or_b32 s0, vcc_lo, s15
	s_delay_alu instid0(SALU_CYCLE_1) | instskip(NEXT) | instid1(SALU_CYCLE_1)
	s_xor_b32 s0, s0, -1
	s_and_saveexec_b32 s18, s0
	s_cbranch_execz .LBB1049_970
; %bb.962:
	v_mad_u64_u32 v[5:6], null, v31, s8, s[10:11]
	v_mad_u64_u32 v[13:14], null, v29, s8, s[10:11]
	v_mov_b32_e32 v91, 1
	v_mov_b32_e32 v92, 0
	s_mov_b32 s20, 0
	s_delay_alu instid0(VALU_DEP_4) | instskip(NEXT) | instid1(VALU_DEP_4)
	v_add3_u32 v6, v40, v6, v39
	v_add3_u32 v14, v34, v14, v33
	s_clause 0x1
	global_load_u8 v31, v[5:6], off
	global_load_u8 v32, v[13:14], off
	s_waitcnt vmcnt(1)
	v_cmp_ne_u16_e32 vcc_lo, 0, v31
	s_waitcnt vmcnt(0)
	v_cmp_ne_u16_e64 s0, 0, v32
	s_delay_alu instid0(VALU_DEP_1) | instskip(NEXT) | instid1(SALU_CYCLE_1)
	s_xor_b32 s0, vcc_lo, s0
	s_xor_b32 s0, s0, -1
	s_delay_alu instid0(SALU_CYCLE_1)
	s_and_saveexec_b32 s19, s0
	s_cbranch_execz .LBB1049_969
; %bb.963:
	s_mov_b64 s[12:13], 1
                                        ; implicit-def: $sgpr21
	s_set_inst_prefetch_distance 0x1
	s_branch .LBB1049_966
	.p2align	6
.LBB1049_964:                           ;   in Loop: Header=BB1049_966 Depth=1
	v_add_co_u32 v31, vcc_lo, v5, s12
	v_add_co_ci_u32_e32 v32, vcc_lo, s13, v6, vcc_lo
	v_add_co_u32 v37, vcc_lo, v13, s12
	v_add_co_ci_u32_e32 v38, vcc_lo, s13, v14, vcc_lo
	s_clause 0x1
	global_load_u8 v31, v[31:32], off
	global_load_u8 v32, v[37:38], off
	s_waitcnt vmcnt(1)
	v_cmp_ne_u16_e32 vcc_lo, 0, v31
	s_waitcnt vmcnt(0)
	v_cmp_ne_u16_e64 s0, 0, v32
	s_delay_alu instid0(VALU_DEP_1) | instskip(SKIP_4) | instid1(SALU_CYCLE_1)
	s_xor_b32 s22, vcc_lo, s0
	s_add_u32 s0, s12, 1
	s_addc_u32 s1, s13, 0
	s_and_not1_b32 s21, s21, exec_lo
	s_and_b32 s22, s22, exec_lo
	s_or_b32 s21, s21, s22
.LBB1049_965:                           ;   in Loop: Header=BB1049_966 Depth=1
	v_dual_mov_b32 v32, s13 :: v_dual_mov_b32 v31, s12
	s_and_b32 s22, exec_lo, s21
	s_mov_b64 s[12:13], s[0:1]
	s_or_b32 s20, s22, s20
	s_delay_alu instid0(SALU_CYCLE_1)
	s_and_not1_b32 exec_lo, exec_lo, s20
	s_cbranch_execz .LBB1049_968
.LBB1049_966:                           ; =>This Inner Loop Header: Depth=1
	s_or_b32 s21, s21, exec_lo
	s_cmp_eq_u64 s[8:9], s[12:13]
	s_cbranch_scc0 .LBB1049_964
; %bb.967:                              ;   in Loop: Header=BB1049_966 Depth=1
	s_mov_b64 s[12:13], s[8:9]
                                        ; implicit-def: $sgpr0_sgpr1
	s_branch .LBB1049_965
.LBB1049_968:
	s_set_inst_prefetch_distance 0x2
	s_or_b32 exec_lo, exec_lo, s20
	v_cmp_gt_i64_e32 vcc_lo, s[8:9], v[31:32]
	s_mov_b32 s0, 0
	s_delay_alu instid0(SALU_CYCLE_1)
	v_mov_b32_e32 v92, s0
	v_cndmask_b32_e64 v91, 0, 1, vcc_lo
.LBB1049_969:
	s_or_b32 exec_lo, exec_lo, s19
.LBB1049_970:
	s_delay_alu instid0(SALU_CYCLE_1) | instskip(SKIP_3) | instid1(VALU_DEP_3)
	s_or_b32 exec_lo, exec_lo, s18
	v_add_nc_u32_e32 v5, 10, v53
	v_mul_lo_u32 v31, v27, s9
	v_mul_lo_u32 v32, v28, s8
	v_cmp_le_u32_e32 vcc_lo, s6, v5
	v_dual_cndmask_b32 v130, 0, v30 :: v_dual_cndmask_b32 v129, 0, v29
	s_or_b32 s0, vcc_lo, s15
	s_delay_alu instid0(SALU_CYCLE_1) | instskip(NEXT) | instid1(SALU_CYCLE_1)
	s_xor_b32 s0, s0, -1
	s_and_saveexec_b32 s18, s0
	s_cbranch_execz .LBB1049_979
; %bb.971:
	v_mad_u64_u32 v[5:6], null, v29, s8, s[10:11]
	v_mad_u64_u32 v[13:14], null, v27, s8, s[10:11]
	v_mov_b32_e32 v129, 1
	v_mov_b32_e32 v130, 0
	s_delay_alu instid0(VALU_DEP_4) | instskip(NEXT) | instid1(VALU_DEP_4)
	v_add3_u32 v6, v34, v6, v33
	v_add3_u32 v14, v32, v14, v31
	s_clause 0x1
	global_load_u8 v29, v[5:6], off
	global_load_u8 v30, v[13:14], off
	s_waitcnt vmcnt(1)
	v_cmp_ne_u16_e32 vcc_lo, 0, v29
	s_waitcnt vmcnt(0)
	v_cmp_ne_u16_e64 s0, 0, v30
	s_delay_alu instid0(VALU_DEP_1) | instskip(NEXT) | instid1(SALU_CYCLE_1)
	s_xor_b32 s0, vcc_lo, s0
	s_xor_b32 s0, s0, -1
	s_delay_alu instid0(SALU_CYCLE_1)
	s_and_saveexec_b32 s19, s0
	s_cbranch_execz .LBB1049_978
; %bb.972:
	s_mov_b64 s[12:13], 1
	s_mov_b32 s20, 0
                                        ; implicit-def: $sgpr21
	s_set_inst_prefetch_distance 0x1
	s_branch .LBB1049_975
	.p2align	6
.LBB1049_973:                           ;   in Loop: Header=BB1049_975 Depth=1
	v_add_co_u32 v29, vcc_lo, v5, s12
	v_add_co_ci_u32_e32 v30, vcc_lo, s13, v6, vcc_lo
	v_add_co_u32 v33, vcc_lo, v13, s12
	v_add_co_ci_u32_e32 v34, vcc_lo, s13, v14, vcc_lo
	s_clause 0x1
	global_load_u8 v29, v[29:30], off
	global_load_u8 v30, v[33:34], off
	s_waitcnt vmcnt(1)
	v_cmp_ne_u16_e32 vcc_lo, 0, v29
	s_waitcnt vmcnt(0)
	v_cmp_ne_u16_e64 s0, 0, v30
	s_delay_alu instid0(VALU_DEP_1) | instskip(SKIP_4) | instid1(SALU_CYCLE_1)
	s_xor_b32 s22, vcc_lo, s0
	s_add_u32 s0, s12, 1
	s_addc_u32 s1, s13, 0
	s_and_not1_b32 s21, s21, exec_lo
	s_and_b32 s22, s22, exec_lo
	s_or_b32 s21, s21, s22
.LBB1049_974:                           ;   in Loop: Header=BB1049_975 Depth=1
	v_dual_mov_b32 v30, s13 :: v_dual_mov_b32 v29, s12
	s_and_b32 s22, exec_lo, s21
	s_mov_b64 s[12:13], s[0:1]
	s_or_b32 s20, s22, s20
	s_delay_alu instid0(SALU_CYCLE_1)
	s_and_not1_b32 exec_lo, exec_lo, s20
	s_cbranch_execz .LBB1049_977
.LBB1049_975:                           ; =>This Inner Loop Header: Depth=1
	s_or_b32 s21, s21, exec_lo
	s_cmp_eq_u64 s[8:9], s[12:13]
	s_cbranch_scc0 .LBB1049_973
; %bb.976:                              ;   in Loop: Header=BB1049_975 Depth=1
	s_mov_b64 s[12:13], s[8:9]
                                        ; implicit-def: $sgpr0_sgpr1
	s_branch .LBB1049_974
.LBB1049_977:
	s_set_inst_prefetch_distance 0x2
	s_or_b32 exec_lo, exec_lo, s20
	v_cmp_gt_i64_e32 vcc_lo, s[8:9], v[29:30]
	s_mov_b32 s0, 0
	s_delay_alu instid0(SALU_CYCLE_1)
	v_mov_b32_e32 v130, s0
	v_cndmask_b32_e64 v129, 0, 1, vcc_lo
.LBB1049_978:
	s_or_b32 exec_lo, exec_lo, s19
.LBB1049_979:
	s_delay_alu instid0(SALU_CYCLE_1) | instskip(SKIP_3) | instid1(VALU_DEP_3)
	s_or_b32 exec_lo, exec_lo, s18
	v_add_nc_u32_e32 v5, 9, v53
	v_mul_lo_u32 v29, v25, s9
	v_mul_lo_u32 v30, v26, s8
	v_cmp_le_u32_e32 vcc_lo, s6, v5
	v_dual_cndmask_b32 v96, 0, v28 :: v_dual_cndmask_b32 v95, 0, v27
	s_or_b32 s0, vcc_lo, s15
	s_delay_alu instid0(SALU_CYCLE_1) | instskip(NEXT) | instid1(SALU_CYCLE_1)
	s_xor_b32 s0, s0, -1
	s_and_saveexec_b32 s18, s0
	s_cbranch_execz .LBB1049_988
; %bb.980:
	v_mad_u64_u32 v[5:6], null, v27, s8, s[10:11]
	v_mad_u64_u32 v[13:14], null, v25, s8, s[10:11]
	v_mov_b32_e32 v95, 1
	v_mov_b32_e32 v96, 0
	s_mov_b32 s20, 0
	s_delay_alu instid0(VALU_DEP_4) | instskip(NEXT) | instid1(VALU_DEP_4)
	v_add3_u32 v6, v32, v6, v31
	v_add3_u32 v14, v30, v14, v29
	s_clause 0x1
	global_load_u8 v27, v[5:6], off
	global_load_u8 v28, v[13:14], off
	s_waitcnt vmcnt(1)
	v_cmp_ne_u16_e32 vcc_lo, 0, v27
	s_waitcnt vmcnt(0)
	v_cmp_ne_u16_e64 s0, 0, v28
	s_delay_alu instid0(VALU_DEP_1) | instskip(NEXT) | instid1(SALU_CYCLE_1)
	s_xor_b32 s0, vcc_lo, s0
	s_xor_b32 s0, s0, -1
	s_delay_alu instid0(SALU_CYCLE_1)
	s_and_saveexec_b32 s19, s0
	s_cbranch_execz .LBB1049_987
; %bb.981:
	s_mov_b64 s[12:13], 1
                                        ; implicit-def: $sgpr21
	s_set_inst_prefetch_distance 0x1
	s_branch .LBB1049_984
	.p2align	6
.LBB1049_982:                           ;   in Loop: Header=BB1049_984 Depth=1
	v_add_co_u32 v27, vcc_lo, v5, s12
	v_add_co_ci_u32_e32 v28, vcc_lo, s13, v6, vcc_lo
	v_add_co_u32 v31, vcc_lo, v13, s12
	v_add_co_ci_u32_e32 v32, vcc_lo, s13, v14, vcc_lo
	s_clause 0x1
	global_load_u8 v27, v[27:28], off
	global_load_u8 v28, v[31:32], off
	s_waitcnt vmcnt(1)
	v_cmp_ne_u16_e32 vcc_lo, 0, v27
	s_waitcnt vmcnt(0)
	v_cmp_ne_u16_e64 s0, 0, v28
	s_delay_alu instid0(VALU_DEP_1) | instskip(SKIP_4) | instid1(SALU_CYCLE_1)
	s_xor_b32 s22, vcc_lo, s0
	s_add_u32 s0, s12, 1
	s_addc_u32 s1, s13, 0
	s_and_not1_b32 s21, s21, exec_lo
	s_and_b32 s22, s22, exec_lo
	s_or_b32 s21, s21, s22
.LBB1049_983:                           ;   in Loop: Header=BB1049_984 Depth=1
	v_dual_mov_b32 v28, s13 :: v_dual_mov_b32 v27, s12
	s_and_b32 s22, exec_lo, s21
	s_mov_b64 s[12:13], s[0:1]
	s_or_b32 s20, s22, s20
	s_delay_alu instid0(SALU_CYCLE_1)
	s_and_not1_b32 exec_lo, exec_lo, s20
	s_cbranch_execz .LBB1049_986
.LBB1049_984:                           ; =>This Inner Loop Header: Depth=1
	s_or_b32 s21, s21, exec_lo
	s_cmp_eq_u64 s[8:9], s[12:13]
	s_cbranch_scc0 .LBB1049_982
; %bb.985:                              ;   in Loop: Header=BB1049_984 Depth=1
	s_mov_b64 s[12:13], s[8:9]
                                        ; implicit-def: $sgpr0_sgpr1
	s_branch .LBB1049_983
.LBB1049_986:
	s_set_inst_prefetch_distance 0x2
	s_or_b32 exec_lo, exec_lo, s20
	v_cmp_gt_i64_e32 vcc_lo, s[8:9], v[27:28]
	s_mov_b32 s0, 0
	s_delay_alu instid0(SALU_CYCLE_1)
	v_mov_b32_e32 v96, s0
	v_cndmask_b32_e64 v95, 0, 1, vcc_lo
.LBB1049_987:
	s_or_b32 exec_lo, exec_lo, s19
.LBB1049_988:
	s_delay_alu instid0(SALU_CYCLE_1) | instskip(SKIP_3) | instid1(VALU_DEP_3)
	s_or_b32 exec_lo, exec_lo, s18
	v_add_nc_u32_e32 v5, 8, v53
	v_mul_lo_u32 v27, v23, s9
	v_mul_lo_u32 v28, v24, s8
	v_cmp_le_u32_e32 vcc_lo, s6, v5
	v_dual_cndmask_b32 v132, 0, v26 :: v_dual_cndmask_b32 v131, 0, v25
	s_or_b32 s0, vcc_lo, s15
	s_delay_alu instid0(SALU_CYCLE_1) | instskip(NEXT) | instid1(SALU_CYCLE_1)
	s_xor_b32 s0, s0, -1
	s_and_saveexec_b32 s18, s0
	s_cbranch_execz .LBB1049_997
; %bb.989:
	v_mad_u64_u32 v[5:6], null, v25, s8, s[10:11]
	v_mad_u64_u32 v[13:14], null, v23, s8, s[10:11]
	v_mov_b32_e32 v131, 1
	v_mov_b32_e32 v132, 0
	s_delay_alu instid0(VALU_DEP_4) | instskip(NEXT) | instid1(VALU_DEP_4)
	v_add3_u32 v6, v30, v6, v29
	v_add3_u32 v14, v28, v14, v27
	s_clause 0x1
	global_load_u8 v25, v[5:6], off
	global_load_u8 v26, v[13:14], off
	s_waitcnt vmcnt(1)
	v_cmp_ne_u16_e32 vcc_lo, 0, v25
	s_waitcnt vmcnt(0)
	v_cmp_ne_u16_e64 s0, 0, v26
	s_delay_alu instid0(VALU_DEP_1) | instskip(NEXT) | instid1(SALU_CYCLE_1)
	s_xor_b32 s0, vcc_lo, s0
	s_xor_b32 s0, s0, -1
	s_delay_alu instid0(SALU_CYCLE_1)
	s_and_saveexec_b32 s19, s0
	s_cbranch_execz .LBB1049_996
; %bb.990:
	s_mov_b64 s[12:13], 1
	s_mov_b32 s20, 0
                                        ; implicit-def: $sgpr21
	s_set_inst_prefetch_distance 0x1
	s_branch .LBB1049_993
	.p2align	6
.LBB1049_991:                           ;   in Loop: Header=BB1049_993 Depth=1
	v_add_co_u32 v25, vcc_lo, v5, s12
	v_add_co_ci_u32_e32 v26, vcc_lo, s13, v6, vcc_lo
	v_add_co_u32 v29, vcc_lo, v13, s12
	v_add_co_ci_u32_e32 v30, vcc_lo, s13, v14, vcc_lo
	s_clause 0x1
	global_load_u8 v25, v[25:26], off
	global_load_u8 v26, v[29:30], off
	s_waitcnt vmcnt(1)
	v_cmp_ne_u16_e32 vcc_lo, 0, v25
	s_waitcnt vmcnt(0)
	v_cmp_ne_u16_e64 s0, 0, v26
	s_delay_alu instid0(VALU_DEP_1) | instskip(SKIP_4) | instid1(SALU_CYCLE_1)
	s_xor_b32 s22, vcc_lo, s0
	s_add_u32 s0, s12, 1
	s_addc_u32 s1, s13, 0
	s_and_not1_b32 s21, s21, exec_lo
	s_and_b32 s22, s22, exec_lo
	s_or_b32 s21, s21, s22
.LBB1049_992:                           ;   in Loop: Header=BB1049_993 Depth=1
	v_dual_mov_b32 v26, s13 :: v_dual_mov_b32 v25, s12
	s_and_b32 s22, exec_lo, s21
	s_mov_b64 s[12:13], s[0:1]
	s_or_b32 s20, s22, s20
	s_delay_alu instid0(SALU_CYCLE_1)
	s_and_not1_b32 exec_lo, exec_lo, s20
	s_cbranch_execz .LBB1049_995
.LBB1049_993:                           ; =>This Inner Loop Header: Depth=1
	s_or_b32 s21, s21, exec_lo
	s_cmp_eq_u64 s[8:9], s[12:13]
	s_cbranch_scc0 .LBB1049_991
; %bb.994:                              ;   in Loop: Header=BB1049_993 Depth=1
	s_mov_b64 s[12:13], s[8:9]
                                        ; implicit-def: $sgpr0_sgpr1
	s_branch .LBB1049_992
.LBB1049_995:
	s_set_inst_prefetch_distance 0x2
	s_or_b32 exec_lo, exec_lo, s20
	v_cmp_gt_i64_e32 vcc_lo, s[8:9], v[25:26]
	s_mov_b32 s0, 0
	s_delay_alu instid0(SALU_CYCLE_1)
	v_mov_b32_e32 v132, s0
	v_cndmask_b32_e64 v131, 0, 1, vcc_lo
.LBB1049_996:
	s_or_b32 exec_lo, exec_lo, s19
.LBB1049_997:
	s_delay_alu instid0(SALU_CYCLE_1) | instskip(SKIP_3) | instid1(VALU_DEP_3)
	s_or_b32 exec_lo, exec_lo, s18
	v_add_nc_u32_e32 v5, 7, v53
	v_mul_lo_u32 v25, v21, s9
	v_mul_lo_u32 v26, v22, s8
	v_cmp_le_u32_e32 vcc_lo, s6, v5
	v_dual_cndmask_b32 v100, 0, v24 :: v_dual_cndmask_b32 v99, 0, v23
	s_or_b32 s0, vcc_lo, s15
	s_delay_alu instid0(SALU_CYCLE_1) | instskip(NEXT) | instid1(SALU_CYCLE_1)
	s_xor_b32 s0, s0, -1
	s_and_saveexec_b32 s18, s0
	s_cbranch_execz .LBB1049_1006
; %bb.998:
	v_mad_u64_u32 v[5:6], null, v23, s8, s[10:11]
	v_mad_u64_u32 v[13:14], null, v21, s8, s[10:11]
	v_mov_b32_e32 v99, 1
	v_mov_b32_e32 v100, 0
	s_mov_b32 s20, 0
	s_delay_alu instid0(VALU_DEP_4) | instskip(NEXT) | instid1(VALU_DEP_4)
	v_add3_u32 v6, v28, v6, v27
	v_add3_u32 v14, v26, v14, v25
	s_clause 0x1
	global_load_u8 v23, v[5:6], off
	global_load_u8 v24, v[13:14], off
	s_waitcnt vmcnt(1)
	v_cmp_ne_u16_e32 vcc_lo, 0, v23
	s_waitcnt vmcnt(0)
	v_cmp_ne_u16_e64 s0, 0, v24
	s_delay_alu instid0(VALU_DEP_1) | instskip(NEXT) | instid1(SALU_CYCLE_1)
	s_xor_b32 s0, vcc_lo, s0
	s_xor_b32 s0, s0, -1
	s_delay_alu instid0(SALU_CYCLE_1)
	s_and_saveexec_b32 s19, s0
	s_cbranch_execz .LBB1049_1005
; %bb.999:
	s_mov_b64 s[12:13], 1
                                        ; implicit-def: $sgpr21
	s_set_inst_prefetch_distance 0x1
	s_branch .LBB1049_1002
	.p2align	6
.LBB1049_1000:                          ;   in Loop: Header=BB1049_1002 Depth=1
	v_add_co_u32 v23, vcc_lo, v5, s12
	v_add_co_ci_u32_e32 v24, vcc_lo, s13, v6, vcc_lo
	v_add_co_u32 v27, vcc_lo, v13, s12
	v_add_co_ci_u32_e32 v28, vcc_lo, s13, v14, vcc_lo
	s_clause 0x1
	global_load_u8 v23, v[23:24], off
	global_load_u8 v24, v[27:28], off
	s_waitcnt vmcnt(1)
	v_cmp_ne_u16_e32 vcc_lo, 0, v23
	s_waitcnt vmcnt(0)
	v_cmp_ne_u16_e64 s0, 0, v24
	s_delay_alu instid0(VALU_DEP_1) | instskip(SKIP_4) | instid1(SALU_CYCLE_1)
	s_xor_b32 s22, vcc_lo, s0
	s_add_u32 s0, s12, 1
	s_addc_u32 s1, s13, 0
	s_and_not1_b32 s21, s21, exec_lo
	s_and_b32 s22, s22, exec_lo
	s_or_b32 s21, s21, s22
.LBB1049_1001:                          ;   in Loop: Header=BB1049_1002 Depth=1
	v_dual_mov_b32 v24, s13 :: v_dual_mov_b32 v23, s12
	s_and_b32 s22, exec_lo, s21
	s_mov_b64 s[12:13], s[0:1]
	s_or_b32 s20, s22, s20
	s_delay_alu instid0(SALU_CYCLE_1)
	s_and_not1_b32 exec_lo, exec_lo, s20
	s_cbranch_execz .LBB1049_1004
.LBB1049_1002:                          ; =>This Inner Loop Header: Depth=1
	s_or_b32 s21, s21, exec_lo
	s_cmp_eq_u64 s[8:9], s[12:13]
	s_cbranch_scc0 .LBB1049_1000
; %bb.1003:                             ;   in Loop: Header=BB1049_1002 Depth=1
	s_mov_b64 s[12:13], s[8:9]
                                        ; implicit-def: $sgpr0_sgpr1
	s_branch .LBB1049_1001
.LBB1049_1004:
	s_set_inst_prefetch_distance 0x2
	s_or_b32 exec_lo, exec_lo, s20
	v_cmp_gt_i64_e32 vcc_lo, s[8:9], v[23:24]
	s_mov_b32 s0, 0
	s_delay_alu instid0(SALU_CYCLE_1)
	v_mov_b32_e32 v100, s0
	v_cndmask_b32_e64 v99, 0, 1, vcc_lo
.LBB1049_1005:
	s_or_b32 exec_lo, exec_lo, s19
.LBB1049_1006:
	s_delay_alu instid0(SALU_CYCLE_1) | instskip(SKIP_3) | instid1(VALU_DEP_3)
	s_or_b32 exec_lo, exec_lo, s18
	v_add_nc_u32_e32 v5, 6, v53
	v_mul_lo_u32 v23, v19, s9
	v_mul_lo_u32 v24, v20, s8
	v_cmp_le_u32_e32 vcc_lo, s6, v5
	v_dual_cndmask_b32 v134, 0, v22 :: v_dual_cndmask_b32 v133, 0, v21
	s_or_b32 s0, vcc_lo, s15
	s_delay_alu instid0(SALU_CYCLE_1) | instskip(NEXT) | instid1(SALU_CYCLE_1)
	s_xor_b32 s0, s0, -1
	s_and_saveexec_b32 s18, s0
	s_cbranch_execz .LBB1049_1015
; %bb.1007:
	v_mad_u64_u32 v[5:6], null, v21, s8, s[10:11]
	v_mad_u64_u32 v[13:14], null, v19, s8, s[10:11]
	v_mov_b32_e32 v133, 1
	v_mov_b32_e32 v134, 0
	s_delay_alu instid0(VALU_DEP_4) | instskip(NEXT) | instid1(VALU_DEP_4)
	v_add3_u32 v6, v26, v6, v25
	v_add3_u32 v14, v24, v14, v23
	s_clause 0x1
	global_load_u8 v21, v[5:6], off
	global_load_u8 v22, v[13:14], off
	s_waitcnt vmcnt(1)
	v_cmp_ne_u16_e32 vcc_lo, 0, v21
	s_waitcnt vmcnt(0)
	v_cmp_ne_u16_e64 s0, 0, v22
	s_delay_alu instid0(VALU_DEP_1) | instskip(NEXT) | instid1(SALU_CYCLE_1)
	s_xor_b32 s0, vcc_lo, s0
	s_xor_b32 s0, s0, -1
	s_delay_alu instid0(SALU_CYCLE_1)
	s_and_saveexec_b32 s19, s0
	s_cbranch_execz .LBB1049_1014
; %bb.1008:
	s_mov_b64 s[12:13], 1
	s_mov_b32 s20, 0
                                        ; implicit-def: $sgpr21
	s_set_inst_prefetch_distance 0x1
	s_branch .LBB1049_1011
	.p2align	6
.LBB1049_1009:                          ;   in Loop: Header=BB1049_1011 Depth=1
	v_add_co_u32 v21, vcc_lo, v5, s12
	v_add_co_ci_u32_e32 v22, vcc_lo, s13, v6, vcc_lo
	v_add_co_u32 v25, vcc_lo, v13, s12
	v_add_co_ci_u32_e32 v26, vcc_lo, s13, v14, vcc_lo
	s_clause 0x1
	global_load_u8 v21, v[21:22], off
	global_load_u8 v22, v[25:26], off
	s_waitcnt vmcnt(1)
	v_cmp_ne_u16_e32 vcc_lo, 0, v21
	s_waitcnt vmcnt(0)
	v_cmp_ne_u16_e64 s0, 0, v22
	s_delay_alu instid0(VALU_DEP_1) | instskip(SKIP_4) | instid1(SALU_CYCLE_1)
	s_xor_b32 s22, vcc_lo, s0
	s_add_u32 s0, s12, 1
	s_addc_u32 s1, s13, 0
	s_and_not1_b32 s21, s21, exec_lo
	s_and_b32 s22, s22, exec_lo
	s_or_b32 s21, s21, s22
.LBB1049_1010:                          ;   in Loop: Header=BB1049_1011 Depth=1
	v_dual_mov_b32 v22, s13 :: v_dual_mov_b32 v21, s12
	s_and_b32 s22, exec_lo, s21
	s_mov_b64 s[12:13], s[0:1]
	s_or_b32 s20, s22, s20
	s_delay_alu instid0(SALU_CYCLE_1)
	s_and_not1_b32 exec_lo, exec_lo, s20
	s_cbranch_execz .LBB1049_1013
.LBB1049_1011:                          ; =>This Inner Loop Header: Depth=1
	s_or_b32 s21, s21, exec_lo
	s_cmp_eq_u64 s[8:9], s[12:13]
	s_cbranch_scc0 .LBB1049_1009
; %bb.1012:                             ;   in Loop: Header=BB1049_1011 Depth=1
	s_mov_b64 s[12:13], s[8:9]
                                        ; implicit-def: $sgpr0_sgpr1
	s_branch .LBB1049_1010
.LBB1049_1013:
	s_set_inst_prefetch_distance 0x2
	s_or_b32 exec_lo, exec_lo, s20
	v_cmp_gt_i64_e32 vcc_lo, s[8:9], v[21:22]
	s_mov_b32 s0, 0
	s_delay_alu instid0(SALU_CYCLE_1)
	v_mov_b32_e32 v134, s0
	v_cndmask_b32_e64 v133, 0, 1, vcc_lo
.LBB1049_1014:
	s_or_b32 exec_lo, exec_lo, s19
.LBB1049_1015:
	s_delay_alu instid0(SALU_CYCLE_1) | instskip(SKIP_3) | instid1(VALU_DEP_3)
	s_or_b32 exec_lo, exec_lo, s18
	v_add_nc_u32_e32 v5, 5, v53
	v_mul_lo_u32 v21, v17, s9
	v_mul_lo_u32 v22, v18, s8
	v_cmp_le_u32_e32 vcc_lo, s6, v5
	v_dual_cndmask_b32 v104, 0, v20 :: v_dual_cndmask_b32 v103, 0, v19
	s_or_b32 s0, vcc_lo, s15
	s_delay_alu instid0(SALU_CYCLE_1) | instskip(NEXT) | instid1(SALU_CYCLE_1)
	s_xor_b32 s0, s0, -1
	s_and_saveexec_b32 s18, s0
	s_cbranch_execz .LBB1049_1024
; %bb.1016:
	v_mad_u64_u32 v[5:6], null, v19, s8, s[10:11]
	v_mad_u64_u32 v[13:14], null, v17, s8, s[10:11]
	v_mov_b32_e32 v103, 1
	v_mov_b32_e32 v104, 0
	s_mov_b32 s20, 0
	s_delay_alu instid0(VALU_DEP_4) | instskip(NEXT) | instid1(VALU_DEP_4)
	v_add3_u32 v6, v24, v6, v23
	v_add3_u32 v14, v22, v14, v21
	s_clause 0x1
	global_load_u8 v19, v[5:6], off
	global_load_u8 v20, v[13:14], off
	s_waitcnt vmcnt(1)
	v_cmp_ne_u16_e32 vcc_lo, 0, v19
	s_waitcnt vmcnt(0)
	v_cmp_ne_u16_e64 s0, 0, v20
	s_delay_alu instid0(VALU_DEP_1) | instskip(NEXT) | instid1(SALU_CYCLE_1)
	s_xor_b32 s0, vcc_lo, s0
	s_xor_b32 s0, s0, -1
	s_delay_alu instid0(SALU_CYCLE_1)
	s_and_saveexec_b32 s19, s0
	s_cbranch_execz .LBB1049_1023
; %bb.1017:
	s_mov_b64 s[12:13], 1
                                        ; implicit-def: $sgpr21
	s_set_inst_prefetch_distance 0x1
	s_branch .LBB1049_1020
	.p2align	6
.LBB1049_1018:                          ;   in Loop: Header=BB1049_1020 Depth=1
	v_add_co_u32 v19, vcc_lo, v5, s12
	v_add_co_ci_u32_e32 v20, vcc_lo, s13, v6, vcc_lo
	v_add_co_u32 v23, vcc_lo, v13, s12
	v_add_co_ci_u32_e32 v24, vcc_lo, s13, v14, vcc_lo
	s_clause 0x1
	global_load_u8 v19, v[19:20], off
	global_load_u8 v20, v[23:24], off
	s_waitcnt vmcnt(1)
	v_cmp_ne_u16_e32 vcc_lo, 0, v19
	s_waitcnt vmcnt(0)
	v_cmp_ne_u16_e64 s0, 0, v20
	s_delay_alu instid0(VALU_DEP_1) | instskip(SKIP_4) | instid1(SALU_CYCLE_1)
	s_xor_b32 s22, vcc_lo, s0
	s_add_u32 s0, s12, 1
	s_addc_u32 s1, s13, 0
	s_and_not1_b32 s21, s21, exec_lo
	s_and_b32 s22, s22, exec_lo
	s_or_b32 s21, s21, s22
.LBB1049_1019:                          ;   in Loop: Header=BB1049_1020 Depth=1
	v_dual_mov_b32 v20, s13 :: v_dual_mov_b32 v19, s12
	s_and_b32 s22, exec_lo, s21
	s_mov_b64 s[12:13], s[0:1]
	s_or_b32 s20, s22, s20
	s_delay_alu instid0(SALU_CYCLE_1)
	s_and_not1_b32 exec_lo, exec_lo, s20
	s_cbranch_execz .LBB1049_1022
.LBB1049_1020:                          ; =>This Inner Loop Header: Depth=1
	s_or_b32 s21, s21, exec_lo
	s_cmp_eq_u64 s[8:9], s[12:13]
	s_cbranch_scc0 .LBB1049_1018
; %bb.1021:                             ;   in Loop: Header=BB1049_1020 Depth=1
	s_mov_b64 s[12:13], s[8:9]
                                        ; implicit-def: $sgpr0_sgpr1
	s_branch .LBB1049_1019
.LBB1049_1022:
	s_set_inst_prefetch_distance 0x2
	s_or_b32 exec_lo, exec_lo, s20
	v_cmp_gt_i64_e32 vcc_lo, s[8:9], v[19:20]
	s_mov_b32 s0, 0
	s_delay_alu instid0(SALU_CYCLE_1)
	v_mov_b32_e32 v104, s0
	v_cndmask_b32_e64 v103, 0, 1, vcc_lo
.LBB1049_1023:
	s_or_b32 exec_lo, exec_lo, s19
.LBB1049_1024:
	s_delay_alu instid0(SALU_CYCLE_1) | instskip(SKIP_3) | instid1(VALU_DEP_3)
	s_or_b32 exec_lo, exec_lo, s18
	v_add_nc_u32_e32 v5, 4, v53
	v_mul_lo_u32 v19, v11, s9
	v_mul_lo_u32 v20, v12, s8
	v_cmp_le_u32_e32 vcc_lo, s6, v5
	v_dual_cndmask_b32 v136, 0, v18 :: v_dual_cndmask_b32 v135, 0, v17
	s_or_b32 s0, vcc_lo, s15
	s_delay_alu instid0(SALU_CYCLE_1) | instskip(NEXT) | instid1(SALU_CYCLE_1)
	s_xor_b32 s0, s0, -1
	s_and_saveexec_b32 s18, s0
	s_cbranch_execz .LBB1049_1033
; %bb.1025:
	v_mad_u64_u32 v[5:6], null, v17, s8, s[10:11]
	v_mad_u64_u32 v[13:14], null, v11, s8, s[10:11]
	v_mov_b32_e32 v135, 1
	v_mov_b32_e32 v136, 0
	s_delay_alu instid0(VALU_DEP_4) | instskip(NEXT) | instid1(VALU_DEP_4)
	v_add3_u32 v6, v22, v6, v21
	v_add3_u32 v14, v20, v14, v19
	s_clause 0x1
	global_load_u8 v17, v[5:6], off
	global_load_u8 v18, v[13:14], off
	s_waitcnt vmcnt(1)
	v_cmp_ne_u16_e32 vcc_lo, 0, v17
	s_waitcnt vmcnt(0)
	v_cmp_ne_u16_e64 s0, 0, v18
	s_delay_alu instid0(VALU_DEP_1) | instskip(NEXT) | instid1(SALU_CYCLE_1)
	s_xor_b32 s0, vcc_lo, s0
	s_xor_b32 s0, s0, -1
	s_delay_alu instid0(SALU_CYCLE_1)
	s_and_saveexec_b32 s19, s0
	s_cbranch_execz .LBB1049_1032
; %bb.1026:
	s_mov_b64 s[12:13], 1
	s_mov_b32 s20, 0
                                        ; implicit-def: $sgpr21
	s_set_inst_prefetch_distance 0x1
	s_branch .LBB1049_1029
	.p2align	6
.LBB1049_1027:                          ;   in Loop: Header=BB1049_1029 Depth=1
	v_add_co_u32 v17, vcc_lo, v5, s12
	v_add_co_ci_u32_e32 v18, vcc_lo, s13, v6, vcc_lo
	v_add_co_u32 v21, vcc_lo, v13, s12
	v_add_co_ci_u32_e32 v22, vcc_lo, s13, v14, vcc_lo
	s_clause 0x1
	global_load_u8 v17, v[17:18], off
	global_load_u8 v18, v[21:22], off
	s_waitcnt vmcnt(1)
	v_cmp_ne_u16_e32 vcc_lo, 0, v17
	s_waitcnt vmcnt(0)
	v_cmp_ne_u16_e64 s0, 0, v18
	s_delay_alu instid0(VALU_DEP_1) | instskip(SKIP_4) | instid1(SALU_CYCLE_1)
	s_xor_b32 s22, vcc_lo, s0
	s_add_u32 s0, s12, 1
	s_addc_u32 s1, s13, 0
	s_and_not1_b32 s21, s21, exec_lo
	s_and_b32 s22, s22, exec_lo
	s_or_b32 s21, s21, s22
.LBB1049_1028:                          ;   in Loop: Header=BB1049_1029 Depth=1
	v_dual_mov_b32 v18, s13 :: v_dual_mov_b32 v17, s12
	s_and_b32 s22, exec_lo, s21
	s_mov_b64 s[12:13], s[0:1]
	s_or_b32 s20, s22, s20
	s_delay_alu instid0(SALU_CYCLE_1)
	s_and_not1_b32 exec_lo, exec_lo, s20
	s_cbranch_execz .LBB1049_1031
.LBB1049_1029:                          ; =>This Inner Loop Header: Depth=1
	s_or_b32 s21, s21, exec_lo
	s_cmp_eq_u64 s[8:9], s[12:13]
	s_cbranch_scc0 .LBB1049_1027
; %bb.1030:                             ;   in Loop: Header=BB1049_1029 Depth=1
	s_mov_b64 s[12:13], s[8:9]
                                        ; implicit-def: $sgpr0_sgpr1
	s_branch .LBB1049_1028
.LBB1049_1031:
	s_set_inst_prefetch_distance 0x2
	s_or_b32 exec_lo, exec_lo, s20
	v_cmp_gt_i64_e32 vcc_lo, s[8:9], v[17:18]
	s_mov_b32 s0, 0
	s_delay_alu instid0(SALU_CYCLE_1)
	v_mov_b32_e32 v136, s0
	v_cndmask_b32_e64 v135, 0, 1, vcc_lo
.LBB1049_1032:
	s_or_b32 exec_lo, exec_lo, s19
.LBB1049_1033:
	s_delay_alu instid0(SALU_CYCLE_1) | instskip(SKIP_3) | instid1(VALU_DEP_3)
	s_or_b32 exec_lo, exec_lo, s18
	v_add_nc_u32_e32 v5, 3, v53
	v_mul_lo_u32 v17, v9, s9
	v_mul_lo_u32 v18, v10, s8
	v_cmp_le_u32_e32 vcc_lo, s6, v5
	v_dual_cndmask_b32 v108, 0, v12 :: v_dual_cndmask_b32 v107, 0, v11
	s_or_b32 s0, vcc_lo, s15
	s_delay_alu instid0(SALU_CYCLE_1) | instskip(NEXT) | instid1(SALU_CYCLE_1)
	s_xor_b32 s0, s0, -1
	s_and_saveexec_b32 s18, s0
	s_cbranch_execz .LBB1049_1042
; %bb.1034:
	v_mad_u64_u32 v[5:6], null, v11, s8, s[10:11]
	v_mad_u64_u32 v[11:12], null, v9, s8, s[10:11]
	v_mov_b32_e32 v107, 1
	v_mov_b32_e32 v108, 0
	s_mov_b32 s20, 0
	s_delay_alu instid0(VALU_DEP_4) | instskip(NEXT) | instid1(VALU_DEP_4)
	v_add3_u32 v6, v20, v6, v19
	v_add3_u32 v12, v18, v12, v17
	s_clause 0x1
	global_load_u8 v13, v[5:6], off
	global_load_u8 v14, v[11:12], off
	s_waitcnt vmcnt(1)
	v_cmp_ne_u16_e32 vcc_lo, 0, v13
	s_waitcnt vmcnt(0)
	v_cmp_ne_u16_e64 s0, 0, v14
	s_delay_alu instid0(VALU_DEP_1) | instskip(NEXT) | instid1(SALU_CYCLE_1)
	s_xor_b32 s0, vcc_lo, s0
	s_xor_b32 s0, s0, -1
	s_delay_alu instid0(SALU_CYCLE_1)
	s_and_saveexec_b32 s19, s0
	s_cbranch_execz .LBB1049_1041
; %bb.1035:
	s_mov_b64 s[12:13], 1
                                        ; implicit-def: $sgpr21
	s_set_inst_prefetch_distance 0x1
	s_branch .LBB1049_1038
	.p2align	6
.LBB1049_1036:                          ;   in Loop: Header=BB1049_1038 Depth=1
	v_add_co_u32 v13, vcc_lo, v5, s12
	v_add_co_ci_u32_e32 v14, vcc_lo, s13, v6, vcc_lo
	v_add_co_u32 v19, vcc_lo, v11, s12
	v_add_co_ci_u32_e32 v20, vcc_lo, s13, v12, vcc_lo
	s_clause 0x1
	global_load_u8 v13, v[13:14], off
	global_load_u8 v14, v[19:20], off
	s_waitcnt vmcnt(1)
	v_cmp_ne_u16_e32 vcc_lo, 0, v13
	s_waitcnt vmcnt(0)
	v_cmp_ne_u16_e64 s0, 0, v14
	s_delay_alu instid0(VALU_DEP_1) | instskip(SKIP_4) | instid1(SALU_CYCLE_1)
	s_xor_b32 s22, vcc_lo, s0
	s_add_u32 s0, s12, 1
	s_addc_u32 s1, s13, 0
	s_and_not1_b32 s21, s21, exec_lo
	s_and_b32 s22, s22, exec_lo
	s_or_b32 s21, s21, s22
.LBB1049_1037:                          ;   in Loop: Header=BB1049_1038 Depth=1
	v_dual_mov_b32 v14, s13 :: v_dual_mov_b32 v13, s12
	s_and_b32 s22, exec_lo, s21
	s_mov_b64 s[12:13], s[0:1]
	s_or_b32 s20, s22, s20
	s_delay_alu instid0(SALU_CYCLE_1)
	s_and_not1_b32 exec_lo, exec_lo, s20
	s_cbranch_execz .LBB1049_1040
.LBB1049_1038:                          ; =>This Inner Loop Header: Depth=1
	s_or_b32 s21, s21, exec_lo
	s_cmp_eq_u64 s[8:9], s[12:13]
	s_cbranch_scc0 .LBB1049_1036
; %bb.1039:                             ;   in Loop: Header=BB1049_1038 Depth=1
	s_mov_b64 s[12:13], s[8:9]
                                        ; implicit-def: $sgpr0_sgpr1
	s_branch .LBB1049_1037
.LBB1049_1040:
	s_set_inst_prefetch_distance 0x2
	s_or_b32 exec_lo, exec_lo, s20
	v_cmp_gt_i64_e32 vcc_lo, s[8:9], v[13:14]
	s_mov_b32 s0, 0
	s_delay_alu instid0(SALU_CYCLE_1)
	v_mov_b32_e32 v108, s0
	v_cndmask_b32_e64 v107, 0, 1, vcc_lo
.LBB1049_1041:
	s_or_b32 exec_lo, exec_lo, s19
.LBB1049_1042:
	s_delay_alu instid0(SALU_CYCLE_1) | instskip(SKIP_3) | instid1(VALU_DEP_3)
	s_or_b32 exec_lo, exec_lo, s18
	v_add_nc_u32_e32 v5, 2, v53
	v_mul_lo_u32 v13, v3, s9
	v_mul_lo_u32 v14, v4, s8
	v_cmp_le_u32_e32 vcc_lo, s6, v5
	v_dual_cndmask_b32 v138, 0, v10 :: v_dual_cndmask_b32 v137, 0, v9
	s_or_b32 s0, vcc_lo, s15
	s_delay_alu instid0(SALU_CYCLE_1) | instskip(NEXT) | instid1(SALU_CYCLE_1)
	s_xor_b32 s0, s0, -1
	s_and_saveexec_b32 s18, s0
	s_cbranch_execz .LBB1049_1051
; %bb.1043:
	v_mad_u64_u32 v[5:6], null, v9, s8, s[10:11]
	v_mad_u64_u32 v[9:10], null, v3, s8, s[10:11]
	v_mov_b32_e32 v137, 1
	v_mov_b32_e32 v138, 0
	s_delay_alu instid0(VALU_DEP_4) | instskip(NEXT) | instid1(VALU_DEP_4)
	v_add3_u32 v6, v18, v6, v17
	v_add3_u32 v10, v14, v10, v13
	s_clause 0x1
	global_load_u8 v11, v[5:6], off
	global_load_u8 v12, v[9:10], off
	s_waitcnt vmcnt(1)
	v_cmp_ne_u16_e32 vcc_lo, 0, v11
	s_waitcnt vmcnt(0)
	v_cmp_ne_u16_e64 s0, 0, v12
	s_delay_alu instid0(VALU_DEP_1) | instskip(NEXT) | instid1(SALU_CYCLE_1)
	s_xor_b32 s0, vcc_lo, s0
	s_xor_b32 s0, s0, -1
	s_delay_alu instid0(SALU_CYCLE_1)
	s_and_saveexec_b32 s19, s0
	s_cbranch_execz .LBB1049_1050
; %bb.1044:
	s_mov_b64 s[12:13], 1
	s_mov_b32 s20, 0
                                        ; implicit-def: $sgpr21
	s_set_inst_prefetch_distance 0x1
	s_branch .LBB1049_1047
	.p2align	6
.LBB1049_1045:                          ;   in Loop: Header=BB1049_1047 Depth=1
	v_add_co_u32 v11, vcc_lo, v5, s12
	v_add_co_ci_u32_e32 v12, vcc_lo, s13, v6, vcc_lo
	v_add_co_u32 v17, vcc_lo, v9, s12
	v_add_co_ci_u32_e32 v18, vcc_lo, s13, v10, vcc_lo
	s_clause 0x1
	global_load_u8 v11, v[11:12], off
	global_load_u8 v12, v[17:18], off
	s_waitcnt vmcnt(1)
	v_cmp_ne_u16_e32 vcc_lo, 0, v11
	s_waitcnt vmcnt(0)
	v_cmp_ne_u16_e64 s0, 0, v12
	s_delay_alu instid0(VALU_DEP_1) | instskip(SKIP_4) | instid1(SALU_CYCLE_1)
	s_xor_b32 s22, vcc_lo, s0
	s_add_u32 s0, s12, 1
	s_addc_u32 s1, s13, 0
	s_and_not1_b32 s21, s21, exec_lo
	s_and_b32 s22, s22, exec_lo
	s_or_b32 s21, s21, s22
.LBB1049_1046:                          ;   in Loop: Header=BB1049_1047 Depth=1
	v_dual_mov_b32 v11, s12 :: v_dual_mov_b32 v12, s13
	s_and_b32 s22, exec_lo, s21
	s_mov_b64 s[12:13], s[0:1]
	s_or_b32 s20, s22, s20
	s_delay_alu instid0(SALU_CYCLE_1)
	s_and_not1_b32 exec_lo, exec_lo, s20
	s_cbranch_execz .LBB1049_1049
.LBB1049_1047:                          ; =>This Inner Loop Header: Depth=1
	s_or_b32 s21, s21, exec_lo
	s_cmp_eq_u64 s[8:9], s[12:13]
	s_cbranch_scc0 .LBB1049_1045
; %bb.1048:                             ;   in Loop: Header=BB1049_1047 Depth=1
	s_mov_b64 s[12:13], s[8:9]
                                        ; implicit-def: $sgpr0_sgpr1
	s_branch .LBB1049_1046
.LBB1049_1049:
	s_set_inst_prefetch_distance 0x2
	s_or_b32 exec_lo, exec_lo, s20
	v_cmp_gt_i64_e32 vcc_lo, s[8:9], v[11:12]
	s_mov_b32 s0, 0
	s_delay_alu instid0(SALU_CYCLE_1)
	v_mov_b32_e32 v138, s0
	v_cndmask_b32_e64 v137, 0, 1, vcc_lo
.LBB1049_1050:
	s_or_b32 exec_lo, exec_lo, s19
.LBB1049_1051:
	s_delay_alu instid0(SALU_CYCLE_1) | instskip(SKIP_1) | instid1(VALU_DEP_1)
	s_or_b32 exec_lo, exec_lo, s18
	v_add_nc_u32_e32 v5, 1, v53
	v_cmp_le_u32_e32 vcc_lo, s6, v5
	v_dual_cndmask_b32 v140, 0, v4 :: v_dual_cndmask_b32 v139, 0, v3
	s_or_b32 s0, vcc_lo, s15
	s_delay_alu instid0(SALU_CYCLE_1) | instskip(NEXT) | instid1(SALU_CYCLE_1)
	s_xor_b32 s0, s0, -1
	s_and_saveexec_b32 s15, s0
	s_cbranch_execz .LBB1049_1060
; %bb.1052:
	v_mad_u64_u32 v[4:5], null, v3, s8, s[10:11]
	v_mad_u64_u32 v[9:10], null, v1, s8, s[10:11]
	v_mul_lo_u32 v3, v1, s9
	v_mul_lo_u32 v6, v2, s8
	v_mov_b32_e32 v139, 1
	v_mov_b32_e32 v140, 0
	v_add3_u32 v5, v14, v5, v13
	s_mov_b32 s19, 0
	s_delay_alu instid0(VALU_DEP_4)
	v_add3_u32 v10, v6, v10, v3
	s_clause 0x1
	global_load_u8 v3, v[4:5], off
	global_load_u8 v6, v[9:10], off
	s_waitcnt vmcnt(1)
	v_cmp_ne_u16_e32 vcc_lo, 0, v3
	s_waitcnt vmcnt(0)
	v_cmp_ne_u16_e64 s0, 0, v6
	s_delay_alu instid0(VALU_DEP_1) | instskip(NEXT) | instid1(SALU_CYCLE_1)
	s_xor_b32 s0, vcc_lo, s0
	s_xor_b32 s0, s0, -1
	s_delay_alu instid0(SALU_CYCLE_1)
	s_and_saveexec_b32 s18, s0
	s_cbranch_execz .LBB1049_1059
; %bb.1053:
	s_mov_b64 s[12:13], 1
                                        ; implicit-def: $sgpr20
	s_set_inst_prefetch_distance 0x1
	s_branch .LBB1049_1056
	.p2align	6
.LBB1049_1054:                          ;   in Loop: Header=BB1049_1056 Depth=1
	v_add_co_u32 v11, vcc_lo, v4, s12
	v_add_co_ci_u32_e32 v12, vcc_lo, s13, v5, vcc_lo
	v_add_co_u32 v13, vcc_lo, v9, s12
	v_add_co_ci_u32_e32 v14, vcc_lo, s13, v10, vcc_lo
	s_clause 0x1
	global_load_u8 v3, v[11:12], off
	global_load_u8 v6, v[13:14], off
	s_waitcnt vmcnt(1)
	v_cmp_ne_u16_e32 vcc_lo, 0, v3
	s_waitcnt vmcnt(0)
	v_cmp_ne_u16_e64 s0, 0, v6
	s_delay_alu instid0(VALU_DEP_1) | instskip(SKIP_4) | instid1(SALU_CYCLE_1)
	s_xor_b32 s21, vcc_lo, s0
	s_add_u32 s0, s12, 1
	s_addc_u32 s1, s13, 0
	s_and_not1_b32 s20, s20, exec_lo
	s_and_b32 s21, s21, exec_lo
	s_or_b32 s20, s20, s21
.LBB1049_1055:                          ;   in Loop: Header=BB1049_1056 Depth=1
	v_dual_mov_b32 v11, s12 :: v_dual_mov_b32 v12, s13
	s_and_b32 s21, exec_lo, s20
	s_mov_b64 s[12:13], s[0:1]
	s_or_b32 s19, s21, s19
	s_delay_alu instid0(SALU_CYCLE_1)
	s_and_not1_b32 exec_lo, exec_lo, s19
	s_cbranch_execz .LBB1049_1058
.LBB1049_1056:                          ; =>This Inner Loop Header: Depth=1
	s_or_b32 s20, s20, exec_lo
	s_cmp_eq_u64 s[8:9], s[12:13]
	s_cbranch_scc0 .LBB1049_1054
; %bb.1057:                             ;   in Loop: Header=BB1049_1056 Depth=1
	s_mov_b64 s[12:13], s[8:9]
                                        ; implicit-def: $sgpr0_sgpr1
	s_branch .LBB1049_1055
.LBB1049_1058:
	s_set_inst_prefetch_distance 0x2
	s_or_b32 exec_lo, exec_lo, s19
	v_cmp_gt_i64_e32 vcc_lo, s[8:9], v[11:12]
	s_mov_b32 s0, 0
	s_delay_alu instid0(SALU_CYCLE_1)
	v_mov_b32_e32 v140, s0
	v_cndmask_b32_e64 v139, 0, 1, vcc_lo
.LBB1049_1059:
	s_or_b32 exec_lo, exec_lo, s18
.LBB1049_1060:
	s_delay_alu instid0(SALU_CYCLE_1)
	s_or_b32 exec_lo, exec_lo, s15
	v_cmp_ne_u32_e32 vcc_lo, 0, v0
	v_cmp_gt_u32_e64 s0, s6, v53
	s_mov_b32 s1, 0
	s_waitcnt lgkmcnt(0)
	s_barrier
	buffer_gl0_inv
	s_and_b32 s13, vcc_lo, s0
                                        ; implicit-def: $sgpr0
	s_delay_alu instid0(SALU_CYCLE_1)
	s_and_saveexec_b32 s12, s13
	s_cbranch_execz .LBB1049_1071
; %bb.1061:
	s_and_not1_b32 vcc_lo, exec_lo, s14
	s_cbranch_vccnz .LBB1049_1070
; %bb.1062:
	v_add_nc_u32_e32 v3, -8, v141
	v_mul_lo_u32 v9, v1, s9
	v_mul_lo_u32 v10, v2, s8
	s_mov_b32 s14, 0
	s_mov_b32 s1, -1
	ds_load_b64 v[5:6], v3
	v_mad_u64_u32 v[3:4], null, v1, s8, s[10:11]
	s_delay_alu instid0(VALU_DEP_1) | instskip(SKIP_4) | instid1(VALU_DEP_1)
	v_add3_u32 v4, v10, v4, v9
	s_waitcnt lgkmcnt(0)
	v_mul_lo_u32 v11, v5, s9
	v_mul_lo_u32 v6, v6, s8
	v_mad_u64_u32 v[1:2], null, v5, s8, s[10:11]
	v_add3_u32 v2, v6, v2, v11
	s_clause 0x1
	global_load_u8 v5, v[3:4], off
	global_load_u8 v6, v[1:2], off
	s_waitcnt vmcnt(1)
	v_cmp_ne_u16_e32 vcc_lo, 0, v5
	s_waitcnt vmcnt(0)
	v_cmp_ne_u16_e64 s0, 0, v6
	s_delay_alu instid0(VALU_DEP_1) | instskip(NEXT) | instid1(SALU_CYCLE_1)
	s_xor_b32 s0, vcc_lo, s0
	s_xor_b32 s0, s0, -1
	s_delay_alu instid0(SALU_CYCLE_1)
	s_and_saveexec_b32 s13, s0
	s_cbranch_execz .LBB1049_1069
; %bb.1063:
	s_mov_b64 s[10:11], 1
                                        ; implicit-def: $sgpr15
	s_set_inst_prefetch_distance 0x1
	s_branch .LBB1049_1066
	.p2align	6
.LBB1049_1064:                          ;   in Loop: Header=BB1049_1066 Depth=1
	v_add_co_u32 v5, vcc_lo, v3, s10
	v_add_co_ci_u32_e32 v6, vcc_lo, s11, v4, vcc_lo
	v_add_co_u32 v9, vcc_lo, v1, s10
	v_add_co_ci_u32_e32 v10, vcc_lo, s11, v2, vcc_lo
	s_clause 0x1
	global_load_u8 v5, v[5:6], off
	global_load_u8 v6, v[9:10], off
	s_waitcnt vmcnt(1)
	v_cmp_ne_u16_e32 vcc_lo, 0, v5
	s_waitcnt vmcnt(0)
	v_cmp_ne_u16_e64 s0, 0, v6
	s_delay_alu instid0(VALU_DEP_1) | instskip(SKIP_4) | instid1(SALU_CYCLE_1)
	s_xor_b32 s18, vcc_lo, s0
	s_add_u32 s0, s10, 1
	s_addc_u32 s1, s11, 0
	s_and_not1_b32 s15, s15, exec_lo
	s_and_b32 s18, s18, exec_lo
	s_or_b32 s15, s15, s18
.LBB1049_1065:                          ;   in Loop: Header=BB1049_1066 Depth=1
	v_dual_mov_b32 v5, s10 :: v_dual_mov_b32 v6, s11
	s_and_b32 s18, exec_lo, s15
	s_mov_b64 s[10:11], s[0:1]
	s_or_b32 s14, s18, s14
	s_delay_alu instid0(SALU_CYCLE_1)
	s_and_not1_b32 exec_lo, exec_lo, s14
	s_cbranch_execz .LBB1049_1068
.LBB1049_1066:                          ; =>This Inner Loop Header: Depth=1
	s_or_b32 s15, s15, exec_lo
	s_cmp_eq_u64 s[8:9], s[10:11]
	s_cbranch_scc0 .LBB1049_1064
; %bb.1067:                             ;   in Loop: Header=BB1049_1066 Depth=1
	s_mov_b64 s[10:11], s[8:9]
                                        ; implicit-def: $sgpr0_sgpr1
	s_branch .LBB1049_1065
.LBB1049_1068:
	s_set_inst_prefetch_distance 0x2
	s_or_b32 exec_lo, exec_lo, s14
	v_cmp_gt_i64_e32 vcc_lo, s[8:9], v[5:6]
	s_or_not1_b32 s1, vcc_lo, exec_lo
.LBB1049_1069:
	s_or_b32 exec_lo, exec_lo, s13
.LBB1049_1070:
	s_delay_alu instid0(SALU_CYCLE_1)
	s_and_b32 s0, s1, exec_lo
	s_or_b32 s3, s3, exec_lo
                                        ; implicit-def: $vgpr1_vgpr2
.LBB1049_1071:
	s_or_b32 exec_lo, exec_lo, s12
.LBB1049_1072:
	s_and_saveexec_b32 s1, s3
; %bb.1073:
	s_mov_b32 s3, 0
	v_cndmask_b32_e64 v1, 0, 1, s0
	v_mov_b32_e32 v2, s3
; %bb.1074:
	s_or_b32 exec_lo, exec_lo, s1
	s_waitcnt lgkmcnt(0)
	v_mul_u32_u24_e32 v33, 0xe8, v0
	v_mul_i32_i24_e32 v34, 0xffffff20, v0
	s_add_u32 s8, s4, s16
	s_addc_u32 s4, s5, s17
	s_and_b32 vcc_lo, exec_lo, s26
	s_barrier
	buffer_gl0_inv
	s_cbranch_vccz .LBB1049_1132
; %bb.1075:
	v_dual_mov_b32 v3, v139 :: v_dual_mov_b32 v4, v140
	s_mov_b32 s3, 0
	ds_store_2addr_b64 v33, v[135:136], v[103:104] offset0:4 offset1:5
	ds_store_2addr_b64 v33, v[133:134], v[99:100] offset0:6 offset1:7
	ds_store_2addr_b64 v33, v[1:2], v[3:4] offset1:1
	ds_store_2addr_b64 v33, v[137:138], v[107:108] offset0:2 offset1:3
	ds_store_2addr_b64 v33, v[131:132], v[95:96] offset0:8 offset1:9
	;; [unrolled: 1-line block ×11, first 2 shown]
	v_mad_u32_u24 v3, 0xe8, v0, v34
	ds_store_b64 v33, v[109:110] offset:224
	s_waitcnt lgkmcnt(0)
	s_barrier
	buffer_gl0_inv
	ds_load_2addr_stride64_b64 v[69:72], v3 offset0:2 offset1:4
	ds_load_2addr_stride64_b64 v[65:68], v3 offset0:6 offset1:8
	;; [unrolled: 1-line block ×14, first 2 shown]
	s_lshl_b64 s[0:1], s[2:3], 3
	s_add_i32 s7, s7, s6
	s_add_u32 s0, s8, s0
	s_addc_u32 s1, s4, s1
	v_add_co_u32 v13, s0, s0, v141
	s_delay_alu instid0(VALU_DEP_1)
	v_add_co_ci_u32_e64 v14, null, s1, 0, s0
	s_mov_b32 s0, exec_lo
	v_cmpx_gt_u32_e64 s7, v0
	s_cbranch_execz .LBB1049_1077
; %bb.1076:
	v_add_nc_u32_e32 v53, v33, v34
	ds_load_b64 v[53:54], v53
	s_waitcnt lgkmcnt(0)
	global_store_b64 v[13:14], v[53:54], off
.LBB1049_1077:
	s_or_b32 exec_lo, exec_lo, s0
	v_or_b32_e32 v53, 0x80, v0
	s_mov_b32 s0, exec_lo
	s_delay_alu instid0(VALU_DEP_1)
	v_cmpx_gt_u32_e64 s7, v53
	s_cbranch_execz .LBB1049_1079
; %bb.1078:
	s_waitcnt lgkmcnt(13)
	global_store_b64 v[13:14], v[69:70], off offset:1024
.LBB1049_1079:
	s_or_b32 exec_lo, exec_lo, s0
	v_or_b32_e32 v53, 0x100, v0
	s_mov_b32 s0, exec_lo
	s_delay_alu instid0(VALU_DEP_1)
	v_cmpx_gt_u32_e64 s7, v53
	s_cbranch_execz .LBB1049_1081
; %bb.1080:
	s_waitcnt lgkmcnt(13)
	global_store_b64 v[13:14], v[71:72], off offset:2048
.LBB1049_1081:
	;; [unrolled: 10-line block ×3, first 2 shown]
	s_or_b32 exec_lo, exec_lo, s0
	v_or_b32_e32 v53, 0x200, v0
	s_mov_b32 s0, exec_lo
	s_delay_alu instid0(VALU_DEP_1)
	v_cmpx_gt_u32_e64 s7, v53
	s_cbranch_execz .LBB1049_1085
; %bb.1084:
	v_add_co_u32 v53, vcc_lo, 0x1000, v13
	v_add_co_ci_u32_e32 v54, vcc_lo, 0, v14, vcc_lo
	s_waitcnt lgkmcnt(12)
	global_store_b64 v[53:54], v[67:68], off
.LBB1049_1085:
	s_or_b32 exec_lo, exec_lo, s0
	v_or_b32_e32 v53, 0x280, v0
	s_mov_b32 s0, exec_lo
	s_delay_alu instid0(VALU_DEP_1)
	v_cmpx_gt_u32_e64 s7, v53
	s_cbranch_execz .LBB1049_1087
; %bb.1086:
	v_add_co_u32 v53, vcc_lo, 0x1000, v13
	v_add_co_ci_u32_e32 v54, vcc_lo, 0, v14, vcc_lo
	s_waitcnt lgkmcnt(11)
	global_store_b64 v[53:54], v[61:62], off offset:1024
.LBB1049_1087:
	s_or_b32 exec_lo, exec_lo, s0
	v_or_b32_e32 v53, 0x300, v0
	s_mov_b32 s0, exec_lo
	s_delay_alu instid0(VALU_DEP_1)
	v_cmpx_gt_u32_e64 s7, v53
	s_cbranch_execz .LBB1049_1089
; %bb.1088:
	v_add_co_u32 v53, vcc_lo, 0x1000, v13
	v_add_co_ci_u32_e32 v54, vcc_lo, 0, v14, vcc_lo
	s_waitcnt lgkmcnt(11)
	global_store_b64 v[53:54], v[63:64], off offset:2048
.LBB1049_1089:
	;; [unrolled: 12-line block ×3, first 2 shown]
	s_or_b32 exec_lo, exec_lo, s0
	v_or_b32_e32 v53, 0x400, v0
	s_mov_b32 s0, exec_lo
	s_delay_alu instid0(VALU_DEP_1)
	v_cmpx_gt_u32_e64 s7, v53
	s_cbranch_execz .LBB1049_1093
; %bb.1092:
	v_add_co_u32 v53, vcc_lo, 0x2000, v13
	v_add_co_ci_u32_e32 v54, vcc_lo, 0, v14, vcc_lo
	s_waitcnt lgkmcnt(10)
	global_store_b64 v[53:54], v[59:60], off
.LBB1049_1093:
	s_or_b32 exec_lo, exec_lo, s0
	v_or_b32_e32 v53, 0x480, v0
	s_mov_b32 s0, exec_lo
	s_delay_alu instid0(VALU_DEP_1)
	v_cmpx_gt_u32_e64 s7, v53
	s_cbranch_execz .LBB1049_1095
; %bb.1094:
	v_add_co_u32 v53, vcc_lo, 0x2000, v13
	v_add_co_ci_u32_e32 v54, vcc_lo, 0, v14, vcc_lo
	s_waitcnt lgkmcnt(9)
	global_store_b64 v[53:54], v[49:50], off offset:1024
.LBB1049_1095:
	s_or_b32 exec_lo, exec_lo, s0
	s_waitcnt lgkmcnt(9)
	v_or_b32_e32 v49, 0x500, v0
	s_mov_b32 s0, exec_lo
	s_delay_alu instid0(VALU_DEP_1)
	v_cmpx_gt_u32_e64 s7, v49
	s_cbranch_execz .LBB1049_1097
; %bb.1096:
	v_add_co_u32 v49, vcc_lo, 0x2000, v13
	v_add_co_ci_u32_e32 v50, vcc_lo, 0, v14, vcc_lo
	global_store_b64 v[49:50], v[51:52], off offset:2048
.LBB1049_1097:
	s_or_b32 exec_lo, exec_lo, s0
	v_or_b32_e32 v49, 0x580, v0
	s_mov_b32 s0, exec_lo
	s_delay_alu instid0(VALU_DEP_1)
	v_cmpx_gt_u32_e64 s7, v49
	s_cbranch_execz .LBB1049_1099
; %bb.1098:
	v_add_co_u32 v49, vcc_lo, 0x2000, v13
	v_add_co_ci_u32_e32 v50, vcc_lo, 0, v14, vcc_lo
	s_waitcnt lgkmcnt(8)
	global_store_b64 v[49:50], v[45:46], off offset:3072
.LBB1049_1099:
	s_or_b32 exec_lo, exec_lo, s0
	s_waitcnt lgkmcnt(8)
	v_or_b32_e32 v45, 0x600, v0
	s_mov_b32 s0, exec_lo
	s_delay_alu instid0(VALU_DEP_1)
	v_cmpx_gt_u32_e64 s7, v45
	s_cbranch_execz .LBB1049_1101
; %bb.1100:
	v_add_co_u32 v45, vcc_lo, 0x3000, v13
	v_add_co_ci_u32_e32 v46, vcc_lo, 0, v14, vcc_lo
	global_store_b64 v[45:46], v[47:48], off
.LBB1049_1101:
	s_or_b32 exec_lo, exec_lo, s0
	v_or_b32_e32 v45, 0x680, v0
	s_mov_b32 s0, exec_lo
	s_delay_alu instid0(VALU_DEP_1)
	v_cmpx_gt_u32_e64 s7, v45
	s_cbranch_execz .LBB1049_1103
; %bb.1102:
	v_add_co_u32 v45, vcc_lo, 0x3000, v13
	v_add_co_ci_u32_e32 v46, vcc_lo, 0, v14, vcc_lo
	s_waitcnt lgkmcnt(7)
	global_store_b64 v[45:46], v[41:42], off offset:1024
.LBB1049_1103:
	s_or_b32 exec_lo, exec_lo, s0
	s_waitcnt lgkmcnt(7)
	v_or_b32_e32 v41, 0x700, v0
	s_mov_b32 s0, exec_lo
	s_delay_alu instid0(VALU_DEP_1)
	v_cmpx_gt_u32_e64 s7, v41
	s_cbranch_execz .LBB1049_1105
; %bb.1104:
	v_add_co_u32 v41, vcc_lo, 0x3000, v13
	v_add_co_ci_u32_e32 v42, vcc_lo, 0, v14, vcc_lo
	global_store_b64 v[41:42], v[43:44], off offset:2048
.LBB1049_1105:
	s_or_b32 exec_lo, exec_lo, s0
	v_or_b32_e32 v41, 0x780, v0
	s_mov_b32 s0, exec_lo
	s_delay_alu instid0(VALU_DEP_1)
	v_cmpx_gt_u32_e64 s7, v41
	s_cbranch_execz .LBB1049_1107
; %bb.1106:
	v_add_co_u32 v41, vcc_lo, 0x3000, v13
	v_add_co_ci_u32_e32 v42, vcc_lo, 0, v14, vcc_lo
	s_waitcnt lgkmcnt(6)
	global_store_b64 v[41:42], v[37:38], off offset:3072
.LBB1049_1107:
	s_or_b32 exec_lo, exec_lo, s0
	s_waitcnt lgkmcnt(6)
	v_or_b32_e32 v37, 0x800, v0
	s_mov_b32 s0, exec_lo
	s_delay_alu instid0(VALU_DEP_1)
	v_cmpx_gt_u32_e64 s7, v37
	s_cbranch_execz .LBB1049_1109
; %bb.1108:
	v_add_co_u32 v37, vcc_lo, 0x4000, v13
	v_add_co_ci_u32_e32 v38, vcc_lo, 0, v14, vcc_lo
	global_store_b64 v[37:38], v[39:40], off
.LBB1049_1109:
	;; [unrolled: 48-line block ×4, first 2 shown]
	s_or_b32 exec_lo, exec_lo, s0
	v_or_b32_e32 v17, 0xc80, v0
	s_mov_b32 s0, exec_lo
	s_delay_alu instid0(VALU_DEP_1)
	v_cmpx_gt_u32_e64 s7, v17
	s_cbranch_execz .LBB1049_1127
; %bb.1126:
	v_add_co_u32 v17, vcc_lo, 0x6000, v13
	v_add_co_ci_u32_e32 v18, vcc_lo, 0, v14, vcc_lo
	s_waitcnt lgkmcnt(1)
	global_store_b64 v[17:18], v[9:10], off offset:1024
.LBB1049_1127:
	s_or_b32 exec_lo, exec_lo, s0
	s_waitcnt lgkmcnt(1)
	v_or_b32_e32 v9, 0xd00, v0
	s_mov_b32 s0, exec_lo
	s_delay_alu instid0(VALU_DEP_1)
	v_cmpx_gt_u32_e64 s7, v9
	s_cbranch_execz .LBB1049_1129
; %bb.1128:
	v_add_co_u32 v9, vcc_lo, 0x6000, v13
	v_add_co_ci_u32_e32 v10, vcc_lo, 0, v14, vcc_lo
	global_store_b64 v[9:10], v[11:12], off offset:2048
.LBB1049_1129:
	s_or_b32 exec_lo, exec_lo, s0
	v_or_b32_e32 v9, 0xd80, v0
	s_mov_b32 s0, exec_lo
	s_delay_alu instid0(VALU_DEP_1)
	v_cmpx_gt_u32_e64 s7, v9
	s_cbranch_execz .LBB1049_1131
; %bb.1130:
	v_add_co_u32 v9, vcc_lo, 0x6000, v13
	v_add_co_ci_u32_e32 v10, vcc_lo, 0, v14, vcc_lo
	s_waitcnt lgkmcnt(0)
	global_store_b64 v[9:10], v[3:4], off offset:3072
.LBB1049_1131:
	s_or_b32 exec_lo, exec_lo, s0
	s_waitcnt lgkmcnt(0)
	v_or_b32_e32 v3, 0xe00, v0
	s_delay_alu instid0(VALU_DEP_1)
	v_cmp_gt_u32_e64 s5, s7, v3
	s_branch .LBB1049_1134
.LBB1049_1132:
	s_mov_b32 s5, 0
                                        ; implicit-def: $vgpr5_vgpr6
                                        ; implicit-def: $vgpr13_vgpr14
	s_cbranch_execz .LBB1049_1134
; %bb.1133:
	v_mad_u32_u24 v4, 0xe8, v0, v34
	ds_store_2addr_b64 v33, v[1:2], v[139:140] offset1:1
	ds_store_2addr_b64 v33, v[137:138], v[107:108] offset0:2 offset1:3
	ds_store_2addr_b64 v33, v[135:136], v[103:104] offset0:4 offset1:5
	;; [unrolled: 1-line block ×13, first 2 shown]
	ds_store_b64 v33, v[109:110] offset:224
	s_waitcnt lgkmcnt(0)
	s_waitcnt_vscnt null, 0x0
	s_barrier
	buffer_gl0_inv
	ds_load_2addr_stride64_b64 v[0:3], v4 offset1:2
	s_mov_b32 s3, 0
	ds_load_2addr_stride64_b64 v[7:10], v4 offset0:4 offset1:6
	ds_load_2addr_stride64_b64 v[15:18], v4 offset0:8 offset1:10
	ds_load_2addr_stride64_b64 v[19:22], v4 offset0:12 offset1:14
	ds_load_2addr_stride64_b64 v[23:26], v4 offset0:16 offset1:18
	ds_load_2addr_stride64_b64 v[27:30], v4 offset0:20 offset1:22
	ds_load_2addr_stride64_b64 v[31:34], v4 offset0:24 offset1:26
	ds_load_2addr_stride64_b64 v[35:38], v4 offset0:28 offset1:30
	ds_load_2addr_stride64_b64 v[39:42], v4 offset0:32 offset1:34
	ds_load_2addr_stride64_b64 v[43:46], v4 offset0:36 offset1:38
	ds_load_2addr_stride64_b64 v[47:50], v4 offset0:40 offset1:42
	ds_load_2addr_stride64_b64 v[51:54], v4 offset0:44 offset1:46
	ds_load_2addr_stride64_b64 v[55:58], v4 offset0:48 offset1:50
	ds_load_2addr_stride64_b64 v[59:62], v4 offset0:52 offset1:54
	ds_load_b64 v[5:6], v4 offset:28672
	s_lshl_b64 s[0:1], s[2:3], 3
	s_delay_alu instid0(SALU_CYCLE_1) | instskip(SKIP_2) | instid1(VALU_DEP_1)
	s_add_u32 s0, s8, s0
	s_addc_u32 s1, s4, s1
	v_add_co_u32 v13, s2, s0, v141
	v_add_co_ci_u32_e64 v14, null, s1, 0, s2
	s_or_b32 s5, s5, exec_lo
	s_waitcnt lgkmcnt(14)
	s_clause 0x1
	global_store_b64 v141, v[0:1], s[0:1]
	global_store_b64 v141, v[2:3], s[0:1] offset:1024
	s_waitcnt lgkmcnt(13)
	s_clause 0x1
	global_store_b64 v141, v[7:8], s[0:1] offset:2048
	global_store_b64 v141, v[9:10], s[0:1] offset:3072
	v_add_co_u32 v0, vcc_lo, 0x1000, v13
	v_add_co_ci_u32_e32 v1, vcc_lo, 0, v14, vcc_lo
	v_add_co_u32 v2, vcc_lo, v13, 0x2000
	v_add_co_ci_u32_e32 v3, vcc_lo, 0, v14, vcc_lo
	;; [unrolled: 2-line block ×3, first 2 shown]
	s_waitcnt lgkmcnt(10)
	s_clause 0x4
	global_store_b64 v[2:3], v[23:24], off
	global_store_b64 v[0:1], v[17:18], off offset:1024
	global_store_b64 v[0:1], v[19:20], off offset:2048
	;; [unrolled: 1-line block ×4, first 2 shown]
	v_add_co_u32 v0, vcc_lo, 0x3000, v13
	v_add_co_ci_u32_e32 v1, vcc_lo, 0, v14, vcc_lo
	v_add_co_u32 v9, vcc_lo, v13, 0x4000
	v_add_co_ci_u32_e32 v10, vcc_lo, 0, v14, vcc_lo
	;; [unrolled: 2-line block ×3, first 2 shown]
	s_waitcnt lgkmcnt(9)
	s_clause 0x1
	global_store_b64 v[7:8], v[27:28], off offset:2048
	global_store_b64 v[7:8], v[29:30], off offset:3072
	s_waitcnt lgkmcnt(8)
	global_store_b64 v[0:1], v[33:34], off offset:1024
	s_waitcnt lgkmcnt(7)
	s_clause 0x1
	global_store_b64 v[0:1], v[35:36], off offset:2048
	global_store_b64 v[0:1], v[37:38], off offset:3072
	s_waitcnt lgkmcnt(6)
	global_store_b64 v[11:12], v[41:42], off offset:1024
	s_waitcnt lgkmcnt(5)
	s_clause 0x1
	global_store_b64 v[11:12], v[43:44], off offset:2048
	global_store_b64 v[11:12], v[45:46], off offset:3072
	v_add_co_u32 v0, vcc_lo, 0x5000, v13
	v_add_co_ci_u32_e32 v1, vcc_lo, 0, v14, vcc_lo
	v_add_co_u32 v7, vcc_lo, v13, 0x6000
	v_add_co_ci_u32_e32 v8, vcc_lo, 0, v14, vcc_lo
	;; [unrolled: 2-line block ×3, first 2 shown]
	s_clause 0x1
	global_store_b64 v[9:10], v[31:32], off offset:-4096
	global_store_b64 v[9:10], v[39:40], off
	s_waitcnt lgkmcnt(4)
	global_store_b64 v[7:8], v[47:48], off offset:-4096
	s_waitcnt lgkmcnt(2)
	s_clause 0x4
	global_store_b64 v[7:8], v[55:56], off
	global_store_b64 v[0:1], v[49:50], off offset:1024
	global_store_b64 v[0:1], v[51:52], off offset:2048
	;; [unrolled: 1-line block ×4, first 2 shown]
	s_waitcnt lgkmcnt(1)
	s_clause 0x2
	global_store_b64 v[11:12], v[59:60], off offset:2048
	global_store_b64 v[2:3], v[15:16], off offset:-4096
	global_store_b64 v[11:12], v[61:62], off offset:3072
.LBB1049_1134:
	s_delay_alu instid0(VALU_DEP_1)
	s_and_saveexec_b32 s0, s5
	s_cbranch_execnz .LBB1049_1136
; %bb.1135:
	s_nop 0
	s_sendmsg sendmsg(MSG_DEALLOC_VGPRS)
	s_endpgm
.LBB1049_1136:
	v_add_co_u32 v0, vcc_lo, 0x7000, v13
	v_add_co_ci_u32_e32 v1, vcc_lo, 0, v14, vcc_lo
	s_waitcnt lgkmcnt(0)
	global_store_b64 v[0:1], v[5:6], off
	s_nop 0
	s_sendmsg sendmsg(MSG_DEALLOC_VGPRS)
	s_endpgm
	.section	.rodata,"a",@progbits
	.p2align	6, 0x0
	.amdhsa_kernel _ZN7rocprim17ROCPRIM_400000_NS6detail17trampoline_kernelINS0_14default_configENS1_35adjacent_difference_config_selectorILb1ElEEZNS1_24adjacent_difference_implIS3_Lb1ELb0EPlS7_ZN2at6native12_GLOBAL__N_124unique_dim_cuda_templateIbEESt5tupleIJNS8_6TensorESD_SD_EERKSD_lbbbEUlllE1_EE10hipError_tPvRmT2_T3_mT4_P12ihipStream_tbEUlT_E_NS1_11comp_targetILNS1_3genE9ELNS1_11target_archE1100ELNS1_3gpuE3ELNS1_3repE0EEENS1_30default_config_static_selectorELNS0_4arch9wavefront6targetE0EEEvT1_
		.amdhsa_group_segment_fixed_size 29696
		.amdhsa_private_segment_fixed_size 0
		.amdhsa_kernarg_size 64
		.amdhsa_user_sgpr_count 15
		.amdhsa_user_sgpr_dispatch_ptr 0
		.amdhsa_user_sgpr_queue_ptr 0
		.amdhsa_user_sgpr_kernarg_segment_ptr 1
		.amdhsa_user_sgpr_dispatch_id 0
		.amdhsa_user_sgpr_private_segment_size 0
		.amdhsa_wavefront_size32 1
		.amdhsa_uses_dynamic_stack 0
		.amdhsa_enable_private_segment 0
		.amdhsa_system_sgpr_workgroup_id_x 1
		.amdhsa_system_sgpr_workgroup_id_y 0
		.amdhsa_system_sgpr_workgroup_id_z 0
		.amdhsa_system_sgpr_workgroup_info 0
		.amdhsa_system_vgpr_workitem_id 0
		.amdhsa_next_free_vgpr 142
		.amdhsa_next_free_sgpr 30
		.amdhsa_reserve_vcc 1
		.amdhsa_float_round_mode_32 0
		.amdhsa_float_round_mode_16_64 0
		.amdhsa_float_denorm_mode_32 3
		.amdhsa_float_denorm_mode_16_64 3
		.amdhsa_dx10_clamp 1
		.amdhsa_ieee_mode 1
		.amdhsa_fp16_overflow 0
		.amdhsa_workgroup_processor_mode 1
		.amdhsa_memory_ordered 1
		.amdhsa_forward_progress 0
		.amdhsa_shared_vgpr_count 0
		.amdhsa_exception_fp_ieee_invalid_op 0
		.amdhsa_exception_fp_denorm_src 0
		.amdhsa_exception_fp_ieee_div_zero 0
		.amdhsa_exception_fp_ieee_overflow 0
		.amdhsa_exception_fp_ieee_underflow 0
		.amdhsa_exception_fp_ieee_inexact 0
		.amdhsa_exception_int_div_zero 0
	.end_amdhsa_kernel
	.section	.text._ZN7rocprim17ROCPRIM_400000_NS6detail17trampoline_kernelINS0_14default_configENS1_35adjacent_difference_config_selectorILb1ElEEZNS1_24adjacent_difference_implIS3_Lb1ELb0EPlS7_ZN2at6native12_GLOBAL__N_124unique_dim_cuda_templateIbEESt5tupleIJNS8_6TensorESD_SD_EERKSD_lbbbEUlllE1_EE10hipError_tPvRmT2_T3_mT4_P12ihipStream_tbEUlT_E_NS1_11comp_targetILNS1_3genE9ELNS1_11target_archE1100ELNS1_3gpuE3ELNS1_3repE0EEENS1_30default_config_static_selectorELNS0_4arch9wavefront6targetE0EEEvT1_,"axG",@progbits,_ZN7rocprim17ROCPRIM_400000_NS6detail17trampoline_kernelINS0_14default_configENS1_35adjacent_difference_config_selectorILb1ElEEZNS1_24adjacent_difference_implIS3_Lb1ELb0EPlS7_ZN2at6native12_GLOBAL__N_124unique_dim_cuda_templateIbEESt5tupleIJNS8_6TensorESD_SD_EERKSD_lbbbEUlllE1_EE10hipError_tPvRmT2_T3_mT4_P12ihipStream_tbEUlT_E_NS1_11comp_targetILNS1_3genE9ELNS1_11target_archE1100ELNS1_3gpuE3ELNS1_3repE0EEENS1_30default_config_static_selectorELNS0_4arch9wavefront6targetE0EEEvT1_,comdat
.Lfunc_end1049:
	.size	_ZN7rocprim17ROCPRIM_400000_NS6detail17trampoline_kernelINS0_14default_configENS1_35adjacent_difference_config_selectorILb1ElEEZNS1_24adjacent_difference_implIS3_Lb1ELb0EPlS7_ZN2at6native12_GLOBAL__N_124unique_dim_cuda_templateIbEESt5tupleIJNS8_6TensorESD_SD_EERKSD_lbbbEUlllE1_EE10hipError_tPvRmT2_T3_mT4_P12ihipStream_tbEUlT_E_NS1_11comp_targetILNS1_3genE9ELNS1_11target_archE1100ELNS1_3gpuE3ELNS1_3repE0EEENS1_30default_config_static_selectorELNS0_4arch9wavefront6targetE0EEEvT1_, .Lfunc_end1049-_ZN7rocprim17ROCPRIM_400000_NS6detail17trampoline_kernelINS0_14default_configENS1_35adjacent_difference_config_selectorILb1ElEEZNS1_24adjacent_difference_implIS3_Lb1ELb0EPlS7_ZN2at6native12_GLOBAL__N_124unique_dim_cuda_templateIbEESt5tupleIJNS8_6TensorESD_SD_EERKSD_lbbbEUlllE1_EE10hipError_tPvRmT2_T3_mT4_P12ihipStream_tbEUlT_E_NS1_11comp_targetILNS1_3genE9ELNS1_11target_archE1100ELNS1_3gpuE3ELNS1_3repE0EEENS1_30default_config_static_selectorELNS0_4arch9wavefront6targetE0EEEvT1_
                                        ; -- End function
	.section	.AMDGPU.csdata,"",@progbits
; Kernel info:
; codeLenInByte = 47056
; NumSgprs: 32
; NumVgprs: 142
; ScratchSize: 0
; MemoryBound: 0
; FloatMode: 240
; IeeeMode: 1
; LDSByteSize: 29696 bytes/workgroup (compile time only)
; SGPRBlocks: 3
; VGPRBlocks: 17
; NumSGPRsForWavesPerEU: 32
; NumVGPRsForWavesPerEU: 142
; Occupancy: 4
; WaveLimiterHint : 1
; COMPUTE_PGM_RSRC2:SCRATCH_EN: 0
; COMPUTE_PGM_RSRC2:USER_SGPR: 15
; COMPUTE_PGM_RSRC2:TRAP_HANDLER: 0
; COMPUTE_PGM_RSRC2:TGID_X_EN: 1
; COMPUTE_PGM_RSRC2:TGID_Y_EN: 0
; COMPUTE_PGM_RSRC2:TGID_Z_EN: 0
; COMPUTE_PGM_RSRC2:TIDIG_COMP_CNT: 0
	.section	.text._ZN7rocprim17ROCPRIM_400000_NS6detail17trampoline_kernelINS0_14default_configENS1_35adjacent_difference_config_selectorILb1ElEEZNS1_24adjacent_difference_implIS3_Lb1ELb0EPlS7_ZN2at6native12_GLOBAL__N_124unique_dim_cuda_templateIbEESt5tupleIJNS8_6TensorESD_SD_EERKSD_lbbbEUlllE1_EE10hipError_tPvRmT2_T3_mT4_P12ihipStream_tbEUlT_E_NS1_11comp_targetILNS1_3genE8ELNS1_11target_archE1030ELNS1_3gpuE2ELNS1_3repE0EEENS1_30default_config_static_selectorELNS0_4arch9wavefront6targetE0EEEvT1_,"axG",@progbits,_ZN7rocprim17ROCPRIM_400000_NS6detail17trampoline_kernelINS0_14default_configENS1_35adjacent_difference_config_selectorILb1ElEEZNS1_24adjacent_difference_implIS3_Lb1ELb0EPlS7_ZN2at6native12_GLOBAL__N_124unique_dim_cuda_templateIbEESt5tupleIJNS8_6TensorESD_SD_EERKSD_lbbbEUlllE1_EE10hipError_tPvRmT2_T3_mT4_P12ihipStream_tbEUlT_E_NS1_11comp_targetILNS1_3genE8ELNS1_11target_archE1030ELNS1_3gpuE2ELNS1_3repE0EEENS1_30default_config_static_selectorELNS0_4arch9wavefront6targetE0EEEvT1_,comdat
	.globl	_ZN7rocprim17ROCPRIM_400000_NS6detail17trampoline_kernelINS0_14default_configENS1_35adjacent_difference_config_selectorILb1ElEEZNS1_24adjacent_difference_implIS3_Lb1ELb0EPlS7_ZN2at6native12_GLOBAL__N_124unique_dim_cuda_templateIbEESt5tupleIJNS8_6TensorESD_SD_EERKSD_lbbbEUlllE1_EE10hipError_tPvRmT2_T3_mT4_P12ihipStream_tbEUlT_E_NS1_11comp_targetILNS1_3genE8ELNS1_11target_archE1030ELNS1_3gpuE2ELNS1_3repE0EEENS1_30default_config_static_selectorELNS0_4arch9wavefront6targetE0EEEvT1_ ; -- Begin function _ZN7rocprim17ROCPRIM_400000_NS6detail17trampoline_kernelINS0_14default_configENS1_35adjacent_difference_config_selectorILb1ElEEZNS1_24adjacent_difference_implIS3_Lb1ELb0EPlS7_ZN2at6native12_GLOBAL__N_124unique_dim_cuda_templateIbEESt5tupleIJNS8_6TensorESD_SD_EERKSD_lbbbEUlllE1_EE10hipError_tPvRmT2_T3_mT4_P12ihipStream_tbEUlT_E_NS1_11comp_targetILNS1_3genE8ELNS1_11target_archE1030ELNS1_3gpuE2ELNS1_3repE0EEENS1_30default_config_static_selectorELNS0_4arch9wavefront6targetE0EEEvT1_
	.p2align	8
	.type	_ZN7rocprim17ROCPRIM_400000_NS6detail17trampoline_kernelINS0_14default_configENS1_35adjacent_difference_config_selectorILb1ElEEZNS1_24adjacent_difference_implIS3_Lb1ELb0EPlS7_ZN2at6native12_GLOBAL__N_124unique_dim_cuda_templateIbEESt5tupleIJNS8_6TensorESD_SD_EERKSD_lbbbEUlllE1_EE10hipError_tPvRmT2_T3_mT4_P12ihipStream_tbEUlT_E_NS1_11comp_targetILNS1_3genE8ELNS1_11target_archE1030ELNS1_3gpuE2ELNS1_3repE0EEENS1_30default_config_static_selectorELNS0_4arch9wavefront6targetE0EEEvT1_,@function
_ZN7rocprim17ROCPRIM_400000_NS6detail17trampoline_kernelINS0_14default_configENS1_35adjacent_difference_config_selectorILb1ElEEZNS1_24adjacent_difference_implIS3_Lb1ELb0EPlS7_ZN2at6native12_GLOBAL__N_124unique_dim_cuda_templateIbEESt5tupleIJNS8_6TensorESD_SD_EERKSD_lbbbEUlllE1_EE10hipError_tPvRmT2_T3_mT4_P12ihipStream_tbEUlT_E_NS1_11comp_targetILNS1_3genE8ELNS1_11target_archE1030ELNS1_3gpuE2ELNS1_3repE0EEENS1_30default_config_static_selectorELNS0_4arch9wavefront6targetE0EEEvT1_: ; @_ZN7rocprim17ROCPRIM_400000_NS6detail17trampoline_kernelINS0_14default_configENS1_35adjacent_difference_config_selectorILb1ElEEZNS1_24adjacent_difference_implIS3_Lb1ELb0EPlS7_ZN2at6native12_GLOBAL__N_124unique_dim_cuda_templateIbEESt5tupleIJNS8_6TensorESD_SD_EERKSD_lbbbEUlllE1_EE10hipError_tPvRmT2_T3_mT4_P12ihipStream_tbEUlT_E_NS1_11comp_targetILNS1_3genE8ELNS1_11target_archE1030ELNS1_3gpuE2ELNS1_3repE0EEENS1_30default_config_static_selectorELNS0_4arch9wavefront6targetE0EEEvT1_
; %bb.0:
	.section	.rodata,"a",@progbits
	.p2align	6, 0x0
	.amdhsa_kernel _ZN7rocprim17ROCPRIM_400000_NS6detail17trampoline_kernelINS0_14default_configENS1_35adjacent_difference_config_selectorILb1ElEEZNS1_24adjacent_difference_implIS3_Lb1ELb0EPlS7_ZN2at6native12_GLOBAL__N_124unique_dim_cuda_templateIbEESt5tupleIJNS8_6TensorESD_SD_EERKSD_lbbbEUlllE1_EE10hipError_tPvRmT2_T3_mT4_P12ihipStream_tbEUlT_E_NS1_11comp_targetILNS1_3genE8ELNS1_11target_archE1030ELNS1_3gpuE2ELNS1_3repE0EEENS1_30default_config_static_selectorELNS0_4arch9wavefront6targetE0EEEvT1_
		.amdhsa_group_segment_fixed_size 0
		.amdhsa_private_segment_fixed_size 0
		.amdhsa_kernarg_size 64
		.amdhsa_user_sgpr_count 15
		.amdhsa_user_sgpr_dispatch_ptr 0
		.amdhsa_user_sgpr_queue_ptr 0
		.amdhsa_user_sgpr_kernarg_segment_ptr 1
		.amdhsa_user_sgpr_dispatch_id 0
		.amdhsa_user_sgpr_private_segment_size 0
		.amdhsa_wavefront_size32 1
		.amdhsa_uses_dynamic_stack 0
		.amdhsa_enable_private_segment 0
		.amdhsa_system_sgpr_workgroup_id_x 1
		.amdhsa_system_sgpr_workgroup_id_y 0
		.amdhsa_system_sgpr_workgroup_id_z 0
		.amdhsa_system_sgpr_workgroup_info 0
		.amdhsa_system_vgpr_workitem_id 0
		.amdhsa_next_free_vgpr 1
		.amdhsa_next_free_sgpr 1
		.amdhsa_reserve_vcc 0
		.amdhsa_float_round_mode_32 0
		.amdhsa_float_round_mode_16_64 0
		.amdhsa_float_denorm_mode_32 3
		.amdhsa_float_denorm_mode_16_64 3
		.amdhsa_dx10_clamp 1
		.amdhsa_ieee_mode 1
		.amdhsa_fp16_overflow 0
		.amdhsa_workgroup_processor_mode 1
		.amdhsa_memory_ordered 1
		.amdhsa_forward_progress 0
		.amdhsa_shared_vgpr_count 0
		.amdhsa_exception_fp_ieee_invalid_op 0
		.amdhsa_exception_fp_denorm_src 0
		.amdhsa_exception_fp_ieee_div_zero 0
		.amdhsa_exception_fp_ieee_overflow 0
		.amdhsa_exception_fp_ieee_underflow 0
		.amdhsa_exception_fp_ieee_inexact 0
		.amdhsa_exception_int_div_zero 0
	.end_amdhsa_kernel
	.section	.text._ZN7rocprim17ROCPRIM_400000_NS6detail17trampoline_kernelINS0_14default_configENS1_35adjacent_difference_config_selectorILb1ElEEZNS1_24adjacent_difference_implIS3_Lb1ELb0EPlS7_ZN2at6native12_GLOBAL__N_124unique_dim_cuda_templateIbEESt5tupleIJNS8_6TensorESD_SD_EERKSD_lbbbEUlllE1_EE10hipError_tPvRmT2_T3_mT4_P12ihipStream_tbEUlT_E_NS1_11comp_targetILNS1_3genE8ELNS1_11target_archE1030ELNS1_3gpuE2ELNS1_3repE0EEENS1_30default_config_static_selectorELNS0_4arch9wavefront6targetE0EEEvT1_,"axG",@progbits,_ZN7rocprim17ROCPRIM_400000_NS6detail17trampoline_kernelINS0_14default_configENS1_35adjacent_difference_config_selectorILb1ElEEZNS1_24adjacent_difference_implIS3_Lb1ELb0EPlS7_ZN2at6native12_GLOBAL__N_124unique_dim_cuda_templateIbEESt5tupleIJNS8_6TensorESD_SD_EERKSD_lbbbEUlllE1_EE10hipError_tPvRmT2_T3_mT4_P12ihipStream_tbEUlT_E_NS1_11comp_targetILNS1_3genE8ELNS1_11target_archE1030ELNS1_3gpuE2ELNS1_3repE0EEENS1_30default_config_static_selectorELNS0_4arch9wavefront6targetE0EEEvT1_,comdat
.Lfunc_end1050:
	.size	_ZN7rocprim17ROCPRIM_400000_NS6detail17trampoline_kernelINS0_14default_configENS1_35adjacent_difference_config_selectorILb1ElEEZNS1_24adjacent_difference_implIS3_Lb1ELb0EPlS7_ZN2at6native12_GLOBAL__N_124unique_dim_cuda_templateIbEESt5tupleIJNS8_6TensorESD_SD_EERKSD_lbbbEUlllE1_EE10hipError_tPvRmT2_T3_mT4_P12ihipStream_tbEUlT_E_NS1_11comp_targetILNS1_3genE8ELNS1_11target_archE1030ELNS1_3gpuE2ELNS1_3repE0EEENS1_30default_config_static_selectorELNS0_4arch9wavefront6targetE0EEEvT1_, .Lfunc_end1050-_ZN7rocprim17ROCPRIM_400000_NS6detail17trampoline_kernelINS0_14default_configENS1_35adjacent_difference_config_selectorILb1ElEEZNS1_24adjacent_difference_implIS3_Lb1ELb0EPlS7_ZN2at6native12_GLOBAL__N_124unique_dim_cuda_templateIbEESt5tupleIJNS8_6TensorESD_SD_EERKSD_lbbbEUlllE1_EE10hipError_tPvRmT2_T3_mT4_P12ihipStream_tbEUlT_E_NS1_11comp_targetILNS1_3genE8ELNS1_11target_archE1030ELNS1_3gpuE2ELNS1_3repE0EEENS1_30default_config_static_selectorELNS0_4arch9wavefront6targetE0EEEvT1_
                                        ; -- End function
	.section	.AMDGPU.csdata,"",@progbits
; Kernel info:
; codeLenInByte = 0
; NumSgprs: 0
; NumVgprs: 0
; ScratchSize: 0
; MemoryBound: 0
; FloatMode: 240
; IeeeMode: 1
; LDSByteSize: 0 bytes/workgroup (compile time only)
; SGPRBlocks: 0
; VGPRBlocks: 0
; NumSGPRsForWavesPerEU: 1
; NumVGPRsForWavesPerEU: 1
; Occupancy: 16
; WaveLimiterHint : 0
; COMPUTE_PGM_RSRC2:SCRATCH_EN: 0
; COMPUTE_PGM_RSRC2:USER_SGPR: 15
; COMPUTE_PGM_RSRC2:TRAP_HANDLER: 0
; COMPUTE_PGM_RSRC2:TGID_X_EN: 1
; COMPUTE_PGM_RSRC2:TGID_Y_EN: 0
; COMPUTE_PGM_RSRC2:TGID_Z_EN: 0
; COMPUTE_PGM_RSRC2:TIDIG_COMP_CNT: 0
	.section	.text._ZN7rocprim17ROCPRIM_400000_NS6detail17trampoline_kernelINS0_14default_configENS1_25partition_config_selectorILNS1_17partition_subalgoE8ElNS0_10empty_typeEbEEZZNS1_14partition_implILS5_8ELb0ES3_jPlPS6_PKS6_NS0_5tupleIJS9_S6_EEENSD_IJSA_SA_EEENS0_18inequality_wrapperIZN2at6native12_GLOBAL__N_124unique_dim_cuda_templateIbEESt5tupleIJNSH_6TensorESM_SM_EERKSM_lbbbEUlllE0_EEPmJS6_EEE10hipError_tPvRmT3_T4_T5_T6_T7_T9_mT8_P12ihipStream_tbDpT10_ENKUlT_T0_E_clISt17integral_constantIbLb0EES1C_EEDaS17_S18_EUlS17_E_NS1_11comp_targetILNS1_3genE0ELNS1_11target_archE4294967295ELNS1_3gpuE0ELNS1_3repE0EEENS1_30default_config_static_selectorELNS0_4arch9wavefront6targetE0EEEvT1_,"axG",@progbits,_ZN7rocprim17ROCPRIM_400000_NS6detail17trampoline_kernelINS0_14default_configENS1_25partition_config_selectorILNS1_17partition_subalgoE8ElNS0_10empty_typeEbEEZZNS1_14partition_implILS5_8ELb0ES3_jPlPS6_PKS6_NS0_5tupleIJS9_S6_EEENSD_IJSA_SA_EEENS0_18inequality_wrapperIZN2at6native12_GLOBAL__N_124unique_dim_cuda_templateIbEESt5tupleIJNSH_6TensorESM_SM_EERKSM_lbbbEUlllE0_EEPmJS6_EEE10hipError_tPvRmT3_T4_T5_T6_T7_T9_mT8_P12ihipStream_tbDpT10_ENKUlT_T0_E_clISt17integral_constantIbLb0EES1C_EEDaS17_S18_EUlS17_E_NS1_11comp_targetILNS1_3genE0ELNS1_11target_archE4294967295ELNS1_3gpuE0ELNS1_3repE0EEENS1_30default_config_static_selectorELNS0_4arch9wavefront6targetE0EEEvT1_,comdat
	.globl	_ZN7rocprim17ROCPRIM_400000_NS6detail17trampoline_kernelINS0_14default_configENS1_25partition_config_selectorILNS1_17partition_subalgoE8ElNS0_10empty_typeEbEEZZNS1_14partition_implILS5_8ELb0ES3_jPlPS6_PKS6_NS0_5tupleIJS9_S6_EEENSD_IJSA_SA_EEENS0_18inequality_wrapperIZN2at6native12_GLOBAL__N_124unique_dim_cuda_templateIbEESt5tupleIJNSH_6TensorESM_SM_EERKSM_lbbbEUlllE0_EEPmJS6_EEE10hipError_tPvRmT3_T4_T5_T6_T7_T9_mT8_P12ihipStream_tbDpT10_ENKUlT_T0_E_clISt17integral_constantIbLb0EES1C_EEDaS17_S18_EUlS17_E_NS1_11comp_targetILNS1_3genE0ELNS1_11target_archE4294967295ELNS1_3gpuE0ELNS1_3repE0EEENS1_30default_config_static_selectorELNS0_4arch9wavefront6targetE0EEEvT1_ ; -- Begin function _ZN7rocprim17ROCPRIM_400000_NS6detail17trampoline_kernelINS0_14default_configENS1_25partition_config_selectorILNS1_17partition_subalgoE8ElNS0_10empty_typeEbEEZZNS1_14partition_implILS5_8ELb0ES3_jPlPS6_PKS6_NS0_5tupleIJS9_S6_EEENSD_IJSA_SA_EEENS0_18inequality_wrapperIZN2at6native12_GLOBAL__N_124unique_dim_cuda_templateIbEESt5tupleIJNSH_6TensorESM_SM_EERKSM_lbbbEUlllE0_EEPmJS6_EEE10hipError_tPvRmT3_T4_T5_T6_T7_T9_mT8_P12ihipStream_tbDpT10_ENKUlT_T0_E_clISt17integral_constantIbLb0EES1C_EEDaS17_S18_EUlS17_E_NS1_11comp_targetILNS1_3genE0ELNS1_11target_archE4294967295ELNS1_3gpuE0ELNS1_3repE0EEENS1_30default_config_static_selectorELNS0_4arch9wavefront6targetE0EEEvT1_
	.p2align	8
	.type	_ZN7rocprim17ROCPRIM_400000_NS6detail17trampoline_kernelINS0_14default_configENS1_25partition_config_selectorILNS1_17partition_subalgoE8ElNS0_10empty_typeEbEEZZNS1_14partition_implILS5_8ELb0ES3_jPlPS6_PKS6_NS0_5tupleIJS9_S6_EEENSD_IJSA_SA_EEENS0_18inequality_wrapperIZN2at6native12_GLOBAL__N_124unique_dim_cuda_templateIbEESt5tupleIJNSH_6TensorESM_SM_EERKSM_lbbbEUlllE0_EEPmJS6_EEE10hipError_tPvRmT3_T4_T5_T6_T7_T9_mT8_P12ihipStream_tbDpT10_ENKUlT_T0_E_clISt17integral_constantIbLb0EES1C_EEDaS17_S18_EUlS17_E_NS1_11comp_targetILNS1_3genE0ELNS1_11target_archE4294967295ELNS1_3gpuE0ELNS1_3repE0EEENS1_30default_config_static_selectorELNS0_4arch9wavefront6targetE0EEEvT1_,@function
_ZN7rocprim17ROCPRIM_400000_NS6detail17trampoline_kernelINS0_14default_configENS1_25partition_config_selectorILNS1_17partition_subalgoE8ElNS0_10empty_typeEbEEZZNS1_14partition_implILS5_8ELb0ES3_jPlPS6_PKS6_NS0_5tupleIJS9_S6_EEENSD_IJSA_SA_EEENS0_18inequality_wrapperIZN2at6native12_GLOBAL__N_124unique_dim_cuda_templateIbEESt5tupleIJNSH_6TensorESM_SM_EERKSM_lbbbEUlllE0_EEPmJS6_EEE10hipError_tPvRmT3_T4_T5_T6_T7_T9_mT8_P12ihipStream_tbDpT10_ENKUlT_T0_E_clISt17integral_constantIbLb0EES1C_EEDaS17_S18_EUlS17_E_NS1_11comp_targetILNS1_3genE0ELNS1_11target_archE4294967295ELNS1_3gpuE0ELNS1_3repE0EEENS1_30default_config_static_selectorELNS0_4arch9wavefront6targetE0EEEvT1_: ; @_ZN7rocprim17ROCPRIM_400000_NS6detail17trampoline_kernelINS0_14default_configENS1_25partition_config_selectorILNS1_17partition_subalgoE8ElNS0_10empty_typeEbEEZZNS1_14partition_implILS5_8ELb0ES3_jPlPS6_PKS6_NS0_5tupleIJS9_S6_EEENSD_IJSA_SA_EEENS0_18inequality_wrapperIZN2at6native12_GLOBAL__N_124unique_dim_cuda_templateIbEESt5tupleIJNSH_6TensorESM_SM_EERKSM_lbbbEUlllE0_EEPmJS6_EEE10hipError_tPvRmT3_T4_T5_T6_T7_T9_mT8_P12ihipStream_tbDpT10_ENKUlT_T0_E_clISt17integral_constantIbLb0EES1C_EEDaS17_S18_EUlS17_E_NS1_11comp_targetILNS1_3genE0ELNS1_11target_archE4294967295ELNS1_3gpuE0ELNS1_3repE0EEENS1_30default_config_static_selectorELNS0_4arch9wavefront6targetE0EEEvT1_
; %bb.0:
	.section	.rodata,"a",@progbits
	.p2align	6, 0x0
	.amdhsa_kernel _ZN7rocprim17ROCPRIM_400000_NS6detail17trampoline_kernelINS0_14default_configENS1_25partition_config_selectorILNS1_17partition_subalgoE8ElNS0_10empty_typeEbEEZZNS1_14partition_implILS5_8ELb0ES3_jPlPS6_PKS6_NS0_5tupleIJS9_S6_EEENSD_IJSA_SA_EEENS0_18inequality_wrapperIZN2at6native12_GLOBAL__N_124unique_dim_cuda_templateIbEESt5tupleIJNSH_6TensorESM_SM_EERKSM_lbbbEUlllE0_EEPmJS6_EEE10hipError_tPvRmT3_T4_T5_T6_T7_T9_mT8_P12ihipStream_tbDpT10_ENKUlT_T0_E_clISt17integral_constantIbLb0EES1C_EEDaS17_S18_EUlS17_E_NS1_11comp_targetILNS1_3genE0ELNS1_11target_archE4294967295ELNS1_3gpuE0ELNS1_3repE0EEENS1_30default_config_static_selectorELNS0_4arch9wavefront6targetE0EEEvT1_
		.amdhsa_group_segment_fixed_size 0
		.amdhsa_private_segment_fixed_size 0
		.amdhsa_kernarg_size 120
		.amdhsa_user_sgpr_count 15
		.amdhsa_user_sgpr_dispatch_ptr 0
		.amdhsa_user_sgpr_queue_ptr 0
		.amdhsa_user_sgpr_kernarg_segment_ptr 1
		.amdhsa_user_sgpr_dispatch_id 0
		.amdhsa_user_sgpr_private_segment_size 0
		.amdhsa_wavefront_size32 1
		.amdhsa_uses_dynamic_stack 0
		.amdhsa_enable_private_segment 0
		.amdhsa_system_sgpr_workgroup_id_x 1
		.amdhsa_system_sgpr_workgroup_id_y 0
		.amdhsa_system_sgpr_workgroup_id_z 0
		.amdhsa_system_sgpr_workgroup_info 0
		.amdhsa_system_vgpr_workitem_id 0
		.amdhsa_next_free_vgpr 1
		.amdhsa_next_free_sgpr 1
		.amdhsa_reserve_vcc 0
		.amdhsa_float_round_mode_32 0
		.amdhsa_float_round_mode_16_64 0
		.amdhsa_float_denorm_mode_32 3
		.amdhsa_float_denorm_mode_16_64 3
		.amdhsa_dx10_clamp 1
		.amdhsa_ieee_mode 1
		.amdhsa_fp16_overflow 0
		.amdhsa_workgroup_processor_mode 1
		.amdhsa_memory_ordered 1
		.amdhsa_forward_progress 0
		.amdhsa_shared_vgpr_count 0
		.amdhsa_exception_fp_ieee_invalid_op 0
		.amdhsa_exception_fp_denorm_src 0
		.amdhsa_exception_fp_ieee_div_zero 0
		.amdhsa_exception_fp_ieee_overflow 0
		.amdhsa_exception_fp_ieee_underflow 0
		.amdhsa_exception_fp_ieee_inexact 0
		.amdhsa_exception_int_div_zero 0
	.end_amdhsa_kernel
	.section	.text._ZN7rocprim17ROCPRIM_400000_NS6detail17trampoline_kernelINS0_14default_configENS1_25partition_config_selectorILNS1_17partition_subalgoE8ElNS0_10empty_typeEbEEZZNS1_14partition_implILS5_8ELb0ES3_jPlPS6_PKS6_NS0_5tupleIJS9_S6_EEENSD_IJSA_SA_EEENS0_18inequality_wrapperIZN2at6native12_GLOBAL__N_124unique_dim_cuda_templateIbEESt5tupleIJNSH_6TensorESM_SM_EERKSM_lbbbEUlllE0_EEPmJS6_EEE10hipError_tPvRmT3_T4_T5_T6_T7_T9_mT8_P12ihipStream_tbDpT10_ENKUlT_T0_E_clISt17integral_constantIbLb0EES1C_EEDaS17_S18_EUlS17_E_NS1_11comp_targetILNS1_3genE0ELNS1_11target_archE4294967295ELNS1_3gpuE0ELNS1_3repE0EEENS1_30default_config_static_selectorELNS0_4arch9wavefront6targetE0EEEvT1_,"axG",@progbits,_ZN7rocprim17ROCPRIM_400000_NS6detail17trampoline_kernelINS0_14default_configENS1_25partition_config_selectorILNS1_17partition_subalgoE8ElNS0_10empty_typeEbEEZZNS1_14partition_implILS5_8ELb0ES3_jPlPS6_PKS6_NS0_5tupleIJS9_S6_EEENSD_IJSA_SA_EEENS0_18inequality_wrapperIZN2at6native12_GLOBAL__N_124unique_dim_cuda_templateIbEESt5tupleIJNSH_6TensorESM_SM_EERKSM_lbbbEUlllE0_EEPmJS6_EEE10hipError_tPvRmT3_T4_T5_T6_T7_T9_mT8_P12ihipStream_tbDpT10_ENKUlT_T0_E_clISt17integral_constantIbLb0EES1C_EEDaS17_S18_EUlS17_E_NS1_11comp_targetILNS1_3genE0ELNS1_11target_archE4294967295ELNS1_3gpuE0ELNS1_3repE0EEENS1_30default_config_static_selectorELNS0_4arch9wavefront6targetE0EEEvT1_,comdat
.Lfunc_end1051:
	.size	_ZN7rocprim17ROCPRIM_400000_NS6detail17trampoline_kernelINS0_14default_configENS1_25partition_config_selectorILNS1_17partition_subalgoE8ElNS0_10empty_typeEbEEZZNS1_14partition_implILS5_8ELb0ES3_jPlPS6_PKS6_NS0_5tupleIJS9_S6_EEENSD_IJSA_SA_EEENS0_18inequality_wrapperIZN2at6native12_GLOBAL__N_124unique_dim_cuda_templateIbEESt5tupleIJNSH_6TensorESM_SM_EERKSM_lbbbEUlllE0_EEPmJS6_EEE10hipError_tPvRmT3_T4_T5_T6_T7_T9_mT8_P12ihipStream_tbDpT10_ENKUlT_T0_E_clISt17integral_constantIbLb0EES1C_EEDaS17_S18_EUlS17_E_NS1_11comp_targetILNS1_3genE0ELNS1_11target_archE4294967295ELNS1_3gpuE0ELNS1_3repE0EEENS1_30default_config_static_selectorELNS0_4arch9wavefront6targetE0EEEvT1_, .Lfunc_end1051-_ZN7rocprim17ROCPRIM_400000_NS6detail17trampoline_kernelINS0_14default_configENS1_25partition_config_selectorILNS1_17partition_subalgoE8ElNS0_10empty_typeEbEEZZNS1_14partition_implILS5_8ELb0ES3_jPlPS6_PKS6_NS0_5tupleIJS9_S6_EEENSD_IJSA_SA_EEENS0_18inequality_wrapperIZN2at6native12_GLOBAL__N_124unique_dim_cuda_templateIbEESt5tupleIJNSH_6TensorESM_SM_EERKSM_lbbbEUlllE0_EEPmJS6_EEE10hipError_tPvRmT3_T4_T5_T6_T7_T9_mT8_P12ihipStream_tbDpT10_ENKUlT_T0_E_clISt17integral_constantIbLb0EES1C_EEDaS17_S18_EUlS17_E_NS1_11comp_targetILNS1_3genE0ELNS1_11target_archE4294967295ELNS1_3gpuE0ELNS1_3repE0EEENS1_30default_config_static_selectorELNS0_4arch9wavefront6targetE0EEEvT1_
                                        ; -- End function
	.section	.AMDGPU.csdata,"",@progbits
; Kernel info:
; codeLenInByte = 0
; NumSgprs: 0
; NumVgprs: 0
; ScratchSize: 0
; MemoryBound: 0
; FloatMode: 240
; IeeeMode: 1
; LDSByteSize: 0 bytes/workgroup (compile time only)
; SGPRBlocks: 0
; VGPRBlocks: 0
; NumSGPRsForWavesPerEU: 1
; NumVGPRsForWavesPerEU: 1
; Occupancy: 16
; WaveLimiterHint : 0
; COMPUTE_PGM_RSRC2:SCRATCH_EN: 0
; COMPUTE_PGM_RSRC2:USER_SGPR: 15
; COMPUTE_PGM_RSRC2:TRAP_HANDLER: 0
; COMPUTE_PGM_RSRC2:TGID_X_EN: 1
; COMPUTE_PGM_RSRC2:TGID_Y_EN: 0
; COMPUTE_PGM_RSRC2:TGID_Z_EN: 0
; COMPUTE_PGM_RSRC2:TIDIG_COMP_CNT: 0
	.section	.text._ZN7rocprim17ROCPRIM_400000_NS6detail17trampoline_kernelINS0_14default_configENS1_25partition_config_selectorILNS1_17partition_subalgoE8ElNS0_10empty_typeEbEEZZNS1_14partition_implILS5_8ELb0ES3_jPlPS6_PKS6_NS0_5tupleIJS9_S6_EEENSD_IJSA_SA_EEENS0_18inequality_wrapperIZN2at6native12_GLOBAL__N_124unique_dim_cuda_templateIbEESt5tupleIJNSH_6TensorESM_SM_EERKSM_lbbbEUlllE0_EEPmJS6_EEE10hipError_tPvRmT3_T4_T5_T6_T7_T9_mT8_P12ihipStream_tbDpT10_ENKUlT_T0_E_clISt17integral_constantIbLb0EES1C_EEDaS17_S18_EUlS17_E_NS1_11comp_targetILNS1_3genE5ELNS1_11target_archE942ELNS1_3gpuE9ELNS1_3repE0EEENS1_30default_config_static_selectorELNS0_4arch9wavefront6targetE0EEEvT1_,"axG",@progbits,_ZN7rocprim17ROCPRIM_400000_NS6detail17trampoline_kernelINS0_14default_configENS1_25partition_config_selectorILNS1_17partition_subalgoE8ElNS0_10empty_typeEbEEZZNS1_14partition_implILS5_8ELb0ES3_jPlPS6_PKS6_NS0_5tupleIJS9_S6_EEENSD_IJSA_SA_EEENS0_18inequality_wrapperIZN2at6native12_GLOBAL__N_124unique_dim_cuda_templateIbEESt5tupleIJNSH_6TensorESM_SM_EERKSM_lbbbEUlllE0_EEPmJS6_EEE10hipError_tPvRmT3_T4_T5_T6_T7_T9_mT8_P12ihipStream_tbDpT10_ENKUlT_T0_E_clISt17integral_constantIbLb0EES1C_EEDaS17_S18_EUlS17_E_NS1_11comp_targetILNS1_3genE5ELNS1_11target_archE942ELNS1_3gpuE9ELNS1_3repE0EEENS1_30default_config_static_selectorELNS0_4arch9wavefront6targetE0EEEvT1_,comdat
	.globl	_ZN7rocprim17ROCPRIM_400000_NS6detail17trampoline_kernelINS0_14default_configENS1_25partition_config_selectorILNS1_17partition_subalgoE8ElNS0_10empty_typeEbEEZZNS1_14partition_implILS5_8ELb0ES3_jPlPS6_PKS6_NS0_5tupleIJS9_S6_EEENSD_IJSA_SA_EEENS0_18inequality_wrapperIZN2at6native12_GLOBAL__N_124unique_dim_cuda_templateIbEESt5tupleIJNSH_6TensorESM_SM_EERKSM_lbbbEUlllE0_EEPmJS6_EEE10hipError_tPvRmT3_T4_T5_T6_T7_T9_mT8_P12ihipStream_tbDpT10_ENKUlT_T0_E_clISt17integral_constantIbLb0EES1C_EEDaS17_S18_EUlS17_E_NS1_11comp_targetILNS1_3genE5ELNS1_11target_archE942ELNS1_3gpuE9ELNS1_3repE0EEENS1_30default_config_static_selectorELNS0_4arch9wavefront6targetE0EEEvT1_ ; -- Begin function _ZN7rocprim17ROCPRIM_400000_NS6detail17trampoline_kernelINS0_14default_configENS1_25partition_config_selectorILNS1_17partition_subalgoE8ElNS0_10empty_typeEbEEZZNS1_14partition_implILS5_8ELb0ES3_jPlPS6_PKS6_NS0_5tupleIJS9_S6_EEENSD_IJSA_SA_EEENS0_18inequality_wrapperIZN2at6native12_GLOBAL__N_124unique_dim_cuda_templateIbEESt5tupleIJNSH_6TensorESM_SM_EERKSM_lbbbEUlllE0_EEPmJS6_EEE10hipError_tPvRmT3_T4_T5_T6_T7_T9_mT8_P12ihipStream_tbDpT10_ENKUlT_T0_E_clISt17integral_constantIbLb0EES1C_EEDaS17_S18_EUlS17_E_NS1_11comp_targetILNS1_3genE5ELNS1_11target_archE942ELNS1_3gpuE9ELNS1_3repE0EEENS1_30default_config_static_selectorELNS0_4arch9wavefront6targetE0EEEvT1_
	.p2align	8
	.type	_ZN7rocprim17ROCPRIM_400000_NS6detail17trampoline_kernelINS0_14default_configENS1_25partition_config_selectorILNS1_17partition_subalgoE8ElNS0_10empty_typeEbEEZZNS1_14partition_implILS5_8ELb0ES3_jPlPS6_PKS6_NS0_5tupleIJS9_S6_EEENSD_IJSA_SA_EEENS0_18inequality_wrapperIZN2at6native12_GLOBAL__N_124unique_dim_cuda_templateIbEESt5tupleIJNSH_6TensorESM_SM_EERKSM_lbbbEUlllE0_EEPmJS6_EEE10hipError_tPvRmT3_T4_T5_T6_T7_T9_mT8_P12ihipStream_tbDpT10_ENKUlT_T0_E_clISt17integral_constantIbLb0EES1C_EEDaS17_S18_EUlS17_E_NS1_11comp_targetILNS1_3genE5ELNS1_11target_archE942ELNS1_3gpuE9ELNS1_3repE0EEENS1_30default_config_static_selectorELNS0_4arch9wavefront6targetE0EEEvT1_,@function
_ZN7rocprim17ROCPRIM_400000_NS6detail17trampoline_kernelINS0_14default_configENS1_25partition_config_selectorILNS1_17partition_subalgoE8ElNS0_10empty_typeEbEEZZNS1_14partition_implILS5_8ELb0ES3_jPlPS6_PKS6_NS0_5tupleIJS9_S6_EEENSD_IJSA_SA_EEENS0_18inequality_wrapperIZN2at6native12_GLOBAL__N_124unique_dim_cuda_templateIbEESt5tupleIJNSH_6TensorESM_SM_EERKSM_lbbbEUlllE0_EEPmJS6_EEE10hipError_tPvRmT3_T4_T5_T6_T7_T9_mT8_P12ihipStream_tbDpT10_ENKUlT_T0_E_clISt17integral_constantIbLb0EES1C_EEDaS17_S18_EUlS17_E_NS1_11comp_targetILNS1_3genE5ELNS1_11target_archE942ELNS1_3gpuE9ELNS1_3repE0EEENS1_30default_config_static_selectorELNS0_4arch9wavefront6targetE0EEEvT1_: ; @_ZN7rocprim17ROCPRIM_400000_NS6detail17trampoline_kernelINS0_14default_configENS1_25partition_config_selectorILNS1_17partition_subalgoE8ElNS0_10empty_typeEbEEZZNS1_14partition_implILS5_8ELb0ES3_jPlPS6_PKS6_NS0_5tupleIJS9_S6_EEENSD_IJSA_SA_EEENS0_18inequality_wrapperIZN2at6native12_GLOBAL__N_124unique_dim_cuda_templateIbEESt5tupleIJNSH_6TensorESM_SM_EERKSM_lbbbEUlllE0_EEPmJS6_EEE10hipError_tPvRmT3_T4_T5_T6_T7_T9_mT8_P12ihipStream_tbDpT10_ENKUlT_T0_E_clISt17integral_constantIbLb0EES1C_EEDaS17_S18_EUlS17_E_NS1_11comp_targetILNS1_3genE5ELNS1_11target_archE942ELNS1_3gpuE9ELNS1_3repE0EEENS1_30default_config_static_selectorELNS0_4arch9wavefront6targetE0EEEvT1_
; %bb.0:
	.section	.rodata,"a",@progbits
	.p2align	6, 0x0
	.amdhsa_kernel _ZN7rocprim17ROCPRIM_400000_NS6detail17trampoline_kernelINS0_14default_configENS1_25partition_config_selectorILNS1_17partition_subalgoE8ElNS0_10empty_typeEbEEZZNS1_14partition_implILS5_8ELb0ES3_jPlPS6_PKS6_NS0_5tupleIJS9_S6_EEENSD_IJSA_SA_EEENS0_18inequality_wrapperIZN2at6native12_GLOBAL__N_124unique_dim_cuda_templateIbEESt5tupleIJNSH_6TensorESM_SM_EERKSM_lbbbEUlllE0_EEPmJS6_EEE10hipError_tPvRmT3_T4_T5_T6_T7_T9_mT8_P12ihipStream_tbDpT10_ENKUlT_T0_E_clISt17integral_constantIbLb0EES1C_EEDaS17_S18_EUlS17_E_NS1_11comp_targetILNS1_3genE5ELNS1_11target_archE942ELNS1_3gpuE9ELNS1_3repE0EEENS1_30default_config_static_selectorELNS0_4arch9wavefront6targetE0EEEvT1_
		.amdhsa_group_segment_fixed_size 0
		.amdhsa_private_segment_fixed_size 0
		.amdhsa_kernarg_size 120
		.amdhsa_user_sgpr_count 15
		.amdhsa_user_sgpr_dispatch_ptr 0
		.amdhsa_user_sgpr_queue_ptr 0
		.amdhsa_user_sgpr_kernarg_segment_ptr 1
		.amdhsa_user_sgpr_dispatch_id 0
		.amdhsa_user_sgpr_private_segment_size 0
		.amdhsa_wavefront_size32 1
		.amdhsa_uses_dynamic_stack 0
		.amdhsa_enable_private_segment 0
		.amdhsa_system_sgpr_workgroup_id_x 1
		.amdhsa_system_sgpr_workgroup_id_y 0
		.amdhsa_system_sgpr_workgroup_id_z 0
		.amdhsa_system_sgpr_workgroup_info 0
		.amdhsa_system_vgpr_workitem_id 0
		.amdhsa_next_free_vgpr 1
		.amdhsa_next_free_sgpr 1
		.amdhsa_reserve_vcc 0
		.amdhsa_float_round_mode_32 0
		.amdhsa_float_round_mode_16_64 0
		.amdhsa_float_denorm_mode_32 3
		.amdhsa_float_denorm_mode_16_64 3
		.amdhsa_dx10_clamp 1
		.amdhsa_ieee_mode 1
		.amdhsa_fp16_overflow 0
		.amdhsa_workgroup_processor_mode 1
		.amdhsa_memory_ordered 1
		.amdhsa_forward_progress 0
		.amdhsa_shared_vgpr_count 0
		.amdhsa_exception_fp_ieee_invalid_op 0
		.amdhsa_exception_fp_denorm_src 0
		.amdhsa_exception_fp_ieee_div_zero 0
		.amdhsa_exception_fp_ieee_overflow 0
		.amdhsa_exception_fp_ieee_underflow 0
		.amdhsa_exception_fp_ieee_inexact 0
		.amdhsa_exception_int_div_zero 0
	.end_amdhsa_kernel
	.section	.text._ZN7rocprim17ROCPRIM_400000_NS6detail17trampoline_kernelINS0_14default_configENS1_25partition_config_selectorILNS1_17partition_subalgoE8ElNS0_10empty_typeEbEEZZNS1_14partition_implILS5_8ELb0ES3_jPlPS6_PKS6_NS0_5tupleIJS9_S6_EEENSD_IJSA_SA_EEENS0_18inequality_wrapperIZN2at6native12_GLOBAL__N_124unique_dim_cuda_templateIbEESt5tupleIJNSH_6TensorESM_SM_EERKSM_lbbbEUlllE0_EEPmJS6_EEE10hipError_tPvRmT3_T4_T5_T6_T7_T9_mT8_P12ihipStream_tbDpT10_ENKUlT_T0_E_clISt17integral_constantIbLb0EES1C_EEDaS17_S18_EUlS17_E_NS1_11comp_targetILNS1_3genE5ELNS1_11target_archE942ELNS1_3gpuE9ELNS1_3repE0EEENS1_30default_config_static_selectorELNS0_4arch9wavefront6targetE0EEEvT1_,"axG",@progbits,_ZN7rocprim17ROCPRIM_400000_NS6detail17trampoline_kernelINS0_14default_configENS1_25partition_config_selectorILNS1_17partition_subalgoE8ElNS0_10empty_typeEbEEZZNS1_14partition_implILS5_8ELb0ES3_jPlPS6_PKS6_NS0_5tupleIJS9_S6_EEENSD_IJSA_SA_EEENS0_18inequality_wrapperIZN2at6native12_GLOBAL__N_124unique_dim_cuda_templateIbEESt5tupleIJNSH_6TensorESM_SM_EERKSM_lbbbEUlllE0_EEPmJS6_EEE10hipError_tPvRmT3_T4_T5_T6_T7_T9_mT8_P12ihipStream_tbDpT10_ENKUlT_T0_E_clISt17integral_constantIbLb0EES1C_EEDaS17_S18_EUlS17_E_NS1_11comp_targetILNS1_3genE5ELNS1_11target_archE942ELNS1_3gpuE9ELNS1_3repE0EEENS1_30default_config_static_selectorELNS0_4arch9wavefront6targetE0EEEvT1_,comdat
.Lfunc_end1052:
	.size	_ZN7rocprim17ROCPRIM_400000_NS6detail17trampoline_kernelINS0_14default_configENS1_25partition_config_selectorILNS1_17partition_subalgoE8ElNS0_10empty_typeEbEEZZNS1_14partition_implILS5_8ELb0ES3_jPlPS6_PKS6_NS0_5tupleIJS9_S6_EEENSD_IJSA_SA_EEENS0_18inequality_wrapperIZN2at6native12_GLOBAL__N_124unique_dim_cuda_templateIbEESt5tupleIJNSH_6TensorESM_SM_EERKSM_lbbbEUlllE0_EEPmJS6_EEE10hipError_tPvRmT3_T4_T5_T6_T7_T9_mT8_P12ihipStream_tbDpT10_ENKUlT_T0_E_clISt17integral_constantIbLb0EES1C_EEDaS17_S18_EUlS17_E_NS1_11comp_targetILNS1_3genE5ELNS1_11target_archE942ELNS1_3gpuE9ELNS1_3repE0EEENS1_30default_config_static_selectorELNS0_4arch9wavefront6targetE0EEEvT1_, .Lfunc_end1052-_ZN7rocprim17ROCPRIM_400000_NS6detail17trampoline_kernelINS0_14default_configENS1_25partition_config_selectorILNS1_17partition_subalgoE8ElNS0_10empty_typeEbEEZZNS1_14partition_implILS5_8ELb0ES3_jPlPS6_PKS6_NS0_5tupleIJS9_S6_EEENSD_IJSA_SA_EEENS0_18inequality_wrapperIZN2at6native12_GLOBAL__N_124unique_dim_cuda_templateIbEESt5tupleIJNSH_6TensorESM_SM_EERKSM_lbbbEUlllE0_EEPmJS6_EEE10hipError_tPvRmT3_T4_T5_T6_T7_T9_mT8_P12ihipStream_tbDpT10_ENKUlT_T0_E_clISt17integral_constantIbLb0EES1C_EEDaS17_S18_EUlS17_E_NS1_11comp_targetILNS1_3genE5ELNS1_11target_archE942ELNS1_3gpuE9ELNS1_3repE0EEENS1_30default_config_static_selectorELNS0_4arch9wavefront6targetE0EEEvT1_
                                        ; -- End function
	.section	.AMDGPU.csdata,"",@progbits
; Kernel info:
; codeLenInByte = 0
; NumSgprs: 0
; NumVgprs: 0
; ScratchSize: 0
; MemoryBound: 0
; FloatMode: 240
; IeeeMode: 1
; LDSByteSize: 0 bytes/workgroup (compile time only)
; SGPRBlocks: 0
; VGPRBlocks: 0
; NumSGPRsForWavesPerEU: 1
; NumVGPRsForWavesPerEU: 1
; Occupancy: 16
; WaveLimiterHint : 0
; COMPUTE_PGM_RSRC2:SCRATCH_EN: 0
; COMPUTE_PGM_RSRC2:USER_SGPR: 15
; COMPUTE_PGM_RSRC2:TRAP_HANDLER: 0
; COMPUTE_PGM_RSRC2:TGID_X_EN: 1
; COMPUTE_PGM_RSRC2:TGID_Y_EN: 0
; COMPUTE_PGM_RSRC2:TGID_Z_EN: 0
; COMPUTE_PGM_RSRC2:TIDIG_COMP_CNT: 0
	.section	.text._ZN7rocprim17ROCPRIM_400000_NS6detail17trampoline_kernelINS0_14default_configENS1_25partition_config_selectorILNS1_17partition_subalgoE8ElNS0_10empty_typeEbEEZZNS1_14partition_implILS5_8ELb0ES3_jPlPS6_PKS6_NS0_5tupleIJS9_S6_EEENSD_IJSA_SA_EEENS0_18inequality_wrapperIZN2at6native12_GLOBAL__N_124unique_dim_cuda_templateIbEESt5tupleIJNSH_6TensorESM_SM_EERKSM_lbbbEUlllE0_EEPmJS6_EEE10hipError_tPvRmT3_T4_T5_T6_T7_T9_mT8_P12ihipStream_tbDpT10_ENKUlT_T0_E_clISt17integral_constantIbLb0EES1C_EEDaS17_S18_EUlS17_E_NS1_11comp_targetILNS1_3genE4ELNS1_11target_archE910ELNS1_3gpuE8ELNS1_3repE0EEENS1_30default_config_static_selectorELNS0_4arch9wavefront6targetE0EEEvT1_,"axG",@progbits,_ZN7rocprim17ROCPRIM_400000_NS6detail17trampoline_kernelINS0_14default_configENS1_25partition_config_selectorILNS1_17partition_subalgoE8ElNS0_10empty_typeEbEEZZNS1_14partition_implILS5_8ELb0ES3_jPlPS6_PKS6_NS0_5tupleIJS9_S6_EEENSD_IJSA_SA_EEENS0_18inequality_wrapperIZN2at6native12_GLOBAL__N_124unique_dim_cuda_templateIbEESt5tupleIJNSH_6TensorESM_SM_EERKSM_lbbbEUlllE0_EEPmJS6_EEE10hipError_tPvRmT3_T4_T5_T6_T7_T9_mT8_P12ihipStream_tbDpT10_ENKUlT_T0_E_clISt17integral_constantIbLb0EES1C_EEDaS17_S18_EUlS17_E_NS1_11comp_targetILNS1_3genE4ELNS1_11target_archE910ELNS1_3gpuE8ELNS1_3repE0EEENS1_30default_config_static_selectorELNS0_4arch9wavefront6targetE0EEEvT1_,comdat
	.globl	_ZN7rocprim17ROCPRIM_400000_NS6detail17trampoline_kernelINS0_14default_configENS1_25partition_config_selectorILNS1_17partition_subalgoE8ElNS0_10empty_typeEbEEZZNS1_14partition_implILS5_8ELb0ES3_jPlPS6_PKS6_NS0_5tupleIJS9_S6_EEENSD_IJSA_SA_EEENS0_18inequality_wrapperIZN2at6native12_GLOBAL__N_124unique_dim_cuda_templateIbEESt5tupleIJNSH_6TensorESM_SM_EERKSM_lbbbEUlllE0_EEPmJS6_EEE10hipError_tPvRmT3_T4_T5_T6_T7_T9_mT8_P12ihipStream_tbDpT10_ENKUlT_T0_E_clISt17integral_constantIbLb0EES1C_EEDaS17_S18_EUlS17_E_NS1_11comp_targetILNS1_3genE4ELNS1_11target_archE910ELNS1_3gpuE8ELNS1_3repE0EEENS1_30default_config_static_selectorELNS0_4arch9wavefront6targetE0EEEvT1_ ; -- Begin function _ZN7rocprim17ROCPRIM_400000_NS6detail17trampoline_kernelINS0_14default_configENS1_25partition_config_selectorILNS1_17partition_subalgoE8ElNS0_10empty_typeEbEEZZNS1_14partition_implILS5_8ELb0ES3_jPlPS6_PKS6_NS0_5tupleIJS9_S6_EEENSD_IJSA_SA_EEENS0_18inequality_wrapperIZN2at6native12_GLOBAL__N_124unique_dim_cuda_templateIbEESt5tupleIJNSH_6TensorESM_SM_EERKSM_lbbbEUlllE0_EEPmJS6_EEE10hipError_tPvRmT3_T4_T5_T6_T7_T9_mT8_P12ihipStream_tbDpT10_ENKUlT_T0_E_clISt17integral_constantIbLb0EES1C_EEDaS17_S18_EUlS17_E_NS1_11comp_targetILNS1_3genE4ELNS1_11target_archE910ELNS1_3gpuE8ELNS1_3repE0EEENS1_30default_config_static_selectorELNS0_4arch9wavefront6targetE0EEEvT1_
	.p2align	8
	.type	_ZN7rocprim17ROCPRIM_400000_NS6detail17trampoline_kernelINS0_14default_configENS1_25partition_config_selectorILNS1_17partition_subalgoE8ElNS0_10empty_typeEbEEZZNS1_14partition_implILS5_8ELb0ES3_jPlPS6_PKS6_NS0_5tupleIJS9_S6_EEENSD_IJSA_SA_EEENS0_18inequality_wrapperIZN2at6native12_GLOBAL__N_124unique_dim_cuda_templateIbEESt5tupleIJNSH_6TensorESM_SM_EERKSM_lbbbEUlllE0_EEPmJS6_EEE10hipError_tPvRmT3_T4_T5_T6_T7_T9_mT8_P12ihipStream_tbDpT10_ENKUlT_T0_E_clISt17integral_constantIbLb0EES1C_EEDaS17_S18_EUlS17_E_NS1_11comp_targetILNS1_3genE4ELNS1_11target_archE910ELNS1_3gpuE8ELNS1_3repE0EEENS1_30default_config_static_selectorELNS0_4arch9wavefront6targetE0EEEvT1_,@function
_ZN7rocprim17ROCPRIM_400000_NS6detail17trampoline_kernelINS0_14default_configENS1_25partition_config_selectorILNS1_17partition_subalgoE8ElNS0_10empty_typeEbEEZZNS1_14partition_implILS5_8ELb0ES3_jPlPS6_PKS6_NS0_5tupleIJS9_S6_EEENSD_IJSA_SA_EEENS0_18inequality_wrapperIZN2at6native12_GLOBAL__N_124unique_dim_cuda_templateIbEESt5tupleIJNSH_6TensorESM_SM_EERKSM_lbbbEUlllE0_EEPmJS6_EEE10hipError_tPvRmT3_T4_T5_T6_T7_T9_mT8_P12ihipStream_tbDpT10_ENKUlT_T0_E_clISt17integral_constantIbLb0EES1C_EEDaS17_S18_EUlS17_E_NS1_11comp_targetILNS1_3genE4ELNS1_11target_archE910ELNS1_3gpuE8ELNS1_3repE0EEENS1_30default_config_static_selectorELNS0_4arch9wavefront6targetE0EEEvT1_: ; @_ZN7rocprim17ROCPRIM_400000_NS6detail17trampoline_kernelINS0_14default_configENS1_25partition_config_selectorILNS1_17partition_subalgoE8ElNS0_10empty_typeEbEEZZNS1_14partition_implILS5_8ELb0ES3_jPlPS6_PKS6_NS0_5tupleIJS9_S6_EEENSD_IJSA_SA_EEENS0_18inequality_wrapperIZN2at6native12_GLOBAL__N_124unique_dim_cuda_templateIbEESt5tupleIJNSH_6TensorESM_SM_EERKSM_lbbbEUlllE0_EEPmJS6_EEE10hipError_tPvRmT3_T4_T5_T6_T7_T9_mT8_P12ihipStream_tbDpT10_ENKUlT_T0_E_clISt17integral_constantIbLb0EES1C_EEDaS17_S18_EUlS17_E_NS1_11comp_targetILNS1_3genE4ELNS1_11target_archE910ELNS1_3gpuE8ELNS1_3repE0EEENS1_30default_config_static_selectorELNS0_4arch9wavefront6targetE0EEEvT1_
; %bb.0:
	.section	.rodata,"a",@progbits
	.p2align	6, 0x0
	.amdhsa_kernel _ZN7rocprim17ROCPRIM_400000_NS6detail17trampoline_kernelINS0_14default_configENS1_25partition_config_selectorILNS1_17partition_subalgoE8ElNS0_10empty_typeEbEEZZNS1_14partition_implILS5_8ELb0ES3_jPlPS6_PKS6_NS0_5tupleIJS9_S6_EEENSD_IJSA_SA_EEENS0_18inequality_wrapperIZN2at6native12_GLOBAL__N_124unique_dim_cuda_templateIbEESt5tupleIJNSH_6TensorESM_SM_EERKSM_lbbbEUlllE0_EEPmJS6_EEE10hipError_tPvRmT3_T4_T5_T6_T7_T9_mT8_P12ihipStream_tbDpT10_ENKUlT_T0_E_clISt17integral_constantIbLb0EES1C_EEDaS17_S18_EUlS17_E_NS1_11comp_targetILNS1_3genE4ELNS1_11target_archE910ELNS1_3gpuE8ELNS1_3repE0EEENS1_30default_config_static_selectorELNS0_4arch9wavefront6targetE0EEEvT1_
		.amdhsa_group_segment_fixed_size 0
		.amdhsa_private_segment_fixed_size 0
		.amdhsa_kernarg_size 120
		.amdhsa_user_sgpr_count 15
		.amdhsa_user_sgpr_dispatch_ptr 0
		.amdhsa_user_sgpr_queue_ptr 0
		.amdhsa_user_sgpr_kernarg_segment_ptr 1
		.amdhsa_user_sgpr_dispatch_id 0
		.amdhsa_user_sgpr_private_segment_size 0
		.amdhsa_wavefront_size32 1
		.amdhsa_uses_dynamic_stack 0
		.amdhsa_enable_private_segment 0
		.amdhsa_system_sgpr_workgroup_id_x 1
		.amdhsa_system_sgpr_workgroup_id_y 0
		.amdhsa_system_sgpr_workgroup_id_z 0
		.amdhsa_system_sgpr_workgroup_info 0
		.amdhsa_system_vgpr_workitem_id 0
		.amdhsa_next_free_vgpr 1
		.amdhsa_next_free_sgpr 1
		.amdhsa_reserve_vcc 0
		.amdhsa_float_round_mode_32 0
		.amdhsa_float_round_mode_16_64 0
		.amdhsa_float_denorm_mode_32 3
		.amdhsa_float_denorm_mode_16_64 3
		.amdhsa_dx10_clamp 1
		.amdhsa_ieee_mode 1
		.amdhsa_fp16_overflow 0
		.amdhsa_workgroup_processor_mode 1
		.amdhsa_memory_ordered 1
		.amdhsa_forward_progress 0
		.amdhsa_shared_vgpr_count 0
		.amdhsa_exception_fp_ieee_invalid_op 0
		.amdhsa_exception_fp_denorm_src 0
		.amdhsa_exception_fp_ieee_div_zero 0
		.amdhsa_exception_fp_ieee_overflow 0
		.amdhsa_exception_fp_ieee_underflow 0
		.amdhsa_exception_fp_ieee_inexact 0
		.amdhsa_exception_int_div_zero 0
	.end_amdhsa_kernel
	.section	.text._ZN7rocprim17ROCPRIM_400000_NS6detail17trampoline_kernelINS0_14default_configENS1_25partition_config_selectorILNS1_17partition_subalgoE8ElNS0_10empty_typeEbEEZZNS1_14partition_implILS5_8ELb0ES3_jPlPS6_PKS6_NS0_5tupleIJS9_S6_EEENSD_IJSA_SA_EEENS0_18inequality_wrapperIZN2at6native12_GLOBAL__N_124unique_dim_cuda_templateIbEESt5tupleIJNSH_6TensorESM_SM_EERKSM_lbbbEUlllE0_EEPmJS6_EEE10hipError_tPvRmT3_T4_T5_T6_T7_T9_mT8_P12ihipStream_tbDpT10_ENKUlT_T0_E_clISt17integral_constantIbLb0EES1C_EEDaS17_S18_EUlS17_E_NS1_11comp_targetILNS1_3genE4ELNS1_11target_archE910ELNS1_3gpuE8ELNS1_3repE0EEENS1_30default_config_static_selectorELNS0_4arch9wavefront6targetE0EEEvT1_,"axG",@progbits,_ZN7rocprim17ROCPRIM_400000_NS6detail17trampoline_kernelINS0_14default_configENS1_25partition_config_selectorILNS1_17partition_subalgoE8ElNS0_10empty_typeEbEEZZNS1_14partition_implILS5_8ELb0ES3_jPlPS6_PKS6_NS0_5tupleIJS9_S6_EEENSD_IJSA_SA_EEENS0_18inequality_wrapperIZN2at6native12_GLOBAL__N_124unique_dim_cuda_templateIbEESt5tupleIJNSH_6TensorESM_SM_EERKSM_lbbbEUlllE0_EEPmJS6_EEE10hipError_tPvRmT3_T4_T5_T6_T7_T9_mT8_P12ihipStream_tbDpT10_ENKUlT_T0_E_clISt17integral_constantIbLb0EES1C_EEDaS17_S18_EUlS17_E_NS1_11comp_targetILNS1_3genE4ELNS1_11target_archE910ELNS1_3gpuE8ELNS1_3repE0EEENS1_30default_config_static_selectorELNS0_4arch9wavefront6targetE0EEEvT1_,comdat
.Lfunc_end1053:
	.size	_ZN7rocprim17ROCPRIM_400000_NS6detail17trampoline_kernelINS0_14default_configENS1_25partition_config_selectorILNS1_17partition_subalgoE8ElNS0_10empty_typeEbEEZZNS1_14partition_implILS5_8ELb0ES3_jPlPS6_PKS6_NS0_5tupleIJS9_S6_EEENSD_IJSA_SA_EEENS0_18inequality_wrapperIZN2at6native12_GLOBAL__N_124unique_dim_cuda_templateIbEESt5tupleIJNSH_6TensorESM_SM_EERKSM_lbbbEUlllE0_EEPmJS6_EEE10hipError_tPvRmT3_T4_T5_T6_T7_T9_mT8_P12ihipStream_tbDpT10_ENKUlT_T0_E_clISt17integral_constantIbLb0EES1C_EEDaS17_S18_EUlS17_E_NS1_11comp_targetILNS1_3genE4ELNS1_11target_archE910ELNS1_3gpuE8ELNS1_3repE0EEENS1_30default_config_static_selectorELNS0_4arch9wavefront6targetE0EEEvT1_, .Lfunc_end1053-_ZN7rocprim17ROCPRIM_400000_NS6detail17trampoline_kernelINS0_14default_configENS1_25partition_config_selectorILNS1_17partition_subalgoE8ElNS0_10empty_typeEbEEZZNS1_14partition_implILS5_8ELb0ES3_jPlPS6_PKS6_NS0_5tupleIJS9_S6_EEENSD_IJSA_SA_EEENS0_18inequality_wrapperIZN2at6native12_GLOBAL__N_124unique_dim_cuda_templateIbEESt5tupleIJNSH_6TensorESM_SM_EERKSM_lbbbEUlllE0_EEPmJS6_EEE10hipError_tPvRmT3_T4_T5_T6_T7_T9_mT8_P12ihipStream_tbDpT10_ENKUlT_T0_E_clISt17integral_constantIbLb0EES1C_EEDaS17_S18_EUlS17_E_NS1_11comp_targetILNS1_3genE4ELNS1_11target_archE910ELNS1_3gpuE8ELNS1_3repE0EEENS1_30default_config_static_selectorELNS0_4arch9wavefront6targetE0EEEvT1_
                                        ; -- End function
	.section	.AMDGPU.csdata,"",@progbits
; Kernel info:
; codeLenInByte = 0
; NumSgprs: 0
; NumVgprs: 0
; ScratchSize: 0
; MemoryBound: 0
; FloatMode: 240
; IeeeMode: 1
; LDSByteSize: 0 bytes/workgroup (compile time only)
; SGPRBlocks: 0
; VGPRBlocks: 0
; NumSGPRsForWavesPerEU: 1
; NumVGPRsForWavesPerEU: 1
; Occupancy: 16
; WaveLimiterHint : 0
; COMPUTE_PGM_RSRC2:SCRATCH_EN: 0
; COMPUTE_PGM_RSRC2:USER_SGPR: 15
; COMPUTE_PGM_RSRC2:TRAP_HANDLER: 0
; COMPUTE_PGM_RSRC2:TGID_X_EN: 1
; COMPUTE_PGM_RSRC2:TGID_Y_EN: 0
; COMPUTE_PGM_RSRC2:TGID_Z_EN: 0
; COMPUTE_PGM_RSRC2:TIDIG_COMP_CNT: 0
	.section	.text._ZN7rocprim17ROCPRIM_400000_NS6detail17trampoline_kernelINS0_14default_configENS1_25partition_config_selectorILNS1_17partition_subalgoE8ElNS0_10empty_typeEbEEZZNS1_14partition_implILS5_8ELb0ES3_jPlPS6_PKS6_NS0_5tupleIJS9_S6_EEENSD_IJSA_SA_EEENS0_18inequality_wrapperIZN2at6native12_GLOBAL__N_124unique_dim_cuda_templateIbEESt5tupleIJNSH_6TensorESM_SM_EERKSM_lbbbEUlllE0_EEPmJS6_EEE10hipError_tPvRmT3_T4_T5_T6_T7_T9_mT8_P12ihipStream_tbDpT10_ENKUlT_T0_E_clISt17integral_constantIbLb0EES1C_EEDaS17_S18_EUlS17_E_NS1_11comp_targetILNS1_3genE3ELNS1_11target_archE908ELNS1_3gpuE7ELNS1_3repE0EEENS1_30default_config_static_selectorELNS0_4arch9wavefront6targetE0EEEvT1_,"axG",@progbits,_ZN7rocprim17ROCPRIM_400000_NS6detail17trampoline_kernelINS0_14default_configENS1_25partition_config_selectorILNS1_17partition_subalgoE8ElNS0_10empty_typeEbEEZZNS1_14partition_implILS5_8ELb0ES3_jPlPS6_PKS6_NS0_5tupleIJS9_S6_EEENSD_IJSA_SA_EEENS0_18inequality_wrapperIZN2at6native12_GLOBAL__N_124unique_dim_cuda_templateIbEESt5tupleIJNSH_6TensorESM_SM_EERKSM_lbbbEUlllE0_EEPmJS6_EEE10hipError_tPvRmT3_T4_T5_T6_T7_T9_mT8_P12ihipStream_tbDpT10_ENKUlT_T0_E_clISt17integral_constantIbLb0EES1C_EEDaS17_S18_EUlS17_E_NS1_11comp_targetILNS1_3genE3ELNS1_11target_archE908ELNS1_3gpuE7ELNS1_3repE0EEENS1_30default_config_static_selectorELNS0_4arch9wavefront6targetE0EEEvT1_,comdat
	.globl	_ZN7rocprim17ROCPRIM_400000_NS6detail17trampoline_kernelINS0_14default_configENS1_25partition_config_selectorILNS1_17partition_subalgoE8ElNS0_10empty_typeEbEEZZNS1_14partition_implILS5_8ELb0ES3_jPlPS6_PKS6_NS0_5tupleIJS9_S6_EEENSD_IJSA_SA_EEENS0_18inequality_wrapperIZN2at6native12_GLOBAL__N_124unique_dim_cuda_templateIbEESt5tupleIJNSH_6TensorESM_SM_EERKSM_lbbbEUlllE0_EEPmJS6_EEE10hipError_tPvRmT3_T4_T5_T6_T7_T9_mT8_P12ihipStream_tbDpT10_ENKUlT_T0_E_clISt17integral_constantIbLb0EES1C_EEDaS17_S18_EUlS17_E_NS1_11comp_targetILNS1_3genE3ELNS1_11target_archE908ELNS1_3gpuE7ELNS1_3repE0EEENS1_30default_config_static_selectorELNS0_4arch9wavefront6targetE0EEEvT1_ ; -- Begin function _ZN7rocprim17ROCPRIM_400000_NS6detail17trampoline_kernelINS0_14default_configENS1_25partition_config_selectorILNS1_17partition_subalgoE8ElNS0_10empty_typeEbEEZZNS1_14partition_implILS5_8ELb0ES3_jPlPS6_PKS6_NS0_5tupleIJS9_S6_EEENSD_IJSA_SA_EEENS0_18inequality_wrapperIZN2at6native12_GLOBAL__N_124unique_dim_cuda_templateIbEESt5tupleIJNSH_6TensorESM_SM_EERKSM_lbbbEUlllE0_EEPmJS6_EEE10hipError_tPvRmT3_T4_T5_T6_T7_T9_mT8_P12ihipStream_tbDpT10_ENKUlT_T0_E_clISt17integral_constantIbLb0EES1C_EEDaS17_S18_EUlS17_E_NS1_11comp_targetILNS1_3genE3ELNS1_11target_archE908ELNS1_3gpuE7ELNS1_3repE0EEENS1_30default_config_static_selectorELNS0_4arch9wavefront6targetE0EEEvT1_
	.p2align	8
	.type	_ZN7rocprim17ROCPRIM_400000_NS6detail17trampoline_kernelINS0_14default_configENS1_25partition_config_selectorILNS1_17partition_subalgoE8ElNS0_10empty_typeEbEEZZNS1_14partition_implILS5_8ELb0ES3_jPlPS6_PKS6_NS0_5tupleIJS9_S6_EEENSD_IJSA_SA_EEENS0_18inequality_wrapperIZN2at6native12_GLOBAL__N_124unique_dim_cuda_templateIbEESt5tupleIJNSH_6TensorESM_SM_EERKSM_lbbbEUlllE0_EEPmJS6_EEE10hipError_tPvRmT3_T4_T5_T6_T7_T9_mT8_P12ihipStream_tbDpT10_ENKUlT_T0_E_clISt17integral_constantIbLb0EES1C_EEDaS17_S18_EUlS17_E_NS1_11comp_targetILNS1_3genE3ELNS1_11target_archE908ELNS1_3gpuE7ELNS1_3repE0EEENS1_30default_config_static_selectorELNS0_4arch9wavefront6targetE0EEEvT1_,@function
_ZN7rocprim17ROCPRIM_400000_NS6detail17trampoline_kernelINS0_14default_configENS1_25partition_config_selectorILNS1_17partition_subalgoE8ElNS0_10empty_typeEbEEZZNS1_14partition_implILS5_8ELb0ES3_jPlPS6_PKS6_NS0_5tupleIJS9_S6_EEENSD_IJSA_SA_EEENS0_18inequality_wrapperIZN2at6native12_GLOBAL__N_124unique_dim_cuda_templateIbEESt5tupleIJNSH_6TensorESM_SM_EERKSM_lbbbEUlllE0_EEPmJS6_EEE10hipError_tPvRmT3_T4_T5_T6_T7_T9_mT8_P12ihipStream_tbDpT10_ENKUlT_T0_E_clISt17integral_constantIbLb0EES1C_EEDaS17_S18_EUlS17_E_NS1_11comp_targetILNS1_3genE3ELNS1_11target_archE908ELNS1_3gpuE7ELNS1_3repE0EEENS1_30default_config_static_selectorELNS0_4arch9wavefront6targetE0EEEvT1_: ; @_ZN7rocprim17ROCPRIM_400000_NS6detail17trampoline_kernelINS0_14default_configENS1_25partition_config_selectorILNS1_17partition_subalgoE8ElNS0_10empty_typeEbEEZZNS1_14partition_implILS5_8ELb0ES3_jPlPS6_PKS6_NS0_5tupleIJS9_S6_EEENSD_IJSA_SA_EEENS0_18inequality_wrapperIZN2at6native12_GLOBAL__N_124unique_dim_cuda_templateIbEESt5tupleIJNSH_6TensorESM_SM_EERKSM_lbbbEUlllE0_EEPmJS6_EEE10hipError_tPvRmT3_T4_T5_T6_T7_T9_mT8_P12ihipStream_tbDpT10_ENKUlT_T0_E_clISt17integral_constantIbLb0EES1C_EEDaS17_S18_EUlS17_E_NS1_11comp_targetILNS1_3genE3ELNS1_11target_archE908ELNS1_3gpuE7ELNS1_3repE0EEENS1_30default_config_static_selectorELNS0_4arch9wavefront6targetE0EEEvT1_
; %bb.0:
	.section	.rodata,"a",@progbits
	.p2align	6, 0x0
	.amdhsa_kernel _ZN7rocprim17ROCPRIM_400000_NS6detail17trampoline_kernelINS0_14default_configENS1_25partition_config_selectorILNS1_17partition_subalgoE8ElNS0_10empty_typeEbEEZZNS1_14partition_implILS5_8ELb0ES3_jPlPS6_PKS6_NS0_5tupleIJS9_S6_EEENSD_IJSA_SA_EEENS0_18inequality_wrapperIZN2at6native12_GLOBAL__N_124unique_dim_cuda_templateIbEESt5tupleIJNSH_6TensorESM_SM_EERKSM_lbbbEUlllE0_EEPmJS6_EEE10hipError_tPvRmT3_T4_T5_T6_T7_T9_mT8_P12ihipStream_tbDpT10_ENKUlT_T0_E_clISt17integral_constantIbLb0EES1C_EEDaS17_S18_EUlS17_E_NS1_11comp_targetILNS1_3genE3ELNS1_11target_archE908ELNS1_3gpuE7ELNS1_3repE0EEENS1_30default_config_static_selectorELNS0_4arch9wavefront6targetE0EEEvT1_
		.amdhsa_group_segment_fixed_size 0
		.amdhsa_private_segment_fixed_size 0
		.amdhsa_kernarg_size 120
		.amdhsa_user_sgpr_count 15
		.amdhsa_user_sgpr_dispatch_ptr 0
		.amdhsa_user_sgpr_queue_ptr 0
		.amdhsa_user_sgpr_kernarg_segment_ptr 1
		.amdhsa_user_sgpr_dispatch_id 0
		.amdhsa_user_sgpr_private_segment_size 0
		.amdhsa_wavefront_size32 1
		.amdhsa_uses_dynamic_stack 0
		.amdhsa_enable_private_segment 0
		.amdhsa_system_sgpr_workgroup_id_x 1
		.amdhsa_system_sgpr_workgroup_id_y 0
		.amdhsa_system_sgpr_workgroup_id_z 0
		.amdhsa_system_sgpr_workgroup_info 0
		.amdhsa_system_vgpr_workitem_id 0
		.amdhsa_next_free_vgpr 1
		.amdhsa_next_free_sgpr 1
		.amdhsa_reserve_vcc 0
		.amdhsa_float_round_mode_32 0
		.amdhsa_float_round_mode_16_64 0
		.amdhsa_float_denorm_mode_32 3
		.amdhsa_float_denorm_mode_16_64 3
		.amdhsa_dx10_clamp 1
		.amdhsa_ieee_mode 1
		.amdhsa_fp16_overflow 0
		.amdhsa_workgroup_processor_mode 1
		.amdhsa_memory_ordered 1
		.amdhsa_forward_progress 0
		.amdhsa_shared_vgpr_count 0
		.amdhsa_exception_fp_ieee_invalid_op 0
		.amdhsa_exception_fp_denorm_src 0
		.amdhsa_exception_fp_ieee_div_zero 0
		.amdhsa_exception_fp_ieee_overflow 0
		.amdhsa_exception_fp_ieee_underflow 0
		.amdhsa_exception_fp_ieee_inexact 0
		.amdhsa_exception_int_div_zero 0
	.end_amdhsa_kernel
	.section	.text._ZN7rocprim17ROCPRIM_400000_NS6detail17trampoline_kernelINS0_14default_configENS1_25partition_config_selectorILNS1_17partition_subalgoE8ElNS0_10empty_typeEbEEZZNS1_14partition_implILS5_8ELb0ES3_jPlPS6_PKS6_NS0_5tupleIJS9_S6_EEENSD_IJSA_SA_EEENS0_18inequality_wrapperIZN2at6native12_GLOBAL__N_124unique_dim_cuda_templateIbEESt5tupleIJNSH_6TensorESM_SM_EERKSM_lbbbEUlllE0_EEPmJS6_EEE10hipError_tPvRmT3_T4_T5_T6_T7_T9_mT8_P12ihipStream_tbDpT10_ENKUlT_T0_E_clISt17integral_constantIbLb0EES1C_EEDaS17_S18_EUlS17_E_NS1_11comp_targetILNS1_3genE3ELNS1_11target_archE908ELNS1_3gpuE7ELNS1_3repE0EEENS1_30default_config_static_selectorELNS0_4arch9wavefront6targetE0EEEvT1_,"axG",@progbits,_ZN7rocprim17ROCPRIM_400000_NS6detail17trampoline_kernelINS0_14default_configENS1_25partition_config_selectorILNS1_17partition_subalgoE8ElNS0_10empty_typeEbEEZZNS1_14partition_implILS5_8ELb0ES3_jPlPS6_PKS6_NS0_5tupleIJS9_S6_EEENSD_IJSA_SA_EEENS0_18inequality_wrapperIZN2at6native12_GLOBAL__N_124unique_dim_cuda_templateIbEESt5tupleIJNSH_6TensorESM_SM_EERKSM_lbbbEUlllE0_EEPmJS6_EEE10hipError_tPvRmT3_T4_T5_T6_T7_T9_mT8_P12ihipStream_tbDpT10_ENKUlT_T0_E_clISt17integral_constantIbLb0EES1C_EEDaS17_S18_EUlS17_E_NS1_11comp_targetILNS1_3genE3ELNS1_11target_archE908ELNS1_3gpuE7ELNS1_3repE0EEENS1_30default_config_static_selectorELNS0_4arch9wavefront6targetE0EEEvT1_,comdat
.Lfunc_end1054:
	.size	_ZN7rocprim17ROCPRIM_400000_NS6detail17trampoline_kernelINS0_14default_configENS1_25partition_config_selectorILNS1_17partition_subalgoE8ElNS0_10empty_typeEbEEZZNS1_14partition_implILS5_8ELb0ES3_jPlPS6_PKS6_NS0_5tupleIJS9_S6_EEENSD_IJSA_SA_EEENS0_18inequality_wrapperIZN2at6native12_GLOBAL__N_124unique_dim_cuda_templateIbEESt5tupleIJNSH_6TensorESM_SM_EERKSM_lbbbEUlllE0_EEPmJS6_EEE10hipError_tPvRmT3_T4_T5_T6_T7_T9_mT8_P12ihipStream_tbDpT10_ENKUlT_T0_E_clISt17integral_constantIbLb0EES1C_EEDaS17_S18_EUlS17_E_NS1_11comp_targetILNS1_3genE3ELNS1_11target_archE908ELNS1_3gpuE7ELNS1_3repE0EEENS1_30default_config_static_selectorELNS0_4arch9wavefront6targetE0EEEvT1_, .Lfunc_end1054-_ZN7rocprim17ROCPRIM_400000_NS6detail17trampoline_kernelINS0_14default_configENS1_25partition_config_selectorILNS1_17partition_subalgoE8ElNS0_10empty_typeEbEEZZNS1_14partition_implILS5_8ELb0ES3_jPlPS6_PKS6_NS0_5tupleIJS9_S6_EEENSD_IJSA_SA_EEENS0_18inequality_wrapperIZN2at6native12_GLOBAL__N_124unique_dim_cuda_templateIbEESt5tupleIJNSH_6TensorESM_SM_EERKSM_lbbbEUlllE0_EEPmJS6_EEE10hipError_tPvRmT3_T4_T5_T6_T7_T9_mT8_P12ihipStream_tbDpT10_ENKUlT_T0_E_clISt17integral_constantIbLb0EES1C_EEDaS17_S18_EUlS17_E_NS1_11comp_targetILNS1_3genE3ELNS1_11target_archE908ELNS1_3gpuE7ELNS1_3repE0EEENS1_30default_config_static_selectorELNS0_4arch9wavefront6targetE0EEEvT1_
                                        ; -- End function
	.section	.AMDGPU.csdata,"",@progbits
; Kernel info:
; codeLenInByte = 0
; NumSgprs: 0
; NumVgprs: 0
; ScratchSize: 0
; MemoryBound: 0
; FloatMode: 240
; IeeeMode: 1
; LDSByteSize: 0 bytes/workgroup (compile time only)
; SGPRBlocks: 0
; VGPRBlocks: 0
; NumSGPRsForWavesPerEU: 1
; NumVGPRsForWavesPerEU: 1
; Occupancy: 16
; WaveLimiterHint : 0
; COMPUTE_PGM_RSRC2:SCRATCH_EN: 0
; COMPUTE_PGM_RSRC2:USER_SGPR: 15
; COMPUTE_PGM_RSRC2:TRAP_HANDLER: 0
; COMPUTE_PGM_RSRC2:TGID_X_EN: 1
; COMPUTE_PGM_RSRC2:TGID_Y_EN: 0
; COMPUTE_PGM_RSRC2:TGID_Z_EN: 0
; COMPUTE_PGM_RSRC2:TIDIG_COMP_CNT: 0
	.section	.text._ZN7rocprim17ROCPRIM_400000_NS6detail17trampoline_kernelINS0_14default_configENS1_25partition_config_selectorILNS1_17partition_subalgoE8ElNS0_10empty_typeEbEEZZNS1_14partition_implILS5_8ELb0ES3_jPlPS6_PKS6_NS0_5tupleIJS9_S6_EEENSD_IJSA_SA_EEENS0_18inequality_wrapperIZN2at6native12_GLOBAL__N_124unique_dim_cuda_templateIbEESt5tupleIJNSH_6TensorESM_SM_EERKSM_lbbbEUlllE0_EEPmJS6_EEE10hipError_tPvRmT3_T4_T5_T6_T7_T9_mT8_P12ihipStream_tbDpT10_ENKUlT_T0_E_clISt17integral_constantIbLb0EES1C_EEDaS17_S18_EUlS17_E_NS1_11comp_targetILNS1_3genE2ELNS1_11target_archE906ELNS1_3gpuE6ELNS1_3repE0EEENS1_30default_config_static_selectorELNS0_4arch9wavefront6targetE0EEEvT1_,"axG",@progbits,_ZN7rocprim17ROCPRIM_400000_NS6detail17trampoline_kernelINS0_14default_configENS1_25partition_config_selectorILNS1_17partition_subalgoE8ElNS0_10empty_typeEbEEZZNS1_14partition_implILS5_8ELb0ES3_jPlPS6_PKS6_NS0_5tupleIJS9_S6_EEENSD_IJSA_SA_EEENS0_18inequality_wrapperIZN2at6native12_GLOBAL__N_124unique_dim_cuda_templateIbEESt5tupleIJNSH_6TensorESM_SM_EERKSM_lbbbEUlllE0_EEPmJS6_EEE10hipError_tPvRmT3_T4_T5_T6_T7_T9_mT8_P12ihipStream_tbDpT10_ENKUlT_T0_E_clISt17integral_constantIbLb0EES1C_EEDaS17_S18_EUlS17_E_NS1_11comp_targetILNS1_3genE2ELNS1_11target_archE906ELNS1_3gpuE6ELNS1_3repE0EEENS1_30default_config_static_selectorELNS0_4arch9wavefront6targetE0EEEvT1_,comdat
	.globl	_ZN7rocprim17ROCPRIM_400000_NS6detail17trampoline_kernelINS0_14default_configENS1_25partition_config_selectorILNS1_17partition_subalgoE8ElNS0_10empty_typeEbEEZZNS1_14partition_implILS5_8ELb0ES3_jPlPS6_PKS6_NS0_5tupleIJS9_S6_EEENSD_IJSA_SA_EEENS0_18inequality_wrapperIZN2at6native12_GLOBAL__N_124unique_dim_cuda_templateIbEESt5tupleIJNSH_6TensorESM_SM_EERKSM_lbbbEUlllE0_EEPmJS6_EEE10hipError_tPvRmT3_T4_T5_T6_T7_T9_mT8_P12ihipStream_tbDpT10_ENKUlT_T0_E_clISt17integral_constantIbLb0EES1C_EEDaS17_S18_EUlS17_E_NS1_11comp_targetILNS1_3genE2ELNS1_11target_archE906ELNS1_3gpuE6ELNS1_3repE0EEENS1_30default_config_static_selectorELNS0_4arch9wavefront6targetE0EEEvT1_ ; -- Begin function _ZN7rocprim17ROCPRIM_400000_NS6detail17trampoline_kernelINS0_14default_configENS1_25partition_config_selectorILNS1_17partition_subalgoE8ElNS0_10empty_typeEbEEZZNS1_14partition_implILS5_8ELb0ES3_jPlPS6_PKS6_NS0_5tupleIJS9_S6_EEENSD_IJSA_SA_EEENS0_18inequality_wrapperIZN2at6native12_GLOBAL__N_124unique_dim_cuda_templateIbEESt5tupleIJNSH_6TensorESM_SM_EERKSM_lbbbEUlllE0_EEPmJS6_EEE10hipError_tPvRmT3_T4_T5_T6_T7_T9_mT8_P12ihipStream_tbDpT10_ENKUlT_T0_E_clISt17integral_constantIbLb0EES1C_EEDaS17_S18_EUlS17_E_NS1_11comp_targetILNS1_3genE2ELNS1_11target_archE906ELNS1_3gpuE6ELNS1_3repE0EEENS1_30default_config_static_selectorELNS0_4arch9wavefront6targetE0EEEvT1_
	.p2align	8
	.type	_ZN7rocprim17ROCPRIM_400000_NS6detail17trampoline_kernelINS0_14default_configENS1_25partition_config_selectorILNS1_17partition_subalgoE8ElNS0_10empty_typeEbEEZZNS1_14partition_implILS5_8ELb0ES3_jPlPS6_PKS6_NS0_5tupleIJS9_S6_EEENSD_IJSA_SA_EEENS0_18inequality_wrapperIZN2at6native12_GLOBAL__N_124unique_dim_cuda_templateIbEESt5tupleIJNSH_6TensorESM_SM_EERKSM_lbbbEUlllE0_EEPmJS6_EEE10hipError_tPvRmT3_T4_T5_T6_T7_T9_mT8_P12ihipStream_tbDpT10_ENKUlT_T0_E_clISt17integral_constantIbLb0EES1C_EEDaS17_S18_EUlS17_E_NS1_11comp_targetILNS1_3genE2ELNS1_11target_archE906ELNS1_3gpuE6ELNS1_3repE0EEENS1_30default_config_static_selectorELNS0_4arch9wavefront6targetE0EEEvT1_,@function
_ZN7rocprim17ROCPRIM_400000_NS6detail17trampoline_kernelINS0_14default_configENS1_25partition_config_selectorILNS1_17partition_subalgoE8ElNS0_10empty_typeEbEEZZNS1_14partition_implILS5_8ELb0ES3_jPlPS6_PKS6_NS0_5tupleIJS9_S6_EEENSD_IJSA_SA_EEENS0_18inequality_wrapperIZN2at6native12_GLOBAL__N_124unique_dim_cuda_templateIbEESt5tupleIJNSH_6TensorESM_SM_EERKSM_lbbbEUlllE0_EEPmJS6_EEE10hipError_tPvRmT3_T4_T5_T6_T7_T9_mT8_P12ihipStream_tbDpT10_ENKUlT_T0_E_clISt17integral_constantIbLb0EES1C_EEDaS17_S18_EUlS17_E_NS1_11comp_targetILNS1_3genE2ELNS1_11target_archE906ELNS1_3gpuE6ELNS1_3repE0EEENS1_30default_config_static_selectorELNS0_4arch9wavefront6targetE0EEEvT1_: ; @_ZN7rocprim17ROCPRIM_400000_NS6detail17trampoline_kernelINS0_14default_configENS1_25partition_config_selectorILNS1_17partition_subalgoE8ElNS0_10empty_typeEbEEZZNS1_14partition_implILS5_8ELb0ES3_jPlPS6_PKS6_NS0_5tupleIJS9_S6_EEENSD_IJSA_SA_EEENS0_18inequality_wrapperIZN2at6native12_GLOBAL__N_124unique_dim_cuda_templateIbEESt5tupleIJNSH_6TensorESM_SM_EERKSM_lbbbEUlllE0_EEPmJS6_EEE10hipError_tPvRmT3_T4_T5_T6_T7_T9_mT8_P12ihipStream_tbDpT10_ENKUlT_T0_E_clISt17integral_constantIbLb0EES1C_EEDaS17_S18_EUlS17_E_NS1_11comp_targetILNS1_3genE2ELNS1_11target_archE906ELNS1_3gpuE6ELNS1_3repE0EEENS1_30default_config_static_selectorELNS0_4arch9wavefront6targetE0EEEvT1_
; %bb.0:
	.section	.rodata,"a",@progbits
	.p2align	6, 0x0
	.amdhsa_kernel _ZN7rocprim17ROCPRIM_400000_NS6detail17trampoline_kernelINS0_14default_configENS1_25partition_config_selectorILNS1_17partition_subalgoE8ElNS0_10empty_typeEbEEZZNS1_14partition_implILS5_8ELb0ES3_jPlPS6_PKS6_NS0_5tupleIJS9_S6_EEENSD_IJSA_SA_EEENS0_18inequality_wrapperIZN2at6native12_GLOBAL__N_124unique_dim_cuda_templateIbEESt5tupleIJNSH_6TensorESM_SM_EERKSM_lbbbEUlllE0_EEPmJS6_EEE10hipError_tPvRmT3_T4_T5_T6_T7_T9_mT8_P12ihipStream_tbDpT10_ENKUlT_T0_E_clISt17integral_constantIbLb0EES1C_EEDaS17_S18_EUlS17_E_NS1_11comp_targetILNS1_3genE2ELNS1_11target_archE906ELNS1_3gpuE6ELNS1_3repE0EEENS1_30default_config_static_selectorELNS0_4arch9wavefront6targetE0EEEvT1_
		.amdhsa_group_segment_fixed_size 0
		.amdhsa_private_segment_fixed_size 0
		.amdhsa_kernarg_size 120
		.amdhsa_user_sgpr_count 15
		.amdhsa_user_sgpr_dispatch_ptr 0
		.amdhsa_user_sgpr_queue_ptr 0
		.amdhsa_user_sgpr_kernarg_segment_ptr 1
		.amdhsa_user_sgpr_dispatch_id 0
		.amdhsa_user_sgpr_private_segment_size 0
		.amdhsa_wavefront_size32 1
		.amdhsa_uses_dynamic_stack 0
		.amdhsa_enable_private_segment 0
		.amdhsa_system_sgpr_workgroup_id_x 1
		.amdhsa_system_sgpr_workgroup_id_y 0
		.amdhsa_system_sgpr_workgroup_id_z 0
		.amdhsa_system_sgpr_workgroup_info 0
		.amdhsa_system_vgpr_workitem_id 0
		.amdhsa_next_free_vgpr 1
		.amdhsa_next_free_sgpr 1
		.amdhsa_reserve_vcc 0
		.amdhsa_float_round_mode_32 0
		.amdhsa_float_round_mode_16_64 0
		.amdhsa_float_denorm_mode_32 3
		.amdhsa_float_denorm_mode_16_64 3
		.amdhsa_dx10_clamp 1
		.amdhsa_ieee_mode 1
		.amdhsa_fp16_overflow 0
		.amdhsa_workgroup_processor_mode 1
		.amdhsa_memory_ordered 1
		.amdhsa_forward_progress 0
		.amdhsa_shared_vgpr_count 0
		.amdhsa_exception_fp_ieee_invalid_op 0
		.amdhsa_exception_fp_denorm_src 0
		.amdhsa_exception_fp_ieee_div_zero 0
		.amdhsa_exception_fp_ieee_overflow 0
		.amdhsa_exception_fp_ieee_underflow 0
		.amdhsa_exception_fp_ieee_inexact 0
		.amdhsa_exception_int_div_zero 0
	.end_amdhsa_kernel
	.section	.text._ZN7rocprim17ROCPRIM_400000_NS6detail17trampoline_kernelINS0_14default_configENS1_25partition_config_selectorILNS1_17partition_subalgoE8ElNS0_10empty_typeEbEEZZNS1_14partition_implILS5_8ELb0ES3_jPlPS6_PKS6_NS0_5tupleIJS9_S6_EEENSD_IJSA_SA_EEENS0_18inequality_wrapperIZN2at6native12_GLOBAL__N_124unique_dim_cuda_templateIbEESt5tupleIJNSH_6TensorESM_SM_EERKSM_lbbbEUlllE0_EEPmJS6_EEE10hipError_tPvRmT3_T4_T5_T6_T7_T9_mT8_P12ihipStream_tbDpT10_ENKUlT_T0_E_clISt17integral_constantIbLb0EES1C_EEDaS17_S18_EUlS17_E_NS1_11comp_targetILNS1_3genE2ELNS1_11target_archE906ELNS1_3gpuE6ELNS1_3repE0EEENS1_30default_config_static_selectorELNS0_4arch9wavefront6targetE0EEEvT1_,"axG",@progbits,_ZN7rocprim17ROCPRIM_400000_NS6detail17trampoline_kernelINS0_14default_configENS1_25partition_config_selectorILNS1_17partition_subalgoE8ElNS0_10empty_typeEbEEZZNS1_14partition_implILS5_8ELb0ES3_jPlPS6_PKS6_NS0_5tupleIJS9_S6_EEENSD_IJSA_SA_EEENS0_18inequality_wrapperIZN2at6native12_GLOBAL__N_124unique_dim_cuda_templateIbEESt5tupleIJNSH_6TensorESM_SM_EERKSM_lbbbEUlllE0_EEPmJS6_EEE10hipError_tPvRmT3_T4_T5_T6_T7_T9_mT8_P12ihipStream_tbDpT10_ENKUlT_T0_E_clISt17integral_constantIbLb0EES1C_EEDaS17_S18_EUlS17_E_NS1_11comp_targetILNS1_3genE2ELNS1_11target_archE906ELNS1_3gpuE6ELNS1_3repE0EEENS1_30default_config_static_selectorELNS0_4arch9wavefront6targetE0EEEvT1_,comdat
.Lfunc_end1055:
	.size	_ZN7rocprim17ROCPRIM_400000_NS6detail17trampoline_kernelINS0_14default_configENS1_25partition_config_selectorILNS1_17partition_subalgoE8ElNS0_10empty_typeEbEEZZNS1_14partition_implILS5_8ELb0ES3_jPlPS6_PKS6_NS0_5tupleIJS9_S6_EEENSD_IJSA_SA_EEENS0_18inequality_wrapperIZN2at6native12_GLOBAL__N_124unique_dim_cuda_templateIbEESt5tupleIJNSH_6TensorESM_SM_EERKSM_lbbbEUlllE0_EEPmJS6_EEE10hipError_tPvRmT3_T4_T5_T6_T7_T9_mT8_P12ihipStream_tbDpT10_ENKUlT_T0_E_clISt17integral_constantIbLb0EES1C_EEDaS17_S18_EUlS17_E_NS1_11comp_targetILNS1_3genE2ELNS1_11target_archE906ELNS1_3gpuE6ELNS1_3repE0EEENS1_30default_config_static_selectorELNS0_4arch9wavefront6targetE0EEEvT1_, .Lfunc_end1055-_ZN7rocprim17ROCPRIM_400000_NS6detail17trampoline_kernelINS0_14default_configENS1_25partition_config_selectorILNS1_17partition_subalgoE8ElNS0_10empty_typeEbEEZZNS1_14partition_implILS5_8ELb0ES3_jPlPS6_PKS6_NS0_5tupleIJS9_S6_EEENSD_IJSA_SA_EEENS0_18inequality_wrapperIZN2at6native12_GLOBAL__N_124unique_dim_cuda_templateIbEESt5tupleIJNSH_6TensorESM_SM_EERKSM_lbbbEUlllE0_EEPmJS6_EEE10hipError_tPvRmT3_T4_T5_T6_T7_T9_mT8_P12ihipStream_tbDpT10_ENKUlT_T0_E_clISt17integral_constantIbLb0EES1C_EEDaS17_S18_EUlS17_E_NS1_11comp_targetILNS1_3genE2ELNS1_11target_archE906ELNS1_3gpuE6ELNS1_3repE0EEENS1_30default_config_static_selectorELNS0_4arch9wavefront6targetE0EEEvT1_
                                        ; -- End function
	.section	.AMDGPU.csdata,"",@progbits
; Kernel info:
; codeLenInByte = 0
; NumSgprs: 0
; NumVgprs: 0
; ScratchSize: 0
; MemoryBound: 0
; FloatMode: 240
; IeeeMode: 1
; LDSByteSize: 0 bytes/workgroup (compile time only)
; SGPRBlocks: 0
; VGPRBlocks: 0
; NumSGPRsForWavesPerEU: 1
; NumVGPRsForWavesPerEU: 1
; Occupancy: 16
; WaveLimiterHint : 0
; COMPUTE_PGM_RSRC2:SCRATCH_EN: 0
; COMPUTE_PGM_RSRC2:USER_SGPR: 15
; COMPUTE_PGM_RSRC2:TRAP_HANDLER: 0
; COMPUTE_PGM_RSRC2:TGID_X_EN: 1
; COMPUTE_PGM_RSRC2:TGID_Y_EN: 0
; COMPUTE_PGM_RSRC2:TGID_Z_EN: 0
; COMPUTE_PGM_RSRC2:TIDIG_COMP_CNT: 0
	.section	.text._ZN7rocprim17ROCPRIM_400000_NS6detail17trampoline_kernelINS0_14default_configENS1_25partition_config_selectorILNS1_17partition_subalgoE8ElNS0_10empty_typeEbEEZZNS1_14partition_implILS5_8ELb0ES3_jPlPS6_PKS6_NS0_5tupleIJS9_S6_EEENSD_IJSA_SA_EEENS0_18inequality_wrapperIZN2at6native12_GLOBAL__N_124unique_dim_cuda_templateIbEESt5tupleIJNSH_6TensorESM_SM_EERKSM_lbbbEUlllE0_EEPmJS6_EEE10hipError_tPvRmT3_T4_T5_T6_T7_T9_mT8_P12ihipStream_tbDpT10_ENKUlT_T0_E_clISt17integral_constantIbLb0EES1C_EEDaS17_S18_EUlS17_E_NS1_11comp_targetILNS1_3genE10ELNS1_11target_archE1200ELNS1_3gpuE4ELNS1_3repE0EEENS1_30default_config_static_selectorELNS0_4arch9wavefront6targetE0EEEvT1_,"axG",@progbits,_ZN7rocprim17ROCPRIM_400000_NS6detail17trampoline_kernelINS0_14default_configENS1_25partition_config_selectorILNS1_17partition_subalgoE8ElNS0_10empty_typeEbEEZZNS1_14partition_implILS5_8ELb0ES3_jPlPS6_PKS6_NS0_5tupleIJS9_S6_EEENSD_IJSA_SA_EEENS0_18inequality_wrapperIZN2at6native12_GLOBAL__N_124unique_dim_cuda_templateIbEESt5tupleIJNSH_6TensorESM_SM_EERKSM_lbbbEUlllE0_EEPmJS6_EEE10hipError_tPvRmT3_T4_T5_T6_T7_T9_mT8_P12ihipStream_tbDpT10_ENKUlT_T0_E_clISt17integral_constantIbLb0EES1C_EEDaS17_S18_EUlS17_E_NS1_11comp_targetILNS1_3genE10ELNS1_11target_archE1200ELNS1_3gpuE4ELNS1_3repE0EEENS1_30default_config_static_selectorELNS0_4arch9wavefront6targetE0EEEvT1_,comdat
	.globl	_ZN7rocprim17ROCPRIM_400000_NS6detail17trampoline_kernelINS0_14default_configENS1_25partition_config_selectorILNS1_17partition_subalgoE8ElNS0_10empty_typeEbEEZZNS1_14partition_implILS5_8ELb0ES3_jPlPS6_PKS6_NS0_5tupleIJS9_S6_EEENSD_IJSA_SA_EEENS0_18inequality_wrapperIZN2at6native12_GLOBAL__N_124unique_dim_cuda_templateIbEESt5tupleIJNSH_6TensorESM_SM_EERKSM_lbbbEUlllE0_EEPmJS6_EEE10hipError_tPvRmT3_T4_T5_T6_T7_T9_mT8_P12ihipStream_tbDpT10_ENKUlT_T0_E_clISt17integral_constantIbLb0EES1C_EEDaS17_S18_EUlS17_E_NS1_11comp_targetILNS1_3genE10ELNS1_11target_archE1200ELNS1_3gpuE4ELNS1_3repE0EEENS1_30default_config_static_selectorELNS0_4arch9wavefront6targetE0EEEvT1_ ; -- Begin function _ZN7rocprim17ROCPRIM_400000_NS6detail17trampoline_kernelINS0_14default_configENS1_25partition_config_selectorILNS1_17partition_subalgoE8ElNS0_10empty_typeEbEEZZNS1_14partition_implILS5_8ELb0ES3_jPlPS6_PKS6_NS0_5tupleIJS9_S6_EEENSD_IJSA_SA_EEENS0_18inequality_wrapperIZN2at6native12_GLOBAL__N_124unique_dim_cuda_templateIbEESt5tupleIJNSH_6TensorESM_SM_EERKSM_lbbbEUlllE0_EEPmJS6_EEE10hipError_tPvRmT3_T4_T5_T6_T7_T9_mT8_P12ihipStream_tbDpT10_ENKUlT_T0_E_clISt17integral_constantIbLb0EES1C_EEDaS17_S18_EUlS17_E_NS1_11comp_targetILNS1_3genE10ELNS1_11target_archE1200ELNS1_3gpuE4ELNS1_3repE0EEENS1_30default_config_static_selectorELNS0_4arch9wavefront6targetE0EEEvT1_
	.p2align	8
	.type	_ZN7rocprim17ROCPRIM_400000_NS6detail17trampoline_kernelINS0_14default_configENS1_25partition_config_selectorILNS1_17partition_subalgoE8ElNS0_10empty_typeEbEEZZNS1_14partition_implILS5_8ELb0ES3_jPlPS6_PKS6_NS0_5tupleIJS9_S6_EEENSD_IJSA_SA_EEENS0_18inequality_wrapperIZN2at6native12_GLOBAL__N_124unique_dim_cuda_templateIbEESt5tupleIJNSH_6TensorESM_SM_EERKSM_lbbbEUlllE0_EEPmJS6_EEE10hipError_tPvRmT3_T4_T5_T6_T7_T9_mT8_P12ihipStream_tbDpT10_ENKUlT_T0_E_clISt17integral_constantIbLb0EES1C_EEDaS17_S18_EUlS17_E_NS1_11comp_targetILNS1_3genE10ELNS1_11target_archE1200ELNS1_3gpuE4ELNS1_3repE0EEENS1_30default_config_static_selectorELNS0_4arch9wavefront6targetE0EEEvT1_,@function
_ZN7rocprim17ROCPRIM_400000_NS6detail17trampoline_kernelINS0_14default_configENS1_25partition_config_selectorILNS1_17partition_subalgoE8ElNS0_10empty_typeEbEEZZNS1_14partition_implILS5_8ELb0ES3_jPlPS6_PKS6_NS0_5tupleIJS9_S6_EEENSD_IJSA_SA_EEENS0_18inequality_wrapperIZN2at6native12_GLOBAL__N_124unique_dim_cuda_templateIbEESt5tupleIJNSH_6TensorESM_SM_EERKSM_lbbbEUlllE0_EEPmJS6_EEE10hipError_tPvRmT3_T4_T5_T6_T7_T9_mT8_P12ihipStream_tbDpT10_ENKUlT_T0_E_clISt17integral_constantIbLb0EES1C_EEDaS17_S18_EUlS17_E_NS1_11comp_targetILNS1_3genE10ELNS1_11target_archE1200ELNS1_3gpuE4ELNS1_3repE0EEENS1_30default_config_static_selectorELNS0_4arch9wavefront6targetE0EEEvT1_: ; @_ZN7rocprim17ROCPRIM_400000_NS6detail17trampoline_kernelINS0_14default_configENS1_25partition_config_selectorILNS1_17partition_subalgoE8ElNS0_10empty_typeEbEEZZNS1_14partition_implILS5_8ELb0ES3_jPlPS6_PKS6_NS0_5tupleIJS9_S6_EEENSD_IJSA_SA_EEENS0_18inequality_wrapperIZN2at6native12_GLOBAL__N_124unique_dim_cuda_templateIbEESt5tupleIJNSH_6TensorESM_SM_EERKSM_lbbbEUlllE0_EEPmJS6_EEE10hipError_tPvRmT3_T4_T5_T6_T7_T9_mT8_P12ihipStream_tbDpT10_ENKUlT_T0_E_clISt17integral_constantIbLb0EES1C_EEDaS17_S18_EUlS17_E_NS1_11comp_targetILNS1_3genE10ELNS1_11target_archE1200ELNS1_3gpuE4ELNS1_3repE0EEENS1_30default_config_static_selectorELNS0_4arch9wavefront6targetE0EEEvT1_
; %bb.0:
	.section	.rodata,"a",@progbits
	.p2align	6, 0x0
	.amdhsa_kernel _ZN7rocprim17ROCPRIM_400000_NS6detail17trampoline_kernelINS0_14default_configENS1_25partition_config_selectorILNS1_17partition_subalgoE8ElNS0_10empty_typeEbEEZZNS1_14partition_implILS5_8ELb0ES3_jPlPS6_PKS6_NS0_5tupleIJS9_S6_EEENSD_IJSA_SA_EEENS0_18inequality_wrapperIZN2at6native12_GLOBAL__N_124unique_dim_cuda_templateIbEESt5tupleIJNSH_6TensorESM_SM_EERKSM_lbbbEUlllE0_EEPmJS6_EEE10hipError_tPvRmT3_T4_T5_T6_T7_T9_mT8_P12ihipStream_tbDpT10_ENKUlT_T0_E_clISt17integral_constantIbLb0EES1C_EEDaS17_S18_EUlS17_E_NS1_11comp_targetILNS1_3genE10ELNS1_11target_archE1200ELNS1_3gpuE4ELNS1_3repE0EEENS1_30default_config_static_selectorELNS0_4arch9wavefront6targetE0EEEvT1_
		.amdhsa_group_segment_fixed_size 0
		.amdhsa_private_segment_fixed_size 0
		.amdhsa_kernarg_size 120
		.amdhsa_user_sgpr_count 15
		.amdhsa_user_sgpr_dispatch_ptr 0
		.amdhsa_user_sgpr_queue_ptr 0
		.amdhsa_user_sgpr_kernarg_segment_ptr 1
		.amdhsa_user_sgpr_dispatch_id 0
		.amdhsa_user_sgpr_private_segment_size 0
		.amdhsa_wavefront_size32 1
		.amdhsa_uses_dynamic_stack 0
		.amdhsa_enable_private_segment 0
		.amdhsa_system_sgpr_workgroup_id_x 1
		.amdhsa_system_sgpr_workgroup_id_y 0
		.amdhsa_system_sgpr_workgroup_id_z 0
		.amdhsa_system_sgpr_workgroup_info 0
		.amdhsa_system_vgpr_workitem_id 0
		.amdhsa_next_free_vgpr 1
		.amdhsa_next_free_sgpr 1
		.amdhsa_reserve_vcc 0
		.amdhsa_float_round_mode_32 0
		.amdhsa_float_round_mode_16_64 0
		.amdhsa_float_denorm_mode_32 3
		.amdhsa_float_denorm_mode_16_64 3
		.amdhsa_dx10_clamp 1
		.amdhsa_ieee_mode 1
		.amdhsa_fp16_overflow 0
		.amdhsa_workgroup_processor_mode 1
		.amdhsa_memory_ordered 1
		.amdhsa_forward_progress 0
		.amdhsa_shared_vgpr_count 0
		.amdhsa_exception_fp_ieee_invalid_op 0
		.amdhsa_exception_fp_denorm_src 0
		.amdhsa_exception_fp_ieee_div_zero 0
		.amdhsa_exception_fp_ieee_overflow 0
		.amdhsa_exception_fp_ieee_underflow 0
		.amdhsa_exception_fp_ieee_inexact 0
		.amdhsa_exception_int_div_zero 0
	.end_amdhsa_kernel
	.section	.text._ZN7rocprim17ROCPRIM_400000_NS6detail17trampoline_kernelINS0_14default_configENS1_25partition_config_selectorILNS1_17partition_subalgoE8ElNS0_10empty_typeEbEEZZNS1_14partition_implILS5_8ELb0ES3_jPlPS6_PKS6_NS0_5tupleIJS9_S6_EEENSD_IJSA_SA_EEENS0_18inequality_wrapperIZN2at6native12_GLOBAL__N_124unique_dim_cuda_templateIbEESt5tupleIJNSH_6TensorESM_SM_EERKSM_lbbbEUlllE0_EEPmJS6_EEE10hipError_tPvRmT3_T4_T5_T6_T7_T9_mT8_P12ihipStream_tbDpT10_ENKUlT_T0_E_clISt17integral_constantIbLb0EES1C_EEDaS17_S18_EUlS17_E_NS1_11comp_targetILNS1_3genE10ELNS1_11target_archE1200ELNS1_3gpuE4ELNS1_3repE0EEENS1_30default_config_static_selectorELNS0_4arch9wavefront6targetE0EEEvT1_,"axG",@progbits,_ZN7rocprim17ROCPRIM_400000_NS6detail17trampoline_kernelINS0_14default_configENS1_25partition_config_selectorILNS1_17partition_subalgoE8ElNS0_10empty_typeEbEEZZNS1_14partition_implILS5_8ELb0ES3_jPlPS6_PKS6_NS0_5tupleIJS9_S6_EEENSD_IJSA_SA_EEENS0_18inequality_wrapperIZN2at6native12_GLOBAL__N_124unique_dim_cuda_templateIbEESt5tupleIJNSH_6TensorESM_SM_EERKSM_lbbbEUlllE0_EEPmJS6_EEE10hipError_tPvRmT3_T4_T5_T6_T7_T9_mT8_P12ihipStream_tbDpT10_ENKUlT_T0_E_clISt17integral_constantIbLb0EES1C_EEDaS17_S18_EUlS17_E_NS1_11comp_targetILNS1_3genE10ELNS1_11target_archE1200ELNS1_3gpuE4ELNS1_3repE0EEENS1_30default_config_static_selectorELNS0_4arch9wavefront6targetE0EEEvT1_,comdat
.Lfunc_end1056:
	.size	_ZN7rocprim17ROCPRIM_400000_NS6detail17trampoline_kernelINS0_14default_configENS1_25partition_config_selectorILNS1_17partition_subalgoE8ElNS0_10empty_typeEbEEZZNS1_14partition_implILS5_8ELb0ES3_jPlPS6_PKS6_NS0_5tupleIJS9_S6_EEENSD_IJSA_SA_EEENS0_18inequality_wrapperIZN2at6native12_GLOBAL__N_124unique_dim_cuda_templateIbEESt5tupleIJNSH_6TensorESM_SM_EERKSM_lbbbEUlllE0_EEPmJS6_EEE10hipError_tPvRmT3_T4_T5_T6_T7_T9_mT8_P12ihipStream_tbDpT10_ENKUlT_T0_E_clISt17integral_constantIbLb0EES1C_EEDaS17_S18_EUlS17_E_NS1_11comp_targetILNS1_3genE10ELNS1_11target_archE1200ELNS1_3gpuE4ELNS1_3repE0EEENS1_30default_config_static_selectorELNS0_4arch9wavefront6targetE0EEEvT1_, .Lfunc_end1056-_ZN7rocprim17ROCPRIM_400000_NS6detail17trampoline_kernelINS0_14default_configENS1_25partition_config_selectorILNS1_17partition_subalgoE8ElNS0_10empty_typeEbEEZZNS1_14partition_implILS5_8ELb0ES3_jPlPS6_PKS6_NS0_5tupleIJS9_S6_EEENSD_IJSA_SA_EEENS0_18inequality_wrapperIZN2at6native12_GLOBAL__N_124unique_dim_cuda_templateIbEESt5tupleIJNSH_6TensorESM_SM_EERKSM_lbbbEUlllE0_EEPmJS6_EEE10hipError_tPvRmT3_T4_T5_T6_T7_T9_mT8_P12ihipStream_tbDpT10_ENKUlT_T0_E_clISt17integral_constantIbLb0EES1C_EEDaS17_S18_EUlS17_E_NS1_11comp_targetILNS1_3genE10ELNS1_11target_archE1200ELNS1_3gpuE4ELNS1_3repE0EEENS1_30default_config_static_selectorELNS0_4arch9wavefront6targetE0EEEvT1_
                                        ; -- End function
	.section	.AMDGPU.csdata,"",@progbits
; Kernel info:
; codeLenInByte = 0
; NumSgprs: 0
; NumVgprs: 0
; ScratchSize: 0
; MemoryBound: 0
; FloatMode: 240
; IeeeMode: 1
; LDSByteSize: 0 bytes/workgroup (compile time only)
; SGPRBlocks: 0
; VGPRBlocks: 0
; NumSGPRsForWavesPerEU: 1
; NumVGPRsForWavesPerEU: 1
; Occupancy: 15
; WaveLimiterHint : 0
; COMPUTE_PGM_RSRC2:SCRATCH_EN: 0
; COMPUTE_PGM_RSRC2:USER_SGPR: 15
; COMPUTE_PGM_RSRC2:TRAP_HANDLER: 0
; COMPUTE_PGM_RSRC2:TGID_X_EN: 1
; COMPUTE_PGM_RSRC2:TGID_Y_EN: 0
; COMPUTE_PGM_RSRC2:TGID_Z_EN: 0
; COMPUTE_PGM_RSRC2:TIDIG_COMP_CNT: 0
	.section	.text._ZN7rocprim17ROCPRIM_400000_NS6detail17trampoline_kernelINS0_14default_configENS1_25partition_config_selectorILNS1_17partition_subalgoE8ElNS0_10empty_typeEbEEZZNS1_14partition_implILS5_8ELb0ES3_jPlPS6_PKS6_NS0_5tupleIJS9_S6_EEENSD_IJSA_SA_EEENS0_18inequality_wrapperIZN2at6native12_GLOBAL__N_124unique_dim_cuda_templateIbEESt5tupleIJNSH_6TensorESM_SM_EERKSM_lbbbEUlllE0_EEPmJS6_EEE10hipError_tPvRmT3_T4_T5_T6_T7_T9_mT8_P12ihipStream_tbDpT10_ENKUlT_T0_E_clISt17integral_constantIbLb0EES1C_EEDaS17_S18_EUlS17_E_NS1_11comp_targetILNS1_3genE9ELNS1_11target_archE1100ELNS1_3gpuE3ELNS1_3repE0EEENS1_30default_config_static_selectorELNS0_4arch9wavefront6targetE0EEEvT1_,"axG",@progbits,_ZN7rocprim17ROCPRIM_400000_NS6detail17trampoline_kernelINS0_14default_configENS1_25partition_config_selectorILNS1_17partition_subalgoE8ElNS0_10empty_typeEbEEZZNS1_14partition_implILS5_8ELb0ES3_jPlPS6_PKS6_NS0_5tupleIJS9_S6_EEENSD_IJSA_SA_EEENS0_18inequality_wrapperIZN2at6native12_GLOBAL__N_124unique_dim_cuda_templateIbEESt5tupleIJNSH_6TensorESM_SM_EERKSM_lbbbEUlllE0_EEPmJS6_EEE10hipError_tPvRmT3_T4_T5_T6_T7_T9_mT8_P12ihipStream_tbDpT10_ENKUlT_T0_E_clISt17integral_constantIbLb0EES1C_EEDaS17_S18_EUlS17_E_NS1_11comp_targetILNS1_3genE9ELNS1_11target_archE1100ELNS1_3gpuE3ELNS1_3repE0EEENS1_30default_config_static_selectorELNS0_4arch9wavefront6targetE0EEEvT1_,comdat
	.globl	_ZN7rocprim17ROCPRIM_400000_NS6detail17trampoline_kernelINS0_14default_configENS1_25partition_config_selectorILNS1_17partition_subalgoE8ElNS0_10empty_typeEbEEZZNS1_14partition_implILS5_8ELb0ES3_jPlPS6_PKS6_NS0_5tupleIJS9_S6_EEENSD_IJSA_SA_EEENS0_18inequality_wrapperIZN2at6native12_GLOBAL__N_124unique_dim_cuda_templateIbEESt5tupleIJNSH_6TensorESM_SM_EERKSM_lbbbEUlllE0_EEPmJS6_EEE10hipError_tPvRmT3_T4_T5_T6_T7_T9_mT8_P12ihipStream_tbDpT10_ENKUlT_T0_E_clISt17integral_constantIbLb0EES1C_EEDaS17_S18_EUlS17_E_NS1_11comp_targetILNS1_3genE9ELNS1_11target_archE1100ELNS1_3gpuE3ELNS1_3repE0EEENS1_30default_config_static_selectorELNS0_4arch9wavefront6targetE0EEEvT1_ ; -- Begin function _ZN7rocprim17ROCPRIM_400000_NS6detail17trampoline_kernelINS0_14default_configENS1_25partition_config_selectorILNS1_17partition_subalgoE8ElNS0_10empty_typeEbEEZZNS1_14partition_implILS5_8ELb0ES3_jPlPS6_PKS6_NS0_5tupleIJS9_S6_EEENSD_IJSA_SA_EEENS0_18inequality_wrapperIZN2at6native12_GLOBAL__N_124unique_dim_cuda_templateIbEESt5tupleIJNSH_6TensorESM_SM_EERKSM_lbbbEUlllE0_EEPmJS6_EEE10hipError_tPvRmT3_T4_T5_T6_T7_T9_mT8_P12ihipStream_tbDpT10_ENKUlT_T0_E_clISt17integral_constantIbLb0EES1C_EEDaS17_S18_EUlS17_E_NS1_11comp_targetILNS1_3genE9ELNS1_11target_archE1100ELNS1_3gpuE3ELNS1_3repE0EEENS1_30default_config_static_selectorELNS0_4arch9wavefront6targetE0EEEvT1_
	.p2align	8
	.type	_ZN7rocprim17ROCPRIM_400000_NS6detail17trampoline_kernelINS0_14default_configENS1_25partition_config_selectorILNS1_17partition_subalgoE8ElNS0_10empty_typeEbEEZZNS1_14partition_implILS5_8ELb0ES3_jPlPS6_PKS6_NS0_5tupleIJS9_S6_EEENSD_IJSA_SA_EEENS0_18inequality_wrapperIZN2at6native12_GLOBAL__N_124unique_dim_cuda_templateIbEESt5tupleIJNSH_6TensorESM_SM_EERKSM_lbbbEUlllE0_EEPmJS6_EEE10hipError_tPvRmT3_T4_T5_T6_T7_T9_mT8_P12ihipStream_tbDpT10_ENKUlT_T0_E_clISt17integral_constantIbLb0EES1C_EEDaS17_S18_EUlS17_E_NS1_11comp_targetILNS1_3genE9ELNS1_11target_archE1100ELNS1_3gpuE3ELNS1_3repE0EEENS1_30default_config_static_selectorELNS0_4arch9wavefront6targetE0EEEvT1_,@function
_ZN7rocprim17ROCPRIM_400000_NS6detail17trampoline_kernelINS0_14default_configENS1_25partition_config_selectorILNS1_17partition_subalgoE8ElNS0_10empty_typeEbEEZZNS1_14partition_implILS5_8ELb0ES3_jPlPS6_PKS6_NS0_5tupleIJS9_S6_EEENSD_IJSA_SA_EEENS0_18inequality_wrapperIZN2at6native12_GLOBAL__N_124unique_dim_cuda_templateIbEESt5tupleIJNSH_6TensorESM_SM_EERKSM_lbbbEUlllE0_EEPmJS6_EEE10hipError_tPvRmT3_T4_T5_T6_T7_T9_mT8_P12ihipStream_tbDpT10_ENKUlT_T0_E_clISt17integral_constantIbLb0EES1C_EEDaS17_S18_EUlS17_E_NS1_11comp_targetILNS1_3genE9ELNS1_11target_archE1100ELNS1_3gpuE3ELNS1_3repE0EEENS1_30default_config_static_selectorELNS0_4arch9wavefront6targetE0EEEvT1_: ; @_ZN7rocprim17ROCPRIM_400000_NS6detail17trampoline_kernelINS0_14default_configENS1_25partition_config_selectorILNS1_17partition_subalgoE8ElNS0_10empty_typeEbEEZZNS1_14partition_implILS5_8ELb0ES3_jPlPS6_PKS6_NS0_5tupleIJS9_S6_EEENSD_IJSA_SA_EEENS0_18inequality_wrapperIZN2at6native12_GLOBAL__N_124unique_dim_cuda_templateIbEESt5tupleIJNSH_6TensorESM_SM_EERKSM_lbbbEUlllE0_EEPmJS6_EEE10hipError_tPvRmT3_T4_T5_T6_T7_T9_mT8_P12ihipStream_tbDpT10_ENKUlT_T0_E_clISt17integral_constantIbLb0EES1C_EEDaS17_S18_EUlS17_E_NS1_11comp_targetILNS1_3genE9ELNS1_11target_archE1100ELNS1_3gpuE3ELNS1_3repE0EEENS1_30default_config_static_selectorELNS0_4arch9wavefront6targetE0EEEvT1_
; %bb.0:
	s_clause 0x3
	s_load_b128 s[4:7], s[0:1], 0x8
	s_load_b256 s[16:23], s[0:1], 0x40
	s_load_b32 s14, s[0:1], 0x70
	s_load_b128 s[8:11], s[0:1], 0x60
	s_mov_b32 s3, 0
	v_lshlrev_b32_e32 v39, 3, v0
	v_lshrrev_b32_e32 v17, 2, v0
	v_or_b32_e32 v24, 0x200, v0
	v_or_b32_e32 v22, 0x400, v0
	;; [unrolled: 1-line block ×7, first 2 shown]
	s_waitcnt lgkmcnt(0)
	s_lshl_b64 s[24:25], s[6:7], 3
	s_load_b64 s[12:13], s[18:19], 0x0
	s_add_u32 s24, s4, s24
	s_addc_u32 s5, s5, s25
	s_add_i32 s25, s14, -1
	s_lshl_b32 s14, s14, 12
	s_lshl_b32 s4, s25, 12
	s_lshl_b32 s2, s15, 12
	s_add_i32 s4, s6, s4
	s_add_u32 s18, s6, s14
	s_addc_u32 s19, s7, 0
	s_cmp_eq_u32 s15, s25
	v_cmp_ge_u64_e64 s18, s[18:19], s[20:21]
	s_cselect_b32 s14, -1, 0
	s_lshl_b64 s[2:3], s[2:3], 3
	s_delay_alu instid0(VALU_DEP_1) | instskip(NEXT) | instid1(SALU_CYCLE_1)
	s_and_b32 s19, s14, s18
	s_xor_b32 s18, s19, -1
	s_add_u32 s2, s24, s2
	s_addc_u32 s3, s5, s3
	s_and_b32 vcc_lo, exec_lo, s18
	s_mov_b32 s5, -1
	s_cbranch_vccz .LBB1057_2
; %bb.1:
	v_add_co_u32 v9, s5, s2, v39
	s_delay_alu instid0(VALU_DEP_1)
	v_add_co_ci_u32_e64 v10, null, s3, 0, s5
	global_load_b64 v[1:2], v39, s[2:3]
	v_add_co_u32 v3, vcc_lo, v9, 0x2000
	v_add_co_ci_u32_e32 v4, vcc_lo, 0, v10, vcc_lo
	v_add_co_u32 v5, vcc_lo, v9, 0x4000
	v_add_co_ci_u32_e32 v6, vcc_lo, 0, v10, vcc_lo
	;; [unrolled: 2-line block ×4, first 2 shown]
	s_clause 0x6
	global_load_b64 v[11:12], v[3:4], off offset:-4096
	global_load_b64 v[3:4], v[3:4], off
	global_load_b64 v[13:14], v[5:6], off offset:-4096
	global_load_b64 v[5:6], v[5:6], off
	;; [unrolled: 2-line block ×3, first 2 shown]
	global_load_b64 v[9:10], v[9:10], off
	v_lshrrev_b32_e32 v26, 2, v24
	v_lshrrev_b32_e32 v27, 2, v22
	;; [unrolled: 1-line block ×4, first 2 shown]
	v_and_b32_e32 v25, 0x78, v17
	v_lshrrev_b32_e32 v30, 2, v20
	v_lshrrev_b32_e32 v31, 2, v19
	;; [unrolled: 1-line block ×3, first 2 shown]
	v_and_b32_e32 v26, 0xf8, v26
	v_and_b32_e32 v27, 0x178, v27
	;; [unrolled: 1-line block ×4, first 2 shown]
	v_add_nc_u32_e32 v25, v25, v39
	v_and_b32_e32 v30, 0x2f8, v30
	v_and_b32_e32 v31, 0x378, v31
	;; [unrolled: 1-line block ×3, first 2 shown]
	v_add_nc_u32_e32 v26, v26, v39
	v_add_nc_u32_e32 v27, v27, v39
	;; [unrolled: 1-line block ×4, first 2 shown]
	s_mov_b32 s5, 0
	v_add_nc_u32_e32 v30, v30, v39
	v_add_nc_u32_e32 v31, v31, v39
	v_add_nc_u32_e32 v32, v32, v39
	s_waitcnt vmcnt(7)
	ds_store_b64 v25, v[1:2]
	s_waitcnt vmcnt(6)
	ds_store_b64 v26, v[11:12] offset:4096
	s_waitcnt vmcnt(5)
	ds_store_b64 v27, v[3:4] offset:8192
	;; [unrolled: 2-line block ×7, first 2 shown]
	s_waitcnt lgkmcnt(0)
	s_barrier
.LBB1057_2:
	s_and_not1_b32 vcc_lo, exec_lo, s5
	s_sub_i32 s20, s20, s4
	s_cbranch_vccnz .LBB1057_13
; %bb.3:
	s_mov_b32 s4, exec_lo
                                        ; implicit-def: $vgpr1_vgpr2_vgpr3_vgpr4_vgpr5_vgpr6_vgpr7_vgpr8_vgpr9_vgpr10_vgpr11_vgpr12_vgpr13_vgpr14_vgpr15_vgpr16
	v_cmpx_gt_u32_e64 s20, v0
	s_cbranch_execnz .LBB1057_23
; %bb.4:
	s_or_b32 exec_lo, exec_lo, s4
	s_delay_alu instid0(SALU_CYCLE_1)
	s_mov_b32 s4, exec_lo
	v_cmpx_gt_u32_e64 s20, v24
	s_cbranch_execnz .LBB1057_24
.LBB1057_5:
	s_or_b32 exec_lo, exec_lo, s4
	s_delay_alu instid0(SALU_CYCLE_1)
	s_mov_b32 s4, exec_lo
	v_cmpx_gt_u32_e64 s20, v22
	s_cbranch_execnz .LBB1057_25
.LBB1057_6:
	s_or_b32 exec_lo, exec_lo, s4
	s_delay_alu instid0(SALU_CYCLE_1)
	s_mov_b32 s4, exec_lo
	v_cmpx_gt_u32_e64 s20, v23
	s_cbranch_execnz .LBB1057_26
.LBB1057_7:
	s_or_b32 exec_lo, exec_lo, s4
	s_delay_alu instid0(SALU_CYCLE_1)
	s_mov_b32 s4, exec_lo
	v_cmpx_gt_u32_e64 s20, v21
	s_cbranch_execnz .LBB1057_27
.LBB1057_8:
	s_or_b32 exec_lo, exec_lo, s4
	s_delay_alu instid0(SALU_CYCLE_1)
	s_mov_b32 s4, exec_lo
	v_cmpx_gt_u32_e64 s20, v20
	s_cbranch_execnz .LBB1057_28
.LBB1057_9:
	s_or_b32 exec_lo, exec_lo, s4
	s_delay_alu instid0(SALU_CYCLE_1)
	s_mov_b32 s4, exec_lo
	v_cmpx_gt_u32_e64 s20, v19
	s_cbranch_execnz .LBB1057_29
.LBB1057_10:
	s_or_b32 exec_lo, exec_lo, s4
	s_delay_alu instid0(SALU_CYCLE_1)
	s_mov_b32 s4, exec_lo
	v_cmpx_gt_u32_e64 s20, v18
	s_cbranch_execz .LBB1057_12
.LBB1057_11:
	v_lshlrev_b32_e32 v15, 3, v18
	global_load_b64 v[15:16], v15, s[2:3]
.LBB1057_12:
	s_or_b32 exec_lo, exec_lo, s4
	v_lshrrev_b32_e32 v24, 2, v24
	v_lshrrev_b32_e32 v22, 2, v22
	;; [unrolled: 1-line block ×4, first 2 shown]
	v_and_b32_e32 v25, 0x78, v17
	v_lshrrev_b32_e32 v20, 2, v20
	v_lshrrev_b32_e32 v19, 2, v19
	;; [unrolled: 1-line block ×3, first 2 shown]
	v_and_b32_e32 v24, 0xf8, v24
	v_and_b32_e32 v22, 0x1f8, v22
	;; [unrolled: 1-line block ×4, first 2 shown]
	v_add_nc_u32_e32 v25, v25, v39
	v_and_b32_e32 v20, 0x3f8, v20
	v_and_b32_e32 v19, 0x3f8, v19
	;; [unrolled: 1-line block ×3, first 2 shown]
	v_add_nc_u32_e32 v24, v24, v39
	v_add_nc_u32_e32 v22, v22, v39
	;; [unrolled: 1-line block ×7, first 2 shown]
	s_waitcnt vmcnt(0)
	ds_store_b64 v25, v[1:2]
	ds_store_b64 v24, v[3:4] offset:4096
	ds_store_b64 v22, v[5:6] offset:8192
	;; [unrolled: 1-line block ×7, first 2 shown]
	s_waitcnt lgkmcnt(0)
	s_barrier
.LBB1057_13:
	v_add_lshl_u32 v1, v17, v39, 3
	s_waitcnt lgkmcnt(0)
	buffer_gl0_inv
	s_cmp_lg_u32 s15, 0
	v_cmp_lt_i64_e64 s24, s[22:23], 1
	s_cselect_b32 s21, -1, 0
	ds_load_2addr_b64 v[13:16], v1 offset1:1
	ds_load_2addr_b64 v[9:12], v1 offset0:2 offset1:3
	ds_load_2addr_b64 v[5:8], v1 offset0:4 offset1:5
	;; [unrolled: 1-line block ×3, first 2 shown]
	s_cmp_lg_u64 s[6:7], 0
	v_cmp_gt_i64_e64 s7, s[22:23], 0
	s_cselect_b32 s4, -1, 0
	s_mov_b32 s6, 0
	s_or_b32 s4, s21, s4
	s_waitcnt lgkmcnt(0)
	s_and_b32 vcc_lo, exec_lo, s4
	s_barrier
	buffer_gl0_inv
	s_cbranch_vccz .LBB1057_22
; %bb.14:
	s_add_u32 s2, s2, -8
	s_addc_u32 s3, s3, -1
	s_and_b32 vcc_lo, exec_lo, s18
	s_load_b64 s[4:5], s[2:3], 0x0
	ds_store_b64 v39, v[3:4]
	s_cbranch_vccz .LBB1057_30
; %bb.15:
	v_cndmask_b32_e64 v26, 0, 1, s7
	s_and_not1_b32 vcc_lo, exec_lo, s7
	s_cbranch_vccnz .LBB1057_31
; %bb.16:
	v_mad_u64_u32 v[17:18], null, v1, s22, s[8:9]
	v_mul_lo_u32 v21, v1, s23
	v_mul_lo_u32 v22, v2, s22
	v_mad_u64_u32 v[19:20], null, v3, s22, s[8:9]
	v_mul_lo_u32 v23, v3, s23
	v_mul_lo_u32 v24, v4, s22
	s_mov_b32 s27, 0
	s_mov_b32 s25, -1
	s_delay_alu instid0(VALU_DEP_4) | instskip(NEXT) | instid1(VALU_DEP_2)
	v_add3_u32 v18, v22, v18, v21
	v_add3_u32 v20, v24, v20, v23
	s_clause 0x1
	global_load_u8 v21, v[17:18], off
	global_load_u8 v22, v[19:20], off
	s_waitcnt vmcnt(1)
	v_cmp_ne_u16_e32 vcc_lo, 0, v21
	s_waitcnt vmcnt(0)
	v_cmp_ne_u16_e64 s2, 0, v22
	s_delay_alu instid0(VALU_DEP_1) | instskip(NEXT) | instid1(SALU_CYCLE_1)
	s_xor_b32 s2, vcc_lo, s2
	s_xor_b32 s2, s2, -1
	s_delay_alu instid0(SALU_CYCLE_1)
	s_and_saveexec_b32 s26, s2
	s_cbranch_execz .LBB1057_33
; %bb.17:
	s_mov_b64 s[6:7], 1
                                        ; implicit-def: $sgpr25
	s_set_inst_prefetch_distance 0x1
	s_branch .LBB1057_20
	.p2align	6
.LBB1057_18:                            ;   in Loop: Header=BB1057_20 Depth=1
	v_add_co_u32 v21, s2, v17, s6
	s_delay_alu instid0(VALU_DEP_1) | instskip(SKIP_1) | instid1(VALU_DEP_1)
	v_add_co_ci_u32_e64 v22, s2, s7, v18, s2
	v_add_co_u32 v23, s2, v19, s6
	v_add_co_ci_u32_e64 v24, s2, s7, v20, s2
	s_clause 0x1
	global_load_u8 v21, v[21:22], off
	global_load_u8 v22, v[23:24], off
	s_waitcnt vmcnt(1)
	v_cmp_ne_u16_e64 s2, 0, v21
	s_waitcnt vmcnt(0)
	v_cmp_ne_u16_e64 s3, 0, v22
	s_delay_alu instid0(VALU_DEP_1) | instskip(SKIP_4) | instid1(SALU_CYCLE_1)
	s_xor_b32 s28, s2, s3
	s_add_u32 s2, s6, 1
	s_addc_u32 s3, s7, 0
	s_and_not1_b32 s25, s25, exec_lo
	s_and_b32 s28, s28, exec_lo
	s_or_b32 s25, s25, s28
.LBB1057_19:                            ;   in Loop: Header=BB1057_20 Depth=1
	v_dual_mov_b32 v22, s7 :: v_dual_mov_b32 v21, s6
	s_and_b32 s28, exec_lo, s25
	s_mov_b64 s[6:7], s[2:3]
	s_or_b32 s27, s28, s27
	s_delay_alu instid0(SALU_CYCLE_1)
	s_and_not1_b32 exec_lo, exec_lo, s27
	s_cbranch_execz .LBB1057_32
.LBB1057_20:                            ; =>This Inner Loop Header: Depth=1
	s_or_b32 s25, s25, exec_lo
	s_cmp_eq_u64 s[22:23], s[6:7]
	s_cbranch_scc0 .LBB1057_18
; %bb.21:                               ;   in Loop: Header=BB1057_20 Depth=1
	s_mov_b64 s[6:7], s[22:23]
                                        ; implicit-def: $sgpr2_sgpr3
	s_branch .LBB1057_19
.LBB1057_22:
                                        ; implicit-def: $sgpr2
                                        ; implicit-def: $vgpr18
	s_branch .LBB1057_174
.LBB1057_23:
	global_load_b64 v[1:2], v39, s[2:3]
	s_or_b32 exec_lo, exec_lo, s4
	s_delay_alu instid0(SALU_CYCLE_1)
	s_mov_b32 s4, exec_lo
	v_cmpx_gt_u32_e64 s20, v24
	s_cbranch_execz .LBB1057_5
.LBB1057_24:
	v_lshlrev_b32_e32 v3, 3, v24
	global_load_b64 v[3:4], v3, s[2:3]
	s_or_b32 exec_lo, exec_lo, s4
	s_delay_alu instid0(SALU_CYCLE_1)
	s_mov_b32 s4, exec_lo
	v_cmpx_gt_u32_e64 s20, v22
	s_cbranch_execz .LBB1057_6
.LBB1057_25:
	v_lshlrev_b32_e32 v5, 3, v22
	global_load_b64 v[5:6], v5, s[2:3]
	s_or_b32 exec_lo, exec_lo, s4
	s_delay_alu instid0(SALU_CYCLE_1)
	s_mov_b32 s4, exec_lo
	v_cmpx_gt_u32_e64 s20, v23
	s_cbranch_execz .LBB1057_7
.LBB1057_26:
	v_lshlrev_b32_e32 v7, 3, v23
	global_load_b64 v[7:8], v7, s[2:3]
	s_or_b32 exec_lo, exec_lo, s4
	s_delay_alu instid0(SALU_CYCLE_1)
	s_mov_b32 s4, exec_lo
	v_cmpx_gt_u32_e64 s20, v21
	s_cbranch_execz .LBB1057_8
.LBB1057_27:
	v_lshlrev_b32_e32 v9, 3, v21
	global_load_b64 v[9:10], v9, s[2:3]
	s_or_b32 exec_lo, exec_lo, s4
	s_delay_alu instid0(SALU_CYCLE_1)
	s_mov_b32 s4, exec_lo
	v_cmpx_gt_u32_e64 s20, v20
	s_cbranch_execz .LBB1057_9
.LBB1057_28:
	v_lshlrev_b32_e32 v11, 3, v20
	global_load_b64 v[11:12], v11, s[2:3]
	s_or_b32 exec_lo, exec_lo, s4
	s_delay_alu instid0(SALU_CYCLE_1)
	s_mov_b32 s4, exec_lo
	v_cmpx_gt_u32_e64 s20, v19
	s_cbranch_execz .LBB1057_10
.LBB1057_29:
	v_lshlrev_b32_e32 v13, 3, v19
	global_load_b64 v[13:14], v13, s[2:3]
	s_or_b32 exec_lo, exec_lo, s4
	s_delay_alu instid0(SALU_CYCLE_1)
	s_mov_b32 s4, exec_lo
	v_cmpx_gt_u32_e64 s20, v18
	s_cbranch_execnz .LBB1057_11
	s_branch .LBB1057_12
.LBB1057_30:
                                        ; implicit-def: $sgpr2
                                        ; implicit-def: $vgpr18
	s_cbranch_execnz .LBB1057_98
	s_branch .LBB1057_173
.LBB1057_31:
	v_mov_b32_e32 v17, 0
	s_mov_b32 s2, 0
	s_branch .LBB1057_41
.LBB1057_32:
	s_set_inst_prefetch_distance 0x2
	s_or_b32 exec_lo, exec_lo, s27
	v_cmp_gt_i64_e64 s2, s[22:23], v[21:22]
	s_delay_alu instid0(VALU_DEP_1)
	s_or_not1_b32 s25, s2, exec_lo
.LBB1057_33:
	s_or_b32 exec_lo, exec_lo, s26
	v_mad_u64_u32 v[19:20], null, v7, s22, s[8:9]
	v_mul_lo_u32 v21, v7, s23
	v_mul_lo_u32 v22, v8, s22
	s_mov_b32 s27, 0
	s_delay_alu instid0(VALU_DEP_1) | instskip(SKIP_3) | instid1(VALU_DEP_1)
	v_add3_u32 v20, v22, v20, v21
	global_load_u8 v21, v[19:20], off
	s_waitcnt vmcnt(0)
	v_cmp_ne_u16_e64 s2, 0, v21
	s_xor_b32 s3, vcc_lo, s2
	s_mov_b32 s2, -1
	s_xor_b32 s3, s3, -1
	s_delay_alu instid0(SALU_CYCLE_1)
	s_and_saveexec_b32 s26, s3
	s_cbranch_execz .LBB1057_40
; %bb.34:
	s_mov_b64 s[6:7], 1
                                        ; implicit-def: $sgpr28
	s_set_inst_prefetch_distance 0x1
	s_branch .LBB1057_37
	.p2align	6
.LBB1057_35:                            ;   in Loop: Header=BB1057_37 Depth=1
	v_add_co_u32 v21, vcc_lo, v19, s6
	v_add_co_ci_u32_e32 v22, vcc_lo, s7, v20, vcc_lo
	v_add_co_u32 v23, vcc_lo, v17, s6
	v_add_co_ci_u32_e32 v24, vcc_lo, s7, v18, vcc_lo
	s_clause 0x1
	global_load_u8 v21, v[21:22], off
	global_load_u8 v22, v[23:24], off
	s_waitcnt vmcnt(1)
	v_cmp_ne_u16_e32 vcc_lo, 0, v21
	s_waitcnt vmcnt(0)
	v_cmp_ne_u16_e64 s2, 0, v22
	s_delay_alu instid0(VALU_DEP_1) | instskip(SKIP_4) | instid1(SALU_CYCLE_1)
	s_xor_b32 s29, vcc_lo, s2
	s_add_u32 s2, s6, 1
	s_addc_u32 s3, s7, 0
	s_and_not1_b32 s28, s28, exec_lo
	s_and_b32 s29, s29, exec_lo
	s_or_b32 s28, s28, s29
.LBB1057_36:                            ;   in Loop: Header=BB1057_37 Depth=1
	v_dual_mov_b32 v22, s7 :: v_dual_mov_b32 v21, s6
	s_and_b32 s29, exec_lo, s28
	s_mov_b64 s[6:7], s[2:3]
	s_or_b32 s27, s29, s27
	s_delay_alu instid0(SALU_CYCLE_1)
	s_and_not1_b32 exec_lo, exec_lo, s27
	s_cbranch_execz .LBB1057_39
.LBB1057_37:                            ; =>This Inner Loop Header: Depth=1
	s_or_b32 s28, s28, exec_lo
	s_cmp_eq_u64 s[22:23], s[6:7]
	s_cbranch_scc0 .LBB1057_35
; %bb.38:                               ;   in Loop: Header=BB1057_37 Depth=1
	s_mov_b64 s[6:7], s[22:23]
                                        ; implicit-def: $sgpr2_sgpr3
	s_branch .LBB1057_36
.LBB1057_39:
	s_set_inst_prefetch_distance 0x2
	s_or_b32 exec_lo, exec_lo, s27
	v_cmp_gt_i64_e32 vcc_lo, s[22:23], v[21:22]
	s_or_not1_b32 s2, vcc_lo, exec_lo
.LBB1057_40:
	s_or_b32 exec_lo, exec_lo, s26
	v_cndmask_b32_e64 v17, 0, 1, s25
.LBB1057_41:
	v_and_b32_e32 v18, 0xff, v0
	v_lshlrev_b16 v19, 8, v0
	v_and_b32_e32 v20, 0xff, v0
	v_lshlrev_b16 v21, 8, v0
	;; [unrolled: 2-line block ×3, first 2 shown]
	v_lshlrev_b16 v17, 8, v17
	v_cndmask_b32_e64 v24, 0, 1, s2
	v_or_b32_e32 v18, v18, v19
	v_or_b32_e32 v19, v20, v21
	;; [unrolled: 1-line block ×3, first 2 shown]
	v_cmp_ne_u32_e32 vcc_lo, 1, v26
	v_or_b32_e32 v17, v24, v17
	v_and_b32_e32 v18, 0xffff, v18
	v_lshlrev_b32_e32 v19, 16, v19
	v_and_b32_e32 v20, 0xffff, v20
	s_delay_alu instid0(VALU_DEP_4) | instskip(NEXT) | instid1(VALU_DEP_3)
	v_lshlrev_b32_e32 v17, 16, v17
	v_or_b32_e32 v27, v18, v19
	s_delay_alu instid0(VALU_DEP_2)
	v_or_b32_e32 v24, v20, v17
	s_cbranch_vccnz .LBB1057_48
; %bb.42:
	v_mad_u64_u32 v[17:18], null, v5, s22, s[8:9]
	v_mul_lo_u32 v21, v5, s23
	v_mul_lo_u32 v22, v6, s22
	v_mad_u64_u32 v[19:20], null, v7, s22, s[8:9]
	v_mul_lo_u32 v23, v7, s23
	v_mul_lo_u32 v25, v8, s22
	s_mov_b32 s26, 0
	s_delay_alu instid0(VALU_DEP_4) | instskip(NEXT) | instid1(VALU_DEP_2)
	v_add3_u32 v18, v22, v18, v21
	v_add3_u32 v20, v25, v20, v23
	s_clause 0x1
	global_load_u8 v21, v[17:18], off
	global_load_u8 v22, v[19:20], off
	s_waitcnt vmcnt(1)
	v_cmp_ne_u16_e32 vcc_lo, 0, v21
	s_waitcnt vmcnt(0)
	v_cmp_ne_u16_e64 s2, 0, v22
	s_delay_alu instid0(VALU_DEP_1) | instskip(SKIP_2) | instid1(SALU_CYCLE_1)
	s_xor_b32 s3, vcc_lo, s2
	s_mov_b32 s2, -1
	s_xor_b32 s3, s3, -1
	s_and_saveexec_b32 s25, s3
	s_cbranch_execz .LBB1057_50
; %bb.43:
	s_mov_b64 s[6:7], 1
                                        ; implicit-def: $sgpr27
	s_set_inst_prefetch_distance 0x1
	s_branch .LBB1057_46
	.p2align	6
.LBB1057_44:                            ;   in Loop: Header=BB1057_46 Depth=1
	v_add_co_u32 v21, s2, v17, s6
	s_delay_alu instid0(VALU_DEP_1) | instskip(SKIP_1) | instid1(VALU_DEP_1)
	v_add_co_ci_u32_e64 v22, s2, s7, v18, s2
	v_add_co_u32 v28, s2, v19, s6
	v_add_co_ci_u32_e64 v29, s2, s7, v20, s2
	s_clause 0x1
	global_load_u8 v21, v[21:22], off
	global_load_u8 v22, v[28:29], off
	s_waitcnt vmcnt(1)
	v_cmp_ne_u16_e64 s2, 0, v21
	s_waitcnt vmcnt(0)
	v_cmp_ne_u16_e64 s3, 0, v22
	s_delay_alu instid0(VALU_DEP_1) | instskip(SKIP_4) | instid1(SALU_CYCLE_1)
	s_xor_b32 s28, s2, s3
	s_add_u32 s2, s6, 1
	s_addc_u32 s3, s7, 0
	s_and_not1_b32 s27, s27, exec_lo
	s_and_b32 s28, s28, exec_lo
	s_or_b32 s27, s27, s28
.LBB1057_45:                            ;   in Loop: Header=BB1057_46 Depth=1
	v_dual_mov_b32 v22, s7 :: v_dual_mov_b32 v21, s6
	s_and_b32 s28, exec_lo, s27
	s_mov_b64 s[6:7], s[2:3]
	s_or_b32 s26, s28, s26
	s_delay_alu instid0(SALU_CYCLE_1)
	s_and_not1_b32 exec_lo, exec_lo, s26
	s_cbranch_execz .LBB1057_49
.LBB1057_46:                            ; =>This Inner Loop Header: Depth=1
	s_or_b32 s27, s27, exec_lo
	s_cmp_eq_u64 s[22:23], s[6:7]
	s_cbranch_scc0 .LBB1057_44
; %bb.47:                               ;   in Loop: Header=BB1057_46 Depth=1
	s_mov_b64 s[6:7], s[22:23]
                                        ; implicit-def: $sgpr2_sgpr3
	s_branch .LBB1057_45
.LBB1057_48:
                                        ; implicit-def: $sgpr2
                                        ; implicit-def: $vgpr18_vgpr19
	s_cbranch_execnz .LBB1057_58
	s_branch .LBB1057_59
.LBB1057_49:
	s_set_inst_prefetch_distance 0x2
	s_or_b32 exec_lo, exec_lo, s26
	v_cmp_gt_i64_e64 s2, s[22:23], v[21:22]
	s_delay_alu instid0(VALU_DEP_1)
	s_or_not1_b32 s2, s2, exec_lo
.LBB1057_50:
	s_or_b32 exec_lo, exec_lo, s25
	v_mad_u64_u32 v[20:21], null, v11, s22, s[8:9]
	v_mul_lo_u32 v19, v11, s23
	v_mul_lo_u32 v22, v12, s22
	v_and_b32_e32 v23, 0xff, v24
	s_mov_b32 s25, 0
	s_delay_alu instid0(VALU_DEP_2) | instskip(SKIP_3) | instid1(VALU_DEP_1)
	v_add3_u32 v21, v22, v21, v19
	v_cndmask_b32_e64 v22, 0, 1, s2
	global_load_u8 v19, v[20:21], off
	v_lshlrev_b16 v22, 8, v22
	v_or_b32_e32 v22, v23, v22
	s_delay_alu instid0(VALU_DEP_1) | instskip(SKIP_2) | instid1(VALU_DEP_2)
	v_and_b32_e32 v22, 0xffff, v22
	s_waitcnt vmcnt(0)
	v_cmp_ne_u16_e64 s2, 0, v19
	v_and_or_b32 v19, 0xffff0000, v24, v22
	s_delay_alu instid0(VALU_DEP_2) | instskip(SKIP_2) | instid1(SALU_CYCLE_1)
	s_xor_b32 s3, vcc_lo, s2
	s_mov_b32 s2, -1
	s_xor_b32 s3, s3, -1
	s_and_saveexec_b32 s26, s3
	s_cbranch_execz .LBB1057_57
; %bb.51:
	s_mov_b64 s[6:7], 1
	s_mov_b32 s27, 0
                                        ; implicit-def: $sgpr28
	s_set_inst_prefetch_distance 0x1
	s_branch .LBB1057_54
	.p2align	6
.LBB1057_52:                            ;   in Loop: Header=BB1057_54 Depth=1
	v_add_co_u32 v22, vcc_lo, v20, s6
	v_add_co_ci_u32_e32 v23, vcc_lo, s7, v21, vcc_lo
	v_add_co_u32 v28, vcc_lo, v17, s6
	v_add_co_ci_u32_e32 v29, vcc_lo, s7, v18, vcc_lo
	s_clause 0x1
	global_load_u8 v22, v[22:23], off
	global_load_u8 v23, v[28:29], off
	s_waitcnt vmcnt(1)
	v_cmp_ne_u16_e32 vcc_lo, 0, v22
	s_waitcnt vmcnt(0)
	v_cmp_ne_u16_e64 s2, 0, v23
	s_delay_alu instid0(VALU_DEP_1) | instskip(SKIP_4) | instid1(SALU_CYCLE_1)
	s_xor_b32 s29, vcc_lo, s2
	s_add_u32 s2, s6, 1
	s_addc_u32 s3, s7, 0
	s_and_not1_b32 s28, s28, exec_lo
	s_and_b32 s29, s29, exec_lo
	s_or_b32 s28, s28, s29
.LBB1057_53:                            ;   in Loop: Header=BB1057_54 Depth=1
	v_dual_mov_b32 v23, s7 :: v_dual_mov_b32 v22, s6
	s_and_b32 s29, exec_lo, s28
	s_mov_b64 s[6:7], s[2:3]
	s_or_b32 s27, s29, s27
	s_delay_alu instid0(SALU_CYCLE_1)
	s_and_not1_b32 exec_lo, exec_lo, s27
	s_cbranch_execz .LBB1057_56
.LBB1057_54:                            ; =>This Inner Loop Header: Depth=1
	s_or_b32 s28, s28, exec_lo
	s_cmp_eq_u64 s[22:23], s[6:7]
	s_cbranch_scc0 .LBB1057_52
; %bb.55:                               ;   in Loop: Header=BB1057_54 Depth=1
	s_mov_b64 s[6:7], s[22:23]
                                        ; implicit-def: $sgpr2_sgpr3
	s_branch .LBB1057_53
.LBB1057_56:
	s_set_inst_prefetch_distance 0x2
	s_or_b32 exec_lo, exec_lo, s27
	v_cmp_gt_i64_e32 vcc_lo, s[22:23], v[22:23]
	s_or_not1_b32 s2, vcc_lo, exec_lo
.LBB1057_57:
	s_or_b32 exec_lo, exec_lo, s26
	s_delay_alu instid0(SALU_CYCLE_1)
	s_and_b32 vcc_lo, exec_lo, s25
	s_cbranch_vccz .LBB1057_59
.LBB1057_58:
	s_delay_alu instid0(VALU_DEP_1)
	v_and_b32_e32 v19, 0xffff00ff, v24
	s_and_not1_b32 s2, s2, exec_lo
.LBB1057_59:
	s_delay_alu instid0(VALU_DEP_1) | instskip(SKIP_2) | instid1(VALU_DEP_2)
	v_and_b32_e32 v17, 0xffffff00, v19
	v_cndmask_b32_e64 v18, 0, 1, s2
	v_cmp_ne_u32_e32 vcc_lo, 1, v26
	v_or_b32_e32 v17, v18, v17
	s_delay_alu instid0(VALU_DEP_1) | instskip(NEXT) | instid1(VALU_DEP_1)
	v_and_b32_e32 v17, 0xffff, v17
	v_and_or_b32 v18, 0xffff0000, v19, v17
	s_cbranch_vccnz .LBB1057_66
; %bb.60:
	v_mad_u64_u32 v[20:21], null, v9, s22, s[8:9]
	v_mul_lo_u32 v17, v9, s23
	v_mul_lo_u32 v19, v10, s22
	v_mad_u64_u32 v[22:23], null, v11, s22, s[8:9]
	v_mul_lo_u32 v24, v11, s23
	v_mul_lo_u32 v25, v12, s22
	s_delay_alu instid0(VALU_DEP_4) | instskip(NEXT) | instid1(VALU_DEP_2)
	v_add3_u32 v21, v19, v21, v17
	v_add3_u32 v23, v25, v23, v24
	s_clause 0x1
	global_load_u8 v17, v[20:21], off
	global_load_u8 v19, v[22:23], off
	s_waitcnt vmcnt(1)
	v_cmp_ne_u16_e32 vcc_lo, 0, v17
	s_waitcnt vmcnt(0)
	v_cmp_ne_u16_e64 s2, 0, v19
	s_delay_alu instid0(VALU_DEP_1) | instskip(SKIP_2) | instid1(SALU_CYCLE_1)
	s_xor_b32 s3, vcc_lo, s2
	s_mov_b32 s2, -1
	s_xor_b32 s3, s3, -1
	s_and_saveexec_b32 s25, s3
	s_cbranch_execz .LBB1057_68
; %bb.61:
	s_mov_b64 s[6:7], 1
	s_mov_b32 s26, 0
                                        ; implicit-def: $sgpr27
	s_set_inst_prefetch_distance 0x1
	s_branch .LBB1057_64
	.p2align	6
.LBB1057_62:                            ;   in Loop: Header=BB1057_64 Depth=1
	v_add_co_u32 v24, s2, v20, s6
	s_delay_alu instid0(VALU_DEP_1) | instskip(SKIP_1) | instid1(VALU_DEP_1)
	v_add_co_ci_u32_e64 v25, s2, s7, v21, s2
	v_add_co_u32 v28, s2, v22, s6
	v_add_co_ci_u32_e64 v29, s2, s7, v23, s2
	s_clause 0x1
	global_load_u8 v17, v[24:25], off
	global_load_u8 v19, v[28:29], off
	s_waitcnt vmcnt(1)
	v_cmp_ne_u16_e64 s2, 0, v17
	s_waitcnt vmcnt(0)
	v_cmp_ne_u16_e64 s3, 0, v19
	s_delay_alu instid0(VALU_DEP_1) | instskip(SKIP_4) | instid1(SALU_CYCLE_1)
	s_xor_b32 s28, s2, s3
	s_add_u32 s2, s6, 1
	s_addc_u32 s3, s7, 0
	s_and_not1_b32 s27, s27, exec_lo
	s_and_b32 s28, s28, exec_lo
	s_or_b32 s27, s27, s28
.LBB1057_63:                            ;   in Loop: Header=BB1057_64 Depth=1
	v_dual_mov_b32 v25, s7 :: v_dual_mov_b32 v24, s6
	s_and_b32 s28, exec_lo, s27
	s_mov_b64 s[6:7], s[2:3]
	s_or_b32 s26, s28, s26
	s_delay_alu instid0(SALU_CYCLE_1)
	s_and_not1_b32 exec_lo, exec_lo, s26
	s_cbranch_execz .LBB1057_67
.LBB1057_64:                            ; =>This Inner Loop Header: Depth=1
	s_or_b32 s27, s27, exec_lo
	s_cmp_eq_u64 s[22:23], s[6:7]
	s_cbranch_scc0 .LBB1057_62
; %bb.65:                               ;   in Loop: Header=BB1057_64 Depth=1
	s_mov_b64 s[6:7], s[22:23]
                                        ; implicit-def: $sgpr2_sgpr3
	s_branch .LBB1057_63
.LBB1057_66:
                                        ; implicit-def: $sgpr25
                                        ; implicit-def: $vgpr19_vgpr20
	s_cbranch_execnz .LBB1057_76
	s_branch .LBB1057_77
.LBB1057_67:
	s_set_inst_prefetch_distance 0x2
	s_or_b32 exec_lo, exec_lo, s26
	v_cmp_gt_i64_e64 s2, s[22:23], v[24:25]
	s_delay_alu instid0(VALU_DEP_1)
	s_or_not1_b32 s2, s2, exec_lo
.LBB1057_68:
	s_or_b32 exec_lo, exec_lo, s25
	v_mad_u64_u32 v[22:23], null, v15, s22, s[8:9]
	v_mul_lo_u32 v17, v15, s23
	v_mul_lo_u32 v19, v16, s22
	v_cndmask_b32_e64 v24, 0, 1, s2
	s_mov_b32 s26, 0
	s_mov_b32 s25, -1
	s_delay_alu instid0(VALU_DEP_1) | instskip(NEXT) | instid1(VALU_DEP_3)
	v_lshlrev_b16 v24, 8, v24
	v_add3_u32 v23, v19, v23, v17
	v_lshrrev_b32_e32 v19, 16, v27
	global_load_u8 v17, v[22:23], off
	v_and_b32_e32 v19, 0xff, v19
	s_delay_alu instid0(VALU_DEP_1) | instskip(NEXT) | instid1(VALU_DEP_1)
	v_or_b32_e32 v19, v19, v24
	v_lshlrev_b32_e32 v19, 16, v19
	s_delay_alu instid0(VALU_DEP_1) | instskip(SKIP_2) | instid1(VALU_DEP_1)
	v_and_or_b32 v19, 0xffff, v27, v19
	s_waitcnt vmcnt(0)
	v_cmp_ne_u16_e64 s2, 0, v17
	s_xor_b32 s2, vcc_lo, s2
	s_delay_alu instid0(SALU_CYCLE_1) | instskip(NEXT) | instid1(SALU_CYCLE_1)
	s_xor_b32 s2, s2, -1
	s_and_saveexec_b32 s27, s2
	s_cbranch_execz .LBB1057_75
; %bb.69:
	s_mov_b64 s[6:7], 1
	s_mov_b32 s25, 0
                                        ; implicit-def: $sgpr28
	s_set_inst_prefetch_distance 0x1
	s_branch .LBB1057_72
	.p2align	6
.LBB1057_70:                            ;   in Loop: Header=BB1057_72 Depth=1
	v_add_co_u32 v24, vcc_lo, v22, s6
	v_add_co_ci_u32_e32 v25, vcc_lo, s7, v23, vcc_lo
	v_add_co_u32 v28, vcc_lo, v20, s6
	v_add_co_ci_u32_e32 v29, vcc_lo, s7, v21, vcc_lo
	s_clause 0x1
	global_load_u8 v17, v[24:25], off
	global_load_u8 v24, v[28:29], off
	s_waitcnt vmcnt(1)
	v_cmp_ne_u16_e32 vcc_lo, 0, v17
	s_waitcnt vmcnt(0)
	v_cmp_ne_u16_e64 s2, 0, v24
	s_delay_alu instid0(VALU_DEP_1) | instskip(SKIP_4) | instid1(SALU_CYCLE_1)
	s_xor_b32 s29, vcc_lo, s2
	s_add_u32 s2, s6, 1
	s_addc_u32 s3, s7, 0
	s_and_not1_b32 s28, s28, exec_lo
	s_and_b32 s29, s29, exec_lo
	s_or_b32 s28, s28, s29
.LBB1057_71:                            ;   in Loop: Header=BB1057_72 Depth=1
	v_dual_mov_b32 v25, s7 :: v_dual_mov_b32 v24, s6
	s_and_b32 s29, exec_lo, s28
	s_mov_b64 s[6:7], s[2:3]
	s_or_b32 s25, s29, s25
	s_delay_alu instid0(SALU_CYCLE_1)
	s_and_not1_b32 exec_lo, exec_lo, s25
	s_cbranch_execz .LBB1057_74
.LBB1057_72:                            ; =>This Inner Loop Header: Depth=1
	s_or_b32 s28, s28, exec_lo
	s_cmp_eq_u64 s[22:23], s[6:7]
	s_cbranch_scc0 .LBB1057_70
; %bb.73:                               ;   in Loop: Header=BB1057_72 Depth=1
	s_mov_b64 s[6:7], s[22:23]
                                        ; implicit-def: $sgpr2_sgpr3
	s_branch .LBB1057_71
.LBB1057_74:
	s_set_inst_prefetch_distance 0x2
	s_or_b32 exec_lo, exec_lo, s25
	v_cmp_gt_i64_e32 vcc_lo, s[22:23], v[24:25]
	s_or_not1_b32 s25, vcc_lo, exec_lo
.LBB1057_75:
	s_or_b32 exec_lo, exec_lo, s27
	s_delay_alu instid0(SALU_CYCLE_1)
	s_and_b32 vcc_lo, exec_lo, s26
	s_cbranch_vccz .LBB1057_77
.LBB1057_76:
	v_and_b32_e32 v19, 0xffffff, v27
	s_and_not1_b32 s25, s25, exec_lo
.LBB1057_77:
	v_cmp_ne_u32_e32 vcc_lo, 1, v26
	s_mov_b32 s2, 0
	s_cbranch_vccnz .LBB1057_86
; %bb.78:
	v_mad_u64_u32 v[20:21], null, v13, s22, s[8:9]
	v_mul_lo_u32 v17, v13, s23
	v_mul_lo_u32 v24, v14, s22
	v_mad_u64_u32 v[22:23], null, v15, s22, s[8:9]
	v_mul_lo_u32 v25, v15, s23
	v_mul_lo_u32 v27, v16, s22
	s_mov_b32 s27, 0
	s_delay_alu instid0(VALU_DEP_4) | instskip(NEXT) | instid1(VALU_DEP_2)
	v_add3_u32 v21, v24, v21, v17
	v_add3_u32 v23, v27, v23, v25
	s_clause 0x1
	global_load_u8 v17, v[20:21], off
	global_load_u8 v24, v[22:23], off
	s_waitcnt vmcnt(1)
	v_cmp_ne_u16_e32 vcc_lo, 0, v17
	s_waitcnt vmcnt(0)
	v_cmp_ne_u16_e64 s2, 0, v24
	s_delay_alu instid0(VALU_DEP_1) | instskip(SKIP_2) | instid1(SALU_CYCLE_1)
	s_xor_b32 s3, vcc_lo, s2
	s_mov_b32 s2, -1
	s_xor_b32 s3, s3, -1
	s_and_saveexec_b32 s26, s3
	s_cbranch_execz .LBB1057_85
; %bb.79:
	s_mov_b64 s[6:7], 1
                                        ; implicit-def: $sgpr28
	s_set_inst_prefetch_distance 0x1
	s_branch .LBB1057_82
	.p2align	6
.LBB1057_80:                            ;   in Loop: Header=BB1057_82 Depth=1
	v_add_co_u32 v24, vcc_lo, v20, s6
	v_add_co_ci_u32_e32 v25, vcc_lo, s7, v21, vcc_lo
	v_add_co_u32 v27, vcc_lo, v22, s6
	v_add_co_ci_u32_e32 v28, vcc_lo, s7, v23, vcc_lo
	s_clause 0x1
	global_load_u8 v17, v[24:25], off
	global_load_u8 v24, v[27:28], off
	s_waitcnt vmcnt(1)
	v_cmp_ne_u16_e32 vcc_lo, 0, v17
	s_waitcnt vmcnt(0)
	v_cmp_ne_u16_e64 s2, 0, v24
	s_delay_alu instid0(VALU_DEP_1) | instskip(SKIP_4) | instid1(SALU_CYCLE_1)
	s_xor_b32 s29, vcc_lo, s2
	s_add_u32 s2, s6, 1
	s_addc_u32 s3, s7, 0
	s_and_not1_b32 s28, s28, exec_lo
	s_and_b32 s29, s29, exec_lo
	s_or_b32 s28, s28, s29
.LBB1057_81:                            ;   in Loop: Header=BB1057_82 Depth=1
	v_dual_mov_b32 v25, s7 :: v_dual_mov_b32 v24, s6
	s_and_b32 s29, exec_lo, s28
	s_mov_b64 s[6:7], s[2:3]
	s_or_b32 s27, s29, s27
	s_delay_alu instid0(SALU_CYCLE_1)
	s_and_not1_b32 exec_lo, exec_lo, s27
	s_cbranch_execz .LBB1057_84
.LBB1057_82:                            ; =>This Inner Loop Header: Depth=1
	s_or_b32 s28, s28, exec_lo
	s_cmp_eq_u64 s[22:23], s[6:7]
	s_cbranch_scc0 .LBB1057_80
; %bb.83:                               ;   in Loop: Header=BB1057_82 Depth=1
	s_mov_b64 s[6:7], s[22:23]
                                        ; implicit-def: $sgpr2_sgpr3
	s_branch .LBB1057_81
.LBB1057_84:
	s_set_inst_prefetch_distance 0x2
	s_or_b32 exec_lo, exec_lo, s27
	v_cmp_gt_i64_e32 vcc_lo, s[22:23], v[24:25]
	s_or_not1_b32 s2, vcc_lo, exec_lo
.LBB1057_85:
	s_or_b32 exec_lo, exec_lo, s26
.LBB1057_86:
	s_waitcnt lgkmcnt(0)
	v_dual_mov_b32 v22, s5 :: v_dual_mov_b32 v21, s4
	s_mov_b32 s3, exec_lo
	s_barrier
	buffer_gl0_inv
	v_cmpx_ne_u32_e32 0, v0
	s_cbranch_execz .LBB1057_88
; %bb.87:
	v_add_nc_u32_e32 v17, -8, v39
	ds_load_b64 v[21:22], v17
.LBB1057_88:
	s_or_b32 exec_lo, exec_lo, s3
	v_cndmask_b32_e64 v17, 0, 1, s2
	v_lshrrev_b32_e32 v20, 24, v19
	v_cndmask_b32_e64 v23, 0, 1, s25
	v_and_b32_e32 v19, 0xff, v19
	v_cmp_ne_u32_e32 vcc_lo, 1, v26
	v_lshlrev_b16 v17, 8, v17
	v_lshlrev_b16 v20, 8, v20
	s_mov_b32 s25, 0
	s_mov_b32 s2, 0
	s_and_b32 vcc_lo, exec_lo, vcc_lo
	v_or_b32_e32 v17, v19, v17
	v_or_b32_e32 v19, v23, v20
	s_delay_alu instid0(VALU_DEP_2) | instskip(NEXT) | instid1(VALU_DEP_2)
	v_and_b32_e32 v17, 0xffff, v17
	v_lshlrev_b32_e32 v25, 16, v19
	s_cbranch_vccnz .LBB1057_97
; %bb.89:
	s_waitcnt lgkmcnt(0)
	v_mad_u64_u32 v[19:20], null, v21, s22, s[8:9]
	v_mul_lo_u32 v23, v21, s23
	v_mul_lo_u32 v24, v22, s22
	v_mad_u64_u32 v[21:22], null, v13, s22, s[8:9]
	v_mul_lo_u32 v26, v13, s23
	v_mul_lo_u32 v27, v14, s22
	s_mov_b32 s27, 0
	s_delay_alu instid0(VALU_DEP_4) | instskip(NEXT) | instid1(VALU_DEP_2)
	v_add3_u32 v20, v24, v20, v23
	v_add3_u32 v22, v27, v22, v26
	s_clause 0x1
	global_load_u8 v23, v[19:20], off
	global_load_u8 v24, v[21:22], off
	s_waitcnt vmcnt(1)
	v_cmp_ne_u16_e32 vcc_lo, 0, v23
	s_waitcnt vmcnt(0)
	v_cmp_ne_u16_e64 s2, 0, v24
	s_delay_alu instid0(VALU_DEP_1) | instskip(SKIP_2) | instid1(SALU_CYCLE_1)
	s_xor_b32 s3, vcc_lo, s2
	s_mov_b32 s2, -1
	s_xor_b32 s3, s3, -1
	s_and_saveexec_b32 s26, s3
	s_cbranch_execz .LBB1057_96
; %bb.90:
	s_mov_b64 s[6:7], 1
                                        ; implicit-def: $sgpr28
	s_set_inst_prefetch_distance 0x1
	s_branch .LBB1057_93
	.p2align	6
.LBB1057_91:                            ;   in Loop: Header=BB1057_93 Depth=1
	v_add_co_u32 v23, vcc_lo, v19, s6
	v_add_co_ci_u32_e32 v24, vcc_lo, s7, v20, vcc_lo
	v_add_co_u32 v26, vcc_lo, v21, s6
	v_add_co_ci_u32_e32 v27, vcc_lo, s7, v22, vcc_lo
	s_clause 0x1
	global_load_u8 v23, v[23:24], off
	global_load_u8 v24, v[26:27], off
	s_waitcnt vmcnt(1)
	v_cmp_ne_u16_e32 vcc_lo, 0, v23
	s_waitcnt vmcnt(0)
	v_cmp_ne_u16_e64 s2, 0, v24
	s_delay_alu instid0(VALU_DEP_1) | instskip(SKIP_4) | instid1(SALU_CYCLE_1)
	s_xor_b32 s29, vcc_lo, s2
	s_add_u32 s2, s6, 1
	s_addc_u32 s3, s7, 0
	s_and_not1_b32 s28, s28, exec_lo
	s_and_b32 s29, s29, exec_lo
	s_or_b32 s28, s28, s29
.LBB1057_92:                            ;   in Loop: Header=BB1057_93 Depth=1
	v_dual_mov_b32 v24, s7 :: v_dual_mov_b32 v23, s6
	s_and_b32 s29, exec_lo, s28
	s_mov_b64 s[6:7], s[2:3]
	s_or_b32 s27, s29, s27
	s_delay_alu instid0(SALU_CYCLE_1)
	s_and_not1_b32 exec_lo, exec_lo, s27
	s_cbranch_execz .LBB1057_95
.LBB1057_93:                            ; =>This Inner Loop Header: Depth=1
	s_or_b32 s28, s28, exec_lo
	s_cmp_eq_u64 s[22:23], s[6:7]
	s_cbranch_scc0 .LBB1057_91
; %bb.94:                               ;   in Loop: Header=BB1057_93 Depth=1
	s_mov_b64 s[6:7], s[22:23]
                                        ; implicit-def: $sgpr2_sgpr3
	s_branch .LBB1057_92
.LBB1057_95:
	s_set_inst_prefetch_distance 0x2
	s_or_b32 exec_lo, exec_lo, s27
	v_cmp_gt_i64_e32 vcc_lo, s[22:23], v[23:24]
	s_or_not1_b32 s2, vcc_lo, exec_lo
.LBB1057_96:
	s_or_b32 exec_lo, exec_lo, s26
.LBB1057_97:
	s_delay_alu instid0(VALU_DEP_1)
	v_or_b32_e32 v17, v17, v25
	s_and_b32 vcc_lo, exec_lo, s25
	s_cbranch_vccz .LBB1057_173
.LBB1057_98:
	v_or_b32_e32 v17, 7, v39
	s_xor_b32 s24, s24, -1
	s_mov_b32 s3, -1
	s_mov_b32 s25, 0
	s_mov_b32 s26, 0
	v_cmp_gt_u32_e32 vcc_lo, s20, v17
	s_and_b32 s2, vcc_lo, s24
	s_delay_alu instid0(SALU_CYCLE_1)
	s_and_saveexec_b32 s27, s2
	s_cbranch_execz .LBB1057_107
; %bb.99:
	v_mad_u64_u32 v[17:18], null, v1, s22, s[8:9]
	s_waitcnt lgkmcnt(0)
	v_mul_lo_u32 v21, v1, s23
	v_mul_lo_u32 v22, v2, s22
	v_mad_u64_u32 v[19:20], null, v3, s22, s[8:9]
	v_mul_lo_u32 v23, v3, s23
	v_mul_lo_u32 v24, v4, s22
	s_mov_b32 s28, 0
	s_delay_alu instid0(VALU_DEP_4) | instskip(NEXT) | instid1(VALU_DEP_2)
	v_add3_u32 v18, v22, v18, v21
	v_add3_u32 v20, v24, v20, v23
	s_clause 0x1
	global_load_u8 v21, v[17:18], off
	global_load_u8 v22, v[19:20], off
	s_waitcnt vmcnt(1)
	v_cmp_ne_u16_e32 vcc_lo, 0, v21
	s_waitcnt vmcnt(0)
	v_cmp_ne_u16_e64 s2, 0, v22
	s_delay_alu instid0(VALU_DEP_1) | instskip(NEXT) | instid1(SALU_CYCLE_1)
	s_xor_b32 s2, vcc_lo, s2
	s_xor_b32 s2, s2, -1
	s_delay_alu instid0(SALU_CYCLE_1)
	s_and_saveexec_b32 s26, s2
	s_cbranch_execz .LBB1057_106
; %bb.100:
	s_mov_b64 s[6:7], 1
                                        ; implicit-def: $sgpr29
	s_set_inst_prefetch_distance 0x1
	s_branch .LBB1057_103
	.p2align	6
.LBB1057_101:                           ;   in Loop: Header=BB1057_103 Depth=1
	v_add_co_u32 v21, vcc_lo, v17, s6
	v_add_co_ci_u32_e32 v22, vcc_lo, s7, v18, vcc_lo
	v_add_co_u32 v23, vcc_lo, v19, s6
	v_add_co_ci_u32_e32 v24, vcc_lo, s7, v20, vcc_lo
	s_clause 0x1
	global_load_u8 v21, v[21:22], off
	global_load_u8 v22, v[23:24], off
	s_waitcnt vmcnt(1)
	v_cmp_ne_u16_e32 vcc_lo, 0, v21
	s_waitcnt vmcnt(0)
	v_cmp_ne_u16_e64 s2, 0, v22
	s_delay_alu instid0(VALU_DEP_1) | instskip(SKIP_4) | instid1(SALU_CYCLE_1)
	s_xor_b32 s30, vcc_lo, s2
	s_add_u32 s2, s6, 1
	s_addc_u32 s3, s7, 0
	s_and_not1_b32 s29, s29, exec_lo
	s_and_b32 s30, s30, exec_lo
	s_or_b32 s29, s29, s30
.LBB1057_102:                           ;   in Loop: Header=BB1057_103 Depth=1
	v_dual_mov_b32 v22, s7 :: v_dual_mov_b32 v21, s6
	s_and_b32 s30, exec_lo, s29
	s_mov_b64 s[6:7], s[2:3]
	s_or_b32 s28, s30, s28
	s_delay_alu instid0(SALU_CYCLE_1)
	s_and_not1_b32 exec_lo, exec_lo, s28
	s_cbranch_execz .LBB1057_105
.LBB1057_103:                           ; =>This Inner Loop Header: Depth=1
	s_or_b32 s29, s29, exec_lo
	s_cmp_eq_u64 s[22:23], s[6:7]
	s_cbranch_scc0 .LBB1057_101
; %bb.104:                              ;   in Loop: Header=BB1057_103 Depth=1
	s_mov_b64 s[6:7], s[22:23]
                                        ; implicit-def: $sgpr2_sgpr3
	s_branch .LBB1057_102
.LBB1057_105:
	s_set_inst_prefetch_distance 0x2
	s_or_b32 exec_lo, exec_lo, s28
	v_cmp_gt_i64_e32 vcc_lo, s[22:23], v[21:22]
	s_or_not1_b32 s3, vcc_lo, exec_lo
.LBB1057_106:
	s_or_b32 exec_lo, exec_lo, s26
	s_delay_alu instid0(SALU_CYCLE_1)
	s_and_b32 s26, s3, exec_lo
.LBB1057_107:
	s_or_b32 exec_lo, exec_lo, s27
	v_or_b32_e32 v17, 6, v39
	s_delay_alu instid0(VALU_DEP_1) | instskip(SKIP_1) | instid1(SALU_CYCLE_1)
	v_cmp_gt_u32_e32 vcc_lo, s20, v17
	s_and_b32 s2, vcc_lo, s24
	s_and_saveexec_b32 s27, s2
	s_cbranch_execz .LBB1057_116
; %bb.108:
	v_mad_u64_u32 v[17:18], null, v7, s22, s[8:9]
	s_waitcnt lgkmcnt(0)
	v_mul_lo_u32 v21, v7, s23
	v_mul_lo_u32 v22, v8, s22
	v_mad_u64_u32 v[19:20], null, v1, s22, s[8:9]
	v_mul_lo_u32 v23, v1, s23
	v_mul_lo_u32 v24, v2, s22
	s_mov_b32 s28, 0
	s_delay_alu instid0(VALU_DEP_4) | instskip(NEXT) | instid1(VALU_DEP_2)
	v_add3_u32 v18, v22, v18, v21
	v_add3_u32 v20, v24, v20, v23
	s_clause 0x1
	global_load_u8 v21, v[17:18], off
	global_load_u8 v22, v[19:20], off
	s_waitcnt vmcnt(1)
	v_cmp_ne_u16_e32 vcc_lo, 0, v21
	s_waitcnt vmcnt(0)
	v_cmp_ne_u16_e64 s2, 0, v22
	s_delay_alu instid0(VALU_DEP_1) | instskip(SKIP_2) | instid1(SALU_CYCLE_1)
	s_xor_b32 s3, vcc_lo, s2
	s_mov_b32 s2, -1
	s_xor_b32 s3, s3, -1
	s_and_saveexec_b32 s25, s3
	s_cbranch_execz .LBB1057_115
; %bb.109:
	s_mov_b64 s[6:7], 1
                                        ; implicit-def: $sgpr29
	s_set_inst_prefetch_distance 0x1
	s_branch .LBB1057_112
	.p2align	6
.LBB1057_110:                           ;   in Loop: Header=BB1057_112 Depth=1
	v_add_co_u32 v21, vcc_lo, v17, s6
	v_add_co_ci_u32_e32 v22, vcc_lo, s7, v18, vcc_lo
	v_add_co_u32 v23, vcc_lo, v19, s6
	v_add_co_ci_u32_e32 v24, vcc_lo, s7, v20, vcc_lo
	s_clause 0x1
	global_load_u8 v21, v[21:22], off
	global_load_u8 v22, v[23:24], off
	s_waitcnt vmcnt(1)
	v_cmp_ne_u16_e32 vcc_lo, 0, v21
	s_waitcnt vmcnt(0)
	v_cmp_ne_u16_e64 s2, 0, v22
	s_delay_alu instid0(VALU_DEP_1) | instskip(SKIP_4) | instid1(SALU_CYCLE_1)
	s_xor_b32 s30, vcc_lo, s2
	s_add_u32 s2, s6, 1
	s_addc_u32 s3, s7, 0
	s_and_not1_b32 s29, s29, exec_lo
	s_and_b32 s30, s30, exec_lo
	s_or_b32 s29, s29, s30
.LBB1057_111:                           ;   in Loop: Header=BB1057_112 Depth=1
	v_dual_mov_b32 v22, s7 :: v_dual_mov_b32 v21, s6
	s_and_b32 s30, exec_lo, s29
	s_mov_b64 s[6:7], s[2:3]
	s_or_b32 s28, s30, s28
	s_delay_alu instid0(SALU_CYCLE_1)
	s_and_not1_b32 exec_lo, exec_lo, s28
	s_cbranch_execz .LBB1057_114
.LBB1057_112:                           ; =>This Inner Loop Header: Depth=1
	s_or_b32 s29, s29, exec_lo
	s_cmp_eq_u64 s[22:23], s[6:7]
	s_cbranch_scc0 .LBB1057_110
; %bb.113:                              ;   in Loop: Header=BB1057_112 Depth=1
	s_mov_b64 s[6:7], s[22:23]
                                        ; implicit-def: $sgpr2_sgpr3
	s_branch .LBB1057_111
.LBB1057_114:
	s_set_inst_prefetch_distance 0x2
	s_or_b32 exec_lo, exec_lo, s28
	v_cmp_gt_i64_e32 vcc_lo, s[22:23], v[21:22]
	s_or_not1_b32 s2, vcc_lo, exec_lo
.LBB1057_115:
	s_or_b32 exec_lo, exec_lo, s25
	s_delay_alu instid0(SALU_CYCLE_1)
	s_and_b32 s25, s2, exec_lo
.LBB1057_116:
	s_or_b32 exec_lo, exec_lo, s27
	v_or_b32_e32 v17, 5, v39
	s_mov_b32 s3, -1
	s_mov_b32 s28, 0
	s_mov_b32 s27, 0
	s_delay_alu instid0(VALU_DEP_1) | instskip(SKIP_1) | instid1(SALU_CYCLE_1)
	v_cmp_gt_u32_e32 vcc_lo, s20, v17
	s_and_b32 s2, vcc_lo, s24
	s_and_saveexec_b32 s29, s2
	s_cbranch_execz .LBB1057_125
; %bb.117:
	v_mad_u64_u32 v[17:18], null, v5, s22, s[8:9]
	s_waitcnt lgkmcnt(0)
	v_mul_lo_u32 v21, v5, s23
	v_mul_lo_u32 v22, v6, s22
	v_mad_u64_u32 v[19:20], null, v7, s22, s[8:9]
	v_mul_lo_u32 v23, v7, s23
	v_mul_lo_u32 v24, v8, s22
	s_mov_b32 s30, 0
	s_delay_alu instid0(VALU_DEP_4) | instskip(NEXT) | instid1(VALU_DEP_2)
	v_add3_u32 v18, v22, v18, v21
	v_add3_u32 v20, v24, v20, v23
	s_clause 0x1
	global_load_u8 v21, v[17:18], off
	global_load_u8 v22, v[19:20], off
	s_waitcnt vmcnt(1)
	v_cmp_ne_u16_e32 vcc_lo, 0, v21
	s_waitcnt vmcnt(0)
	v_cmp_ne_u16_e64 s2, 0, v22
	s_delay_alu instid0(VALU_DEP_1) | instskip(NEXT) | instid1(SALU_CYCLE_1)
	s_xor_b32 s2, vcc_lo, s2
	s_xor_b32 s2, s2, -1
	s_delay_alu instid0(SALU_CYCLE_1)
	s_and_saveexec_b32 s27, s2
	s_cbranch_execz .LBB1057_124
; %bb.118:
	s_mov_b64 s[6:7], 1
                                        ; implicit-def: $sgpr31
	s_set_inst_prefetch_distance 0x1
	s_branch .LBB1057_121
	.p2align	6
.LBB1057_119:                           ;   in Loop: Header=BB1057_121 Depth=1
	v_add_co_u32 v21, vcc_lo, v17, s6
	v_add_co_ci_u32_e32 v22, vcc_lo, s7, v18, vcc_lo
	v_add_co_u32 v23, vcc_lo, v19, s6
	v_add_co_ci_u32_e32 v24, vcc_lo, s7, v20, vcc_lo
	s_clause 0x1
	global_load_u8 v21, v[21:22], off
	global_load_u8 v22, v[23:24], off
	s_waitcnt vmcnt(1)
	v_cmp_ne_u16_e32 vcc_lo, 0, v21
	s_waitcnt vmcnt(0)
	v_cmp_ne_u16_e64 s2, 0, v22
	s_delay_alu instid0(VALU_DEP_1) | instskip(SKIP_4) | instid1(SALU_CYCLE_1)
	s_xor_b32 s33, vcc_lo, s2
	s_add_u32 s2, s6, 1
	s_addc_u32 s3, s7, 0
	s_and_not1_b32 s31, s31, exec_lo
	s_and_b32 s33, s33, exec_lo
	s_or_b32 s31, s31, s33
.LBB1057_120:                           ;   in Loop: Header=BB1057_121 Depth=1
	v_dual_mov_b32 v22, s7 :: v_dual_mov_b32 v21, s6
	s_and_b32 s33, exec_lo, s31
	s_mov_b64 s[6:7], s[2:3]
	s_or_b32 s30, s33, s30
	s_delay_alu instid0(SALU_CYCLE_1)
	s_and_not1_b32 exec_lo, exec_lo, s30
	s_cbranch_execz .LBB1057_123
.LBB1057_121:                           ; =>This Inner Loop Header: Depth=1
	s_or_b32 s31, s31, exec_lo
	s_cmp_eq_u64 s[22:23], s[6:7]
	s_cbranch_scc0 .LBB1057_119
; %bb.122:                              ;   in Loop: Header=BB1057_121 Depth=1
	s_mov_b64 s[6:7], s[22:23]
                                        ; implicit-def: $sgpr2_sgpr3
	s_branch .LBB1057_120
.LBB1057_123:
	s_set_inst_prefetch_distance 0x2
	s_or_b32 exec_lo, exec_lo, s30
	v_cmp_gt_i64_e32 vcc_lo, s[22:23], v[21:22]
	s_or_not1_b32 s3, vcc_lo, exec_lo
.LBB1057_124:
	s_or_b32 exec_lo, exec_lo, s27
	s_delay_alu instid0(SALU_CYCLE_1)
	s_and_b32 s27, s3, exec_lo
.LBB1057_125:
	s_or_b32 exec_lo, exec_lo, s29
	v_or_b32_e32 v17, 4, v39
	s_delay_alu instid0(VALU_DEP_1) | instskip(SKIP_1) | instid1(SALU_CYCLE_1)
	v_cmp_gt_u32_e32 vcc_lo, s20, v17
	s_and_b32 s2, vcc_lo, s24
	s_and_saveexec_b32 s29, s2
	s_cbranch_execz .LBB1057_134
; %bb.126:
	v_mad_u64_u32 v[17:18], null, v11, s22, s[8:9]
	s_waitcnt lgkmcnt(0)
	v_mul_lo_u32 v21, v11, s23
	v_mul_lo_u32 v22, v12, s22
	v_mad_u64_u32 v[19:20], null, v5, s22, s[8:9]
	v_mul_lo_u32 v23, v5, s23
	v_mul_lo_u32 v24, v6, s22
	s_mov_b32 s30, 0
	s_delay_alu instid0(VALU_DEP_4) | instskip(NEXT) | instid1(VALU_DEP_2)
	v_add3_u32 v18, v22, v18, v21
	v_add3_u32 v20, v24, v20, v23
	s_clause 0x1
	global_load_u8 v21, v[17:18], off
	global_load_u8 v22, v[19:20], off
	s_waitcnt vmcnt(1)
	v_cmp_ne_u16_e32 vcc_lo, 0, v21
	s_waitcnt vmcnt(0)
	v_cmp_ne_u16_e64 s2, 0, v22
	s_delay_alu instid0(VALU_DEP_1) | instskip(SKIP_2) | instid1(SALU_CYCLE_1)
	s_xor_b32 s3, vcc_lo, s2
	s_mov_b32 s2, -1
	s_xor_b32 s3, s3, -1
	s_and_saveexec_b32 s28, s3
	s_cbranch_execz .LBB1057_133
; %bb.127:
	s_mov_b64 s[6:7], 1
                                        ; implicit-def: $sgpr31
	s_set_inst_prefetch_distance 0x1
	s_branch .LBB1057_130
	.p2align	6
.LBB1057_128:                           ;   in Loop: Header=BB1057_130 Depth=1
	v_add_co_u32 v21, vcc_lo, v17, s6
	v_add_co_ci_u32_e32 v22, vcc_lo, s7, v18, vcc_lo
	v_add_co_u32 v23, vcc_lo, v19, s6
	v_add_co_ci_u32_e32 v24, vcc_lo, s7, v20, vcc_lo
	s_clause 0x1
	global_load_u8 v21, v[21:22], off
	global_load_u8 v22, v[23:24], off
	s_waitcnt vmcnt(1)
	v_cmp_ne_u16_e32 vcc_lo, 0, v21
	s_waitcnt vmcnt(0)
	v_cmp_ne_u16_e64 s2, 0, v22
	s_delay_alu instid0(VALU_DEP_1) | instskip(SKIP_4) | instid1(SALU_CYCLE_1)
	s_xor_b32 s33, vcc_lo, s2
	s_add_u32 s2, s6, 1
	s_addc_u32 s3, s7, 0
	s_and_not1_b32 s31, s31, exec_lo
	s_and_b32 s33, s33, exec_lo
	s_or_b32 s31, s31, s33
.LBB1057_129:                           ;   in Loop: Header=BB1057_130 Depth=1
	v_dual_mov_b32 v22, s7 :: v_dual_mov_b32 v21, s6
	s_and_b32 s33, exec_lo, s31
	s_mov_b64 s[6:7], s[2:3]
	s_or_b32 s30, s33, s30
	s_delay_alu instid0(SALU_CYCLE_1)
	s_and_not1_b32 exec_lo, exec_lo, s30
	s_cbranch_execz .LBB1057_132
.LBB1057_130:                           ; =>This Inner Loop Header: Depth=1
	s_or_b32 s31, s31, exec_lo
	s_cmp_eq_u64 s[22:23], s[6:7]
	s_cbranch_scc0 .LBB1057_128
; %bb.131:                              ;   in Loop: Header=BB1057_130 Depth=1
	s_mov_b64 s[6:7], s[22:23]
                                        ; implicit-def: $sgpr2_sgpr3
	s_branch .LBB1057_129
.LBB1057_132:
	s_set_inst_prefetch_distance 0x2
	s_or_b32 exec_lo, exec_lo, s30
	v_cmp_gt_i64_e32 vcc_lo, s[22:23], v[21:22]
	s_or_not1_b32 s2, vcc_lo, exec_lo
.LBB1057_133:
	s_or_b32 exec_lo, exec_lo, s28
	s_delay_alu instid0(SALU_CYCLE_1)
	s_and_b32 s28, s2, exec_lo
.LBB1057_134:
	s_or_b32 exec_lo, exec_lo, s29
	v_or_b32_e32 v17, 3, v39
	s_mov_b32 s3, -1
	s_mov_b32 s30, 0
	s_mov_b32 s29, 0
	s_delay_alu instid0(VALU_DEP_1) | instskip(SKIP_1) | instid1(SALU_CYCLE_1)
	v_cmp_gt_u32_e32 vcc_lo, s20, v17
	s_and_b32 s2, vcc_lo, s24
	s_and_saveexec_b32 s31, s2
	s_cbranch_execz .LBB1057_143
; %bb.135:
	v_mad_u64_u32 v[17:18], null, v9, s22, s[8:9]
	s_waitcnt lgkmcnt(0)
	v_mul_lo_u32 v21, v9, s23
	v_mul_lo_u32 v22, v10, s22
	v_mad_u64_u32 v[19:20], null, v11, s22, s[8:9]
	v_mul_lo_u32 v23, v11, s23
	v_mul_lo_u32 v24, v12, s22
	s_mov_b32 s33, 0
	s_delay_alu instid0(VALU_DEP_4) | instskip(NEXT) | instid1(VALU_DEP_2)
	v_add3_u32 v18, v22, v18, v21
	v_add3_u32 v20, v24, v20, v23
	s_clause 0x1
	global_load_u8 v21, v[17:18], off
	global_load_u8 v22, v[19:20], off
	s_waitcnt vmcnt(1)
	v_cmp_ne_u16_e32 vcc_lo, 0, v21
	s_waitcnt vmcnt(0)
	v_cmp_ne_u16_e64 s2, 0, v22
	s_delay_alu instid0(VALU_DEP_1) | instskip(NEXT) | instid1(SALU_CYCLE_1)
	s_xor_b32 s2, vcc_lo, s2
	s_xor_b32 s2, s2, -1
	s_delay_alu instid0(SALU_CYCLE_1)
	s_and_saveexec_b32 s29, s2
	s_cbranch_execz .LBB1057_142
; %bb.136:
	s_mov_b64 s[6:7], 1
                                        ; implicit-def: $sgpr34
	s_set_inst_prefetch_distance 0x1
	s_branch .LBB1057_139
	.p2align	6
.LBB1057_137:                           ;   in Loop: Header=BB1057_139 Depth=1
	v_add_co_u32 v21, vcc_lo, v17, s6
	v_add_co_ci_u32_e32 v22, vcc_lo, s7, v18, vcc_lo
	v_add_co_u32 v23, vcc_lo, v19, s6
	v_add_co_ci_u32_e32 v24, vcc_lo, s7, v20, vcc_lo
	s_clause 0x1
	global_load_u8 v21, v[21:22], off
	global_load_u8 v22, v[23:24], off
	s_waitcnt vmcnt(1)
	v_cmp_ne_u16_e32 vcc_lo, 0, v21
	s_waitcnt vmcnt(0)
	v_cmp_ne_u16_e64 s2, 0, v22
	s_delay_alu instid0(VALU_DEP_1) | instskip(SKIP_4) | instid1(SALU_CYCLE_1)
	s_xor_b32 s35, vcc_lo, s2
	s_add_u32 s2, s6, 1
	s_addc_u32 s3, s7, 0
	s_and_not1_b32 s34, s34, exec_lo
	s_and_b32 s35, s35, exec_lo
	s_or_b32 s34, s34, s35
.LBB1057_138:                           ;   in Loop: Header=BB1057_139 Depth=1
	v_dual_mov_b32 v22, s7 :: v_dual_mov_b32 v21, s6
	s_and_b32 s35, exec_lo, s34
	s_mov_b64 s[6:7], s[2:3]
	s_or_b32 s33, s35, s33
	s_delay_alu instid0(SALU_CYCLE_1)
	s_and_not1_b32 exec_lo, exec_lo, s33
	s_cbranch_execz .LBB1057_141
.LBB1057_139:                           ; =>This Inner Loop Header: Depth=1
	s_or_b32 s34, s34, exec_lo
	s_cmp_eq_u64 s[22:23], s[6:7]
	s_cbranch_scc0 .LBB1057_137
; %bb.140:                              ;   in Loop: Header=BB1057_139 Depth=1
	s_mov_b64 s[6:7], s[22:23]
                                        ; implicit-def: $sgpr2_sgpr3
	s_branch .LBB1057_138
.LBB1057_141:
	s_set_inst_prefetch_distance 0x2
	s_or_b32 exec_lo, exec_lo, s33
	v_cmp_gt_i64_e32 vcc_lo, s[22:23], v[21:22]
	s_or_not1_b32 s3, vcc_lo, exec_lo
.LBB1057_142:
	s_or_b32 exec_lo, exec_lo, s29
	s_delay_alu instid0(SALU_CYCLE_1)
	s_and_b32 s29, s3, exec_lo
.LBB1057_143:
	s_or_b32 exec_lo, exec_lo, s31
	v_or_b32_e32 v17, 2, v39
	s_delay_alu instid0(VALU_DEP_1) | instskip(SKIP_1) | instid1(SALU_CYCLE_1)
	v_cmp_gt_u32_e32 vcc_lo, s20, v17
	s_and_b32 s2, vcc_lo, s24
	s_and_saveexec_b32 s31, s2
	s_cbranch_execz .LBB1057_152
; %bb.144:
	v_mad_u64_u32 v[17:18], null, v15, s22, s[8:9]
	s_waitcnt lgkmcnt(0)
	v_mul_lo_u32 v21, v15, s23
	v_mul_lo_u32 v22, v16, s22
	v_mad_u64_u32 v[19:20], null, v9, s22, s[8:9]
	v_mul_lo_u32 v23, v9, s23
	v_mul_lo_u32 v24, v10, s22
	s_mov_b32 s33, 0
	s_delay_alu instid0(VALU_DEP_4) | instskip(NEXT) | instid1(VALU_DEP_2)
	v_add3_u32 v18, v22, v18, v21
	v_add3_u32 v20, v24, v20, v23
	s_clause 0x1
	global_load_u8 v21, v[17:18], off
	global_load_u8 v22, v[19:20], off
	s_waitcnt vmcnt(1)
	v_cmp_ne_u16_e32 vcc_lo, 0, v21
	s_waitcnt vmcnt(0)
	v_cmp_ne_u16_e64 s2, 0, v22
	s_delay_alu instid0(VALU_DEP_1) | instskip(SKIP_2) | instid1(SALU_CYCLE_1)
	s_xor_b32 s3, vcc_lo, s2
	s_mov_b32 s2, -1
	s_xor_b32 s3, s3, -1
	s_and_saveexec_b32 s30, s3
	s_cbranch_execz .LBB1057_151
; %bb.145:
	s_mov_b64 s[6:7], 1
                                        ; implicit-def: $sgpr34
	s_set_inst_prefetch_distance 0x1
	s_branch .LBB1057_148
	.p2align	6
.LBB1057_146:                           ;   in Loop: Header=BB1057_148 Depth=1
	v_add_co_u32 v21, vcc_lo, v17, s6
	v_add_co_ci_u32_e32 v22, vcc_lo, s7, v18, vcc_lo
	v_add_co_u32 v23, vcc_lo, v19, s6
	v_add_co_ci_u32_e32 v24, vcc_lo, s7, v20, vcc_lo
	s_clause 0x1
	global_load_u8 v21, v[21:22], off
	global_load_u8 v22, v[23:24], off
	s_waitcnt vmcnt(1)
	v_cmp_ne_u16_e32 vcc_lo, 0, v21
	s_waitcnt vmcnt(0)
	v_cmp_ne_u16_e64 s2, 0, v22
	s_delay_alu instid0(VALU_DEP_1) | instskip(SKIP_4) | instid1(SALU_CYCLE_1)
	s_xor_b32 s35, vcc_lo, s2
	s_add_u32 s2, s6, 1
	s_addc_u32 s3, s7, 0
	s_and_not1_b32 s34, s34, exec_lo
	s_and_b32 s35, s35, exec_lo
	s_or_b32 s34, s34, s35
.LBB1057_147:                           ;   in Loop: Header=BB1057_148 Depth=1
	v_dual_mov_b32 v22, s7 :: v_dual_mov_b32 v21, s6
	s_and_b32 s35, exec_lo, s34
	s_mov_b64 s[6:7], s[2:3]
	s_or_b32 s33, s35, s33
	s_delay_alu instid0(SALU_CYCLE_1)
	s_and_not1_b32 exec_lo, exec_lo, s33
	s_cbranch_execz .LBB1057_150
.LBB1057_148:                           ; =>This Inner Loop Header: Depth=1
	s_or_b32 s34, s34, exec_lo
	s_cmp_eq_u64 s[22:23], s[6:7]
	s_cbranch_scc0 .LBB1057_146
; %bb.149:                              ;   in Loop: Header=BB1057_148 Depth=1
	s_mov_b64 s[6:7], s[22:23]
                                        ; implicit-def: $sgpr2_sgpr3
	s_branch .LBB1057_147
.LBB1057_150:
	s_set_inst_prefetch_distance 0x2
	s_or_b32 exec_lo, exec_lo, s33
	v_cmp_gt_i64_e32 vcc_lo, s[22:23], v[21:22]
	s_or_not1_b32 s2, vcc_lo, exec_lo
.LBB1057_151:
	s_or_b32 exec_lo, exec_lo, s30
	s_delay_alu instid0(SALU_CYCLE_1)
	s_and_b32 s30, s2, exec_lo
.LBB1057_152:
	s_or_b32 exec_lo, exec_lo, s31
	v_or_b32_e32 v17, 1, v39
	s_mov_b32 s3, -1
	s_mov_b32 s2, 0
	s_delay_alu instid0(VALU_DEP_1) | instskip(SKIP_1) | instid1(SALU_CYCLE_1)
	v_cmp_gt_u32_e32 vcc_lo, s20, v17
	s_and_b32 s6, vcc_lo, s24
	s_and_saveexec_b32 s31, s6
	s_cbranch_execz .LBB1057_161
; %bb.153:
	v_mad_u64_u32 v[17:18], null, v13, s22, s[8:9]
	s_waitcnt lgkmcnt(0)
	v_mul_lo_u32 v21, v13, s23
	v_mul_lo_u32 v22, v14, s22
	v_mad_u64_u32 v[19:20], null, v15, s22, s[8:9]
	v_mul_lo_u32 v23, v15, s23
	v_mul_lo_u32 v24, v16, s22
	s_mov_b32 s34, 0
	s_delay_alu instid0(VALU_DEP_4) | instskip(NEXT) | instid1(VALU_DEP_2)
	v_add3_u32 v18, v22, v18, v21
	v_add3_u32 v20, v24, v20, v23
	s_clause 0x1
	global_load_u8 v21, v[17:18], off
	global_load_u8 v22, v[19:20], off
	s_waitcnt vmcnt(1)
	v_cmp_ne_u16_e32 vcc_lo, 0, v21
	s_waitcnt vmcnt(0)
	v_cmp_ne_u16_e64 s2, 0, v22
	s_delay_alu instid0(VALU_DEP_1) | instskip(NEXT) | instid1(SALU_CYCLE_1)
	s_xor_b32 s2, vcc_lo, s2
	s_xor_b32 s2, s2, -1
	s_delay_alu instid0(SALU_CYCLE_1)
	s_and_saveexec_b32 s33, s2
	s_cbranch_execz .LBB1057_160
; %bb.154:
	s_mov_b64 s[6:7], 1
                                        ; implicit-def: $sgpr35
	s_set_inst_prefetch_distance 0x1
	s_branch .LBB1057_157
	.p2align	6
.LBB1057_155:                           ;   in Loop: Header=BB1057_157 Depth=1
	v_add_co_u32 v21, vcc_lo, v17, s6
	v_add_co_ci_u32_e32 v22, vcc_lo, s7, v18, vcc_lo
	v_add_co_u32 v23, vcc_lo, v19, s6
	v_add_co_ci_u32_e32 v24, vcc_lo, s7, v20, vcc_lo
	s_clause 0x1
	global_load_u8 v21, v[21:22], off
	global_load_u8 v22, v[23:24], off
	s_waitcnt vmcnt(1)
	v_cmp_ne_u16_e32 vcc_lo, 0, v21
	s_waitcnt vmcnt(0)
	v_cmp_ne_u16_e64 s2, 0, v22
	s_delay_alu instid0(VALU_DEP_1) | instskip(SKIP_4) | instid1(SALU_CYCLE_1)
	s_xor_b32 s36, vcc_lo, s2
	s_add_u32 s2, s6, 1
	s_addc_u32 s3, s7, 0
	s_and_not1_b32 s35, s35, exec_lo
	s_and_b32 s36, s36, exec_lo
	s_or_b32 s35, s35, s36
.LBB1057_156:                           ;   in Loop: Header=BB1057_157 Depth=1
	v_dual_mov_b32 v22, s7 :: v_dual_mov_b32 v21, s6
	s_and_b32 s36, exec_lo, s35
	s_mov_b64 s[6:7], s[2:3]
	s_or_b32 s34, s36, s34
	s_delay_alu instid0(SALU_CYCLE_1)
	s_and_not1_b32 exec_lo, exec_lo, s34
	s_cbranch_execz .LBB1057_159
.LBB1057_157:                           ; =>This Inner Loop Header: Depth=1
	s_or_b32 s35, s35, exec_lo
	s_cmp_eq_u64 s[22:23], s[6:7]
	s_cbranch_scc0 .LBB1057_155
; %bb.158:                              ;   in Loop: Header=BB1057_157 Depth=1
	s_mov_b64 s[6:7], s[22:23]
                                        ; implicit-def: $sgpr2_sgpr3
	s_branch .LBB1057_156
.LBB1057_159:
	s_set_inst_prefetch_distance 0x2
	s_or_b32 exec_lo, exec_lo, s34
	v_cmp_gt_i64_e32 vcc_lo, s[22:23], v[21:22]
	s_or_not1_b32 s3, vcc_lo, exec_lo
.LBB1057_160:
	s_or_b32 exec_lo, exec_lo, s33
	s_delay_alu instid0(SALU_CYCLE_1)
	s_and_b32 s2, s3, exec_lo
.LBB1057_161:
	s_or_b32 exec_lo, exec_lo, s31
	s_waitcnt lgkmcnt(0)
	v_dual_mov_b32 v20, s5 :: v_dual_mov_b32 v19, s4
	s_mov_b32 s3, exec_lo
	s_barrier
	buffer_gl0_inv
	v_cmpx_ne_u32_e32 0, v0
	s_cbranch_execz .LBB1057_163
; %bb.162:
	v_add_nc_u32_e32 v17, -8, v39
	ds_load_b64 v[19:20], v17
.LBB1057_163:
	s_or_b32 exec_lo, exec_lo, s3
	v_cndmask_b32_e64 v18, 0, 1, s29
	v_cndmask_b32_e64 v22, 0, 1, s27
	;; [unrolled: 1-line block ×7, first 2 shown]
	v_lshlrev_b16 v18, 8, v18
	v_lshlrev_b16 v22, 8, v22
	;; [unrolled: 1-line block ×3, first 2 shown]
	v_cmp_gt_u32_e32 vcc_lo, s20, v39
	v_lshlrev_b16 v25, 8, v25
	v_or_b32_e32 v17, v17, v18
	v_or_b32_e32 v18, v21, v22
	;; [unrolled: 1-line block ×3, first 2 shown]
	s_mov_b32 s3, -1
	v_and_b32_e32 v23, 0xffff, v25
	v_lshlrev_b32_e32 v24, 16, v17
	v_and_b32_e32 v25, 0xffff, v18
	v_lshlrev_b32_e32 v26, 16, v21
	s_and_b32 s4, vcc_lo, s24
	s_mov_b32 s2, 0
	s_and_saveexec_b32 s6, s4
	s_cbranch_execz .LBB1057_172
; %bb.164:
	s_waitcnt lgkmcnt(0)
	v_mad_u64_u32 v[17:18], null, v19, s22, s[8:9]
	v_mul_lo_u32 v21, v19, s23
	v_mul_lo_u32 v22, v20, s22
	v_mad_u64_u32 v[19:20], null, v13, s22, s[8:9]
	v_mul_lo_u32 v27, v13, s23
	v_mul_lo_u32 v28, v14, s22
	s_mov_b32 s24, 0
	s_delay_alu instid0(VALU_DEP_4) | instskip(NEXT) | instid1(VALU_DEP_2)
	v_add3_u32 v18, v22, v18, v21
	v_add3_u32 v20, v28, v20, v27
	s_clause 0x1
	global_load_u8 v21, v[17:18], off
	global_load_u8 v22, v[19:20], off
	s_waitcnt vmcnt(1)
	v_cmp_ne_u16_e32 vcc_lo, 0, v21
	s_waitcnt vmcnt(0)
	v_cmp_ne_u16_e64 s2, 0, v22
	s_delay_alu instid0(VALU_DEP_1) | instskip(NEXT) | instid1(SALU_CYCLE_1)
	s_xor_b32 s2, vcc_lo, s2
	s_xor_b32 s2, s2, -1
	s_delay_alu instid0(SALU_CYCLE_1)
	s_and_saveexec_b32 s7, s2
	s_cbranch_execz .LBB1057_171
; %bb.165:
	s_mov_b64 s[4:5], 1
                                        ; implicit-def: $sgpr25
	s_set_inst_prefetch_distance 0x1
	s_branch .LBB1057_168
	.p2align	6
.LBB1057_166:                           ;   in Loop: Header=BB1057_168 Depth=1
	v_add_co_u32 v21, vcc_lo, v17, s4
	v_add_co_ci_u32_e32 v22, vcc_lo, s5, v18, vcc_lo
	v_add_co_u32 v27, vcc_lo, v19, s4
	v_add_co_ci_u32_e32 v28, vcc_lo, s5, v20, vcc_lo
	s_clause 0x1
	global_load_u8 v21, v[21:22], off
	global_load_u8 v22, v[27:28], off
	s_waitcnt vmcnt(1)
	v_cmp_ne_u16_e32 vcc_lo, 0, v21
	s_waitcnt vmcnt(0)
	v_cmp_ne_u16_e64 s2, 0, v22
	s_delay_alu instid0(VALU_DEP_1) | instskip(SKIP_4) | instid1(SALU_CYCLE_1)
	s_xor_b32 s26, vcc_lo, s2
	s_add_u32 s2, s4, 1
	s_addc_u32 s3, s5, 0
	s_and_not1_b32 s25, s25, exec_lo
	s_and_b32 s26, s26, exec_lo
	s_or_b32 s25, s25, s26
.LBB1057_167:                           ;   in Loop: Header=BB1057_168 Depth=1
	v_dual_mov_b32 v22, s5 :: v_dual_mov_b32 v21, s4
	s_and_b32 s26, exec_lo, s25
	s_mov_b64 s[4:5], s[2:3]
	s_or_b32 s24, s26, s24
	s_delay_alu instid0(SALU_CYCLE_1)
	s_and_not1_b32 exec_lo, exec_lo, s24
	s_cbranch_execz .LBB1057_170
.LBB1057_168:                           ; =>This Inner Loop Header: Depth=1
	s_or_b32 s25, s25, exec_lo
	s_cmp_eq_u64 s[22:23], s[4:5]
	s_cbranch_scc0 .LBB1057_166
; %bb.169:                              ;   in Loop: Header=BB1057_168 Depth=1
	s_mov_b64 s[4:5], s[22:23]
                                        ; implicit-def: $sgpr2_sgpr3
	s_branch .LBB1057_167
.LBB1057_170:
	s_set_inst_prefetch_distance 0x2
	s_or_b32 exec_lo, exec_lo, s24
	v_cmp_gt_i64_e32 vcc_lo, s[22:23], v[21:22]
	s_or_not1_b32 s3, vcc_lo, exec_lo
.LBB1057_171:
	s_or_b32 exec_lo, exec_lo, s7
	s_delay_alu instid0(SALU_CYCLE_1)
	s_and_b32 s2, s3, exec_lo
.LBB1057_172:
	s_or_b32 exec_lo, exec_lo, s6
	v_or_b32_e32 v17, v23, v24
	v_or_b32_e32 v18, v25, v26
.LBB1057_173:
	s_mov_b32 s6, -1
	s_cbranch_execnz .LBB1057_325
.LBB1057_174:
	v_cmp_lt_i64_e64 s7, s[22:23], 1
	v_cmp_gt_i64_e64 s2, s[22:23], 0
	s_and_b32 vcc_lo, exec_lo, s18
	ds_store_b64 v39, v[3:4]
	s_cbranch_vccz .LBB1057_182
; %bb.175:
	v_cndmask_b32_e64 v26, 0, 1, s2
	s_and_not1_b32 vcc_lo, exec_lo, s2
	s_cbranch_vccnz .LBB1057_183
; %bb.176:
	v_mad_u64_u32 v[17:18], null, v1, s22, s[8:9]
	s_waitcnt lgkmcnt(0)
	v_mul_lo_u32 v21, v1, s23
	v_mul_lo_u32 v22, v2, s22
	v_mad_u64_u32 v[19:20], null, v3, s22, s[8:9]
	v_mul_lo_u32 v23, v3, s23
	v_mul_lo_u32 v24, v4, s22
	s_mov_b32 s26, 0
	s_mov_b32 s24, -1
	s_delay_alu instid0(VALU_DEP_4) | instskip(NEXT) | instid1(VALU_DEP_2)
	v_add3_u32 v18, v22, v18, v21
	v_add3_u32 v20, v24, v20, v23
	s_clause 0x1
	global_load_u8 v21, v[17:18], off
	global_load_u8 v22, v[19:20], off
	s_waitcnt vmcnt(1)
	v_cmp_ne_u16_e32 vcc_lo, 0, v21
	s_waitcnt vmcnt(0)
	v_cmp_ne_u16_e64 s2, 0, v22
	s_delay_alu instid0(VALU_DEP_1) | instskip(NEXT) | instid1(SALU_CYCLE_1)
	s_xor_b32 s2, vcc_lo, s2
	s_xor_b32 s2, s2, -1
	s_delay_alu instid0(SALU_CYCLE_1)
	s_and_saveexec_b32 s25, s2
	s_cbranch_execz .LBB1057_185
; %bb.177:
	s_mov_b64 s[4:5], 1
                                        ; implicit-def: $sgpr24
	s_set_inst_prefetch_distance 0x1
	s_branch .LBB1057_180
	.p2align	6
.LBB1057_178:                           ;   in Loop: Header=BB1057_180 Depth=1
	v_add_co_u32 v21, s2, v17, s4
	s_delay_alu instid0(VALU_DEP_1) | instskip(SKIP_1) | instid1(VALU_DEP_1)
	v_add_co_ci_u32_e64 v22, s2, s5, v18, s2
	v_add_co_u32 v23, s2, v19, s4
	v_add_co_ci_u32_e64 v24, s2, s5, v20, s2
	s_clause 0x1
	global_load_u8 v21, v[21:22], off
	global_load_u8 v22, v[23:24], off
	s_waitcnt vmcnt(1)
	v_cmp_ne_u16_e64 s2, 0, v21
	s_waitcnt vmcnt(0)
	v_cmp_ne_u16_e64 s3, 0, v22
	s_delay_alu instid0(VALU_DEP_1) | instskip(SKIP_4) | instid1(SALU_CYCLE_1)
	s_xor_b32 s27, s2, s3
	s_add_u32 s2, s4, 1
	s_addc_u32 s3, s5, 0
	s_and_not1_b32 s24, s24, exec_lo
	s_and_b32 s27, s27, exec_lo
	s_or_b32 s24, s24, s27
.LBB1057_179:                           ;   in Loop: Header=BB1057_180 Depth=1
	v_dual_mov_b32 v22, s5 :: v_dual_mov_b32 v21, s4
	s_and_b32 s27, exec_lo, s24
	s_mov_b64 s[4:5], s[2:3]
	s_or_b32 s26, s27, s26
	s_delay_alu instid0(SALU_CYCLE_1)
	s_and_not1_b32 exec_lo, exec_lo, s26
	s_cbranch_execz .LBB1057_184
.LBB1057_180:                           ; =>This Inner Loop Header: Depth=1
	s_or_b32 s24, s24, exec_lo
	s_cmp_eq_u64 s[22:23], s[4:5]
	s_cbranch_scc0 .LBB1057_178
; %bb.181:                              ;   in Loop: Header=BB1057_180 Depth=1
	s_mov_b64 s[4:5], s[22:23]
                                        ; implicit-def: $sgpr2_sgpr3
	s_branch .LBB1057_179
.LBB1057_182:
                                        ; implicit-def: $sgpr2
                                        ; implicit-def: $vgpr18
	s_cbranch_execnz .LBB1057_250
	s_branch .LBB1057_325
.LBB1057_183:
	v_mov_b32_e32 v17, 0
	s_mov_b32 s2, 0
	s_branch .LBB1057_193
.LBB1057_184:
	s_set_inst_prefetch_distance 0x2
	s_or_b32 exec_lo, exec_lo, s26
	v_cmp_gt_i64_e64 s2, s[22:23], v[21:22]
	s_delay_alu instid0(VALU_DEP_1)
	s_or_not1_b32 s24, s2, exec_lo
.LBB1057_185:
	s_or_b32 exec_lo, exec_lo, s25
	v_mad_u64_u32 v[19:20], null, v7, s22, s[8:9]
	v_mul_lo_u32 v21, v7, s23
	v_mul_lo_u32 v22, v8, s22
	s_mov_b32 s26, 0
	s_delay_alu instid0(VALU_DEP_1) | instskip(SKIP_3) | instid1(VALU_DEP_1)
	v_add3_u32 v20, v22, v20, v21
	global_load_u8 v21, v[19:20], off
	s_waitcnt vmcnt(0)
	v_cmp_ne_u16_e64 s2, 0, v21
	s_xor_b32 s3, vcc_lo, s2
	s_mov_b32 s2, -1
	s_xor_b32 s3, s3, -1
	s_delay_alu instid0(SALU_CYCLE_1)
	s_and_saveexec_b32 s25, s3
	s_cbranch_execz .LBB1057_192
; %bb.186:
	s_mov_b64 s[4:5], 1
                                        ; implicit-def: $sgpr27
	s_set_inst_prefetch_distance 0x1
	s_branch .LBB1057_189
	.p2align	6
.LBB1057_187:                           ;   in Loop: Header=BB1057_189 Depth=1
	v_add_co_u32 v21, vcc_lo, v19, s4
	v_add_co_ci_u32_e32 v22, vcc_lo, s5, v20, vcc_lo
	v_add_co_u32 v23, vcc_lo, v17, s4
	v_add_co_ci_u32_e32 v24, vcc_lo, s5, v18, vcc_lo
	s_clause 0x1
	global_load_u8 v21, v[21:22], off
	global_load_u8 v22, v[23:24], off
	s_waitcnt vmcnt(1)
	v_cmp_ne_u16_e32 vcc_lo, 0, v21
	s_waitcnt vmcnt(0)
	v_cmp_ne_u16_e64 s2, 0, v22
	s_delay_alu instid0(VALU_DEP_1) | instskip(SKIP_4) | instid1(SALU_CYCLE_1)
	s_xor_b32 s28, vcc_lo, s2
	s_add_u32 s2, s4, 1
	s_addc_u32 s3, s5, 0
	s_and_not1_b32 s27, s27, exec_lo
	s_and_b32 s28, s28, exec_lo
	s_or_b32 s27, s27, s28
.LBB1057_188:                           ;   in Loop: Header=BB1057_189 Depth=1
	v_dual_mov_b32 v22, s5 :: v_dual_mov_b32 v21, s4
	s_and_b32 s28, exec_lo, s27
	s_mov_b64 s[4:5], s[2:3]
	s_or_b32 s26, s28, s26
	s_delay_alu instid0(SALU_CYCLE_1)
	s_and_not1_b32 exec_lo, exec_lo, s26
	s_cbranch_execz .LBB1057_191
.LBB1057_189:                           ; =>This Inner Loop Header: Depth=1
	s_or_b32 s27, s27, exec_lo
	s_cmp_eq_u64 s[22:23], s[4:5]
	s_cbranch_scc0 .LBB1057_187
; %bb.190:                              ;   in Loop: Header=BB1057_189 Depth=1
	s_mov_b64 s[4:5], s[22:23]
                                        ; implicit-def: $sgpr2_sgpr3
	s_branch .LBB1057_188
.LBB1057_191:
	s_set_inst_prefetch_distance 0x2
	s_or_b32 exec_lo, exec_lo, s26
	v_cmp_gt_i64_e32 vcc_lo, s[22:23], v[21:22]
	s_or_not1_b32 s2, vcc_lo, exec_lo
.LBB1057_192:
	s_or_b32 exec_lo, exec_lo, s25
	v_cndmask_b32_e64 v17, 0, 1, s24
.LBB1057_193:
	v_and_b32_e32 v18, 0xff, v0
	s_waitcnt lgkmcnt(0)
	v_lshlrev_b16 v19, 8, v0
	v_and_b32_e32 v20, 0xff, v0
	v_lshlrev_b16 v21, 8, v0
	v_and_b32_e32 v22, 0xff, v0
	v_lshlrev_b16 v23, 8, v0
	v_lshlrev_b16 v17, 8, v17
	v_cndmask_b32_e64 v24, 0, 1, s2
	v_or_b32_e32 v18, v18, v19
	v_or_b32_e32 v19, v20, v21
	;; [unrolled: 1-line block ×3, first 2 shown]
	v_cmp_ne_u32_e32 vcc_lo, 1, v26
	v_or_b32_e32 v17, v24, v17
	v_and_b32_e32 v18, 0xffff, v18
	v_lshlrev_b32_e32 v19, 16, v19
	v_and_b32_e32 v20, 0xffff, v20
	s_delay_alu instid0(VALU_DEP_4) | instskip(NEXT) | instid1(VALU_DEP_3)
	v_lshlrev_b32_e32 v17, 16, v17
	v_or_b32_e32 v27, v18, v19
	s_delay_alu instid0(VALU_DEP_2)
	v_or_b32_e32 v24, v20, v17
	s_cbranch_vccnz .LBB1057_200
; %bb.194:
	v_mad_u64_u32 v[17:18], null, v5, s22, s[8:9]
	v_mul_lo_u32 v21, v5, s23
	v_mul_lo_u32 v22, v6, s22
	v_mad_u64_u32 v[19:20], null, v7, s22, s[8:9]
	v_mul_lo_u32 v23, v7, s23
	v_mul_lo_u32 v25, v8, s22
	s_mov_b32 s25, 0
	s_delay_alu instid0(VALU_DEP_4) | instskip(NEXT) | instid1(VALU_DEP_2)
	v_add3_u32 v18, v22, v18, v21
	v_add3_u32 v20, v25, v20, v23
	s_clause 0x1
	global_load_u8 v21, v[17:18], off
	global_load_u8 v22, v[19:20], off
	s_waitcnt vmcnt(1)
	v_cmp_ne_u16_e32 vcc_lo, 0, v21
	s_waitcnt vmcnt(0)
	v_cmp_ne_u16_e64 s2, 0, v22
	s_delay_alu instid0(VALU_DEP_1) | instskip(SKIP_2) | instid1(SALU_CYCLE_1)
	s_xor_b32 s3, vcc_lo, s2
	s_mov_b32 s2, -1
	s_xor_b32 s3, s3, -1
	s_and_saveexec_b32 s24, s3
	s_cbranch_execz .LBB1057_202
; %bb.195:
	s_mov_b64 s[4:5], 1
                                        ; implicit-def: $sgpr26
	s_set_inst_prefetch_distance 0x1
	s_branch .LBB1057_198
	.p2align	6
.LBB1057_196:                           ;   in Loop: Header=BB1057_198 Depth=1
	v_add_co_u32 v21, s2, v17, s4
	s_delay_alu instid0(VALU_DEP_1) | instskip(SKIP_1) | instid1(VALU_DEP_1)
	v_add_co_ci_u32_e64 v22, s2, s5, v18, s2
	v_add_co_u32 v28, s2, v19, s4
	v_add_co_ci_u32_e64 v29, s2, s5, v20, s2
	s_clause 0x1
	global_load_u8 v21, v[21:22], off
	global_load_u8 v22, v[28:29], off
	s_waitcnt vmcnt(1)
	v_cmp_ne_u16_e64 s2, 0, v21
	s_waitcnt vmcnt(0)
	v_cmp_ne_u16_e64 s3, 0, v22
	s_delay_alu instid0(VALU_DEP_1) | instskip(SKIP_4) | instid1(SALU_CYCLE_1)
	s_xor_b32 s27, s2, s3
	s_add_u32 s2, s4, 1
	s_addc_u32 s3, s5, 0
	s_and_not1_b32 s26, s26, exec_lo
	s_and_b32 s27, s27, exec_lo
	s_or_b32 s26, s26, s27
.LBB1057_197:                           ;   in Loop: Header=BB1057_198 Depth=1
	v_dual_mov_b32 v22, s5 :: v_dual_mov_b32 v21, s4
	s_and_b32 s27, exec_lo, s26
	s_mov_b64 s[4:5], s[2:3]
	s_or_b32 s25, s27, s25
	s_delay_alu instid0(SALU_CYCLE_1)
	s_and_not1_b32 exec_lo, exec_lo, s25
	s_cbranch_execz .LBB1057_201
.LBB1057_198:                           ; =>This Inner Loop Header: Depth=1
	s_or_b32 s26, s26, exec_lo
	s_cmp_eq_u64 s[22:23], s[4:5]
	s_cbranch_scc0 .LBB1057_196
; %bb.199:                              ;   in Loop: Header=BB1057_198 Depth=1
	s_mov_b64 s[4:5], s[22:23]
                                        ; implicit-def: $sgpr2_sgpr3
	s_branch .LBB1057_197
.LBB1057_200:
                                        ; implicit-def: $sgpr2
                                        ; implicit-def: $vgpr18_vgpr19
	s_cbranch_execnz .LBB1057_210
	s_branch .LBB1057_211
.LBB1057_201:
	s_set_inst_prefetch_distance 0x2
	s_or_b32 exec_lo, exec_lo, s25
	v_cmp_gt_i64_e64 s2, s[22:23], v[21:22]
	s_delay_alu instid0(VALU_DEP_1)
	s_or_not1_b32 s2, s2, exec_lo
.LBB1057_202:
	s_or_b32 exec_lo, exec_lo, s24
	v_mad_u64_u32 v[20:21], null, v11, s22, s[8:9]
	v_mul_lo_u32 v19, v11, s23
	v_mul_lo_u32 v22, v12, s22
	v_and_b32_e32 v23, 0xff, v24
	s_mov_b32 s24, 0
	s_delay_alu instid0(VALU_DEP_2) | instskip(SKIP_3) | instid1(VALU_DEP_1)
	v_add3_u32 v21, v22, v21, v19
	v_cndmask_b32_e64 v22, 0, 1, s2
	global_load_u8 v19, v[20:21], off
	v_lshlrev_b16 v22, 8, v22
	v_or_b32_e32 v22, v23, v22
	s_delay_alu instid0(VALU_DEP_1) | instskip(SKIP_2) | instid1(VALU_DEP_2)
	v_and_b32_e32 v22, 0xffff, v22
	s_waitcnt vmcnt(0)
	v_cmp_ne_u16_e64 s2, 0, v19
	v_and_or_b32 v19, 0xffff0000, v24, v22
	s_delay_alu instid0(VALU_DEP_2) | instskip(SKIP_2) | instid1(SALU_CYCLE_1)
	s_xor_b32 s3, vcc_lo, s2
	s_mov_b32 s2, -1
	s_xor_b32 s3, s3, -1
	s_and_saveexec_b32 s25, s3
	s_cbranch_execz .LBB1057_209
; %bb.203:
	s_mov_b64 s[4:5], 1
	s_mov_b32 s26, 0
                                        ; implicit-def: $sgpr27
	s_set_inst_prefetch_distance 0x1
	s_branch .LBB1057_206
	.p2align	6
.LBB1057_204:                           ;   in Loop: Header=BB1057_206 Depth=1
	v_add_co_u32 v22, vcc_lo, v20, s4
	v_add_co_ci_u32_e32 v23, vcc_lo, s5, v21, vcc_lo
	v_add_co_u32 v28, vcc_lo, v17, s4
	v_add_co_ci_u32_e32 v29, vcc_lo, s5, v18, vcc_lo
	s_clause 0x1
	global_load_u8 v22, v[22:23], off
	global_load_u8 v23, v[28:29], off
	s_waitcnt vmcnt(1)
	v_cmp_ne_u16_e32 vcc_lo, 0, v22
	s_waitcnt vmcnt(0)
	v_cmp_ne_u16_e64 s2, 0, v23
	s_delay_alu instid0(VALU_DEP_1) | instskip(SKIP_4) | instid1(SALU_CYCLE_1)
	s_xor_b32 s28, vcc_lo, s2
	s_add_u32 s2, s4, 1
	s_addc_u32 s3, s5, 0
	s_and_not1_b32 s27, s27, exec_lo
	s_and_b32 s28, s28, exec_lo
	s_or_b32 s27, s27, s28
.LBB1057_205:                           ;   in Loop: Header=BB1057_206 Depth=1
	v_dual_mov_b32 v23, s5 :: v_dual_mov_b32 v22, s4
	s_and_b32 s28, exec_lo, s27
	s_mov_b64 s[4:5], s[2:3]
	s_or_b32 s26, s28, s26
	s_delay_alu instid0(SALU_CYCLE_1)
	s_and_not1_b32 exec_lo, exec_lo, s26
	s_cbranch_execz .LBB1057_208
.LBB1057_206:                           ; =>This Inner Loop Header: Depth=1
	s_or_b32 s27, s27, exec_lo
	s_cmp_eq_u64 s[22:23], s[4:5]
	s_cbranch_scc0 .LBB1057_204
; %bb.207:                              ;   in Loop: Header=BB1057_206 Depth=1
	s_mov_b64 s[4:5], s[22:23]
                                        ; implicit-def: $sgpr2_sgpr3
	s_branch .LBB1057_205
.LBB1057_208:
	s_set_inst_prefetch_distance 0x2
	s_or_b32 exec_lo, exec_lo, s26
	v_cmp_gt_i64_e32 vcc_lo, s[22:23], v[22:23]
	s_or_not1_b32 s2, vcc_lo, exec_lo
.LBB1057_209:
	s_or_b32 exec_lo, exec_lo, s25
	s_delay_alu instid0(SALU_CYCLE_1)
	s_and_b32 vcc_lo, exec_lo, s24
	s_cbranch_vccz .LBB1057_211
.LBB1057_210:
	s_delay_alu instid0(VALU_DEP_1)
	v_and_b32_e32 v19, 0xffff00ff, v24
	s_and_not1_b32 s2, s2, exec_lo
.LBB1057_211:
	s_delay_alu instid0(VALU_DEP_1) | instskip(SKIP_2) | instid1(VALU_DEP_2)
	v_and_b32_e32 v17, 0xffffff00, v19
	v_cndmask_b32_e64 v18, 0, 1, s2
	v_cmp_ne_u32_e32 vcc_lo, 1, v26
	v_or_b32_e32 v17, v18, v17
	s_delay_alu instid0(VALU_DEP_1) | instskip(NEXT) | instid1(VALU_DEP_1)
	v_and_b32_e32 v17, 0xffff, v17
	v_and_or_b32 v18, 0xffff0000, v19, v17
	s_cbranch_vccnz .LBB1057_218
; %bb.212:
	v_mad_u64_u32 v[20:21], null, v9, s22, s[8:9]
	v_mul_lo_u32 v17, v9, s23
	v_mul_lo_u32 v19, v10, s22
	v_mad_u64_u32 v[22:23], null, v11, s22, s[8:9]
	v_mul_lo_u32 v24, v11, s23
	v_mul_lo_u32 v25, v12, s22
	s_delay_alu instid0(VALU_DEP_4) | instskip(NEXT) | instid1(VALU_DEP_2)
	v_add3_u32 v21, v19, v21, v17
	v_add3_u32 v23, v25, v23, v24
	s_clause 0x1
	global_load_u8 v17, v[20:21], off
	global_load_u8 v19, v[22:23], off
	s_waitcnt vmcnt(1)
	v_cmp_ne_u16_e32 vcc_lo, 0, v17
	s_waitcnt vmcnt(0)
	v_cmp_ne_u16_e64 s2, 0, v19
	s_delay_alu instid0(VALU_DEP_1) | instskip(SKIP_2) | instid1(SALU_CYCLE_1)
	s_xor_b32 s3, vcc_lo, s2
	s_mov_b32 s2, -1
	s_xor_b32 s3, s3, -1
	s_and_saveexec_b32 s24, s3
	s_cbranch_execz .LBB1057_220
; %bb.213:
	s_mov_b64 s[4:5], 1
	s_mov_b32 s25, 0
                                        ; implicit-def: $sgpr26
	s_set_inst_prefetch_distance 0x1
	s_branch .LBB1057_216
	.p2align	6
.LBB1057_214:                           ;   in Loop: Header=BB1057_216 Depth=1
	v_add_co_u32 v24, s2, v20, s4
	s_delay_alu instid0(VALU_DEP_1) | instskip(SKIP_1) | instid1(VALU_DEP_1)
	v_add_co_ci_u32_e64 v25, s2, s5, v21, s2
	v_add_co_u32 v28, s2, v22, s4
	v_add_co_ci_u32_e64 v29, s2, s5, v23, s2
	s_clause 0x1
	global_load_u8 v17, v[24:25], off
	global_load_u8 v19, v[28:29], off
	s_waitcnt vmcnt(1)
	v_cmp_ne_u16_e64 s2, 0, v17
	s_waitcnt vmcnt(0)
	v_cmp_ne_u16_e64 s3, 0, v19
	s_delay_alu instid0(VALU_DEP_1) | instskip(SKIP_4) | instid1(SALU_CYCLE_1)
	s_xor_b32 s27, s2, s3
	s_add_u32 s2, s4, 1
	s_addc_u32 s3, s5, 0
	s_and_not1_b32 s26, s26, exec_lo
	s_and_b32 s27, s27, exec_lo
	s_or_b32 s26, s26, s27
.LBB1057_215:                           ;   in Loop: Header=BB1057_216 Depth=1
	v_dual_mov_b32 v25, s5 :: v_dual_mov_b32 v24, s4
	s_and_b32 s27, exec_lo, s26
	s_mov_b64 s[4:5], s[2:3]
	s_or_b32 s25, s27, s25
	s_delay_alu instid0(SALU_CYCLE_1)
	s_and_not1_b32 exec_lo, exec_lo, s25
	s_cbranch_execz .LBB1057_219
.LBB1057_216:                           ; =>This Inner Loop Header: Depth=1
	s_or_b32 s26, s26, exec_lo
	s_cmp_eq_u64 s[22:23], s[4:5]
	s_cbranch_scc0 .LBB1057_214
; %bb.217:                              ;   in Loop: Header=BB1057_216 Depth=1
	s_mov_b64 s[4:5], s[22:23]
                                        ; implicit-def: $sgpr2_sgpr3
	s_branch .LBB1057_215
.LBB1057_218:
                                        ; implicit-def: $sgpr24
                                        ; implicit-def: $vgpr19_vgpr20
	s_cbranch_execnz .LBB1057_228
	s_branch .LBB1057_229
.LBB1057_219:
	s_set_inst_prefetch_distance 0x2
	s_or_b32 exec_lo, exec_lo, s25
	v_cmp_gt_i64_e64 s2, s[22:23], v[24:25]
	s_delay_alu instid0(VALU_DEP_1)
	s_or_not1_b32 s2, s2, exec_lo
.LBB1057_220:
	s_or_b32 exec_lo, exec_lo, s24
	v_mad_u64_u32 v[22:23], null, v15, s22, s[8:9]
	v_mul_lo_u32 v17, v15, s23
	v_mul_lo_u32 v19, v16, s22
	v_cndmask_b32_e64 v24, 0, 1, s2
	s_mov_b32 s25, 0
	s_mov_b32 s24, -1
	s_delay_alu instid0(VALU_DEP_1) | instskip(NEXT) | instid1(VALU_DEP_3)
	v_lshlrev_b16 v24, 8, v24
	v_add3_u32 v23, v19, v23, v17
	v_lshrrev_b32_e32 v19, 16, v27
	global_load_u8 v17, v[22:23], off
	v_and_b32_e32 v19, 0xff, v19
	s_delay_alu instid0(VALU_DEP_1) | instskip(NEXT) | instid1(VALU_DEP_1)
	v_or_b32_e32 v19, v19, v24
	v_lshlrev_b32_e32 v19, 16, v19
	s_delay_alu instid0(VALU_DEP_1) | instskip(SKIP_2) | instid1(VALU_DEP_1)
	v_and_or_b32 v19, 0xffff, v27, v19
	s_waitcnt vmcnt(0)
	v_cmp_ne_u16_e64 s2, 0, v17
	s_xor_b32 s2, vcc_lo, s2
	s_delay_alu instid0(SALU_CYCLE_1) | instskip(NEXT) | instid1(SALU_CYCLE_1)
	s_xor_b32 s2, s2, -1
	s_and_saveexec_b32 s26, s2
	s_cbranch_execz .LBB1057_227
; %bb.221:
	s_mov_b64 s[4:5], 1
	s_mov_b32 s24, 0
                                        ; implicit-def: $sgpr27
	s_set_inst_prefetch_distance 0x1
	s_branch .LBB1057_224
	.p2align	6
.LBB1057_222:                           ;   in Loop: Header=BB1057_224 Depth=1
	v_add_co_u32 v24, vcc_lo, v22, s4
	v_add_co_ci_u32_e32 v25, vcc_lo, s5, v23, vcc_lo
	v_add_co_u32 v28, vcc_lo, v20, s4
	v_add_co_ci_u32_e32 v29, vcc_lo, s5, v21, vcc_lo
	s_clause 0x1
	global_load_u8 v17, v[24:25], off
	global_load_u8 v24, v[28:29], off
	s_waitcnt vmcnt(1)
	v_cmp_ne_u16_e32 vcc_lo, 0, v17
	s_waitcnt vmcnt(0)
	v_cmp_ne_u16_e64 s2, 0, v24
	s_delay_alu instid0(VALU_DEP_1) | instskip(SKIP_4) | instid1(SALU_CYCLE_1)
	s_xor_b32 s28, vcc_lo, s2
	s_add_u32 s2, s4, 1
	s_addc_u32 s3, s5, 0
	s_and_not1_b32 s27, s27, exec_lo
	s_and_b32 s28, s28, exec_lo
	s_or_b32 s27, s27, s28
.LBB1057_223:                           ;   in Loop: Header=BB1057_224 Depth=1
	v_dual_mov_b32 v25, s5 :: v_dual_mov_b32 v24, s4
	s_and_b32 s28, exec_lo, s27
	s_mov_b64 s[4:5], s[2:3]
	s_or_b32 s24, s28, s24
	s_delay_alu instid0(SALU_CYCLE_1)
	s_and_not1_b32 exec_lo, exec_lo, s24
	s_cbranch_execz .LBB1057_226
.LBB1057_224:                           ; =>This Inner Loop Header: Depth=1
	s_or_b32 s27, s27, exec_lo
	s_cmp_eq_u64 s[22:23], s[4:5]
	s_cbranch_scc0 .LBB1057_222
; %bb.225:                              ;   in Loop: Header=BB1057_224 Depth=1
	s_mov_b64 s[4:5], s[22:23]
                                        ; implicit-def: $sgpr2_sgpr3
	s_branch .LBB1057_223
.LBB1057_226:
	s_set_inst_prefetch_distance 0x2
	s_or_b32 exec_lo, exec_lo, s24
	v_cmp_gt_i64_e32 vcc_lo, s[22:23], v[24:25]
	s_or_not1_b32 s24, vcc_lo, exec_lo
.LBB1057_227:
	s_or_b32 exec_lo, exec_lo, s26
	s_delay_alu instid0(SALU_CYCLE_1)
	s_and_b32 vcc_lo, exec_lo, s25
	s_cbranch_vccz .LBB1057_229
.LBB1057_228:
	v_and_b32_e32 v19, 0xffffff, v27
	s_and_not1_b32 s24, s24, exec_lo
.LBB1057_229:
	v_cmp_ne_u32_e32 vcc_lo, 1, v26
	s_mov_b32 s2, 0
	s_cbranch_vccnz .LBB1057_238
; %bb.230:
	v_mad_u64_u32 v[20:21], null, v13, s22, s[8:9]
	v_mul_lo_u32 v17, v13, s23
	v_mul_lo_u32 v24, v14, s22
	v_mad_u64_u32 v[22:23], null, v15, s22, s[8:9]
	v_mul_lo_u32 v25, v15, s23
	v_mul_lo_u32 v27, v16, s22
	s_mov_b32 s26, 0
	s_delay_alu instid0(VALU_DEP_4) | instskip(NEXT) | instid1(VALU_DEP_2)
	v_add3_u32 v21, v24, v21, v17
	v_add3_u32 v23, v27, v23, v25
	s_clause 0x1
	global_load_u8 v17, v[20:21], off
	global_load_u8 v24, v[22:23], off
	s_waitcnt vmcnt(1)
	v_cmp_ne_u16_e32 vcc_lo, 0, v17
	s_waitcnt vmcnt(0)
	v_cmp_ne_u16_e64 s2, 0, v24
	s_delay_alu instid0(VALU_DEP_1) | instskip(SKIP_2) | instid1(SALU_CYCLE_1)
	s_xor_b32 s3, vcc_lo, s2
	s_mov_b32 s2, -1
	s_xor_b32 s3, s3, -1
	s_and_saveexec_b32 s25, s3
	s_cbranch_execz .LBB1057_237
; %bb.231:
	s_mov_b64 s[4:5], 1
                                        ; implicit-def: $sgpr27
	s_set_inst_prefetch_distance 0x1
	s_branch .LBB1057_234
	.p2align	6
.LBB1057_232:                           ;   in Loop: Header=BB1057_234 Depth=1
	v_add_co_u32 v24, vcc_lo, v20, s4
	v_add_co_ci_u32_e32 v25, vcc_lo, s5, v21, vcc_lo
	v_add_co_u32 v27, vcc_lo, v22, s4
	v_add_co_ci_u32_e32 v28, vcc_lo, s5, v23, vcc_lo
	s_clause 0x1
	global_load_u8 v17, v[24:25], off
	global_load_u8 v24, v[27:28], off
	s_waitcnt vmcnt(1)
	v_cmp_ne_u16_e32 vcc_lo, 0, v17
	s_waitcnt vmcnt(0)
	v_cmp_ne_u16_e64 s2, 0, v24
	s_delay_alu instid0(VALU_DEP_1) | instskip(SKIP_4) | instid1(SALU_CYCLE_1)
	s_xor_b32 s28, vcc_lo, s2
	s_add_u32 s2, s4, 1
	s_addc_u32 s3, s5, 0
	s_and_not1_b32 s27, s27, exec_lo
	s_and_b32 s28, s28, exec_lo
	s_or_b32 s27, s27, s28
.LBB1057_233:                           ;   in Loop: Header=BB1057_234 Depth=1
	v_dual_mov_b32 v25, s5 :: v_dual_mov_b32 v24, s4
	s_and_b32 s28, exec_lo, s27
	s_mov_b64 s[4:5], s[2:3]
	s_or_b32 s26, s28, s26
	s_delay_alu instid0(SALU_CYCLE_1)
	s_and_not1_b32 exec_lo, exec_lo, s26
	s_cbranch_execz .LBB1057_236
.LBB1057_234:                           ; =>This Inner Loop Header: Depth=1
	s_or_b32 s27, s27, exec_lo
	s_cmp_eq_u64 s[22:23], s[4:5]
	s_cbranch_scc0 .LBB1057_232
; %bb.235:                              ;   in Loop: Header=BB1057_234 Depth=1
	s_mov_b64 s[4:5], s[22:23]
                                        ; implicit-def: $sgpr2_sgpr3
	s_branch .LBB1057_233
.LBB1057_236:
	s_set_inst_prefetch_distance 0x2
	s_or_b32 exec_lo, exec_lo, s26
	v_cmp_gt_i64_e32 vcc_lo, s[22:23], v[24:25]
	s_or_not1_b32 s2, vcc_lo, exec_lo
.LBB1057_237:
	s_or_b32 exec_lo, exec_lo, s25
.LBB1057_238:
	v_cndmask_b32_e64 v17, 0, 1, s2
	v_lshrrev_b32_e32 v19, 16, v19
	v_cndmask_b32_e64 v20, 0, 1, s24
	s_barrier
	s_delay_alu instid0(VALU_DEP_3) | instskip(NEXT) | instid1(VALU_DEP_3)
	v_lshlrev_b16 v17, 8, v17
	v_and_b32_e32 v19, 0xffffff00, v19
	buffer_gl0_inv
                                        ; implicit-def: $sgpr2
	s_mov_b32 s3, exec_lo
	v_or_b32_e32 v17, 1, v17
	v_or_b32_e32 v19, v20, v19
	s_delay_alu instid0(VALU_DEP_2) | instskip(NEXT) | instid1(VALU_DEP_2)
	v_and_b32_e32 v17, 0xffff, v17
	v_lshlrev_b32_e32 v19, 16, v19
	s_delay_alu instid0(VALU_DEP_1)
	v_or_b32_e32 v17, v17, v19
	v_cmpx_ne_u32_e32 0, v0
	s_xor_b32 s24, exec_lo, s3
	s_cbranch_execz .LBB1057_249
; %bb.239:
	v_cmp_ne_u32_e32 vcc_lo, 1, v26
	s_mov_b32 s2, 0
	s_cbranch_vccnz .LBB1057_248
; %bb.240:
	v_add_nc_u32_e32 v19, -8, v39
	v_mul_lo_u32 v25, v13, s23
	s_mov_b32 s26, 0
	ds_load_b64 v[23:24], v19
	v_mad_u64_u32 v[19:20], null, v13, s22, s[8:9]
	s_waitcnt lgkmcnt(0)
	v_mul_lo_u32 v26, v23, s23
	v_mul_lo_u32 v24, v24, s22
	v_mad_u64_u32 v[21:22], null, v23, s22, s[8:9]
	v_mul_lo_u32 v23, v14, s22
	s_delay_alu instid0(VALU_DEP_2) | instskip(NEXT) | instid1(VALU_DEP_2)
	v_add3_u32 v22, v24, v22, v26
	v_add3_u32 v20, v23, v20, v25
	s_clause 0x1
	global_load_u8 v23, v[21:22], off
	global_load_u8 v24, v[19:20], off
	s_waitcnt vmcnt(1)
	v_cmp_ne_u16_e32 vcc_lo, 0, v23
	s_waitcnt vmcnt(0)
	v_cmp_ne_u16_e64 s2, 0, v24
	s_delay_alu instid0(VALU_DEP_1) | instskip(SKIP_2) | instid1(SALU_CYCLE_1)
	s_xor_b32 s3, vcc_lo, s2
	s_mov_b32 s2, -1
	s_xor_b32 s3, s3, -1
	s_and_saveexec_b32 s25, s3
	s_cbranch_execz .LBB1057_247
; %bb.241:
	s_mov_b64 s[4:5], 1
                                        ; implicit-def: $sgpr27
	s_set_inst_prefetch_distance 0x1
	s_branch .LBB1057_244
	.p2align	6
.LBB1057_242:                           ;   in Loop: Header=BB1057_244 Depth=1
	v_add_co_u32 v23, vcc_lo, v21, s4
	v_add_co_ci_u32_e32 v24, vcc_lo, s5, v22, vcc_lo
	v_add_co_u32 v25, vcc_lo, v19, s4
	v_add_co_ci_u32_e32 v26, vcc_lo, s5, v20, vcc_lo
	s_clause 0x1
	global_load_u8 v23, v[23:24], off
	global_load_u8 v24, v[25:26], off
	s_waitcnt vmcnt(1)
	v_cmp_ne_u16_e32 vcc_lo, 0, v23
	s_waitcnt vmcnt(0)
	v_cmp_ne_u16_e64 s2, 0, v24
	s_delay_alu instid0(VALU_DEP_1) | instskip(SKIP_4) | instid1(SALU_CYCLE_1)
	s_xor_b32 s28, vcc_lo, s2
	s_add_u32 s2, s4, 1
	s_addc_u32 s3, s5, 0
	s_and_not1_b32 s27, s27, exec_lo
	s_and_b32 s28, s28, exec_lo
	s_or_b32 s27, s27, s28
.LBB1057_243:                           ;   in Loop: Header=BB1057_244 Depth=1
	v_dual_mov_b32 v24, s5 :: v_dual_mov_b32 v23, s4
	s_and_b32 s28, exec_lo, s27
	s_mov_b64 s[4:5], s[2:3]
	s_or_b32 s26, s28, s26
	s_delay_alu instid0(SALU_CYCLE_1)
	s_and_not1_b32 exec_lo, exec_lo, s26
	s_cbranch_execz .LBB1057_246
.LBB1057_244:                           ; =>This Inner Loop Header: Depth=1
	s_or_b32 s27, s27, exec_lo
	s_cmp_eq_u64 s[22:23], s[4:5]
	s_cbranch_scc0 .LBB1057_242
; %bb.245:                              ;   in Loop: Header=BB1057_244 Depth=1
	s_mov_b64 s[4:5], s[22:23]
                                        ; implicit-def: $sgpr2_sgpr3
	s_branch .LBB1057_243
.LBB1057_246:
	s_set_inst_prefetch_distance 0x2
	s_or_b32 exec_lo, exec_lo, s26
	v_cmp_gt_i64_e32 vcc_lo, s[22:23], v[23:24]
	s_or_not1_b32 s2, vcc_lo, exec_lo
.LBB1057_247:
	s_or_b32 exec_lo, exec_lo, s25
.LBB1057_248:
	s_delay_alu instid0(SALU_CYCLE_1)
	s_and_b32 s2, s2, exec_lo
	s_or_b32 s6, s6, exec_lo
.LBB1057_249:
	s_or_b32 exec_lo, exec_lo, s24
	s_branch .LBB1057_325
.LBB1057_250:
	v_or_b32_e32 v17, 7, v39
	v_mul_lo_u32 v24, v1, s23
	v_mul_lo_u32 v26, v2, s22
	s_xor_b32 s7, s7, -1
	s_mov_b32 s3, -1
	v_cmp_gt_u32_e32 vcc_lo, s20, v17
	s_mov_b32 s24, 0
	s_mov_b32 s25, 0
	s_and_b32 s2, vcc_lo, s7
	s_delay_alu instid0(SALU_CYCLE_1)
	s_and_saveexec_b32 s26, s2
	s_cbranch_execz .LBB1057_259
; %bb.251:
	v_mad_u64_u32 v[17:18], null, v1, s22, s[8:9]
	s_waitcnt lgkmcnt(0)
	v_mad_u64_u32 v[19:20], null, v3, s22, s[8:9]
	v_mul_lo_u32 v21, v3, s23
	v_mul_lo_u32 v22, v4, s22
	s_mov_b32 s27, 0
	s_delay_alu instid0(VALU_DEP_4) | instskip(NEXT) | instid1(VALU_DEP_2)
	v_add3_u32 v18, v26, v18, v24
	v_add3_u32 v20, v22, v20, v21
	s_clause 0x1
	global_load_u8 v21, v[17:18], off
	global_load_u8 v22, v[19:20], off
	s_waitcnt vmcnt(1)
	v_cmp_ne_u16_e32 vcc_lo, 0, v21
	s_waitcnt vmcnt(0)
	v_cmp_ne_u16_e64 s2, 0, v22
	s_delay_alu instid0(VALU_DEP_1) | instskip(NEXT) | instid1(SALU_CYCLE_1)
	s_xor_b32 s2, vcc_lo, s2
	s_xor_b32 s2, s2, -1
	s_delay_alu instid0(SALU_CYCLE_1)
	s_and_saveexec_b32 s25, s2
	s_cbranch_execz .LBB1057_258
; %bb.252:
	s_mov_b64 s[4:5], 1
                                        ; implicit-def: $sgpr28
	s_set_inst_prefetch_distance 0x1
	s_branch .LBB1057_255
	.p2align	6
.LBB1057_253:                           ;   in Loop: Header=BB1057_255 Depth=1
	v_add_co_u32 v21, vcc_lo, v17, s4
	v_add_co_ci_u32_e32 v22, vcc_lo, s5, v18, vcc_lo
	v_add_co_u32 v27, vcc_lo, v19, s4
	v_add_co_ci_u32_e32 v28, vcc_lo, s5, v20, vcc_lo
	s_clause 0x1
	global_load_u8 v21, v[21:22], off
	global_load_u8 v22, v[27:28], off
	s_waitcnt vmcnt(1)
	v_cmp_ne_u16_e32 vcc_lo, 0, v21
	s_waitcnt vmcnt(0)
	v_cmp_ne_u16_e64 s2, 0, v22
	s_delay_alu instid0(VALU_DEP_1) | instskip(SKIP_4) | instid1(SALU_CYCLE_1)
	s_xor_b32 s29, vcc_lo, s2
	s_add_u32 s2, s4, 1
	s_addc_u32 s3, s5, 0
	s_and_not1_b32 s28, s28, exec_lo
	s_and_b32 s29, s29, exec_lo
	s_or_b32 s28, s28, s29
.LBB1057_254:                           ;   in Loop: Header=BB1057_255 Depth=1
	v_dual_mov_b32 v22, s5 :: v_dual_mov_b32 v21, s4
	s_and_b32 s29, exec_lo, s28
	s_mov_b64 s[4:5], s[2:3]
	s_or_b32 s27, s29, s27
	s_delay_alu instid0(SALU_CYCLE_1)
	s_and_not1_b32 exec_lo, exec_lo, s27
	s_cbranch_execz .LBB1057_257
.LBB1057_255:                           ; =>This Inner Loop Header: Depth=1
	s_or_b32 s28, s28, exec_lo
	s_cmp_eq_u64 s[22:23], s[4:5]
	s_cbranch_scc0 .LBB1057_253
; %bb.256:                              ;   in Loop: Header=BB1057_255 Depth=1
	s_mov_b64 s[4:5], s[22:23]
                                        ; implicit-def: $sgpr2_sgpr3
	s_branch .LBB1057_254
.LBB1057_257:
	s_set_inst_prefetch_distance 0x2
	s_or_b32 exec_lo, exec_lo, s27
	v_cmp_gt_i64_e32 vcc_lo, s[22:23], v[21:22]
	s_or_not1_b32 s3, vcc_lo, exec_lo
.LBB1057_258:
	s_or_b32 exec_lo, exec_lo, s25
	s_delay_alu instid0(SALU_CYCLE_1)
	s_and_b32 s25, s3, exec_lo
.LBB1057_259:
	s_or_b32 exec_lo, exec_lo, s26
	v_or_b32_e32 v17, 6, v39
	v_mul_lo_u32 v23, v7, s23
	v_mul_lo_u32 v25, v8, s22
	s_delay_alu instid0(VALU_DEP_3) | instskip(SKIP_1) | instid1(SALU_CYCLE_1)
	v_cmp_gt_u32_e32 vcc_lo, s20, v17
	s_and_b32 s2, vcc_lo, s7
	s_and_saveexec_b32 s26, s2
	s_cbranch_execz .LBB1057_268
; %bb.260:
	v_mad_u64_u32 v[17:18], null, v7, s22, s[8:9]
	s_waitcnt lgkmcnt(0)
	v_mad_u64_u32 v[19:20], null, v1, s22, s[8:9]
	s_mov_b32 s27, 0
	s_delay_alu instid0(VALU_DEP_2) | instskip(NEXT) | instid1(VALU_DEP_2)
	v_add3_u32 v18, v25, v18, v23
	v_add3_u32 v20, v26, v20, v24
	s_clause 0x1
	global_load_u8 v21, v[17:18], off
	global_load_u8 v22, v[19:20], off
	s_waitcnt vmcnt(1)
	v_cmp_ne_u16_e32 vcc_lo, 0, v21
	s_waitcnt vmcnt(0)
	v_cmp_ne_u16_e64 s2, 0, v22
	s_delay_alu instid0(VALU_DEP_1) | instskip(SKIP_2) | instid1(SALU_CYCLE_1)
	s_xor_b32 s3, vcc_lo, s2
	s_mov_b32 s2, -1
	s_xor_b32 s3, s3, -1
	s_and_saveexec_b32 s24, s3
	s_cbranch_execz .LBB1057_267
; %bb.261:
	s_mov_b64 s[4:5], 1
                                        ; implicit-def: $sgpr28
	s_set_inst_prefetch_distance 0x1
	s_branch .LBB1057_264
	.p2align	6
.LBB1057_262:                           ;   in Loop: Header=BB1057_264 Depth=1
	v_add_co_u32 v21, vcc_lo, v17, s4
	v_add_co_ci_u32_e32 v22, vcc_lo, s5, v18, vcc_lo
	v_add_co_u32 v26, vcc_lo, v19, s4
	v_add_co_ci_u32_e32 v27, vcc_lo, s5, v20, vcc_lo
	s_clause 0x1
	global_load_u8 v21, v[21:22], off
	global_load_u8 v22, v[26:27], off
	s_waitcnt vmcnt(1)
	v_cmp_ne_u16_e32 vcc_lo, 0, v21
	s_waitcnt vmcnt(0)
	v_cmp_ne_u16_e64 s2, 0, v22
	s_delay_alu instid0(VALU_DEP_1) | instskip(SKIP_4) | instid1(SALU_CYCLE_1)
	s_xor_b32 s29, vcc_lo, s2
	s_add_u32 s2, s4, 1
	s_addc_u32 s3, s5, 0
	s_and_not1_b32 s28, s28, exec_lo
	s_and_b32 s29, s29, exec_lo
	s_or_b32 s28, s28, s29
.LBB1057_263:                           ;   in Loop: Header=BB1057_264 Depth=1
	v_dual_mov_b32 v22, s5 :: v_dual_mov_b32 v21, s4
	s_and_b32 s29, exec_lo, s28
	s_mov_b64 s[4:5], s[2:3]
	s_or_b32 s27, s29, s27
	s_delay_alu instid0(SALU_CYCLE_1)
	s_and_not1_b32 exec_lo, exec_lo, s27
	s_cbranch_execz .LBB1057_266
.LBB1057_264:                           ; =>This Inner Loop Header: Depth=1
	s_or_b32 s28, s28, exec_lo
	s_cmp_eq_u64 s[22:23], s[4:5]
	s_cbranch_scc0 .LBB1057_262
; %bb.265:                              ;   in Loop: Header=BB1057_264 Depth=1
	s_mov_b64 s[4:5], s[22:23]
                                        ; implicit-def: $sgpr2_sgpr3
	s_branch .LBB1057_263
.LBB1057_266:
	s_set_inst_prefetch_distance 0x2
	s_or_b32 exec_lo, exec_lo, s27
	v_cmp_gt_i64_e32 vcc_lo, s[22:23], v[21:22]
	s_or_not1_b32 s2, vcc_lo, exec_lo
.LBB1057_267:
	s_or_b32 exec_lo, exec_lo, s24
	s_delay_alu instid0(SALU_CYCLE_1)
	s_and_b32 s24, s2, exec_lo
.LBB1057_268:
	s_or_b32 exec_lo, exec_lo, s26
	v_or_b32_e32 v17, 5, v39
	v_mul_lo_u32 v26, v5, s23
	v_mul_lo_u32 v27, v6, s22
	s_mov_b32 s3, -1
	s_mov_b32 s26, 0
	v_cmp_gt_u32_e32 vcc_lo, s20, v17
	s_mov_b32 s27, 0
	s_and_b32 s2, vcc_lo, s7
	s_delay_alu instid0(SALU_CYCLE_1)
	s_and_saveexec_b32 s28, s2
	s_cbranch_execz .LBB1057_277
; %bb.269:
	v_mad_u64_u32 v[17:18], null, v5, s22, s[8:9]
	s_waitcnt lgkmcnt(0)
	v_mad_u64_u32 v[19:20], null, v7, s22, s[8:9]
	s_mov_b32 s29, 0
	s_delay_alu instid0(VALU_DEP_2) | instskip(NEXT) | instid1(VALU_DEP_2)
	v_add3_u32 v18, v27, v18, v26
	v_add3_u32 v20, v25, v20, v23
	s_clause 0x1
	global_load_u8 v21, v[17:18], off
	global_load_u8 v22, v[19:20], off
	s_waitcnt vmcnt(1)
	v_cmp_ne_u16_e32 vcc_lo, 0, v21
	s_waitcnt vmcnt(0)
	v_cmp_ne_u16_e64 s2, 0, v22
	s_delay_alu instid0(VALU_DEP_1) | instskip(NEXT) | instid1(SALU_CYCLE_1)
	s_xor_b32 s2, vcc_lo, s2
	s_xor_b32 s2, s2, -1
	s_delay_alu instid0(SALU_CYCLE_1)
	s_and_saveexec_b32 s27, s2
	s_cbranch_execz .LBB1057_276
; %bb.270:
	s_mov_b64 s[4:5], 1
                                        ; implicit-def: $sgpr30
	s_set_inst_prefetch_distance 0x1
	s_branch .LBB1057_273
	.p2align	6
.LBB1057_271:                           ;   in Loop: Header=BB1057_273 Depth=1
	v_add_co_u32 v21, vcc_lo, v17, s4
	v_add_co_ci_u32_e32 v22, vcc_lo, s5, v18, vcc_lo
	v_add_co_u32 v23, vcc_lo, v19, s4
	v_add_co_ci_u32_e32 v24, vcc_lo, s5, v20, vcc_lo
	s_clause 0x1
	global_load_u8 v21, v[21:22], off
	global_load_u8 v22, v[23:24], off
	s_waitcnt vmcnt(1)
	v_cmp_ne_u16_e32 vcc_lo, 0, v21
	s_waitcnt vmcnt(0)
	v_cmp_ne_u16_e64 s2, 0, v22
	s_delay_alu instid0(VALU_DEP_1) | instskip(SKIP_4) | instid1(SALU_CYCLE_1)
	s_xor_b32 s31, vcc_lo, s2
	s_add_u32 s2, s4, 1
	s_addc_u32 s3, s5, 0
	s_and_not1_b32 s30, s30, exec_lo
	s_and_b32 s31, s31, exec_lo
	s_or_b32 s30, s30, s31
.LBB1057_272:                           ;   in Loop: Header=BB1057_273 Depth=1
	v_dual_mov_b32 v22, s5 :: v_dual_mov_b32 v21, s4
	s_and_b32 s31, exec_lo, s30
	s_mov_b64 s[4:5], s[2:3]
	s_or_b32 s29, s31, s29
	s_delay_alu instid0(SALU_CYCLE_1)
	s_and_not1_b32 exec_lo, exec_lo, s29
	s_cbranch_execz .LBB1057_275
.LBB1057_273:                           ; =>This Inner Loop Header: Depth=1
	s_or_b32 s30, s30, exec_lo
	s_cmp_eq_u64 s[22:23], s[4:5]
	s_cbranch_scc0 .LBB1057_271
; %bb.274:                              ;   in Loop: Header=BB1057_273 Depth=1
	s_mov_b64 s[4:5], s[22:23]
                                        ; implicit-def: $sgpr2_sgpr3
	s_branch .LBB1057_272
.LBB1057_275:
	s_set_inst_prefetch_distance 0x2
	s_or_b32 exec_lo, exec_lo, s29
	v_cmp_gt_i64_e32 vcc_lo, s[22:23], v[21:22]
	s_or_not1_b32 s3, vcc_lo, exec_lo
.LBB1057_276:
	s_or_b32 exec_lo, exec_lo, s27
	s_delay_alu instid0(SALU_CYCLE_1)
	s_and_b32 s27, s3, exec_lo
.LBB1057_277:
	s_or_b32 exec_lo, exec_lo, s28
	v_or_b32_e32 v17, 4, v39
	v_mul_lo_u32 v23, v11, s23
	v_mul_lo_u32 v24, v12, s22
	s_delay_alu instid0(VALU_DEP_3) | instskip(SKIP_1) | instid1(SALU_CYCLE_1)
	v_cmp_gt_u32_e32 vcc_lo, s20, v17
	s_and_b32 s2, vcc_lo, s7
	s_and_saveexec_b32 s28, s2
	s_cbranch_execz .LBB1057_286
; %bb.278:
	v_mad_u64_u32 v[17:18], null, v11, s22, s[8:9]
	s_waitcnt lgkmcnt(0)
	v_mad_u64_u32 v[19:20], null, v5, s22, s[8:9]
	s_mov_b32 s29, 0
	s_delay_alu instid0(VALU_DEP_2) | instskip(NEXT) | instid1(VALU_DEP_2)
	v_add3_u32 v18, v24, v18, v23
	v_add3_u32 v20, v27, v20, v26
	s_clause 0x1
	global_load_u8 v21, v[17:18], off
	global_load_u8 v22, v[19:20], off
	s_waitcnt vmcnt(1)
	v_cmp_ne_u16_e32 vcc_lo, 0, v21
	s_waitcnt vmcnt(0)
	v_cmp_ne_u16_e64 s2, 0, v22
	s_delay_alu instid0(VALU_DEP_1) | instskip(SKIP_2) | instid1(SALU_CYCLE_1)
	s_xor_b32 s3, vcc_lo, s2
	s_mov_b32 s2, -1
	s_xor_b32 s3, s3, -1
	s_and_saveexec_b32 s26, s3
	s_cbranch_execz .LBB1057_285
; %bb.279:
	s_mov_b64 s[4:5], 1
                                        ; implicit-def: $sgpr30
	s_set_inst_prefetch_distance 0x1
	s_branch .LBB1057_282
	.p2align	6
.LBB1057_280:                           ;   in Loop: Header=BB1057_282 Depth=1
	v_add_co_u32 v21, vcc_lo, v17, s4
	v_add_co_ci_u32_e32 v22, vcc_lo, s5, v18, vcc_lo
	v_add_co_u32 v25, vcc_lo, v19, s4
	v_add_co_ci_u32_e32 v26, vcc_lo, s5, v20, vcc_lo
	s_clause 0x1
	global_load_u8 v21, v[21:22], off
	global_load_u8 v22, v[25:26], off
	s_waitcnt vmcnt(1)
	v_cmp_ne_u16_e32 vcc_lo, 0, v21
	s_waitcnt vmcnt(0)
	v_cmp_ne_u16_e64 s2, 0, v22
	s_delay_alu instid0(VALU_DEP_1) | instskip(SKIP_4) | instid1(SALU_CYCLE_1)
	s_xor_b32 s31, vcc_lo, s2
	s_add_u32 s2, s4, 1
	s_addc_u32 s3, s5, 0
	s_and_not1_b32 s30, s30, exec_lo
	s_and_b32 s31, s31, exec_lo
	s_or_b32 s30, s30, s31
.LBB1057_281:                           ;   in Loop: Header=BB1057_282 Depth=1
	v_dual_mov_b32 v22, s5 :: v_dual_mov_b32 v21, s4
	s_and_b32 s31, exec_lo, s30
	s_mov_b64 s[4:5], s[2:3]
	s_or_b32 s29, s31, s29
	s_delay_alu instid0(SALU_CYCLE_1)
	s_and_not1_b32 exec_lo, exec_lo, s29
	s_cbranch_execz .LBB1057_284
.LBB1057_282:                           ; =>This Inner Loop Header: Depth=1
	s_or_b32 s30, s30, exec_lo
	s_cmp_eq_u64 s[22:23], s[4:5]
	s_cbranch_scc0 .LBB1057_280
; %bb.283:                              ;   in Loop: Header=BB1057_282 Depth=1
	s_mov_b64 s[4:5], s[22:23]
                                        ; implicit-def: $sgpr2_sgpr3
	s_branch .LBB1057_281
.LBB1057_284:
	s_set_inst_prefetch_distance 0x2
	s_or_b32 exec_lo, exec_lo, s29
	v_cmp_gt_i64_e32 vcc_lo, s[22:23], v[21:22]
	s_or_not1_b32 s2, vcc_lo, exec_lo
.LBB1057_285:
	s_or_b32 exec_lo, exec_lo, s26
	s_delay_alu instid0(SALU_CYCLE_1)
	s_and_b32 s26, s2, exec_lo
.LBB1057_286:
	s_or_b32 exec_lo, exec_lo, s28
	v_or_b32_e32 v17, 3, v39
	v_mul_lo_u32 v25, v9, s23
	v_mul_lo_u32 v26, v10, s22
	s_mov_b32 s3, -1
	s_mov_b32 s29, 0
	v_cmp_gt_u32_e32 vcc_lo, s20, v17
	s_mov_b32 s28, 0
	s_and_b32 s2, vcc_lo, s7
	s_delay_alu instid0(SALU_CYCLE_1)
	s_and_saveexec_b32 s30, s2
	s_cbranch_execz .LBB1057_295
; %bb.287:
	v_mad_u64_u32 v[17:18], null, v9, s22, s[8:9]
	s_waitcnt lgkmcnt(0)
	v_mad_u64_u32 v[19:20], null, v11, s22, s[8:9]
	s_mov_b32 s31, 0
	s_delay_alu instid0(VALU_DEP_2) | instskip(NEXT) | instid1(VALU_DEP_2)
	v_add3_u32 v18, v26, v18, v25
	v_add3_u32 v20, v24, v20, v23
	s_clause 0x1
	global_load_u8 v21, v[17:18], off
	global_load_u8 v22, v[19:20], off
	s_waitcnt vmcnt(1)
	v_cmp_ne_u16_e32 vcc_lo, 0, v21
	s_waitcnt vmcnt(0)
	v_cmp_ne_u16_e64 s2, 0, v22
	s_delay_alu instid0(VALU_DEP_1) | instskip(NEXT) | instid1(SALU_CYCLE_1)
	s_xor_b32 s2, vcc_lo, s2
	s_xor_b32 s2, s2, -1
	s_delay_alu instid0(SALU_CYCLE_1)
	s_and_saveexec_b32 s28, s2
	s_cbranch_execz .LBB1057_294
; %bb.288:
	s_mov_b64 s[4:5], 1
                                        ; implicit-def: $sgpr33
	s_set_inst_prefetch_distance 0x1
	s_branch .LBB1057_291
	.p2align	6
.LBB1057_289:                           ;   in Loop: Header=BB1057_291 Depth=1
	v_add_co_u32 v21, vcc_lo, v17, s4
	v_add_co_ci_u32_e32 v22, vcc_lo, s5, v18, vcc_lo
	v_add_co_u32 v23, vcc_lo, v19, s4
	v_add_co_ci_u32_e32 v24, vcc_lo, s5, v20, vcc_lo
	s_clause 0x1
	global_load_u8 v21, v[21:22], off
	global_load_u8 v22, v[23:24], off
	s_waitcnt vmcnt(1)
	v_cmp_ne_u16_e32 vcc_lo, 0, v21
	s_waitcnt vmcnt(0)
	v_cmp_ne_u16_e64 s2, 0, v22
	s_delay_alu instid0(VALU_DEP_1) | instskip(SKIP_4) | instid1(SALU_CYCLE_1)
	s_xor_b32 s34, vcc_lo, s2
	s_add_u32 s2, s4, 1
	s_addc_u32 s3, s5, 0
	s_and_not1_b32 s33, s33, exec_lo
	s_and_b32 s34, s34, exec_lo
	s_or_b32 s33, s33, s34
.LBB1057_290:                           ;   in Loop: Header=BB1057_291 Depth=1
	v_dual_mov_b32 v22, s5 :: v_dual_mov_b32 v21, s4
	s_and_b32 s34, exec_lo, s33
	s_mov_b64 s[4:5], s[2:3]
	s_or_b32 s31, s34, s31
	s_delay_alu instid0(SALU_CYCLE_1)
	s_and_not1_b32 exec_lo, exec_lo, s31
	s_cbranch_execz .LBB1057_293
.LBB1057_291:                           ; =>This Inner Loop Header: Depth=1
	s_or_b32 s33, s33, exec_lo
	s_cmp_eq_u64 s[22:23], s[4:5]
	s_cbranch_scc0 .LBB1057_289
; %bb.292:                              ;   in Loop: Header=BB1057_291 Depth=1
	s_mov_b64 s[4:5], s[22:23]
                                        ; implicit-def: $sgpr2_sgpr3
	s_branch .LBB1057_290
.LBB1057_293:
	s_set_inst_prefetch_distance 0x2
	s_or_b32 exec_lo, exec_lo, s31
	v_cmp_gt_i64_e32 vcc_lo, s[22:23], v[21:22]
	s_or_not1_b32 s3, vcc_lo, exec_lo
.LBB1057_294:
	s_or_b32 exec_lo, exec_lo, s28
	s_delay_alu instid0(SALU_CYCLE_1)
	s_and_b32 s28, s3, exec_lo
.LBB1057_295:
	s_or_b32 exec_lo, exec_lo, s30
	v_or_b32_e32 v17, 2, v39
	v_mul_lo_u32 v23, v15, s23
	v_mul_lo_u32 v24, v16, s22
	s_delay_alu instid0(VALU_DEP_3) | instskip(SKIP_1) | instid1(SALU_CYCLE_1)
	v_cmp_gt_u32_e32 vcc_lo, s20, v17
	s_and_b32 s2, vcc_lo, s7
	s_and_saveexec_b32 s30, s2
	s_cbranch_execz .LBB1057_304
; %bb.296:
	v_mad_u64_u32 v[17:18], null, v15, s22, s[8:9]
	s_waitcnt lgkmcnt(0)
	v_mad_u64_u32 v[19:20], null, v9, s22, s[8:9]
	s_mov_b32 s31, 0
	s_delay_alu instid0(VALU_DEP_2) | instskip(NEXT) | instid1(VALU_DEP_2)
	v_add3_u32 v18, v24, v18, v23
	v_add3_u32 v20, v26, v20, v25
	s_clause 0x1
	global_load_u8 v21, v[17:18], off
	global_load_u8 v22, v[19:20], off
	s_waitcnt vmcnt(1)
	v_cmp_ne_u16_e32 vcc_lo, 0, v21
	s_waitcnt vmcnt(0)
	v_cmp_ne_u16_e64 s2, 0, v22
	s_delay_alu instid0(VALU_DEP_1) | instskip(SKIP_2) | instid1(SALU_CYCLE_1)
	s_xor_b32 s3, vcc_lo, s2
	s_mov_b32 s2, -1
	s_xor_b32 s3, s3, -1
	s_and_saveexec_b32 s29, s3
	s_cbranch_execz .LBB1057_303
; %bb.297:
	s_mov_b64 s[4:5], 1
                                        ; implicit-def: $sgpr33
	s_set_inst_prefetch_distance 0x1
	s_branch .LBB1057_300
	.p2align	6
.LBB1057_298:                           ;   in Loop: Header=BB1057_300 Depth=1
	v_add_co_u32 v21, vcc_lo, v17, s4
	v_add_co_ci_u32_e32 v22, vcc_lo, s5, v18, vcc_lo
	v_add_co_u32 v25, vcc_lo, v19, s4
	v_add_co_ci_u32_e32 v26, vcc_lo, s5, v20, vcc_lo
	s_clause 0x1
	global_load_u8 v21, v[21:22], off
	global_load_u8 v22, v[25:26], off
	s_waitcnt vmcnt(1)
	v_cmp_ne_u16_e32 vcc_lo, 0, v21
	s_waitcnt vmcnt(0)
	v_cmp_ne_u16_e64 s2, 0, v22
	s_delay_alu instid0(VALU_DEP_1) | instskip(SKIP_4) | instid1(SALU_CYCLE_1)
	s_xor_b32 s34, vcc_lo, s2
	s_add_u32 s2, s4, 1
	s_addc_u32 s3, s5, 0
	s_and_not1_b32 s33, s33, exec_lo
	s_and_b32 s34, s34, exec_lo
	s_or_b32 s33, s33, s34
.LBB1057_299:                           ;   in Loop: Header=BB1057_300 Depth=1
	v_dual_mov_b32 v22, s5 :: v_dual_mov_b32 v21, s4
	s_and_b32 s34, exec_lo, s33
	s_mov_b64 s[4:5], s[2:3]
	s_or_b32 s31, s34, s31
	s_delay_alu instid0(SALU_CYCLE_1)
	s_and_not1_b32 exec_lo, exec_lo, s31
	s_cbranch_execz .LBB1057_302
.LBB1057_300:                           ; =>This Inner Loop Header: Depth=1
	s_or_b32 s33, s33, exec_lo
	s_cmp_eq_u64 s[22:23], s[4:5]
	s_cbranch_scc0 .LBB1057_298
; %bb.301:                              ;   in Loop: Header=BB1057_300 Depth=1
	s_mov_b64 s[4:5], s[22:23]
                                        ; implicit-def: $sgpr2_sgpr3
	s_branch .LBB1057_299
.LBB1057_302:
	s_set_inst_prefetch_distance 0x2
	s_or_b32 exec_lo, exec_lo, s31
	v_cmp_gt_i64_e32 vcc_lo, s[22:23], v[21:22]
	s_or_not1_b32 s2, vcc_lo, exec_lo
.LBB1057_303:
	s_or_b32 exec_lo, exec_lo, s29
	s_delay_alu instid0(SALU_CYCLE_1)
	s_and_b32 s29, s2, exec_lo
.LBB1057_304:
	s_or_b32 exec_lo, exec_lo, s30
	v_or_b32_e32 v17, 1, v39
	s_mov_b32 s3, -1
	s_mov_b32 s2, 0
	s_delay_alu instid0(VALU_DEP_1) | instskip(SKIP_2) | instid1(SALU_CYCLE_1)
	v_cmp_gt_u32_e32 vcc_lo, s20, v17
	s_waitcnt lgkmcnt(0)
	s_and_b32 s4, vcc_lo, s7
	s_and_saveexec_b32 s30, s4
	s_cbranch_execz .LBB1057_313
; %bb.305:
	v_mad_u64_u32 v[17:18], null, v13, s22, s[8:9]
	v_mul_lo_u32 v21, v13, s23
	v_mul_lo_u32 v22, v14, s22
	v_mad_u64_u32 v[19:20], null, v15, s22, s[8:9]
	s_mov_b32 s33, 0
	s_delay_alu instid0(VALU_DEP_2) | instskip(NEXT) | instid1(VALU_DEP_2)
	v_add3_u32 v18, v22, v18, v21
	v_add3_u32 v20, v24, v20, v23
	s_clause 0x1
	global_load_u8 v21, v[17:18], off
	global_load_u8 v22, v[19:20], off
	s_waitcnt vmcnt(1)
	v_cmp_ne_u16_e32 vcc_lo, 0, v21
	s_waitcnt vmcnt(0)
	v_cmp_ne_u16_e64 s2, 0, v22
	s_delay_alu instid0(VALU_DEP_1) | instskip(NEXT) | instid1(SALU_CYCLE_1)
	s_xor_b32 s2, vcc_lo, s2
	s_xor_b32 s2, s2, -1
	s_delay_alu instid0(SALU_CYCLE_1)
	s_and_saveexec_b32 s31, s2
	s_cbranch_execz .LBB1057_312
; %bb.306:
	s_mov_b64 s[4:5], 1
                                        ; implicit-def: $sgpr34
	s_set_inst_prefetch_distance 0x1
	s_branch .LBB1057_309
	.p2align	6
.LBB1057_307:                           ;   in Loop: Header=BB1057_309 Depth=1
	v_add_co_u32 v21, vcc_lo, v17, s4
	v_add_co_ci_u32_e32 v22, vcc_lo, s5, v18, vcc_lo
	v_add_co_u32 v23, vcc_lo, v19, s4
	v_add_co_ci_u32_e32 v24, vcc_lo, s5, v20, vcc_lo
	s_clause 0x1
	global_load_u8 v21, v[21:22], off
	global_load_u8 v22, v[23:24], off
	s_waitcnt vmcnt(1)
	v_cmp_ne_u16_e32 vcc_lo, 0, v21
	s_waitcnt vmcnt(0)
	v_cmp_ne_u16_e64 s2, 0, v22
	s_delay_alu instid0(VALU_DEP_1) | instskip(SKIP_4) | instid1(SALU_CYCLE_1)
	s_xor_b32 s35, vcc_lo, s2
	s_add_u32 s2, s4, 1
	s_addc_u32 s3, s5, 0
	s_and_not1_b32 s34, s34, exec_lo
	s_and_b32 s35, s35, exec_lo
	s_or_b32 s34, s34, s35
.LBB1057_308:                           ;   in Loop: Header=BB1057_309 Depth=1
	v_dual_mov_b32 v22, s5 :: v_dual_mov_b32 v21, s4
	s_and_b32 s35, exec_lo, s34
	s_mov_b64 s[4:5], s[2:3]
	s_or_b32 s33, s35, s33
	s_delay_alu instid0(SALU_CYCLE_1)
	s_and_not1_b32 exec_lo, exec_lo, s33
	s_cbranch_execz .LBB1057_311
.LBB1057_309:                           ; =>This Inner Loop Header: Depth=1
	s_or_b32 s34, s34, exec_lo
	s_cmp_eq_u64 s[22:23], s[4:5]
	s_cbranch_scc0 .LBB1057_307
; %bb.310:                              ;   in Loop: Header=BB1057_309 Depth=1
	s_mov_b64 s[4:5], s[22:23]
                                        ; implicit-def: $sgpr2_sgpr3
	s_branch .LBB1057_308
.LBB1057_311:
	s_set_inst_prefetch_distance 0x2
	s_or_b32 exec_lo, exec_lo, s33
	v_cmp_gt_i64_e32 vcc_lo, s[22:23], v[21:22]
	s_or_not1_b32 s3, vcc_lo, exec_lo
.LBB1057_312:
	s_or_b32 exec_lo, exec_lo, s31
	s_delay_alu instid0(SALU_CYCLE_1)
	s_and_b32 s2, s3, exec_lo
.LBB1057_313:
	s_or_b32 exec_lo, exec_lo, s30
	v_cndmask_b32_e64 v18, 0, 1, s28
	v_cndmask_b32_e64 v19, 0, 1, s27
	;; [unrolled: 1-line block ×7, first 2 shown]
	v_lshlrev_b16 v19, 8, v19
	v_lshlrev_b16 v20, 8, v20
	;; [unrolled: 1-line block ×4, first 2 shown]
	s_mov_b32 s24, exec_lo
	v_or_b32_e32 v19, v22, v19
	v_or_b32_e32 v20, v23, v20
	v_or_b32_e32 v21, 1, v21
	v_or_b32_e32 v17, v17, v18
	s_delay_alu instid0(VALU_DEP_4) | instskip(NEXT) | instid1(VALU_DEP_4)
	v_and_b32_e32 v18, 0xffff, v19
	v_lshlrev_b32_e32 v19, 16, v20
	s_delay_alu instid0(VALU_DEP_4) | instskip(NEXT) | instid1(VALU_DEP_4)
	v_and_b32_e32 v20, 0xffff, v21
	v_lshlrev_b32_e32 v17, 16, v17
	s_barrier
	buffer_gl0_inv
	v_or_b32_e32 v18, v18, v19
                                        ; implicit-def: $sgpr2
	v_or_b32_e32 v17, v20, v17
	v_cmpx_ne_u32_e32 0, v0
	s_cbranch_execz .LBB1057_324
; %bb.314:
	v_cmp_gt_u32_e32 vcc_lo, s20, v39
	s_mov_b32 s3, -1
	s_mov_b32 s2, 0
	s_and_b32 s4, vcc_lo, s7
	s_delay_alu instid0(SALU_CYCLE_1)
	s_and_saveexec_b32 s7, s4
	s_cbranch_execz .LBB1057_323
; %bb.315:
	v_add_nc_u32_e32 v19, -8, v39
	v_mul_lo_u32 v25, v13, s23
	ds_load_b64 v[23:24], v19
	v_mad_u64_u32 v[19:20], null, v13, s22, s[8:9]
	s_waitcnt lgkmcnt(0)
	v_mul_lo_u32 v26, v23, s23
	v_mul_lo_u32 v24, v24, s22
	v_mad_u64_u32 v[21:22], null, v23, s22, s[8:9]
	v_mul_lo_u32 v23, v14, s22
	s_mov_b32 s9, 0
	s_delay_alu instid0(VALU_DEP_2) | instskip(NEXT) | instid1(VALU_DEP_2)
	v_add3_u32 v22, v24, v22, v26
	v_add3_u32 v20, v23, v20, v25
	s_clause 0x1
	global_load_u8 v23, v[21:22], off
	global_load_u8 v24, v[19:20], off
	s_waitcnt vmcnt(1)
	v_cmp_ne_u16_e32 vcc_lo, 0, v23
	s_waitcnt vmcnt(0)
	v_cmp_ne_u16_e64 s2, 0, v24
	s_delay_alu instid0(VALU_DEP_1) | instskip(NEXT) | instid1(SALU_CYCLE_1)
	s_xor_b32 s2, vcc_lo, s2
	s_xor_b32 s2, s2, -1
	s_delay_alu instid0(SALU_CYCLE_1)
	s_and_saveexec_b32 s8, s2
	s_cbranch_execz .LBB1057_322
; %bb.316:
	s_mov_b64 s[4:5], 1
                                        ; implicit-def: $sgpr25
	s_set_inst_prefetch_distance 0x1
	s_branch .LBB1057_319
	.p2align	6
.LBB1057_317:                           ;   in Loop: Header=BB1057_319 Depth=1
	v_add_co_u32 v23, vcc_lo, v21, s4
	v_add_co_ci_u32_e32 v24, vcc_lo, s5, v22, vcc_lo
	v_add_co_u32 v25, vcc_lo, v19, s4
	v_add_co_ci_u32_e32 v26, vcc_lo, s5, v20, vcc_lo
	s_clause 0x1
	global_load_u8 v23, v[23:24], off
	global_load_u8 v24, v[25:26], off
	s_waitcnt vmcnt(1)
	v_cmp_ne_u16_e32 vcc_lo, 0, v23
	s_waitcnt vmcnt(0)
	v_cmp_ne_u16_e64 s2, 0, v24
	s_delay_alu instid0(VALU_DEP_1) | instskip(SKIP_4) | instid1(SALU_CYCLE_1)
	s_xor_b32 s26, vcc_lo, s2
	s_add_u32 s2, s4, 1
	s_addc_u32 s3, s5, 0
	s_and_not1_b32 s25, s25, exec_lo
	s_and_b32 s26, s26, exec_lo
	s_or_b32 s25, s25, s26
.LBB1057_318:                           ;   in Loop: Header=BB1057_319 Depth=1
	v_dual_mov_b32 v24, s5 :: v_dual_mov_b32 v23, s4
	s_and_b32 s26, exec_lo, s25
	s_mov_b64 s[4:5], s[2:3]
	s_or_b32 s9, s26, s9
	s_delay_alu instid0(SALU_CYCLE_1)
	s_and_not1_b32 exec_lo, exec_lo, s9
	s_cbranch_execz .LBB1057_321
.LBB1057_319:                           ; =>This Inner Loop Header: Depth=1
	s_or_b32 s25, s25, exec_lo
	s_cmp_eq_u64 s[22:23], s[4:5]
	s_cbranch_scc0 .LBB1057_317
; %bb.320:                              ;   in Loop: Header=BB1057_319 Depth=1
	s_mov_b64 s[4:5], s[22:23]
                                        ; implicit-def: $sgpr2_sgpr3
	s_branch .LBB1057_318
.LBB1057_321:
	s_set_inst_prefetch_distance 0x2
	s_or_b32 exec_lo, exec_lo, s9
	v_cmp_gt_i64_e32 vcc_lo, s[22:23], v[23:24]
	s_or_not1_b32 s3, vcc_lo, exec_lo
.LBB1057_322:
	s_or_b32 exec_lo, exec_lo, s8
	s_delay_alu instid0(SALU_CYCLE_1)
	s_and_b32 s2, s3, exec_lo
.LBB1057_323:
	s_or_b32 exec_lo, exec_lo, s7
	s_delay_alu instid0(SALU_CYCLE_1)
	s_and_b32 s2, s2, exec_lo
	s_or_b32 s6, s6, exec_lo
.LBB1057_324:
	s_or_b32 exec_lo, exec_lo, s24
.LBB1057_325:
	s_and_saveexec_b32 s3, s6
	s_cbranch_execz .LBB1057_327
; %bb.326:
	s_waitcnt lgkmcnt(0)
	v_and_b32_e32 v19, 0xffffff00, v17
	v_cndmask_b32_e64 v20, 0, 1, s2
	s_delay_alu instid0(VALU_DEP_1) | instskip(NEXT) | instid1(VALU_DEP_1)
	v_or_b32_e32 v19, v20, v19
	v_and_b32_e32 v19, 0xffff, v19
	s_delay_alu instid0(VALU_DEP_1)
	v_and_or_b32 v17, 0xffff0000, v17, v19
.LBB1057_327:
	s_or_b32 exec_lo, exec_lo, s3
	s_delay_alu instid0(SALU_CYCLE_1)
	s_and_not1_b32 vcc_lo, exec_lo, s19
	s_cbranch_vccnz .LBB1057_329
; %bb.328:
	v_cmp_gt_u32_e32 vcc_lo, s20, v39
	s_waitcnt lgkmcnt(0)
	v_or_b32_e32 v20, 1, v39
	v_and_b32_e32 v21, 0xffffff00, v18
	v_or_b32_e32 v22, 2, v39
	v_cndmask_b32_e32 v19, 0, v17, vcc_lo
	s_delay_alu instid0(VALU_DEP_4) | instskip(SKIP_1) | instid1(VALU_DEP_4)
	v_cmp_gt_u32_e32 vcc_lo, s20, v20
	v_or_b32_e32 v20, 4, v39
	v_cmp_gt_u32_e64 s2, s20, v22
	v_or_b32_e32 v22, 3, v39
	v_and_b32_e32 v19, 0xff, v19
	s_delay_alu instid0(VALU_DEP_2) | instskip(NEXT) | instid1(VALU_DEP_2)
	v_cmp_gt_u32_e64 s3, s20, v22
	v_cndmask_b32_e32 v19, v19, v17, vcc_lo
	v_cmp_gt_u32_e32 vcc_lo, s20, v20
	v_cndmask_b32_e32 v20, v21, v18, vcc_lo
	v_or_b32_e32 v21, 5, v39
	s_delay_alu instid0(VALU_DEP_2) | instskip(SKIP_1) | instid1(VALU_DEP_1)
	v_and_b32_e32 v20, 0xffff00ff, v20
	v_and_b32_e32 v19, 0xffff, v19
	v_cndmask_b32_e64 v19, v19, v17, s2
	s_delay_alu instid0(VALU_DEP_4) | instskip(SKIP_1) | instid1(VALU_DEP_3)
	v_cmp_gt_u32_e64 s2, s20, v21
	v_or_b32_e32 v21, 6, v39
	v_and_b32_e32 v19, 0xffffff, v19
	s_delay_alu instid0(VALU_DEP_3) | instskip(NEXT) | instid1(VALU_DEP_2)
	v_cndmask_b32_e64 v20, v20, v18, s2
	v_cndmask_b32_e64 v19, v19, v17, s3
	s_delay_alu instid0(VALU_DEP_1) | instskip(SKIP_2) | instid1(VALU_DEP_3)
	v_dual_cndmask_b32 v19, v19, v17 :: v_dual_and_b32 v20, 0xff00ffff, v20
	v_cmp_gt_u32_e32 vcc_lo, s20, v21
	v_or_b32_e32 v21, 7, v39
	v_cndmask_b32_e64 v19, v19, v17, s2
	s_delay_alu instid0(VALU_DEP_1) | instskip(NEXT) | instid1(VALU_DEP_1)
	v_dual_cndmask_b32 v20, v20, v18 :: v_dual_cndmask_b32 v19, v19, v17
	v_and_b32_e32 v20, 0xffffff, v20
	s_delay_alu instid0(VALU_DEP_4) | instskip(NEXT) | instid1(VALU_DEP_2)
	v_cmp_gt_u32_e32 vcc_lo, s20, v21
	v_dual_cndmask_b32 v18, v20, v18 :: v_dual_cndmask_b32 v17, v19, v17
.LBB1057_329:
	s_delay_alu instid0(VALU_DEP_1) | instskip(SKIP_1) | instid1(VALU_DEP_2)
	v_and_b32_e32 v26, 0xff, v17
	s_waitcnt lgkmcnt(0)
	v_alignbit_b32 v19, v18, v17, 24
	v_bfe_u32 v28, v17, 8, 8
	v_bfe_u32 v30, v17, 16, 8
	v_and_b32_e32 v34, 0xff, v18
	v_bfe_u32 v36, v18, 8, 8
	v_and_b32_e32 v32, 0xff, v19
	v_add_nc_u32_e32 v19, v28, v26
	v_mbcnt_lo_u32_b32 v41, -1, 0
	v_bfe_u32 v38, v18, 16, 8
	v_lshrrev_b32_e32 v40, 24, v18
	v_lshrrev_b32_e32 v42, 5, v0
	v_add3_u32 v19, v19, v30, v32
	v_and_b32_e32 v20, 15, v41
	v_and_b32_e32 v21, 16, v41
	s_and_b32 vcc_lo, exec_lo, s21
	s_mov_b32 s19, -1
	v_add3_u32 v19, v19, v34, v36
	v_cmp_eq_u32_e64 s4, 0, v20
	v_cmp_lt_u32_e64 s2, 1, v20
	v_cmp_lt_u32_e64 s5, 3, v20
	;; [unrolled: 1-line block ×3, first 2 shown]
	v_add3_u32 v43, v19, v38, v40
	v_or_b32_e32 v19, 31, v0
	v_cmp_eq_u32_e64 s7, 0, v21
	s_barrier
	buffer_gl0_inv
	v_cmp_eq_u32_e64 s6, v19, v0
	s_cbranch_vccz .LBB1057_355
; %bb.330:
	v_mov_b32_dpp v19, v43 row_shr:1 row_mask:0xf bank_mask:0xf
	s_delay_alu instid0(VALU_DEP_1) | instskip(NEXT) | instid1(VALU_DEP_1)
	v_cndmask_b32_e64 v19, v19, 0, s4
	v_add_nc_u32_e32 v19, v19, v43
	s_delay_alu instid0(VALU_DEP_1) | instskip(NEXT) | instid1(VALU_DEP_1)
	v_mov_b32_dpp v20, v19 row_shr:2 row_mask:0xf bank_mask:0xf
	v_cndmask_b32_e64 v20, 0, v20, s2
	s_delay_alu instid0(VALU_DEP_1) | instskip(NEXT) | instid1(VALU_DEP_1)
	v_add_nc_u32_e32 v19, v19, v20
	v_mov_b32_dpp v20, v19 row_shr:4 row_mask:0xf bank_mask:0xf
	s_delay_alu instid0(VALU_DEP_1) | instskip(NEXT) | instid1(VALU_DEP_1)
	v_cndmask_b32_e64 v20, 0, v20, s5
	v_add_nc_u32_e32 v19, v19, v20
	s_delay_alu instid0(VALU_DEP_1) | instskip(NEXT) | instid1(VALU_DEP_1)
	v_mov_b32_dpp v20, v19 row_shr:8 row_mask:0xf bank_mask:0xf
	v_cndmask_b32_e64 v20, 0, v20, s3
	s_delay_alu instid0(VALU_DEP_1) | instskip(SKIP_3) | instid1(VALU_DEP_1)
	v_add_nc_u32_e32 v19, v19, v20
	ds_swizzle_b32 v20, v19 offset:swizzle(BROADCAST,32,15)
	s_waitcnt lgkmcnt(0)
	v_cndmask_b32_e64 v20, v20, 0, s7
	v_add_nc_u32_e32 v19, v19, v20
	s_and_saveexec_b32 s8, s6
	s_cbranch_execz .LBB1057_332
; %bb.331:
	v_lshlrev_b32_e32 v20, 2, v42
	ds_store_b32 v20, v19
.LBB1057_332:
	s_or_b32 exec_lo, exec_lo, s8
	s_delay_alu instid0(SALU_CYCLE_1)
	s_mov_b32 s8, exec_lo
	s_waitcnt lgkmcnt(0)
	s_barrier
	buffer_gl0_inv
	v_cmpx_gt_u32_e32 16, v0
	s_cbranch_execz .LBB1057_334
; %bb.333:
	v_lshlrev_b32_e32 v20, 2, v0
	ds_load_b32 v21, v20
	s_waitcnt lgkmcnt(0)
	v_mov_b32_dpp v22, v21 row_shr:1 row_mask:0xf bank_mask:0xf
	s_delay_alu instid0(VALU_DEP_1) | instskip(NEXT) | instid1(VALU_DEP_1)
	v_cndmask_b32_e64 v22, v22, 0, s4
	v_add_nc_u32_e32 v21, v22, v21
	s_delay_alu instid0(VALU_DEP_1) | instskip(NEXT) | instid1(VALU_DEP_1)
	v_mov_b32_dpp v22, v21 row_shr:2 row_mask:0xf bank_mask:0xf
	v_cndmask_b32_e64 v22, 0, v22, s2
	s_delay_alu instid0(VALU_DEP_1) | instskip(NEXT) | instid1(VALU_DEP_1)
	v_add_nc_u32_e32 v21, v21, v22
	v_mov_b32_dpp v22, v21 row_shr:4 row_mask:0xf bank_mask:0xf
	s_delay_alu instid0(VALU_DEP_1) | instskip(NEXT) | instid1(VALU_DEP_1)
	v_cndmask_b32_e64 v22, 0, v22, s5
	v_add_nc_u32_e32 v21, v21, v22
	s_delay_alu instid0(VALU_DEP_1) | instskip(NEXT) | instid1(VALU_DEP_1)
	v_mov_b32_dpp v22, v21 row_shr:8 row_mask:0xf bank_mask:0xf
	v_cndmask_b32_e64 v22, 0, v22, s3
	s_delay_alu instid0(VALU_DEP_1)
	v_add_nc_u32_e32 v21, v21, v22
	ds_store_b32 v20, v21
.LBB1057_334:
	s_or_b32 exec_lo, exec_lo, s8
	v_cmp_gt_u32_e32 vcc_lo, 32, v0
	s_mov_b32 s9, exec_lo
	s_waitcnt lgkmcnt(0)
	s_barrier
	buffer_gl0_inv
                                        ; implicit-def: $vgpr27
	v_cmpx_lt_u32_e32 31, v0
	s_cbranch_execz .LBB1057_336
; %bb.335:
	v_lshl_add_u32 v20, v42, 2, -4
	ds_load_b32 v27, v20
	s_waitcnt lgkmcnt(0)
	v_add_nc_u32_e32 v19, v27, v19
.LBB1057_336:
	s_or_b32 exec_lo, exec_lo, s9
	v_add_nc_u32_e32 v20, -1, v41
	s_delay_alu instid0(VALU_DEP_1) | instskip(NEXT) | instid1(VALU_DEP_1)
	v_cmp_gt_i32_e64 s8, 0, v20
	v_cndmask_b32_e64 v20, v20, v41, s8
	v_cmp_eq_u32_e64 s8, 0, v41
	s_delay_alu instid0(VALU_DEP_2)
	v_lshlrev_b32_e32 v20, 2, v20
	ds_bpermute_b32 v29, v20, v19
	s_and_saveexec_b32 s9, vcc_lo
	s_cbranch_execz .LBB1057_354
; %bb.337:
	v_mov_b32_e32 v22, 0
	ds_load_b32 v19, v22 offset:60
	s_and_saveexec_b32 s19, s8
	s_cbranch_execz .LBB1057_339
; %bb.338:
	s_add_i32 s20, s15, 32
	s_mov_b32 s21, 0
	v_mov_b32_e32 v20, 1
	s_lshl_b64 s[20:21], s[20:21], 3
	s_delay_alu instid0(SALU_CYCLE_1)
	s_add_u32 s20, s10, s20
	s_addc_u32 s21, s11, s21
	s_waitcnt lgkmcnt(0)
	global_store_b64 v22, v[19:20], s[20:21]
.LBB1057_339:
	s_or_b32 exec_lo, exec_lo, s19
	v_xad_u32 v20, v41, -1, s15
	s_mov_b32 s20, 0
	s_mov_b32 s19, exec_lo
	s_delay_alu instid0(VALU_DEP_1) | instskip(NEXT) | instid1(VALU_DEP_1)
	v_add_nc_u32_e32 v21, 32, v20
	v_lshlrev_b64 v[21:22], 3, v[21:22]
	s_delay_alu instid0(VALU_DEP_1) | instskip(NEXT) | instid1(VALU_DEP_2)
	v_add_co_u32 v24, vcc_lo, s10, v21
	v_add_co_ci_u32_e32 v25, vcc_lo, s11, v22, vcc_lo
	global_load_b64 v[22:23], v[24:25], off glc
	s_waitcnt vmcnt(0)
	v_and_b32_e32 v21, 0xff, v23
	s_delay_alu instid0(VALU_DEP_1)
	v_cmpx_eq_u16_e32 0, v21
	s_cbranch_execz .LBB1057_342
.LBB1057_340:                           ; =>This Inner Loop Header: Depth=1
	global_load_b64 v[22:23], v[24:25], off glc
	s_waitcnt vmcnt(0)
	v_and_b32_e32 v21, 0xff, v23
	s_delay_alu instid0(VALU_DEP_1) | instskip(SKIP_1) | instid1(SALU_CYCLE_1)
	v_cmp_ne_u16_e32 vcc_lo, 0, v21
	s_or_b32 s20, vcc_lo, s20
	s_and_not1_b32 exec_lo, exec_lo, s20
	s_cbranch_execnz .LBB1057_340
; %bb.341:
	s_or_b32 exec_lo, exec_lo, s20
.LBB1057_342:
	s_delay_alu instid0(SALU_CYCLE_1)
	s_or_b32 exec_lo, exec_lo, s19
	v_cmp_ne_u32_e32 vcc_lo, 31, v41
	v_lshlrev_b32_e64 v33, v41, -1
	v_add_nc_u32_e32 v37, 2, v41
	v_add_nc_u32_e32 v46, 4, v41
	;; [unrolled: 1-line block ×3, first 2 shown]
	v_add_co_ci_u32_e32 v21, vcc_lo, 0, v41, vcc_lo
	v_add_nc_u32_e32 v50, 16, v41
	s_delay_alu instid0(VALU_DEP_2)
	v_lshlrev_b32_e32 v31, 2, v21
	v_and_b32_e32 v21, 0xff, v23
	ds_bpermute_b32 v24, v31, v22
	v_cmp_eq_u16_e32 vcc_lo, 2, v21
	v_and_or_b32 v21, vcc_lo, v33, 0x80000000
	v_cmp_gt_u32_e32 vcc_lo, 30, v41
	s_delay_alu instid0(VALU_DEP_2) | instskip(SKIP_1) | instid1(VALU_DEP_2)
	v_ctz_i32_b32_e32 v21, v21
	v_cndmask_b32_e64 v25, 0, 1, vcc_lo
	v_cmp_lt_u32_e32 vcc_lo, v41, v21
	s_waitcnt lgkmcnt(0)
	s_delay_alu instid0(VALU_DEP_2) | instskip(NEXT) | instid1(VALU_DEP_1)
	v_dual_cndmask_b32 v24, 0, v24 :: v_dual_lshlrev_b32 v25, 1, v25
	v_add_lshl_u32 v35, v25, v41, 2
	v_cmp_gt_u32_e32 vcc_lo, 28, v41
	s_delay_alu instid0(VALU_DEP_3) | instskip(SKIP_4) | instid1(VALU_DEP_1)
	v_add_nc_u32_e32 v22, v24, v22
	v_cndmask_b32_e64 v25, 0, 1, vcc_lo
	v_cmp_le_u32_e32 vcc_lo, v37, v21
	ds_bpermute_b32 v24, v35, v22
	v_lshlrev_b32_e32 v25, 2, v25
	v_add_lshl_u32 v44, v25, v41, 2
	s_waitcnt lgkmcnt(0)
	v_cndmask_b32_e32 v24, 0, v24, vcc_lo
	v_cmp_gt_u32_e32 vcc_lo, 24, v41
	s_delay_alu instid0(VALU_DEP_2) | instskip(SKIP_4) | instid1(VALU_DEP_1)
	v_add_nc_u32_e32 v22, v22, v24
	v_cndmask_b32_e64 v25, 0, 1, vcc_lo
	v_cmp_le_u32_e32 vcc_lo, v46, v21
	ds_bpermute_b32 v24, v44, v22
	v_lshlrev_b32_e32 v25, 3, v25
	v_add_lshl_u32 v47, v25, v41, 2
	s_waitcnt lgkmcnt(0)
	v_cndmask_b32_e32 v24, 0, v24, vcc_lo
	v_cmp_gt_u32_e32 vcc_lo, 16, v41
	s_delay_alu instid0(VALU_DEP_2) | instskip(SKIP_4) | instid1(VALU_DEP_1)
	v_add_nc_u32_e32 v22, v22, v24
	v_cndmask_b32_e64 v25, 0, 1, vcc_lo
	v_cmp_le_u32_e32 vcc_lo, v48, v21
	ds_bpermute_b32 v24, v47, v22
	v_lshlrev_b32_e32 v25, 4, v25
	v_add_lshl_u32 v49, v25, v41, 2
	s_waitcnt lgkmcnt(0)
	v_cndmask_b32_e32 v24, 0, v24, vcc_lo
	v_cmp_le_u32_e32 vcc_lo, v50, v21
	s_delay_alu instid0(VALU_DEP_2) | instskip(SKIP_3) | instid1(VALU_DEP_1)
	v_add_nc_u32_e32 v22, v22, v24
	ds_bpermute_b32 v24, v49, v22
	s_waitcnt lgkmcnt(0)
	v_cndmask_b32_e32 v21, 0, v24, vcc_lo
	v_dual_mov_b32 v21, 0 :: v_dual_add_nc_u32 v22, v22, v21
	s_branch .LBB1057_344
.LBB1057_343:                           ;   in Loop: Header=BB1057_344 Depth=1
	s_or_b32 exec_lo, exec_lo, s19
	ds_bpermute_b32 v25, v31, v22
	v_and_b32_e32 v24, 0xff, v23
	v_subrev_nc_u32_e32 v20, 32, v20
	s_delay_alu instid0(VALU_DEP_2) | instskip(SKIP_1) | instid1(VALU_DEP_1)
	v_cmp_eq_u16_e32 vcc_lo, 2, v24
	v_and_or_b32 v24, vcc_lo, v33, 0x80000000
	v_ctz_i32_b32_e32 v24, v24
	s_delay_alu instid0(VALU_DEP_1) | instskip(SKIP_3) | instid1(VALU_DEP_2)
	v_cmp_lt_u32_e32 vcc_lo, v41, v24
	s_waitcnt lgkmcnt(0)
	v_cndmask_b32_e32 v25, 0, v25, vcc_lo
	v_cmp_le_u32_e32 vcc_lo, v37, v24
	v_add_nc_u32_e32 v22, v25, v22
	ds_bpermute_b32 v25, v35, v22
	s_waitcnt lgkmcnt(0)
	v_cndmask_b32_e32 v25, 0, v25, vcc_lo
	v_cmp_le_u32_e32 vcc_lo, v46, v24
	s_delay_alu instid0(VALU_DEP_2) | instskip(SKIP_4) | instid1(VALU_DEP_2)
	v_add_nc_u32_e32 v22, v22, v25
	ds_bpermute_b32 v25, v44, v22
	s_waitcnt lgkmcnt(0)
	v_cndmask_b32_e32 v25, 0, v25, vcc_lo
	v_cmp_le_u32_e32 vcc_lo, v48, v24
	v_add_nc_u32_e32 v22, v22, v25
	ds_bpermute_b32 v25, v47, v22
	s_waitcnt lgkmcnt(0)
	v_cndmask_b32_e32 v25, 0, v25, vcc_lo
	v_cmp_le_u32_e32 vcc_lo, v50, v24
	s_delay_alu instid0(VALU_DEP_2) | instskip(SKIP_3) | instid1(VALU_DEP_1)
	v_add_nc_u32_e32 v22, v22, v25
	ds_bpermute_b32 v25, v49, v22
	s_waitcnt lgkmcnt(0)
	v_cndmask_b32_e32 v24, 0, v25, vcc_lo
	v_add3_u32 v22, v24, v45, v22
.LBB1057_344:                           ; =>This Loop Header: Depth=1
                                        ;     Child Loop BB1057_347 Depth 2
	v_and_b32_e32 v23, 0xff, v23
	s_delay_alu instid0(VALU_DEP_2) | instskip(NEXT) | instid1(VALU_DEP_2)
	v_mov_b32_e32 v45, v22
	v_cmp_ne_u16_e32 vcc_lo, 2, v23
	v_cndmask_b32_e64 v23, 0, 1, vcc_lo
	;;#ASMSTART
	;;#ASMEND
	s_delay_alu instid0(VALU_DEP_1)
	v_cmp_ne_u32_e32 vcc_lo, 0, v23
	s_cmp_lg_u32 vcc_lo, exec_lo
	s_cbranch_scc1 .LBB1057_349
; %bb.345:                              ;   in Loop: Header=BB1057_344 Depth=1
	v_lshlrev_b64 v[22:23], 3, v[20:21]
	s_mov_b32 s19, exec_lo
	s_delay_alu instid0(VALU_DEP_1) | instskip(NEXT) | instid1(VALU_DEP_2)
	v_add_co_u32 v24, vcc_lo, s10, v22
	v_add_co_ci_u32_e32 v25, vcc_lo, s11, v23, vcc_lo
	global_load_b64 v[22:23], v[24:25], off glc
	s_waitcnt vmcnt(0)
	v_and_b32_e32 v51, 0xff, v23
	s_delay_alu instid0(VALU_DEP_1)
	v_cmpx_eq_u16_e32 0, v51
	s_cbranch_execz .LBB1057_343
; %bb.346:                              ;   in Loop: Header=BB1057_344 Depth=1
	s_mov_b32 s20, 0
.LBB1057_347:                           ;   Parent Loop BB1057_344 Depth=1
                                        ; =>  This Inner Loop Header: Depth=2
	global_load_b64 v[22:23], v[24:25], off glc
	s_waitcnt vmcnt(0)
	v_and_b32_e32 v51, 0xff, v23
	s_delay_alu instid0(VALU_DEP_1) | instskip(SKIP_1) | instid1(SALU_CYCLE_1)
	v_cmp_ne_u16_e32 vcc_lo, 0, v51
	s_or_b32 s20, vcc_lo, s20
	s_and_not1_b32 exec_lo, exec_lo, s20
	s_cbranch_execnz .LBB1057_347
; %bb.348:                              ;   in Loop: Header=BB1057_344 Depth=1
	s_or_b32 exec_lo, exec_lo, s20
	s_branch .LBB1057_343
.LBB1057_349:                           ;   in Loop: Header=BB1057_344 Depth=1
                                        ; implicit-def: $vgpr22
                                        ; implicit-def: $vgpr23
	s_cbranch_execz .LBB1057_344
; %bb.350:
	s_and_saveexec_b32 s19, s8
	s_cbranch_execz .LBB1057_352
; %bb.351:
	s_add_i32 s20, s15, 32
	s_mov_b32 s21, 0
	v_dual_mov_b32 v21, 2 :: v_dual_add_nc_u32 v20, v45, v19
	s_lshl_b64 s[20:21], s[20:21], 3
	v_mov_b32_e32 v22, 0
	v_add_nc_u32_e64 v23, 0x8400, 0
	s_add_u32 s20, s10, s20
	s_addc_u32 s21, s11, s21
	global_store_b64 v22, v[20:21], s[20:21]
	ds_store_2addr_b32 v23, v19, v45 offset1:2
.LBB1057_352:
	s_or_b32 exec_lo, exec_lo, s19
	v_cmp_eq_u32_e32 vcc_lo, 0, v0
	s_and_b32 exec_lo, exec_lo, vcc_lo
	s_cbranch_execz .LBB1057_354
; %bb.353:
	v_mov_b32_e32 v19, 0
	ds_store_b32 v19, v45 offset:60
.LBB1057_354:
	s_or_b32 exec_lo, exec_lo, s9
	s_waitcnt lgkmcnt(0)
	v_cndmask_b32_e64 v20, v29, v27, s8
	v_cmp_ne_u32_e32 vcc_lo, 0, v0
	v_mov_b32_e32 v19, 0
	s_waitcnt_vscnt null, 0x0
	s_barrier
	buffer_gl0_inv
	v_cndmask_b32_e32 v20, 0, v20, vcc_lo
	ds_load_b32 v19, v19 offset:60
	s_waitcnt lgkmcnt(0)
	s_barrier
	buffer_gl0_inv
	v_add_nc_u32_e32 v37, v19, v20
	v_add_nc_u32_e64 v19, 0x8400, 0
	s_delay_alu instid0(VALU_DEP_2) | instskip(SKIP_2) | instid1(VALU_DEP_1)
	v_add_nc_u32_e32 v35, v37, v26
	ds_load_2addr_b32 v[19:20], v19 offset1:2
	v_add_nc_u32_e32 v33, v35, v28
	v_add_nc_u32_e32 v31, v33, v30
	s_delay_alu instid0(VALU_DEP_1) | instskip(NEXT) | instid1(VALU_DEP_1)
	v_add_nc_u32_e32 v29, v31, v32
	v_add_nc_u32_e32 v27, v29, v34
	s_delay_alu instid0(VALU_DEP_1) | instskip(NEXT) | instid1(VALU_DEP_1)
	v_add_nc_u32_e32 v25, v27, v36
	v_add_nc_u32_e32 v23, v25, v38
	s_load_b64 s[8:9], s[0:1], 0x28
	v_lshrrev_b64 v[21:22], 24, v[17:18]
	s_branch .LBB1057_365
.LBB1057_355:
                                        ; implicit-def: $vgpr23
                                        ; implicit-def: $vgpr25
                                        ; implicit-def: $vgpr27
                                        ; implicit-def: $vgpr29
                                        ; implicit-def: $vgpr31
                                        ; implicit-def: $vgpr33
                                        ; implicit-def: $vgpr35
                                        ; implicit-def: $vgpr37
                                        ; implicit-def: $vgpr20
	s_load_b64 s[8:9], s[0:1], 0x28
	v_lshrrev_b64 v[21:22], 24, v[17:18]
	s_and_b32 vcc_lo, exec_lo, s19
	s_cbranch_vccz .LBB1057_365
; %bb.356:
	s_waitcnt lgkmcnt(0)
	v_mov_b32_dpp v19, v43 row_shr:1 row_mask:0xf bank_mask:0xf
	s_delay_alu instid0(VALU_DEP_1) | instskip(NEXT) | instid1(VALU_DEP_1)
	v_cndmask_b32_e64 v19, v19, 0, s4
	v_add_nc_u32_e32 v19, v19, v43
	s_delay_alu instid0(VALU_DEP_1) | instskip(NEXT) | instid1(VALU_DEP_1)
	v_mov_b32_dpp v20, v19 row_shr:2 row_mask:0xf bank_mask:0xf
	v_cndmask_b32_e64 v20, 0, v20, s2
	s_delay_alu instid0(VALU_DEP_1) | instskip(NEXT) | instid1(VALU_DEP_1)
	v_add_nc_u32_e32 v19, v19, v20
	v_mov_b32_dpp v20, v19 row_shr:4 row_mask:0xf bank_mask:0xf
	s_delay_alu instid0(VALU_DEP_1) | instskip(NEXT) | instid1(VALU_DEP_1)
	v_cndmask_b32_e64 v20, 0, v20, s5
	v_add_nc_u32_e32 v19, v19, v20
	s_delay_alu instid0(VALU_DEP_1) | instskip(NEXT) | instid1(VALU_DEP_1)
	v_mov_b32_dpp v20, v19 row_shr:8 row_mask:0xf bank_mask:0xf
	v_cndmask_b32_e64 v20, 0, v20, s3
	s_delay_alu instid0(VALU_DEP_1) | instskip(SKIP_3) | instid1(VALU_DEP_1)
	v_add_nc_u32_e32 v19, v19, v20
	ds_swizzle_b32 v20, v19 offset:swizzle(BROADCAST,32,15)
	s_waitcnt lgkmcnt(0)
	v_cndmask_b32_e64 v20, v20, 0, s7
	v_add_nc_u32_e32 v19, v19, v20
	s_and_saveexec_b32 s0, s6
	s_cbranch_execz .LBB1057_358
; %bb.357:
	v_lshlrev_b32_e32 v20, 2, v42
	ds_store_b32 v20, v19
.LBB1057_358:
	s_or_b32 exec_lo, exec_lo, s0
	s_delay_alu instid0(SALU_CYCLE_1)
	s_mov_b32 s0, exec_lo
	s_waitcnt lgkmcnt(0)
	s_barrier
	buffer_gl0_inv
	v_cmpx_gt_u32_e32 16, v0
	s_cbranch_execz .LBB1057_360
; %bb.359:
	v_lshlrev_b32_e32 v20, 2, v0
	ds_load_b32 v22, v20
	s_waitcnt lgkmcnt(0)
	v_mov_b32_dpp v23, v22 row_shr:1 row_mask:0xf bank_mask:0xf
	s_delay_alu instid0(VALU_DEP_1) | instskip(NEXT) | instid1(VALU_DEP_1)
	v_cndmask_b32_e64 v23, v23, 0, s4
	v_add_nc_u32_e32 v22, v23, v22
	s_delay_alu instid0(VALU_DEP_1) | instskip(NEXT) | instid1(VALU_DEP_1)
	v_mov_b32_dpp v23, v22 row_shr:2 row_mask:0xf bank_mask:0xf
	v_cndmask_b32_e64 v23, 0, v23, s2
	s_delay_alu instid0(VALU_DEP_1) | instskip(NEXT) | instid1(VALU_DEP_1)
	v_add_nc_u32_e32 v22, v22, v23
	v_mov_b32_dpp v23, v22 row_shr:4 row_mask:0xf bank_mask:0xf
	s_delay_alu instid0(VALU_DEP_1) | instskip(NEXT) | instid1(VALU_DEP_1)
	v_cndmask_b32_e64 v23, 0, v23, s5
	v_add_nc_u32_e32 v22, v22, v23
	s_delay_alu instid0(VALU_DEP_1) | instskip(NEXT) | instid1(VALU_DEP_1)
	v_mov_b32_dpp v23, v22 row_shr:8 row_mask:0xf bank_mask:0xf
	v_cndmask_b32_e64 v23, 0, v23, s3
	s_delay_alu instid0(VALU_DEP_1)
	v_add_nc_u32_e32 v22, v22, v23
	ds_store_b32 v20, v22
.LBB1057_360:
	s_or_b32 exec_lo, exec_lo, s0
	v_mov_b32_e32 v20, 0
	v_mov_b32_e32 v22, 0
	s_mov_b32 s0, exec_lo
	s_waitcnt lgkmcnt(0)
	s_barrier
	buffer_gl0_inv
	v_cmpx_lt_u32_e32 31, v0
	s_cbranch_execz .LBB1057_362
; %bb.361:
	v_lshl_add_u32 v22, v42, 2, -4
	ds_load_b32 v22, v22
.LBB1057_362:
	s_or_b32 exec_lo, exec_lo, s0
	v_add_nc_u32_e32 v23, -1, v41
	s_waitcnt lgkmcnt(0)
	v_add_nc_u32_e32 v19, v22, v19
	s_delay_alu instid0(VALU_DEP_2) | instskip(SKIP_2) | instid1(VALU_DEP_2)
	v_cmp_gt_i32_e32 vcc_lo, 0, v23
	v_cndmask_b32_e32 v23, v23, v41, vcc_lo
	v_cmp_eq_u32_e32 vcc_lo, 0, v0
	v_lshlrev_b32_e32 v23, 2, v23
	ds_bpermute_b32 v23, v23, v19
	ds_load_b32 v19, v20 offset:60
	s_and_saveexec_b32 s0, vcc_lo
	s_cbranch_execz .LBB1057_364
; %bb.363:
	v_mov_b32_e32 v24, 0
	v_mov_b32_e32 v20, 2
	s_waitcnt lgkmcnt(0)
	global_store_b64 v24, v[19:20], s[10:11] offset:256
.LBB1057_364:
	s_or_b32 exec_lo, exec_lo, s0
	v_cmp_eq_u32_e64 s0, 0, v41
	s_waitcnt lgkmcnt(0)
	s_waitcnt_vscnt null, 0x0
	s_barrier
	buffer_gl0_inv
	v_cndmask_b32_e64 v20, v23, v22, s0
	s_delay_alu instid0(VALU_DEP_1) | instskip(NEXT) | instid1(VALU_DEP_1)
	v_cndmask_b32_e64 v37, v20, 0, vcc_lo
	v_dual_mov_b32 v20, 0 :: v_dual_add_nc_u32 v35, v37, v26
	s_delay_alu instid0(VALU_DEP_1) | instskip(NEXT) | instid1(VALU_DEP_1)
	v_add_nc_u32_e32 v33, v35, v28
	v_add_nc_u32_e32 v31, v33, v30
	s_delay_alu instid0(VALU_DEP_1) | instskip(NEXT) | instid1(VALU_DEP_1)
	v_add_nc_u32_e32 v29, v31, v32
	v_add_nc_u32_e32 v27, v29, v34
	;; [unrolled: 3-line block ×3, first 2 shown]
.LBB1057_365:
	s_waitcnt lgkmcnt(0)
	v_cmp_gt_u32_e32 vcc_lo, 0x201, v19
	v_lshrrev_b32_e32 v43, 8, v17
	v_lshrrev_b32_e32 v42, 16, v17
	;; [unrolled: 1-line block ×4, first 2 shown]
	s_mov_b32 s0, -1
	s_cbranch_vccnz .LBB1057_369
; %bb.366:
	s_and_b32 vcc_lo, exec_lo, s0
	s_cbranch_vccnz .LBB1057_394
.LBB1057_367:
	v_cmp_eq_u32_e32 vcc_lo, 0, v0
	s_and_b32 s0, vcc_lo, s14
	s_delay_alu instid0(SALU_CYCLE_1)
	s_and_saveexec_b32 s1, s0
	s_cbranch_execnz .LBB1057_414
.LBB1057_368:
	s_nop 0
	s_sendmsg sendmsg(MSG_DEALLOC_VGPRS)
	s_endpgm
.LBB1057_369:
	v_add_nc_u32_e32 v24, v20, v19
	s_delay_alu instid0(VALU_DEP_1) | instskip(SKIP_1) | instid1(SALU_CYCLE_1)
	v_cmp_lt_u32_e32 vcc_lo, v37, v24
	s_or_b32 s1, s18, vcc_lo
	s_and_saveexec_b32 s0, s1
	s_cbranch_execz .LBB1057_372
; %bb.370:
	v_and_b32_e32 v26, 1, v17
	s_delay_alu instid0(VALU_DEP_1)
	v_cmp_eq_u32_e32 vcc_lo, 1, v26
	s_and_b32 exec_lo, exec_lo, vcc_lo
	s_cbranch_execz .LBB1057_372
; %bb.371:
	v_mov_b32_e32 v38, 0
	s_lshl_b64 s[2:3], s[12:13], 3
	s_delay_alu instid0(SALU_CYCLE_1) | instskip(SKIP_1) | instid1(VALU_DEP_1)
	s_add_u32 s1, s8, s2
	s_addc_u32 s2, s9, s3
	v_lshlrev_b64 v[44:45], 3, v[37:38]
	s_delay_alu instid0(VALU_DEP_1) | instskip(NEXT) | instid1(VALU_DEP_2)
	v_add_co_u32 v44, vcc_lo, s1, v44
	v_add_co_ci_u32_e32 v45, vcc_lo, s2, v45, vcc_lo
	global_store_b64 v[44:45], v[13:14], off
.LBB1057_372:
	s_or_b32 exec_lo, exec_lo, s0
	v_cmp_lt_u32_e32 vcc_lo, v35, v24
	s_or_b32 s1, s18, vcc_lo
	s_delay_alu instid0(SALU_CYCLE_1)
	s_and_saveexec_b32 s0, s1
	s_cbranch_execz .LBB1057_375
; %bb.373:
	v_and_b32_e32 v26, 1, v43
	s_delay_alu instid0(VALU_DEP_1)
	v_cmp_eq_u32_e32 vcc_lo, 1, v26
	s_and_b32 exec_lo, exec_lo, vcc_lo
	s_cbranch_execz .LBB1057_375
; %bb.374:
	v_mov_b32_e32 v36, 0
	s_lshl_b64 s[2:3], s[12:13], 3
	s_delay_alu instid0(SALU_CYCLE_1) | instskip(SKIP_1) | instid1(VALU_DEP_1)
	s_add_u32 s1, s8, s2
	s_addc_u32 s2, s9, s3
	v_lshlrev_b64 v[44:45], 3, v[35:36]
	s_delay_alu instid0(VALU_DEP_1) | instskip(NEXT) | instid1(VALU_DEP_2)
	v_add_co_u32 v44, vcc_lo, s1, v44
	v_add_co_ci_u32_e32 v45, vcc_lo, s2, v45, vcc_lo
	global_store_b64 v[44:45], v[15:16], off
.LBB1057_375:
	s_or_b32 exec_lo, exec_lo, s0
	v_cmp_lt_u32_e32 vcc_lo, v33, v24
	s_or_b32 s1, s18, vcc_lo
	s_delay_alu instid0(SALU_CYCLE_1)
	;; [unrolled: 24-line block ×7, first 2 shown]
	s_and_saveexec_b32 s0, s1
	s_cbranch_execz .LBB1057_393
; %bb.391:
	v_and_b32_e32 v24, 1, v40
	s_delay_alu instid0(VALU_DEP_1)
	v_cmp_eq_u32_e32 vcc_lo, 1, v24
	s_and_b32 exec_lo, exec_lo, vcc_lo
	s_cbranch_execz .LBB1057_393
; %bb.392:
	v_mov_b32_e32 v24, 0
	s_lshl_b64 s[2:3], s[12:13], 3
	s_delay_alu instid0(SALU_CYCLE_1) | instskip(SKIP_1) | instid1(VALU_DEP_1)
	s_add_u32 s1, s8, s2
	s_addc_u32 s2, s9, s3
	v_lshlrev_b64 v[44:45], 3, v[23:24]
	s_delay_alu instid0(VALU_DEP_1) | instskip(NEXT) | instid1(VALU_DEP_2)
	v_add_co_u32 v44, vcc_lo, s1, v44
	v_add_co_ci_u32_e32 v45, vcc_lo, s2, v45, vcc_lo
	global_store_b64 v[44:45], v[3:4], off
.LBB1057_393:
	s_or_b32 exec_lo, exec_lo, s0
	s_branch .LBB1057_367
.LBB1057_394:
	v_and_b32_e32 v17, 1, v17
	s_mov_b32 s0, exec_lo
	s_delay_alu instid0(VALU_DEP_1)
	v_cmpx_eq_u32_e32 1, v17
	s_cbranch_execz .LBB1057_396
; %bb.395:
	v_sub_nc_u32_e32 v17, v37, v20
	s_delay_alu instid0(VALU_DEP_1)
	v_lshlrev_b32_e32 v17, 3, v17
	ds_store_b64 v17, v[13:14]
.LBB1057_396:
	s_or_b32 exec_lo, exec_lo, s0
	v_and_b32_e32 v13, 1, v43
	s_mov_b32 s0, exec_lo
	s_delay_alu instid0(VALU_DEP_1)
	v_cmpx_eq_u32_e32 1, v13
	s_cbranch_execz .LBB1057_398
; %bb.397:
	v_sub_nc_u32_e32 v13, v35, v20
	s_delay_alu instid0(VALU_DEP_1)
	v_lshlrev_b32_e32 v13, 3, v13
	ds_store_b64 v13, v[15:16]
.LBB1057_398:
	s_or_b32 exec_lo, exec_lo, s0
	;; [unrolled: 12-line block ×8, first 2 shown]
	s_delay_alu instid0(SALU_CYCLE_1)
	s_mov_b32 s1, exec_lo
	s_waitcnt lgkmcnt(0)
	s_waitcnt_vscnt null, 0x0
	s_barrier
	buffer_gl0_inv
	v_cmpx_lt_u32_e64 v0, v19
	s_cbranch_execz .LBB1057_413
; %bb.411:
	v_dual_mov_b32 v2, 0 :: v_dual_mov_b32 v1, v20
	s_lshl_b64 s[2:3], s[12:13], 3
	v_mov_b32_e32 v3, v0
	s_delay_alu instid0(VALU_DEP_2) | instskip(NEXT) | instid1(VALU_DEP_1)
	v_lshlrev_b64 v[1:2], 3, v[1:2]
	v_add_co_u32 v1, vcc_lo, s2, v1
	s_delay_alu instid0(VALU_DEP_2) | instskip(SKIP_1) | instid1(VALU_DEP_2)
	v_add_co_ci_u32_e32 v2, vcc_lo, s3, v2, vcc_lo
	s_mov_b32 s2, 0
	v_add_co_u32 v1, vcc_lo, s8, v1
	s_delay_alu instid0(VALU_DEP_2) | instskip(NEXT) | instid1(VALU_DEP_2)
	v_add_co_ci_u32_e32 v2, vcc_lo, s9, v2, vcc_lo
	v_add_co_u32 v1, vcc_lo, v1, v39
	s_delay_alu instid0(VALU_DEP_2)
	v_add_co_ci_u32_e32 v2, vcc_lo, 0, v2, vcc_lo
	.p2align	6
.LBB1057_412:                           ; =>This Inner Loop Header: Depth=1
	ds_load_b64 v[4:5], v39
	v_add_nc_u32_e32 v3, 0x200, v3
	v_add_nc_u32_e32 v39, 0x1000, v39
	s_delay_alu instid0(VALU_DEP_2) | instskip(SKIP_4) | instid1(VALU_DEP_1)
	v_cmp_ge_u32_e32 vcc_lo, v3, v19
	s_or_b32 s2, vcc_lo, s2
	s_waitcnt lgkmcnt(0)
	global_store_b64 v[1:2], v[4:5], off
	v_add_co_u32 v1, s0, 0x1000, v1
	v_add_co_ci_u32_e64 v2, s0, 0, v2, s0
	s_and_not1_b32 exec_lo, exec_lo, s2
	s_cbranch_execnz .LBB1057_412
.LBB1057_413:
	s_or_b32 exec_lo, exec_lo, s1
	v_cmp_eq_u32_e32 vcc_lo, 0, v0
	s_and_b32 s0, vcc_lo, s14
	s_delay_alu instid0(SALU_CYCLE_1)
	s_and_saveexec_b32 s1, s0
	s_cbranch_execz .LBB1057_368
.LBB1057_414:
	v_add_co_u32 v0, s0, s12, v19
	s_delay_alu instid0(VALU_DEP_1) | instskip(SKIP_1) | instid1(VALU_DEP_3)
	v_add_co_ci_u32_e64 v1, null, s13, 0, s0
	v_mov_b32_e32 v2, 0
	v_add_co_u32 v0, vcc_lo, v0, v20
	s_delay_alu instid0(VALU_DEP_3)
	v_add_co_ci_u32_e32 v1, vcc_lo, 0, v1, vcc_lo
	global_store_b64 v2, v[0:1], s[16:17]
	s_nop 0
	s_sendmsg sendmsg(MSG_DEALLOC_VGPRS)
	s_endpgm
	.section	.rodata,"a",@progbits
	.p2align	6, 0x0
	.amdhsa_kernel _ZN7rocprim17ROCPRIM_400000_NS6detail17trampoline_kernelINS0_14default_configENS1_25partition_config_selectorILNS1_17partition_subalgoE8ElNS0_10empty_typeEbEEZZNS1_14partition_implILS5_8ELb0ES3_jPlPS6_PKS6_NS0_5tupleIJS9_S6_EEENSD_IJSA_SA_EEENS0_18inequality_wrapperIZN2at6native12_GLOBAL__N_124unique_dim_cuda_templateIbEESt5tupleIJNSH_6TensorESM_SM_EERKSM_lbbbEUlllE0_EEPmJS6_EEE10hipError_tPvRmT3_T4_T5_T6_T7_T9_mT8_P12ihipStream_tbDpT10_ENKUlT_T0_E_clISt17integral_constantIbLb0EES1C_EEDaS17_S18_EUlS17_E_NS1_11comp_targetILNS1_3genE9ELNS1_11target_archE1100ELNS1_3gpuE3ELNS1_3repE0EEENS1_30default_config_static_selectorELNS0_4arch9wavefront6targetE0EEEvT1_
		.amdhsa_group_segment_fixed_size 33804
		.amdhsa_private_segment_fixed_size 0
		.amdhsa_kernarg_size 120
		.amdhsa_user_sgpr_count 15
		.amdhsa_user_sgpr_dispatch_ptr 0
		.amdhsa_user_sgpr_queue_ptr 0
		.amdhsa_user_sgpr_kernarg_segment_ptr 1
		.amdhsa_user_sgpr_dispatch_id 0
		.amdhsa_user_sgpr_private_segment_size 0
		.amdhsa_wavefront_size32 1
		.amdhsa_uses_dynamic_stack 0
		.amdhsa_enable_private_segment 0
		.amdhsa_system_sgpr_workgroup_id_x 1
		.amdhsa_system_sgpr_workgroup_id_y 0
		.amdhsa_system_sgpr_workgroup_id_z 0
		.amdhsa_system_sgpr_workgroup_info 0
		.amdhsa_system_vgpr_workitem_id 0
		.amdhsa_next_free_vgpr 52
		.amdhsa_next_free_sgpr 37
		.amdhsa_reserve_vcc 1
		.amdhsa_float_round_mode_32 0
		.amdhsa_float_round_mode_16_64 0
		.amdhsa_float_denorm_mode_32 3
		.amdhsa_float_denorm_mode_16_64 3
		.amdhsa_dx10_clamp 1
		.amdhsa_ieee_mode 1
		.amdhsa_fp16_overflow 0
		.amdhsa_workgroup_processor_mode 1
		.amdhsa_memory_ordered 1
		.amdhsa_forward_progress 0
		.amdhsa_shared_vgpr_count 0
		.amdhsa_exception_fp_ieee_invalid_op 0
		.amdhsa_exception_fp_denorm_src 0
		.amdhsa_exception_fp_ieee_div_zero 0
		.amdhsa_exception_fp_ieee_overflow 0
		.amdhsa_exception_fp_ieee_underflow 0
		.amdhsa_exception_fp_ieee_inexact 0
		.amdhsa_exception_int_div_zero 0
	.end_amdhsa_kernel
	.section	.text._ZN7rocprim17ROCPRIM_400000_NS6detail17trampoline_kernelINS0_14default_configENS1_25partition_config_selectorILNS1_17partition_subalgoE8ElNS0_10empty_typeEbEEZZNS1_14partition_implILS5_8ELb0ES3_jPlPS6_PKS6_NS0_5tupleIJS9_S6_EEENSD_IJSA_SA_EEENS0_18inequality_wrapperIZN2at6native12_GLOBAL__N_124unique_dim_cuda_templateIbEESt5tupleIJNSH_6TensorESM_SM_EERKSM_lbbbEUlllE0_EEPmJS6_EEE10hipError_tPvRmT3_T4_T5_T6_T7_T9_mT8_P12ihipStream_tbDpT10_ENKUlT_T0_E_clISt17integral_constantIbLb0EES1C_EEDaS17_S18_EUlS17_E_NS1_11comp_targetILNS1_3genE9ELNS1_11target_archE1100ELNS1_3gpuE3ELNS1_3repE0EEENS1_30default_config_static_selectorELNS0_4arch9wavefront6targetE0EEEvT1_,"axG",@progbits,_ZN7rocprim17ROCPRIM_400000_NS6detail17trampoline_kernelINS0_14default_configENS1_25partition_config_selectorILNS1_17partition_subalgoE8ElNS0_10empty_typeEbEEZZNS1_14partition_implILS5_8ELb0ES3_jPlPS6_PKS6_NS0_5tupleIJS9_S6_EEENSD_IJSA_SA_EEENS0_18inequality_wrapperIZN2at6native12_GLOBAL__N_124unique_dim_cuda_templateIbEESt5tupleIJNSH_6TensorESM_SM_EERKSM_lbbbEUlllE0_EEPmJS6_EEE10hipError_tPvRmT3_T4_T5_T6_T7_T9_mT8_P12ihipStream_tbDpT10_ENKUlT_T0_E_clISt17integral_constantIbLb0EES1C_EEDaS17_S18_EUlS17_E_NS1_11comp_targetILNS1_3genE9ELNS1_11target_archE1100ELNS1_3gpuE3ELNS1_3repE0EEENS1_30default_config_static_selectorELNS0_4arch9wavefront6targetE0EEEvT1_,comdat
.Lfunc_end1057:
	.size	_ZN7rocprim17ROCPRIM_400000_NS6detail17trampoline_kernelINS0_14default_configENS1_25partition_config_selectorILNS1_17partition_subalgoE8ElNS0_10empty_typeEbEEZZNS1_14partition_implILS5_8ELb0ES3_jPlPS6_PKS6_NS0_5tupleIJS9_S6_EEENSD_IJSA_SA_EEENS0_18inequality_wrapperIZN2at6native12_GLOBAL__N_124unique_dim_cuda_templateIbEESt5tupleIJNSH_6TensorESM_SM_EERKSM_lbbbEUlllE0_EEPmJS6_EEE10hipError_tPvRmT3_T4_T5_T6_T7_T9_mT8_P12ihipStream_tbDpT10_ENKUlT_T0_E_clISt17integral_constantIbLb0EES1C_EEDaS17_S18_EUlS17_E_NS1_11comp_targetILNS1_3genE9ELNS1_11target_archE1100ELNS1_3gpuE3ELNS1_3repE0EEENS1_30default_config_static_selectorELNS0_4arch9wavefront6targetE0EEEvT1_, .Lfunc_end1057-_ZN7rocprim17ROCPRIM_400000_NS6detail17trampoline_kernelINS0_14default_configENS1_25partition_config_selectorILNS1_17partition_subalgoE8ElNS0_10empty_typeEbEEZZNS1_14partition_implILS5_8ELb0ES3_jPlPS6_PKS6_NS0_5tupleIJS9_S6_EEENSD_IJSA_SA_EEENS0_18inequality_wrapperIZN2at6native12_GLOBAL__N_124unique_dim_cuda_templateIbEESt5tupleIJNSH_6TensorESM_SM_EERKSM_lbbbEUlllE0_EEPmJS6_EEE10hipError_tPvRmT3_T4_T5_T6_T7_T9_mT8_P12ihipStream_tbDpT10_ENKUlT_T0_E_clISt17integral_constantIbLb0EES1C_EEDaS17_S18_EUlS17_E_NS1_11comp_targetILNS1_3genE9ELNS1_11target_archE1100ELNS1_3gpuE3ELNS1_3repE0EEENS1_30default_config_static_selectorELNS0_4arch9wavefront6targetE0EEEvT1_
                                        ; -- End function
	.section	.AMDGPU.csdata,"",@progbits
; Kernel info:
; codeLenInByte = 17548
; NumSgprs: 39
; NumVgprs: 52
; ScratchSize: 0
; MemoryBound: 0
; FloatMode: 240
; IeeeMode: 1
; LDSByteSize: 33804 bytes/workgroup (compile time only)
; SGPRBlocks: 4
; VGPRBlocks: 6
; NumSGPRsForWavesPerEU: 39
; NumVGPRsForWavesPerEU: 52
; Occupancy: 12
; WaveLimiterHint : 1
; COMPUTE_PGM_RSRC2:SCRATCH_EN: 0
; COMPUTE_PGM_RSRC2:USER_SGPR: 15
; COMPUTE_PGM_RSRC2:TRAP_HANDLER: 0
; COMPUTE_PGM_RSRC2:TGID_X_EN: 1
; COMPUTE_PGM_RSRC2:TGID_Y_EN: 0
; COMPUTE_PGM_RSRC2:TGID_Z_EN: 0
; COMPUTE_PGM_RSRC2:TIDIG_COMP_CNT: 0
	.section	.text._ZN7rocprim17ROCPRIM_400000_NS6detail17trampoline_kernelINS0_14default_configENS1_25partition_config_selectorILNS1_17partition_subalgoE8ElNS0_10empty_typeEbEEZZNS1_14partition_implILS5_8ELb0ES3_jPlPS6_PKS6_NS0_5tupleIJS9_S6_EEENSD_IJSA_SA_EEENS0_18inequality_wrapperIZN2at6native12_GLOBAL__N_124unique_dim_cuda_templateIbEESt5tupleIJNSH_6TensorESM_SM_EERKSM_lbbbEUlllE0_EEPmJS6_EEE10hipError_tPvRmT3_T4_T5_T6_T7_T9_mT8_P12ihipStream_tbDpT10_ENKUlT_T0_E_clISt17integral_constantIbLb0EES1C_EEDaS17_S18_EUlS17_E_NS1_11comp_targetILNS1_3genE8ELNS1_11target_archE1030ELNS1_3gpuE2ELNS1_3repE0EEENS1_30default_config_static_selectorELNS0_4arch9wavefront6targetE0EEEvT1_,"axG",@progbits,_ZN7rocprim17ROCPRIM_400000_NS6detail17trampoline_kernelINS0_14default_configENS1_25partition_config_selectorILNS1_17partition_subalgoE8ElNS0_10empty_typeEbEEZZNS1_14partition_implILS5_8ELb0ES3_jPlPS6_PKS6_NS0_5tupleIJS9_S6_EEENSD_IJSA_SA_EEENS0_18inequality_wrapperIZN2at6native12_GLOBAL__N_124unique_dim_cuda_templateIbEESt5tupleIJNSH_6TensorESM_SM_EERKSM_lbbbEUlllE0_EEPmJS6_EEE10hipError_tPvRmT3_T4_T5_T6_T7_T9_mT8_P12ihipStream_tbDpT10_ENKUlT_T0_E_clISt17integral_constantIbLb0EES1C_EEDaS17_S18_EUlS17_E_NS1_11comp_targetILNS1_3genE8ELNS1_11target_archE1030ELNS1_3gpuE2ELNS1_3repE0EEENS1_30default_config_static_selectorELNS0_4arch9wavefront6targetE0EEEvT1_,comdat
	.globl	_ZN7rocprim17ROCPRIM_400000_NS6detail17trampoline_kernelINS0_14default_configENS1_25partition_config_selectorILNS1_17partition_subalgoE8ElNS0_10empty_typeEbEEZZNS1_14partition_implILS5_8ELb0ES3_jPlPS6_PKS6_NS0_5tupleIJS9_S6_EEENSD_IJSA_SA_EEENS0_18inequality_wrapperIZN2at6native12_GLOBAL__N_124unique_dim_cuda_templateIbEESt5tupleIJNSH_6TensorESM_SM_EERKSM_lbbbEUlllE0_EEPmJS6_EEE10hipError_tPvRmT3_T4_T5_T6_T7_T9_mT8_P12ihipStream_tbDpT10_ENKUlT_T0_E_clISt17integral_constantIbLb0EES1C_EEDaS17_S18_EUlS17_E_NS1_11comp_targetILNS1_3genE8ELNS1_11target_archE1030ELNS1_3gpuE2ELNS1_3repE0EEENS1_30default_config_static_selectorELNS0_4arch9wavefront6targetE0EEEvT1_ ; -- Begin function _ZN7rocprim17ROCPRIM_400000_NS6detail17trampoline_kernelINS0_14default_configENS1_25partition_config_selectorILNS1_17partition_subalgoE8ElNS0_10empty_typeEbEEZZNS1_14partition_implILS5_8ELb0ES3_jPlPS6_PKS6_NS0_5tupleIJS9_S6_EEENSD_IJSA_SA_EEENS0_18inequality_wrapperIZN2at6native12_GLOBAL__N_124unique_dim_cuda_templateIbEESt5tupleIJNSH_6TensorESM_SM_EERKSM_lbbbEUlllE0_EEPmJS6_EEE10hipError_tPvRmT3_T4_T5_T6_T7_T9_mT8_P12ihipStream_tbDpT10_ENKUlT_T0_E_clISt17integral_constantIbLb0EES1C_EEDaS17_S18_EUlS17_E_NS1_11comp_targetILNS1_3genE8ELNS1_11target_archE1030ELNS1_3gpuE2ELNS1_3repE0EEENS1_30default_config_static_selectorELNS0_4arch9wavefront6targetE0EEEvT1_
	.p2align	8
	.type	_ZN7rocprim17ROCPRIM_400000_NS6detail17trampoline_kernelINS0_14default_configENS1_25partition_config_selectorILNS1_17partition_subalgoE8ElNS0_10empty_typeEbEEZZNS1_14partition_implILS5_8ELb0ES3_jPlPS6_PKS6_NS0_5tupleIJS9_S6_EEENSD_IJSA_SA_EEENS0_18inequality_wrapperIZN2at6native12_GLOBAL__N_124unique_dim_cuda_templateIbEESt5tupleIJNSH_6TensorESM_SM_EERKSM_lbbbEUlllE0_EEPmJS6_EEE10hipError_tPvRmT3_T4_T5_T6_T7_T9_mT8_P12ihipStream_tbDpT10_ENKUlT_T0_E_clISt17integral_constantIbLb0EES1C_EEDaS17_S18_EUlS17_E_NS1_11comp_targetILNS1_3genE8ELNS1_11target_archE1030ELNS1_3gpuE2ELNS1_3repE0EEENS1_30default_config_static_selectorELNS0_4arch9wavefront6targetE0EEEvT1_,@function
_ZN7rocprim17ROCPRIM_400000_NS6detail17trampoline_kernelINS0_14default_configENS1_25partition_config_selectorILNS1_17partition_subalgoE8ElNS0_10empty_typeEbEEZZNS1_14partition_implILS5_8ELb0ES3_jPlPS6_PKS6_NS0_5tupleIJS9_S6_EEENSD_IJSA_SA_EEENS0_18inequality_wrapperIZN2at6native12_GLOBAL__N_124unique_dim_cuda_templateIbEESt5tupleIJNSH_6TensorESM_SM_EERKSM_lbbbEUlllE0_EEPmJS6_EEE10hipError_tPvRmT3_T4_T5_T6_T7_T9_mT8_P12ihipStream_tbDpT10_ENKUlT_T0_E_clISt17integral_constantIbLb0EES1C_EEDaS17_S18_EUlS17_E_NS1_11comp_targetILNS1_3genE8ELNS1_11target_archE1030ELNS1_3gpuE2ELNS1_3repE0EEENS1_30default_config_static_selectorELNS0_4arch9wavefront6targetE0EEEvT1_: ; @_ZN7rocprim17ROCPRIM_400000_NS6detail17trampoline_kernelINS0_14default_configENS1_25partition_config_selectorILNS1_17partition_subalgoE8ElNS0_10empty_typeEbEEZZNS1_14partition_implILS5_8ELb0ES3_jPlPS6_PKS6_NS0_5tupleIJS9_S6_EEENSD_IJSA_SA_EEENS0_18inequality_wrapperIZN2at6native12_GLOBAL__N_124unique_dim_cuda_templateIbEESt5tupleIJNSH_6TensorESM_SM_EERKSM_lbbbEUlllE0_EEPmJS6_EEE10hipError_tPvRmT3_T4_T5_T6_T7_T9_mT8_P12ihipStream_tbDpT10_ENKUlT_T0_E_clISt17integral_constantIbLb0EES1C_EEDaS17_S18_EUlS17_E_NS1_11comp_targetILNS1_3genE8ELNS1_11target_archE1030ELNS1_3gpuE2ELNS1_3repE0EEENS1_30default_config_static_selectorELNS0_4arch9wavefront6targetE0EEEvT1_
; %bb.0:
	.section	.rodata,"a",@progbits
	.p2align	6, 0x0
	.amdhsa_kernel _ZN7rocprim17ROCPRIM_400000_NS6detail17trampoline_kernelINS0_14default_configENS1_25partition_config_selectorILNS1_17partition_subalgoE8ElNS0_10empty_typeEbEEZZNS1_14partition_implILS5_8ELb0ES3_jPlPS6_PKS6_NS0_5tupleIJS9_S6_EEENSD_IJSA_SA_EEENS0_18inequality_wrapperIZN2at6native12_GLOBAL__N_124unique_dim_cuda_templateIbEESt5tupleIJNSH_6TensorESM_SM_EERKSM_lbbbEUlllE0_EEPmJS6_EEE10hipError_tPvRmT3_T4_T5_T6_T7_T9_mT8_P12ihipStream_tbDpT10_ENKUlT_T0_E_clISt17integral_constantIbLb0EES1C_EEDaS17_S18_EUlS17_E_NS1_11comp_targetILNS1_3genE8ELNS1_11target_archE1030ELNS1_3gpuE2ELNS1_3repE0EEENS1_30default_config_static_selectorELNS0_4arch9wavefront6targetE0EEEvT1_
		.amdhsa_group_segment_fixed_size 0
		.amdhsa_private_segment_fixed_size 0
		.amdhsa_kernarg_size 120
		.amdhsa_user_sgpr_count 15
		.amdhsa_user_sgpr_dispatch_ptr 0
		.amdhsa_user_sgpr_queue_ptr 0
		.amdhsa_user_sgpr_kernarg_segment_ptr 1
		.amdhsa_user_sgpr_dispatch_id 0
		.amdhsa_user_sgpr_private_segment_size 0
		.amdhsa_wavefront_size32 1
		.amdhsa_uses_dynamic_stack 0
		.amdhsa_enable_private_segment 0
		.amdhsa_system_sgpr_workgroup_id_x 1
		.amdhsa_system_sgpr_workgroup_id_y 0
		.amdhsa_system_sgpr_workgroup_id_z 0
		.amdhsa_system_sgpr_workgroup_info 0
		.amdhsa_system_vgpr_workitem_id 0
		.amdhsa_next_free_vgpr 1
		.amdhsa_next_free_sgpr 1
		.amdhsa_reserve_vcc 0
		.amdhsa_float_round_mode_32 0
		.amdhsa_float_round_mode_16_64 0
		.amdhsa_float_denorm_mode_32 3
		.amdhsa_float_denorm_mode_16_64 3
		.amdhsa_dx10_clamp 1
		.amdhsa_ieee_mode 1
		.amdhsa_fp16_overflow 0
		.amdhsa_workgroup_processor_mode 1
		.amdhsa_memory_ordered 1
		.amdhsa_forward_progress 0
		.amdhsa_shared_vgpr_count 0
		.amdhsa_exception_fp_ieee_invalid_op 0
		.amdhsa_exception_fp_denorm_src 0
		.amdhsa_exception_fp_ieee_div_zero 0
		.amdhsa_exception_fp_ieee_overflow 0
		.amdhsa_exception_fp_ieee_underflow 0
		.amdhsa_exception_fp_ieee_inexact 0
		.amdhsa_exception_int_div_zero 0
	.end_amdhsa_kernel
	.section	.text._ZN7rocprim17ROCPRIM_400000_NS6detail17trampoline_kernelINS0_14default_configENS1_25partition_config_selectorILNS1_17partition_subalgoE8ElNS0_10empty_typeEbEEZZNS1_14partition_implILS5_8ELb0ES3_jPlPS6_PKS6_NS0_5tupleIJS9_S6_EEENSD_IJSA_SA_EEENS0_18inequality_wrapperIZN2at6native12_GLOBAL__N_124unique_dim_cuda_templateIbEESt5tupleIJNSH_6TensorESM_SM_EERKSM_lbbbEUlllE0_EEPmJS6_EEE10hipError_tPvRmT3_T4_T5_T6_T7_T9_mT8_P12ihipStream_tbDpT10_ENKUlT_T0_E_clISt17integral_constantIbLb0EES1C_EEDaS17_S18_EUlS17_E_NS1_11comp_targetILNS1_3genE8ELNS1_11target_archE1030ELNS1_3gpuE2ELNS1_3repE0EEENS1_30default_config_static_selectorELNS0_4arch9wavefront6targetE0EEEvT1_,"axG",@progbits,_ZN7rocprim17ROCPRIM_400000_NS6detail17trampoline_kernelINS0_14default_configENS1_25partition_config_selectorILNS1_17partition_subalgoE8ElNS0_10empty_typeEbEEZZNS1_14partition_implILS5_8ELb0ES3_jPlPS6_PKS6_NS0_5tupleIJS9_S6_EEENSD_IJSA_SA_EEENS0_18inequality_wrapperIZN2at6native12_GLOBAL__N_124unique_dim_cuda_templateIbEESt5tupleIJNSH_6TensorESM_SM_EERKSM_lbbbEUlllE0_EEPmJS6_EEE10hipError_tPvRmT3_T4_T5_T6_T7_T9_mT8_P12ihipStream_tbDpT10_ENKUlT_T0_E_clISt17integral_constantIbLb0EES1C_EEDaS17_S18_EUlS17_E_NS1_11comp_targetILNS1_3genE8ELNS1_11target_archE1030ELNS1_3gpuE2ELNS1_3repE0EEENS1_30default_config_static_selectorELNS0_4arch9wavefront6targetE0EEEvT1_,comdat
.Lfunc_end1058:
	.size	_ZN7rocprim17ROCPRIM_400000_NS6detail17trampoline_kernelINS0_14default_configENS1_25partition_config_selectorILNS1_17partition_subalgoE8ElNS0_10empty_typeEbEEZZNS1_14partition_implILS5_8ELb0ES3_jPlPS6_PKS6_NS0_5tupleIJS9_S6_EEENSD_IJSA_SA_EEENS0_18inequality_wrapperIZN2at6native12_GLOBAL__N_124unique_dim_cuda_templateIbEESt5tupleIJNSH_6TensorESM_SM_EERKSM_lbbbEUlllE0_EEPmJS6_EEE10hipError_tPvRmT3_T4_T5_T6_T7_T9_mT8_P12ihipStream_tbDpT10_ENKUlT_T0_E_clISt17integral_constantIbLb0EES1C_EEDaS17_S18_EUlS17_E_NS1_11comp_targetILNS1_3genE8ELNS1_11target_archE1030ELNS1_3gpuE2ELNS1_3repE0EEENS1_30default_config_static_selectorELNS0_4arch9wavefront6targetE0EEEvT1_, .Lfunc_end1058-_ZN7rocprim17ROCPRIM_400000_NS6detail17trampoline_kernelINS0_14default_configENS1_25partition_config_selectorILNS1_17partition_subalgoE8ElNS0_10empty_typeEbEEZZNS1_14partition_implILS5_8ELb0ES3_jPlPS6_PKS6_NS0_5tupleIJS9_S6_EEENSD_IJSA_SA_EEENS0_18inequality_wrapperIZN2at6native12_GLOBAL__N_124unique_dim_cuda_templateIbEESt5tupleIJNSH_6TensorESM_SM_EERKSM_lbbbEUlllE0_EEPmJS6_EEE10hipError_tPvRmT3_T4_T5_T6_T7_T9_mT8_P12ihipStream_tbDpT10_ENKUlT_T0_E_clISt17integral_constantIbLb0EES1C_EEDaS17_S18_EUlS17_E_NS1_11comp_targetILNS1_3genE8ELNS1_11target_archE1030ELNS1_3gpuE2ELNS1_3repE0EEENS1_30default_config_static_selectorELNS0_4arch9wavefront6targetE0EEEvT1_
                                        ; -- End function
	.section	.AMDGPU.csdata,"",@progbits
; Kernel info:
; codeLenInByte = 0
; NumSgprs: 0
; NumVgprs: 0
; ScratchSize: 0
; MemoryBound: 0
; FloatMode: 240
; IeeeMode: 1
; LDSByteSize: 0 bytes/workgroup (compile time only)
; SGPRBlocks: 0
; VGPRBlocks: 0
; NumSGPRsForWavesPerEU: 1
; NumVGPRsForWavesPerEU: 1
; Occupancy: 16
; WaveLimiterHint : 0
; COMPUTE_PGM_RSRC2:SCRATCH_EN: 0
; COMPUTE_PGM_RSRC2:USER_SGPR: 15
; COMPUTE_PGM_RSRC2:TRAP_HANDLER: 0
; COMPUTE_PGM_RSRC2:TGID_X_EN: 1
; COMPUTE_PGM_RSRC2:TGID_Y_EN: 0
; COMPUTE_PGM_RSRC2:TGID_Z_EN: 0
; COMPUTE_PGM_RSRC2:TIDIG_COMP_CNT: 0
	.section	.text._ZN7rocprim17ROCPRIM_400000_NS6detail17trampoline_kernelINS0_14default_configENS1_25partition_config_selectorILNS1_17partition_subalgoE8ElNS0_10empty_typeEbEEZZNS1_14partition_implILS5_8ELb0ES3_jPlPS6_PKS6_NS0_5tupleIJS9_S6_EEENSD_IJSA_SA_EEENS0_18inequality_wrapperIZN2at6native12_GLOBAL__N_124unique_dim_cuda_templateIbEESt5tupleIJNSH_6TensorESM_SM_EERKSM_lbbbEUlllE0_EEPmJS6_EEE10hipError_tPvRmT3_T4_T5_T6_T7_T9_mT8_P12ihipStream_tbDpT10_ENKUlT_T0_E_clISt17integral_constantIbLb1EES1C_EEDaS17_S18_EUlS17_E_NS1_11comp_targetILNS1_3genE0ELNS1_11target_archE4294967295ELNS1_3gpuE0ELNS1_3repE0EEENS1_30default_config_static_selectorELNS0_4arch9wavefront6targetE0EEEvT1_,"axG",@progbits,_ZN7rocprim17ROCPRIM_400000_NS6detail17trampoline_kernelINS0_14default_configENS1_25partition_config_selectorILNS1_17partition_subalgoE8ElNS0_10empty_typeEbEEZZNS1_14partition_implILS5_8ELb0ES3_jPlPS6_PKS6_NS0_5tupleIJS9_S6_EEENSD_IJSA_SA_EEENS0_18inequality_wrapperIZN2at6native12_GLOBAL__N_124unique_dim_cuda_templateIbEESt5tupleIJNSH_6TensorESM_SM_EERKSM_lbbbEUlllE0_EEPmJS6_EEE10hipError_tPvRmT3_T4_T5_T6_T7_T9_mT8_P12ihipStream_tbDpT10_ENKUlT_T0_E_clISt17integral_constantIbLb1EES1C_EEDaS17_S18_EUlS17_E_NS1_11comp_targetILNS1_3genE0ELNS1_11target_archE4294967295ELNS1_3gpuE0ELNS1_3repE0EEENS1_30default_config_static_selectorELNS0_4arch9wavefront6targetE0EEEvT1_,comdat
	.globl	_ZN7rocprim17ROCPRIM_400000_NS6detail17trampoline_kernelINS0_14default_configENS1_25partition_config_selectorILNS1_17partition_subalgoE8ElNS0_10empty_typeEbEEZZNS1_14partition_implILS5_8ELb0ES3_jPlPS6_PKS6_NS0_5tupleIJS9_S6_EEENSD_IJSA_SA_EEENS0_18inequality_wrapperIZN2at6native12_GLOBAL__N_124unique_dim_cuda_templateIbEESt5tupleIJNSH_6TensorESM_SM_EERKSM_lbbbEUlllE0_EEPmJS6_EEE10hipError_tPvRmT3_T4_T5_T6_T7_T9_mT8_P12ihipStream_tbDpT10_ENKUlT_T0_E_clISt17integral_constantIbLb1EES1C_EEDaS17_S18_EUlS17_E_NS1_11comp_targetILNS1_3genE0ELNS1_11target_archE4294967295ELNS1_3gpuE0ELNS1_3repE0EEENS1_30default_config_static_selectorELNS0_4arch9wavefront6targetE0EEEvT1_ ; -- Begin function _ZN7rocprim17ROCPRIM_400000_NS6detail17trampoline_kernelINS0_14default_configENS1_25partition_config_selectorILNS1_17partition_subalgoE8ElNS0_10empty_typeEbEEZZNS1_14partition_implILS5_8ELb0ES3_jPlPS6_PKS6_NS0_5tupleIJS9_S6_EEENSD_IJSA_SA_EEENS0_18inequality_wrapperIZN2at6native12_GLOBAL__N_124unique_dim_cuda_templateIbEESt5tupleIJNSH_6TensorESM_SM_EERKSM_lbbbEUlllE0_EEPmJS6_EEE10hipError_tPvRmT3_T4_T5_T6_T7_T9_mT8_P12ihipStream_tbDpT10_ENKUlT_T0_E_clISt17integral_constantIbLb1EES1C_EEDaS17_S18_EUlS17_E_NS1_11comp_targetILNS1_3genE0ELNS1_11target_archE4294967295ELNS1_3gpuE0ELNS1_3repE0EEENS1_30default_config_static_selectorELNS0_4arch9wavefront6targetE0EEEvT1_
	.p2align	8
	.type	_ZN7rocprim17ROCPRIM_400000_NS6detail17trampoline_kernelINS0_14default_configENS1_25partition_config_selectorILNS1_17partition_subalgoE8ElNS0_10empty_typeEbEEZZNS1_14partition_implILS5_8ELb0ES3_jPlPS6_PKS6_NS0_5tupleIJS9_S6_EEENSD_IJSA_SA_EEENS0_18inequality_wrapperIZN2at6native12_GLOBAL__N_124unique_dim_cuda_templateIbEESt5tupleIJNSH_6TensorESM_SM_EERKSM_lbbbEUlllE0_EEPmJS6_EEE10hipError_tPvRmT3_T4_T5_T6_T7_T9_mT8_P12ihipStream_tbDpT10_ENKUlT_T0_E_clISt17integral_constantIbLb1EES1C_EEDaS17_S18_EUlS17_E_NS1_11comp_targetILNS1_3genE0ELNS1_11target_archE4294967295ELNS1_3gpuE0ELNS1_3repE0EEENS1_30default_config_static_selectorELNS0_4arch9wavefront6targetE0EEEvT1_,@function
_ZN7rocprim17ROCPRIM_400000_NS6detail17trampoline_kernelINS0_14default_configENS1_25partition_config_selectorILNS1_17partition_subalgoE8ElNS0_10empty_typeEbEEZZNS1_14partition_implILS5_8ELb0ES3_jPlPS6_PKS6_NS0_5tupleIJS9_S6_EEENSD_IJSA_SA_EEENS0_18inequality_wrapperIZN2at6native12_GLOBAL__N_124unique_dim_cuda_templateIbEESt5tupleIJNSH_6TensorESM_SM_EERKSM_lbbbEUlllE0_EEPmJS6_EEE10hipError_tPvRmT3_T4_T5_T6_T7_T9_mT8_P12ihipStream_tbDpT10_ENKUlT_T0_E_clISt17integral_constantIbLb1EES1C_EEDaS17_S18_EUlS17_E_NS1_11comp_targetILNS1_3genE0ELNS1_11target_archE4294967295ELNS1_3gpuE0ELNS1_3repE0EEENS1_30default_config_static_selectorELNS0_4arch9wavefront6targetE0EEEvT1_: ; @_ZN7rocprim17ROCPRIM_400000_NS6detail17trampoline_kernelINS0_14default_configENS1_25partition_config_selectorILNS1_17partition_subalgoE8ElNS0_10empty_typeEbEEZZNS1_14partition_implILS5_8ELb0ES3_jPlPS6_PKS6_NS0_5tupleIJS9_S6_EEENSD_IJSA_SA_EEENS0_18inequality_wrapperIZN2at6native12_GLOBAL__N_124unique_dim_cuda_templateIbEESt5tupleIJNSH_6TensorESM_SM_EERKSM_lbbbEUlllE0_EEPmJS6_EEE10hipError_tPvRmT3_T4_T5_T6_T7_T9_mT8_P12ihipStream_tbDpT10_ENKUlT_T0_E_clISt17integral_constantIbLb1EES1C_EEDaS17_S18_EUlS17_E_NS1_11comp_targetILNS1_3genE0ELNS1_11target_archE4294967295ELNS1_3gpuE0ELNS1_3repE0EEENS1_30default_config_static_selectorELNS0_4arch9wavefront6targetE0EEEvT1_
; %bb.0:
	.section	.rodata,"a",@progbits
	.p2align	6, 0x0
	.amdhsa_kernel _ZN7rocprim17ROCPRIM_400000_NS6detail17trampoline_kernelINS0_14default_configENS1_25partition_config_selectorILNS1_17partition_subalgoE8ElNS0_10empty_typeEbEEZZNS1_14partition_implILS5_8ELb0ES3_jPlPS6_PKS6_NS0_5tupleIJS9_S6_EEENSD_IJSA_SA_EEENS0_18inequality_wrapperIZN2at6native12_GLOBAL__N_124unique_dim_cuda_templateIbEESt5tupleIJNSH_6TensorESM_SM_EERKSM_lbbbEUlllE0_EEPmJS6_EEE10hipError_tPvRmT3_T4_T5_T6_T7_T9_mT8_P12ihipStream_tbDpT10_ENKUlT_T0_E_clISt17integral_constantIbLb1EES1C_EEDaS17_S18_EUlS17_E_NS1_11comp_targetILNS1_3genE0ELNS1_11target_archE4294967295ELNS1_3gpuE0ELNS1_3repE0EEENS1_30default_config_static_selectorELNS0_4arch9wavefront6targetE0EEEvT1_
		.amdhsa_group_segment_fixed_size 0
		.amdhsa_private_segment_fixed_size 0
		.amdhsa_kernarg_size 136
		.amdhsa_user_sgpr_count 15
		.amdhsa_user_sgpr_dispatch_ptr 0
		.amdhsa_user_sgpr_queue_ptr 0
		.amdhsa_user_sgpr_kernarg_segment_ptr 1
		.amdhsa_user_sgpr_dispatch_id 0
		.amdhsa_user_sgpr_private_segment_size 0
		.amdhsa_wavefront_size32 1
		.amdhsa_uses_dynamic_stack 0
		.amdhsa_enable_private_segment 0
		.amdhsa_system_sgpr_workgroup_id_x 1
		.amdhsa_system_sgpr_workgroup_id_y 0
		.amdhsa_system_sgpr_workgroup_id_z 0
		.amdhsa_system_sgpr_workgroup_info 0
		.amdhsa_system_vgpr_workitem_id 0
		.amdhsa_next_free_vgpr 1
		.amdhsa_next_free_sgpr 1
		.amdhsa_reserve_vcc 0
		.amdhsa_float_round_mode_32 0
		.amdhsa_float_round_mode_16_64 0
		.amdhsa_float_denorm_mode_32 3
		.amdhsa_float_denorm_mode_16_64 3
		.amdhsa_dx10_clamp 1
		.amdhsa_ieee_mode 1
		.amdhsa_fp16_overflow 0
		.amdhsa_workgroup_processor_mode 1
		.amdhsa_memory_ordered 1
		.amdhsa_forward_progress 0
		.amdhsa_shared_vgpr_count 0
		.amdhsa_exception_fp_ieee_invalid_op 0
		.amdhsa_exception_fp_denorm_src 0
		.amdhsa_exception_fp_ieee_div_zero 0
		.amdhsa_exception_fp_ieee_overflow 0
		.amdhsa_exception_fp_ieee_underflow 0
		.amdhsa_exception_fp_ieee_inexact 0
		.amdhsa_exception_int_div_zero 0
	.end_amdhsa_kernel
	.section	.text._ZN7rocprim17ROCPRIM_400000_NS6detail17trampoline_kernelINS0_14default_configENS1_25partition_config_selectorILNS1_17partition_subalgoE8ElNS0_10empty_typeEbEEZZNS1_14partition_implILS5_8ELb0ES3_jPlPS6_PKS6_NS0_5tupleIJS9_S6_EEENSD_IJSA_SA_EEENS0_18inequality_wrapperIZN2at6native12_GLOBAL__N_124unique_dim_cuda_templateIbEESt5tupleIJNSH_6TensorESM_SM_EERKSM_lbbbEUlllE0_EEPmJS6_EEE10hipError_tPvRmT3_T4_T5_T6_T7_T9_mT8_P12ihipStream_tbDpT10_ENKUlT_T0_E_clISt17integral_constantIbLb1EES1C_EEDaS17_S18_EUlS17_E_NS1_11comp_targetILNS1_3genE0ELNS1_11target_archE4294967295ELNS1_3gpuE0ELNS1_3repE0EEENS1_30default_config_static_selectorELNS0_4arch9wavefront6targetE0EEEvT1_,"axG",@progbits,_ZN7rocprim17ROCPRIM_400000_NS6detail17trampoline_kernelINS0_14default_configENS1_25partition_config_selectorILNS1_17partition_subalgoE8ElNS0_10empty_typeEbEEZZNS1_14partition_implILS5_8ELb0ES3_jPlPS6_PKS6_NS0_5tupleIJS9_S6_EEENSD_IJSA_SA_EEENS0_18inequality_wrapperIZN2at6native12_GLOBAL__N_124unique_dim_cuda_templateIbEESt5tupleIJNSH_6TensorESM_SM_EERKSM_lbbbEUlllE0_EEPmJS6_EEE10hipError_tPvRmT3_T4_T5_T6_T7_T9_mT8_P12ihipStream_tbDpT10_ENKUlT_T0_E_clISt17integral_constantIbLb1EES1C_EEDaS17_S18_EUlS17_E_NS1_11comp_targetILNS1_3genE0ELNS1_11target_archE4294967295ELNS1_3gpuE0ELNS1_3repE0EEENS1_30default_config_static_selectorELNS0_4arch9wavefront6targetE0EEEvT1_,comdat
.Lfunc_end1059:
	.size	_ZN7rocprim17ROCPRIM_400000_NS6detail17trampoline_kernelINS0_14default_configENS1_25partition_config_selectorILNS1_17partition_subalgoE8ElNS0_10empty_typeEbEEZZNS1_14partition_implILS5_8ELb0ES3_jPlPS6_PKS6_NS0_5tupleIJS9_S6_EEENSD_IJSA_SA_EEENS0_18inequality_wrapperIZN2at6native12_GLOBAL__N_124unique_dim_cuda_templateIbEESt5tupleIJNSH_6TensorESM_SM_EERKSM_lbbbEUlllE0_EEPmJS6_EEE10hipError_tPvRmT3_T4_T5_T6_T7_T9_mT8_P12ihipStream_tbDpT10_ENKUlT_T0_E_clISt17integral_constantIbLb1EES1C_EEDaS17_S18_EUlS17_E_NS1_11comp_targetILNS1_3genE0ELNS1_11target_archE4294967295ELNS1_3gpuE0ELNS1_3repE0EEENS1_30default_config_static_selectorELNS0_4arch9wavefront6targetE0EEEvT1_, .Lfunc_end1059-_ZN7rocprim17ROCPRIM_400000_NS6detail17trampoline_kernelINS0_14default_configENS1_25partition_config_selectorILNS1_17partition_subalgoE8ElNS0_10empty_typeEbEEZZNS1_14partition_implILS5_8ELb0ES3_jPlPS6_PKS6_NS0_5tupleIJS9_S6_EEENSD_IJSA_SA_EEENS0_18inequality_wrapperIZN2at6native12_GLOBAL__N_124unique_dim_cuda_templateIbEESt5tupleIJNSH_6TensorESM_SM_EERKSM_lbbbEUlllE0_EEPmJS6_EEE10hipError_tPvRmT3_T4_T5_T6_T7_T9_mT8_P12ihipStream_tbDpT10_ENKUlT_T0_E_clISt17integral_constantIbLb1EES1C_EEDaS17_S18_EUlS17_E_NS1_11comp_targetILNS1_3genE0ELNS1_11target_archE4294967295ELNS1_3gpuE0ELNS1_3repE0EEENS1_30default_config_static_selectorELNS0_4arch9wavefront6targetE0EEEvT1_
                                        ; -- End function
	.section	.AMDGPU.csdata,"",@progbits
; Kernel info:
; codeLenInByte = 0
; NumSgprs: 0
; NumVgprs: 0
; ScratchSize: 0
; MemoryBound: 0
; FloatMode: 240
; IeeeMode: 1
; LDSByteSize: 0 bytes/workgroup (compile time only)
; SGPRBlocks: 0
; VGPRBlocks: 0
; NumSGPRsForWavesPerEU: 1
; NumVGPRsForWavesPerEU: 1
; Occupancy: 16
; WaveLimiterHint : 0
; COMPUTE_PGM_RSRC2:SCRATCH_EN: 0
; COMPUTE_PGM_RSRC2:USER_SGPR: 15
; COMPUTE_PGM_RSRC2:TRAP_HANDLER: 0
; COMPUTE_PGM_RSRC2:TGID_X_EN: 1
; COMPUTE_PGM_RSRC2:TGID_Y_EN: 0
; COMPUTE_PGM_RSRC2:TGID_Z_EN: 0
; COMPUTE_PGM_RSRC2:TIDIG_COMP_CNT: 0
	.section	.text._ZN7rocprim17ROCPRIM_400000_NS6detail17trampoline_kernelINS0_14default_configENS1_25partition_config_selectorILNS1_17partition_subalgoE8ElNS0_10empty_typeEbEEZZNS1_14partition_implILS5_8ELb0ES3_jPlPS6_PKS6_NS0_5tupleIJS9_S6_EEENSD_IJSA_SA_EEENS0_18inequality_wrapperIZN2at6native12_GLOBAL__N_124unique_dim_cuda_templateIbEESt5tupleIJNSH_6TensorESM_SM_EERKSM_lbbbEUlllE0_EEPmJS6_EEE10hipError_tPvRmT3_T4_T5_T6_T7_T9_mT8_P12ihipStream_tbDpT10_ENKUlT_T0_E_clISt17integral_constantIbLb1EES1C_EEDaS17_S18_EUlS17_E_NS1_11comp_targetILNS1_3genE5ELNS1_11target_archE942ELNS1_3gpuE9ELNS1_3repE0EEENS1_30default_config_static_selectorELNS0_4arch9wavefront6targetE0EEEvT1_,"axG",@progbits,_ZN7rocprim17ROCPRIM_400000_NS6detail17trampoline_kernelINS0_14default_configENS1_25partition_config_selectorILNS1_17partition_subalgoE8ElNS0_10empty_typeEbEEZZNS1_14partition_implILS5_8ELb0ES3_jPlPS6_PKS6_NS0_5tupleIJS9_S6_EEENSD_IJSA_SA_EEENS0_18inequality_wrapperIZN2at6native12_GLOBAL__N_124unique_dim_cuda_templateIbEESt5tupleIJNSH_6TensorESM_SM_EERKSM_lbbbEUlllE0_EEPmJS6_EEE10hipError_tPvRmT3_T4_T5_T6_T7_T9_mT8_P12ihipStream_tbDpT10_ENKUlT_T0_E_clISt17integral_constantIbLb1EES1C_EEDaS17_S18_EUlS17_E_NS1_11comp_targetILNS1_3genE5ELNS1_11target_archE942ELNS1_3gpuE9ELNS1_3repE0EEENS1_30default_config_static_selectorELNS0_4arch9wavefront6targetE0EEEvT1_,comdat
	.globl	_ZN7rocprim17ROCPRIM_400000_NS6detail17trampoline_kernelINS0_14default_configENS1_25partition_config_selectorILNS1_17partition_subalgoE8ElNS0_10empty_typeEbEEZZNS1_14partition_implILS5_8ELb0ES3_jPlPS6_PKS6_NS0_5tupleIJS9_S6_EEENSD_IJSA_SA_EEENS0_18inequality_wrapperIZN2at6native12_GLOBAL__N_124unique_dim_cuda_templateIbEESt5tupleIJNSH_6TensorESM_SM_EERKSM_lbbbEUlllE0_EEPmJS6_EEE10hipError_tPvRmT3_T4_T5_T6_T7_T9_mT8_P12ihipStream_tbDpT10_ENKUlT_T0_E_clISt17integral_constantIbLb1EES1C_EEDaS17_S18_EUlS17_E_NS1_11comp_targetILNS1_3genE5ELNS1_11target_archE942ELNS1_3gpuE9ELNS1_3repE0EEENS1_30default_config_static_selectorELNS0_4arch9wavefront6targetE0EEEvT1_ ; -- Begin function _ZN7rocprim17ROCPRIM_400000_NS6detail17trampoline_kernelINS0_14default_configENS1_25partition_config_selectorILNS1_17partition_subalgoE8ElNS0_10empty_typeEbEEZZNS1_14partition_implILS5_8ELb0ES3_jPlPS6_PKS6_NS0_5tupleIJS9_S6_EEENSD_IJSA_SA_EEENS0_18inequality_wrapperIZN2at6native12_GLOBAL__N_124unique_dim_cuda_templateIbEESt5tupleIJNSH_6TensorESM_SM_EERKSM_lbbbEUlllE0_EEPmJS6_EEE10hipError_tPvRmT3_T4_T5_T6_T7_T9_mT8_P12ihipStream_tbDpT10_ENKUlT_T0_E_clISt17integral_constantIbLb1EES1C_EEDaS17_S18_EUlS17_E_NS1_11comp_targetILNS1_3genE5ELNS1_11target_archE942ELNS1_3gpuE9ELNS1_3repE0EEENS1_30default_config_static_selectorELNS0_4arch9wavefront6targetE0EEEvT1_
	.p2align	8
	.type	_ZN7rocprim17ROCPRIM_400000_NS6detail17trampoline_kernelINS0_14default_configENS1_25partition_config_selectorILNS1_17partition_subalgoE8ElNS0_10empty_typeEbEEZZNS1_14partition_implILS5_8ELb0ES3_jPlPS6_PKS6_NS0_5tupleIJS9_S6_EEENSD_IJSA_SA_EEENS0_18inequality_wrapperIZN2at6native12_GLOBAL__N_124unique_dim_cuda_templateIbEESt5tupleIJNSH_6TensorESM_SM_EERKSM_lbbbEUlllE0_EEPmJS6_EEE10hipError_tPvRmT3_T4_T5_T6_T7_T9_mT8_P12ihipStream_tbDpT10_ENKUlT_T0_E_clISt17integral_constantIbLb1EES1C_EEDaS17_S18_EUlS17_E_NS1_11comp_targetILNS1_3genE5ELNS1_11target_archE942ELNS1_3gpuE9ELNS1_3repE0EEENS1_30default_config_static_selectorELNS0_4arch9wavefront6targetE0EEEvT1_,@function
_ZN7rocprim17ROCPRIM_400000_NS6detail17trampoline_kernelINS0_14default_configENS1_25partition_config_selectorILNS1_17partition_subalgoE8ElNS0_10empty_typeEbEEZZNS1_14partition_implILS5_8ELb0ES3_jPlPS6_PKS6_NS0_5tupleIJS9_S6_EEENSD_IJSA_SA_EEENS0_18inequality_wrapperIZN2at6native12_GLOBAL__N_124unique_dim_cuda_templateIbEESt5tupleIJNSH_6TensorESM_SM_EERKSM_lbbbEUlllE0_EEPmJS6_EEE10hipError_tPvRmT3_T4_T5_T6_T7_T9_mT8_P12ihipStream_tbDpT10_ENKUlT_T0_E_clISt17integral_constantIbLb1EES1C_EEDaS17_S18_EUlS17_E_NS1_11comp_targetILNS1_3genE5ELNS1_11target_archE942ELNS1_3gpuE9ELNS1_3repE0EEENS1_30default_config_static_selectorELNS0_4arch9wavefront6targetE0EEEvT1_: ; @_ZN7rocprim17ROCPRIM_400000_NS6detail17trampoline_kernelINS0_14default_configENS1_25partition_config_selectorILNS1_17partition_subalgoE8ElNS0_10empty_typeEbEEZZNS1_14partition_implILS5_8ELb0ES3_jPlPS6_PKS6_NS0_5tupleIJS9_S6_EEENSD_IJSA_SA_EEENS0_18inequality_wrapperIZN2at6native12_GLOBAL__N_124unique_dim_cuda_templateIbEESt5tupleIJNSH_6TensorESM_SM_EERKSM_lbbbEUlllE0_EEPmJS6_EEE10hipError_tPvRmT3_T4_T5_T6_T7_T9_mT8_P12ihipStream_tbDpT10_ENKUlT_T0_E_clISt17integral_constantIbLb1EES1C_EEDaS17_S18_EUlS17_E_NS1_11comp_targetILNS1_3genE5ELNS1_11target_archE942ELNS1_3gpuE9ELNS1_3repE0EEENS1_30default_config_static_selectorELNS0_4arch9wavefront6targetE0EEEvT1_
; %bb.0:
	.section	.rodata,"a",@progbits
	.p2align	6, 0x0
	.amdhsa_kernel _ZN7rocprim17ROCPRIM_400000_NS6detail17trampoline_kernelINS0_14default_configENS1_25partition_config_selectorILNS1_17partition_subalgoE8ElNS0_10empty_typeEbEEZZNS1_14partition_implILS5_8ELb0ES3_jPlPS6_PKS6_NS0_5tupleIJS9_S6_EEENSD_IJSA_SA_EEENS0_18inequality_wrapperIZN2at6native12_GLOBAL__N_124unique_dim_cuda_templateIbEESt5tupleIJNSH_6TensorESM_SM_EERKSM_lbbbEUlllE0_EEPmJS6_EEE10hipError_tPvRmT3_T4_T5_T6_T7_T9_mT8_P12ihipStream_tbDpT10_ENKUlT_T0_E_clISt17integral_constantIbLb1EES1C_EEDaS17_S18_EUlS17_E_NS1_11comp_targetILNS1_3genE5ELNS1_11target_archE942ELNS1_3gpuE9ELNS1_3repE0EEENS1_30default_config_static_selectorELNS0_4arch9wavefront6targetE0EEEvT1_
		.amdhsa_group_segment_fixed_size 0
		.amdhsa_private_segment_fixed_size 0
		.amdhsa_kernarg_size 136
		.amdhsa_user_sgpr_count 15
		.amdhsa_user_sgpr_dispatch_ptr 0
		.amdhsa_user_sgpr_queue_ptr 0
		.amdhsa_user_sgpr_kernarg_segment_ptr 1
		.amdhsa_user_sgpr_dispatch_id 0
		.amdhsa_user_sgpr_private_segment_size 0
		.amdhsa_wavefront_size32 1
		.amdhsa_uses_dynamic_stack 0
		.amdhsa_enable_private_segment 0
		.amdhsa_system_sgpr_workgroup_id_x 1
		.amdhsa_system_sgpr_workgroup_id_y 0
		.amdhsa_system_sgpr_workgroup_id_z 0
		.amdhsa_system_sgpr_workgroup_info 0
		.amdhsa_system_vgpr_workitem_id 0
		.amdhsa_next_free_vgpr 1
		.amdhsa_next_free_sgpr 1
		.amdhsa_reserve_vcc 0
		.amdhsa_float_round_mode_32 0
		.amdhsa_float_round_mode_16_64 0
		.amdhsa_float_denorm_mode_32 3
		.amdhsa_float_denorm_mode_16_64 3
		.amdhsa_dx10_clamp 1
		.amdhsa_ieee_mode 1
		.amdhsa_fp16_overflow 0
		.amdhsa_workgroup_processor_mode 1
		.amdhsa_memory_ordered 1
		.amdhsa_forward_progress 0
		.amdhsa_shared_vgpr_count 0
		.amdhsa_exception_fp_ieee_invalid_op 0
		.amdhsa_exception_fp_denorm_src 0
		.amdhsa_exception_fp_ieee_div_zero 0
		.amdhsa_exception_fp_ieee_overflow 0
		.amdhsa_exception_fp_ieee_underflow 0
		.amdhsa_exception_fp_ieee_inexact 0
		.amdhsa_exception_int_div_zero 0
	.end_amdhsa_kernel
	.section	.text._ZN7rocprim17ROCPRIM_400000_NS6detail17trampoline_kernelINS0_14default_configENS1_25partition_config_selectorILNS1_17partition_subalgoE8ElNS0_10empty_typeEbEEZZNS1_14partition_implILS5_8ELb0ES3_jPlPS6_PKS6_NS0_5tupleIJS9_S6_EEENSD_IJSA_SA_EEENS0_18inequality_wrapperIZN2at6native12_GLOBAL__N_124unique_dim_cuda_templateIbEESt5tupleIJNSH_6TensorESM_SM_EERKSM_lbbbEUlllE0_EEPmJS6_EEE10hipError_tPvRmT3_T4_T5_T6_T7_T9_mT8_P12ihipStream_tbDpT10_ENKUlT_T0_E_clISt17integral_constantIbLb1EES1C_EEDaS17_S18_EUlS17_E_NS1_11comp_targetILNS1_3genE5ELNS1_11target_archE942ELNS1_3gpuE9ELNS1_3repE0EEENS1_30default_config_static_selectorELNS0_4arch9wavefront6targetE0EEEvT1_,"axG",@progbits,_ZN7rocprim17ROCPRIM_400000_NS6detail17trampoline_kernelINS0_14default_configENS1_25partition_config_selectorILNS1_17partition_subalgoE8ElNS0_10empty_typeEbEEZZNS1_14partition_implILS5_8ELb0ES3_jPlPS6_PKS6_NS0_5tupleIJS9_S6_EEENSD_IJSA_SA_EEENS0_18inequality_wrapperIZN2at6native12_GLOBAL__N_124unique_dim_cuda_templateIbEESt5tupleIJNSH_6TensorESM_SM_EERKSM_lbbbEUlllE0_EEPmJS6_EEE10hipError_tPvRmT3_T4_T5_T6_T7_T9_mT8_P12ihipStream_tbDpT10_ENKUlT_T0_E_clISt17integral_constantIbLb1EES1C_EEDaS17_S18_EUlS17_E_NS1_11comp_targetILNS1_3genE5ELNS1_11target_archE942ELNS1_3gpuE9ELNS1_3repE0EEENS1_30default_config_static_selectorELNS0_4arch9wavefront6targetE0EEEvT1_,comdat
.Lfunc_end1060:
	.size	_ZN7rocprim17ROCPRIM_400000_NS6detail17trampoline_kernelINS0_14default_configENS1_25partition_config_selectorILNS1_17partition_subalgoE8ElNS0_10empty_typeEbEEZZNS1_14partition_implILS5_8ELb0ES3_jPlPS6_PKS6_NS0_5tupleIJS9_S6_EEENSD_IJSA_SA_EEENS0_18inequality_wrapperIZN2at6native12_GLOBAL__N_124unique_dim_cuda_templateIbEESt5tupleIJNSH_6TensorESM_SM_EERKSM_lbbbEUlllE0_EEPmJS6_EEE10hipError_tPvRmT3_T4_T5_T6_T7_T9_mT8_P12ihipStream_tbDpT10_ENKUlT_T0_E_clISt17integral_constantIbLb1EES1C_EEDaS17_S18_EUlS17_E_NS1_11comp_targetILNS1_3genE5ELNS1_11target_archE942ELNS1_3gpuE9ELNS1_3repE0EEENS1_30default_config_static_selectorELNS0_4arch9wavefront6targetE0EEEvT1_, .Lfunc_end1060-_ZN7rocprim17ROCPRIM_400000_NS6detail17trampoline_kernelINS0_14default_configENS1_25partition_config_selectorILNS1_17partition_subalgoE8ElNS0_10empty_typeEbEEZZNS1_14partition_implILS5_8ELb0ES3_jPlPS6_PKS6_NS0_5tupleIJS9_S6_EEENSD_IJSA_SA_EEENS0_18inequality_wrapperIZN2at6native12_GLOBAL__N_124unique_dim_cuda_templateIbEESt5tupleIJNSH_6TensorESM_SM_EERKSM_lbbbEUlllE0_EEPmJS6_EEE10hipError_tPvRmT3_T4_T5_T6_T7_T9_mT8_P12ihipStream_tbDpT10_ENKUlT_T0_E_clISt17integral_constantIbLb1EES1C_EEDaS17_S18_EUlS17_E_NS1_11comp_targetILNS1_3genE5ELNS1_11target_archE942ELNS1_3gpuE9ELNS1_3repE0EEENS1_30default_config_static_selectorELNS0_4arch9wavefront6targetE0EEEvT1_
                                        ; -- End function
	.section	.AMDGPU.csdata,"",@progbits
; Kernel info:
; codeLenInByte = 0
; NumSgprs: 0
; NumVgprs: 0
; ScratchSize: 0
; MemoryBound: 0
; FloatMode: 240
; IeeeMode: 1
; LDSByteSize: 0 bytes/workgroup (compile time only)
; SGPRBlocks: 0
; VGPRBlocks: 0
; NumSGPRsForWavesPerEU: 1
; NumVGPRsForWavesPerEU: 1
; Occupancy: 16
; WaveLimiterHint : 0
; COMPUTE_PGM_RSRC2:SCRATCH_EN: 0
; COMPUTE_PGM_RSRC2:USER_SGPR: 15
; COMPUTE_PGM_RSRC2:TRAP_HANDLER: 0
; COMPUTE_PGM_RSRC2:TGID_X_EN: 1
; COMPUTE_PGM_RSRC2:TGID_Y_EN: 0
; COMPUTE_PGM_RSRC2:TGID_Z_EN: 0
; COMPUTE_PGM_RSRC2:TIDIG_COMP_CNT: 0
	.section	.text._ZN7rocprim17ROCPRIM_400000_NS6detail17trampoline_kernelINS0_14default_configENS1_25partition_config_selectorILNS1_17partition_subalgoE8ElNS0_10empty_typeEbEEZZNS1_14partition_implILS5_8ELb0ES3_jPlPS6_PKS6_NS0_5tupleIJS9_S6_EEENSD_IJSA_SA_EEENS0_18inequality_wrapperIZN2at6native12_GLOBAL__N_124unique_dim_cuda_templateIbEESt5tupleIJNSH_6TensorESM_SM_EERKSM_lbbbEUlllE0_EEPmJS6_EEE10hipError_tPvRmT3_T4_T5_T6_T7_T9_mT8_P12ihipStream_tbDpT10_ENKUlT_T0_E_clISt17integral_constantIbLb1EES1C_EEDaS17_S18_EUlS17_E_NS1_11comp_targetILNS1_3genE4ELNS1_11target_archE910ELNS1_3gpuE8ELNS1_3repE0EEENS1_30default_config_static_selectorELNS0_4arch9wavefront6targetE0EEEvT1_,"axG",@progbits,_ZN7rocprim17ROCPRIM_400000_NS6detail17trampoline_kernelINS0_14default_configENS1_25partition_config_selectorILNS1_17partition_subalgoE8ElNS0_10empty_typeEbEEZZNS1_14partition_implILS5_8ELb0ES3_jPlPS6_PKS6_NS0_5tupleIJS9_S6_EEENSD_IJSA_SA_EEENS0_18inequality_wrapperIZN2at6native12_GLOBAL__N_124unique_dim_cuda_templateIbEESt5tupleIJNSH_6TensorESM_SM_EERKSM_lbbbEUlllE0_EEPmJS6_EEE10hipError_tPvRmT3_T4_T5_T6_T7_T9_mT8_P12ihipStream_tbDpT10_ENKUlT_T0_E_clISt17integral_constantIbLb1EES1C_EEDaS17_S18_EUlS17_E_NS1_11comp_targetILNS1_3genE4ELNS1_11target_archE910ELNS1_3gpuE8ELNS1_3repE0EEENS1_30default_config_static_selectorELNS0_4arch9wavefront6targetE0EEEvT1_,comdat
	.globl	_ZN7rocprim17ROCPRIM_400000_NS6detail17trampoline_kernelINS0_14default_configENS1_25partition_config_selectorILNS1_17partition_subalgoE8ElNS0_10empty_typeEbEEZZNS1_14partition_implILS5_8ELb0ES3_jPlPS6_PKS6_NS0_5tupleIJS9_S6_EEENSD_IJSA_SA_EEENS0_18inequality_wrapperIZN2at6native12_GLOBAL__N_124unique_dim_cuda_templateIbEESt5tupleIJNSH_6TensorESM_SM_EERKSM_lbbbEUlllE0_EEPmJS6_EEE10hipError_tPvRmT3_T4_T5_T6_T7_T9_mT8_P12ihipStream_tbDpT10_ENKUlT_T0_E_clISt17integral_constantIbLb1EES1C_EEDaS17_S18_EUlS17_E_NS1_11comp_targetILNS1_3genE4ELNS1_11target_archE910ELNS1_3gpuE8ELNS1_3repE0EEENS1_30default_config_static_selectorELNS0_4arch9wavefront6targetE0EEEvT1_ ; -- Begin function _ZN7rocprim17ROCPRIM_400000_NS6detail17trampoline_kernelINS0_14default_configENS1_25partition_config_selectorILNS1_17partition_subalgoE8ElNS0_10empty_typeEbEEZZNS1_14partition_implILS5_8ELb0ES3_jPlPS6_PKS6_NS0_5tupleIJS9_S6_EEENSD_IJSA_SA_EEENS0_18inequality_wrapperIZN2at6native12_GLOBAL__N_124unique_dim_cuda_templateIbEESt5tupleIJNSH_6TensorESM_SM_EERKSM_lbbbEUlllE0_EEPmJS6_EEE10hipError_tPvRmT3_T4_T5_T6_T7_T9_mT8_P12ihipStream_tbDpT10_ENKUlT_T0_E_clISt17integral_constantIbLb1EES1C_EEDaS17_S18_EUlS17_E_NS1_11comp_targetILNS1_3genE4ELNS1_11target_archE910ELNS1_3gpuE8ELNS1_3repE0EEENS1_30default_config_static_selectorELNS0_4arch9wavefront6targetE0EEEvT1_
	.p2align	8
	.type	_ZN7rocprim17ROCPRIM_400000_NS6detail17trampoline_kernelINS0_14default_configENS1_25partition_config_selectorILNS1_17partition_subalgoE8ElNS0_10empty_typeEbEEZZNS1_14partition_implILS5_8ELb0ES3_jPlPS6_PKS6_NS0_5tupleIJS9_S6_EEENSD_IJSA_SA_EEENS0_18inequality_wrapperIZN2at6native12_GLOBAL__N_124unique_dim_cuda_templateIbEESt5tupleIJNSH_6TensorESM_SM_EERKSM_lbbbEUlllE0_EEPmJS6_EEE10hipError_tPvRmT3_T4_T5_T6_T7_T9_mT8_P12ihipStream_tbDpT10_ENKUlT_T0_E_clISt17integral_constantIbLb1EES1C_EEDaS17_S18_EUlS17_E_NS1_11comp_targetILNS1_3genE4ELNS1_11target_archE910ELNS1_3gpuE8ELNS1_3repE0EEENS1_30default_config_static_selectorELNS0_4arch9wavefront6targetE0EEEvT1_,@function
_ZN7rocprim17ROCPRIM_400000_NS6detail17trampoline_kernelINS0_14default_configENS1_25partition_config_selectorILNS1_17partition_subalgoE8ElNS0_10empty_typeEbEEZZNS1_14partition_implILS5_8ELb0ES3_jPlPS6_PKS6_NS0_5tupleIJS9_S6_EEENSD_IJSA_SA_EEENS0_18inequality_wrapperIZN2at6native12_GLOBAL__N_124unique_dim_cuda_templateIbEESt5tupleIJNSH_6TensorESM_SM_EERKSM_lbbbEUlllE0_EEPmJS6_EEE10hipError_tPvRmT3_T4_T5_T6_T7_T9_mT8_P12ihipStream_tbDpT10_ENKUlT_T0_E_clISt17integral_constantIbLb1EES1C_EEDaS17_S18_EUlS17_E_NS1_11comp_targetILNS1_3genE4ELNS1_11target_archE910ELNS1_3gpuE8ELNS1_3repE0EEENS1_30default_config_static_selectorELNS0_4arch9wavefront6targetE0EEEvT1_: ; @_ZN7rocprim17ROCPRIM_400000_NS6detail17trampoline_kernelINS0_14default_configENS1_25partition_config_selectorILNS1_17partition_subalgoE8ElNS0_10empty_typeEbEEZZNS1_14partition_implILS5_8ELb0ES3_jPlPS6_PKS6_NS0_5tupleIJS9_S6_EEENSD_IJSA_SA_EEENS0_18inequality_wrapperIZN2at6native12_GLOBAL__N_124unique_dim_cuda_templateIbEESt5tupleIJNSH_6TensorESM_SM_EERKSM_lbbbEUlllE0_EEPmJS6_EEE10hipError_tPvRmT3_T4_T5_T6_T7_T9_mT8_P12ihipStream_tbDpT10_ENKUlT_T0_E_clISt17integral_constantIbLb1EES1C_EEDaS17_S18_EUlS17_E_NS1_11comp_targetILNS1_3genE4ELNS1_11target_archE910ELNS1_3gpuE8ELNS1_3repE0EEENS1_30default_config_static_selectorELNS0_4arch9wavefront6targetE0EEEvT1_
; %bb.0:
	.section	.rodata,"a",@progbits
	.p2align	6, 0x0
	.amdhsa_kernel _ZN7rocprim17ROCPRIM_400000_NS6detail17trampoline_kernelINS0_14default_configENS1_25partition_config_selectorILNS1_17partition_subalgoE8ElNS0_10empty_typeEbEEZZNS1_14partition_implILS5_8ELb0ES3_jPlPS6_PKS6_NS0_5tupleIJS9_S6_EEENSD_IJSA_SA_EEENS0_18inequality_wrapperIZN2at6native12_GLOBAL__N_124unique_dim_cuda_templateIbEESt5tupleIJNSH_6TensorESM_SM_EERKSM_lbbbEUlllE0_EEPmJS6_EEE10hipError_tPvRmT3_T4_T5_T6_T7_T9_mT8_P12ihipStream_tbDpT10_ENKUlT_T0_E_clISt17integral_constantIbLb1EES1C_EEDaS17_S18_EUlS17_E_NS1_11comp_targetILNS1_3genE4ELNS1_11target_archE910ELNS1_3gpuE8ELNS1_3repE0EEENS1_30default_config_static_selectorELNS0_4arch9wavefront6targetE0EEEvT1_
		.amdhsa_group_segment_fixed_size 0
		.amdhsa_private_segment_fixed_size 0
		.amdhsa_kernarg_size 136
		.amdhsa_user_sgpr_count 15
		.amdhsa_user_sgpr_dispatch_ptr 0
		.amdhsa_user_sgpr_queue_ptr 0
		.amdhsa_user_sgpr_kernarg_segment_ptr 1
		.amdhsa_user_sgpr_dispatch_id 0
		.amdhsa_user_sgpr_private_segment_size 0
		.amdhsa_wavefront_size32 1
		.amdhsa_uses_dynamic_stack 0
		.amdhsa_enable_private_segment 0
		.amdhsa_system_sgpr_workgroup_id_x 1
		.amdhsa_system_sgpr_workgroup_id_y 0
		.amdhsa_system_sgpr_workgroup_id_z 0
		.amdhsa_system_sgpr_workgroup_info 0
		.amdhsa_system_vgpr_workitem_id 0
		.amdhsa_next_free_vgpr 1
		.amdhsa_next_free_sgpr 1
		.amdhsa_reserve_vcc 0
		.amdhsa_float_round_mode_32 0
		.amdhsa_float_round_mode_16_64 0
		.amdhsa_float_denorm_mode_32 3
		.amdhsa_float_denorm_mode_16_64 3
		.amdhsa_dx10_clamp 1
		.amdhsa_ieee_mode 1
		.amdhsa_fp16_overflow 0
		.amdhsa_workgroup_processor_mode 1
		.amdhsa_memory_ordered 1
		.amdhsa_forward_progress 0
		.amdhsa_shared_vgpr_count 0
		.amdhsa_exception_fp_ieee_invalid_op 0
		.amdhsa_exception_fp_denorm_src 0
		.amdhsa_exception_fp_ieee_div_zero 0
		.amdhsa_exception_fp_ieee_overflow 0
		.amdhsa_exception_fp_ieee_underflow 0
		.amdhsa_exception_fp_ieee_inexact 0
		.amdhsa_exception_int_div_zero 0
	.end_amdhsa_kernel
	.section	.text._ZN7rocprim17ROCPRIM_400000_NS6detail17trampoline_kernelINS0_14default_configENS1_25partition_config_selectorILNS1_17partition_subalgoE8ElNS0_10empty_typeEbEEZZNS1_14partition_implILS5_8ELb0ES3_jPlPS6_PKS6_NS0_5tupleIJS9_S6_EEENSD_IJSA_SA_EEENS0_18inequality_wrapperIZN2at6native12_GLOBAL__N_124unique_dim_cuda_templateIbEESt5tupleIJNSH_6TensorESM_SM_EERKSM_lbbbEUlllE0_EEPmJS6_EEE10hipError_tPvRmT3_T4_T5_T6_T7_T9_mT8_P12ihipStream_tbDpT10_ENKUlT_T0_E_clISt17integral_constantIbLb1EES1C_EEDaS17_S18_EUlS17_E_NS1_11comp_targetILNS1_3genE4ELNS1_11target_archE910ELNS1_3gpuE8ELNS1_3repE0EEENS1_30default_config_static_selectorELNS0_4arch9wavefront6targetE0EEEvT1_,"axG",@progbits,_ZN7rocprim17ROCPRIM_400000_NS6detail17trampoline_kernelINS0_14default_configENS1_25partition_config_selectorILNS1_17partition_subalgoE8ElNS0_10empty_typeEbEEZZNS1_14partition_implILS5_8ELb0ES3_jPlPS6_PKS6_NS0_5tupleIJS9_S6_EEENSD_IJSA_SA_EEENS0_18inequality_wrapperIZN2at6native12_GLOBAL__N_124unique_dim_cuda_templateIbEESt5tupleIJNSH_6TensorESM_SM_EERKSM_lbbbEUlllE0_EEPmJS6_EEE10hipError_tPvRmT3_T4_T5_T6_T7_T9_mT8_P12ihipStream_tbDpT10_ENKUlT_T0_E_clISt17integral_constantIbLb1EES1C_EEDaS17_S18_EUlS17_E_NS1_11comp_targetILNS1_3genE4ELNS1_11target_archE910ELNS1_3gpuE8ELNS1_3repE0EEENS1_30default_config_static_selectorELNS0_4arch9wavefront6targetE0EEEvT1_,comdat
.Lfunc_end1061:
	.size	_ZN7rocprim17ROCPRIM_400000_NS6detail17trampoline_kernelINS0_14default_configENS1_25partition_config_selectorILNS1_17partition_subalgoE8ElNS0_10empty_typeEbEEZZNS1_14partition_implILS5_8ELb0ES3_jPlPS6_PKS6_NS0_5tupleIJS9_S6_EEENSD_IJSA_SA_EEENS0_18inequality_wrapperIZN2at6native12_GLOBAL__N_124unique_dim_cuda_templateIbEESt5tupleIJNSH_6TensorESM_SM_EERKSM_lbbbEUlllE0_EEPmJS6_EEE10hipError_tPvRmT3_T4_T5_T6_T7_T9_mT8_P12ihipStream_tbDpT10_ENKUlT_T0_E_clISt17integral_constantIbLb1EES1C_EEDaS17_S18_EUlS17_E_NS1_11comp_targetILNS1_3genE4ELNS1_11target_archE910ELNS1_3gpuE8ELNS1_3repE0EEENS1_30default_config_static_selectorELNS0_4arch9wavefront6targetE0EEEvT1_, .Lfunc_end1061-_ZN7rocprim17ROCPRIM_400000_NS6detail17trampoline_kernelINS0_14default_configENS1_25partition_config_selectorILNS1_17partition_subalgoE8ElNS0_10empty_typeEbEEZZNS1_14partition_implILS5_8ELb0ES3_jPlPS6_PKS6_NS0_5tupleIJS9_S6_EEENSD_IJSA_SA_EEENS0_18inequality_wrapperIZN2at6native12_GLOBAL__N_124unique_dim_cuda_templateIbEESt5tupleIJNSH_6TensorESM_SM_EERKSM_lbbbEUlllE0_EEPmJS6_EEE10hipError_tPvRmT3_T4_T5_T6_T7_T9_mT8_P12ihipStream_tbDpT10_ENKUlT_T0_E_clISt17integral_constantIbLb1EES1C_EEDaS17_S18_EUlS17_E_NS1_11comp_targetILNS1_3genE4ELNS1_11target_archE910ELNS1_3gpuE8ELNS1_3repE0EEENS1_30default_config_static_selectorELNS0_4arch9wavefront6targetE0EEEvT1_
                                        ; -- End function
	.section	.AMDGPU.csdata,"",@progbits
; Kernel info:
; codeLenInByte = 0
; NumSgprs: 0
; NumVgprs: 0
; ScratchSize: 0
; MemoryBound: 0
; FloatMode: 240
; IeeeMode: 1
; LDSByteSize: 0 bytes/workgroup (compile time only)
; SGPRBlocks: 0
; VGPRBlocks: 0
; NumSGPRsForWavesPerEU: 1
; NumVGPRsForWavesPerEU: 1
; Occupancy: 16
; WaveLimiterHint : 0
; COMPUTE_PGM_RSRC2:SCRATCH_EN: 0
; COMPUTE_PGM_RSRC2:USER_SGPR: 15
; COMPUTE_PGM_RSRC2:TRAP_HANDLER: 0
; COMPUTE_PGM_RSRC2:TGID_X_EN: 1
; COMPUTE_PGM_RSRC2:TGID_Y_EN: 0
; COMPUTE_PGM_RSRC2:TGID_Z_EN: 0
; COMPUTE_PGM_RSRC2:TIDIG_COMP_CNT: 0
	.section	.text._ZN7rocprim17ROCPRIM_400000_NS6detail17trampoline_kernelINS0_14default_configENS1_25partition_config_selectorILNS1_17partition_subalgoE8ElNS0_10empty_typeEbEEZZNS1_14partition_implILS5_8ELb0ES3_jPlPS6_PKS6_NS0_5tupleIJS9_S6_EEENSD_IJSA_SA_EEENS0_18inequality_wrapperIZN2at6native12_GLOBAL__N_124unique_dim_cuda_templateIbEESt5tupleIJNSH_6TensorESM_SM_EERKSM_lbbbEUlllE0_EEPmJS6_EEE10hipError_tPvRmT3_T4_T5_T6_T7_T9_mT8_P12ihipStream_tbDpT10_ENKUlT_T0_E_clISt17integral_constantIbLb1EES1C_EEDaS17_S18_EUlS17_E_NS1_11comp_targetILNS1_3genE3ELNS1_11target_archE908ELNS1_3gpuE7ELNS1_3repE0EEENS1_30default_config_static_selectorELNS0_4arch9wavefront6targetE0EEEvT1_,"axG",@progbits,_ZN7rocprim17ROCPRIM_400000_NS6detail17trampoline_kernelINS0_14default_configENS1_25partition_config_selectorILNS1_17partition_subalgoE8ElNS0_10empty_typeEbEEZZNS1_14partition_implILS5_8ELb0ES3_jPlPS6_PKS6_NS0_5tupleIJS9_S6_EEENSD_IJSA_SA_EEENS0_18inequality_wrapperIZN2at6native12_GLOBAL__N_124unique_dim_cuda_templateIbEESt5tupleIJNSH_6TensorESM_SM_EERKSM_lbbbEUlllE0_EEPmJS6_EEE10hipError_tPvRmT3_T4_T5_T6_T7_T9_mT8_P12ihipStream_tbDpT10_ENKUlT_T0_E_clISt17integral_constantIbLb1EES1C_EEDaS17_S18_EUlS17_E_NS1_11comp_targetILNS1_3genE3ELNS1_11target_archE908ELNS1_3gpuE7ELNS1_3repE0EEENS1_30default_config_static_selectorELNS0_4arch9wavefront6targetE0EEEvT1_,comdat
	.globl	_ZN7rocprim17ROCPRIM_400000_NS6detail17trampoline_kernelINS0_14default_configENS1_25partition_config_selectorILNS1_17partition_subalgoE8ElNS0_10empty_typeEbEEZZNS1_14partition_implILS5_8ELb0ES3_jPlPS6_PKS6_NS0_5tupleIJS9_S6_EEENSD_IJSA_SA_EEENS0_18inequality_wrapperIZN2at6native12_GLOBAL__N_124unique_dim_cuda_templateIbEESt5tupleIJNSH_6TensorESM_SM_EERKSM_lbbbEUlllE0_EEPmJS6_EEE10hipError_tPvRmT3_T4_T5_T6_T7_T9_mT8_P12ihipStream_tbDpT10_ENKUlT_T0_E_clISt17integral_constantIbLb1EES1C_EEDaS17_S18_EUlS17_E_NS1_11comp_targetILNS1_3genE3ELNS1_11target_archE908ELNS1_3gpuE7ELNS1_3repE0EEENS1_30default_config_static_selectorELNS0_4arch9wavefront6targetE0EEEvT1_ ; -- Begin function _ZN7rocprim17ROCPRIM_400000_NS6detail17trampoline_kernelINS0_14default_configENS1_25partition_config_selectorILNS1_17partition_subalgoE8ElNS0_10empty_typeEbEEZZNS1_14partition_implILS5_8ELb0ES3_jPlPS6_PKS6_NS0_5tupleIJS9_S6_EEENSD_IJSA_SA_EEENS0_18inequality_wrapperIZN2at6native12_GLOBAL__N_124unique_dim_cuda_templateIbEESt5tupleIJNSH_6TensorESM_SM_EERKSM_lbbbEUlllE0_EEPmJS6_EEE10hipError_tPvRmT3_T4_T5_T6_T7_T9_mT8_P12ihipStream_tbDpT10_ENKUlT_T0_E_clISt17integral_constantIbLb1EES1C_EEDaS17_S18_EUlS17_E_NS1_11comp_targetILNS1_3genE3ELNS1_11target_archE908ELNS1_3gpuE7ELNS1_3repE0EEENS1_30default_config_static_selectorELNS0_4arch9wavefront6targetE0EEEvT1_
	.p2align	8
	.type	_ZN7rocprim17ROCPRIM_400000_NS6detail17trampoline_kernelINS0_14default_configENS1_25partition_config_selectorILNS1_17partition_subalgoE8ElNS0_10empty_typeEbEEZZNS1_14partition_implILS5_8ELb0ES3_jPlPS6_PKS6_NS0_5tupleIJS9_S6_EEENSD_IJSA_SA_EEENS0_18inequality_wrapperIZN2at6native12_GLOBAL__N_124unique_dim_cuda_templateIbEESt5tupleIJNSH_6TensorESM_SM_EERKSM_lbbbEUlllE0_EEPmJS6_EEE10hipError_tPvRmT3_T4_T5_T6_T7_T9_mT8_P12ihipStream_tbDpT10_ENKUlT_T0_E_clISt17integral_constantIbLb1EES1C_EEDaS17_S18_EUlS17_E_NS1_11comp_targetILNS1_3genE3ELNS1_11target_archE908ELNS1_3gpuE7ELNS1_3repE0EEENS1_30default_config_static_selectorELNS0_4arch9wavefront6targetE0EEEvT1_,@function
_ZN7rocprim17ROCPRIM_400000_NS6detail17trampoline_kernelINS0_14default_configENS1_25partition_config_selectorILNS1_17partition_subalgoE8ElNS0_10empty_typeEbEEZZNS1_14partition_implILS5_8ELb0ES3_jPlPS6_PKS6_NS0_5tupleIJS9_S6_EEENSD_IJSA_SA_EEENS0_18inequality_wrapperIZN2at6native12_GLOBAL__N_124unique_dim_cuda_templateIbEESt5tupleIJNSH_6TensorESM_SM_EERKSM_lbbbEUlllE0_EEPmJS6_EEE10hipError_tPvRmT3_T4_T5_T6_T7_T9_mT8_P12ihipStream_tbDpT10_ENKUlT_T0_E_clISt17integral_constantIbLb1EES1C_EEDaS17_S18_EUlS17_E_NS1_11comp_targetILNS1_3genE3ELNS1_11target_archE908ELNS1_3gpuE7ELNS1_3repE0EEENS1_30default_config_static_selectorELNS0_4arch9wavefront6targetE0EEEvT1_: ; @_ZN7rocprim17ROCPRIM_400000_NS6detail17trampoline_kernelINS0_14default_configENS1_25partition_config_selectorILNS1_17partition_subalgoE8ElNS0_10empty_typeEbEEZZNS1_14partition_implILS5_8ELb0ES3_jPlPS6_PKS6_NS0_5tupleIJS9_S6_EEENSD_IJSA_SA_EEENS0_18inequality_wrapperIZN2at6native12_GLOBAL__N_124unique_dim_cuda_templateIbEESt5tupleIJNSH_6TensorESM_SM_EERKSM_lbbbEUlllE0_EEPmJS6_EEE10hipError_tPvRmT3_T4_T5_T6_T7_T9_mT8_P12ihipStream_tbDpT10_ENKUlT_T0_E_clISt17integral_constantIbLb1EES1C_EEDaS17_S18_EUlS17_E_NS1_11comp_targetILNS1_3genE3ELNS1_11target_archE908ELNS1_3gpuE7ELNS1_3repE0EEENS1_30default_config_static_selectorELNS0_4arch9wavefront6targetE0EEEvT1_
; %bb.0:
	.section	.rodata,"a",@progbits
	.p2align	6, 0x0
	.amdhsa_kernel _ZN7rocprim17ROCPRIM_400000_NS6detail17trampoline_kernelINS0_14default_configENS1_25partition_config_selectorILNS1_17partition_subalgoE8ElNS0_10empty_typeEbEEZZNS1_14partition_implILS5_8ELb0ES3_jPlPS6_PKS6_NS0_5tupleIJS9_S6_EEENSD_IJSA_SA_EEENS0_18inequality_wrapperIZN2at6native12_GLOBAL__N_124unique_dim_cuda_templateIbEESt5tupleIJNSH_6TensorESM_SM_EERKSM_lbbbEUlllE0_EEPmJS6_EEE10hipError_tPvRmT3_T4_T5_T6_T7_T9_mT8_P12ihipStream_tbDpT10_ENKUlT_T0_E_clISt17integral_constantIbLb1EES1C_EEDaS17_S18_EUlS17_E_NS1_11comp_targetILNS1_3genE3ELNS1_11target_archE908ELNS1_3gpuE7ELNS1_3repE0EEENS1_30default_config_static_selectorELNS0_4arch9wavefront6targetE0EEEvT1_
		.amdhsa_group_segment_fixed_size 0
		.amdhsa_private_segment_fixed_size 0
		.amdhsa_kernarg_size 136
		.amdhsa_user_sgpr_count 15
		.amdhsa_user_sgpr_dispatch_ptr 0
		.amdhsa_user_sgpr_queue_ptr 0
		.amdhsa_user_sgpr_kernarg_segment_ptr 1
		.amdhsa_user_sgpr_dispatch_id 0
		.amdhsa_user_sgpr_private_segment_size 0
		.amdhsa_wavefront_size32 1
		.amdhsa_uses_dynamic_stack 0
		.amdhsa_enable_private_segment 0
		.amdhsa_system_sgpr_workgroup_id_x 1
		.amdhsa_system_sgpr_workgroup_id_y 0
		.amdhsa_system_sgpr_workgroup_id_z 0
		.amdhsa_system_sgpr_workgroup_info 0
		.amdhsa_system_vgpr_workitem_id 0
		.amdhsa_next_free_vgpr 1
		.amdhsa_next_free_sgpr 1
		.amdhsa_reserve_vcc 0
		.amdhsa_float_round_mode_32 0
		.amdhsa_float_round_mode_16_64 0
		.amdhsa_float_denorm_mode_32 3
		.amdhsa_float_denorm_mode_16_64 3
		.amdhsa_dx10_clamp 1
		.amdhsa_ieee_mode 1
		.amdhsa_fp16_overflow 0
		.amdhsa_workgroup_processor_mode 1
		.amdhsa_memory_ordered 1
		.amdhsa_forward_progress 0
		.amdhsa_shared_vgpr_count 0
		.amdhsa_exception_fp_ieee_invalid_op 0
		.amdhsa_exception_fp_denorm_src 0
		.amdhsa_exception_fp_ieee_div_zero 0
		.amdhsa_exception_fp_ieee_overflow 0
		.amdhsa_exception_fp_ieee_underflow 0
		.amdhsa_exception_fp_ieee_inexact 0
		.amdhsa_exception_int_div_zero 0
	.end_amdhsa_kernel
	.section	.text._ZN7rocprim17ROCPRIM_400000_NS6detail17trampoline_kernelINS0_14default_configENS1_25partition_config_selectorILNS1_17partition_subalgoE8ElNS0_10empty_typeEbEEZZNS1_14partition_implILS5_8ELb0ES3_jPlPS6_PKS6_NS0_5tupleIJS9_S6_EEENSD_IJSA_SA_EEENS0_18inequality_wrapperIZN2at6native12_GLOBAL__N_124unique_dim_cuda_templateIbEESt5tupleIJNSH_6TensorESM_SM_EERKSM_lbbbEUlllE0_EEPmJS6_EEE10hipError_tPvRmT3_T4_T5_T6_T7_T9_mT8_P12ihipStream_tbDpT10_ENKUlT_T0_E_clISt17integral_constantIbLb1EES1C_EEDaS17_S18_EUlS17_E_NS1_11comp_targetILNS1_3genE3ELNS1_11target_archE908ELNS1_3gpuE7ELNS1_3repE0EEENS1_30default_config_static_selectorELNS0_4arch9wavefront6targetE0EEEvT1_,"axG",@progbits,_ZN7rocprim17ROCPRIM_400000_NS6detail17trampoline_kernelINS0_14default_configENS1_25partition_config_selectorILNS1_17partition_subalgoE8ElNS0_10empty_typeEbEEZZNS1_14partition_implILS5_8ELb0ES3_jPlPS6_PKS6_NS0_5tupleIJS9_S6_EEENSD_IJSA_SA_EEENS0_18inequality_wrapperIZN2at6native12_GLOBAL__N_124unique_dim_cuda_templateIbEESt5tupleIJNSH_6TensorESM_SM_EERKSM_lbbbEUlllE0_EEPmJS6_EEE10hipError_tPvRmT3_T4_T5_T6_T7_T9_mT8_P12ihipStream_tbDpT10_ENKUlT_T0_E_clISt17integral_constantIbLb1EES1C_EEDaS17_S18_EUlS17_E_NS1_11comp_targetILNS1_3genE3ELNS1_11target_archE908ELNS1_3gpuE7ELNS1_3repE0EEENS1_30default_config_static_selectorELNS0_4arch9wavefront6targetE0EEEvT1_,comdat
.Lfunc_end1062:
	.size	_ZN7rocprim17ROCPRIM_400000_NS6detail17trampoline_kernelINS0_14default_configENS1_25partition_config_selectorILNS1_17partition_subalgoE8ElNS0_10empty_typeEbEEZZNS1_14partition_implILS5_8ELb0ES3_jPlPS6_PKS6_NS0_5tupleIJS9_S6_EEENSD_IJSA_SA_EEENS0_18inequality_wrapperIZN2at6native12_GLOBAL__N_124unique_dim_cuda_templateIbEESt5tupleIJNSH_6TensorESM_SM_EERKSM_lbbbEUlllE0_EEPmJS6_EEE10hipError_tPvRmT3_T4_T5_T6_T7_T9_mT8_P12ihipStream_tbDpT10_ENKUlT_T0_E_clISt17integral_constantIbLb1EES1C_EEDaS17_S18_EUlS17_E_NS1_11comp_targetILNS1_3genE3ELNS1_11target_archE908ELNS1_3gpuE7ELNS1_3repE0EEENS1_30default_config_static_selectorELNS0_4arch9wavefront6targetE0EEEvT1_, .Lfunc_end1062-_ZN7rocprim17ROCPRIM_400000_NS6detail17trampoline_kernelINS0_14default_configENS1_25partition_config_selectorILNS1_17partition_subalgoE8ElNS0_10empty_typeEbEEZZNS1_14partition_implILS5_8ELb0ES3_jPlPS6_PKS6_NS0_5tupleIJS9_S6_EEENSD_IJSA_SA_EEENS0_18inequality_wrapperIZN2at6native12_GLOBAL__N_124unique_dim_cuda_templateIbEESt5tupleIJNSH_6TensorESM_SM_EERKSM_lbbbEUlllE0_EEPmJS6_EEE10hipError_tPvRmT3_T4_T5_T6_T7_T9_mT8_P12ihipStream_tbDpT10_ENKUlT_T0_E_clISt17integral_constantIbLb1EES1C_EEDaS17_S18_EUlS17_E_NS1_11comp_targetILNS1_3genE3ELNS1_11target_archE908ELNS1_3gpuE7ELNS1_3repE0EEENS1_30default_config_static_selectorELNS0_4arch9wavefront6targetE0EEEvT1_
                                        ; -- End function
	.section	.AMDGPU.csdata,"",@progbits
; Kernel info:
; codeLenInByte = 0
; NumSgprs: 0
; NumVgprs: 0
; ScratchSize: 0
; MemoryBound: 0
; FloatMode: 240
; IeeeMode: 1
; LDSByteSize: 0 bytes/workgroup (compile time only)
; SGPRBlocks: 0
; VGPRBlocks: 0
; NumSGPRsForWavesPerEU: 1
; NumVGPRsForWavesPerEU: 1
; Occupancy: 16
; WaveLimiterHint : 0
; COMPUTE_PGM_RSRC2:SCRATCH_EN: 0
; COMPUTE_PGM_RSRC2:USER_SGPR: 15
; COMPUTE_PGM_RSRC2:TRAP_HANDLER: 0
; COMPUTE_PGM_RSRC2:TGID_X_EN: 1
; COMPUTE_PGM_RSRC2:TGID_Y_EN: 0
; COMPUTE_PGM_RSRC2:TGID_Z_EN: 0
; COMPUTE_PGM_RSRC2:TIDIG_COMP_CNT: 0
	.section	.text._ZN7rocprim17ROCPRIM_400000_NS6detail17trampoline_kernelINS0_14default_configENS1_25partition_config_selectorILNS1_17partition_subalgoE8ElNS0_10empty_typeEbEEZZNS1_14partition_implILS5_8ELb0ES3_jPlPS6_PKS6_NS0_5tupleIJS9_S6_EEENSD_IJSA_SA_EEENS0_18inequality_wrapperIZN2at6native12_GLOBAL__N_124unique_dim_cuda_templateIbEESt5tupleIJNSH_6TensorESM_SM_EERKSM_lbbbEUlllE0_EEPmJS6_EEE10hipError_tPvRmT3_T4_T5_T6_T7_T9_mT8_P12ihipStream_tbDpT10_ENKUlT_T0_E_clISt17integral_constantIbLb1EES1C_EEDaS17_S18_EUlS17_E_NS1_11comp_targetILNS1_3genE2ELNS1_11target_archE906ELNS1_3gpuE6ELNS1_3repE0EEENS1_30default_config_static_selectorELNS0_4arch9wavefront6targetE0EEEvT1_,"axG",@progbits,_ZN7rocprim17ROCPRIM_400000_NS6detail17trampoline_kernelINS0_14default_configENS1_25partition_config_selectorILNS1_17partition_subalgoE8ElNS0_10empty_typeEbEEZZNS1_14partition_implILS5_8ELb0ES3_jPlPS6_PKS6_NS0_5tupleIJS9_S6_EEENSD_IJSA_SA_EEENS0_18inequality_wrapperIZN2at6native12_GLOBAL__N_124unique_dim_cuda_templateIbEESt5tupleIJNSH_6TensorESM_SM_EERKSM_lbbbEUlllE0_EEPmJS6_EEE10hipError_tPvRmT3_T4_T5_T6_T7_T9_mT8_P12ihipStream_tbDpT10_ENKUlT_T0_E_clISt17integral_constantIbLb1EES1C_EEDaS17_S18_EUlS17_E_NS1_11comp_targetILNS1_3genE2ELNS1_11target_archE906ELNS1_3gpuE6ELNS1_3repE0EEENS1_30default_config_static_selectorELNS0_4arch9wavefront6targetE0EEEvT1_,comdat
	.globl	_ZN7rocprim17ROCPRIM_400000_NS6detail17trampoline_kernelINS0_14default_configENS1_25partition_config_selectorILNS1_17partition_subalgoE8ElNS0_10empty_typeEbEEZZNS1_14partition_implILS5_8ELb0ES3_jPlPS6_PKS6_NS0_5tupleIJS9_S6_EEENSD_IJSA_SA_EEENS0_18inequality_wrapperIZN2at6native12_GLOBAL__N_124unique_dim_cuda_templateIbEESt5tupleIJNSH_6TensorESM_SM_EERKSM_lbbbEUlllE0_EEPmJS6_EEE10hipError_tPvRmT3_T4_T5_T6_T7_T9_mT8_P12ihipStream_tbDpT10_ENKUlT_T0_E_clISt17integral_constantIbLb1EES1C_EEDaS17_S18_EUlS17_E_NS1_11comp_targetILNS1_3genE2ELNS1_11target_archE906ELNS1_3gpuE6ELNS1_3repE0EEENS1_30default_config_static_selectorELNS0_4arch9wavefront6targetE0EEEvT1_ ; -- Begin function _ZN7rocprim17ROCPRIM_400000_NS6detail17trampoline_kernelINS0_14default_configENS1_25partition_config_selectorILNS1_17partition_subalgoE8ElNS0_10empty_typeEbEEZZNS1_14partition_implILS5_8ELb0ES3_jPlPS6_PKS6_NS0_5tupleIJS9_S6_EEENSD_IJSA_SA_EEENS0_18inequality_wrapperIZN2at6native12_GLOBAL__N_124unique_dim_cuda_templateIbEESt5tupleIJNSH_6TensorESM_SM_EERKSM_lbbbEUlllE0_EEPmJS6_EEE10hipError_tPvRmT3_T4_T5_T6_T7_T9_mT8_P12ihipStream_tbDpT10_ENKUlT_T0_E_clISt17integral_constantIbLb1EES1C_EEDaS17_S18_EUlS17_E_NS1_11comp_targetILNS1_3genE2ELNS1_11target_archE906ELNS1_3gpuE6ELNS1_3repE0EEENS1_30default_config_static_selectorELNS0_4arch9wavefront6targetE0EEEvT1_
	.p2align	8
	.type	_ZN7rocprim17ROCPRIM_400000_NS6detail17trampoline_kernelINS0_14default_configENS1_25partition_config_selectorILNS1_17partition_subalgoE8ElNS0_10empty_typeEbEEZZNS1_14partition_implILS5_8ELb0ES3_jPlPS6_PKS6_NS0_5tupleIJS9_S6_EEENSD_IJSA_SA_EEENS0_18inequality_wrapperIZN2at6native12_GLOBAL__N_124unique_dim_cuda_templateIbEESt5tupleIJNSH_6TensorESM_SM_EERKSM_lbbbEUlllE0_EEPmJS6_EEE10hipError_tPvRmT3_T4_T5_T6_T7_T9_mT8_P12ihipStream_tbDpT10_ENKUlT_T0_E_clISt17integral_constantIbLb1EES1C_EEDaS17_S18_EUlS17_E_NS1_11comp_targetILNS1_3genE2ELNS1_11target_archE906ELNS1_3gpuE6ELNS1_3repE0EEENS1_30default_config_static_selectorELNS0_4arch9wavefront6targetE0EEEvT1_,@function
_ZN7rocprim17ROCPRIM_400000_NS6detail17trampoline_kernelINS0_14default_configENS1_25partition_config_selectorILNS1_17partition_subalgoE8ElNS0_10empty_typeEbEEZZNS1_14partition_implILS5_8ELb0ES3_jPlPS6_PKS6_NS0_5tupleIJS9_S6_EEENSD_IJSA_SA_EEENS0_18inequality_wrapperIZN2at6native12_GLOBAL__N_124unique_dim_cuda_templateIbEESt5tupleIJNSH_6TensorESM_SM_EERKSM_lbbbEUlllE0_EEPmJS6_EEE10hipError_tPvRmT3_T4_T5_T6_T7_T9_mT8_P12ihipStream_tbDpT10_ENKUlT_T0_E_clISt17integral_constantIbLb1EES1C_EEDaS17_S18_EUlS17_E_NS1_11comp_targetILNS1_3genE2ELNS1_11target_archE906ELNS1_3gpuE6ELNS1_3repE0EEENS1_30default_config_static_selectorELNS0_4arch9wavefront6targetE0EEEvT1_: ; @_ZN7rocprim17ROCPRIM_400000_NS6detail17trampoline_kernelINS0_14default_configENS1_25partition_config_selectorILNS1_17partition_subalgoE8ElNS0_10empty_typeEbEEZZNS1_14partition_implILS5_8ELb0ES3_jPlPS6_PKS6_NS0_5tupleIJS9_S6_EEENSD_IJSA_SA_EEENS0_18inequality_wrapperIZN2at6native12_GLOBAL__N_124unique_dim_cuda_templateIbEESt5tupleIJNSH_6TensorESM_SM_EERKSM_lbbbEUlllE0_EEPmJS6_EEE10hipError_tPvRmT3_T4_T5_T6_T7_T9_mT8_P12ihipStream_tbDpT10_ENKUlT_T0_E_clISt17integral_constantIbLb1EES1C_EEDaS17_S18_EUlS17_E_NS1_11comp_targetILNS1_3genE2ELNS1_11target_archE906ELNS1_3gpuE6ELNS1_3repE0EEENS1_30default_config_static_selectorELNS0_4arch9wavefront6targetE0EEEvT1_
; %bb.0:
	.section	.rodata,"a",@progbits
	.p2align	6, 0x0
	.amdhsa_kernel _ZN7rocprim17ROCPRIM_400000_NS6detail17trampoline_kernelINS0_14default_configENS1_25partition_config_selectorILNS1_17partition_subalgoE8ElNS0_10empty_typeEbEEZZNS1_14partition_implILS5_8ELb0ES3_jPlPS6_PKS6_NS0_5tupleIJS9_S6_EEENSD_IJSA_SA_EEENS0_18inequality_wrapperIZN2at6native12_GLOBAL__N_124unique_dim_cuda_templateIbEESt5tupleIJNSH_6TensorESM_SM_EERKSM_lbbbEUlllE0_EEPmJS6_EEE10hipError_tPvRmT3_T4_T5_T6_T7_T9_mT8_P12ihipStream_tbDpT10_ENKUlT_T0_E_clISt17integral_constantIbLb1EES1C_EEDaS17_S18_EUlS17_E_NS1_11comp_targetILNS1_3genE2ELNS1_11target_archE906ELNS1_3gpuE6ELNS1_3repE0EEENS1_30default_config_static_selectorELNS0_4arch9wavefront6targetE0EEEvT1_
		.amdhsa_group_segment_fixed_size 0
		.amdhsa_private_segment_fixed_size 0
		.amdhsa_kernarg_size 136
		.amdhsa_user_sgpr_count 15
		.amdhsa_user_sgpr_dispatch_ptr 0
		.amdhsa_user_sgpr_queue_ptr 0
		.amdhsa_user_sgpr_kernarg_segment_ptr 1
		.amdhsa_user_sgpr_dispatch_id 0
		.amdhsa_user_sgpr_private_segment_size 0
		.amdhsa_wavefront_size32 1
		.amdhsa_uses_dynamic_stack 0
		.amdhsa_enable_private_segment 0
		.amdhsa_system_sgpr_workgroup_id_x 1
		.amdhsa_system_sgpr_workgroup_id_y 0
		.amdhsa_system_sgpr_workgroup_id_z 0
		.amdhsa_system_sgpr_workgroup_info 0
		.amdhsa_system_vgpr_workitem_id 0
		.amdhsa_next_free_vgpr 1
		.amdhsa_next_free_sgpr 1
		.amdhsa_reserve_vcc 0
		.amdhsa_float_round_mode_32 0
		.amdhsa_float_round_mode_16_64 0
		.amdhsa_float_denorm_mode_32 3
		.amdhsa_float_denorm_mode_16_64 3
		.amdhsa_dx10_clamp 1
		.amdhsa_ieee_mode 1
		.amdhsa_fp16_overflow 0
		.amdhsa_workgroup_processor_mode 1
		.amdhsa_memory_ordered 1
		.amdhsa_forward_progress 0
		.amdhsa_shared_vgpr_count 0
		.amdhsa_exception_fp_ieee_invalid_op 0
		.amdhsa_exception_fp_denorm_src 0
		.amdhsa_exception_fp_ieee_div_zero 0
		.amdhsa_exception_fp_ieee_overflow 0
		.amdhsa_exception_fp_ieee_underflow 0
		.amdhsa_exception_fp_ieee_inexact 0
		.amdhsa_exception_int_div_zero 0
	.end_amdhsa_kernel
	.section	.text._ZN7rocprim17ROCPRIM_400000_NS6detail17trampoline_kernelINS0_14default_configENS1_25partition_config_selectorILNS1_17partition_subalgoE8ElNS0_10empty_typeEbEEZZNS1_14partition_implILS5_8ELb0ES3_jPlPS6_PKS6_NS0_5tupleIJS9_S6_EEENSD_IJSA_SA_EEENS0_18inequality_wrapperIZN2at6native12_GLOBAL__N_124unique_dim_cuda_templateIbEESt5tupleIJNSH_6TensorESM_SM_EERKSM_lbbbEUlllE0_EEPmJS6_EEE10hipError_tPvRmT3_T4_T5_T6_T7_T9_mT8_P12ihipStream_tbDpT10_ENKUlT_T0_E_clISt17integral_constantIbLb1EES1C_EEDaS17_S18_EUlS17_E_NS1_11comp_targetILNS1_3genE2ELNS1_11target_archE906ELNS1_3gpuE6ELNS1_3repE0EEENS1_30default_config_static_selectorELNS0_4arch9wavefront6targetE0EEEvT1_,"axG",@progbits,_ZN7rocprim17ROCPRIM_400000_NS6detail17trampoline_kernelINS0_14default_configENS1_25partition_config_selectorILNS1_17partition_subalgoE8ElNS0_10empty_typeEbEEZZNS1_14partition_implILS5_8ELb0ES3_jPlPS6_PKS6_NS0_5tupleIJS9_S6_EEENSD_IJSA_SA_EEENS0_18inequality_wrapperIZN2at6native12_GLOBAL__N_124unique_dim_cuda_templateIbEESt5tupleIJNSH_6TensorESM_SM_EERKSM_lbbbEUlllE0_EEPmJS6_EEE10hipError_tPvRmT3_T4_T5_T6_T7_T9_mT8_P12ihipStream_tbDpT10_ENKUlT_T0_E_clISt17integral_constantIbLb1EES1C_EEDaS17_S18_EUlS17_E_NS1_11comp_targetILNS1_3genE2ELNS1_11target_archE906ELNS1_3gpuE6ELNS1_3repE0EEENS1_30default_config_static_selectorELNS0_4arch9wavefront6targetE0EEEvT1_,comdat
.Lfunc_end1063:
	.size	_ZN7rocprim17ROCPRIM_400000_NS6detail17trampoline_kernelINS0_14default_configENS1_25partition_config_selectorILNS1_17partition_subalgoE8ElNS0_10empty_typeEbEEZZNS1_14partition_implILS5_8ELb0ES3_jPlPS6_PKS6_NS0_5tupleIJS9_S6_EEENSD_IJSA_SA_EEENS0_18inequality_wrapperIZN2at6native12_GLOBAL__N_124unique_dim_cuda_templateIbEESt5tupleIJNSH_6TensorESM_SM_EERKSM_lbbbEUlllE0_EEPmJS6_EEE10hipError_tPvRmT3_T4_T5_T6_T7_T9_mT8_P12ihipStream_tbDpT10_ENKUlT_T0_E_clISt17integral_constantIbLb1EES1C_EEDaS17_S18_EUlS17_E_NS1_11comp_targetILNS1_3genE2ELNS1_11target_archE906ELNS1_3gpuE6ELNS1_3repE0EEENS1_30default_config_static_selectorELNS0_4arch9wavefront6targetE0EEEvT1_, .Lfunc_end1063-_ZN7rocprim17ROCPRIM_400000_NS6detail17trampoline_kernelINS0_14default_configENS1_25partition_config_selectorILNS1_17partition_subalgoE8ElNS0_10empty_typeEbEEZZNS1_14partition_implILS5_8ELb0ES3_jPlPS6_PKS6_NS0_5tupleIJS9_S6_EEENSD_IJSA_SA_EEENS0_18inequality_wrapperIZN2at6native12_GLOBAL__N_124unique_dim_cuda_templateIbEESt5tupleIJNSH_6TensorESM_SM_EERKSM_lbbbEUlllE0_EEPmJS6_EEE10hipError_tPvRmT3_T4_T5_T6_T7_T9_mT8_P12ihipStream_tbDpT10_ENKUlT_T0_E_clISt17integral_constantIbLb1EES1C_EEDaS17_S18_EUlS17_E_NS1_11comp_targetILNS1_3genE2ELNS1_11target_archE906ELNS1_3gpuE6ELNS1_3repE0EEENS1_30default_config_static_selectorELNS0_4arch9wavefront6targetE0EEEvT1_
                                        ; -- End function
	.section	.AMDGPU.csdata,"",@progbits
; Kernel info:
; codeLenInByte = 0
; NumSgprs: 0
; NumVgprs: 0
; ScratchSize: 0
; MemoryBound: 0
; FloatMode: 240
; IeeeMode: 1
; LDSByteSize: 0 bytes/workgroup (compile time only)
; SGPRBlocks: 0
; VGPRBlocks: 0
; NumSGPRsForWavesPerEU: 1
; NumVGPRsForWavesPerEU: 1
; Occupancy: 16
; WaveLimiterHint : 0
; COMPUTE_PGM_RSRC2:SCRATCH_EN: 0
; COMPUTE_PGM_RSRC2:USER_SGPR: 15
; COMPUTE_PGM_RSRC2:TRAP_HANDLER: 0
; COMPUTE_PGM_RSRC2:TGID_X_EN: 1
; COMPUTE_PGM_RSRC2:TGID_Y_EN: 0
; COMPUTE_PGM_RSRC2:TGID_Z_EN: 0
; COMPUTE_PGM_RSRC2:TIDIG_COMP_CNT: 0
	.section	.text._ZN7rocprim17ROCPRIM_400000_NS6detail17trampoline_kernelINS0_14default_configENS1_25partition_config_selectorILNS1_17partition_subalgoE8ElNS0_10empty_typeEbEEZZNS1_14partition_implILS5_8ELb0ES3_jPlPS6_PKS6_NS0_5tupleIJS9_S6_EEENSD_IJSA_SA_EEENS0_18inequality_wrapperIZN2at6native12_GLOBAL__N_124unique_dim_cuda_templateIbEESt5tupleIJNSH_6TensorESM_SM_EERKSM_lbbbEUlllE0_EEPmJS6_EEE10hipError_tPvRmT3_T4_T5_T6_T7_T9_mT8_P12ihipStream_tbDpT10_ENKUlT_T0_E_clISt17integral_constantIbLb1EES1C_EEDaS17_S18_EUlS17_E_NS1_11comp_targetILNS1_3genE10ELNS1_11target_archE1200ELNS1_3gpuE4ELNS1_3repE0EEENS1_30default_config_static_selectorELNS0_4arch9wavefront6targetE0EEEvT1_,"axG",@progbits,_ZN7rocprim17ROCPRIM_400000_NS6detail17trampoline_kernelINS0_14default_configENS1_25partition_config_selectorILNS1_17partition_subalgoE8ElNS0_10empty_typeEbEEZZNS1_14partition_implILS5_8ELb0ES3_jPlPS6_PKS6_NS0_5tupleIJS9_S6_EEENSD_IJSA_SA_EEENS0_18inequality_wrapperIZN2at6native12_GLOBAL__N_124unique_dim_cuda_templateIbEESt5tupleIJNSH_6TensorESM_SM_EERKSM_lbbbEUlllE0_EEPmJS6_EEE10hipError_tPvRmT3_T4_T5_T6_T7_T9_mT8_P12ihipStream_tbDpT10_ENKUlT_T0_E_clISt17integral_constantIbLb1EES1C_EEDaS17_S18_EUlS17_E_NS1_11comp_targetILNS1_3genE10ELNS1_11target_archE1200ELNS1_3gpuE4ELNS1_3repE0EEENS1_30default_config_static_selectorELNS0_4arch9wavefront6targetE0EEEvT1_,comdat
	.globl	_ZN7rocprim17ROCPRIM_400000_NS6detail17trampoline_kernelINS0_14default_configENS1_25partition_config_selectorILNS1_17partition_subalgoE8ElNS0_10empty_typeEbEEZZNS1_14partition_implILS5_8ELb0ES3_jPlPS6_PKS6_NS0_5tupleIJS9_S6_EEENSD_IJSA_SA_EEENS0_18inequality_wrapperIZN2at6native12_GLOBAL__N_124unique_dim_cuda_templateIbEESt5tupleIJNSH_6TensorESM_SM_EERKSM_lbbbEUlllE0_EEPmJS6_EEE10hipError_tPvRmT3_T4_T5_T6_T7_T9_mT8_P12ihipStream_tbDpT10_ENKUlT_T0_E_clISt17integral_constantIbLb1EES1C_EEDaS17_S18_EUlS17_E_NS1_11comp_targetILNS1_3genE10ELNS1_11target_archE1200ELNS1_3gpuE4ELNS1_3repE0EEENS1_30default_config_static_selectorELNS0_4arch9wavefront6targetE0EEEvT1_ ; -- Begin function _ZN7rocprim17ROCPRIM_400000_NS6detail17trampoline_kernelINS0_14default_configENS1_25partition_config_selectorILNS1_17partition_subalgoE8ElNS0_10empty_typeEbEEZZNS1_14partition_implILS5_8ELb0ES3_jPlPS6_PKS6_NS0_5tupleIJS9_S6_EEENSD_IJSA_SA_EEENS0_18inequality_wrapperIZN2at6native12_GLOBAL__N_124unique_dim_cuda_templateIbEESt5tupleIJNSH_6TensorESM_SM_EERKSM_lbbbEUlllE0_EEPmJS6_EEE10hipError_tPvRmT3_T4_T5_T6_T7_T9_mT8_P12ihipStream_tbDpT10_ENKUlT_T0_E_clISt17integral_constantIbLb1EES1C_EEDaS17_S18_EUlS17_E_NS1_11comp_targetILNS1_3genE10ELNS1_11target_archE1200ELNS1_3gpuE4ELNS1_3repE0EEENS1_30default_config_static_selectorELNS0_4arch9wavefront6targetE0EEEvT1_
	.p2align	8
	.type	_ZN7rocprim17ROCPRIM_400000_NS6detail17trampoline_kernelINS0_14default_configENS1_25partition_config_selectorILNS1_17partition_subalgoE8ElNS0_10empty_typeEbEEZZNS1_14partition_implILS5_8ELb0ES3_jPlPS6_PKS6_NS0_5tupleIJS9_S6_EEENSD_IJSA_SA_EEENS0_18inequality_wrapperIZN2at6native12_GLOBAL__N_124unique_dim_cuda_templateIbEESt5tupleIJNSH_6TensorESM_SM_EERKSM_lbbbEUlllE0_EEPmJS6_EEE10hipError_tPvRmT3_T4_T5_T6_T7_T9_mT8_P12ihipStream_tbDpT10_ENKUlT_T0_E_clISt17integral_constantIbLb1EES1C_EEDaS17_S18_EUlS17_E_NS1_11comp_targetILNS1_3genE10ELNS1_11target_archE1200ELNS1_3gpuE4ELNS1_3repE0EEENS1_30default_config_static_selectorELNS0_4arch9wavefront6targetE0EEEvT1_,@function
_ZN7rocprim17ROCPRIM_400000_NS6detail17trampoline_kernelINS0_14default_configENS1_25partition_config_selectorILNS1_17partition_subalgoE8ElNS0_10empty_typeEbEEZZNS1_14partition_implILS5_8ELb0ES3_jPlPS6_PKS6_NS0_5tupleIJS9_S6_EEENSD_IJSA_SA_EEENS0_18inequality_wrapperIZN2at6native12_GLOBAL__N_124unique_dim_cuda_templateIbEESt5tupleIJNSH_6TensorESM_SM_EERKSM_lbbbEUlllE0_EEPmJS6_EEE10hipError_tPvRmT3_T4_T5_T6_T7_T9_mT8_P12ihipStream_tbDpT10_ENKUlT_T0_E_clISt17integral_constantIbLb1EES1C_EEDaS17_S18_EUlS17_E_NS1_11comp_targetILNS1_3genE10ELNS1_11target_archE1200ELNS1_3gpuE4ELNS1_3repE0EEENS1_30default_config_static_selectorELNS0_4arch9wavefront6targetE0EEEvT1_: ; @_ZN7rocprim17ROCPRIM_400000_NS6detail17trampoline_kernelINS0_14default_configENS1_25partition_config_selectorILNS1_17partition_subalgoE8ElNS0_10empty_typeEbEEZZNS1_14partition_implILS5_8ELb0ES3_jPlPS6_PKS6_NS0_5tupleIJS9_S6_EEENSD_IJSA_SA_EEENS0_18inequality_wrapperIZN2at6native12_GLOBAL__N_124unique_dim_cuda_templateIbEESt5tupleIJNSH_6TensorESM_SM_EERKSM_lbbbEUlllE0_EEPmJS6_EEE10hipError_tPvRmT3_T4_T5_T6_T7_T9_mT8_P12ihipStream_tbDpT10_ENKUlT_T0_E_clISt17integral_constantIbLb1EES1C_EEDaS17_S18_EUlS17_E_NS1_11comp_targetILNS1_3genE10ELNS1_11target_archE1200ELNS1_3gpuE4ELNS1_3repE0EEENS1_30default_config_static_selectorELNS0_4arch9wavefront6targetE0EEEvT1_
; %bb.0:
	.section	.rodata,"a",@progbits
	.p2align	6, 0x0
	.amdhsa_kernel _ZN7rocprim17ROCPRIM_400000_NS6detail17trampoline_kernelINS0_14default_configENS1_25partition_config_selectorILNS1_17partition_subalgoE8ElNS0_10empty_typeEbEEZZNS1_14partition_implILS5_8ELb0ES3_jPlPS6_PKS6_NS0_5tupleIJS9_S6_EEENSD_IJSA_SA_EEENS0_18inequality_wrapperIZN2at6native12_GLOBAL__N_124unique_dim_cuda_templateIbEESt5tupleIJNSH_6TensorESM_SM_EERKSM_lbbbEUlllE0_EEPmJS6_EEE10hipError_tPvRmT3_T4_T5_T6_T7_T9_mT8_P12ihipStream_tbDpT10_ENKUlT_T0_E_clISt17integral_constantIbLb1EES1C_EEDaS17_S18_EUlS17_E_NS1_11comp_targetILNS1_3genE10ELNS1_11target_archE1200ELNS1_3gpuE4ELNS1_3repE0EEENS1_30default_config_static_selectorELNS0_4arch9wavefront6targetE0EEEvT1_
		.amdhsa_group_segment_fixed_size 0
		.amdhsa_private_segment_fixed_size 0
		.amdhsa_kernarg_size 136
		.amdhsa_user_sgpr_count 15
		.amdhsa_user_sgpr_dispatch_ptr 0
		.amdhsa_user_sgpr_queue_ptr 0
		.amdhsa_user_sgpr_kernarg_segment_ptr 1
		.amdhsa_user_sgpr_dispatch_id 0
		.amdhsa_user_sgpr_private_segment_size 0
		.amdhsa_wavefront_size32 1
		.amdhsa_uses_dynamic_stack 0
		.amdhsa_enable_private_segment 0
		.amdhsa_system_sgpr_workgroup_id_x 1
		.amdhsa_system_sgpr_workgroup_id_y 0
		.amdhsa_system_sgpr_workgroup_id_z 0
		.amdhsa_system_sgpr_workgroup_info 0
		.amdhsa_system_vgpr_workitem_id 0
		.amdhsa_next_free_vgpr 1
		.amdhsa_next_free_sgpr 1
		.amdhsa_reserve_vcc 0
		.amdhsa_float_round_mode_32 0
		.amdhsa_float_round_mode_16_64 0
		.amdhsa_float_denorm_mode_32 3
		.amdhsa_float_denorm_mode_16_64 3
		.amdhsa_dx10_clamp 1
		.amdhsa_ieee_mode 1
		.amdhsa_fp16_overflow 0
		.amdhsa_workgroup_processor_mode 1
		.amdhsa_memory_ordered 1
		.amdhsa_forward_progress 0
		.amdhsa_shared_vgpr_count 0
		.amdhsa_exception_fp_ieee_invalid_op 0
		.amdhsa_exception_fp_denorm_src 0
		.amdhsa_exception_fp_ieee_div_zero 0
		.amdhsa_exception_fp_ieee_overflow 0
		.amdhsa_exception_fp_ieee_underflow 0
		.amdhsa_exception_fp_ieee_inexact 0
		.amdhsa_exception_int_div_zero 0
	.end_amdhsa_kernel
	.section	.text._ZN7rocprim17ROCPRIM_400000_NS6detail17trampoline_kernelINS0_14default_configENS1_25partition_config_selectorILNS1_17partition_subalgoE8ElNS0_10empty_typeEbEEZZNS1_14partition_implILS5_8ELb0ES3_jPlPS6_PKS6_NS0_5tupleIJS9_S6_EEENSD_IJSA_SA_EEENS0_18inequality_wrapperIZN2at6native12_GLOBAL__N_124unique_dim_cuda_templateIbEESt5tupleIJNSH_6TensorESM_SM_EERKSM_lbbbEUlllE0_EEPmJS6_EEE10hipError_tPvRmT3_T4_T5_T6_T7_T9_mT8_P12ihipStream_tbDpT10_ENKUlT_T0_E_clISt17integral_constantIbLb1EES1C_EEDaS17_S18_EUlS17_E_NS1_11comp_targetILNS1_3genE10ELNS1_11target_archE1200ELNS1_3gpuE4ELNS1_3repE0EEENS1_30default_config_static_selectorELNS0_4arch9wavefront6targetE0EEEvT1_,"axG",@progbits,_ZN7rocprim17ROCPRIM_400000_NS6detail17trampoline_kernelINS0_14default_configENS1_25partition_config_selectorILNS1_17partition_subalgoE8ElNS0_10empty_typeEbEEZZNS1_14partition_implILS5_8ELb0ES3_jPlPS6_PKS6_NS0_5tupleIJS9_S6_EEENSD_IJSA_SA_EEENS0_18inequality_wrapperIZN2at6native12_GLOBAL__N_124unique_dim_cuda_templateIbEESt5tupleIJNSH_6TensorESM_SM_EERKSM_lbbbEUlllE0_EEPmJS6_EEE10hipError_tPvRmT3_T4_T5_T6_T7_T9_mT8_P12ihipStream_tbDpT10_ENKUlT_T0_E_clISt17integral_constantIbLb1EES1C_EEDaS17_S18_EUlS17_E_NS1_11comp_targetILNS1_3genE10ELNS1_11target_archE1200ELNS1_3gpuE4ELNS1_3repE0EEENS1_30default_config_static_selectorELNS0_4arch9wavefront6targetE0EEEvT1_,comdat
.Lfunc_end1064:
	.size	_ZN7rocprim17ROCPRIM_400000_NS6detail17trampoline_kernelINS0_14default_configENS1_25partition_config_selectorILNS1_17partition_subalgoE8ElNS0_10empty_typeEbEEZZNS1_14partition_implILS5_8ELb0ES3_jPlPS6_PKS6_NS0_5tupleIJS9_S6_EEENSD_IJSA_SA_EEENS0_18inequality_wrapperIZN2at6native12_GLOBAL__N_124unique_dim_cuda_templateIbEESt5tupleIJNSH_6TensorESM_SM_EERKSM_lbbbEUlllE0_EEPmJS6_EEE10hipError_tPvRmT3_T4_T5_T6_T7_T9_mT8_P12ihipStream_tbDpT10_ENKUlT_T0_E_clISt17integral_constantIbLb1EES1C_EEDaS17_S18_EUlS17_E_NS1_11comp_targetILNS1_3genE10ELNS1_11target_archE1200ELNS1_3gpuE4ELNS1_3repE0EEENS1_30default_config_static_selectorELNS0_4arch9wavefront6targetE0EEEvT1_, .Lfunc_end1064-_ZN7rocprim17ROCPRIM_400000_NS6detail17trampoline_kernelINS0_14default_configENS1_25partition_config_selectorILNS1_17partition_subalgoE8ElNS0_10empty_typeEbEEZZNS1_14partition_implILS5_8ELb0ES3_jPlPS6_PKS6_NS0_5tupleIJS9_S6_EEENSD_IJSA_SA_EEENS0_18inequality_wrapperIZN2at6native12_GLOBAL__N_124unique_dim_cuda_templateIbEESt5tupleIJNSH_6TensorESM_SM_EERKSM_lbbbEUlllE0_EEPmJS6_EEE10hipError_tPvRmT3_T4_T5_T6_T7_T9_mT8_P12ihipStream_tbDpT10_ENKUlT_T0_E_clISt17integral_constantIbLb1EES1C_EEDaS17_S18_EUlS17_E_NS1_11comp_targetILNS1_3genE10ELNS1_11target_archE1200ELNS1_3gpuE4ELNS1_3repE0EEENS1_30default_config_static_selectorELNS0_4arch9wavefront6targetE0EEEvT1_
                                        ; -- End function
	.section	.AMDGPU.csdata,"",@progbits
; Kernel info:
; codeLenInByte = 0
; NumSgprs: 0
; NumVgprs: 0
; ScratchSize: 0
; MemoryBound: 0
; FloatMode: 240
; IeeeMode: 1
; LDSByteSize: 0 bytes/workgroup (compile time only)
; SGPRBlocks: 0
; VGPRBlocks: 0
; NumSGPRsForWavesPerEU: 1
; NumVGPRsForWavesPerEU: 1
; Occupancy: 15
; WaveLimiterHint : 0
; COMPUTE_PGM_RSRC2:SCRATCH_EN: 0
; COMPUTE_PGM_RSRC2:USER_SGPR: 15
; COMPUTE_PGM_RSRC2:TRAP_HANDLER: 0
; COMPUTE_PGM_RSRC2:TGID_X_EN: 1
; COMPUTE_PGM_RSRC2:TGID_Y_EN: 0
; COMPUTE_PGM_RSRC2:TGID_Z_EN: 0
; COMPUTE_PGM_RSRC2:TIDIG_COMP_CNT: 0
	.section	.text._ZN7rocprim17ROCPRIM_400000_NS6detail17trampoline_kernelINS0_14default_configENS1_25partition_config_selectorILNS1_17partition_subalgoE8ElNS0_10empty_typeEbEEZZNS1_14partition_implILS5_8ELb0ES3_jPlPS6_PKS6_NS0_5tupleIJS9_S6_EEENSD_IJSA_SA_EEENS0_18inequality_wrapperIZN2at6native12_GLOBAL__N_124unique_dim_cuda_templateIbEESt5tupleIJNSH_6TensorESM_SM_EERKSM_lbbbEUlllE0_EEPmJS6_EEE10hipError_tPvRmT3_T4_T5_T6_T7_T9_mT8_P12ihipStream_tbDpT10_ENKUlT_T0_E_clISt17integral_constantIbLb1EES1C_EEDaS17_S18_EUlS17_E_NS1_11comp_targetILNS1_3genE9ELNS1_11target_archE1100ELNS1_3gpuE3ELNS1_3repE0EEENS1_30default_config_static_selectorELNS0_4arch9wavefront6targetE0EEEvT1_,"axG",@progbits,_ZN7rocprim17ROCPRIM_400000_NS6detail17trampoline_kernelINS0_14default_configENS1_25partition_config_selectorILNS1_17partition_subalgoE8ElNS0_10empty_typeEbEEZZNS1_14partition_implILS5_8ELb0ES3_jPlPS6_PKS6_NS0_5tupleIJS9_S6_EEENSD_IJSA_SA_EEENS0_18inequality_wrapperIZN2at6native12_GLOBAL__N_124unique_dim_cuda_templateIbEESt5tupleIJNSH_6TensorESM_SM_EERKSM_lbbbEUlllE0_EEPmJS6_EEE10hipError_tPvRmT3_T4_T5_T6_T7_T9_mT8_P12ihipStream_tbDpT10_ENKUlT_T0_E_clISt17integral_constantIbLb1EES1C_EEDaS17_S18_EUlS17_E_NS1_11comp_targetILNS1_3genE9ELNS1_11target_archE1100ELNS1_3gpuE3ELNS1_3repE0EEENS1_30default_config_static_selectorELNS0_4arch9wavefront6targetE0EEEvT1_,comdat
	.globl	_ZN7rocprim17ROCPRIM_400000_NS6detail17trampoline_kernelINS0_14default_configENS1_25partition_config_selectorILNS1_17partition_subalgoE8ElNS0_10empty_typeEbEEZZNS1_14partition_implILS5_8ELb0ES3_jPlPS6_PKS6_NS0_5tupleIJS9_S6_EEENSD_IJSA_SA_EEENS0_18inequality_wrapperIZN2at6native12_GLOBAL__N_124unique_dim_cuda_templateIbEESt5tupleIJNSH_6TensorESM_SM_EERKSM_lbbbEUlllE0_EEPmJS6_EEE10hipError_tPvRmT3_T4_T5_T6_T7_T9_mT8_P12ihipStream_tbDpT10_ENKUlT_T0_E_clISt17integral_constantIbLb1EES1C_EEDaS17_S18_EUlS17_E_NS1_11comp_targetILNS1_3genE9ELNS1_11target_archE1100ELNS1_3gpuE3ELNS1_3repE0EEENS1_30default_config_static_selectorELNS0_4arch9wavefront6targetE0EEEvT1_ ; -- Begin function _ZN7rocprim17ROCPRIM_400000_NS6detail17trampoline_kernelINS0_14default_configENS1_25partition_config_selectorILNS1_17partition_subalgoE8ElNS0_10empty_typeEbEEZZNS1_14partition_implILS5_8ELb0ES3_jPlPS6_PKS6_NS0_5tupleIJS9_S6_EEENSD_IJSA_SA_EEENS0_18inequality_wrapperIZN2at6native12_GLOBAL__N_124unique_dim_cuda_templateIbEESt5tupleIJNSH_6TensorESM_SM_EERKSM_lbbbEUlllE0_EEPmJS6_EEE10hipError_tPvRmT3_T4_T5_T6_T7_T9_mT8_P12ihipStream_tbDpT10_ENKUlT_T0_E_clISt17integral_constantIbLb1EES1C_EEDaS17_S18_EUlS17_E_NS1_11comp_targetILNS1_3genE9ELNS1_11target_archE1100ELNS1_3gpuE3ELNS1_3repE0EEENS1_30default_config_static_selectorELNS0_4arch9wavefront6targetE0EEEvT1_
	.p2align	8
	.type	_ZN7rocprim17ROCPRIM_400000_NS6detail17trampoline_kernelINS0_14default_configENS1_25partition_config_selectorILNS1_17partition_subalgoE8ElNS0_10empty_typeEbEEZZNS1_14partition_implILS5_8ELb0ES3_jPlPS6_PKS6_NS0_5tupleIJS9_S6_EEENSD_IJSA_SA_EEENS0_18inequality_wrapperIZN2at6native12_GLOBAL__N_124unique_dim_cuda_templateIbEESt5tupleIJNSH_6TensorESM_SM_EERKSM_lbbbEUlllE0_EEPmJS6_EEE10hipError_tPvRmT3_T4_T5_T6_T7_T9_mT8_P12ihipStream_tbDpT10_ENKUlT_T0_E_clISt17integral_constantIbLb1EES1C_EEDaS17_S18_EUlS17_E_NS1_11comp_targetILNS1_3genE9ELNS1_11target_archE1100ELNS1_3gpuE3ELNS1_3repE0EEENS1_30default_config_static_selectorELNS0_4arch9wavefront6targetE0EEEvT1_,@function
_ZN7rocprim17ROCPRIM_400000_NS6detail17trampoline_kernelINS0_14default_configENS1_25partition_config_selectorILNS1_17partition_subalgoE8ElNS0_10empty_typeEbEEZZNS1_14partition_implILS5_8ELb0ES3_jPlPS6_PKS6_NS0_5tupleIJS9_S6_EEENSD_IJSA_SA_EEENS0_18inequality_wrapperIZN2at6native12_GLOBAL__N_124unique_dim_cuda_templateIbEESt5tupleIJNSH_6TensorESM_SM_EERKSM_lbbbEUlllE0_EEPmJS6_EEE10hipError_tPvRmT3_T4_T5_T6_T7_T9_mT8_P12ihipStream_tbDpT10_ENKUlT_T0_E_clISt17integral_constantIbLb1EES1C_EEDaS17_S18_EUlS17_E_NS1_11comp_targetILNS1_3genE9ELNS1_11target_archE1100ELNS1_3gpuE3ELNS1_3repE0EEENS1_30default_config_static_selectorELNS0_4arch9wavefront6targetE0EEEvT1_: ; @_ZN7rocprim17ROCPRIM_400000_NS6detail17trampoline_kernelINS0_14default_configENS1_25partition_config_selectorILNS1_17partition_subalgoE8ElNS0_10empty_typeEbEEZZNS1_14partition_implILS5_8ELb0ES3_jPlPS6_PKS6_NS0_5tupleIJS9_S6_EEENSD_IJSA_SA_EEENS0_18inequality_wrapperIZN2at6native12_GLOBAL__N_124unique_dim_cuda_templateIbEESt5tupleIJNSH_6TensorESM_SM_EERKSM_lbbbEUlllE0_EEPmJS6_EEE10hipError_tPvRmT3_T4_T5_T6_T7_T9_mT8_P12ihipStream_tbDpT10_ENKUlT_T0_E_clISt17integral_constantIbLb1EES1C_EEDaS17_S18_EUlS17_E_NS1_11comp_targetILNS1_3genE9ELNS1_11target_archE1100ELNS1_3gpuE3ELNS1_3repE0EEENS1_30default_config_static_selectorELNS0_4arch9wavefront6targetE0EEEvT1_
; %bb.0:
	s_clause 0x2
	s_load_b64 s[20:21], s[0:1], 0x28
	s_load_b256 s[8:15], s[0:1], 0x40
	s_load_b128 s[16:19], s[0:1], 0x60
	v_cmp_ne_u32_e64 s3, 0, v0
	v_cmp_eq_u32_e64 s2, 0, v0
	s_delay_alu instid0(VALU_DEP_1)
	s_and_saveexec_b32 s4, s2
	s_cbranch_execz .LBB1065_4
; %bb.1:
	s_mov_b32 s6, exec_lo
	s_mov_b32 s5, exec_lo
	v_mbcnt_lo_u32_b32 v1, s6, 0
                                        ; implicit-def: $vgpr2
	s_delay_alu instid0(VALU_DEP_1)
	v_cmpx_eq_u32_e32 0, v1
	s_cbranch_execz .LBB1065_3
; %bb.2:
	s_load_b64 s[22:23], s[0:1], 0x78
	s_bcnt1_i32_b32 s6, s6
	s_delay_alu instid0(SALU_CYCLE_1)
	v_dual_mov_b32 v2, 0 :: v_dual_mov_b32 v3, s6
	s_waitcnt lgkmcnt(0)
	global_atomic_add_u32 v2, v2, v3, s[22:23] glc
.LBB1065_3:
	s_or_b32 exec_lo, exec_lo, s5
	s_waitcnt vmcnt(0)
	v_readfirstlane_b32 s5, v2
	s_delay_alu instid0(VALU_DEP_1)
	v_dual_mov_b32 v2, 0 :: v_dual_add_nc_u32 v1, s5, v1
	ds_store_b32 v2, v1
.LBB1065_4:
	s_or_b32 exec_lo, exec_lo, s4
	v_dual_mov_b32 v2, 0 :: v_dual_lshlrev_b32 v39, 3, v0
	s_clause 0x1
	s_load_b128 s[4:7], s[0:1], 0x8
	s_load_b32 s0, s[0:1], 0x70
	s_waitcnt lgkmcnt(0)
	s_barrier
	buffer_gl0_inv
	ds_load_b32 v1, v2
	s_waitcnt lgkmcnt(0)
	s_barrier
	buffer_gl0_inv
	global_load_b64 v[3:4], v2, s[10:11]
	v_lshrrev_b32_e32 v19, 2, v0
	v_or_b32_e32 v26, 0x200, v0
	v_or_b32_e32 v25, 0x400, v0
	v_or_b32_e32 v24, 0x600, v0
	v_or_b32_e32 v23, 0x800, v0
	v_or_b32_e32 v22, 0xa00, v0
	v_or_b32_e32 v21, 0xc00, v0
	v_or_b32_e32 v20, 0xe00, v0
	s_lshl_b64 s[10:11], s[6:7], 3
	s_delay_alu instid0(SALU_CYCLE_1)
	s_add_u32 s1, s4, s10
	s_addc_u32 s10, s5, s11
	s_add_i32 s11, s0, -1
	v_readfirstlane_b32 s23, v1
	s_lshl_b32 s4, s11, 12
	v_lshlrev_b32_e32 v1, 12, v1
	s_lshl_b32 s5, s0, 12
	s_add_i32 s0, s6, s4
	s_add_u32 s4, s6, s5
	s_addc_u32 s5, s7, 0
	v_lshlrev_b64 v[1:2], 3, v[1:2]
	v_cmp_ge_u64_e64 s4, s[4:5], s[12:13]
	s_cmp_eq_u32 s23, s11
	s_cselect_b32 s13, -1, 0
	s_delay_alu instid0(VALU_DEP_2) | instskip(NEXT) | instid1(VALU_DEP_2)
	v_add_co_u32 v17, vcc_lo, s1, v1
	s_and_b32 s24, s4, s13
	v_add_co_ci_u32_e32 v18, vcc_lo, s10, v2, vcc_lo
	s_xor_b32 s22, s24, -1
	s_mov_b32 s1, -1
	s_and_b32 vcc_lo, exec_lo, s22
	s_waitcnt vmcnt(0)
	v_readfirstlane_b32 s10, v3
	v_readfirstlane_b32 s11, v4
	s_cbranch_vccz .LBB1065_6
; %bb.5:
	v_add_co_u32 v9, vcc_lo, v17, v39
	v_add_co_ci_u32_e32 v10, vcc_lo, 0, v18, vcc_lo
	v_readfirstlane_b32 s4, v17
	s_delay_alu instid0(VALU_DEP_3) | instskip(NEXT) | instid1(VALU_DEP_3)
	v_add_co_u32 v3, vcc_lo, v9, 0x2000
	v_add_co_ci_u32_e32 v4, vcc_lo, 0, v10, vcc_lo
	v_add_co_u32 v5, vcc_lo, v9, 0x4000
	v_add_co_ci_u32_e32 v6, vcc_lo, 0, v10, vcc_lo
	v_add_co_u32 v7, vcc_lo, v9, 0x6000
	v_readfirstlane_b32 s5, v18
	v_add_co_ci_u32_e32 v8, vcc_lo, 0, v10, vcc_lo
	v_add_co_u32 v9, vcc_lo, 0x7000, v9
	v_add_co_ci_u32_e32 v10, vcc_lo, 0, v10, vcc_lo
	s_clause 0x7
	global_load_b64 v[1:2], v39, s[4:5]
	global_load_b64 v[11:12], v[3:4], off offset:-4096
	global_load_b64 v[3:4], v[3:4], off
	global_load_b64 v[13:14], v[5:6], off offset:-4096
	global_load_b64 v[5:6], v[5:6], off
	;; [unrolled: 2-line block ×3, first 2 shown]
	global_load_b64 v[9:10], v[9:10], off
	v_lshrrev_b32_e32 v28, 2, v26
	v_lshrrev_b32_e32 v29, 2, v25
	;; [unrolled: 1-line block ×4, first 2 shown]
	v_and_b32_e32 v27, 0x78, v19
	v_lshrrev_b32_e32 v32, 2, v22
	v_lshrrev_b32_e32 v33, 2, v21
	;; [unrolled: 1-line block ×3, first 2 shown]
	v_and_b32_e32 v28, 0xf8, v28
	v_and_b32_e32 v29, 0x178, v29
	;; [unrolled: 1-line block ×4, first 2 shown]
	v_add_nc_u32_e32 v27, v27, v39
	v_and_b32_e32 v32, 0x2f8, v32
	v_and_b32_e32 v33, 0x378, v33
	;; [unrolled: 1-line block ×3, first 2 shown]
	v_add_nc_u32_e32 v28, v28, v39
	v_add_nc_u32_e32 v29, v29, v39
	;; [unrolled: 1-line block ×4, first 2 shown]
	s_mov_b32 s1, 0
	v_add_nc_u32_e32 v32, v32, v39
	v_add_nc_u32_e32 v33, v33, v39
	;; [unrolled: 1-line block ×3, first 2 shown]
	s_waitcnt vmcnt(7)
	ds_store_b64 v27, v[1:2]
	s_waitcnt vmcnt(6)
	ds_store_b64 v28, v[11:12] offset:4096
	s_waitcnt vmcnt(5)
	ds_store_b64 v29, v[3:4] offset:8192
	;; [unrolled: 2-line block ×7, first 2 shown]
	s_waitcnt lgkmcnt(0)
	s_barrier
.LBB1065_6:
	s_and_not1_b32 vcc_lo, exec_lo, s1
	s_sub_i32 s12, s12, s0
	s_cbranch_vccnz .LBB1065_17
; %bb.7:
	s_mov_b32 s0, exec_lo
                                        ; implicit-def: $vgpr1_vgpr2_vgpr3_vgpr4_vgpr5_vgpr6_vgpr7_vgpr8_vgpr9_vgpr10_vgpr11_vgpr12_vgpr13_vgpr14_vgpr15_vgpr16
	v_cmpx_gt_u32_e64 s12, v0
	s_cbranch_execnz .LBB1065_27
; %bb.8:
	s_or_b32 exec_lo, exec_lo, s0
	s_delay_alu instid0(SALU_CYCLE_1)
	s_mov_b32 s0, exec_lo
	v_cmpx_gt_u32_e64 s12, v26
	s_cbranch_execnz .LBB1065_28
.LBB1065_9:
	s_or_b32 exec_lo, exec_lo, s0
	s_delay_alu instid0(SALU_CYCLE_1)
	s_mov_b32 s0, exec_lo
	v_cmpx_gt_u32_e64 s12, v25
	s_cbranch_execnz .LBB1065_29
.LBB1065_10:
	s_or_b32 exec_lo, exec_lo, s0
	s_delay_alu instid0(SALU_CYCLE_1)
	s_mov_b32 s0, exec_lo
	v_cmpx_gt_u32_e64 s12, v24
	s_cbranch_execnz .LBB1065_30
.LBB1065_11:
	s_or_b32 exec_lo, exec_lo, s0
	s_delay_alu instid0(SALU_CYCLE_1)
	s_mov_b32 s0, exec_lo
	v_cmpx_gt_u32_e64 s12, v23
	s_cbranch_execnz .LBB1065_31
.LBB1065_12:
	s_or_b32 exec_lo, exec_lo, s0
	s_delay_alu instid0(SALU_CYCLE_1)
	s_mov_b32 s0, exec_lo
	v_cmpx_gt_u32_e64 s12, v22
	s_cbranch_execnz .LBB1065_32
.LBB1065_13:
	s_or_b32 exec_lo, exec_lo, s0
	s_delay_alu instid0(SALU_CYCLE_1)
	s_mov_b32 s0, exec_lo
	v_cmpx_gt_u32_e64 s12, v21
	s_cbranch_execnz .LBB1065_33
.LBB1065_14:
	s_or_b32 exec_lo, exec_lo, s0
	s_delay_alu instid0(SALU_CYCLE_1)
	s_mov_b32 s0, exec_lo
	v_cmpx_gt_u32_e64 s12, v20
	s_cbranch_execz .LBB1065_16
.LBB1065_15:
	v_lshlrev_b32_e32 v15, 3, v20
	v_readfirstlane_b32 s4, v17
	v_readfirstlane_b32 s5, v18
	global_load_b64 v[15:16], v15, s[4:5]
.LBB1065_16:
	s_or_b32 exec_lo, exec_lo, s0
	v_lshrrev_b32_e32 v26, 2, v26
	v_lshrrev_b32_e32 v25, 2, v25
	;; [unrolled: 1-line block ×4, first 2 shown]
	v_and_b32_e32 v27, 0x78, v19
	v_lshrrev_b32_e32 v22, 2, v22
	v_lshrrev_b32_e32 v21, 2, v21
	;; [unrolled: 1-line block ×3, first 2 shown]
	v_and_b32_e32 v26, 0xf8, v26
	v_and_b32_e32 v25, 0x1f8, v25
	;; [unrolled: 1-line block ×4, first 2 shown]
	v_add_nc_u32_e32 v27, v27, v39
	v_and_b32_e32 v22, 0x3f8, v22
	v_and_b32_e32 v21, 0x3f8, v21
	;; [unrolled: 1-line block ×3, first 2 shown]
	v_add_nc_u32_e32 v26, v26, v39
	v_add_nc_u32_e32 v25, v25, v39
	v_add_nc_u32_e32 v24, v24, v39
	v_add_nc_u32_e32 v23, v23, v39
	v_add_nc_u32_e32 v22, v22, v39
	v_add_nc_u32_e32 v21, v21, v39
	v_add_nc_u32_e32 v20, v20, v39
	s_waitcnt vmcnt(0)
	ds_store_b64 v27, v[1:2]
	ds_store_b64 v26, v[3:4] offset:4096
	ds_store_b64 v25, v[5:6] offset:8192
	;; [unrolled: 1-line block ×7, first 2 shown]
	s_waitcnt lgkmcnt(0)
	s_barrier
.LBB1065_17:
	v_add_lshl_u32 v1, v19, v39, 3
	buffer_gl0_inv
	s_cmp_lg_u32 s23, 0
	ds_load_2addr_b64 v[13:16], v1 offset1:1
	ds_load_2addr_b64 v[9:12], v1 offset0:2 offset1:3
	ds_load_2addr_b64 v[5:8], v1 offset0:4 offset1:5
	;; [unrolled: 1-line block ×3, first 2 shown]
	s_cselect_b32 s25, -1, 0
	s_cmp_lg_u64 s[6:7], 0
	v_cmp_lt_i64_e64 s7, s[14:15], 1
	s_cselect_b32 s0, -1, 0
	s_mov_b32 s6, 0
	s_or_b32 s1, s0, s25
	v_cmp_gt_i64_e64 s0, s[14:15], 0
	s_and_b32 vcc_lo, exec_lo, s1
	s_waitcnt lgkmcnt(0)
	s_barrier
	buffer_gl0_inv
	s_cbranch_vccz .LBB1065_26
; %bb.18:
	global_load_b64 v[19:20], v[17:18], off offset:-8
	s_and_b32 vcc_lo, exec_lo, s22
	ds_store_b64 v39, v[3:4]
	s_cbranch_vccz .LBB1065_34
; %bb.19:
	v_cndmask_b32_e64 v28, 0, 1, s0
	s_and_not1_b32 vcc_lo, exec_lo, s0
	s_cbranch_vccnz .LBB1065_35
; %bb.20:
	v_mad_u64_u32 v[17:18], null, v1, s14, s[16:17]
	v_mul_lo_u32 v23, v1, s15
	v_mul_lo_u32 v24, v2, s14
	v_mad_u64_u32 v[21:22], null, v3, s14, s[16:17]
	v_mul_lo_u32 v25, v3, s15
	v_mul_lo_u32 v26, v4, s14
	s_mov_b32 s27, 0
	s_mov_b32 s6, -1
	s_delay_alu instid0(VALU_DEP_4) | instskip(NEXT) | instid1(VALU_DEP_2)
	v_add3_u32 v18, v24, v18, v23
	v_add3_u32 v22, v26, v22, v25
	s_clause 0x1
	global_load_u8 v23, v[17:18], off
	global_load_u8 v24, v[21:22], off
	s_waitcnt vmcnt(1)
	v_cmp_ne_u16_e32 vcc_lo, 0, v23
	s_waitcnt vmcnt(0)
	v_cmp_ne_u16_e64 s0, 0, v24
	s_delay_alu instid0(VALU_DEP_1) | instskip(NEXT) | instid1(SALU_CYCLE_1)
	s_xor_b32 s0, vcc_lo, s0
	s_xor_b32 s0, s0, -1
	s_delay_alu instid0(SALU_CYCLE_1)
	s_and_saveexec_b32 s26, s0
	s_cbranch_execz .LBB1065_37
; %bb.21:
	s_mov_b64 s[4:5], 1
                                        ; implicit-def: $sgpr6
	s_set_inst_prefetch_distance 0x1
	s_branch .LBB1065_24
	.p2align	6
.LBB1065_22:                            ;   in Loop: Header=BB1065_24 Depth=1
	v_add_co_u32 v23, s0, v17, s4
	s_delay_alu instid0(VALU_DEP_1) | instskip(SKIP_1) | instid1(VALU_DEP_1)
	v_add_co_ci_u32_e64 v24, s0, s5, v18, s0
	v_add_co_u32 v25, s0, v21, s4
	v_add_co_ci_u32_e64 v26, s0, s5, v22, s0
	s_clause 0x1
	global_load_u8 v23, v[23:24], off
	global_load_u8 v24, v[25:26], off
	s_waitcnt vmcnt(1)
	v_cmp_ne_u16_e64 s0, 0, v23
	s_waitcnt vmcnt(0)
	v_cmp_ne_u16_e64 s1, 0, v24
	s_delay_alu instid0(VALU_DEP_1) | instskip(SKIP_4) | instid1(SALU_CYCLE_1)
	s_xor_b32 s28, s0, s1
	s_add_u32 s0, s4, 1
	s_addc_u32 s1, s5, 0
	s_and_not1_b32 s6, s6, exec_lo
	s_and_b32 s28, s28, exec_lo
	s_or_b32 s6, s6, s28
.LBB1065_23:                            ;   in Loop: Header=BB1065_24 Depth=1
	v_dual_mov_b32 v24, s5 :: v_dual_mov_b32 v23, s4
	s_and_b32 s28, exec_lo, s6
	s_mov_b64 s[4:5], s[0:1]
	s_or_b32 s27, s28, s27
	s_delay_alu instid0(SALU_CYCLE_1)
	s_and_not1_b32 exec_lo, exec_lo, s27
	s_cbranch_execz .LBB1065_36
.LBB1065_24:                            ; =>This Inner Loop Header: Depth=1
	s_or_b32 s6, s6, exec_lo
	s_cmp_eq_u64 s[14:15], s[4:5]
	s_cbranch_scc0 .LBB1065_22
; %bb.25:                               ;   in Loop: Header=BB1065_24 Depth=1
	s_mov_b64 s[4:5], s[14:15]
                                        ; implicit-def: $sgpr0_sgpr1
	s_branch .LBB1065_23
.LBB1065_26:
                                        ; implicit-def: $sgpr0
                                        ; implicit-def: $vgpr18
	s_branch .LBB1065_178
.LBB1065_27:
	v_readfirstlane_b32 s4, v17
	v_readfirstlane_b32 s5, v18
	global_load_b64 v[1:2], v39, s[4:5]
	s_or_b32 exec_lo, exec_lo, s0
	s_delay_alu instid0(SALU_CYCLE_1)
	s_mov_b32 s0, exec_lo
	v_cmpx_gt_u32_e64 s12, v26
	s_cbranch_execz .LBB1065_9
.LBB1065_28:
	v_lshlrev_b32_e32 v3, 3, v26
	v_readfirstlane_b32 s4, v17
	v_readfirstlane_b32 s5, v18
	global_load_b64 v[3:4], v3, s[4:5]
	s_or_b32 exec_lo, exec_lo, s0
	s_delay_alu instid0(SALU_CYCLE_1)
	s_mov_b32 s0, exec_lo
	v_cmpx_gt_u32_e64 s12, v25
	s_cbranch_execz .LBB1065_10
.LBB1065_29:
	v_lshlrev_b32_e32 v5, 3, v25
	v_readfirstlane_b32 s4, v17
	v_readfirstlane_b32 s5, v18
	global_load_b64 v[5:6], v5, s[4:5]
	s_or_b32 exec_lo, exec_lo, s0
	s_delay_alu instid0(SALU_CYCLE_1)
	s_mov_b32 s0, exec_lo
	v_cmpx_gt_u32_e64 s12, v24
	s_cbranch_execz .LBB1065_11
.LBB1065_30:
	v_lshlrev_b32_e32 v7, 3, v24
	v_readfirstlane_b32 s4, v17
	v_readfirstlane_b32 s5, v18
	global_load_b64 v[7:8], v7, s[4:5]
	s_or_b32 exec_lo, exec_lo, s0
	s_delay_alu instid0(SALU_CYCLE_1)
	s_mov_b32 s0, exec_lo
	v_cmpx_gt_u32_e64 s12, v23
	s_cbranch_execz .LBB1065_12
.LBB1065_31:
	v_lshlrev_b32_e32 v9, 3, v23
	v_readfirstlane_b32 s4, v17
	v_readfirstlane_b32 s5, v18
	global_load_b64 v[9:10], v9, s[4:5]
	s_or_b32 exec_lo, exec_lo, s0
	s_delay_alu instid0(SALU_CYCLE_1)
	s_mov_b32 s0, exec_lo
	v_cmpx_gt_u32_e64 s12, v22
	s_cbranch_execz .LBB1065_13
.LBB1065_32:
	v_lshlrev_b32_e32 v11, 3, v22
	v_readfirstlane_b32 s4, v17
	v_readfirstlane_b32 s5, v18
	global_load_b64 v[11:12], v11, s[4:5]
	s_or_b32 exec_lo, exec_lo, s0
	s_delay_alu instid0(SALU_CYCLE_1)
	s_mov_b32 s0, exec_lo
	v_cmpx_gt_u32_e64 s12, v21
	s_cbranch_execz .LBB1065_14
.LBB1065_33:
	v_lshlrev_b32_e32 v13, 3, v21
	v_readfirstlane_b32 s4, v17
	v_readfirstlane_b32 s5, v18
	global_load_b64 v[13:14], v13, s[4:5]
	s_or_b32 exec_lo, exec_lo, s0
	s_delay_alu instid0(SALU_CYCLE_1)
	s_mov_b32 s0, exec_lo
	v_cmpx_gt_u32_e64 s12, v20
	s_cbranch_execnz .LBB1065_15
	s_branch .LBB1065_16
.LBB1065_34:
                                        ; implicit-def: $sgpr0
                                        ; implicit-def: $vgpr18
	s_cbranch_execnz .LBB1065_102
	s_branch .LBB1065_177
.LBB1065_35:
	v_mov_b32_e32 v17, 0
	s_mov_b32 s0, 0
	s_branch .LBB1065_45
.LBB1065_36:
	s_set_inst_prefetch_distance 0x2
	s_or_b32 exec_lo, exec_lo, s27
	v_cmp_gt_i64_e64 s0, s[14:15], v[23:24]
	s_delay_alu instid0(VALU_DEP_1)
	s_or_not1_b32 s6, s0, exec_lo
.LBB1065_37:
	s_or_b32 exec_lo, exec_lo, s26
	v_mad_u64_u32 v[21:22], null, v7, s14, s[16:17]
	v_mul_lo_u32 v23, v7, s15
	v_mul_lo_u32 v24, v8, s14
	s_mov_b32 s27, 0
	s_delay_alu instid0(VALU_DEP_1) | instskip(SKIP_3) | instid1(VALU_DEP_1)
	v_add3_u32 v22, v24, v22, v23
	global_load_u8 v23, v[21:22], off
	s_waitcnt vmcnt(0)
	v_cmp_ne_u16_e64 s0, 0, v23
	s_xor_b32 s1, vcc_lo, s0
	s_mov_b32 s0, -1
	s_xor_b32 s1, s1, -1
	s_delay_alu instid0(SALU_CYCLE_1)
	s_and_saveexec_b32 s26, s1
	s_cbranch_execz .LBB1065_44
; %bb.38:
	s_mov_b64 s[4:5], 1
                                        ; implicit-def: $sgpr28
	s_set_inst_prefetch_distance 0x1
	s_branch .LBB1065_41
	.p2align	6
.LBB1065_39:                            ;   in Loop: Header=BB1065_41 Depth=1
	v_add_co_u32 v23, vcc_lo, v21, s4
	v_add_co_ci_u32_e32 v24, vcc_lo, s5, v22, vcc_lo
	v_add_co_u32 v25, vcc_lo, v17, s4
	v_add_co_ci_u32_e32 v26, vcc_lo, s5, v18, vcc_lo
	s_clause 0x1
	global_load_u8 v23, v[23:24], off
	global_load_u8 v24, v[25:26], off
	s_waitcnt vmcnt(1)
	v_cmp_ne_u16_e32 vcc_lo, 0, v23
	s_waitcnt vmcnt(0)
	v_cmp_ne_u16_e64 s0, 0, v24
	s_delay_alu instid0(VALU_DEP_1) | instskip(SKIP_4) | instid1(SALU_CYCLE_1)
	s_xor_b32 s29, vcc_lo, s0
	s_add_u32 s0, s4, 1
	s_addc_u32 s1, s5, 0
	s_and_not1_b32 s28, s28, exec_lo
	s_and_b32 s29, s29, exec_lo
	s_or_b32 s28, s28, s29
.LBB1065_40:                            ;   in Loop: Header=BB1065_41 Depth=1
	v_dual_mov_b32 v24, s5 :: v_dual_mov_b32 v23, s4
	s_and_b32 s29, exec_lo, s28
	s_mov_b64 s[4:5], s[0:1]
	s_or_b32 s27, s29, s27
	s_delay_alu instid0(SALU_CYCLE_1)
	s_and_not1_b32 exec_lo, exec_lo, s27
	s_cbranch_execz .LBB1065_43
.LBB1065_41:                            ; =>This Inner Loop Header: Depth=1
	s_or_b32 s28, s28, exec_lo
	s_cmp_eq_u64 s[14:15], s[4:5]
	s_cbranch_scc0 .LBB1065_39
; %bb.42:                               ;   in Loop: Header=BB1065_41 Depth=1
	s_mov_b64 s[4:5], s[14:15]
                                        ; implicit-def: $sgpr0_sgpr1
	s_branch .LBB1065_40
.LBB1065_43:
	s_set_inst_prefetch_distance 0x2
	s_or_b32 exec_lo, exec_lo, s27
	v_cmp_gt_i64_e32 vcc_lo, s[14:15], v[23:24]
	s_or_not1_b32 s0, vcc_lo, exec_lo
.LBB1065_44:
	s_or_b32 exec_lo, exec_lo, s26
	v_cndmask_b32_e64 v17, 0, 1, s6
.LBB1065_45:
	v_and_b32_e32 v18, 0xff, v0
	v_lshlrev_b16 v21, 8, v0
	v_and_b32_e32 v22, 0xff, v0
	v_lshlrev_b16 v23, 8, v0
	;; [unrolled: 2-line block ×3, first 2 shown]
	v_lshlrev_b16 v17, 8, v17
	v_cndmask_b32_e64 v26, 0, 1, s0
	v_or_b32_e32 v18, v18, v21
	v_or_b32_e32 v21, v22, v23
	;; [unrolled: 1-line block ×3, first 2 shown]
	v_cmp_ne_u32_e32 vcc_lo, 1, v28
	v_or_b32_e32 v17, v26, v17
	v_and_b32_e32 v18, 0xffff, v18
	v_lshlrev_b32_e32 v21, 16, v21
	v_and_b32_e32 v22, 0xffff, v22
	s_delay_alu instid0(VALU_DEP_4) | instskip(NEXT) | instid1(VALU_DEP_3)
	v_lshlrev_b32_e32 v17, 16, v17
	v_or_b32_e32 v29, v18, v21
	s_delay_alu instid0(VALU_DEP_2)
	v_or_b32_e32 v27, v22, v17
	s_cbranch_vccnz .LBB1065_52
; %bb.46:
	v_mad_u64_u32 v[17:18], null, v5, s14, s[16:17]
	v_mul_lo_u32 v23, v5, s15
	v_mul_lo_u32 v24, v6, s14
	v_mad_u64_u32 v[21:22], null, v7, s14, s[16:17]
	v_mul_lo_u32 v25, v7, s15
	v_mul_lo_u32 v26, v8, s14
	s_mov_b32 s26, 0
	s_delay_alu instid0(VALU_DEP_4) | instskip(NEXT) | instid1(VALU_DEP_2)
	v_add3_u32 v18, v24, v18, v23
	v_add3_u32 v22, v26, v22, v25
	s_clause 0x1
	global_load_u8 v23, v[17:18], off
	global_load_u8 v24, v[21:22], off
	s_waitcnt vmcnt(1)
	v_cmp_ne_u16_e32 vcc_lo, 0, v23
	s_waitcnt vmcnt(0)
	v_cmp_ne_u16_e64 s0, 0, v24
	s_delay_alu instid0(VALU_DEP_1) | instskip(SKIP_2) | instid1(SALU_CYCLE_1)
	s_xor_b32 s1, vcc_lo, s0
	s_mov_b32 s0, -1
	s_xor_b32 s1, s1, -1
	s_and_saveexec_b32 s6, s1
	s_cbranch_execz .LBB1065_54
; %bb.47:
	s_mov_b64 s[4:5], 1
                                        ; implicit-def: $sgpr27
	s_set_inst_prefetch_distance 0x1
	s_branch .LBB1065_50
	.p2align	6
.LBB1065_48:                            ;   in Loop: Header=BB1065_50 Depth=1
	v_add_co_u32 v23, s0, v17, s4
	s_delay_alu instid0(VALU_DEP_1) | instskip(SKIP_1) | instid1(VALU_DEP_1)
	v_add_co_ci_u32_e64 v24, s0, s5, v18, s0
	v_add_co_u32 v25, s0, v21, s4
	v_add_co_ci_u32_e64 v26, s0, s5, v22, s0
	s_clause 0x1
	global_load_u8 v23, v[23:24], off
	global_load_u8 v24, v[25:26], off
	s_waitcnt vmcnt(1)
	v_cmp_ne_u16_e64 s0, 0, v23
	s_waitcnt vmcnt(0)
	v_cmp_ne_u16_e64 s1, 0, v24
	s_delay_alu instid0(VALU_DEP_1) | instskip(SKIP_4) | instid1(SALU_CYCLE_1)
	s_xor_b32 s28, s0, s1
	s_add_u32 s0, s4, 1
	s_addc_u32 s1, s5, 0
	s_and_not1_b32 s27, s27, exec_lo
	s_and_b32 s28, s28, exec_lo
	s_or_b32 s27, s27, s28
.LBB1065_49:                            ;   in Loop: Header=BB1065_50 Depth=1
	v_dual_mov_b32 v24, s5 :: v_dual_mov_b32 v23, s4
	s_and_b32 s28, exec_lo, s27
	s_mov_b64 s[4:5], s[0:1]
	s_or_b32 s26, s28, s26
	s_delay_alu instid0(SALU_CYCLE_1)
	s_and_not1_b32 exec_lo, exec_lo, s26
	s_cbranch_execz .LBB1065_53
.LBB1065_50:                            ; =>This Inner Loop Header: Depth=1
	s_or_b32 s27, s27, exec_lo
	s_cmp_eq_u64 s[14:15], s[4:5]
	s_cbranch_scc0 .LBB1065_48
; %bb.51:                               ;   in Loop: Header=BB1065_50 Depth=1
	s_mov_b64 s[4:5], s[14:15]
                                        ; implicit-def: $sgpr0_sgpr1
	s_branch .LBB1065_49
.LBB1065_52:
                                        ; implicit-def: $sgpr0
                                        ; implicit-def: $vgpr21_vgpr22
	s_cbranch_execnz .LBB1065_62
	s_branch .LBB1065_63
.LBB1065_53:
	s_set_inst_prefetch_distance 0x2
	s_or_b32 exec_lo, exec_lo, s26
	v_cmp_gt_i64_e64 s0, s[14:15], v[23:24]
	s_delay_alu instid0(VALU_DEP_1)
	s_or_not1_b32 s0, s0, exec_lo
.LBB1065_54:
	s_or_b32 exec_lo, exec_lo, s6
	v_mad_u64_u32 v[23:24], null, v11, s14, s[16:17]
	v_mul_lo_u32 v21, v11, s15
	v_mul_lo_u32 v22, v12, s14
	v_and_b32_e32 v25, 0xff, v27
	s_mov_b32 s6, 0
	s_delay_alu instid0(VALU_DEP_2) | instskip(SKIP_3) | instid1(VALU_DEP_1)
	v_add3_u32 v24, v22, v24, v21
	v_cndmask_b32_e64 v22, 0, 1, s0
	global_load_u8 v21, v[23:24], off
	v_lshlrev_b16 v22, 8, v22
	v_or_b32_e32 v22, v25, v22
	s_delay_alu instid0(VALU_DEP_1) | instskip(NEXT) | instid1(VALU_DEP_1)
	v_and_b32_e32 v22, 0xffff, v22
	v_and_or_b32 v22, 0xffff0000, v27, v22
	s_waitcnt vmcnt(0)
	v_cmp_ne_u16_e64 s0, 0, v21
	s_delay_alu instid0(VALU_DEP_1) | instskip(SKIP_2) | instid1(SALU_CYCLE_1)
	s_xor_b32 s1, vcc_lo, s0
	s_mov_b32 s0, -1
	s_xor_b32 s1, s1, -1
	s_and_saveexec_b32 s26, s1
	s_cbranch_execz .LBB1065_61
; %bb.55:
	s_mov_b64 s[4:5], 1
	s_mov_b32 s27, 0
                                        ; implicit-def: $sgpr28
	s_set_inst_prefetch_distance 0x1
	s_branch .LBB1065_58
	.p2align	6
.LBB1065_56:                            ;   in Loop: Header=BB1065_58 Depth=1
	v_add_co_u32 v25, vcc_lo, v23, s4
	v_add_co_ci_u32_e32 v26, vcc_lo, s5, v24, vcc_lo
	v_add_co_u32 v30, vcc_lo, v17, s4
	v_add_co_ci_u32_e32 v31, vcc_lo, s5, v18, vcc_lo
	s_clause 0x1
	global_load_u8 v21, v[25:26], off
	global_load_u8 v25, v[30:31], off
	s_waitcnt vmcnt(1)
	v_cmp_ne_u16_e32 vcc_lo, 0, v21
	s_waitcnt vmcnt(0)
	v_cmp_ne_u16_e64 s0, 0, v25
	s_delay_alu instid0(VALU_DEP_1) | instskip(SKIP_4) | instid1(SALU_CYCLE_1)
	s_xor_b32 s29, vcc_lo, s0
	s_add_u32 s0, s4, 1
	s_addc_u32 s1, s5, 0
	s_and_not1_b32 s28, s28, exec_lo
	s_and_b32 s29, s29, exec_lo
	s_or_b32 s28, s28, s29
.LBB1065_57:                            ;   in Loop: Header=BB1065_58 Depth=1
	v_dual_mov_b32 v26, s5 :: v_dual_mov_b32 v25, s4
	s_and_b32 s29, exec_lo, s28
	s_mov_b64 s[4:5], s[0:1]
	s_or_b32 s27, s29, s27
	s_delay_alu instid0(SALU_CYCLE_1)
	s_and_not1_b32 exec_lo, exec_lo, s27
	s_cbranch_execz .LBB1065_60
.LBB1065_58:                            ; =>This Inner Loop Header: Depth=1
	s_or_b32 s28, s28, exec_lo
	s_cmp_eq_u64 s[14:15], s[4:5]
	s_cbranch_scc0 .LBB1065_56
; %bb.59:                               ;   in Loop: Header=BB1065_58 Depth=1
	s_mov_b64 s[4:5], s[14:15]
                                        ; implicit-def: $sgpr0_sgpr1
	s_branch .LBB1065_57
.LBB1065_60:
	s_set_inst_prefetch_distance 0x2
	s_or_b32 exec_lo, exec_lo, s27
	v_cmp_gt_i64_e32 vcc_lo, s[14:15], v[25:26]
	s_or_not1_b32 s0, vcc_lo, exec_lo
.LBB1065_61:
	s_or_b32 exec_lo, exec_lo, s26
	s_delay_alu instid0(SALU_CYCLE_1)
	s_and_b32 vcc_lo, exec_lo, s6
	s_cbranch_vccz .LBB1065_63
.LBB1065_62:
	s_delay_alu instid0(VALU_DEP_1)
	v_and_b32_e32 v22, 0xffff00ff, v27
	s_and_not1_b32 s0, s0, exec_lo
.LBB1065_63:
	s_delay_alu instid0(VALU_DEP_1) | instskip(SKIP_2) | instid1(VALU_DEP_2)
	v_and_b32_e32 v17, 0xffffff00, v22
	v_cndmask_b32_e64 v18, 0, 1, s0
	v_cmp_ne_u32_e32 vcc_lo, 1, v28
	v_or_b32_e32 v17, v18, v17
	s_delay_alu instid0(VALU_DEP_1) | instskip(NEXT) | instid1(VALU_DEP_1)
	v_and_b32_e32 v17, 0xffff, v17
	v_and_or_b32 v18, 0xffff0000, v22, v17
	s_cbranch_vccnz .LBB1065_70
; %bb.64:
	v_mad_u64_u32 v[22:23], null, v9, s14, s[16:17]
	v_mul_lo_u32 v17, v9, s15
	v_mul_lo_u32 v21, v10, s14
	v_mad_u64_u32 v[24:25], null, v11, s14, s[16:17]
	v_mul_lo_u32 v26, v11, s15
	v_mul_lo_u32 v27, v12, s14
	s_delay_alu instid0(VALU_DEP_4) | instskip(NEXT) | instid1(VALU_DEP_2)
	v_add3_u32 v23, v21, v23, v17
	v_add3_u32 v25, v27, v25, v26
	s_clause 0x1
	global_load_u8 v17, v[22:23], off
	global_load_u8 v21, v[24:25], off
	s_waitcnt vmcnt(1)
	v_cmp_ne_u16_e32 vcc_lo, 0, v17
	s_waitcnt vmcnt(0)
	v_cmp_ne_u16_e64 s0, 0, v21
	s_delay_alu instid0(VALU_DEP_1) | instskip(SKIP_2) | instid1(SALU_CYCLE_1)
	s_xor_b32 s1, vcc_lo, s0
	s_mov_b32 s0, -1
	s_xor_b32 s1, s1, -1
	s_and_saveexec_b32 s6, s1
	s_cbranch_execz .LBB1065_72
; %bb.65:
	s_mov_b64 s[4:5], 1
	s_mov_b32 s26, 0
                                        ; implicit-def: $sgpr27
	s_set_inst_prefetch_distance 0x1
	s_branch .LBB1065_68
	.p2align	6
.LBB1065_66:                            ;   in Loop: Header=BB1065_68 Depth=1
	v_add_co_u32 v26, s0, v22, s4
	s_delay_alu instid0(VALU_DEP_1) | instskip(SKIP_1) | instid1(VALU_DEP_1)
	v_add_co_ci_u32_e64 v27, s0, s5, v23, s0
	v_add_co_u32 v30, s0, v24, s4
	v_add_co_ci_u32_e64 v31, s0, s5, v25, s0
	s_clause 0x1
	global_load_u8 v17, v[26:27], off
	global_load_u8 v21, v[30:31], off
	s_waitcnt vmcnt(1)
	v_cmp_ne_u16_e64 s0, 0, v17
	s_waitcnt vmcnt(0)
	v_cmp_ne_u16_e64 s1, 0, v21
	s_delay_alu instid0(VALU_DEP_1) | instskip(SKIP_4) | instid1(SALU_CYCLE_1)
	s_xor_b32 s28, s0, s1
	s_add_u32 s0, s4, 1
	s_addc_u32 s1, s5, 0
	s_and_not1_b32 s27, s27, exec_lo
	s_and_b32 s28, s28, exec_lo
	s_or_b32 s27, s27, s28
.LBB1065_67:                            ;   in Loop: Header=BB1065_68 Depth=1
	v_dual_mov_b32 v27, s5 :: v_dual_mov_b32 v26, s4
	s_and_b32 s28, exec_lo, s27
	s_mov_b64 s[4:5], s[0:1]
	s_or_b32 s26, s28, s26
	s_delay_alu instid0(SALU_CYCLE_1)
	s_and_not1_b32 exec_lo, exec_lo, s26
	s_cbranch_execz .LBB1065_71
.LBB1065_68:                            ; =>This Inner Loop Header: Depth=1
	s_or_b32 s27, s27, exec_lo
	s_cmp_eq_u64 s[14:15], s[4:5]
	s_cbranch_scc0 .LBB1065_66
; %bb.69:                               ;   in Loop: Header=BB1065_68 Depth=1
	s_mov_b64 s[4:5], s[14:15]
                                        ; implicit-def: $sgpr0_sgpr1
	s_branch .LBB1065_67
.LBB1065_70:
                                        ; implicit-def: $sgpr6
                                        ; implicit-def: $vgpr21_vgpr22
	s_cbranch_execnz .LBB1065_80
	s_branch .LBB1065_81
.LBB1065_71:
	s_set_inst_prefetch_distance 0x2
	s_or_b32 exec_lo, exec_lo, s26
	v_cmp_gt_i64_e64 s0, s[14:15], v[26:27]
	s_delay_alu instid0(VALU_DEP_1)
	s_or_not1_b32 s0, s0, exec_lo
.LBB1065_72:
	s_or_b32 exec_lo, exec_lo, s6
	v_mad_u64_u32 v[24:25], null, v15, s14, s[16:17]
	v_mul_lo_u32 v17, v15, s15
	v_mul_lo_u32 v21, v16, s14
	v_cndmask_b32_e64 v26, 0, 1, s0
	s_mov_b32 s26, 0
	s_mov_b32 s6, -1
	s_delay_alu instid0(VALU_DEP_1) | instskip(NEXT) | instid1(VALU_DEP_3)
	v_lshlrev_b16 v26, 8, v26
	v_add3_u32 v25, v21, v25, v17
	v_lshrrev_b32_e32 v21, 16, v29
	global_load_u8 v17, v[24:25], off
	v_and_b32_e32 v21, 0xff, v21
	s_delay_alu instid0(VALU_DEP_1) | instskip(NEXT) | instid1(VALU_DEP_1)
	v_or_b32_e32 v21, v21, v26
	v_lshlrev_b32_e32 v21, 16, v21
	s_delay_alu instid0(VALU_DEP_1) | instskip(SKIP_2) | instid1(VALU_DEP_1)
	v_and_or_b32 v21, 0xffff, v29, v21
	s_waitcnt vmcnt(0)
	v_cmp_ne_u16_e64 s0, 0, v17
	s_xor_b32 s0, vcc_lo, s0
	s_delay_alu instid0(SALU_CYCLE_1) | instskip(NEXT) | instid1(SALU_CYCLE_1)
	s_xor_b32 s0, s0, -1
	s_and_saveexec_b32 s27, s0
	s_cbranch_execz .LBB1065_79
; %bb.73:
	s_mov_b64 s[4:5], 1
	s_mov_b32 s6, 0
                                        ; implicit-def: $sgpr28
	s_set_inst_prefetch_distance 0x1
	s_branch .LBB1065_76
	.p2align	6
.LBB1065_74:                            ;   in Loop: Header=BB1065_76 Depth=1
	v_add_co_u32 v26, vcc_lo, v24, s4
	v_add_co_ci_u32_e32 v27, vcc_lo, s5, v25, vcc_lo
	v_add_co_u32 v30, vcc_lo, v22, s4
	v_add_co_ci_u32_e32 v31, vcc_lo, s5, v23, vcc_lo
	s_clause 0x1
	global_load_u8 v17, v[26:27], off
	global_load_u8 v26, v[30:31], off
	s_waitcnt vmcnt(1)
	v_cmp_ne_u16_e32 vcc_lo, 0, v17
	s_waitcnt vmcnt(0)
	v_cmp_ne_u16_e64 s0, 0, v26
	s_delay_alu instid0(VALU_DEP_1) | instskip(SKIP_4) | instid1(SALU_CYCLE_1)
	s_xor_b32 s29, vcc_lo, s0
	s_add_u32 s0, s4, 1
	s_addc_u32 s1, s5, 0
	s_and_not1_b32 s28, s28, exec_lo
	s_and_b32 s29, s29, exec_lo
	s_or_b32 s28, s28, s29
.LBB1065_75:                            ;   in Loop: Header=BB1065_76 Depth=1
	v_dual_mov_b32 v27, s5 :: v_dual_mov_b32 v26, s4
	s_and_b32 s29, exec_lo, s28
	s_mov_b64 s[4:5], s[0:1]
	s_or_b32 s6, s29, s6
	s_delay_alu instid0(SALU_CYCLE_1)
	s_and_not1_b32 exec_lo, exec_lo, s6
	s_cbranch_execz .LBB1065_78
.LBB1065_76:                            ; =>This Inner Loop Header: Depth=1
	s_or_b32 s28, s28, exec_lo
	s_cmp_eq_u64 s[14:15], s[4:5]
	s_cbranch_scc0 .LBB1065_74
; %bb.77:                               ;   in Loop: Header=BB1065_76 Depth=1
	s_mov_b64 s[4:5], s[14:15]
                                        ; implicit-def: $sgpr0_sgpr1
	s_branch .LBB1065_75
.LBB1065_78:
	s_set_inst_prefetch_distance 0x2
	s_or_b32 exec_lo, exec_lo, s6
	v_cmp_gt_i64_e32 vcc_lo, s[14:15], v[26:27]
	s_or_not1_b32 s6, vcc_lo, exec_lo
.LBB1065_79:
	s_or_b32 exec_lo, exec_lo, s27
	s_delay_alu instid0(SALU_CYCLE_1)
	s_and_b32 vcc_lo, exec_lo, s26
	s_cbranch_vccz .LBB1065_81
.LBB1065_80:
	v_and_b32_e32 v21, 0xffffff, v29
	s_and_not1_b32 s6, s6, exec_lo
.LBB1065_81:
	v_cmp_ne_u32_e32 vcc_lo, 1, v28
	s_mov_b32 s0, 0
	s_cbranch_vccnz .LBB1065_90
; %bb.82:
	v_mad_u64_u32 v[22:23], null, v13, s14, s[16:17]
	v_mul_lo_u32 v17, v13, s15
	v_mul_lo_u32 v26, v14, s14
	v_mad_u64_u32 v[24:25], null, v15, s14, s[16:17]
	v_mul_lo_u32 v27, v15, s15
	v_mul_lo_u32 v29, v16, s14
	s_mov_b32 s27, 0
	s_delay_alu instid0(VALU_DEP_4) | instskip(NEXT) | instid1(VALU_DEP_2)
	v_add3_u32 v23, v26, v23, v17
	v_add3_u32 v25, v29, v25, v27
	s_clause 0x1
	global_load_u8 v17, v[22:23], off
	global_load_u8 v26, v[24:25], off
	s_waitcnt vmcnt(1)
	v_cmp_ne_u16_e32 vcc_lo, 0, v17
	s_waitcnt vmcnt(0)
	v_cmp_ne_u16_e64 s0, 0, v26
	s_delay_alu instid0(VALU_DEP_1) | instskip(SKIP_2) | instid1(SALU_CYCLE_1)
	s_xor_b32 s1, vcc_lo, s0
	s_mov_b32 s0, -1
	s_xor_b32 s1, s1, -1
	s_and_saveexec_b32 s26, s1
	s_cbranch_execz .LBB1065_89
; %bb.83:
	s_mov_b64 s[4:5], 1
                                        ; implicit-def: $sgpr28
	s_set_inst_prefetch_distance 0x1
	s_branch .LBB1065_86
	.p2align	6
.LBB1065_84:                            ;   in Loop: Header=BB1065_86 Depth=1
	v_add_co_u32 v26, vcc_lo, v22, s4
	v_add_co_ci_u32_e32 v27, vcc_lo, s5, v23, vcc_lo
	v_add_co_u32 v29, vcc_lo, v24, s4
	v_add_co_ci_u32_e32 v30, vcc_lo, s5, v25, vcc_lo
	s_clause 0x1
	global_load_u8 v17, v[26:27], off
	global_load_u8 v26, v[29:30], off
	s_waitcnt vmcnt(1)
	v_cmp_ne_u16_e32 vcc_lo, 0, v17
	s_waitcnt vmcnt(0)
	v_cmp_ne_u16_e64 s0, 0, v26
	s_delay_alu instid0(VALU_DEP_1) | instskip(SKIP_4) | instid1(SALU_CYCLE_1)
	s_xor_b32 s29, vcc_lo, s0
	s_add_u32 s0, s4, 1
	s_addc_u32 s1, s5, 0
	s_and_not1_b32 s28, s28, exec_lo
	s_and_b32 s29, s29, exec_lo
	s_or_b32 s28, s28, s29
.LBB1065_85:                            ;   in Loop: Header=BB1065_86 Depth=1
	v_dual_mov_b32 v27, s5 :: v_dual_mov_b32 v26, s4
	s_and_b32 s29, exec_lo, s28
	s_mov_b64 s[4:5], s[0:1]
	s_or_b32 s27, s29, s27
	s_delay_alu instid0(SALU_CYCLE_1)
	s_and_not1_b32 exec_lo, exec_lo, s27
	s_cbranch_execz .LBB1065_88
.LBB1065_86:                            ; =>This Inner Loop Header: Depth=1
	s_or_b32 s28, s28, exec_lo
	s_cmp_eq_u64 s[14:15], s[4:5]
	s_cbranch_scc0 .LBB1065_84
; %bb.87:                               ;   in Loop: Header=BB1065_86 Depth=1
	s_mov_b64 s[4:5], s[14:15]
                                        ; implicit-def: $sgpr0_sgpr1
	s_branch .LBB1065_85
.LBB1065_88:
	s_set_inst_prefetch_distance 0x2
	s_or_b32 exec_lo, exec_lo, s27
	v_cmp_gt_i64_e32 vcc_lo, s[14:15], v[26:27]
	s_or_not1_b32 s0, vcc_lo, exec_lo
.LBB1065_89:
	s_or_b32 exec_lo, exec_lo, s26
.LBB1065_90:
	s_waitcnt vmcnt(0)
	v_dual_mov_b32 v24, v20 :: v_dual_mov_b32 v23, v19
	s_waitcnt lgkmcnt(0)
	s_barrier
	buffer_gl0_inv
	s_and_saveexec_b32 s1, s3
	s_cbranch_execz .LBB1065_92
; %bb.91:
	v_add_nc_u32_e32 v17, -8, v39
	ds_load_b64 v[23:24], v17
.LBB1065_92:
	s_or_b32 exec_lo, exec_lo, s1
	v_cndmask_b32_e64 v17, 0, 1, s0
	v_lshrrev_b32_e32 v22, 24, v21
	v_cndmask_b32_e64 v25, 0, 1, s6
	v_and_b32_e32 v21, 0xff, v21
	v_cmp_ne_u32_e32 vcc_lo, 1, v28
	v_lshlrev_b16 v17, 8, v17
	v_lshlrev_b16 v22, 8, v22
	s_mov_b32 s6, 0
	s_mov_b32 s0, 0
	s_and_b32 vcc_lo, exec_lo, vcc_lo
	v_or_b32_e32 v17, v21, v17
	v_or_b32_e32 v21, v25, v22
	s_delay_alu instid0(VALU_DEP_2) | instskip(NEXT) | instid1(VALU_DEP_2)
	v_and_b32_e32 v17, 0xffff, v17
	v_lshlrev_b32_e32 v27, 16, v21
	s_cbranch_vccnz .LBB1065_101
; %bb.93:
	s_waitcnt lgkmcnt(0)
	v_mad_u64_u32 v[21:22], null, v23, s14, s[16:17]
	v_mul_lo_u32 v25, v23, s15
	v_mul_lo_u32 v26, v24, s14
	v_mad_u64_u32 v[23:24], null, v13, s14, s[16:17]
	v_mul_lo_u32 v28, v13, s15
	v_mul_lo_u32 v29, v14, s14
	s_mov_b32 s27, 0
	s_delay_alu instid0(VALU_DEP_4) | instskip(NEXT) | instid1(VALU_DEP_2)
	v_add3_u32 v22, v26, v22, v25
	v_add3_u32 v24, v29, v24, v28
	s_clause 0x1
	global_load_u8 v25, v[21:22], off
	global_load_u8 v26, v[23:24], off
	s_waitcnt vmcnt(1)
	v_cmp_ne_u16_e32 vcc_lo, 0, v25
	s_waitcnt vmcnt(0)
	v_cmp_ne_u16_e64 s0, 0, v26
	s_delay_alu instid0(VALU_DEP_1) | instskip(SKIP_2) | instid1(SALU_CYCLE_1)
	s_xor_b32 s1, vcc_lo, s0
	s_mov_b32 s0, -1
	s_xor_b32 s1, s1, -1
	s_and_saveexec_b32 s26, s1
	s_cbranch_execz .LBB1065_100
; %bb.94:
	s_mov_b64 s[4:5], 1
                                        ; implicit-def: $sgpr28
	s_set_inst_prefetch_distance 0x1
	s_branch .LBB1065_97
	.p2align	6
.LBB1065_95:                            ;   in Loop: Header=BB1065_97 Depth=1
	v_add_co_u32 v25, vcc_lo, v21, s4
	v_add_co_ci_u32_e32 v26, vcc_lo, s5, v22, vcc_lo
	v_add_co_u32 v28, vcc_lo, v23, s4
	v_add_co_ci_u32_e32 v29, vcc_lo, s5, v24, vcc_lo
	s_clause 0x1
	global_load_u8 v25, v[25:26], off
	global_load_u8 v26, v[28:29], off
	s_waitcnt vmcnt(1)
	v_cmp_ne_u16_e32 vcc_lo, 0, v25
	s_waitcnt vmcnt(0)
	v_cmp_ne_u16_e64 s0, 0, v26
	s_delay_alu instid0(VALU_DEP_1) | instskip(SKIP_4) | instid1(SALU_CYCLE_1)
	s_xor_b32 s29, vcc_lo, s0
	s_add_u32 s0, s4, 1
	s_addc_u32 s1, s5, 0
	s_and_not1_b32 s28, s28, exec_lo
	s_and_b32 s29, s29, exec_lo
	s_or_b32 s28, s28, s29
.LBB1065_96:                            ;   in Loop: Header=BB1065_97 Depth=1
	v_dual_mov_b32 v26, s5 :: v_dual_mov_b32 v25, s4
	s_and_b32 s29, exec_lo, s28
	s_mov_b64 s[4:5], s[0:1]
	s_or_b32 s27, s29, s27
	s_delay_alu instid0(SALU_CYCLE_1)
	s_and_not1_b32 exec_lo, exec_lo, s27
	s_cbranch_execz .LBB1065_99
.LBB1065_97:                            ; =>This Inner Loop Header: Depth=1
	s_or_b32 s28, s28, exec_lo
	s_cmp_eq_u64 s[14:15], s[4:5]
	s_cbranch_scc0 .LBB1065_95
; %bb.98:                               ;   in Loop: Header=BB1065_97 Depth=1
	s_mov_b64 s[4:5], s[14:15]
                                        ; implicit-def: $sgpr0_sgpr1
	s_branch .LBB1065_96
.LBB1065_99:
	s_set_inst_prefetch_distance 0x2
	s_or_b32 exec_lo, exec_lo, s27
	v_cmp_gt_i64_e32 vcc_lo, s[14:15], v[25:26]
	s_or_not1_b32 s0, vcc_lo, exec_lo
.LBB1065_100:
	s_or_b32 exec_lo, exec_lo, s26
.LBB1065_101:
	s_delay_alu instid0(VALU_DEP_1)
	v_or_b32_e32 v17, v17, v27
	s_and_b32 vcc_lo, exec_lo, s6
	s_cbranch_vccz .LBB1065_177
.LBB1065_102:
	v_or_b32_e32 v17, 7, v39
	s_xor_b32 s6, s7, -1
	s_mov_b32 s1, -1
	s_mov_b32 s7, 0
	s_mov_b32 s26, 0
	v_cmp_gt_u32_e32 vcc_lo, s12, v17
	s_and_b32 s0, vcc_lo, s6
	s_delay_alu instid0(SALU_CYCLE_1)
	s_and_saveexec_b32 s27, s0
	s_cbranch_execz .LBB1065_111
; %bb.103:
	v_mad_u64_u32 v[17:18], null, v1, s14, s[16:17]
	s_waitcnt lgkmcnt(0)
	v_mul_lo_u32 v23, v1, s15
	v_mul_lo_u32 v24, v2, s14
	v_mad_u64_u32 v[21:22], null, v3, s14, s[16:17]
	v_mul_lo_u32 v25, v3, s15
	v_mul_lo_u32 v26, v4, s14
	s_mov_b32 s28, 0
	s_delay_alu instid0(VALU_DEP_4) | instskip(NEXT) | instid1(VALU_DEP_2)
	v_add3_u32 v18, v24, v18, v23
	v_add3_u32 v22, v26, v22, v25
	s_clause 0x1
	global_load_u8 v23, v[17:18], off
	global_load_u8 v24, v[21:22], off
	s_waitcnt vmcnt(1)
	v_cmp_ne_u16_e32 vcc_lo, 0, v23
	s_waitcnt vmcnt(0)
	v_cmp_ne_u16_e64 s0, 0, v24
	s_delay_alu instid0(VALU_DEP_1) | instskip(NEXT) | instid1(SALU_CYCLE_1)
	s_xor_b32 s0, vcc_lo, s0
	s_xor_b32 s0, s0, -1
	s_delay_alu instid0(SALU_CYCLE_1)
	s_and_saveexec_b32 s26, s0
	s_cbranch_execz .LBB1065_110
; %bb.104:
	s_mov_b64 s[4:5], 1
                                        ; implicit-def: $sgpr29
	s_set_inst_prefetch_distance 0x1
	s_branch .LBB1065_107
	.p2align	6
.LBB1065_105:                           ;   in Loop: Header=BB1065_107 Depth=1
	v_add_co_u32 v23, vcc_lo, v17, s4
	v_add_co_ci_u32_e32 v24, vcc_lo, s5, v18, vcc_lo
	v_add_co_u32 v25, vcc_lo, v21, s4
	v_add_co_ci_u32_e32 v26, vcc_lo, s5, v22, vcc_lo
	s_clause 0x1
	global_load_u8 v23, v[23:24], off
	global_load_u8 v24, v[25:26], off
	s_waitcnt vmcnt(1)
	v_cmp_ne_u16_e32 vcc_lo, 0, v23
	s_waitcnt vmcnt(0)
	v_cmp_ne_u16_e64 s0, 0, v24
	s_delay_alu instid0(VALU_DEP_1) | instskip(SKIP_4) | instid1(SALU_CYCLE_1)
	s_xor_b32 s30, vcc_lo, s0
	s_add_u32 s0, s4, 1
	s_addc_u32 s1, s5, 0
	s_and_not1_b32 s29, s29, exec_lo
	s_and_b32 s30, s30, exec_lo
	s_or_b32 s29, s29, s30
.LBB1065_106:                           ;   in Loop: Header=BB1065_107 Depth=1
	v_dual_mov_b32 v24, s5 :: v_dual_mov_b32 v23, s4
	s_and_b32 s30, exec_lo, s29
	s_mov_b64 s[4:5], s[0:1]
	s_or_b32 s28, s30, s28
	s_delay_alu instid0(SALU_CYCLE_1)
	s_and_not1_b32 exec_lo, exec_lo, s28
	s_cbranch_execz .LBB1065_109
.LBB1065_107:                           ; =>This Inner Loop Header: Depth=1
	s_or_b32 s29, s29, exec_lo
	s_cmp_eq_u64 s[14:15], s[4:5]
	s_cbranch_scc0 .LBB1065_105
; %bb.108:                              ;   in Loop: Header=BB1065_107 Depth=1
	s_mov_b64 s[4:5], s[14:15]
                                        ; implicit-def: $sgpr0_sgpr1
	s_branch .LBB1065_106
.LBB1065_109:
	s_set_inst_prefetch_distance 0x2
	s_or_b32 exec_lo, exec_lo, s28
	v_cmp_gt_i64_e32 vcc_lo, s[14:15], v[23:24]
	s_or_not1_b32 s1, vcc_lo, exec_lo
.LBB1065_110:
	s_or_b32 exec_lo, exec_lo, s26
	s_delay_alu instid0(SALU_CYCLE_1)
	s_and_b32 s26, s1, exec_lo
.LBB1065_111:
	s_or_b32 exec_lo, exec_lo, s27
	v_or_b32_e32 v17, 6, v39
	s_delay_alu instid0(VALU_DEP_1) | instskip(SKIP_1) | instid1(SALU_CYCLE_1)
	v_cmp_gt_u32_e32 vcc_lo, s12, v17
	s_and_b32 s0, vcc_lo, s6
	s_and_saveexec_b32 s27, s0
	s_cbranch_execz .LBB1065_120
; %bb.112:
	v_mad_u64_u32 v[17:18], null, v7, s14, s[16:17]
	s_waitcnt lgkmcnt(0)
	v_mul_lo_u32 v23, v7, s15
	v_mul_lo_u32 v24, v8, s14
	v_mad_u64_u32 v[21:22], null, v1, s14, s[16:17]
	v_mul_lo_u32 v25, v1, s15
	v_mul_lo_u32 v26, v2, s14
	s_mov_b32 s28, 0
	s_delay_alu instid0(VALU_DEP_4) | instskip(NEXT) | instid1(VALU_DEP_2)
	v_add3_u32 v18, v24, v18, v23
	v_add3_u32 v22, v26, v22, v25
	s_clause 0x1
	global_load_u8 v23, v[17:18], off
	global_load_u8 v24, v[21:22], off
	s_waitcnt vmcnt(1)
	v_cmp_ne_u16_e32 vcc_lo, 0, v23
	s_waitcnt vmcnt(0)
	v_cmp_ne_u16_e64 s0, 0, v24
	s_delay_alu instid0(VALU_DEP_1) | instskip(SKIP_2) | instid1(SALU_CYCLE_1)
	s_xor_b32 s1, vcc_lo, s0
	s_mov_b32 s0, -1
	s_xor_b32 s1, s1, -1
	s_and_saveexec_b32 s7, s1
	s_cbranch_execz .LBB1065_119
; %bb.113:
	s_mov_b64 s[4:5], 1
                                        ; implicit-def: $sgpr29
	s_set_inst_prefetch_distance 0x1
	s_branch .LBB1065_116
	.p2align	6
.LBB1065_114:                           ;   in Loop: Header=BB1065_116 Depth=1
	v_add_co_u32 v23, vcc_lo, v17, s4
	v_add_co_ci_u32_e32 v24, vcc_lo, s5, v18, vcc_lo
	v_add_co_u32 v25, vcc_lo, v21, s4
	v_add_co_ci_u32_e32 v26, vcc_lo, s5, v22, vcc_lo
	s_clause 0x1
	global_load_u8 v23, v[23:24], off
	global_load_u8 v24, v[25:26], off
	s_waitcnt vmcnt(1)
	v_cmp_ne_u16_e32 vcc_lo, 0, v23
	s_waitcnt vmcnt(0)
	v_cmp_ne_u16_e64 s0, 0, v24
	s_delay_alu instid0(VALU_DEP_1) | instskip(SKIP_4) | instid1(SALU_CYCLE_1)
	s_xor_b32 s30, vcc_lo, s0
	s_add_u32 s0, s4, 1
	s_addc_u32 s1, s5, 0
	s_and_not1_b32 s29, s29, exec_lo
	s_and_b32 s30, s30, exec_lo
	s_or_b32 s29, s29, s30
.LBB1065_115:                           ;   in Loop: Header=BB1065_116 Depth=1
	v_dual_mov_b32 v24, s5 :: v_dual_mov_b32 v23, s4
	s_and_b32 s30, exec_lo, s29
	s_mov_b64 s[4:5], s[0:1]
	s_or_b32 s28, s30, s28
	s_delay_alu instid0(SALU_CYCLE_1)
	s_and_not1_b32 exec_lo, exec_lo, s28
	s_cbranch_execz .LBB1065_118
.LBB1065_116:                           ; =>This Inner Loop Header: Depth=1
	s_or_b32 s29, s29, exec_lo
	s_cmp_eq_u64 s[14:15], s[4:5]
	s_cbranch_scc0 .LBB1065_114
; %bb.117:                              ;   in Loop: Header=BB1065_116 Depth=1
	s_mov_b64 s[4:5], s[14:15]
                                        ; implicit-def: $sgpr0_sgpr1
	s_branch .LBB1065_115
.LBB1065_118:
	s_set_inst_prefetch_distance 0x2
	s_or_b32 exec_lo, exec_lo, s28
	v_cmp_gt_i64_e32 vcc_lo, s[14:15], v[23:24]
	s_or_not1_b32 s0, vcc_lo, exec_lo
.LBB1065_119:
	s_or_b32 exec_lo, exec_lo, s7
	s_delay_alu instid0(SALU_CYCLE_1)
	s_and_b32 s7, s0, exec_lo
.LBB1065_120:
	s_or_b32 exec_lo, exec_lo, s27
	v_or_b32_e32 v17, 5, v39
	s_mov_b32 s1, -1
	s_mov_b32 s28, 0
	s_mov_b32 s27, 0
	s_delay_alu instid0(VALU_DEP_1) | instskip(SKIP_1) | instid1(SALU_CYCLE_1)
	v_cmp_gt_u32_e32 vcc_lo, s12, v17
	s_and_b32 s0, vcc_lo, s6
	s_and_saveexec_b32 s29, s0
	s_cbranch_execz .LBB1065_129
; %bb.121:
	v_mad_u64_u32 v[17:18], null, v5, s14, s[16:17]
	s_waitcnt lgkmcnt(0)
	v_mul_lo_u32 v23, v5, s15
	v_mul_lo_u32 v24, v6, s14
	v_mad_u64_u32 v[21:22], null, v7, s14, s[16:17]
	v_mul_lo_u32 v25, v7, s15
	v_mul_lo_u32 v26, v8, s14
	s_mov_b32 s30, 0
	s_delay_alu instid0(VALU_DEP_4) | instskip(NEXT) | instid1(VALU_DEP_2)
	v_add3_u32 v18, v24, v18, v23
	v_add3_u32 v22, v26, v22, v25
	s_clause 0x1
	global_load_u8 v23, v[17:18], off
	global_load_u8 v24, v[21:22], off
	s_waitcnt vmcnt(1)
	v_cmp_ne_u16_e32 vcc_lo, 0, v23
	s_waitcnt vmcnt(0)
	v_cmp_ne_u16_e64 s0, 0, v24
	s_delay_alu instid0(VALU_DEP_1) | instskip(NEXT) | instid1(SALU_CYCLE_1)
	s_xor_b32 s0, vcc_lo, s0
	s_xor_b32 s0, s0, -1
	s_delay_alu instid0(SALU_CYCLE_1)
	s_and_saveexec_b32 s27, s0
	s_cbranch_execz .LBB1065_128
; %bb.122:
	s_mov_b64 s[4:5], 1
                                        ; implicit-def: $sgpr31
	s_set_inst_prefetch_distance 0x1
	s_branch .LBB1065_125
	.p2align	6
.LBB1065_123:                           ;   in Loop: Header=BB1065_125 Depth=1
	v_add_co_u32 v23, vcc_lo, v17, s4
	v_add_co_ci_u32_e32 v24, vcc_lo, s5, v18, vcc_lo
	v_add_co_u32 v25, vcc_lo, v21, s4
	v_add_co_ci_u32_e32 v26, vcc_lo, s5, v22, vcc_lo
	s_clause 0x1
	global_load_u8 v23, v[23:24], off
	global_load_u8 v24, v[25:26], off
	s_waitcnt vmcnt(1)
	v_cmp_ne_u16_e32 vcc_lo, 0, v23
	s_waitcnt vmcnt(0)
	v_cmp_ne_u16_e64 s0, 0, v24
	s_delay_alu instid0(VALU_DEP_1) | instskip(SKIP_4) | instid1(SALU_CYCLE_1)
	s_xor_b32 s33, vcc_lo, s0
	s_add_u32 s0, s4, 1
	s_addc_u32 s1, s5, 0
	s_and_not1_b32 s31, s31, exec_lo
	s_and_b32 s33, s33, exec_lo
	s_or_b32 s31, s31, s33
.LBB1065_124:                           ;   in Loop: Header=BB1065_125 Depth=1
	v_dual_mov_b32 v24, s5 :: v_dual_mov_b32 v23, s4
	s_and_b32 s33, exec_lo, s31
	s_mov_b64 s[4:5], s[0:1]
	s_or_b32 s30, s33, s30
	s_delay_alu instid0(SALU_CYCLE_1)
	s_and_not1_b32 exec_lo, exec_lo, s30
	s_cbranch_execz .LBB1065_127
.LBB1065_125:                           ; =>This Inner Loop Header: Depth=1
	s_or_b32 s31, s31, exec_lo
	s_cmp_eq_u64 s[14:15], s[4:5]
	s_cbranch_scc0 .LBB1065_123
; %bb.126:                              ;   in Loop: Header=BB1065_125 Depth=1
	s_mov_b64 s[4:5], s[14:15]
                                        ; implicit-def: $sgpr0_sgpr1
	s_branch .LBB1065_124
.LBB1065_127:
	s_set_inst_prefetch_distance 0x2
	s_or_b32 exec_lo, exec_lo, s30
	v_cmp_gt_i64_e32 vcc_lo, s[14:15], v[23:24]
	s_or_not1_b32 s1, vcc_lo, exec_lo
.LBB1065_128:
	s_or_b32 exec_lo, exec_lo, s27
	s_delay_alu instid0(SALU_CYCLE_1)
	s_and_b32 s27, s1, exec_lo
.LBB1065_129:
	s_or_b32 exec_lo, exec_lo, s29
	v_or_b32_e32 v17, 4, v39
	s_delay_alu instid0(VALU_DEP_1) | instskip(SKIP_1) | instid1(SALU_CYCLE_1)
	v_cmp_gt_u32_e32 vcc_lo, s12, v17
	s_and_b32 s0, vcc_lo, s6
	s_and_saveexec_b32 s29, s0
	s_cbranch_execz .LBB1065_138
; %bb.130:
	v_mad_u64_u32 v[17:18], null, v11, s14, s[16:17]
	s_waitcnt lgkmcnt(0)
	v_mul_lo_u32 v23, v11, s15
	v_mul_lo_u32 v24, v12, s14
	v_mad_u64_u32 v[21:22], null, v5, s14, s[16:17]
	v_mul_lo_u32 v25, v5, s15
	v_mul_lo_u32 v26, v6, s14
	s_mov_b32 s30, 0
	s_delay_alu instid0(VALU_DEP_4) | instskip(NEXT) | instid1(VALU_DEP_2)
	v_add3_u32 v18, v24, v18, v23
	v_add3_u32 v22, v26, v22, v25
	s_clause 0x1
	global_load_u8 v23, v[17:18], off
	global_load_u8 v24, v[21:22], off
	s_waitcnt vmcnt(1)
	v_cmp_ne_u16_e32 vcc_lo, 0, v23
	s_waitcnt vmcnt(0)
	v_cmp_ne_u16_e64 s0, 0, v24
	s_delay_alu instid0(VALU_DEP_1) | instskip(SKIP_2) | instid1(SALU_CYCLE_1)
	s_xor_b32 s1, vcc_lo, s0
	s_mov_b32 s0, -1
	s_xor_b32 s1, s1, -1
	s_and_saveexec_b32 s28, s1
	s_cbranch_execz .LBB1065_137
; %bb.131:
	s_mov_b64 s[4:5], 1
                                        ; implicit-def: $sgpr31
	s_set_inst_prefetch_distance 0x1
	s_branch .LBB1065_134
	.p2align	6
.LBB1065_132:                           ;   in Loop: Header=BB1065_134 Depth=1
	v_add_co_u32 v23, vcc_lo, v17, s4
	v_add_co_ci_u32_e32 v24, vcc_lo, s5, v18, vcc_lo
	v_add_co_u32 v25, vcc_lo, v21, s4
	v_add_co_ci_u32_e32 v26, vcc_lo, s5, v22, vcc_lo
	s_clause 0x1
	global_load_u8 v23, v[23:24], off
	global_load_u8 v24, v[25:26], off
	s_waitcnt vmcnt(1)
	v_cmp_ne_u16_e32 vcc_lo, 0, v23
	s_waitcnt vmcnt(0)
	v_cmp_ne_u16_e64 s0, 0, v24
	s_delay_alu instid0(VALU_DEP_1) | instskip(SKIP_4) | instid1(SALU_CYCLE_1)
	s_xor_b32 s33, vcc_lo, s0
	s_add_u32 s0, s4, 1
	s_addc_u32 s1, s5, 0
	s_and_not1_b32 s31, s31, exec_lo
	s_and_b32 s33, s33, exec_lo
	s_or_b32 s31, s31, s33
.LBB1065_133:                           ;   in Loop: Header=BB1065_134 Depth=1
	v_dual_mov_b32 v24, s5 :: v_dual_mov_b32 v23, s4
	s_and_b32 s33, exec_lo, s31
	s_mov_b64 s[4:5], s[0:1]
	s_or_b32 s30, s33, s30
	s_delay_alu instid0(SALU_CYCLE_1)
	s_and_not1_b32 exec_lo, exec_lo, s30
	s_cbranch_execz .LBB1065_136
.LBB1065_134:                           ; =>This Inner Loop Header: Depth=1
	s_or_b32 s31, s31, exec_lo
	s_cmp_eq_u64 s[14:15], s[4:5]
	s_cbranch_scc0 .LBB1065_132
; %bb.135:                              ;   in Loop: Header=BB1065_134 Depth=1
	s_mov_b64 s[4:5], s[14:15]
                                        ; implicit-def: $sgpr0_sgpr1
	s_branch .LBB1065_133
.LBB1065_136:
	s_set_inst_prefetch_distance 0x2
	s_or_b32 exec_lo, exec_lo, s30
	v_cmp_gt_i64_e32 vcc_lo, s[14:15], v[23:24]
	s_or_not1_b32 s0, vcc_lo, exec_lo
.LBB1065_137:
	s_or_b32 exec_lo, exec_lo, s28
	s_delay_alu instid0(SALU_CYCLE_1)
	s_and_b32 s28, s0, exec_lo
.LBB1065_138:
	s_or_b32 exec_lo, exec_lo, s29
	v_or_b32_e32 v17, 3, v39
	s_mov_b32 s1, -1
	s_mov_b32 s30, 0
	s_mov_b32 s29, 0
	s_delay_alu instid0(VALU_DEP_1) | instskip(SKIP_1) | instid1(SALU_CYCLE_1)
	v_cmp_gt_u32_e32 vcc_lo, s12, v17
	s_and_b32 s0, vcc_lo, s6
	s_and_saveexec_b32 s31, s0
	s_cbranch_execz .LBB1065_147
; %bb.139:
	v_mad_u64_u32 v[17:18], null, v9, s14, s[16:17]
	s_waitcnt lgkmcnt(0)
	v_mul_lo_u32 v23, v9, s15
	v_mul_lo_u32 v24, v10, s14
	v_mad_u64_u32 v[21:22], null, v11, s14, s[16:17]
	v_mul_lo_u32 v25, v11, s15
	v_mul_lo_u32 v26, v12, s14
	s_mov_b32 s33, 0
	s_delay_alu instid0(VALU_DEP_4) | instskip(NEXT) | instid1(VALU_DEP_2)
	v_add3_u32 v18, v24, v18, v23
	v_add3_u32 v22, v26, v22, v25
	s_clause 0x1
	global_load_u8 v23, v[17:18], off
	global_load_u8 v24, v[21:22], off
	s_waitcnt vmcnt(1)
	v_cmp_ne_u16_e32 vcc_lo, 0, v23
	s_waitcnt vmcnt(0)
	v_cmp_ne_u16_e64 s0, 0, v24
	s_delay_alu instid0(VALU_DEP_1) | instskip(NEXT) | instid1(SALU_CYCLE_1)
	s_xor_b32 s0, vcc_lo, s0
	s_xor_b32 s0, s0, -1
	s_delay_alu instid0(SALU_CYCLE_1)
	s_and_saveexec_b32 s29, s0
	s_cbranch_execz .LBB1065_146
; %bb.140:
	s_mov_b64 s[4:5], 1
                                        ; implicit-def: $sgpr34
	s_set_inst_prefetch_distance 0x1
	s_branch .LBB1065_143
	.p2align	6
.LBB1065_141:                           ;   in Loop: Header=BB1065_143 Depth=1
	v_add_co_u32 v23, vcc_lo, v17, s4
	v_add_co_ci_u32_e32 v24, vcc_lo, s5, v18, vcc_lo
	v_add_co_u32 v25, vcc_lo, v21, s4
	v_add_co_ci_u32_e32 v26, vcc_lo, s5, v22, vcc_lo
	s_clause 0x1
	global_load_u8 v23, v[23:24], off
	global_load_u8 v24, v[25:26], off
	s_waitcnt vmcnt(1)
	v_cmp_ne_u16_e32 vcc_lo, 0, v23
	s_waitcnt vmcnt(0)
	v_cmp_ne_u16_e64 s0, 0, v24
	s_delay_alu instid0(VALU_DEP_1) | instskip(SKIP_4) | instid1(SALU_CYCLE_1)
	s_xor_b32 s35, vcc_lo, s0
	s_add_u32 s0, s4, 1
	s_addc_u32 s1, s5, 0
	s_and_not1_b32 s34, s34, exec_lo
	s_and_b32 s35, s35, exec_lo
	s_or_b32 s34, s34, s35
.LBB1065_142:                           ;   in Loop: Header=BB1065_143 Depth=1
	v_dual_mov_b32 v24, s5 :: v_dual_mov_b32 v23, s4
	s_and_b32 s35, exec_lo, s34
	s_mov_b64 s[4:5], s[0:1]
	s_or_b32 s33, s35, s33
	s_delay_alu instid0(SALU_CYCLE_1)
	s_and_not1_b32 exec_lo, exec_lo, s33
	s_cbranch_execz .LBB1065_145
.LBB1065_143:                           ; =>This Inner Loop Header: Depth=1
	s_or_b32 s34, s34, exec_lo
	s_cmp_eq_u64 s[14:15], s[4:5]
	s_cbranch_scc0 .LBB1065_141
; %bb.144:                              ;   in Loop: Header=BB1065_143 Depth=1
	s_mov_b64 s[4:5], s[14:15]
                                        ; implicit-def: $sgpr0_sgpr1
	s_branch .LBB1065_142
.LBB1065_145:
	s_set_inst_prefetch_distance 0x2
	s_or_b32 exec_lo, exec_lo, s33
	v_cmp_gt_i64_e32 vcc_lo, s[14:15], v[23:24]
	s_or_not1_b32 s1, vcc_lo, exec_lo
.LBB1065_146:
	s_or_b32 exec_lo, exec_lo, s29
	s_delay_alu instid0(SALU_CYCLE_1)
	s_and_b32 s29, s1, exec_lo
.LBB1065_147:
	s_or_b32 exec_lo, exec_lo, s31
	v_or_b32_e32 v17, 2, v39
	s_delay_alu instid0(VALU_DEP_1) | instskip(SKIP_1) | instid1(SALU_CYCLE_1)
	v_cmp_gt_u32_e32 vcc_lo, s12, v17
	s_and_b32 s0, vcc_lo, s6
	s_and_saveexec_b32 s31, s0
	s_cbranch_execz .LBB1065_156
; %bb.148:
	v_mad_u64_u32 v[17:18], null, v15, s14, s[16:17]
	s_waitcnt lgkmcnt(0)
	v_mul_lo_u32 v23, v15, s15
	v_mul_lo_u32 v24, v16, s14
	v_mad_u64_u32 v[21:22], null, v9, s14, s[16:17]
	v_mul_lo_u32 v25, v9, s15
	v_mul_lo_u32 v26, v10, s14
	s_mov_b32 s33, 0
	s_delay_alu instid0(VALU_DEP_4) | instskip(NEXT) | instid1(VALU_DEP_2)
	v_add3_u32 v18, v24, v18, v23
	v_add3_u32 v22, v26, v22, v25
	s_clause 0x1
	global_load_u8 v23, v[17:18], off
	global_load_u8 v24, v[21:22], off
	s_waitcnt vmcnt(1)
	v_cmp_ne_u16_e32 vcc_lo, 0, v23
	s_waitcnt vmcnt(0)
	v_cmp_ne_u16_e64 s0, 0, v24
	s_delay_alu instid0(VALU_DEP_1) | instskip(SKIP_2) | instid1(SALU_CYCLE_1)
	s_xor_b32 s1, vcc_lo, s0
	s_mov_b32 s0, -1
	s_xor_b32 s1, s1, -1
	s_and_saveexec_b32 s30, s1
	s_cbranch_execz .LBB1065_155
; %bb.149:
	s_mov_b64 s[4:5], 1
                                        ; implicit-def: $sgpr34
	s_set_inst_prefetch_distance 0x1
	s_branch .LBB1065_152
	.p2align	6
.LBB1065_150:                           ;   in Loop: Header=BB1065_152 Depth=1
	v_add_co_u32 v23, vcc_lo, v17, s4
	v_add_co_ci_u32_e32 v24, vcc_lo, s5, v18, vcc_lo
	v_add_co_u32 v25, vcc_lo, v21, s4
	v_add_co_ci_u32_e32 v26, vcc_lo, s5, v22, vcc_lo
	s_clause 0x1
	global_load_u8 v23, v[23:24], off
	global_load_u8 v24, v[25:26], off
	s_waitcnt vmcnt(1)
	v_cmp_ne_u16_e32 vcc_lo, 0, v23
	s_waitcnt vmcnt(0)
	v_cmp_ne_u16_e64 s0, 0, v24
	s_delay_alu instid0(VALU_DEP_1) | instskip(SKIP_4) | instid1(SALU_CYCLE_1)
	s_xor_b32 s35, vcc_lo, s0
	s_add_u32 s0, s4, 1
	s_addc_u32 s1, s5, 0
	s_and_not1_b32 s34, s34, exec_lo
	s_and_b32 s35, s35, exec_lo
	s_or_b32 s34, s34, s35
.LBB1065_151:                           ;   in Loop: Header=BB1065_152 Depth=1
	v_dual_mov_b32 v24, s5 :: v_dual_mov_b32 v23, s4
	s_and_b32 s35, exec_lo, s34
	s_mov_b64 s[4:5], s[0:1]
	s_or_b32 s33, s35, s33
	s_delay_alu instid0(SALU_CYCLE_1)
	s_and_not1_b32 exec_lo, exec_lo, s33
	s_cbranch_execz .LBB1065_154
.LBB1065_152:                           ; =>This Inner Loop Header: Depth=1
	s_or_b32 s34, s34, exec_lo
	s_cmp_eq_u64 s[14:15], s[4:5]
	s_cbranch_scc0 .LBB1065_150
; %bb.153:                              ;   in Loop: Header=BB1065_152 Depth=1
	s_mov_b64 s[4:5], s[14:15]
                                        ; implicit-def: $sgpr0_sgpr1
	s_branch .LBB1065_151
.LBB1065_154:
	s_set_inst_prefetch_distance 0x2
	s_or_b32 exec_lo, exec_lo, s33
	v_cmp_gt_i64_e32 vcc_lo, s[14:15], v[23:24]
	s_or_not1_b32 s0, vcc_lo, exec_lo
.LBB1065_155:
	s_or_b32 exec_lo, exec_lo, s30
	s_delay_alu instid0(SALU_CYCLE_1)
	s_and_b32 s30, s0, exec_lo
.LBB1065_156:
	s_or_b32 exec_lo, exec_lo, s31
	v_or_b32_e32 v17, 1, v39
	s_mov_b32 s1, -1
	s_mov_b32 s0, 0
	s_delay_alu instid0(VALU_DEP_1) | instskip(SKIP_1) | instid1(SALU_CYCLE_1)
	v_cmp_gt_u32_e32 vcc_lo, s12, v17
	s_and_b32 s4, vcc_lo, s6
	s_and_saveexec_b32 s31, s4
	s_cbranch_execz .LBB1065_165
; %bb.157:
	v_mad_u64_u32 v[17:18], null, v13, s14, s[16:17]
	s_waitcnt lgkmcnt(0)
	v_mul_lo_u32 v23, v13, s15
	v_mul_lo_u32 v24, v14, s14
	v_mad_u64_u32 v[21:22], null, v15, s14, s[16:17]
	v_mul_lo_u32 v25, v15, s15
	v_mul_lo_u32 v26, v16, s14
	s_mov_b32 s34, 0
	s_delay_alu instid0(VALU_DEP_4) | instskip(NEXT) | instid1(VALU_DEP_2)
	v_add3_u32 v18, v24, v18, v23
	v_add3_u32 v22, v26, v22, v25
	s_clause 0x1
	global_load_u8 v23, v[17:18], off
	global_load_u8 v24, v[21:22], off
	s_waitcnt vmcnt(1)
	v_cmp_ne_u16_e32 vcc_lo, 0, v23
	s_waitcnt vmcnt(0)
	v_cmp_ne_u16_e64 s0, 0, v24
	s_delay_alu instid0(VALU_DEP_1) | instskip(NEXT) | instid1(SALU_CYCLE_1)
	s_xor_b32 s0, vcc_lo, s0
	s_xor_b32 s0, s0, -1
	s_delay_alu instid0(SALU_CYCLE_1)
	s_and_saveexec_b32 s33, s0
	s_cbranch_execz .LBB1065_164
; %bb.158:
	s_mov_b64 s[4:5], 1
                                        ; implicit-def: $sgpr35
	s_set_inst_prefetch_distance 0x1
	s_branch .LBB1065_161
	.p2align	6
.LBB1065_159:                           ;   in Loop: Header=BB1065_161 Depth=1
	v_add_co_u32 v23, vcc_lo, v17, s4
	v_add_co_ci_u32_e32 v24, vcc_lo, s5, v18, vcc_lo
	v_add_co_u32 v25, vcc_lo, v21, s4
	v_add_co_ci_u32_e32 v26, vcc_lo, s5, v22, vcc_lo
	s_clause 0x1
	global_load_u8 v23, v[23:24], off
	global_load_u8 v24, v[25:26], off
	s_waitcnt vmcnt(1)
	v_cmp_ne_u16_e32 vcc_lo, 0, v23
	s_waitcnt vmcnt(0)
	v_cmp_ne_u16_e64 s0, 0, v24
	s_delay_alu instid0(VALU_DEP_1) | instskip(SKIP_4) | instid1(SALU_CYCLE_1)
	s_xor_b32 s36, vcc_lo, s0
	s_add_u32 s0, s4, 1
	s_addc_u32 s1, s5, 0
	s_and_not1_b32 s35, s35, exec_lo
	s_and_b32 s36, s36, exec_lo
	s_or_b32 s35, s35, s36
.LBB1065_160:                           ;   in Loop: Header=BB1065_161 Depth=1
	v_dual_mov_b32 v24, s5 :: v_dual_mov_b32 v23, s4
	s_and_b32 s36, exec_lo, s35
	s_mov_b64 s[4:5], s[0:1]
	s_or_b32 s34, s36, s34
	s_delay_alu instid0(SALU_CYCLE_1)
	s_and_not1_b32 exec_lo, exec_lo, s34
	s_cbranch_execz .LBB1065_163
.LBB1065_161:                           ; =>This Inner Loop Header: Depth=1
	s_or_b32 s35, s35, exec_lo
	s_cmp_eq_u64 s[14:15], s[4:5]
	s_cbranch_scc0 .LBB1065_159
; %bb.162:                              ;   in Loop: Header=BB1065_161 Depth=1
	s_mov_b64 s[4:5], s[14:15]
                                        ; implicit-def: $sgpr0_sgpr1
	s_branch .LBB1065_160
.LBB1065_163:
	s_set_inst_prefetch_distance 0x2
	s_or_b32 exec_lo, exec_lo, s34
	v_cmp_gt_i64_e32 vcc_lo, s[14:15], v[23:24]
	s_or_not1_b32 s1, vcc_lo, exec_lo
.LBB1065_164:
	s_or_b32 exec_lo, exec_lo, s33
	s_delay_alu instid0(SALU_CYCLE_1)
	s_and_b32 s0, s1, exec_lo
.LBB1065_165:
	s_or_b32 exec_lo, exec_lo, s31
	s_waitcnt vmcnt(0) lgkmcnt(0)
	s_barrier
	buffer_gl0_inv
	s_and_saveexec_b32 s1, s3
	s_cbranch_execz .LBB1065_167
; %bb.166:
	v_add_nc_u32_e32 v17, -8, v39
	ds_load_b64 v[19:20], v17
.LBB1065_167:
	s_or_b32 exec_lo, exec_lo, s1
	v_cndmask_b32_e64 v18, 0, 1, s29
	v_cndmask_b32_e64 v22, 0, 1, s27
	;; [unrolled: 1-line block ×7, first 2 shown]
	v_lshlrev_b16 v18, 8, v18
	v_lshlrev_b16 v22, 8, v22
	;; [unrolled: 1-line block ×3, first 2 shown]
	v_cmp_gt_u32_e32 vcc_lo, s12, v39
	v_lshlrev_b16 v25, 8, v25
	v_or_b32_e32 v17, v17, v18
	v_or_b32_e32 v18, v21, v22
	;; [unrolled: 1-line block ×3, first 2 shown]
	s_mov_b32 s1, -1
	v_and_b32_e32 v23, 0xffff, v25
	v_lshlrev_b32_e32 v24, 16, v17
	v_and_b32_e32 v25, 0xffff, v18
	v_lshlrev_b32_e32 v26, 16, v21
	s_and_b32 s4, vcc_lo, s6
	s_mov_b32 s0, 0
	s_and_saveexec_b32 s6, s4
	s_cbranch_execz .LBB1065_176
; %bb.168:
	s_waitcnt lgkmcnt(0)
	v_mad_u64_u32 v[17:18], null, v19, s14, s[16:17]
	v_mul_lo_u32 v21, v19, s15
	v_mul_lo_u32 v22, v20, s14
	v_mad_u64_u32 v[19:20], null, v13, s14, s[16:17]
	v_mul_lo_u32 v27, v13, s15
	v_mul_lo_u32 v28, v14, s14
	s_mov_b32 s26, 0
	s_delay_alu instid0(VALU_DEP_4) | instskip(NEXT) | instid1(VALU_DEP_2)
	v_add3_u32 v18, v22, v18, v21
	v_add3_u32 v20, v28, v20, v27
	s_clause 0x1
	global_load_u8 v21, v[17:18], off
	global_load_u8 v22, v[19:20], off
	s_waitcnt vmcnt(1)
	v_cmp_ne_u16_e32 vcc_lo, 0, v21
	s_waitcnt vmcnt(0)
	v_cmp_ne_u16_e64 s0, 0, v22
	s_delay_alu instid0(VALU_DEP_1) | instskip(NEXT) | instid1(SALU_CYCLE_1)
	s_xor_b32 s0, vcc_lo, s0
	s_xor_b32 s0, s0, -1
	s_delay_alu instid0(SALU_CYCLE_1)
	s_and_saveexec_b32 s7, s0
	s_cbranch_execz .LBB1065_175
; %bb.169:
	s_mov_b64 s[4:5], 1
                                        ; implicit-def: $sgpr27
	s_set_inst_prefetch_distance 0x1
	s_branch .LBB1065_172
	.p2align	6
.LBB1065_170:                           ;   in Loop: Header=BB1065_172 Depth=1
	v_add_co_u32 v21, vcc_lo, v17, s4
	v_add_co_ci_u32_e32 v22, vcc_lo, s5, v18, vcc_lo
	v_add_co_u32 v27, vcc_lo, v19, s4
	v_add_co_ci_u32_e32 v28, vcc_lo, s5, v20, vcc_lo
	s_clause 0x1
	global_load_u8 v21, v[21:22], off
	global_load_u8 v22, v[27:28], off
	s_waitcnt vmcnt(1)
	v_cmp_ne_u16_e32 vcc_lo, 0, v21
	s_waitcnt vmcnt(0)
	v_cmp_ne_u16_e64 s0, 0, v22
	s_delay_alu instid0(VALU_DEP_1) | instskip(SKIP_4) | instid1(SALU_CYCLE_1)
	s_xor_b32 s28, vcc_lo, s0
	s_add_u32 s0, s4, 1
	s_addc_u32 s1, s5, 0
	s_and_not1_b32 s27, s27, exec_lo
	s_and_b32 s28, s28, exec_lo
	s_or_b32 s27, s27, s28
.LBB1065_171:                           ;   in Loop: Header=BB1065_172 Depth=1
	v_dual_mov_b32 v22, s5 :: v_dual_mov_b32 v21, s4
	s_and_b32 s28, exec_lo, s27
	s_mov_b64 s[4:5], s[0:1]
	s_or_b32 s26, s28, s26
	s_delay_alu instid0(SALU_CYCLE_1)
	s_and_not1_b32 exec_lo, exec_lo, s26
	s_cbranch_execz .LBB1065_174
.LBB1065_172:                           ; =>This Inner Loop Header: Depth=1
	s_or_b32 s27, s27, exec_lo
	s_cmp_eq_u64 s[14:15], s[4:5]
	s_cbranch_scc0 .LBB1065_170
; %bb.173:                              ;   in Loop: Header=BB1065_172 Depth=1
	s_mov_b64 s[4:5], s[14:15]
                                        ; implicit-def: $sgpr0_sgpr1
	s_branch .LBB1065_171
.LBB1065_174:
	s_set_inst_prefetch_distance 0x2
	s_or_b32 exec_lo, exec_lo, s26
	v_cmp_gt_i64_e32 vcc_lo, s[14:15], v[21:22]
	s_or_not1_b32 s1, vcc_lo, exec_lo
.LBB1065_175:
	s_or_b32 exec_lo, exec_lo, s7
	s_delay_alu instid0(SALU_CYCLE_1)
	s_and_b32 s0, s1, exec_lo
.LBB1065_176:
	s_or_b32 exec_lo, exec_lo, s6
	v_or_b32_e32 v17, v23, v24
	v_or_b32_e32 v18, v25, v26
.LBB1065_177:
	s_mov_b32 s6, -1
	s_cbranch_execnz .LBB1065_329
.LBB1065_178:
	v_cmp_lt_i64_e64 s7, s[14:15], 1
	v_cmp_gt_i64_e64 s0, s[14:15], 0
	s_and_b32 vcc_lo, exec_lo, s22
	ds_store_b64 v39, v[3:4]
	s_cbranch_vccz .LBB1065_186
; %bb.179:
	v_cndmask_b32_e64 v26, 0, 1, s0
	s_and_not1_b32 vcc_lo, exec_lo, s0
	s_cbranch_vccnz .LBB1065_187
; %bb.180:
	v_mad_u64_u32 v[17:18], null, v1, s14, s[16:17]
	v_mul_lo_u32 v21, v1, s15
	v_mul_lo_u32 v22, v2, s14
	s_waitcnt vmcnt(0) lgkmcnt(1)
	v_mad_u64_u32 v[19:20], null, v3, s14, s[16:17]
	v_mul_lo_u32 v23, v3, s15
	v_mul_lo_u32 v24, v4, s14
	s_mov_b32 s28, 0
	s_mov_b32 s26, -1
	s_delay_alu instid0(VALU_DEP_4) | instskip(NEXT) | instid1(VALU_DEP_2)
	v_add3_u32 v18, v22, v18, v21
	v_add3_u32 v20, v24, v20, v23
	s_clause 0x1
	global_load_u8 v21, v[17:18], off
	global_load_u8 v22, v[19:20], off
	s_waitcnt vmcnt(1)
	v_cmp_ne_u16_e32 vcc_lo, 0, v21
	s_waitcnt vmcnt(0)
	v_cmp_ne_u16_e64 s0, 0, v22
	s_delay_alu instid0(VALU_DEP_1) | instskip(NEXT) | instid1(SALU_CYCLE_1)
	s_xor_b32 s0, vcc_lo, s0
	s_xor_b32 s0, s0, -1
	s_delay_alu instid0(SALU_CYCLE_1)
	s_and_saveexec_b32 s27, s0
	s_cbranch_execz .LBB1065_189
; %bb.181:
	s_mov_b64 s[4:5], 1
                                        ; implicit-def: $sgpr26
	s_set_inst_prefetch_distance 0x1
	s_branch .LBB1065_184
	.p2align	6
.LBB1065_182:                           ;   in Loop: Header=BB1065_184 Depth=1
	v_add_co_u32 v21, s0, v17, s4
	s_delay_alu instid0(VALU_DEP_1) | instskip(SKIP_1) | instid1(VALU_DEP_1)
	v_add_co_ci_u32_e64 v22, s0, s5, v18, s0
	v_add_co_u32 v23, s0, v19, s4
	v_add_co_ci_u32_e64 v24, s0, s5, v20, s0
	s_clause 0x1
	global_load_u8 v21, v[21:22], off
	global_load_u8 v22, v[23:24], off
	s_waitcnt vmcnt(1)
	v_cmp_ne_u16_e64 s0, 0, v21
	s_waitcnt vmcnt(0)
	v_cmp_ne_u16_e64 s1, 0, v22
	s_delay_alu instid0(VALU_DEP_1) | instskip(SKIP_4) | instid1(SALU_CYCLE_1)
	s_xor_b32 s29, s0, s1
	s_add_u32 s0, s4, 1
	s_addc_u32 s1, s5, 0
	s_and_not1_b32 s26, s26, exec_lo
	s_and_b32 s29, s29, exec_lo
	s_or_b32 s26, s26, s29
.LBB1065_183:                           ;   in Loop: Header=BB1065_184 Depth=1
	v_dual_mov_b32 v22, s5 :: v_dual_mov_b32 v21, s4
	s_and_b32 s29, exec_lo, s26
	s_mov_b64 s[4:5], s[0:1]
	s_or_b32 s28, s29, s28
	s_delay_alu instid0(SALU_CYCLE_1)
	s_and_not1_b32 exec_lo, exec_lo, s28
	s_cbranch_execz .LBB1065_188
.LBB1065_184:                           ; =>This Inner Loop Header: Depth=1
	s_or_b32 s26, s26, exec_lo
	s_cmp_eq_u64 s[14:15], s[4:5]
	s_cbranch_scc0 .LBB1065_182
; %bb.185:                              ;   in Loop: Header=BB1065_184 Depth=1
	s_mov_b64 s[4:5], s[14:15]
                                        ; implicit-def: $sgpr0_sgpr1
	s_branch .LBB1065_183
.LBB1065_186:
                                        ; implicit-def: $sgpr0
                                        ; implicit-def: $vgpr18
	s_cbranch_execnz .LBB1065_254
	s_branch .LBB1065_329
.LBB1065_187:
	v_mov_b32_e32 v17, 0
	s_mov_b32 s0, 0
	s_branch .LBB1065_197
.LBB1065_188:
	s_set_inst_prefetch_distance 0x2
	s_or_b32 exec_lo, exec_lo, s28
	v_cmp_gt_i64_e64 s0, s[14:15], v[21:22]
	s_delay_alu instid0(VALU_DEP_1)
	s_or_not1_b32 s26, s0, exec_lo
.LBB1065_189:
	s_or_b32 exec_lo, exec_lo, s27
	v_mad_u64_u32 v[19:20], null, v7, s14, s[16:17]
	v_mul_lo_u32 v21, v7, s15
	v_mul_lo_u32 v22, v8, s14
	s_mov_b32 s28, 0
	s_delay_alu instid0(VALU_DEP_1) | instskip(SKIP_3) | instid1(VALU_DEP_1)
	v_add3_u32 v20, v22, v20, v21
	global_load_u8 v21, v[19:20], off
	s_waitcnt vmcnt(0)
	v_cmp_ne_u16_e64 s0, 0, v21
	s_xor_b32 s1, vcc_lo, s0
	s_mov_b32 s0, -1
	s_xor_b32 s1, s1, -1
	s_delay_alu instid0(SALU_CYCLE_1)
	s_and_saveexec_b32 s27, s1
	s_cbranch_execz .LBB1065_196
; %bb.190:
	s_mov_b64 s[4:5], 1
                                        ; implicit-def: $sgpr29
	s_set_inst_prefetch_distance 0x1
	s_branch .LBB1065_193
	.p2align	6
.LBB1065_191:                           ;   in Loop: Header=BB1065_193 Depth=1
	v_add_co_u32 v21, vcc_lo, v19, s4
	v_add_co_ci_u32_e32 v22, vcc_lo, s5, v20, vcc_lo
	v_add_co_u32 v23, vcc_lo, v17, s4
	v_add_co_ci_u32_e32 v24, vcc_lo, s5, v18, vcc_lo
	s_clause 0x1
	global_load_u8 v21, v[21:22], off
	global_load_u8 v22, v[23:24], off
	s_waitcnt vmcnt(1)
	v_cmp_ne_u16_e32 vcc_lo, 0, v21
	s_waitcnt vmcnt(0)
	v_cmp_ne_u16_e64 s0, 0, v22
	s_delay_alu instid0(VALU_DEP_1) | instskip(SKIP_4) | instid1(SALU_CYCLE_1)
	s_xor_b32 s30, vcc_lo, s0
	s_add_u32 s0, s4, 1
	s_addc_u32 s1, s5, 0
	s_and_not1_b32 s29, s29, exec_lo
	s_and_b32 s30, s30, exec_lo
	s_or_b32 s29, s29, s30
.LBB1065_192:                           ;   in Loop: Header=BB1065_193 Depth=1
	v_dual_mov_b32 v22, s5 :: v_dual_mov_b32 v21, s4
	s_and_b32 s30, exec_lo, s29
	s_mov_b64 s[4:5], s[0:1]
	s_or_b32 s28, s30, s28
	s_delay_alu instid0(SALU_CYCLE_1)
	s_and_not1_b32 exec_lo, exec_lo, s28
	s_cbranch_execz .LBB1065_195
.LBB1065_193:                           ; =>This Inner Loop Header: Depth=1
	s_or_b32 s29, s29, exec_lo
	s_cmp_eq_u64 s[14:15], s[4:5]
	s_cbranch_scc0 .LBB1065_191
; %bb.194:                              ;   in Loop: Header=BB1065_193 Depth=1
	s_mov_b64 s[4:5], s[14:15]
                                        ; implicit-def: $sgpr0_sgpr1
	s_branch .LBB1065_192
.LBB1065_195:
	s_set_inst_prefetch_distance 0x2
	s_or_b32 exec_lo, exec_lo, s28
	v_cmp_gt_i64_e32 vcc_lo, s[14:15], v[21:22]
	s_or_not1_b32 s0, vcc_lo, exec_lo
.LBB1065_196:
	s_or_b32 exec_lo, exec_lo, s27
	v_cndmask_b32_e64 v17, 0, 1, s26
.LBB1065_197:
	v_and_b32_e32 v18, 0xff, v0
	s_waitcnt vmcnt(0) lgkmcnt(1)
	v_lshlrev_b16 v19, 8, v0
	v_and_b32_e32 v20, 0xff, v0
	v_lshlrev_b16 v21, 8, v0
	v_and_b32_e32 v22, 0xff, v0
	v_lshlrev_b16 v23, 8, v0
	v_lshlrev_b16 v17, 8, v17
	v_cndmask_b32_e64 v24, 0, 1, s0
	v_or_b32_e32 v18, v18, v19
	v_or_b32_e32 v19, v20, v21
	;; [unrolled: 1-line block ×3, first 2 shown]
	v_cmp_ne_u32_e32 vcc_lo, 1, v26
	v_or_b32_e32 v17, v24, v17
	v_and_b32_e32 v18, 0xffff, v18
	v_lshlrev_b32_e32 v19, 16, v19
	v_and_b32_e32 v20, 0xffff, v20
	s_delay_alu instid0(VALU_DEP_4) | instskip(NEXT) | instid1(VALU_DEP_3)
	v_lshlrev_b32_e32 v17, 16, v17
	v_or_b32_e32 v27, v18, v19
	s_delay_alu instid0(VALU_DEP_2)
	v_or_b32_e32 v24, v20, v17
	s_cbranch_vccnz .LBB1065_204
; %bb.198:
	v_mad_u64_u32 v[17:18], null, v5, s14, s[16:17]
	v_mul_lo_u32 v21, v5, s15
	v_mul_lo_u32 v22, v6, s14
	v_mad_u64_u32 v[19:20], null, v7, s14, s[16:17]
	v_mul_lo_u32 v23, v7, s15
	v_mul_lo_u32 v25, v8, s14
	s_mov_b32 s27, 0
	s_delay_alu instid0(VALU_DEP_4) | instskip(NEXT) | instid1(VALU_DEP_2)
	v_add3_u32 v18, v22, v18, v21
	v_add3_u32 v20, v25, v20, v23
	s_clause 0x1
	global_load_u8 v21, v[17:18], off
	global_load_u8 v22, v[19:20], off
	s_waitcnt vmcnt(1)
	v_cmp_ne_u16_e32 vcc_lo, 0, v21
	s_waitcnt vmcnt(0)
	v_cmp_ne_u16_e64 s0, 0, v22
	s_delay_alu instid0(VALU_DEP_1) | instskip(SKIP_2) | instid1(SALU_CYCLE_1)
	s_xor_b32 s1, vcc_lo, s0
	s_mov_b32 s0, -1
	s_xor_b32 s1, s1, -1
	s_and_saveexec_b32 s26, s1
	s_cbranch_execz .LBB1065_206
; %bb.199:
	s_mov_b64 s[4:5], 1
                                        ; implicit-def: $sgpr28
	s_set_inst_prefetch_distance 0x1
	s_branch .LBB1065_202
	.p2align	6
.LBB1065_200:                           ;   in Loop: Header=BB1065_202 Depth=1
	v_add_co_u32 v21, s0, v17, s4
	s_delay_alu instid0(VALU_DEP_1) | instskip(SKIP_1) | instid1(VALU_DEP_1)
	v_add_co_ci_u32_e64 v22, s0, s5, v18, s0
	v_add_co_u32 v28, s0, v19, s4
	v_add_co_ci_u32_e64 v29, s0, s5, v20, s0
	s_clause 0x1
	global_load_u8 v21, v[21:22], off
	global_load_u8 v22, v[28:29], off
	s_waitcnt vmcnt(1)
	v_cmp_ne_u16_e64 s0, 0, v21
	s_waitcnt vmcnt(0)
	v_cmp_ne_u16_e64 s1, 0, v22
	s_delay_alu instid0(VALU_DEP_1) | instskip(SKIP_4) | instid1(SALU_CYCLE_1)
	s_xor_b32 s29, s0, s1
	s_add_u32 s0, s4, 1
	s_addc_u32 s1, s5, 0
	s_and_not1_b32 s28, s28, exec_lo
	s_and_b32 s29, s29, exec_lo
	s_or_b32 s28, s28, s29
.LBB1065_201:                           ;   in Loop: Header=BB1065_202 Depth=1
	v_dual_mov_b32 v22, s5 :: v_dual_mov_b32 v21, s4
	s_and_b32 s29, exec_lo, s28
	s_mov_b64 s[4:5], s[0:1]
	s_or_b32 s27, s29, s27
	s_delay_alu instid0(SALU_CYCLE_1)
	s_and_not1_b32 exec_lo, exec_lo, s27
	s_cbranch_execz .LBB1065_205
.LBB1065_202:                           ; =>This Inner Loop Header: Depth=1
	s_or_b32 s28, s28, exec_lo
	s_cmp_eq_u64 s[14:15], s[4:5]
	s_cbranch_scc0 .LBB1065_200
; %bb.203:                              ;   in Loop: Header=BB1065_202 Depth=1
	s_mov_b64 s[4:5], s[14:15]
                                        ; implicit-def: $sgpr0_sgpr1
	s_branch .LBB1065_201
.LBB1065_204:
                                        ; implicit-def: $sgpr0
                                        ; implicit-def: $vgpr18_vgpr19
	s_cbranch_execnz .LBB1065_214
	s_branch .LBB1065_215
.LBB1065_205:
	s_set_inst_prefetch_distance 0x2
	s_or_b32 exec_lo, exec_lo, s27
	v_cmp_gt_i64_e64 s0, s[14:15], v[21:22]
	s_delay_alu instid0(VALU_DEP_1)
	s_or_not1_b32 s0, s0, exec_lo
.LBB1065_206:
	s_or_b32 exec_lo, exec_lo, s26
	v_mad_u64_u32 v[20:21], null, v11, s14, s[16:17]
	v_mul_lo_u32 v19, v11, s15
	v_mul_lo_u32 v22, v12, s14
	v_and_b32_e32 v23, 0xff, v24
	s_mov_b32 s26, 0
	s_delay_alu instid0(VALU_DEP_2) | instskip(SKIP_3) | instid1(VALU_DEP_1)
	v_add3_u32 v21, v22, v21, v19
	v_cndmask_b32_e64 v22, 0, 1, s0
	global_load_u8 v19, v[20:21], off
	v_lshlrev_b16 v22, 8, v22
	v_or_b32_e32 v22, v23, v22
	s_delay_alu instid0(VALU_DEP_1) | instskip(SKIP_2) | instid1(VALU_DEP_2)
	v_and_b32_e32 v22, 0xffff, v22
	s_waitcnt vmcnt(0)
	v_cmp_ne_u16_e64 s0, 0, v19
	v_and_or_b32 v19, 0xffff0000, v24, v22
	s_delay_alu instid0(VALU_DEP_2) | instskip(SKIP_2) | instid1(SALU_CYCLE_1)
	s_xor_b32 s1, vcc_lo, s0
	s_mov_b32 s0, -1
	s_xor_b32 s1, s1, -1
	s_and_saveexec_b32 s27, s1
	s_cbranch_execz .LBB1065_213
; %bb.207:
	s_mov_b64 s[4:5], 1
	s_mov_b32 s28, 0
                                        ; implicit-def: $sgpr29
	s_set_inst_prefetch_distance 0x1
	s_branch .LBB1065_210
	.p2align	6
.LBB1065_208:                           ;   in Loop: Header=BB1065_210 Depth=1
	v_add_co_u32 v22, vcc_lo, v20, s4
	v_add_co_ci_u32_e32 v23, vcc_lo, s5, v21, vcc_lo
	v_add_co_u32 v28, vcc_lo, v17, s4
	v_add_co_ci_u32_e32 v29, vcc_lo, s5, v18, vcc_lo
	s_clause 0x1
	global_load_u8 v22, v[22:23], off
	global_load_u8 v23, v[28:29], off
	s_waitcnt vmcnt(1)
	v_cmp_ne_u16_e32 vcc_lo, 0, v22
	s_waitcnt vmcnt(0)
	v_cmp_ne_u16_e64 s0, 0, v23
	s_delay_alu instid0(VALU_DEP_1) | instskip(SKIP_4) | instid1(SALU_CYCLE_1)
	s_xor_b32 s30, vcc_lo, s0
	s_add_u32 s0, s4, 1
	s_addc_u32 s1, s5, 0
	s_and_not1_b32 s29, s29, exec_lo
	s_and_b32 s30, s30, exec_lo
	s_or_b32 s29, s29, s30
.LBB1065_209:                           ;   in Loop: Header=BB1065_210 Depth=1
	v_dual_mov_b32 v23, s5 :: v_dual_mov_b32 v22, s4
	s_and_b32 s30, exec_lo, s29
	s_mov_b64 s[4:5], s[0:1]
	s_or_b32 s28, s30, s28
	s_delay_alu instid0(SALU_CYCLE_1)
	s_and_not1_b32 exec_lo, exec_lo, s28
	s_cbranch_execz .LBB1065_212
.LBB1065_210:                           ; =>This Inner Loop Header: Depth=1
	s_or_b32 s29, s29, exec_lo
	s_cmp_eq_u64 s[14:15], s[4:5]
	s_cbranch_scc0 .LBB1065_208
; %bb.211:                              ;   in Loop: Header=BB1065_210 Depth=1
	s_mov_b64 s[4:5], s[14:15]
                                        ; implicit-def: $sgpr0_sgpr1
	s_branch .LBB1065_209
.LBB1065_212:
	s_set_inst_prefetch_distance 0x2
	s_or_b32 exec_lo, exec_lo, s28
	v_cmp_gt_i64_e32 vcc_lo, s[14:15], v[22:23]
	s_or_not1_b32 s0, vcc_lo, exec_lo
.LBB1065_213:
	s_or_b32 exec_lo, exec_lo, s27
	s_delay_alu instid0(SALU_CYCLE_1)
	s_and_b32 vcc_lo, exec_lo, s26
	s_cbranch_vccz .LBB1065_215
.LBB1065_214:
	s_delay_alu instid0(VALU_DEP_1)
	v_and_b32_e32 v19, 0xffff00ff, v24
	s_and_not1_b32 s0, s0, exec_lo
.LBB1065_215:
	s_delay_alu instid0(VALU_DEP_1) | instskip(SKIP_2) | instid1(VALU_DEP_2)
	v_and_b32_e32 v17, 0xffffff00, v19
	v_cndmask_b32_e64 v18, 0, 1, s0
	v_cmp_ne_u32_e32 vcc_lo, 1, v26
	v_or_b32_e32 v17, v18, v17
	s_delay_alu instid0(VALU_DEP_1) | instskip(NEXT) | instid1(VALU_DEP_1)
	v_and_b32_e32 v17, 0xffff, v17
	v_and_or_b32 v18, 0xffff0000, v19, v17
	s_cbranch_vccnz .LBB1065_222
; %bb.216:
	v_mad_u64_u32 v[20:21], null, v9, s14, s[16:17]
	v_mul_lo_u32 v17, v9, s15
	v_mul_lo_u32 v19, v10, s14
	v_mad_u64_u32 v[22:23], null, v11, s14, s[16:17]
	v_mul_lo_u32 v24, v11, s15
	v_mul_lo_u32 v25, v12, s14
	s_delay_alu instid0(VALU_DEP_4) | instskip(NEXT) | instid1(VALU_DEP_2)
	v_add3_u32 v21, v19, v21, v17
	v_add3_u32 v23, v25, v23, v24
	s_clause 0x1
	global_load_u8 v17, v[20:21], off
	global_load_u8 v19, v[22:23], off
	s_waitcnt vmcnt(1)
	v_cmp_ne_u16_e32 vcc_lo, 0, v17
	s_waitcnt vmcnt(0)
	v_cmp_ne_u16_e64 s0, 0, v19
	s_delay_alu instid0(VALU_DEP_1) | instskip(SKIP_2) | instid1(SALU_CYCLE_1)
	s_xor_b32 s1, vcc_lo, s0
	s_mov_b32 s0, -1
	s_xor_b32 s1, s1, -1
	s_and_saveexec_b32 s26, s1
	s_cbranch_execz .LBB1065_224
; %bb.217:
	s_mov_b64 s[4:5], 1
	s_mov_b32 s27, 0
                                        ; implicit-def: $sgpr28
	s_set_inst_prefetch_distance 0x1
	s_branch .LBB1065_220
	.p2align	6
.LBB1065_218:                           ;   in Loop: Header=BB1065_220 Depth=1
	v_add_co_u32 v24, s0, v20, s4
	s_delay_alu instid0(VALU_DEP_1) | instskip(SKIP_1) | instid1(VALU_DEP_1)
	v_add_co_ci_u32_e64 v25, s0, s5, v21, s0
	v_add_co_u32 v28, s0, v22, s4
	v_add_co_ci_u32_e64 v29, s0, s5, v23, s0
	s_clause 0x1
	global_load_u8 v17, v[24:25], off
	global_load_u8 v19, v[28:29], off
	s_waitcnt vmcnt(1)
	v_cmp_ne_u16_e64 s0, 0, v17
	s_waitcnt vmcnt(0)
	v_cmp_ne_u16_e64 s1, 0, v19
	s_delay_alu instid0(VALU_DEP_1) | instskip(SKIP_4) | instid1(SALU_CYCLE_1)
	s_xor_b32 s29, s0, s1
	s_add_u32 s0, s4, 1
	s_addc_u32 s1, s5, 0
	s_and_not1_b32 s28, s28, exec_lo
	s_and_b32 s29, s29, exec_lo
	s_or_b32 s28, s28, s29
.LBB1065_219:                           ;   in Loop: Header=BB1065_220 Depth=1
	v_dual_mov_b32 v25, s5 :: v_dual_mov_b32 v24, s4
	s_and_b32 s29, exec_lo, s28
	s_mov_b64 s[4:5], s[0:1]
	s_or_b32 s27, s29, s27
	s_delay_alu instid0(SALU_CYCLE_1)
	s_and_not1_b32 exec_lo, exec_lo, s27
	s_cbranch_execz .LBB1065_223
.LBB1065_220:                           ; =>This Inner Loop Header: Depth=1
	s_or_b32 s28, s28, exec_lo
	s_cmp_eq_u64 s[14:15], s[4:5]
	s_cbranch_scc0 .LBB1065_218
; %bb.221:                              ;   in Loop: Header=BB1065_220 Depth=1
	s_mov_b64 s[4:5], s[14:15]
                                        ; implicit-def: $sgpr0_sgpr1
	s_branch .LBB1065_219
.LBB1065_222:
                                        ; implicit-def: $sgpr26
                                        ; implicit-def: $vgpr19_vgpr20
	s_cbranch_execnz .LBB1065_232
	s_branch .LBB1065_233
.LBB1065_223:
	s_set_inst_prefetch_distance 0x2
	s_or_b32 exec_lo, exec_lo, s27
	v_cmp_gt_i64_e64 s0, s[14:15], v[24:25]
	s_delay_alu instid0(VALU_DEP_1)
	s_or_not1_b32 s0, s0, exec_lo
.LBB1065_224:
	s_or_b32 exec_lo, exec_lo, s26
	v_mad_u64_u32 v[22:23], null, v15, s14, s[16:17]
	v_mul_lo_u32 v17, v15, s15
	v_mul_lo_u32 v19, v16, s14
	v_cndmask_b32_e64 v24, 0, 1, s0
	s_mov_b32 s27, 0
	s_mov_b32 s26, -1
	s_delay_alu instid0(VALU_DEP_1) | instskip(NEXT) | instid1(VALU_DEP_3)
	v_lshlrev_b16 v24, 8, v24
	v_add3_u32 v23, v19, v23, v17
	v_lshrrev_b32_e32 v19, 16, v27
	global_load_u8 v17, v[22:23], off
	v_and_b32_e32 v19, 0xff, v19
	s_delay_alu instid0(VALU_DEP_1) | instskip(NEXT) | instid1(VALU_DEP_1)
	v_or_b32_e32 v19, v19, v24
	v_lshlrev_b32_e32 v19, 16, v19
	s_delay_alu instid0(VALU_DEP_1) | instskip(SKIP_2) | instid1(VALU_DEP_1)
	v_and_or_b32 v19, 0xffff, v27, v19
	s_waitcnt vmcnt(0)
	v_cmp_ne_u16_e64 s0, 0, v17
	s_xor_b32 s0, vcc_lo, s0
	s_delay_alu instid0(SALU_CYCLE_1) | instskip(NEXT) | instid1(SALU_CYCLE_1)
	s_xor_b32 s0, s0, -1
	s_and_saveexec_b32 s28, s0
	s_cbranch_execz .LBB1065_231
; %bb.225:
	s_mov_b64 s[4:5], 1
	s_mov_b32 s26, 0
                                        ; implicit-def: $sgpr29
	s_set_inst_prefetch_distance 0x1
	s_branch .LBB1065_228
	.p2align	6
.LBB1065_226:                           ;   in Loop: Header=BB1065_228 Depth=1
	v_add_co_u32 v24, vcc_lo, v22, s4
	v_add_co_ci_u32_e32 v25, vcc_lo, s5, v23, vcc_lo
	v_add_co_u32 v28, vcc_lo, v20, s4
	v_add_co_ci_u32_e32 v29, vcc_lo, s5, v21, vcc_lo
	s_clause 0x1
	global_load_u8 v17, v[24:25], off
	global_load_u8 v24, v[28:29], off
	s_waitcnt vmcnt(1)
	v_cmp_ne_u16_e32 vcc_lo, 0, v17
	s_waitcnt vmcnt(0)
	v_cmp_ne_u16_e64 s0, 0, v24
	s_delay_alu instid0(VALU_DEP_1) | instskip(SKIP_4) | instid1(SALU_CYCLE_1)
	s_xor_b32 s30, vcc_lo, s0
	s_add_u32 s0, s4, 1
	s_addc_u32 s1, s5, 0
	s_and_not1_b32 s29, s29, exec_lo
	s_and_b32 s30, s30, exec_lo
	s_or_b32 s29, s29, s30
.LBB1065_227:                           ;   in Loop: Header=BB1065_228 Depth=1
	v_dual_mov_b32 v25, s5 :: v_dual_mov_b32 v24, s4
	s_and_b32 s30, exec_lo, s29
	s_mov_b64 s[4:5], s[0:1]
	s_or_b32 s26, s30, s26
	s_delay_alu instid0(SALU_CYCLE_1)
	s_and_not1_b32 exec_lo, exec_lo, s26
	s_cbranch_execz .LBB1065_230
.LBB1065_228:                           ; =>This Inner Loop Header: Depth=1
	s_or_b32 s29, s29, exec_lo
	s_cmp_eq_u64 s[14:15], s[4:5]
	s_cbranch_scc0 .LBB1065_226
; %bb.229:                              ;   in Loop: Header=BB1065_228 Depth=1
	s_mov_b64 s[4:5], s[14:15]
                                        ; implicit-def: $sgpr0_sgpr1
	s_branch .LBB1065_227
.LBB1065_230:
	s_set_inst_prefetch_distance 0x2
	s_or_b32 exec_lo, exec_lo, s26
	v_cmp_gt_i64_e32 vcc_lo, s[14:15], v[24:25]
	s_or_not1_b32 s26, vcc_lo, exec_lo
.LBB1065_231:
	s_or_b32 exec_lo, exec_lo, s28
	s_delay_alu instid0(SALU_CYCLE_1)
	s_and_b32 vcc_lo, exec_lo, s27
	s_cbranch_vccz .LBB1065_233
.LBB1065_232:
	v_and_b32_e32 v19, 0xffffff, v27
	s_and_not1_b32 s26, s26, exec_lo
.LBB1065_233:
	v_cmp_ne_u32_e32 vcc_lo, 1, v26
	s_mov_b32 s0, 0
	s_cbranch_vccnz .LBB1065_242
; %bb.234:
	v_mad_u64_u32 v[20:21], null, v13, s14, s[16:17]
	v_mul_lo_u32 v17, v13, s15
	v_mul_lo_u32 v24, v14, s14
	v_mad_u64_u32 v[22:23], null, v15, s14, s[16:17]
	v_mul_lo_u32 v25, v15, s15
	v_mul_lo_u32 v27, v16, s14
	s_mov_b32 s28, 0
	s_delay_alu instid0(VALU_DEP_4) | instskip(NEXT) | instid1(VALU_DEP_2)
	v_add3_u32 v21, v24, v21, v17
	v_add3_u32 v23, v27, v23, v25
	s_clause 0x1
	global_load_u8 v17, v[20:21], off
	global_load_u8 v24, v[22:23], off
	s_waitcnt vmcnt(1)
	v_cmp_ne_u16_e32 vcc_lo, 0, v17
	s_waitcnt vmcnt(0)
	v_cmp_ne_u16_e64 s0, 0, v24
	s_delay_alu instid0(VALU_DEP_1) | instskip(SKIP_2) | instid1(SALU_CYCLE_1)
	s_xor_b32 s1, vcc_lo, s0
	s_mov_b32 s0, -1
	s_xor_b32 s1, s1, -1
	s_and_saveexec_b32 s27, s1
	s_cbranch_execz .LBB1065_241
; %bb.235:
	s_mov_b64 s[4:5], 1
                                        ; implicit-def: $sgpr29
	s_set_inst_prefetch_distance 0x1
	s_branch .LBB1065_238
	.p2align	6
.LBB1065_236:                           ;   in Loop: Header=BB1065_238 Depth=1
	v_add_co_u32 v24, vcc_lo, v20, s4
	v_add_co_ci_u32_e32 v25, vcc_lo, s5, v21, vcc_lo
	v_add_co_u32 v27, vcc_lo, v22, s4
	v_add_co_ci_u32_e32 v28, vcc_lo, s5, v23, vcc_lo
	s_clause 0x1
	global_load_u8 v17, v[24:25], off
	global_load_u8 v24, v[27:28], off
	s_waitcnt vmcnt(1)
	v_cmp_ne_u16_e32 vcc_lo, 0, v17
	s_waitcnt vmcnt(0)
	v_cmp_ne_u16_e64 s0, 0, v24
	s_delay_alu instid0(VALU_DEP_1) | instskip(SKIP_4) | instid1(SALU_CYCLE_1)
	s_xor_b32 s30, vcc_lo, s0
	s_add_u32 s0, s4, 1
	s_addc_u32 s1, s5, 0
	s_and_not1_b32 s29, s29, exec_lo
	s_and_b32 s30, s30, exec_lo
	s_or_b32 s29, s29, s30
.LBB1065_237:                           ;   in Loop: Header=BB1065_238 Depth=1
	v_dual_mov_b32 v25, s5 :: v_dual_mov_b32 v24, s4
	s_and_b32 s30, exec_lo, s29
	s_mov_b64 s[4:5], s[0:1]
	s_or_b32 s28, s30, s28
	s_delay_alu instid0(SALU_CYCLE_1)
	s_and_not1_b32 exec_lo, exec_lo, s28
	s_cbranch_execz .LBB1065_240
.LBB1065_238:                           ; =>This Inner Loop Header: Depth=1
	s_or_b32 s29, s29, exec_lo
	s_cmp_eq_u64 s[14:15], s[4:5]
	s_cbranch_scc0 .LBB1065_236
; %bb.239:                              ;   in Loop: Header=BB1065_238 Depth=1
	s_mov_b64 s[4:5], s[14:15]
                                        ; implicit-def: $sgpr0_sgpr1
	s_branch .LBB1065_237
.LBB1065_240:
	s_set_inst_prefetch_distance 0x2
	s_or_b32 exec_lo, exec_lo, s28
	v_cmp_gt_i64_e32 vcc_lo, s[14:15], v[24:25]
	s_or_not1_b32 s0, vcc_lo, exec_lo
.LBB1065_241:
	s_or_b32 exec_lo, exec_lo, s27
.LBB1065_242:
	v_cndmask_b32_e64 v17, 0, 1, s0
	v_lshrrev_b32_e32 v19, 16, v19
	v_cndmask_b32_e64 v20, 0, 1, s26
	s_waitcnt lgkmcnt(0)
	s_barrier
	v_lshlrev_b16 v17, 8, v17
	v_and_b32_e32 v19, 0xffffff00, v19
	buffer_gl0_inv
                                        ; implicit-def: $sgpr0
	v_or_b32_e32 v17, 1, v17
	v_or_b32_e32 v19, v20, v19
	s_delay_alu instid0(VALU_DEP_2) | instskip(NEXT) | instid1(VALU_DEP_2)
	v_and_b32_e32 v17, 0xffff, v17
	v_lshlrev_b32_e32 v19, 16, v19
	s_delay_alu instid0(VALU_DEP_1) | instskip(SKIP_1) | instid1(SALU_CYCLE_1)
	v_or_b32_e32 v17, v17, v19
	s_and_saveexec_b32 s1, s3
	s_xor_b32 s26, exec_lo, s1
	s_cbranch_execz .LBB1065_253
; %bb.243:
	v_cmp_ne_u32_e32 vcc_lo, 1, v26
	s_mov_b32 s0, 0
	s_cbranch_vccnz .LBB1065_252
; %bb.244:
	v_add_nc_u32_e32 v19, -8, v39
	v_mul_lo_u32 v25, v13, s15
	s_mov_b32 s28, 0
	ds_load_b64 v[23:24], v19
	v_mad_u64_u32 v[19:20], null, v13, s14, s[16:17]
	s_waitcnt lgkmcnt(0)
	v_mul_lo_u32 v26, v23, s15
	v_mul_lo_u32 v24, v24, s14
	v_mad_u64_u32 v[21:22], null, v23, s14, s[16:17]
	v_mul_lo_u32 v23, v14, s14
	s_delay_alu instid0(VALU_DEP_2) | instskip(NEXT) | instid1(VALU_DEP_2)
	v_add3_u32 v22, v24, v22, v26
	v_add3_u32 v20, v23, v20, v25
	s_clause 0x1
	global_load_u8 v23, v[21:22], off
	global_load_u8 v24, v[19:20], off
	s_waitcnt vmcnt(1)
	v_cmp_ne_u16_e32 vcc_lo, 0, v23
	s_waitcnt vmcnt(0)
	v_cmp_ne_u16_e64 s0, 0, v24
	s_delay_alu instid0(VALU_DEP_1) | instskip(SKIP_2) | instid1(SALU_CYCLE_1)
	s_xor_b32 s1, vcc_lo, s0
	s_mov_b32 s0, -1
	s_xor_b32 s1, s1, -1
	s_and_saveexec_b32 s27, s1
	s_cbranch_execz .LBB1065_251
; %bb.245:
	s_mov_b64 s[4:5], 1
                                        ; implicit-def: $sgpr29
	s_set_inst_prefetch_distance 0x1
	s_branch .LBB1065_248
	.p2align	6
.LBB1065_246:                           ;   in Loop: Header=BB1065_248 Depth=1
	v_add_co_u32 v23, vcc_lo, v21, s4
	v_add_co_ci_u32_e32 v24, vcc_lo, s5, v22, vcc_lo
	v_add_co_u32 v25, vcc_lo, v19, s4
	v_add_co_ci_u32_e32 v26, vcc_lo, s5, v20, vcc_lo
	s_clause 0x1
	global_load_u8 v23, v[23:24], off
	global_load_u8 v24, v[25:26], off
	s_waitcnt vmcnt(1)
	v_cmp_ne_u16_e32 vcc_lo, 0, v23
	s_waitcnt vmcnt(0)
	v_cmp_ne_u16_e64 s0, 0, v24
	s_delay_alu instid0(VALU_DEP_1) | instskip(SKIP_4) | instid1(SALU_CYCLE_1)
	s_xor_b32 s30, vcc_lo, s0
	s_add_u32 s0, s4, 1
	s_addc_u32 s1, s5, 0
	s_and_not1_b32 s29, s29, exec_lo
	s_and_b32 s30, s30, exec_lo
	s_or_b32 s29, s29, s30
.LBB1065_247:                           ;   in Loop: Header=BB1065_248 Depth=1
	v_dual_mov_b32 v24, s5 :: v_dual_mov_b32 v23, s4
	s_and_b32 s30, exec_lo, s29
	s_mov_b64 s[4:5], s[0:1]
	s_or_b32 s28, s30, s28
	s_delay_alu instid0(SALU_CYCLE_1)
	s_and_not1_b32 exec_lo, exec_lo, s28
	s_cbranch_execz .LBB1065_250
.LBB1065_248:                           ; =>This Inner Loop Header: Depth=1
	s_or_b32 s29, s29, exec_lo
	s_cmp_eq_u64 s[14:15], s[4:5]
	s_cbranch_scc0 .LBB1065_246
; %bb.249:                              ;   in Loop: Header=BB1065_248 Depth=1
	s_mov_b64 s[4:5], s[14:15]
                                        ; implicit-def: $sgpr0_sgpr1
	s_branch .LBB1065_247
.LBB1065_250:
	s_set_inst_prefetch_distance 0x2
	s_or_b32 exec_lo, exec_lo, s28
	v_cmp_gt_i64_e32 vcc_lo, s[14:15], v[23:24]
	s_or_not1_b32 s0, vcc_lo, exec_lo
.LBB1065_251:
	s_or_b32 exec_lo, exec_lo, s27
.LBB1065_252:
	s_delay_alu instid0(SALU_CYCLE_1)
	s_and_b32 s0, s0, exec_lo
	s_or_b32 s6, s6, exec_lo
.LBB1065_253:
	s_or_b32 exec_lo, exec_lo, s26
	s_branch .LBB1065_329
.LBB1065_254:
	v_or_b32_e32 v17, 7, v39
	s_waitcnt lgkmcnt(1)
	v_mul_lo_u32 v24, v1, s15
	v_mul_lo_u32 v26, v2, s14
	s_xor_b32 s7, s7, -1
	s_mov_b32 s1, -1
	v_cmp_gt_u32_e32 vcc_lo, s12, v17
	s_mov_b32 s26, 0
	s_mov_b32 s27, 0
	s_and_b32 s0, vcc_lo, s7
	s_delay_alu instid0(SALU_CYCLE_1)
	s_and_saveexec_b32 s28, s0
	s_cbranch_execz .LBB1065_263
; %bb.255:
	v_mad_u64_u32 v[17:18], null, v1, s14, s[16:17]
	s_waitcnt vmcnt(0)
	v_mad_u64_u32 v[19:20], null, v3, s14, s[16:17]
	v_mul_lo_u32 v21, v3, s15
	v_mul_lo_u32 v22, v4, s14
	s_mov_b32 s29, 0
	s_delay_alu instid0(VALU_DEP_4) | instskip(NEXT) | instid1(VALU_DEP_2)
	v_add3_u32 v18, v26, v18, v24
	v_add3_u32 v20, v22, v20, v21
	s_clause 0x1
	global_load_u8 v21, v[17:18], off
	global_load_u8 v22, v[19:20], off
	s_waitcnt vmcnt(1)
	v_cmp_ne_u16_e32 vcc_lo, 0, v21
	s_waitcnt vmcnt(0)
	v_cmp_ne_u16_e64 s0, 0, v22
	s_delay_alu instid0(VALU_DEP_1) | instskip(NEXT) | instid1(SALU_CYCLE_1)
	s_xor_b32 s0, vcc_lo, s0
	s_xor_b32 s0, s0, -1
	s_delay_alu instid0(SALU_CYCLE_1)
	s_and_saveexec_b32 s27, s0
	s_cbranch_execz .LBB1065_262
; %bb.256:
	s_mov_b64 s[4:5], 1
                                        ; implicit-def: $sgpr30
	s_set_inst_prefetch_distance 0x1
	s_branch .LBB1065_259
	.p2align	6
.LBB1065_257:                           ;   in Loop: Header=BB1065_259 Depth=1
	v_add_co_u32 v21, vcc_lo, v17, s4
	v_add_co_ci_u32_e32 v22, vcc_lo, s5, v18, vcc_lo
	v_add_co_u32 v27, vcc_lo, v19, s4
	v_add_co_ci_u32_e32 v28, vcc_lo, s5, v20, vcc_lo
	s_clause 0x1
	global_load_u8 v21, v[21:22], off
	global_load_u8 v22, v[27:28], off
	s_waitcnt vmcnt(1)
	v_cmp_ne_u16_e32 vcc_lo, 0, v21
	s_waitcnt vmcnt(0)
	v_cmp_ne_u16_e64 s0, 0, v22
	s_delay_alu instid0(VALU_DEP_1) | instskip(SKIP_4) | instid1(SALU_CYCLE_1)
	s_xor_b32 s31, vcc_lo, s0
	s_add_u32 s0, s4, 1
	s_addc_u32 s1, s5, 0
	s_and_not1_b32 s30, s30, exec_lo
	s_and_b32 s31, s31, exec_lo
	s_or_b32 s30, s30, s31
.LBB1065_258:                           ;   in Loop: Header=BB1065_259 Depth=1
	v_dual_mov_b32 v22, s5 :: v_dual_mov_b32 v21, s4
	s_and_b32 s31, exec_lo, s30
	s_mov_b64 s[4:5], s[0:1]
	s_or_b32 s29, s31, s29
	s_delay_alu instid0(SALU_CYCLE_1)
	s_and_not1_b32 exec_lo, exec_lo, s29
	s_cbranch_execz .LBB1065_261
.LBB1065_259:                           ; =>This Inner Loop Header: Depth=1
	s_or_b32 s30, s30, exec_lo
	s_cmp_eq_u64 s[14:15], s[4:5]
	s_cbranch_scc0 .LBB1065_257
; %bb.260:                              ;   in Loop: Header=BB1065_259 Depth=1
	s_mov_b64 s[4:5], s[14:15]
                                        ; implicit-def: $sgpr0_sgpr1
	s_branch .LBB1065_258
.LBB1065_261:
	s_set_inst_prefetch_distance 0x2
	s_or_b32 exec_lo, exec_lo, s29
	v_cmp_gt_i64_e32 vcc_lo, s[14:15], v[21:22]
	s_or_not1_b32 s1, vcc_lo, exec_lo
.LBB1065_262:
	s_or_b32 exec_lo, exec_lo, s27
	s_delay_alu instid0(SALU_CYCLE_1)
	s_and_b32 s27, s1, exec_lo
.LBB1065_263:
	s_or_b32 exec_lo, exec_lo, s28
	v_or_b32_e32 v17, 6, v39
	v_mul_lo_u32 v23, v7, s15
	v_mul_lo_u32 v25, v8, s14
	s_delay_alu instid0(VALU_DEP_3) | instskip(SKIP_1) | instid1(SALU_CYCLE_1)
	v_cmp_gt_u32_e32 vcc_lo, s12, v17
	s_and_b32 s0, vcc_lo, s7
	s_and_saveexec_b32 s28, s0
	s_cbranch_execz .LBB1065_272
; %bb.264:
	v_mad_u64_u32 v[17:18], null, v7, s14, s[16:17]
	s_waitcnt vmcnt(0)
	v_mad_u64_u32 v[19:20], null, v1, s14, s[16:17]
	s_mov_b32 s29, 0
	s_delay_alu instid0(VALU_DEP_2) | instskip(NEXT) | instid1(VALU_DEP_2)
	v_add3_u32 v18, v25, v18, v23
	v_add3_u32 v20, v26, v20, v24
	s_clause 0x1
	global_load_u8 v21, v[17:18], off
	global_load_u8 v22, v[19:20], off
	s_waitcnt vmcnt(1)
	v_cmp_ne_u16_e32 vcc_lo, 0, v21
	s_waitcnt vmcnt(0)
	v_cmp_ne_u16_e64 s0, 0, v22
	s_delay_alu instid0(VALU_DEP_1) | instskip(SKIP_2) | instid1(SALU_CYCLE_1)
	s_xor_b32 s1, vcc_lo, s0
	s_mov_b32 s0, -1
	s_xor_b32 s1, s1, -1
	s_and_saveexec_b32 s26, s1
	s_cbranch_execz .LBB1065_271
; %bb.265:
	s_mov_b64 s[4:5], 1
                                        ; implicit-def: $sgpr30
	s_set_inst_prefetch_distance 0x1
	s_branch .LBB1065_268
	.p2align	6
.LBB1065_266:                           ;   in Loop: Header=BB1065_268 Depth=1
	v_add_co_u32 v21, vcc_lo, v17, s4
	v_add_co_ci_u32_e32 v22, vcc_lo, s5, v18, vcc_lo
	v_add_co_u32 v26, vcc_lo, v19, s4
	v_add_co_ci_u32_e32 v27, vcc_lo, s5, v20, vcc_lo
	s_clause 0x1
	global_load_u8 v21, v[21:22], off
	global_load_u8 v22, v[26:27], off
	s_waitcnt vmcnt(1)
	v_cmp_ne_u16_e32 vcc_lo, 0, v21
	s_waitcnt vmcnt(0)
	v_cmp_ne_u16_e64 s0, 0, v22
	s_delay_alu instid0(VALU_DEP_1) | instskip(SKIP_4) | instid1(SALU_CYCLE_1)
	s_xor_b32 s31, vcc_lo, s0
	s_add_u32 s0, s4, 1
	s_addc_u32 s1, s5, 0
	s_and_not1_b32 s30, s30, exec_lo
	s_and_b32 s31, s31, exec_lo
	s_or_b32 s30, s30, s31
.LBB1065_267:                           ;   in Loop: Header=BB1065_268 Depth=1
	v_dual_mov_b32 v22, s5 :: v_dual_mov_b32 v21, s4
	s_and_b32 s31, exec_lo, s30
	s_mov_b64 s[4:5], s[0:1]
	s_or_b32 s29, s31, s29
	s_delay_alu instid0(SALU_CYCLE_1)
	s_and_not1_b32 exec_lo, exec_lo, s29
	s_cbranch_execz .LBB1065_270
.LBB1065_268:                           ; =>This Inner Loop Header: Depth=1
	s_or_b32 s30, s30, exec_lo
	s_cmp_eq_u64 s[14:15], s[4:5]
	s_cbranch_scc0 .LBB1065_266
; %bb.269:                              ;   in Loop: Header=BB1065_268 Depth=1
	s_mov_b64 s[4:5], s[14:15]
                                        ; implicit-def: $sgpr0_sgpr1
	s_branch .LBB1065_267
.LBB1065_270:
	s_set_inst_prefetch_distance 0x2
	s_or_b32 exec_lo, exec_lo, s29
	v_cmp_gt_i64_e32 vcc_lo, s[14:15], v[21:22]
	s_or_not1_b32 s0, vcc_lo, exec_lo
.LBB1065_271:
	s_or_b32 exec_lo, exec_lo, s26
	s_delay_alu instid0(SALU_CYCLE_1)
	s_and_b32 s26, s0, exec_lo
.LBB1065_272:
	s_or_b32 exec_lo, exec_lo, s28
	v_or_b32_e32 v17, 5, v39
	v_mul_lo_u32 v26, v5, s15
	v_mul_lo_u32 v27, v6, s14
	s_mov_b32 s1, -1
	s_mov_b32 s28, 0
	v_cmp_gt_u32_e32 vcc_lo, s12, v17
	s_mov_b32 s29, 0
	s_and_b32 s0, vcc_lo, s7
	s_delay_alu instid0(SALU_CYCLE_1)
	s_and_saveexec_b32 s30, s0
	s_cbranch_execz .LBB1065_281
; %bb.273:
	v_mad_u64_u32 v[17:18], null, v5, s14, s[16:17]
	s_waitcnt vmcnt(0)
	v_mad_u64_u32 v[19:20], null, v7, s14, s[16:17]
	s_mov_b32 s31, 0
	s_delay_alu instid0(VALU_DEP_2) | instskip(NEXT) | instid1(VALU_DEP_2)
	v_add3_u32 v18, v27, v18, v26
	v_add3_u32 v20, v25, v20, v23
	s_clause 0x1
	global_load_u8 v21, v[17:18], off
	global_load_u8 v22, v[19:20], off
	s_waitcnt vmcnt(1)
	v_cmp_ne_u16_e32 vcc_lo, 0, v21
	s_waitcnt vmcnt(0)
	v_cmp_ne_u16_e64 s0, 0, v22
	s_delay_alu instid0(VALU_DEP_1) | instskip(NEXT) | instid1(SALU_CYCLE_1)
	s_xor_b32 s0, vcc_lo, s0
	s_xor_b32 s0, s0, -1
	s_delay_alu instid0(SALU_CYCLE_1)
	s_and_saveexec_b32 s29, s0
	s_cbranch_execz .LBB1065_280
; %bb.274:
	s_mov_b64 s[4:5], 1
                                        ; implicit-def: $sgpr33
	s_set_inst_prefetch_distance 0x1
	s_branch .LBB1065_277
	.p2align	6
.LBB1065_275:                           ;   in Loop: Header=BB1065_277 Depth=1
	v_add_co_u32 v21, vcc_lo, v17, s4
	v_add_co_ci_u32_e32 v22, vcc_lo, s5, v18, vcc_lo
	v_add_co_u32 v23, vcc_lo, v19, s4
	v_add_co_ci_u32_e32 v24, vcc_lo, s5, v20, vcc_lo
	s_clause 0x1
	global_load_u8 v21, v[21:22], off
	global_load_u8 v22, v[23:24], off
	s_waitcnt vmcnt(1)
	v_cmp_ne_u16_e32 vcc_lo, 0, v21
	s_waitcnt vmcnt(0)
	v_cmp_ne_u16_e64 s0, 0, v22
	s_delay_alu instid0(VALU_DEP_1) | instskip(SKIP_4) | instid1(SALU_CYCLE_1)
	s_xor_b32 s34, vcc_lo, s0
	s_add_u32 s0, s4, 1
	s_addc_u32 s1, s5, 0
	s_and_not1_b32 s33, s33, exec_lo
	s_and_b32 s34, s34, exec_lo
	s_or_b32 s33, s33, s34
.LBB1065_276:                           ;   in Loop: Header=BB1065_277 Depth=1
	v_dual_mov_b32 v22, s5 :: v_dual_mov_b32 v21, s4
	s_and_b32 s34, exec_lo, s33
	s_mov_b64 s[4:5], s[0:1]
	s_or_b32 s31, s34, s31
	s_delay_alu instid0(SALU_CYCLE_1)
	s_and_not1_b32 exec_lo, exec_lo, s31
	s_cbranch_execz .LBB1065_279
.LBB1065_277:                           ; =>This Inner Loop Header: Depth=1
	s_or_b32 s33, s33, exec_lo
	s_cmp_eq_u64 s[14:15], s[4:5]
	s_cbranch_scc0 .LBB1065_275
; %bb.278:                              ;   in Loop: Header=BB1065_277 Depth=1
	s_mov_b64 s[4:5], s[14:15]
                                        ; implicit-def: $sgpr0_sgpr1
	s_branch .LBB1065_276
.LBB1065_279:
	s_set_inst_prefetch_distance 0x2
	s_or_b32 exec_lo, exec_lo, s31
	v_cmp_gt_i64_e32 vcc_lo, s[14:15], v[21:22]
	s_or_not1_b32 s1, vcc_lo, exec_lo
.LBB1065_280:
	s_or_b32 exec_lo, exec_lo, s29
	s_delay_alu instid0(SALU_CYCLE_1)
	s_and_b32 s29, s1, exec_lo
.LBB1065_281:
	s_or_b32 exec_lo, exec_lo, s30
	v_or_b32_e32 v17, 4, v39
	v_mul_lo_u32 v23, v11, s15
	v_mul_lo_u32 v24, v12, s14
	s_delay_alu instid0(VALU_DEP_3) | instskip(SKIP_1) | instid1(SALU_CYCLE_1)
	v_cmp_gt_u32_e32 vcc_lo, s12, v17
	s_and_b32 s0, vcc_lo, s7
	s_and_saveexec_b32 s30, s0
	s_cbranch_execz .LBB1065_290
; %bb.282:
	v_mad_u64_u32 v[17:18], null, v11, s14, s[16:17]
	s_waitcnt vmcnt(0)
	v_mad_u64_u32 v[19:20], null, v5, s14, s[16:17]
	s_mov_b32 s31, 0
	s_delay_alu instid0(VALU_DEP_2) | instskip(NEXT) | instid1(VALU_DEP_2)
	v_add3_u32 v18, v24, v18, v23
	v_add3_u32 v20, v27, v20, v26
	s_clause 0x1
	global_load_u8 v21, v[17:18], off
	global_load_u8 v22, v[19:20], off
	s_waitcnt vmcnt(1)
	v_cmp_ne_u16_e32 vcc_lo, 0, v21
	s_waitcnt vmcnt(0)
	v_cmp_ne_u16_e64 s0, 0, v22
	s_delay_alu instid0(VALU_DEP_1) | instskip(SKIP_2) | instid1(SALU_CYCLE_1)
	s_xor_b32 s1, vcc_lo, s0
	s_mov_b32 s0, -1
	s_xor_b32 s1, s1, -1
	s_and_saveexec_b32 s28, s1
	s_cbranch_execz .LBB1065_289
; %bb.283:
	s_mov_b64 s[4:5], 1
                                        ; implicit-def: $sgpr33
	s_set_inst_prefetch_distance 0x1
	s_branch .LBB1065_286
	.p2align	6
.LBB1065_284:                           ;   in Loop: Header=BB1065_286 Depth=1
	v_add_co_u32 v21, vcc_lo, v17, s4
	v_add_co_ci_u32_e32 v22, vcc_lo, s5, v18, vcc_lo
	v_add_co_u32 v25, vcc_lo, v19, s4
	v_add_co_ci_u32_e32 v26, vcc_lo, s5, v20, vcc_lo
	s_clause 0x1
	global_load_u8 v21, v[21:22], off
	global_load_u8 v22, v[25:26], off
	s_waitcnt vmcnt(1)
	v_cmp_ne_u16_e32 vcc_lo, 0, v21
	s_waitcnt vmcnt(0)
	v_cmp_ne_u16_e64 s0, 0, v22
	s_delay_alu instid0(VALU_DEP_1) | instskip(SKIP_4) | instid1(SALU_CYCLE_1)
	s_xor_b32 s34, vcc_lo, s0
	s_add_u32 s0, s4, 1
	s_addc_u32 s1, s5, 0
	s_and_not1_b32 s33, s33, exec_lo
	s_and_b32 s34, s34, exec_lo
	s_or_b32 s33, s33, s34
.LBB1065_285:                           ;   in Loop: Header=BB1065_286 Depth=1
	v_dual_mov_b32 v22, s5 :: v_dual_mov_b32 v21, s4
	s_and_b32 s34, exec_lo, s33
	s_mov_b64 s[4:5], s[0:1]
	s_or_b32 s31, s34, s31
	s_delay_alu instid0(SALU_CYCLE_1)
	s_and_not1_b32 exec_lo, exec_lo, s31
	s_cbranch_execz .LBB1065_288
.LBB1065_286:                           ; =>This Inner Loop Header: Depth=1
	s_or_b32 s33, s33, exec_lo
	s_cmp_eq_u64 s[14:15], s[4:5]
	s_cbranch_scc0 .LBB1065_284
; %bb.287:                              ;   in Loop: Header=BB1065_286 Depth=1
	s_mov_b64 s[4:5], s[14:15]
                                        ; implicit-def: $sgpr0_sgpr1
	s_branch .LBB1065_285
.LBB1065_288:
	s_set_inst_prefetch_distance 0x2
	s_or_b32 exec_lo, exec_lo, s31
	v_cmp_gt_i64_e32 vcc_lo, s[14:15], v[21:22]
	s_or_not1_b32 s0, vcc_lo, exec_lo
.LBB1065_289:
	s_or_b32 exec_lo, exec_lo, s28
	s_delay_alu instid0(SALU_CYCLE_1)
	s_and_b32 s28, s0, exec_lo
.LBB1065_290:
	s_or_b32 exec_lo, exec_lo, s30
	v_or_b32_e32 v17, 3, v39
	v_mul_lo_u32 v25, v9, s15
	v_mul_lo_u32 v26, v10, s14
	s_mov_b32 s1, -1
	s_mov_b32 s31, 0
	v_cmp_gt_u32_e32 vcc_lo, s12, v17
	s_mov_b32 s30, 0
	s_and_b32 s0, vcc_lo, s7
	s_delay_alu instid0(SALU_CYCLE_1)
	s_and_saveexec_b32 s33, s0
	s_cbranch_execz .LBB1065_299
; %bb.291:
	v_mad_u64_u32 v[17:18], null, v9, s14, s[16:17]
	s_waitcnt vmcnt(0)
	v_mad_u64_u32 v[19:20], null, v11, s14, s[16:17]
	s_mov_b32 s34, 0
	s_delay_alu instid0(VALU_DEP_2) | instskip(NEXT) | instid1(VALU_DEP_2)
	v_add3_u32 v18, v26, v18, v25
	v_add3_u32 v20, v24, v20, v23
	s_clause 0x1
	global_load_u8 v21, v[17:18], off
	global_load_u8 v22, v[19:20], off
	s_waitcnt vmcnt(1)
	v_cmp_ne_u16_e32 vcc_lo, 0, v21
	s_waitcnt vmcnt(0)
	v_cmp_ne_u16_e64 s0, 0, v22
	s_delay_alu instid0(VALU_DEP_1) | instskip(NEXT) | instid1(SALU_CYCLE_1)
	s_xor_b32 s0, vcc_lo, s0
	s_xor_b32 s0, s0, -1
	s_delay_alu instid0(SALU_CYCLE_1)
	s_and_saveexec_b32 s30, s0
	s_cbranch_execz .LBB1065_298
; %bb.292:
	s_mov_b64 s[4:5], 1
                                        ; implicit-def: $sgpr35
	s_set_inst_prefetch_distance 0x1
	s_branch .LBB1065_295
	.p2align	6
.LBB1065_293:                           ;   in Loop: Header=BB1065_295 Depth=1
	v_add_co_u32 v21, vcc_lo, v17, s4
	v_add_co_ci_u32_e32 v22, vcc_lo, s5, v18, vcc_lo
	v_add_co_u32 v23, vcc_lo, v19, s4
	v_add_co_ci_u32_e32 v24, vcc_lo, s5, v20, vcc_lo
	s_clause 0x1
	global_load_u8 v21, v[21:22], off
	global_load_u8 v22, v[23:24], off
	s_waitcnt vmcnt(1)
	v_cmp_ne_u16_e32 vcc_lo, 0, v21
	s_waitcnt vmcnt(0)
	v_cmp_ne_u16_e64 s0, 0, v22
	s_delay_alu instid0(VALU_DEP_1) | instskip(SKIP_4) | instid1(SALU_CYCLE_1)
	s_xor_b32 s36, vcc_lo, s0
	s_add_u32 s0, s4, 1
	s_addc_u32 s1, s5, 0
	s_and_not1_b32 s35, s35, exec_lo
	s_and_b32 s36, s36, exec_lo
	s_or_b32 s35, s35, s36
.LBB1065_294:                           ;   in Loop: Header=BB1065_295 Depth=1
	v_dual_mov_b32 v22, s5 :: v_dual_mov_b32 v21, s4
	s_and_b32 s36, exec_lo, s35
	s_mov_b64 s[4:5], s[0:1]
	s_or_b32 s34, s36, s34
	s_delay_alu instid0(SALU_CYCLE_1)
	s_and_not1_b32 exec_lo, exec_lo, s34
	s_cbranch_execz .LBB1065_297
.LBB1065_295:                           ; =>This Inner Loop Header: Depth=1
	s_or_b32 s35, s35, exec_lo
	s_cmp_eq_u64 s[14:15], s[4:5]
	s_cbranch_scc0 .LBB1065_293
; %bb.296:                              ;   in Loop: Header=BB1065_295 Depth=1
	s_mov_b64 s[4:5], s[14:15]
                                        ; implicit-def: $sgpr0_sgpr1
	s_branch .LBB1065_294
.LBB1065_297:
	s_set_inst_prefetch_distance 0x2
	s_or_b32 exec_lo, exec_lo, s34
	v_cmp_gt_i64_e32 vcc_lo, s[14:15], v[21:22]
	s_or_not1_b32 s1, vcc_lo, exec_lo
.LBB1065_298:
	s_or_b32 exec_lo, exec_lo, s30
	s_delay_alu instid0(SALU_CYCLE_1)
	s_and_b32 s30, s1, exec_lo
.LBB1065_299:
	s_or_b32 exec_lo, exec_lo, s33
	v_or_b32_e32 v17, 2, v39
	v_mul_lo_u32 v23, v15, s15
	v_mul_lo_u32 v24, v16, s14
	s_delay_alu instid0(VALU_DEP_3) | instskip(SKIP_1) | instid1(SALU_CYCLE_1)
	v_cmp_gt_u32_e32 vcc_lo, s12, v17
	s_and_b32 s0, vcc_lo, s7
	s_and_saveexec_b32 s33, s0
	s_cbranch_execz .LBB1065_308
; %bb.300:
	v_mad_u64_u32 v[17:18], null, v15, s14, s[16:17]
	s_waitcnt vmcnt(0)
	v_mad_u64_u32 v[19:20], null, v9, s14, s[16:17]
	s_mov_b32 s34, 0
	s_delay_alu instid0(VALU_DEP_2) | instskip(NEXT) | instid1(VALU_DEP_2)
	v_add3_u32 v18, v24, v18, v23
	v_add3_u32 v20, v26, v20, v25
	s_clause 0x1
	global_load_u8 v21, v[17:18], off
	global_load_u8 v22, v[19:20], off
	s_waitcnt vmcnt(1)
	v_cmp_ne_u16_e32 vcc_lo, 0, v21
	s_waitcnt vmcnt(0)
	v_cmp_ne_u16_e64 s0, 0, v22
	s_delay_alu instid0(VALU_DEP_1) | instskip(SKIP_2) | instid1(SALU_CYCLE_1)
	s_xor_b32 s1, vcc_lo, s0
	s_mov_b32 s0, -1
	s_xor_b32 s1, s1, -1
	s_and_saveexec_b32 s31, s1
	s_cbranch_execz .LBB1065_307
; %bb.301:
	s_mov_b64 s[4:5], 1
                                        ; implicit-def: $sgpr35
	s_set_inst_prefetch_distance 0x1
	s_branch .LBB1065_304
	.p2align	6
.LBB1065_302:                           ;   in Loop: Header=BB1065_304 Depth=1
	v_add_co_u32 v21, vcc_lo, v17, s4
	v_add_co_ci_u32_e32 v22, vcc_lo, s5, v18, vcc_lo
	v_add_co_u32 v25, vcc_lo, v19, s4
	v_add_co_ci_u32_e32 v26, vcc_lo, s5, v20, vcc_lo
	s_clause 0x1
	global_load_u8 v21, v[21:22], off
	global_load_u8 v22, v[25:26], off
	s_waitcnt vmcnt(1)
	v_cmp_ne_u16_e32 vcc_lo, 0, v21
	s_waitcnt vmcnt(0)
	v_cmp_ne_u16_e64 s0, 0, v22
	s_delay_alu instid0(VALU_DEP_1) | instskip(SKIP_4) | instid1(SALU_CYCLE_1)
	s_xor_b32 s36, vcc_lo, s0
	s_add_u32 s0, s4, 1
	s_addc_u32 s1, s5, 0
	s_and_not1_b32 s35, s35, exec_lo
	s_and_b32 s36, s36, exec_lo
	s_or_b32 s35, s35, s36
.LBB1065_303:                           ;   in Loop: Header=BB1065_304 Depth=1
	v_dual_mov_b32 v22, s5 :: v_dual_mov_b32 v21, s4
	s_and_b32 s36, exec_lo, s35
	s_mov_b64 s[4:5], s[0:1]
	s_or_b32 s34, s36, s34
	s_delay_alu instid0(SALU_CYCLE_1)
	s_and_not1_b32 exec_lo, exec_lo, s34
	s_cbranch_execz .LBB1065_306
.LBB1065_304:                           ; =>This Inner Loop Header: Depth=1
	s_or_b32 s35, s35, exec_lo
	s_cmp_eq_u64 s[14:15], s[4:5]
	s_cbranch_scc0 .LBB1065_302
; %bb.305:                              ;   in Loop: Header=BB1065_304 Depth=1
	s_mov_b64 s[4:5], s[14:15]
                                        ; implicit-def: $sgpr0_sgpr1
	s_branch .LBB1065_303
.LBB1065_306:
	s_set_inst_prefetch_distance 0x2
	s_or_b32 exec_lo, exec_lo, s34
	v_cmp_gt_i64_e32 vcc_lo, s[14:15], v[21:22]
	s_or_not1_b32 s0, vcc_lo, exec_lo
.LBB1065_307:
	s_or_b32 exec_lo, exec_lo, s31
	s_delay_alu instid0(SALU_CYCLE_1)
	s_and_b32 s31, s0, exec_lo
.LBB1065_308:
	s_or_b32 exec_lo, exec_lo, s33
	v_or_b32_e32 v17, 1, v39
	s_mov_b32 s1, -1
	s_mov_b32 s0, 0
	s_delay_alu instid0(VALU_DEP_1) | instskip(SKIP_1) | instid1(SALU_CYCLE_1)
	v_cmp_gt_u32_e32 vcc_lo, s12, v17
	s_and_b32 s4, vcc_lo, s7
	s_and_saveexec_b32 s33, s4
	s_cbranch_execz .LBB1065_317
; %bb.309:
	v_mad_u64_u32 v[17:18], null, v13, s14, s[16:17]
	v_mul_lo_u32 v21, v13, s15
	v_mul_lo_u32 v22, v14, s14
	s_waitcnt vmcnt(0)
	v_mad_u64_u32 v[19:20], null, v15, s14, s[16:17]
	s_mov_b32 s35, 0
	s_delay_alu instid0(VALU_DEP_2) | instskip(NEXT) | instid1(VALU_DEP_2)
	v_add3_u32 v18, v22, v18, v21
	v_add3_u32 v20, v24, v20, v23
	s_clause 0x1
	global_load_u8 v21, v[17:18], off
	global_load_u8 v22, v[19:20], off
	s_waitcnt vmcnt(1)
	v_cmp_ne_u16_e32 vcc_lo, 0, v21
	s_waitcnt vmcnt(0)
	v_cmp_ne_u16_e64 s0, 0, v22
	s_delay_alu instid0(VALU_DEP_1) | instskip(NEXT) | instid1(SALU_CYCLE_1)
	s_xor_b32 s0, vcc_lo, s0
	s_xor_b32 s0, s0, -1
	s_delay_alu instid0(SALU_CYCLE_1)
	s_and_saveexec_b32 s34, s0
	s_cbranch_execz .LBB1065_316
; %bb.310:
	s_mov_b64 s[4:5], 1
                                        ; implicit-def: $sgpr36
	s_set_inst_prefetch_distance 0x1
	s_branch .LBB1065_313
	.p2align	6
.LBB1065_311:                           ;   in Loop: Header=BB1065_313 Depth=1
	v_add_co_u32 v21, vcc_lo, v17, s4
	v_add_co_ci_u32_e32 v22, vcc_lo, s5, v18, vcc_lo
	v_add_co_u32 v23, vcc_lo, v19, s4
	v_add_co_ci_u32_e32 v24, vcc_lo, s5, v20, vcc_lo
	s_clause 0x1
	global_load_u8 v21, v[21:22], off
	global_load_u8 v22, v[23:24], off
	s_waitcnt vmcnt(1)
	v_cmp_ne_u16_e32 vcc_lo, 0, v21
	s_waitcnt vmcnt(0)
	v_cmp_ne_u16_e64 s0, 0, v22
	s_delay_alu instid0(VALU_DEP_1) | instskip(SKIP_4) | instid1(SALU_CYCLE_1)
	s_xor_b32 s37, vcc_lo, s0
	s_add_u32 s0, s4, 1
	s_addc_u32 s1, s5, 0
	s_and_not1_b32 s36, s36, exec_lo
	s_and_b32 s37, s37, exec_lo
	s_or_b32 s36, s36, s37
.LBB1065_312:                           ;   in Loop: Header=BB1065_313 Depth=1
	v_dual_mov_b32 v22, s5 :: v_dual_mov_b32 v21, s4
	s_and_b32 s37, exec_lo, s36
	s_mov_b64 s[4:5], s[0:1]
	s_or_b32 s35, s37, s35
	s_delay_alu instid0(SALU_CYCLE_1)
	s_and_not1_b32 exec_lo, exec_lo, s35
	s_cbranch_execz .LBB1065_315
.LBB1065_313:                           ; =>This Inner Loop Header: Depth=1
	s_or_b32 s36, s36, exec_lo
	s_cmp_eq_u64 s[14:15], s[4:5]
	s_cbranch_scc0 .LBB1065_311
; %bb.314:                              ;   in Loop: Header=BB1065_313 Depth=1
	s_mov_b64 s[4:5], s[14:15]
                                        ; implicit-def: $sgpr0_sgpr1
	s_branch .LBB1065_312
.LBB1065_315:
	s_set_inst_prefetch_distance 0x2
	s_or_b32 exec_lo, exec_lo, s35
	v_cmp_gt_i64_e32 vcc_lo, s[14:15], v[21:22]
	s_or_not1_b32 s1, vcc_lo, exec_lo
.LBB1065_316:
	s_or_b32 exec_lo, exec_lo, s34
	s_delay_alu instid0(SALU_CYCLE_1)
	s_and_b32 s0, s1, exec_lo
.LBB1065_317:
	s_or_b32 exec_lo, exec_lo, s33
	v_cndmask_b32_e64 v18, 0, 1, s30
	s_waitcnt vmcnt(0)
	v_cndmask_b32_e64 v19, 0, 1, s29
	v_cndmask_b32_e64 v20, 0, 1, s27
	;; [unrolled: 1-line block ×6, first 2 shown]
	v_lshlrev_b16 v19, 8, v19
	v_lshlrev_b16 v20, 8, v20
	;; [unrolled: 1-line block ×4, first 2 shown]
	s_waitcnt lgkmcnt(0)
	v_or_b32_e32 v19, v22, v19
	v_or_b32_e32 v20, v23, v20
	v_or_b32_e32 v21, 1, v21
	v_or_b32_e32 v17, v17, v18
	s_barrier
	v_and_b32_e32 v18, 0xffff, v19
	v_lshlrev_b32_e32 v19, 16, v20
	v_and_b32_e32 v20, 0xffff, v21
	v_lshlrev_b32_e32 v17, 16, v17
	buffer_gl0_inv
                                        ; implicit-def: $sgpr0
	v_or_b32_e32 v18, v18, v19
	v_or_b32_e32 v17, v20, v17
	s_and_saveexec_b32 s26, s3
	s_cbranch_execz .LBB1065_328
; %bb.318:
	v_cmp_gt_u32_e32 vcc_lo, s12, v39
	s_mov_b32 s1, -1
	s_mov_b32 s0, 0
	s_and_b32 s4, vcc_lo, s7
	s_delay_alu instid0(SALU_CYCLE_1)
	s_and_saveexec_b32 s3, s4
	s_cbranch_execz .LBB1065_327
; %bb.319:
	v_add_nc_u32_e32 v19, -8, v39
	v_mul_lo_u32 v25, v13, s15
	ds_load_b64 v[23:24], v19
	v_mad_u64_u32 v[19:20], null, v13, s14, s[16:17]
	s_waitcnt lgkmcnt(0)
	v_mul_lo_u32 v26, v23, s15
	v_mul_lo_u32 v24, v24, s14
	v_mad_u64_u32 v[21:22], null, v23, s14, s[16:17]
	v_mul_lo_u32 v23, v14, s14
	s_mov_b32 s16, 0
	s_delay_alu instid0(VALU_DEP_2) | instskip(NEXT) | instid1(VALU_DEP_2)
	v_add3_u32 v22, v24, v22, v26
	v_add3_u32 v20, v23, v20, v25
	s_clause 0x1
	global_load_u8 v23, v[21:22], off
	global_load_u8 v24, v[19:20], off
	s_waitcnt vmcnt(1)
	v_cmp_ne_u16_e32 vcc_lo, 0, v23
	s_waitcnt vmcnt(0)
	v_cmp_ne_u16_e64 s0, 0, v24
	s_delay_alu instid0(VALU_DEP_1) | instskip(NEXT) | instid1(SALU_CYCLE_1)
	s_xor_b32 s0, vcc_lo, s0
	s_xor_b32 s0, s0, -1
	s_delay_alu instid0(SALU_CYCLE_1)
	s_and_saveexec_b32 s7, s0
	s_cbranch_execz .LBB1065_326
; %bb.320:
	s_mov_b64 s[4:5], 1
                                        ; implicit-def: $sgpr17
	s_set_inst_prefetch_distance 0x1
	s_branch .LBB1065_323
	.p2align	6
.LBB1065_321:                           ;   in Loop: Header=BB1065_323 Depth=1
	v_add_co_u32 v23, vcc_lo, v21, s4
	v_add_co_ci_u32_e32 v24, vcc_lo, s5, v22, vcc_lo
	v_add_co_u32 v25, vcc_lo, v19, s4
	v_add_co_ci_u32_e32 v26, vcc_lo, s5, v20, vcc_lo
	s_clause 0x1
	global_load_u8 v23, v[23:24], off
	global_load_u8 v24, v[25:26], off
	s_waitcnt vmcnt(1)
	v_cmp_ne_u16_e32 vcc_lo, 0, v23
	s_waitcnt vmcnt(0)
	v_cmp_ne_u16_e64 s0, 0, v24
	s_delay_alu instid0(VALU_DEP_1) | instskip(SKIP_4) | instid1(SALU_CYCLE_1)
	s_xor_b32 s27, vcc_lo, s0
	s_add_u32 s0, s4, 1
	s_addc_u32 s1, s5, 0
	s_and_not1_b32 s17, s17, exec_lo
	s_and_b32 s27, s27, exec_lo
	s_or_b32 s17, s17, s27
.LBB1065_322:                           ;   in Loop: Header=BB1065_323 Depth=1
	v_dual_mov_b32 v24, s5 :: v_dual_mov_b32 v23, s4
	s_and_b32 s27, exec_lo, s17
	s_mov_b64 s[4:5], s[0:1]
	s_or_b32 s16, s27, s16
	s_delay_alu instid0(SALU_CYCLE_1)
	s_and_not1_b32 exec_lo, exec_lo, s16
	s_cbranch_execz .LBB1065_325
.LBB1065_323:                           ; =>This Inner Loop Header: Depth=1
	s_or_b32 s17, s17, exec_lo
	s_cmp_eq_u64 s[14:15], s[4:5]
	s_cbranch_scc0 .LBB1065_321
; %bb.324:                              ;   in Loop: Header=BB1065_323 Depth=1
	s_mov_b64 s[4:5], s[14:15]
                                        ; implicit-def: $sgpr0_sgpr1
	s_branch .LBB1065_322
.LBB1065_325:
	s_set_inst_prefetch_distance 0x2
	s_or_b32 exec_lo, exec_lo, s16
	v_cmp_gt_i64_e32 vcc_lo, s[14:15], v[23:24]
	s_or_not1_b32 s1, vcc_lo, exec_lo
.LBB1065_326:
	s_or_b32 exec_lo, exec_lo, s7
	s_delay_alu instid0(SALU_CYCLE_1)
	s_and_b32 s0, s1, exec_lo
.LBB1065_327:
	s_or_b32 exec_lo, exec_lo, s3
	s_delay_alu instid0(SALU_CYCLE_1)
	s_and_b32 s0, s0, exec_lo
	s_or_b32 s6, s6, exec_lo
.LBB1065_328:
	s_or_b32 exec_lo, exec_lo, s26
.LBB1065_329:
	s_and_saveexec_b32 s1, s6
	s_cbranch_execz .LBB1065_331
; %bb.330:
	s_waitcnt vmcnt(0) lgkmcnt(0)
	v_and_b32_e32 v19, 0xffffff00, v17
	v_cndmask_b32_e64 v20, 0, 1, s0
	s_delay_alu instid0(VALU_DEP_1) | instskip(NEXT) | instid1(VALU_DEP_1)
	v_or_b32_e32 v19, v20, v19
	v_and_b32_e32 v19, 0xffff, v19
	s_delay_alu instid0(VALU_DEP_1)
	v_and_or_b32 v17, 0xffff0000, v17, v19
.LBB1065_331:
	s_or_b32 exec_lo, exec_lo, s1
	s_delay_alu instid0(SALU_CYCLE_1)
	s_and_not1_b32 vcc_lo, exec_lo, s24
	s_cbranch_vccnz .LBB1065_333
; %bb.332:
	v_cmp_gt_u32_e32 vcc_lo, s12, v39
	s_waitcnt vmcnt(0) lgkmcnt(0)
	v_or_b32_e32 v20, 1, v39
	v_and_b32_e32 v21, 0xffffff00, v18
	v_or_b32_e32 v22, 2, v39
	v_cndmask_b32_e32 v19, 0, v17, vcc_lo
	s_delay_alu instid0(VALU_DEP_4) | instskip(SKIP_1) | instid1(VALU_DEP_4)
	v_cmp_gt_u32_e32 vcc_lo, s12, v20
	v_or_b32_e32 v20, 4, v39
	v_cmp_gt_u32_e64 s0, s12, v22
	v_or_b32_e32 v22, 3, v39
	v_and_b32_e32 v19, 0xff, v19
	s_delay_alu instid0(VALU_DEP_2) | instskip(NEXT) | instid1(VALU_DEP_2)
	v_cmp_gt_u32_e64 s1, s12, v22
	v_cndmask_b32_e32 v19, v19, v17, vcc_lo
	v_cmp_gt_u32_e32 vcc_lo, s12, v20
	v_cndmask_b32_e32 v20, v21, v18, vcc_lo
	v_or_b32_e32 v21, 5, v39
	s_delay_alu instid0(VALU_DEP_2) | instskip(SKIP_1) | instid1(VALU_DEP_1)
	v_and_b32_e32 v20, 0xffff00ff, v20
	v_and_b32_e32 v19, 0xffff, v19
	v_cndmask_b32_e64 v19, v19, v17, s0
	s_delay_alu instid0(VALU_DEP_4) | instskip(SKIP_1) | instid1(VALU_DEP_3)
	v_cmp_gt_u32_e64 s0, s12, v21
	v_or_b32_e32 v21, 6, v39
	v_and_b32_e32 v19, 0xffffff, v19
	s_delay_alu instid0(VALU_DEP_3) | instskip(NEXT) | instid1(VALU_DEP_2)
	v_cndmask_b32_e64 v20, v20, v18, s0
	v_cndmask_b32_e64 v19, v19, v17, s1
	s_delay_alu instid0(VALU_DEP_1) | instskip(SKIP_2) | instid1(VALU_DEP_3)
	v_dual_cndmask_b32 v19, v19, v17 :: v_dual_and_b32 v20, 0xff00ffff, v20
	v_cmp_gt_u32_e32 vcc_lo, s12, v21
	v_or_b32_e32 v21, 7, v39
	v_cndmask_b32_e64 v19, v19, v17, s0
	s_delay_alu instid0(VALU_DEP_1) | instskip(NEXT) | instid1(VALU_DEP_1)
	v_dual_cndmask_b32 v20, v20, v18 :: v_dual_cndmask_b32 v19, v19, v17
	v_and_b32_e32 v20, 0xffffff, v20
	s_delay_alu instid0(VALU_DEP_4) | instskip(NEXT) | instid1(VALU_DEP_2)
	v_cmp_gt_u32_e32 vcc_lo, s12, v21
	v_dual_cndmask_b32 v18, v20, v18 :: v_dual_cndmask_b32 v17, v19, v17
.LBB1065_333:
	s_delay_alu instid0(VALU_DEP_1) | instskip(SKIP_1) | instid1(VALU_DEP_2)
	v_and_b32_e32 v26, 0xff, v17
	s_waitcnt vmcnt(0) lgkmcnt(0)
	v_alignbit_b32 v19, v18, v17, 24
	v_bfe_u32 v28, v17, 8, 8
	v_bfe_u32 v30, v17, 16, 8
	v_and_b32_e32 v34, 0xff, v18
	v_bfe_u32 v36, v18, 8, 8
	v_and_b32_e32 v32, 0xff, v19
	v_add_nc_u32_e32 v19, v28, v26
	v_mbcnt_lo_u32_b32 v41, -1, 0
	v_bfe_u32 v38, v18, 16, 8
	v_lshrrev_b32_e32 v40, 24, v18
	v_lshrrev_b32_e32 v42, 5, v0
	v_add3_u32 v19, v19, v30, v32
	v_and_b32_e32 v20, 15, v41
	v_and_b32_e32 v21, 16, v41
	s_and_b32 vcc_lo, exec_lo, s25
	s_mov_b32 s7, -1
	v_add3_u32 v19, v19, v34, v36
	v_cmp_eq_u32_e64 s3, 0, v20
	v_cmp_lt_u32_e64 s0, 1, v20
	v_cmp_lt_u32_e64 s4, 3, v20
	;; [unrolled: 1-line block ×3, first 2 shown]
	v_add3_u32 v43, v19, v38, v40
	v_or_b32_e32 v19, 31, v0
	v_cmp_eq_u32_e64 s6, 0, v21
	s_barrier
	buffer_gl0_inv
	v_cmp_eq_u32_e64 s5, v19, v0
	s_cbranch_vccz .LBB1065_364
; %bb.334:
	v_mov_b32_dpp v19, v43 row_shr:1 row_mask:0xf bank_mask:0xf
	s_delay_alu instid0(VALU_DEP_1) | instskip(NEXT) | instid1(VALU_DEP_1)
	v_cndmask_b32_e64 v19, v19, 0, s3
	v_add_nc_u32_e32 v19, v19, v43
	s_delay_alu instid0(VALU_DEP_1) | instskip(NEXT) | instid1(VALU_DEP_1)
	v_mov_b32_dpp v20, v19 row_shr:2 row_mask:0xf bank_mask:0xf
	v_cndmask_b32_e64 v20, 0, v20, s0
	s_delay_alu instid0(VALU_DEP_1) | instskip(NEXT) | instid1(VALU_DEP_1)
	v_add_nc_u32_e32 v19, v19, v20
	v_mov_b32_dpp v20, v19 row_shr:4 row_mask:0xf bank_mask:0xf
	s_delay_alu instid0(VALU_DEP_1) | instskip(NEXT) | instid1(VALU_DEP_1)
	v_cndmask_b32_e64 v20, 0, v20, s4
	v_add_nc_u32_e32 v19, v19, v20
	s_delay_alu instid0(VALU_DEP_1) | instskip(NEXT) | instid1(VALU_DEP_1)
	v_mov_b32_dpp v20, v19 row_shr:8 row_mask:0xf bank_mask:0xf
	v_cndmask_b32_e64 v20, 0, v20, s1
	s_delay_alu instid0(VALU_DEP_1) | instskip(SKIP_3) | instid1(VALU_DEP_1)
	v_add_nc_u32_e32 v19, v19, v20
	ds_swizzle_b32 v20, v19 offset:swizzle(BROADCAST,32,15)
	s_waitcnt lgkmcnt(0)
	v_cndmask_b32_e64 v20, v20, 0, s6
	v_add_nc_u32_e32 v19, v19, v20
	s_and_saveexec_b32 s7, s5
	s_cbranch_execz .LBB1065_336
; %bb.335:
	v_lshlrev_b32_e32 v20, 2, v42
	ds_store_b32 v20, v19
.LBB1065_336:
	s_or_b32 exec_lo, exec_lo, s7
	s_delay_alu instid0(SALU_CYCLE_1)
	s_mov_b32 s7, exec_lo
	s_waitcnt lgkmcnt(0)
	s_barrier
	buffer_gl0_inv
	v_cmpx_gt_u32_e32 16, v0
	s_cbranch_execz .LBB1065_338
; %bb.337:
	v_lshlrev_b32_e32 v20, 2, v0
	ds_load_b32 v21, v20
	s_waitcnt lgkmcnt(0)
	v_mov_b32_dpp v22, v21 row_shr:1 row_mask:0xf bank_mask:0xf
	s_delay_alu instid0(VALU_DEP_1) | instskip(NEXT) | instid1(VALU_DEP_1)
	v_cndmask_b32_e64 v22, v22, 0, s3
	v_add_nc_u32_e32 v21, v22, v21
	s_delay_alu instid0(VALU_DEP_1) | instskip(NEXT) | instid1(VALU_DEP_1)
	v_mov_b32_dpp v22, v21 row_shr:2 row_mask:0xf bank_mask:0xf
	v_cndmask_b32_e64 v22, 0, v22, s0
	s_delay_alu instid0(VALU_DEP_1) | instskip(NEXT) | instid1(VALU_DEP_1)
	v_add_nc_u32_e32 v21, v21, v22
	v_mov_b32_dpp v22, v21 row_shr:4 row_mask:0xf bank_mask:0xf
	s_delay_alu instid0(VALU_DEP_1) | instskip(NEXT) | instid1(VALU_DEP_1)
	v_cndmask_b32_e64 v22, 0, v22, s4
	v_add_nc_u32_e32 v21, v21, v22
	s_delay_alu instid0(VALU_DEP_1) | instskip(NEXT) | instid1(VALU_DEP_1)
	v_mov_b32_dpp v22, v21 row_shr:8 row_mask:0xf bank_mask:0xf
	v_cndmask_b32_e64 v22, 0, v22, s1
	s_delay_alu instid0(VALU_DEP_1)
	v_add_nc_u32_e32 v21, v21, v22
	ds_store_b32 v20, v21
.LBB1065_338:
	s_or_b32 exec_lo, exec_lo, s7
	v_cmp_gt_u32_e32 vcc_lo, 32, v0
	s_mov_b32 s12, exec_lo
	s_waitcnt lgkmcnt(0)
	s_barrier
	buffer_gl0_inv
                                        ; implicit-def: $vgpr27
	v_cmpx_lt_u32_e32 31, v0
	s_cbranch_execz .LBB1065_340
; %bb.339:
	v_lshl_add_u32 v20, v42, 2, -4
	ds_load_b32 v27, v20
	s_waitcnt lgkmcnt(0)
	v_add_nc_u32_e32 v19, v27, v19
.LBB1065_340:
	s_or_b32 exec_lo, exec_lo, s12
	v_add_nc_u32_e32 v20, -1, v41
	s_delay_alu instid0(VALU_DEP_1) | instskip(NEXT) | instid1(VALU_DEP_1)
	v_cmp_gt_i32_e64 s7, 0, v20
	v_cndmask_b32_e64 v20, v20, v41, s7
	v_cmp_eq_u32_e64 s7, 0, v41
	s_delay_alu instid0(VALU_DEP_2)
	v_lshlrev_b32_e32 v20, 2, v20
	ds_bpermute_b32 v29, v20, v19
	s_and_saveexec_b32 s12, vcc_lo
	s_cbranch_execz .LBB1065_363
; %bb.341:
	v_mov_b32_e32 v22, 0
	ds_load_b32 v19, v22 offset:60
	s_and_saveexec_b32 s14, s7
	s_cbranch_execz .LBB1065_343
; %bb.342:
	s_add_i32 s16, s23, 32
	s_mov_b32 s17, 0
	v_mov_b32_e32 v20, 1
	s_lshl_b64 s[16:17], s[16:17], 3
	s_delay_alu instid0(SALU_CYCLE_1)
	s_add_u32 s16, s18, s16
	s_addc_u32 s17, s19, s17
	s_waitcnt lgkmcnt(0)
	global_store_b64 v22, v[19:20], s[16:17]
.LBB1065_343:
	s_or_b32 exec_lo, exec_lo, s14
	v_xad_u32 v20, v41, -1, s23
	s_mov_b32 s15, 0
	s_mov_b32 s14, exec_lo
	s_delay_alu instid0(VALU_DEP_1) | instskip(NEXT) | instid1(VALU_DEP_1)
	v_add_nc_u32_e32 v21, 32, v20
	v_lshlrev_b64 v[21:22], 3, v[21:22]
	s_delay_alu instid0(VALU_DEP_1) | instskip(NEXT) | instid1(VALU_DEP_2)
	v_add_co_u32 v24, vcc_lo, s18, v21
	v_add_co_ci_u32_e32 v25, vcc_lo, s19, v22, vcc_lo
	global_load_b64 v[22:23], v[24:25], off glc
	s_waitcnt vmcnt(0)
	v_and_b32_e32 v21, 0xff, v23
	s_delay_alu instid0(VALU_DEP_1)
	v_cmpx_eq_u16_e32 0, v21
	s_cbranch_execz .LBB1065_349
; %bb.344:
	s_mov_b32 s16, 1
	.p2align	6
.LBB1065_345:                           ; =>This Loop Header: Depth=1
                                        ;     Child Loop BB1065_346 Depth 2
	s_delay_alu instid0(SALU_CYCLE_1)
	s_max_u32 s17, s16, 1
.LBB1065_346:                           ;   Parent Loop BB1065_345 Depth=1
                                        ; =>  This Inner Loop Header: Depth=2
	s_delay_alu instid0(SALU_CYCLE_1)
	s_add_i32 s17, s17, -1
	s_sleep 1
	s_cmp_eq_u32 s17, 0
	s_cbranch_scc0 .LBB1065_346
; %bb.347:                              ;   in Loop: Header=BB1065_345 Depth=1
	global_load_b64 v[22:23], v[24:25], off glc
	s_cmp_lt_u32 s16, 32
	s_cselect_b32 s17, -1, 0
	s_delay_alu instid0(SALU_CYCLE_1) | instskip(SKIP_3) | instid1(VALU_DEP_1)
	s_cmp_lg_u32 s17, 0
	s_addc_u32 s16, s16, 0
	s_waitcnt vmcnt(0)
	v_and_b32_e32 v21, 0xff, v23
	v_cmp_ne_u16_e32 vcc_lo, 0, v21
	s_or_b32 s15, vcc_lo, s15
	s_delay_alu instid0(SALU_CYCLE_1)
	s_and_not1_b32 exec_lo, exec_lo, s15
	s_cbranch_execnz .LBB1065_345
; %bb.348:
	s_or_b32 exec_lo, exec_lo, s15
.LBB1065_349:
	s_delay_alu instid0(SALU_CYCLE_1)
	s_or_b32 exec_lo, exec_lo, s14
	v_cmp_ne_u32_e32 vcc_lo, 31, v41
	v_lshlrev_b32_e64 v33, v41, -1
	v_add_nc_u32_e32 v37, 2, v41
	v_add_nc_u32_e32 v45, 4, v41
	;; [unrolled: 1-line block ×3, first 2 shown]
	v_add_co_ci_u32_e32 v21, vcc_lo, 0, v41, vcc_lo
	v_add_nc_u32_e32 v50, 16, v41
	s_delay_alu instid0(VALU_DEP_2)
	v_lshlrev_b32_e32 v31, 2, v21
	v_and_b32_e32 v21, 0xff, v23
	ds_bpermute_b32 v24, v31, v22
	v_cmp_eq_u16_e32 vcc_lo, 2, v21
	v_and_or_b32 v21, vcc_lo, v33, 0x80000000
	v_cmp_gt_u32_e32 vcc_lo, 30, v41
	s_delay_alu instid0(VALU_DEP_2) | instskip(SKIP_1) | instid1(VALU_DEP_2)
	v_ctz_i32_b32_e32 v21, v21
	v_cndmask_b32_e64 v25, 0, 1, vcc_lo
	v_cmp_lt_u32_e32 vcc_lo, v41, v21
	s_waitcnt lgkmcnt(0)
	s_delay_alu instid0(VALU_DEP_2) | instskip(NEXT) | instid1(VALU_DEP_1)
	v_dual_cndmask_b32 v24, 0, v24 :: v_dual_lshlrev_b32 v25, 1, v25
	v_add_lshl_u32 v35, v25, v41, 2
	v_cmp_gt_u32_e32 vcc_lo, 28, v41
	s_delay_alu instid0(VALU_DEP_3) | instskip(SKIP_4) | instid1(VALU_DEP_1)
	v_add_nc_u32_e32 v22, v24, v22
	v_cndmask_b32_e64 v25, 0, 1, vcc_lo
	v_cmp_le_u32_e32 vcc_lo, v37, v21
	ds_bpermute_b32 v24, v35, v22
	v_lshlrev_b32_e32 v25, 2, v25
	v_add_lshl_u32 v44, v25, v41, 2
	s_waitcnt lgkmcnt(0)
	v_cndmask_b32_e32 v24, 0, v24, vcc_lo
	v_cmp_gt_u32_e32 vcc_lo, 24, v41
	s_delay_alu instid0(VALU_DEP_2) | instskip(SKIP_4) | instid1(VALU_DEP_1)
	v_add_nc_u32_e32 v22, v22, v24
	v_cndmask_b32_e64 v25, 0, 1, vcc_lo
	v_cmp_le_u32_e32 vcc_lo, v45, v21
	ds_bpermute_b32 v24, v44, v22
	v_lshlrev_b32_e32 v25, 3, v25
	v_add_lshl_u32 v47, v25, v41, 2
	s_waitcnt lgkmcnt(0)
	v_cndmask_b32_e32 v24, 0, v24, vcc_lo
	v_cmp_gt_u32_e32 vcc_lo, 16, v41
	s_delay_alu instid0(VALU_DEP_2) | instskip(SKIP_4) | instid1(VALU_DEP_1)
	v_add_nc_u32_e32 v22, v22, v24
	v_cndmask_b32_e64 v25, 0, 1, vcc_lo
	v_cmp_le_u32_e32 vcc_lo, v48, v21
	ds_bpermute_b32 v24, v47, v22
	v_lshlrev_b32_e32 v25, 4, v25
	v_add_lshl_u32 v49, v25, v41, 2
	s_waitcnt lgkmcnt(0)
	v_cndmask_b32_e32 v24, 0, v24, vcc_lo
	v_cmp_le_u32_e32 vcc_lo, v50, v21
	s_delay_alu instid0(VALU_DEP_2) | instskip(SKIP_3) | instid1(VALU_DEP_1)
	v_add_nc_u32_e32 v22, v22, v24
	ds_bpermute_b32 v24, v49, v22
	s_waitcnt lgkmcnt(0)
	v_cndmask_b32_e32 v21, 0, v24, vcc_lo
	v_dual_mov_b32 v21, 0 :: v_dual_add_nc_u32 v22, v22, v21
	s_branch .LBB1065_351
.LBB1065_350:                           ;   in Loop: Header=BB1065_351 Depth=1
	s_or_b32 exec_lo, exec_lo, s14
	ds_bpermute_b32 v25, v31, v22
	v_and_b32_e32 v24, 0xff, v23
	v_subrev_nc_u32_e32 v20, 32, v20
	s_delay_alu instid0(VALU_DEP_2) | instskip(SKIP_1) | instid1(VALU_DEP_1)
	v_cmp_eq_u16_e32 vcc_lo, 2, v24
	v_and_or_b32 v24, vcc_lo, v33, 0x80000000
	v_ctz_i32_b32_e32 v24, v24
	s_delay_alu instid0(VALU_DEP_1) | instskip(SKIP_3) | instid1(VALU_DEP_2)
	v_cmp_lt_u32_e32 vcc_lo, v41, v24
	s_waitcnt lgkmcnt(0)
	v_cndmask_b32_e32 v25, 0, v25, vcc_lo
	v_cmp_le_u32_e32 vcc_lo, v37, v24
	v_add_nc_u32_e32 v22, v25, v22
	ds_bpermute_b32 v25, v35, v22
	s_waitcnt lgkmcnt(0)
	v_cndmask_b32_e32 v25, 0, v25, vcc_lo
	v_cmp_le_u32_e32 vcc_lo, v45, v24
	s_delay_alu instid0(VALU_DEP_2) | instskip(SKIP_4) | instid1(VALU_DEP_2)
	v_add_nc_u32_e32 v22, v22, v25
	ds_bpermute_b32 v25, v44, v22
	s_waitcnt lgkmcnt(0)
	v_cndmask_b32_e32 v25, 0, v25, vcc_lo
	v_cmp_le_u32_e32 vcc_lo, v48, v24
	v_add_nc_u32_e32 v22, v22, v25
	ds_bpermute_b32 v25, v47, v22
	s_waitcnt lgkmcnt(0)
	v_cndmask_b32_e32 v25, 0, v25, vcc_lo
	v_cmp_le_u32_e32 vcc_lo, v50, v24
	s_delay_alu instid0(VALU_DEP_2) | instskip(SKIP_3) | instid1(VALU_DEP_1)
	v_add_nc_u32_e32 v22, v22, v25
	ds_bpermute_b32 v25, v49, v22
	s_waitcnt lgkmcnt(0)
	v_cndmask_b32_e32 v24, 0, v25, vcc_lo
	v_add3_u32 v22, v24, v46, v22
.LBB1065_351:                           ; =>This Loop Header: Depth=1
                                        ;     Child Loop BB1065_354 Depth 2
                                        ;       Child Loop BB1065_355 Depth 3
	s_delay_alu instid0(VALU_DEP_1) | instskip(NEXT) | instid1(VALU_DEP_1)
	v_dual_mov_b32 v46, v22 :: v_dual_and_b32 v23, 0xff, v23
	v_cmp_ne_u16_e32 vcc_lo, 2, v23
	v_cndmask_b32_e64 v23, 0, 1, vcc_lo
	;;#ASMSTART
	;;#ASMEND
	s_delay_alu instid0(VALU_DEP_1)
	v_cmp_ne_u32_e32 vcc_lo, 0, v23
	s_cmp_lg_u32 vcc_lo, exec_lo
	s_cbranch_scc1 .LBB1065_358
; %bb.352:                              ;   in Loop: Header=BB1065_351 Depth=1
	v_lshlrev_b64 v[22:23], 3, v[20:21]
	s_mov_b32 s14, exec_lo
	s_delay_alu instid0(VALU_DEP_1) | instskip(NEXT) | instid1(VALU_DEP_2)
	v_add_co_u32 v24, vcc_lo, s18, v22
	v_add_co_ci_u32_e32 v25, vcc_lo, s19, v23, vcc_lo
	global_load_b64 v[22:23], v[24:25], off glc
	s_waitcnt vmcnt(0)
	v_and_b32_e32 v51, 0xff, v23
	s_delay_alu instid0(VALU_DEP_1)
	v_cmpx_eq_u16_e32 0, v51
	s_cbranch_execz .LBB1065_350
; %bb.353:                              ;   in Loop: Header=BB1065_351 Depth=1
	s_mov_b32 s16, 1
	s_mov_b32 s15, 0
	.p2align	6
.LBB1065_354:                           ;   Parent Loop BB1065_351 Depth=1
                                        ; =>  This Loop Header: Depth=2
                                        ;       Child Loop BB1065_355 Depth 3
	s_max_u32 s17, s16, 1
.LBB1065_355:                           ;   Parent Loop BB1065_351 Depth=1
                                        ;     Parent Loop BB1065_354 Depth=2
                                        ; =>    This Inner Loop Header: Depth=3
	s_delay_alu instid0(SALU_CYCLE_1)
	s_add_i32 s17, s17, -1
	s_sleep 1
	s_cmp_eq_u32 s17, 0
	s_cbranch_scc0 .LBB1065_355
; %bb.356:                              ;   in Loop: Header=BB1065_354 Depth=2
	global_load_b64 v[22:23], v[24:25], off glc
	s_cmp_lt_u32 s16, 32
	s_cselect_b32 s17, -1, 0
	s_delay_alu instid0(SALU_CYCLE_1) | instskip(SKIP_3) | instid1(VALU_DEP_1)
	s_cmp_lg_u32 s17, 0
	s_addc_u32 s16, s16, 0
	s_waitcnt vmcnt(0)
	v_and_b32_e32 v51, 0xff, v23
	v_cmp_ne_u16_e32 vcc_lo, 0, v51
	s_or_b32 s15, vcc_lo, s15
	s_delay_alu instid0(SALU_CYCLE_1)
	s_and_not1_b32 exec_lo, exec_lo, s15
	s_cbranch_execnz .LBB1065_354
; %bb.357:                              ;   in Loop: Header=BB1065_351 Depth=1
	s_or_b32 exec_lo, exec_lo, s15
	s_branch .LBB1065_350
.LBB1065_358:                           ;   in Loop: Header=BB1065_351 Depth=1
                                        ; implicit-def: $vgpr22
                                        ; implicit-def: $vgpr23
	s_cbranch_execz .LBB1065_351
; %bb.359:
	s_and_saveexec_b32 s14, s7
	s_cbranch_execz .LBB1065_361
; %bb.360:
	s_add_i32 s16, s23, 32
	s_mov_b32 s17, 0
	v_dual_mov_b32 v21, 2 :: v_dual_add_nc_u32 v20, v46, v19
	s_lshl_b64 s[16:17], s[16:17], 3
	v_mov_b32_e32 v22, 0
	v_add_nc_u32_e64 v23, 0x8400, 0
	s_add_u32 s16, s18, s16
	s_addc_u32 s17, s19, s17
	global_store_b64 v22, v[20:21], s[16:17]
	ds_store_2addr_b32 v23, v19, v46 offset1:2
.LBB1065_361:
	s_or_b32 exec_lo, exec_lo, s14
	s_delay_alu instid0(SALU_CYCLE_1)
	s_and_b32 exec_lo, exec_lo, s2
	s_cbranch_execz .LBB1065_363
; %bb.362:
	v_mov_b32_e32 v19, 0
	ds_store_b32 v19, v46 offset:60
.LBB1065_363:
	s_or_b32 exec_lo, exec_lo, s12
	v_mov_b32_e32 v19, 0
	s_waitcnt lgkmcnt(0)
	s_waitcnt_vscnt null, 0x0
	s_barrier
	buffer_gl0_inv
	v_cndmask_b32_e64 v20, v29, v27, s7
	ds_load_b32 v19, v19 offset:60
	s_waitcnt lgkmcnt(0)
	s_barrier
	buffer_gl0_inv
	v_cndmask_b32_e64 v20, v20, 0, s2
	s_delay_alu instid0(VALU_DEP_1) | instskip(SKIP_1) | instid1(VALU_DEP_2)
	v_add_nc_u32_e32 v37, v19, v20
	v_add_nc_u32_e64 v19, 0x8400, 0
	v_add_nc_u32_e32 v35, v37, v26
	ds_load_2addr_b32 v[19:20], v19 offset1:2
	v_add_nc_u32_e32 v33, v35, v28
	s_delay_alu instid0(VALU_DEP_1) | instskip(NEXT) | instid1(VALU_DEP_1)
	v_add_nc_u32_e32 v31, v33, v30
	v_add_nc_u32_e32 v29, v31, v32
	s_delay_alu instid0(VALU_DEP_1) | instskip(NEXT) | instid1(VALU_DEP_1)
	v_add_nc_u32_e32 v27, v29, v34
	v_add_nc_u32_e32 v25, v27, v36
	s_delay_alu instid0(VALU_DEP_1)
	v_add_nc_u32_e32 v23, v25, v38
	v_lshrrev_b64 v[21:22], 24, v[17:18]
	s_branch .LBB1065_374
.LBB1065_364:
                                        ; implicit-def: $vgpr23
                                        ; implicit-def: $vgpr25
                                        ; implicit-def: $vgpr27
                                        ; implicit-def: $vgpr29
                                        ; implicit-def: $vgpr31
                                        ; implicit-def: $vgpr33
                                        ; implicit-def: $vgpr35
                                        ; implicit-def: $vgpr37
                                        ; implicit-def: $vgpr20
	v_lshrrev_b64 v[21:22], 24, v[17:18]
	s_and_b32 vcc_lo, exec_lo, s7
	s_cbranch_vccz .LBB1065_374
; %bb.365:
	s_waitcnt lgkmcnt(0)
	v_mov_b32_dpp v19, v43 row_shr:1 row_mask:0xf bank_mask:0xf
	s_delay_alu instid0(VALU_DEP_1) | instskip(NEXT) | instid1(VALU_DEP_1)
	v_cndmask_b32_e64 v19, v19, 0, s3
	v_add_nc_u32_e32 v19, v19, v43
	s_delay_alu instid0(VALU_DEP_1) | instskip(NEXT) | instid1(VALU_DEP_1)
	v_mov_b32_dpp v20, v19 row_shr:2 row_mask:0xf bank_mask:0xf
	v_cndmask_b32_e64 v20, 0, v20, s0
	s_delay_alu instid0(VALU_DEP_1) | instskip(NEXT) | instid1(VALU_DEP_1)
	v_add_nc_u32_e32 v19, v19, v20
	v_mov_b32_dpp v20, v19 row_shr:4 row_mask:0xf bank_mask:0xf
	s_delay_alu instid0(VALU_DEP_1) | instskip(NEXT) | instid1(VALU_DEP_1)
	v_cndmask_b32_e64 v20, 0, v20, s4
	v_add_nc_u32_e32 v19, v19, v20
	s_delay_alu instid0(VALU_DEP_1) | instskip(NEXT) | instid1(VALU_DEP_1)
	v_mov_b32_dpp v20, v19 row_shr:8 row_mask:0xf bank_mask:0xf
	v_cndmask_b32_e64 v20, 0, v20, s1
	s_delay_alu instid0(VALU_DEP_1) | instskip(SKIP_3) | instid1(VALU_DEP_1)
	v_add_nc_u32_e32 v19, v19, v20
	ds_swizzle_b32 v20, v19 offset:swizzle(BROADCAST,32,15)
	s_waitcnt lgkmcnt(0)
	v_cndmask_b32_e64 v20, v20, 0, s6
	v_add_nc_u32_e32 v19, v19, v20
	s_and_saveexec_b32 s6, s5
	s_cbranch_execz .LBB1065_367
; %bb.366:
	v_lshlrev_b32_e32 v20, 2, v42
	ds_store_b32 v20, v19
.LBB1065_367:
	s_or_b32 exec_lo, exec_lo, s6
	s_delay_alu instid0(SALU_CYCLE_1)
	s_mov_b32 s5, exec_lo
	s_waitcnt lgkmcnt(0)
	s_barrier
	buffer_gl0_inv
	v_cmpx_gt_u32_e32 16, v0
	s_cbranch_execz .LBB1065_369
; %bb.368:
	v_lshlrev_b32_e32 v20, 2, v0
	ds_load_b32 v22, v20
	s_waitcnt lgkmcnt(0)
	v_mov_b32_dpp v23, v22 row_shr:1 row_mask:0xf bank_mask:0xf
	s_delay_alu instid0(VALU_DEP_1) | instskip(NEXT) | instid1(VALU_DEP_1)
	v_cndmask_b32_e64 v23, v23, 0, s3
	v_add_nc_u32_e32 v22, v23, v22
	s_delay_alu instid0(VALU_DEP_1) | instskip(NEXT) | instid1(VALU_DEP_1)
	v_mov_b32_dpp v23, v22 row_shr:2 row_mask:0xf bank_mask:0xf
	v_cndmask_b32_e64 v23, 0, v23, s0
	s_delay_alu instid0(VALU_DEP_1) | instskip(NEXT) | instid1(VALU_DEP_1)
	v_add_nc_u32_e32 v22, v22, v23
	v_mov_b32_dpp v23, v22 row_shr:4 row_mask:0xf bank_mask:0xf
	s_delay_alu instid0(VALU_DEP_1) | instskip(NEXT) | instid1(VALU_DEP_1)
	v_cndmask_b32_e64 v23, 0, v23, s4
	v_add_nc_u32_e32 v22, v22, v23
	s_delay_alu instid0(VALU_DEP_1) | instskip(NEXT) | instid1(VALU_DEP_1)
	v_mov_b32_dpp v23, v22 row_shr:8 row_mask:0xf bank_mask:0xf
	v_cndmask_b32_e64 v23, 0, v23, s1
	s_delay_alu instid0(VALU_DEP_1)
	v_add_nc_u32_e32 v22, v22, v23
	ds_store_b32 v20, v22
.LBB1065_369:
	s_or_b32 exec_lo, exec_lo, s5
	v_mov_b32_e32 v20, 0
	v_mov_b32_e32 v22, 0
	s_mov_b32 s0, exec_lo
	s_waitcnt lgkmcnt(0)
	s_barrier
	buffer_gl0_inv
	v_cmpx_lt_u32_e32 31, v0
	s_cbranch_execz .LBB1065_371
; %bb.370:
	v_lshl_add_u32 v22, v42, 2, -4
	ds_load_b32 v22, v22
.LBB1065_371:
	s_or_b32 exec_lo, exec_lo, s0
	v_add_nc_u32_e32 v23, -1, v41
	s_waitcnt lgkmcnt(0)
	v_add_nc_u32_e32 v19, v22, v19
	s_delay_alu instid0(VALU_DEP_2) | instskip(SKIP_1) | instid1(VALU_DEP_1)
	v_cmp_gt_i32_e32 vcc_lo, 0, v23
	v_cndmask_b32_e32 v23, v23, v41, vcc_lo
	v_lshlrev_b32_e32 v23, 2, v23
	ds_bpermute_b32 v23, v23, v19
	ds_load_b32 v19, v20 offset:60
	s_and_saveexec_b32 s0, s2
	s_cbranch_execz .LBB1065_373
; %bb.372:
	v_mov_b32_e32 v24, 0
	v_mov_b32_e32 v20, 2
	s_waitcnt lgkmcnt(0)
	global_store_b64 v24, v[19:20], s[18:19] offset:256
.LBB1065_373:
	s_or_b32 exec_lo, exec_lo, s0
	v_cmp_eq_u32_e32 vcc_lo, 0, v41
	s_waitcnt lgkmcnt(0)
	s_waitcnt_vscnt null, 0x0
	s_barrier
	buffer_gl0_inv
	v_cndmask_b32_e32 v20, v23, v22, vcc_lo
	s_delay_alu instid0(VALU_DEP_1) | instskip(NEXT) | instid1(VALU_DEP_1)
	v_cndmask_b32_e64 v37, v20, 0, s2
	v_dual_mov_b32 v20, 0 :: v_dual_add_nc_u32 v35, v37, v26
	s_delay_alu instid0(VALU_DEP_1) | instskip(NEXT) | instid1(VALU_DEP_1)
	v_add_nc_u32_e32 v33, v35, v28
	v_add_nc_u32_e32 v31, v33, v30
	s_delay_alu instid0(VALU_DEP_1) | instskip(NEXT) | instid1(VALU_DEP_1)
	v_add_nc_u32_e32 v29, v31, v32
	v_add_nc_u32_e32 v27, v29, v34
	;; [unrolled: 3-line block ×3, first 2 shown]
.LBB1065_374:
	s_waitcnt lgkmcnt(0)
	v_cmp_gt_u32_e32 vcc_lo, 0x201, v19
	v_lshrrev_b32_e32 v43, 8, v17
	v_lshrrev_b32_e32 v42, 16, v17
	;; [unrolled: 1-line block ×4, first 2 shown]
	s_mov_b32 s0, -1
	s_cbranch_vccnz .LBB1065_378
; %bb.375:
	s_and_b32 vcc_lo, exec_lo, s0
	s_cbranch_vccnz .LBB1065_403
.LBB1065_376:
	s_and_b32 s0, s2, s13
	s_delay_alu instid0(SALU_CYCLE_1)
	s_and_saveexec_b32 s1, s0
	s_cbranch_execnz .LBB1065_423
.LBB1065_377:
	s_nop 0
	s_sendmsg sendmsg(MSG_DEALLOC_VGPRS)
	s_endpgm
.LBB1065_378:
	v_add_nc_u32_e32 v24, v20, v19
	s_delay_alu instid0(VALU_DEP_1) | instskip(SKIP_1) | instid1(SALU_CYCLE_1)
	v_cmp_lt_u32_e32 vcc_lo, v37, v24
	s_or_b32 s1, s22, vcc_lo
	s_and_saveexec_b32 s0, s1
	s_cbranch_execz .LBB1065_381
; %bb.379:
	v_and_b32_e32 v26, 1, v17
	s_delay_alu instid0(VALU_DEP_1)
	v_cmp_eq_u32_e32 vcc_lo, 1, v26
	s_and_b32 exec_lo, exec_lo, vcc_lo
	s_cbranch_execz .LBB1065_381
; %bb.380:
	v_mov_b32_e32 v38, 0
	s_lshl_b64 s[4:5], s[10:11], 3
	s_delay_alu instid0(SALU_CYCLE_1) | instskip(SKIP_1) | instid1(VALU_DEP_1)
	s_add_u32 s1, s20, s4
	s_addc_u32 s3, s21, s5
	v_lshlrev_b64 v[44:45], 3, v[37:38]
	s_delay_alu instid0(VALU_DEP_1) | instskip(NEXT) | instid1(VALU_DEP_2)
	v_add_co_u32 v44, vcc_lo, s1, v44
	v_add_co_ci_u32_e32 v45, vcc_lo, s3, v45, vcc_lo
	global_store_b64 v[44:45], v[13:14], off
.LBB1065_381:
	s_or_b32 exec_lo, exec_lo, s0
	v_cmp_lt_u32_e32 vcc_lo, v35, v24
	s_or_b32 s1, s22, vcc_lo
	s_delay_alu instid0(SALU_CYCLE_1)
	s_and_saveexec_b32 s0, s1
	s_cbranch_execz .LBB1065_384
; %bb.382:
	v_and_b32_e32 v26, 1, v43
	s_delay_alu instid0(VALU_DEP_1)
	v_cmp_eq_u32_e32 vcc_lo, 1, v26
	s_and_b32 exec_lo, exec_lo, vcc_lo
	s_cbranch_execz .LBB1065_384
; %bb.383:
	v_mov_b32_e32 v36, 0
	s_lshl_b64 s[4:5], s[10:11], 3
	s_delay_alu instid0(SALU_CYCLE_1) | instskip(SKIP_1) | instid1(VALU_DEP_1)
	s_add_u32 s1, s20, s4
	s_addc_u32 s3, s21, s5
	v_lshlrev_b64 v[44:45], 3, v[35:36]
	s_delay_alu instid0(VALU_DEP_1) | instskip(NEXT) | instid1(VALU_DEP_2)
	v_add_co_u32 v44, vcc_lo, s1, v44
	v_add_co_ci_u32_e32 v45, vcc_lo, s3, v45, vcc_lo
	global_store_b64 v[44:45], v[15:16], off
.LBB1065_384:
	s_or_b32 exec_lo, exec_lo, s0
	v_cmp_lt_u32_e32 vcc_lo, v33, v24
	s_or_b32 s1, s22, vcc_lo
	s_delay_alu instid0(SALU_CYCLE_1)
	;; [unrolled: 24-line block ×7, first 2 shown]
	s_and_saveexec_b32 s0, s1
	s_cbranch_execz .LBB1065_402
; %bb.400:
	v_and_b32_e32 v24, 1, v40
	s_delay_alu instid0(VALU_DEP_1)
	v_cmp_eq_u32_e32 vcc_lo, 1, v24
	s_and_b32 exec_lo, exec_lo, vcc_lo
	s_cbranch_execz .LBB1065_402
; %bb.401:
	v_mov_b32_e32 v24, 0
	s_lshl_b64 s[4:5], s[10:11], 3
	s_delay_alu instid0(SALU_CYCLE_1) | instskip(SKIP_1) | instid1(VALU_DEP_1)
	s_add_u32 s1, s20, s4
	s_addc_u32 s3, s21, s5
	v_lshlrev_b64 v[44:45], 3, v[23:24]
	s_delay_alu instid0(VALU_DEP_1) | instskip(NEXT) | instid1(VALU_DEP_2)
	v_add_co_u32 v44, vcc_lo, s1, v44
	v_add_co_ci_u32_e32 v45, vcc_lo, s3, v45, vcc_lo
	global_store_b64 v[44:45], v[3:4], off
.LBB1065_402:
	s_or_b32 exec_lo, exec_lo, s0
	s_branch .LBB1065_376
.LBB1065_403:
	v_and_b32_e32 v17, 1, v17
	s_mov_b32 s0, exec_lo
	s_delay_alu instid0(VALU_DEP_1)
	v_cmpx_eq_u32_e32 1, v17
	s_cbranch_execz .LBB1065_405
; %bb.404:
	v_sub_nc_u32_e32 v17, v37, v20
	s_delay_alu instid0(VALU_DEP_1)
	v_lshlrev_b32_e32 v17, 3, v17
	ds_store_b64 v17, v[13:14]
.LBB1065_405:
	s_or_b32 exec_lo, exec_lo, s0
	v_and_b32_e32 v13, 1, v43
	s_mov_b32 s0, exec_lo
	s_delay_alu instid0(VALU_DEP_1)
	v_cmpx_eq_u32_e32 1, v13
	s_cbranch_execz .LBB1065_407
; %bb.406:
	v_sub_nc_u32_e32 v13, v35, v20
	s_delay_alu instid0(VALU_DEP_1)
	v_lshlrev_b32_e32 v13, 3, v13
	ds_store_b64 v13, v[15:16]
.LBB1065_407:
	s_or_b32 exec_lo, exec_lo, s0
	v_and_b32_e32 v13, 1, v42
	s_mov_b32 s0, exec_lo
	s_delay_alu instid0(VALU_DEP_1)
	v_cmpx_eq_u32_e32 1, v13
	s_cbranch_execz .LBB1065_409
; %bb.408:
	v_sub_nc_u32_e32 v13, v33, v20
	s_delay_alu instid0(VALU_DEP_1)
	v_lshlrev_b32_e32 v13, 3, v13
	ds_store_b64 v13, v[9:10]
.LBB1065_409:
	s_or_b32 exec_lo, exec_lo, s0
	v_and_b32_e32 v9, 1, v21
	s_mov_b32 s0, exec_lo
	s_delay_alu instid0(VALU_DEP_1)
	v_cmpx_eq_u32_e32 1, v9
	s_cbranch_execz .LBB1065_411
; %bb.410:
	v_sub_nc_u32_e32 v9, v31, v20
	s_delay_alu instid0(VALU_DEP_1)
	v_lshlrev_b32_e32 v9, 3, v9
	ds_store_b64 v9, v[11:12]
.LBB1065_411:
	s_or_b32 exec_lo, exec_lo, s0
	v_and_b32_e32 v9, 1, v18
	s_mov_b32 s0, exec_lo
	s_delay_alu instid0(VALU_DEP_1)
	v_cmpx_eq_u32_e32 1, v9
	s_cbranch_execz .LBB1065_413
; %bb.412:
	v_sub_nc_u32_e32 v9, v29, v20
	s_delay_alu instid0(VALU_DEP_1)
	v_lshlrev_b32_e32 v9, 3, v9
	ds_store_b64 v9, v[5:6]
.LBB1065_413:
	s_or_b32 exec_lo, exec_lo, s0
	v_and_b32_e32 v5, 1, v41
	s_mov_b32 s0, exec_lo
	s_delay_alu instid0(VALU_DEP_1)
	v_cmpx_eq_u32_e32 1, v5
	s_cbranch_execz .LBB1065_415
; %bb.414:
	v_sub_nc_u32_e32 v5, v27, v20
	s_delay_alu instid0(VALU_DEP_1)
	v_lshlrev_b32_e32 v5, 3, v5
	ds_store_b64 v5, v[7:8]
.LBB1065_415:
	s_or_b32 exec_lo, exec_lo, s0
	v_and_b32_e32 v5, 1, v22
	s_mov_b32 s0, exec_lo
	s_delay_alu instid0(VALU_DEP_1)
	v_cmpx_eq_u32_e32 1, v5
	s_cbranch_execz .LBB1065_417
; %bb.416:
	v_sub_nc_u32_e32 v5, v25, v20
	s_delay_alu instid0(VALU_DEP_1)
	v_lshlrev_b32_e32 v5, 3, v5
	ds_store_b64 v5, v[1:2]
.LBB1065_417:
	s_or_b32 exec_lo, exec_lo, s0
	v_and_b32_e32 v1, 1, v40
	s_mov_b32 s0, exec_lo
	s_delay_alu instid0(VALU_DEP_1)
	v_cmpx_eq_u32_e32 1, v1
	s_cbranch_execz .LBB1065_419
; %bb.418:
	v_sub_nc_u32_e32 v1, v23, v20
	s_delay_alu instid0(VALU_DEP_1)
	v_lshlrev_b32_e32 v1, 3, v1
	ds_store_b64 v1, v[3:4]
.LBB1065_419:
	s_or_b32 exec_lo, exec_lo, s0
	s_delay_alu instid0(SALU_CYCLE_1)
	s_mov_b32 s1, exec_lo
	s_waitcnt lgkmcnt(0)
	s_waitcnt_vscnt null, 0x0
	s_barrier
	buffer_gl0_inv
	v_cmpx_lt_u32_e64 v0, v19
	s_cbranch_execz .LBB1065_422
; %bb.420:
	v_dual_mov_b32 v2, 0 :: v_dual_mov_b32 v1, v20
	s_lshl_b64 s[4:5], s[10:11], 3
	s_mov_b32 s3, 0
	s_delay_alu instid0(VALU_DEP_1) | instskip(NEXT) | instid1(VALU_DEP_1)
	v_lshlrev_b64 v[1:2], 3, v[1:2]
	v_add_co_u32 v1, vcc_lo, s4, v1
	s_delay_alu instid0(VALU_DEP_2) | instskip(NEXT) | instid1(VALU_DEP_2)
	v_add_co_ci_u32_e32 v2, vcc_lo, s5, v2, vcc_lo
	v_add_co_u32 v1, vcc_lo, s20, v1
	s_delay_alu instid0(VALU_DEP_2) | instskip(NEXT) | instid1(VALU_DEP_2)
	v_add_co_ci_u32_e32 v2, vcc_lo, s21, v2, vcc_lo
	v_add_co_u32 v1, vcc_lo, v1, v39
	s_delay_alu instid0(VALU_DEP_2)
	v_add_co_ci_u32_e32 v2, vcc_lo, 0, v2, vcc_lo
	.p2align	6
.LBB1065_421:                           ; =>This Inner Loop Header: Depth=1
	ds_load_b64 v[3:4], v39
	v_add_nc_u32_e32 v0, 0x200, v0
	v_add_nc_u32_e32 v39, 0x1000, v39
	s_delay_alu instid0(VALU_DEP_2) | instskip(SKIP_4) | instid1(VALU_DEP_1)
	v_cmp_ge_u32_e32 vcc_lo, v0, v19
	s_or_b32 s3, vcc_lo, s3
	s_waitcnt lgkmcnt(0)
	global_store_b64 v[1:2], v[3:4], off
	v_add_co_u32 v1, s0, 0x1000, v1
	v_add_co_ci_u32_e64 v2, s0, 0, v2, s0
	s_and_not1_b32 exec_lo, exec_lo, s3
	s_cbranch_execnz .LBB1065_421
.LBB1065_422:
	s_or_b32 exec_lo, exec_lo, s1
	s_and_b32 s0, s2, s13
	s_delay_alu instid0(SALU_CYCLE_1)
	s_and_saveexec_b32 s1, s0
	s_cbranch_execz .LBB1065_377
.LBB1065_423:
	v_add_co_u32 v0, s0, s10, v19
	s_delay_alu instid0(VALU_DEP_1) | instskip(SKIP_1) | instid1(VALU_DEP_3)
	v_add_co_ci_u32_e64 v1, null, s11, 0, s0
	v_mov_b32_e32 v2, 0
	v_add_co_u32 v0, vcc_lo, v0, v20
	s_delay_alu instid0(VALU_DEP_3)
	v_add_co_ci_u32_e32 v1, vcc_lo, 0, v1, vcc_lo
	global_store_b64 v2, v[0:1], s[8:9]
	s_nop 0
	s_sendmsg sendmsg(MSG_DEALLOC_VGPRS)
	s_endpgm
	.section	.rodata,"a",@progbits
	.p2align	6, 0x0
	.amdhsa_kernel _ZN7rocprim17ROCPRIM_400000_NS6detail17trampoline_kernelINS0_14default_configENS1_25partition_config_selectorILNS1_17partition_subalgoE8ElNS0_10empty_typeEbEEZZNS1_14partition_implILS5_8ELb0ES3_jPlPS6_PKS6_NS0_5tupleIJS9_S6_EEENSD_IJSA_SA_EEENS0_18inequality_wrapperIZN2at6native12_GLOBAL__N_124unique_dim_cuda_templateIbEESt5tupleIJNSH_6TensorESM_SM_EERKSM_lbbbEUlllE0_EEPmJS6_EEE10hipError_tPvRmT3_T4_T5_T6_T7_T9_mT8_P12ihipStream_tbDpT10_ENKUlT_T0_E_clISt17integral_constantIbLb1EES1C_EEDaS17_S18_EUlS17_E_NS1_11comp_targetILNS1_3genE9ELNS1_11target_archE1100ELNS1_3gpuE3ELNS1_3repE0EEENS1_30default_config_static_selectorELNS0_4arch9wavefront6targetE0EEEvT1_
		.amdhsa_group_segment_fixed_size 33804
		.amdhsa_private_segment_fixed_size 0
		.amdhsa_kernarg_size 136
		.amdhsa_user_sgpr_count 15
		.amdhsa_user_sgpr_dispatch_ptr 0
		.amdhsa_user_sgpr_queue_ptr 0
		.amdhsa_user_sgpr_kernarg_segment_ptr 1
		.amdhsa_user_sgpr_dispatch_id 0
		.amdhsa_user_sgpr_private_segment_size 0
		.amdhsa_wavefront_size32 1
		.amdhsa_uses_dynamic_stack 0
		.amdhsa_enable_private_segment 0
		.amdhsa_system_sgpr_workgroup_id_x 1
		.amdhsa_system_sgpr_workgroup_id_y 0
		.amdhsa_system_sgpr_workgroup_id_z 0
		.amdhsa_system_sgpr_workgroup_info 0
		.amdhsa_system_vgpr_workitem_id 0
		.amdhsa_next_free_vgpr 52
		.amdhsa_next_free_sgpr 38
		.amdhsa_reserve_vcc 1
		.amdhsa_float_round_mode_32 0
		.amdhsa_float_round_mode_16_64 0
		.amdhsa_float_denorm_mode_32 3
		.amdhsa_float_denorm_mode_16_64 3
		.amdhsa_dx10_clamp 1
		.amdhsa_ieee_mode 1
		.amdhsa_fp16_overflow 0
		.amdhsa_workgroup_processor_mode 1
		.amdhsa_memory_ordered 1
		.amdhsa_forward_progress 0
		.amdhsa_shared_vgpr_count 0
		.amdhsa_exception_fp_ieee_invalid_op 0
		.amdhsa_exception_fp_denorm_src 0
		.amdhsa_exception_fp_ieee_div_zero 0
		.amdhsa_exception_fp_ieee_overflow 0
		.amdhsa_exception_fp_ieee_underflow 0
		.amdhsa_exception_fp_ieee_inexact 0
		.amdhsa_exception_int_div_zero 0
	.end_amdhsa_kernel
	.section	.text._ZN7rocprim17ROCPRIM_400000_NS6detail17trampoline_kernelINS0_14default_configENS1_25partition_config_selectorILNS1_17partition_subalgoE8ElNS0_10empty_typeEbEEZZNS1_14partition_implILS5_8ELb0ES3_jPlPS6_PKS6_NS0_5tupleIJS9_S6_EEENSD_IJSA_SA_EEENS0_18inequality_wrapperIZN2at6native12_GLOBAL__N_124unique_dim_cuda_templateIbEESt5tupleIJNSH_6TensorESM_SM_EERKSM_lbbbEUlllE0_EEPmJS6_EEE10hipError_tPvRmT3_T4_T5_T6_T7_T9_mT8_P12ihipStream_tbDpT10_ENKUlT_T0_E_clISt17integral_constantIbLb1EES1C_EEDaS17_S18_EUlS17_E_NS1_11comp_targetILNS1_3genE9ELNS1_11target_archE1100ELNS1_3gpuE3ELNS1_3repE0EEENS1_30default_config_static_selectorELNS0_4arch9wavefront6targetE0EEEvT1_,"axG",@progbits,_ZN7rocprim17ROCPRIM_400000_NS6detail17trampoline_kernelINS0_14default_configENS1_25partition_config_selectorILNS1_17partition_subalgoE8ElNS0_10empty_typeEbEEZZNS1_14partition_implILS5_8ELb0ES3_jPlPS6_PKS6_NS0_5tupleIJS9_S6_EEENSD_IJSA_SA_EEENS0_18inequality_wrapperIZN2at6native12_GLOBAL__N_124unique_dim_cuda_templateIbEESt5tupleIJNSH_6TensorESM_SM_EERKSM_lbbbEUlllE0_EEPmJS6_EEE10hipError_tPvRmT3_T4_T5_T6_T7_T9_mT8_P12ihipStream_tbDpT10_ENKUlT_T0_E_clISt17integral_constantIbLb1EES1C_EEDaS17_S18_EUlS17_E_NS1_11comp_targetILNS1_3genE9ELNS1_11target_archE1100ELNS1_3gpuE3ELNS1_3repE0EEENS1_30default_config_static_selectorELNS0_4arch9wavefront6targetE0EEEvT1_,comdat
.Lfunc_end1065:
	.size	_ZN7rocprim17ROCPRIM_400000_NS6detail17trampoline_kernelINS0_14default_configENS1_25partition_config_selectorILNS1_17partition_subalgoE8ElNS0_10empty_typeEbEEZZNS1_14partition_implILS5_8ELb0ES3_jPlPS6_PKS6_NS0_5tupleIJS9_S6_EEENSD_IJSA_SA_EEENS0_18inequality_wrapperIZN2at6native12_GLOBAL__N_124unique_dim_cuda_templateIbEESt5tupleIJNSH_6TensorESM_SM_EERKSM_lbbbEUlllE0_EEPmJS6_EEE10hipError_tPvRmT3_T4_T5_T6_T7_T9_mT8_P12ihipStream_tbDpT10_ENKUlT_T0_E_clISt17integral_constantIbLb1EES1C_EEDaS17_S18_EUlS17_E_NS1_11comp_targetILNS1_3genE9ELNS1_11target_archE1100ELNS1_3gpuE3ELNS1_3repE0EEENS1_30default_config_static_selectorELNS0_4arch9wavefront6targetE0EEEvT1_, .Lfunc_end1065-_ZN7rocprim17ROCPRIM_400000_NS6detail17trampoline_kernelINS0_14default_configENS1_25partition_config_selectorILNS1_17partition_subalgoE8ElNS0_10empty_typeEbEEZZNS1_14partition_implILS5_8ELb0ES3_jPlPS6_PKS6_NS0_5tupleIJS9_S6_EEENSD_IJSA_SA_EEENS0_18inequality_wrapperIZN2at6native12_GLOBAL__N_124unique_dim_cuda_templateIbEESt5tupleIJNSH_6TensorESM_SM_EERKSM_lbbbEUlllE0_EEPmJS6_EEE10hipError_tPvRmT3_T4_T5_T6_T7_T9_mT8_P12ihipStream_tbDpT10_ENKUlT_T0_E_clISt17integral_constantIbLb1EES1C_EEDaS17_S18_EUlS17_E_NS1_11comp_targetILNS1_3genE9ELNS1_11target_archE1100ELNS1_3gpuE3ELNS1_3repE0EEENS1_30default_config_static_selectorELNS0_4arch9wavefront6targetE0EEEvT1_
                                        ; -- End function
	.section	.AMDGPU.csdata,"",@progbits
; Kernel info:
; codeLenInByte = 17856
; NumSgprs: 40
; NumVgprs: 52
; ScratchSize: 0
; MemoryBound: 0
; FloatMode: 240
; IeeeMode: 1
; LDSByteSize: 33804 bytes/workgroup (compile time only)
; SGPRBlocks: 4
; VGPRBlocks: 6
; NumSGPRsForWavesPerEU: 40
; NumVGPRsForWavesPerEU: 52
; Occupancy: 12
; WaveLimiterHint : 1
; COMPUTE_PGM_RSRC2:SCRATCH_EN: 0
; COMPUTE_PGM_RSRC2:USER_SGPR: 15
; COMPUTE_PGM_RSRC2:TRAP_HANDLER: 0
; COMPUTE_PGM_RSRC2:TGID_X_EN: 1
; COMPUTE_PGM_RSRC2:TGID_Y_EN: 0
; COMPUTE_PGM_RSRC2:TGID_Z_EN: 0
; COMPUTE_PGM_RSRC2:TIDIG_COMP_CNT: 0
	.section	.text._ZN7rocprim17ROCPRIM_400000_NS6detail17trampoline_kernelINS0_14default_configENS1_25partition_config_selectorILNS1_17partition_subalgoE8ElNS0_10empty_typeEbEEZZNS1_14partition_implILS5_8ELb0ES3_jPlPS6_PKS6_NS0_5tupleIJS9_S6_EEENSD_IJSA_SA_EEENS0_18inequality_wrapperIZN2at6native12_GLOBAL__N_124unique_dim_cuda_templateIbEESt5tupleIJNSH_6TensorESM_SM_EERKSM_lbbbEUlllE0_EEPmJS6_EEE10hipError_tPvRmT3_T4_T5_T6_T7_T9_mT8_P12ihipStream_tbDpT10_ENKUlT_T0_E_clISt17integral_constantIbLb1EES1C_EEDaS17_S18_EUlS17_E_NS1_11comp_targetILNS1_3genE8ELNS1_11target_archE1030ELNS1_3gpuE2ELNS1_3repE0EEENS1_30default_config_static_selectorELNS0_4arch9wavefront6targetE0EEEvT1_,"axG",@progbits,_ZN7rocprim17ROCPRIM_400000_NS6detail17trampoline_kernelINS0_14default_configENS1_25partition_config_selectorILNS1_17partition_subalgoE8ElNS0_10empty_typeEbEEZZNS1_14partition_implILS5_8ELb0ES3_jPlPS6_PKS6_NS0_5tupleIJS9_S6_EEENSD_IJSA_SA_EEENS0_18inequality_wrapperIZN2at6native12_GLOBAL__N_124unique_dim_cuda_templateIbEESt5tupleIJNSH_6TensorESM_SM_EERKSM_lbbbEUlllE0_EEPmJS6_EEE10hipError_tPvRmT3_T4_T5_T6_T7_T9_mT8_P12ihipStream_tbDpT10_ENKUlT_T0_E_clISt17integral_constantIbLb1EES1C_EEDaS17_S18_EUlS17_E_NS1_11comp_targetILNS1_3genE8ELNS1_11target_archE1030ELNS1_3gpuE2ELNS1_3repE0EEENS1_30default_config_static_selectorELNS0_4arch9wavefront6targetE0EEEvT1_,comdat
	.globl	_ZN7rocprim17ROCPRIM_400000_NS6detail17trampoline_kernelINS0_14default_configENS1_25partition_config_selectorILNS1_17partition_subalgoE8ElNS0_10empty_typeEbEEZZNS1_14partition_implILS5_8ELb0ES3_jPlPS6_PKS6_NS0_5tupleIJS9_S6_EEENSD_IJSA_SA_EEENS0_18inequality_wrapperIZN2at6native12_GLOBAL__N_124unique_dim_cuda_templateIbEESt5tupleIJNSH_6TensorESM_SM_EERKSM_lbbbEUlllE0_EEPmJS6_EEE10hipError_tPvRmT3_T4_T5_T6_T7_T9_mT8_P12ihipStream_tbDpT10_ENKUlT_T0_E_clISt17integral_constantIbLb1EES1C_EEDaS17_S18_EUlS17_E_NS1_11comp_targetILNS1_3genE8ELNS1_11target_archE1030ELNS1_3gpuE2ELNS1_3repE0EEENS1_30default_config_static_selectorELNS0_4arch9wavefront6targetE0EEEvT1_ ; -- Begin function _ZN7rocprim17ROCPRIM_400000_NS6detail17trampoline_kernelINS0_14default_configENS1_25partition_config_selectorILNS1_17partition_subalgoE8ElNS0_10empty_typeEbEEZZNS1_14partition_implILS5_8ELb0ES3_jPlPS6_PKS6_NS0_5tupleIJS9_S6_EEENSD_IJSA_SA_EEENS0_18inequality_wrapperIZN2at6native12_GLOBAL__N_124unique_dim_cuda_templateIbEESt5tupleIJNSH_6TensorESM_SM_EERKSM_lbbbEUlllE0_EEPmJS6_EEE10hipError_tPvRmT3_T4_T5_T6_T7_T9_mT8_P12ihipStream_tbDpT10_ENKUlT_T0_E_clISt17integral_constantIbLb1EES1C_EEDaS17_S18_EUlS17_E_NS1_11comp_targetILNS1_3genE8ELNS1_11target_archE1030ELNS1_3gpuE2ELNS1_3repE0EEENS1_30default_config_static_selectorELNS0_4arch9wavefront6targetE0EEEvT1_
	.p2align	8
	.type	_ZN7rocprim17ROCPRIM_400000_NS6detail17trampoline_kernelINS0_14default_configENS1_25partition_config_selectorILNS1_17partition_subalgoE8ElNS0_10empty_typeEbEEZZNS1_14partition_implILS5_8ELb0ES3_jPlPS6_PKS6_NS0_5tupleIJS9_S6_EEENSD_IJSA_SA_EEENS0_18inequality_wrapperIZN2at6native12_GLOBAL__N_124unique_dim_cuda_templateIbEESt5tupleIJNSH_6TensorESM_SM_EERKSM_lbbbEUlllE0_EEPmJS6_EEE10hipError_tPvRmT3_T4_T5_T6_T7_T9_mT8_P12ihipStream_tbDpT10_ENKUlT_T0_E_clISt17integral_constantIbLb1EES1C_EEDaS17_S18_EUlS17_E_NS1_11comp_targetILNS1_3genE8ELNS1_11target_archE1030ELNS1_3gpuE2ELNS1_3repE0EEENS1_30default_config_static_selectorELNS0_4arch9wavefront6targetE0EEEvT1_,@function
_ZN7rocprim17ROCPRIM_400000_NS6detail17trampoline_kernelINS0_14default_configENS1_25partition_config_selectorILNS1_17partition_subalgoE8ElNS0_10empty_typeEbEEZZNS1_14partition_implILS5_8ELb0ES3_jPlPS6_PKS6_NS0_5tupleIJS9_S6_EEENSD_IJSA_SA_EEENS0_18inequality_wrapperIZN2at6native12_GLOBAL__N_124unique_dim_cuda_templateIbEESt5tupleIJNSH_6TensorESM_SM_EERKSM_lbbbEUlllE0_EEPmJS6_EEE10hipError_tPvRmT3_T4_T5_T6_T7_T9_mT8_P12ihipStream_tbDpT10_ENKUlT_T0_E_clISt17integral_constantIbLb1EES1C_EEDaS17_S18_EUlS17_E_NS1_11comp_targetILNS1_3genE8ELNS1_11target_archE1030ELNS1_3gpuE2ELNS1_3repE0EEENS1_30default_config_static_selectorELNS0_4arch9wavefront6targetE0EEEvT1_: ; @_ZN7rocprim17ROCPRIM_400000_NS6detail17trampoline_kernelINS0_14default_configENS1_25partition_config_selectorILNS1_17partition_subalgoE8ElNS0_10empty_typeEbEEZZNS1_14partition_implILS5_8ELb0ES3_jPlPS6_PKS6_NS0_5tupleIJS9_S6_EEENSD_IJSA_SA_EEENS0_18inequality_wrapperIZN2at6native12_GLOBAL__N_124unique_dim_cuda_templateIbEESt5tupleIJNSH_6TensorESM_SM_EERKSM_lbbbEUlllE0_EEPmJS6_EEE10hipError_tPvRmT3_T4_T5_T6_T7_T9_mT8_P12ihipStream_tbDpT10_ENKUlT_T0_E_clISt17integral_constantIbLb1EES1C_EEDaS17_S18_EUlS17_E_NS1_11comp_targetILNS1_3genE8ELNS1_11target_archE1030ELNS1_3gpuE2ELNS1_3repE0EEENS1_30default_config_static_selectorELNS0_4arch9wavefront6targetE0EEEvT1_
; %bb.0:
	.section	.rodata,"a",@progbits
	.p2align	6, 0x0
	.amdhsa_kernel _ZN7rocprim17ROCPRIM_400000_NS6detail17trampoline_kernelINS0_14default_configENS1_25partition_config_selectorILNS1_17partition_subalgoE8ElNS0_10empty_typeEbEEZZNS1_14partition_implILS5_8ELb0ES3_jPlPS6_PKS6_NS0_5tupleIJS9_S6_EEENSD_IJSA_SA_EEENS0_18inequality_wrapperIZN2at6native12_GLOBAL__N_124unique_dim_cuda_templateIbEESt5tupleIJNSH_6TensorESM_SM_EERKSM_lbbbEUlllE0_EEPmJS6_EEE10hipError_tPvRmT3_T4_T5_T6_T7_T9_mT8_P12ihipStream_tbDpT10_ENKUlT_T0_E_clISt17integral_constantIbLb1EES1C_EEDaS17_S18_EUlS17_E_NS1_11comp_targetILNS1_3genE8ELNS1_11target_archE1030ELNS1_3gpuE2ELNS1_3repE0EEENS1_30default_config_static_selectorELNS0_4arch9wavefront6targetE0EEEvT1_
		.amdhsa_group_segment_fixed_size 0
		.amdhsa_private_segment_fixed_size 0
		.amdhsa_kernarg_size 136
		.amdhsa_user_sgpr_count 15
		.amdhsa_user_sgpr_dispatch_ptr 0
		.amdhsa_user_sgpr_queue_ptr 0
		.amdhsa_user_sgpr_kernarg_segment_ptr 1
		.amdhsa_user_sgpr_dispatch_id 0
		.amdhsa_user_sgpr_private_segment_size 0
		.amdhsa_wavefront_size32 1
		.amdhsa_uses_dynamic_stack 0
		.amdhsa_enable_private_segment 0
		.amdhsa_system_sgpr_workgroup_id_x 1
		.amdhsa_system_sgpr_workgroup_id_y 0
		.amdhsa_system_sgpr_workgroup_id_z 0
		.amdhsa_system_sgpr_workgroup_info 0
		.amdhsa_system_vgpr_workitem_id 0
		.amdhsa_next_free_vgpr 1
		.amdhsa_next_free_sgpr 1
		.amdhsa_reserve_vcc 0
		.amdhsa_float_round_mode_32 0
		.amdhsa_float_round_mode_16_64 0
		.amdhsa_float_denorm_mode_32 3
		.amdhsa_float_denorm_mode_16_64 3
		.amdhsa_dx10_clamp 1
		.amdhsa_ieee_mode 1
		.amdhsa_fp16_overflow 0
		.amdhsa_workgroup_processor_mode 1
		.amdhsa_memory_ordered 1
		.amdhsa_forward_progress 0
		.amdhsa_shared_vgpr_count 0
		.amdhsa_exception_fp_ieee_invalid_op 0
		.amdhsa_exception_fp_denorm_src 0
		.amdhsa_exception_fp_ieee_div_zero 0
		.amdhsa_exception_fp_ieee_overflow 0
		.amdhsa_exception_fp_ieee_underflow 0
		.amdhsa_exception_fp_ieee_inexact 0
		.amdhsa_exception_int_div_zero 0
	.end_amdhsa_kernel
	.section	.text._ZN7rocprim17ROCPRIM_400000_NS6detail17trampoline_kernelINS0_14default_configENS1_25partition_config_selectorILNS1_17partition_subalgoE8ElNS0_10empty_typeEbEEZZNS1_14partition_implILS5_8ELb0ES3_jPlPS6_PKS6_NS0_5tupleIJS9_S6_EEENSD_IJSA_SA_EEENS0_18inequality_wrapperIZN2at6native12_GLOBAL__N_124unique_dim_cuda_templateIbEESt5tupleIJNSH_6TensorESM_SM_EERKSM_lbbbEUlllE0_EEPmJS6_EEE10hipError_tPvRmT3_T4_T5_T6_T7_T9_mT8_P12ihipStream_tbDpT10_ENKUlT_T0_E_clISt17integral_constantIbLb1EES1C_EEDaS17_S18_EUlS17_E_NS1_11comp_targetILNS1_3genE8ELNS1_11target_archE1030ELNS1_3gpuE2ELNS1_3repE0EEENS1_30default_config_static_selectorELNS0_4arch9wavefront6targetE0EEEvT1_,"axG",@progbits,_ZN7rocprim17ROCPRIM_400000_NS6detail17trampoline_kernelINS0_14default_configENS1_25partition_config_selectorILNS1_17partition_subalgoE8ElNS0_10empty_typeEbEEZZNS1_14partition_implILS5_8ELb0ES3_jPlPS6_PKS6_NS0_5tupleIJS9_S6_EEENSD_IJSA_SA_EEENS0_18inequality_wrapperIZN2at6native12_GLOBAL__N_124unique_dim_cuda_templateIbEESt5tupleIJNSH_6TensorESM_SM_EERKSM_lbbbEUlllE0_EEPmJS6_EEE10hipError_tPvRmT3_T4_T5_T6_T7_T9_mT8_P12ihipStream_tbDpT10_ENKUlT_T0_E_clISt17integral_constantIbLb1EES1C_EEDaS17_S18_EUlS17_E_NS1_11comp_targetILNS1_3genE8ELNS1_11target_archE1030ELNS1_3gpuE2ELNS1_3repE0EEENS1_30default_config_static_selectorELNS0_4arch9wavefront6targetE0EEEvT1_,comdat
.Lfunc_end1066:
	.size	_ZN7rocprim17ROCPRIM_400000_NS6detail17trampoline_kernelINS0_14default_configENS1_25partition_config_selectorILNS1_17partition_subalgoE8ElNS0_10empty_typeEbEEZZNS1_14partition_implILS5_8ELb0ES3_jPlPS6_PKS6_NS0_5tupleIJS9_S6_EEENSD_IJSA_SA_EEENS0_18inequality_wrapperIZN2at6native12_GLOBAL__N_124unique_dim_cuda_templateIbEESt5tupleIJNSH_6TensorESM_SM_EERKSM_lbbbEUlllE0_EEPmJS6_EEE10hipError_tPvRmT3_T4_T5_T6_T7_T9_mT8_P12ihipStream_tbDpT10_ENKUlT_T0_E_clISt17integral_constantIbLb1EES1C_EEDaS17_S18_EUlS17_E_NS1_11comp_targetILNS1_3genE8ELNS1_11target_archE1030ELNS1_3gpuE2ELNS1_3repE0EEENS1_30default_config_static_selectorELNS0_4arch9wavefront6targetE0EEEvT1_, .Lfunc_end1066-_ZN7rocprim17ROCPRIM_400000_NS6detail17trampoline_kernelINS0_14default_configENS1_25partition_config_selectorILNS1_17partition_subalgoE8ElNS0_10empty_typeEbEEZZNS1_14partition_implILS5_8ELb0ES3_jPlPS6_PKS6_NS0_5tupleIJS9_S6_EEENSD_IJSA_SA_EEENS0_18inequality_wrapperIZN2at6native12_GLOBAL__N_124unique_dim_cuda_templateIbEESt5tupleIJNSH_6TensorESM_SM_EERKSM_lbbbEUlllE0_EEPmJS6_EEE10hipError_tPvRmT3_T4_T5_T6_T7_T9_mT8_P12ihipStream_tbDpT10_ENKUlT_T0_E_clISt17integral_constantIbLb1EES1C_EEDaS17_S18_EUlS17_E_NS1_11comp_targetILNS1_3genE8ELNS1_11target_archE1030ELNS1_3gpuE2ELNS1_3repE0EEENS1_30default_config_static_selectorELNS0_4arch9wavefront6targetE0EEEvT1_
                                        ; -- End function
	.section	.AMDGPU.csdata,"",@progbits
; Kernel info:
; codeLenInByte = 0
; NumSgprs: 0
; NumVgprs: 0
; ScratchSize: 0
; MemoryBound: 0
; FloatMode: 240
; IeeeMode: 1
; LDSByteSize: 0 bytes/workgroup (compile time only)
; SGPRBlocks: 0
; VGPRBlocks: 0
; NumSGPRsForWavesPerEU: 1
; NumVGPRsForWavesPerEU: 1
; Occupancy: 16
; WaveLimiterHint : 0
; COMPUTE_PGM_RSRC2:SCRATCH_EN: 0
; COMPUTE_PGM_RSRC2:USER_SGPR: 15
; COMPUTE_PGM_RSRC2:TRAP_HANDLER: 0
; COMPUTE_PGM_RSRC2:TGID_X_EN: 1
; COMPUTE_PGM_RSRC2:TGID_Y_EN: 0
; COMPUTE_PGM_RSRC2:TGID_Z_EN: 0
; COMPUTE_PGM_RSRC2:TIDIG_COMP_CNT: 0
	.section	.text._ZN7rocprim17ROCPRIM_400000_NS6detail17trampoline_kernelINS0_14default_configENS1_25partition_config_selectorILNS1_17partition_subalgoE8ElNS0_10empty_typeEbEEZZNS1_14partition_implILS5_8ELb0ES3_jPlPS6_PKS6_NS0_5tupleIJS9_S6_EEENSD_IJSA_SA_EEENS0_18inequality_wrapperIZN2at6native12_GLOBAL__N_124unique_dim_cuda_templateIbEESt5tupleIJNSH_6TensorESM_SM_EERKSM_lbbbEUlllE0_EEPmJS6_EEE10hipError_tPvRmT3_T4_T5_T6_T7_T9_mT8_P12ihipStream_tbDpT10_ENKUlT_T0_E_clISt17integral_constantIbLb1EES1B_IbLb0EEEEDaS17_S18_EUlS17_E_NS1_11comp_targetILNS1_3genE0ELNS1_11target_archE4294967295ELNS1_3gpuE0ELNS1_3repE0EEENS1_30default_config_static_selectorELNS0_4arch9wavefront6targetE0EEEvT1_,"axG",@progbits,_ZN7rocprim17ROCPRIM_400000_NS6detail17trampoline_kernelINS0_14default_configENS1_25partition_config_selectorILNS1_17partition_subalgoE8ElNS0_10empty_typeEbEEZZNS1_14partition_implILS5_8ELb0ES3_jPlPS6_PKS6_NS0_5tupleIJS9_S6_EEENSD_IJSA_SA_EEENS0_18inequality_wrapperIZN2at6native12_GLOBAL__N_124unique_dim_cuda_templateIbEESt5tupleIJNSH_6TensorESM_SM_EERKSM_lbbbEUlllE0_EEPmJS6_EEE10hipError_tPvRmT3_T4_T5_T6_T7_T9_mT8_P12ihipStream_tbDpT10_ENKUlT_T0_E_clISt17integral_constantIbLb1EES1B_IbLb0EEEEDaS17_S18_EUlS17_E_NS1_11comp_targetILNS1_3genE0ELNS1_11target_archE4294967295ELNS1_3gpuE0ELNS1_3repE0EEENS1_30default_config_static_selectorELNS0_4arch9wavefront6targetE0EEEvT1_,comdat
	.globl	_ZN7rocprim17ROCPRIM_400000_NS6detail17trampoline_kernelINS0_14default_configENS1_25partition_config_selectorILNS1_17partition_subalgoE8ElNS0_10empty_typeEbEEZZNS1_14partition_implILS5_8ELb0ES3_jPlPS6_PKS6_NS0_5tupleIJS9_S6_EEENSD_IJSA_SA_EEENS0_18inequality_wrapperIZN2at6native12_GLOBAL__N_124unique_dim_cuda_templateIbEESt5tupleIJNSH_6TensorESM_SM_EERKSM_lbbbEUlllE0_EEPmJS6_EEE10hipError_tPvRmT3_T4_T5_T6_T7_T9_mT8_P12ihipStream_tbDpT10_ENKUlT_T0_E_clISt17integral_constantIbLb1EES1B_IbLb0EEEEDaS17_S18_EUlS17_E_NS1_11comp_targetILNS1_3genE0ELNS1_11target_archE4294967295ELNS1_3gpuE0ELNS1_3repE0EEENS1_30default_config_static_selectorELNS0_4arch9wavefront6targetE0EEEvT1_ ; -- Begin function _ZN7rocprim17ROCPRIM_400000_NS6detail17trampoline_kernelINS0_14default_configENS1_25partition_config_selectorILNS1_17partition_subalgoE8ElNS0_10empty_typeEbEEZZNS1_14partition_implILS5_8ELb0ES3_jPlPS6_PKS6_NS0_5tupleIJS9_S6_EEENSD_IJSA_SA_EEENS0_18inequality_wrapperIZN2at6native12_GLOBAL__N_124unique_dim_cuda_templateIbEESt5tupleIJNSH_6TensorESM_SM_EERKSM_lbbbEUlllE0_EEPmJS6_EEE10hipError_tPvRmT3_T4_T5_T6_T7_T9_mT8_P12ihipStream_tbDpT10_ENKUlT_T0_E_clISt17integral_constantIbLb1EES1B_IbLb0EEEEDaS17_S18_EUlS17_E_NS1_11comp_targetILNS1_3genE0ELNS1_11target_archE4294967295ELNS1_3gpuE0ELNS1_3repE0EEENS1_30default_config_static_selectorELNS0_4arch9wavefront6targetE0EEEvT1_
	.p2align	8
	.type	_ZN7rocprim17ROCPRIM_400000_NS6detail17trampoline_kernelINS0_14default_configENS1_25partition_config_selectorILNS1_17partition_subalgoE8ElNS0_10empty_typeEbEEZZNS1_14partition_implILS5_8ELb0ES3_jPlPS6_PKS6_NS0_5tupleIJS9_S6_EEENSD_IJSA_SA_EEENS0_18inequality_wrapperIZN2at6native12_GLOBAL__N_124unique_dim_cuda_templateIbEESt5tupleIJNSH_6TensorESM_SM_EERKSM_lbbbEUlllE0_EEPmJS6_EEE10hipError_tPvRmT3_T4_T5_T6_T7_T9_mT8_P12ihipStream_tbDpT10_ENKUlT_T0_E_clISt17integral_constantIbLb1EES1B_IbLb0EEEEDaS17_S18_EUlS17_E_NS1_11comp_targetILNS1_3genE0ELNS1_11target_archE4294967295ELNS1_3gpuE0ELNS1_3repE0EEENS1_30default_config_static_selectorELNS0_4arch9wavefront6targetE0EEEvT1_,@function
_ZN7rocprim17ROCPRIM_400000_NS6detail17trampoline_kernelINS0_14default_configENS1_25partition_config_selectorILNS1_17partition_subalgoE8ElNS0_10empty_typeEbEEZZNS1_14partition_implILS5_8ELb0ES3_jPlPS6_PKS6_NS0_5tupleIJS9_S6_EEENSD_IJSA_SA_EEENS0_18inequality_wrapperIZN2at6native12_GLOBAL__N_124unique_dim_cuda_templateIbEESt5tupleIJNSH_6TensorESM_SM_EERKSM_lbbbEUlllE0_EEPmJS6_EEE10hipError_tPvRmT3_T4_T5_T6_T7_T9_mT8_P12ihipStream_tbDpT10_ENKUlT_T0_E_clISt17integral_constantIbLb1EES1B_IbLb0EEEEDaS17_S18_EUlS17_E_NS1_11comp_targetILNS1_3genE0ELNS1_11target_archE4294967295ELNS1_3gpuE0ELNS1_3repE0EEENS1_30default_config_static_selectorELNS0_4arch9wavefront6targetE0EEEvT1_: ; @_ZN7rocprim17ROCPRIM_400000_NS6detail17trampoline_kernelINS0_14default_configENS1_25partition_config_selectorILNS1_17partition_subalgoE8ElNS0_10empty_typeEbEEZZNS1_14partition_implILS5_8ELb0ES3_jPlPS6_PKS6_NS0_5tupleIJS9_S6_EEENSD_IJSA_SA_EEENS0_18inequality_wrapperIZN2at6native12_GLOBAL__N_124unique_dim_cuda_templateIbEESt5tupleIJNSH_6TensorESM_SM_EERKSM_lbbbEUlllE0_EEPmJS6_EEE10hipError_tPvRmT3_T4_T5_T6_T7_T9_mT8_P12ihipStream_tbDpT10_ENKUlT_T0_E_clISt17integral_constantIbLb1EES1B_IbLb0EEEEDaS17_S18_EUlS17_E_NS1_11comp_targetILNS1_3genE0ELNS1_11target_archE4294967295ELNS1_3gpuE0ELNS1_3repE0EEENS1_30default_config_static_selectorELNS0_4arch9wavefront6targetE0EEEvT1_
; %bb.0:
	.section	.rodata,"a",@progbits
	.p2align	6, 0x0
	.amdhsa_kernel _ZN7rocprim17ROCPRIM_400000_NS6detail17trampoline_kernelINS0_14default_configENS1_25partition_config_selectorILNS1_17partition_subalgoE8ElNS0_10empty_typeEbEEZZNS1_14partition_implILS5_8ELb0ES3_jPlPS6_PKS6_NS0_5tupleIJS9_S6_EEENSD_IJSA_SA_EEENS0_18inequality_wrapperIZN2at6native12_GLOBAL__N_124unique_dim_cuda_templateIbEESt5tupleIJNSH_6TensorESM_SM_EERKSM_lbbbEUlllE0_EEPmJS6_EEE10hipError_tPvRmT3_T4_T5_T6_T7_T9_mT8_P12ihipStream_tbDpT10_ENKUlT_T0_E_clISt17integral_constantIbLb1EES1B_IbLb0EEEEDaS17_S18_EUlS17_E_NS1_11comp_targetILNS1_3genE0ELNS1_11target_archE4294967295ELNS1_3gpuE0ELNS1_3repE0EEENS1_30default_config_static_selectorELNS0_4arch9wavefront6targetE0EEEvT1_
		.amdhsa_group_segment_fixed_size 0
		.amdhsa_private_segment_fixed_size 0
		.amdhsa_kernarg_size 120
		.amdhsa_user_sgpr_count 15
		.amdhsa_user_sgpr_dispatch_ptr 0
		.amdhsa_user_sgpr_queue_ptr 0
		.amdhsa_user_sgpr_kernarg_segment_ptr 1
		.amdhsa_user_sgpr_dispatch_id 0
		.amdhsa_user_sgpr_private_segment_size 0
		.amdhsa_wavefront_size32 1
		.amdhsa_uses_dynamic_stack 0
		.amdhsa_enable_private_segment 0
		.amdhsa_system_sgpr_workgroup_id_x 1
		.amdhsa_system_sgpr_workgroup_id_y 0
		.amdhsa_system_sgpr_workgroup_id_z 0
		.amdhsa_system_sgpr_workgroup_info 0
		.amdhsa_system_vgpr_workitem_id 0
		.amdhsa_next_free_vgpr 1
		.amdhsa_next_free_sgpr 1
		.amdhsa_reserve_vcc 0
		.amdhsa_float_round_mode_32 0
		.amdhsa_float_round_mode_16_64 0
		.amdhsa_float_denorm_mode_32 3
		.amdhsa_float_denorm_mode_16_64 3
		.amdhsa_dx10_clamp 1
		.amdhsa_ieee_mode 1
		.amdhsa_fp16_overflow 0
		.amdhsa_workgroup_processor_mode 1
		.amdhsa_memory_ordered 1
		.amdhsa_forward_progress 0
		.amdhsa_shared_vgpr_count 0
		.amdhsa_exception_fp_ieee_invalid_op 0
		.amdhsa_exception_fp_denorm_src 0
		.amdhsa_exception_fp_ieee_div_zero 0
		.amdhsa_exception_fp_ieee_overflow 0
		.amdhsa_exception_fp_ieee_underflow 0
		.amdhsa_exception_fp_ieee_inexact 0
		.amdhsa_exception_int_div_zero 0
	.end_amdhsa_kernel
	.section	.text._ZN7rocprim17ROCPRIM_400000_NS6detail17trampoline_kernelINS0_14default_configENS1_25partition_config_selectorILNS1_17partition_subalgoE8ElNS0_10empty_typeEbEEZZNS1_14partition_implILS5_8ELb0ES3_jPlPS6_PKS6_NS0_5tupleIJS9_S6_EEENSD_IJSA_SA_EEENS0_18inequality_wrapperIZN2at6native12_GLOBAL__N_124unique_dim_cuda_templateIbEESt5tupleIJNSH_6TensorESM_SM_EERKSM_lbbbEUlllE0_EEPmJS6_EEE10hipError_tPvRmT3_T4_T5_T6_T7_T9_mT8_P12ihipStream_tbDpT10_ENKUlT_T0_E_clISt17integral_constantIbLb1EES1B_IbLb0EEEEDaS17_S18_EUlS17_E_NS1_11comp_targetILNS1_3genE0ELNS1_11target_archE4294967295ELNS1_3gpuE0ELNS1_3repE0EEENS1_30default_config_static_selectorELNS0_4arch9wavefront6targetE0EEEvT1_,"axG",@progbits,_ZN7rocprim17ROCPRIM_400000_NS6detail17trampoline_kernelINS0_14default_configENS1_25partition_config_selectorILNS1_17partition_subalgoE8ElNS0_10empty_typeEbEEZZNS1_14partition_implILS5_8ELb0ES3_jPlPS6_PKS6_NS0_5tupleIJS9_S6_EEENSD_IJSA_SA_EEENS0_18inequality_wrapperIZN2at6native12_GLOBAL__N_124unique_dim_cuda_templateIbEESt5tupleIJNSH_6TensorESM_SM_EERKSM_lbbbEUlllE0_EEPmJS6_EEE10hipError_tPvRmT3_T4_T5_T6_T7_T9_mT8_P12ihipStream_tbDpT10_ENKUlT_T0_E_clISt17integral_constantIbLb1EES1B_IbLb0EEEEDaS17_S18_EUlS17_E_NS1_11comp_targetILNS1_3genE0ELNS1_11target_archE4294967295ELNS1_3gpuE0ELNS1_3repE0EEENS1_30default_config_static_selectorELNS0_4arch9wavefront6targetE0EEEvT1_,comdat
.Lfunc_end1067:
	.size	_ZN7rocprim17ROCPRIM_400000_NS6detail17trampoline_kernelINS0_14default_configENS1_25partition_config_selectorILNS1_17partition_subalgoE8ElNS0_10empty_typeEbEEZZNS1_14partition_implILS5_8ELb0ES3_jPlPS6_PKS6_NS0_5tupleIJS9_S6_EEENSD_IJSA_SA_EEENS0_18inequality_wrapperIZN2at6native12_GLOBAL__N_124unique_dim_cuda_templateIbEESt5tupleIJNSH_6TensorESM_SM_EERKSM_lbbbEUlllE0_EEPmJS6_EEE10hipError_tPvRmT3_T4_T5_T6_T7_T9_mT8_P12ihipStream_tbDpT10_ENKUlT_T0_E_clISt17integral_constantIbLb1EES1B_IbLb0EEEEDaS17_S18_EUlS17_E_NS1_11comp_targetILNS1_3genE0ELNS1_11target_archE4294967295ELNS1_3gpuE0ELNS1_3repE0EEENS1_30default_config_static_selectorELNS0_4arch9wavefront6targetE0EEEvT1_, .Lfunc_end1067-_ZN7rocprim17ROCPRIM_400000_NS6detail17trampoline_kernelINS0_14default_configENS1_25partition_config_selectorILNS1_17partition_subalgoE8ElNS0_10empty_typeEbEEZZNS1_14partition_implILS5_8ELb0ES3_jPlPS6_PKS6_NS0_5tupleIJS9_S6_EEENSD_IJSA_SA_EEENS0_18inequality_wrapperIZN2at6native12_GLOBAL__N_124unique_dim_cuda_templateIbEESt5tupleIJNSH_6TensorESM_SM_EERKSM_lbbbEUlllE0_EEPmJS6_EEE10hipError_tPvRmT3_T4_T5_T6_T7_T9_mT8_P12ihipStream_tbDpT10_ENKUlT_T0_E_clISt17integral_constantIbLb1EES1B_IbLb0EEEEDaS17_S18_EUlS17_E_NS1_11comp_targetILNS1_3genE0ELNS1_11target_archE4294967295ELNS1_3gpuE0ELNS1_3repE0EEENS1_30default_config_static_selectorELNS0_4arch9wavefront6targetE0EEEvT1_
                                        ; -- End function
	.section	.AMDGPU.csdata,"",@progbits
; Kernel info:
; codeLenInByte = 0
; NumSgprs: 0
; NumVgprs: 0
; ScratchSize: 0
; MemoryBound: 0
; FloatMode: 240
; IeeeMode: 1
; LDSByteSize: 0 bytes/workgroup (compile time only)
; SGPRBlocks: 0
; VGPRBlocks: 0
; NumSGPRsForWavesPerEU: 1
; NumVGPRsForWavesPerEU: 1
; Occupancy: 16
; WaveLimiterHint : 0
; COMPUTE_PGM_RSRC2:SCRATCH_EN: 0
; COMPUTE_PGM_RSRC2:USER_SGPR: 15
; COMPUTE_PGM_RSRC2:TRAP_HANDLER: 0
; COMPUTE_PGM_RSRC2:TGID_X_EN: 1
; COMPUTE_PGM_RSRC2:TGID_Y_EN: 0
; COMPUTE_PGM_RSRC2:TGID_Z_EN: 0
; COMPUTE_PGM_RSRC2:TIDIG_COMP_CNT: 0
	.section	.text._ZN7rocprim17ROCPRIM_400000_NS6detail17trampoline_kernelINS0_14default_configENS1_25partition_config_selectorILNS1_17partition_subalgoE8ElNS0_10empty_typeEbEEZZNS1_14partition_implILS5_8ELb0ES3_jPlPS6_PKS6_NS0_5tupleIJS9_S6_EEENSD_IJSA_SA_EEENS0_18inequality_wrapperIZN2at6native12_GLOBAL__N_124unique_dim_cuda_templateIbEESt5tupleIJNSH_6TensorESM_SM_EERKSM_lbbbEUlllE0_EEPmJS6_EEE10hipError_tPvRmT3_T4_T5_T6_T7_T9_mT8_P12ihipStream_tbDpT10_ENKUlT_T0_E_clISt17integral_constantIbLb1EES1B_IbLb0EEEEDaS17_S18_EUlS17_E_NS1_11comp_targetILNS1_3genE5ELNS1_11target_archE942ELNS1_3gpuE9ELNS1_3repE0EEENS1_30default_config_static_selectorELNS0_4arch9wavefront6targetE0EEEvT1_,"axG",@progbits,_ZN7rocprim17ROCPRIM_400000_NS6detail17trampoline_kernelINS0_14default_configENS1_25partition_config_selectorILNS1_17partition_subalgoE8ElNS0_10empty_typeEbEEZZNS1_14partition_implILS5_8ELb0ES3_jPlPS6_PKS6_NS0_5tupleIJS9_S6_EEENSD_IJSA_SA_EEENS0_18inequality_wrapperIZN2at6native12_GLOBAL__N_124unique_dim_cuda_templateIbEESt5tupleIJNSH_6TensorESM_SM_EERKSM_lbbbEUlllE0_EEPmJS6_EEE10hipError_tPvRmT3_T4_T5_T6_T7_T9_mT8_P12ihipStream_tbDpT10_ENKUlT_T0_E_clISt17integral_constantIbLb1EES1B_IbLb0EEEEDaS17_S18_EUlS17_E_NS1_11comp_targetILNS1_3genE5ELNS1_11target_archE942ELNS1_3gpuE9ELNS1_3repE0EEENS1_30default_config_static_selectorELNS0_4arch9wavefront6targetE0EEEvT1_,comdat
	.globl	_ZN7rocprim17ROCPRIM_400000_NS6detail17trampoline_kernelINS0_14default_configENS1_25partition_config_selectorILNS1_17partition_subalgoE8ElNS0_10empty_typeEbEEZZNS1_14partition_implILS5_8ELb0ES3_jPlPS6_PKS6_NS0_5tupleIJS9_S6_EEENSD_IJSA_SA_EEENS0_18inequality_wrapperIZN2at6native12_GLOBAL__N_124unique_dim_cuda_templateIbEESt5tupleIJNSH_6TensorESM_SM_EERKSM_lbbbEUlllE0_EEPmJS6_EEE10hipError_tPvRmT3_T4_T5_T6_T7_T9_mT8_P12ihipStream_tbDpT10_ENKUlT_T0_E_clISt17integral_constantIbLb1EES1B_IbLb0EEEEDaS17_S18_EUlS17_E_NS1_11comp_targetILNS1_3genE5ELNS1_11target_archE942ELNS1_3gpuE9ELNS1_3repE0EEENS1_30default_config_static_selectorELNS0_4arch9wavefront6targetE0EEEvT1_ ; -- Begin function _ZN7rocprim17ROCPRIM_400000_NS6detail17trampoline_kernelINS0_14default_configENS1_25partition_config_selectorILNS1_17partition_subalgoE8ElNS0_10empty_typeEbEEZZNS1_14partition_implILS5_8ELb0ES3_jPlPS6_PKS6_NS0_5tupleIJS9_S6_EEENSD_IJSA_SA_EEENS0_18inequality_wrapperIZN2at6native12_GLOBAL__N_124unique_dim_cuda_templateIbEESt5tupleIJNSH_6TensorESM_SM_EERKSM_lbbbEUlllE0_EEPmJS6_EEE10hipError_tPvRmT3_T4_T5_T6_T7_T9_mT8_P12ihipStream_tbDpT10_ENKUlT_T0_E_clISt17integral_constantIbLb1EES1B_IbLb0EEEEDaS17_S18_EUlS17_E_NS1_11comp_targetILNS1_3genE5ELNS1_11target_archE942ELNS1_3gpuE9ELNS1_3repE0EEENS1_30default_config_static_selectorELNS0_4arch9wavefront6targetE0EEEvT1_
	.p2align	8
	.type	_ZN7rocprim17ROCPRIM_400000_NS6detail17trampoline_kernelINS0_14default_configENS1_25partition_config_selectorILNS1_17partition_subalgoE8ElNS0_10empty_typeEbEEZZNS1_14partition_implILS5_8ELb0ES3_jPlPS6_PKS6_NS0_5tupleIJS9_S6_EEENSD_IJSA_SA_EEENS0_18inequality_wrapperIZN2at6native12_GLOBAL__N_124unique_dim_cuda_templateIbEESt5tupleIJNSH_6TensorESM_SM_EERKSM_lbbbEUlllE0_EEPmJS6_EEE10hipError_tPvRmT3_T4_T5_T6_T7_T9_mT8_P12ihipStream_tbDpT10_ENKUlT_T0_E_clISt17integral_constantIbLb1EES1B_IbLb0EEEEDaS17_S18_EUlS17_E_NS1_11comp_targetILNS1_3genE5ELNS1_11target_archE942ELNS1_3gpuE9ELNS1_3repE0EEENS1_30default_config_static_selectorELNS0_4arch9wavefront6targetE0EEEvT1_,@function
_ZN7rocprim17ROCPRIM_400000_NS6detail17trampoline_kernelINS0_14default_configENS1_25partition_config_selectorILNS1_17partition_subalgoE8ElNS0_10empty_typeEbEEZZNS1_14partition_implILS5_8ELb0ES3_jPlPS6_PKS6_NS0_5tupleIJS9_S6_EEENSD_IJSA_SA_EEENS0_18inequality_wrapperIZN2at6native12_GLOBAL__N_124unique_dim_cuda_templateIbEESt5tupleIJNSH_6TensorESM_SM_EERKSM_lbbbEUlllE0_EEPmJS6_EEE10hipError_tPvRmT3_T4_T5_T6_T7_T9_mT8_P12ihipStream_tbDpT10_ENKUlT_T0_E_clISt17integral_constantIbLb1EES1B_IbLb0EEEEDaS17_S18_EUlS17_E_NS1_11comp_targetILNS1_3genE5ELNS1_11target_archE942ELNS1_3gpuE9ELNS1_3repE0EEENS1_30default_config_static_selectorELNS0_4arch9wavefront6targetE0EEEvT1_: ; @_ZN7rocprim17ROCPRIM_400000_NS6detail17trampoline_kernelINS0_14default_configENS1_25partition_config_selectorILNS1_17partition_subalgoE8ElNS0_10empty_typeEbEEZZNS1_14partition_implILS5_8ELb0ES3_jPlPS6_PKS6_NS0_5tupleIJS9_S6_EEENSD_IJSA_SA_EEENS0_18inequality_wrapperIZN2at6native12_GLOBAL__N_124unique_dim_cuda_templateIbEESt5tupleIJNSH_6TensorESM_SM_EERKSM_lbbbEUlllE0_EEPmJS6_EEE10hipError_tPvRmT3_T4_T5_T6_T7_T9_mT8_P12ihipStream_tbDpT10_ENKUlT_T0_E_clISt17integral_constantIbLb1EES1B_IbLb0EEEEDaS17_S18_EUlS17_E_NS1_11comp_targetILNS1_3genE5ELNS1_11target_archE942ELNS1_3gpuE9ELNS1_3repE0EEENS1_30default_config_static_selectorELNS0_4arch9wavefront6targetE0EEEvT1_
; %bb.0:
	.section	.rodata,"a",@progbits
	.p2align	6, 0x0
	.amdhsa_kernel _ZN7rocprim17ROCPRIM_400000_NS6detail17trampoline_kernelINS0_14default_configENS1_25partition_config_selectorILNS1_17partition_subalgoE8ElNS0_10empty_typeEbEEZZNS1_14partition_implILS5_8ELb0ES3_jPlPS6_PKS6_NS0_5tupleIJS9_S6_EEENSD_IJSA_SA_EEENS0_18inequality_wrapperIZN2at6native12_GLOBAL__N_124unique_dim_cuda_templateIbEESt5tupleIJNSH_6TensorESM_SM_EERKSM_lbbbEUlllE0_EEPmJS6_EEE10hipError_tPvRmT3_T4_T5_T6_T7_T9_mT8_P12ihipStream_tbDpT10_ENKUlT_T0_E_clISt17integral_constantIbLb1EES1B_IbLb0EEEEDaS17_S18_EUlS17_E_NS1_11comp_targetILNS1_3genE5ELNS1_11target_archE942ELNS1_3gpuE9ELNS1_3repE0EEENS1_30default_config_static_selectorELNS0_4arch9wavefront6targetE0EEEvT1_
		.amdhsa_group_segment_fixed_size 0
		.amdhsa_private_segment_fixed_size 0
		.amdhsa_kernarg_size 120
		.amdhsa_user_sgpr_count 15
		.amdhsa_user_sgpr_dispatch_ptr 0
		.amdhsa_user_sgpr_queue_ptr 0
		.amdhsa_user_sgpr_kernarg_segment_ptr 1
		.amdhsa_user_sgpr_dispatch_id 0
		.amdhsa_user_sgpr_private_segment_size 0
		.amdhsa_wavefront_size32 1
		.amdhsa_uses_dynamic_stack 0
		.amdhsa_enable_private_segment 0
		.amdhsa_system_sgpr_workgroup_id_x 1
		.amdhsa_system_sgpr_workgroup_id_y 0
		.amdhsa_system_sgpr_workgroup_id_z 0
		.amdhsa_system_sgpr_workgroup_info 0
		.amdhsa_system_vgpr_workitem_id 0
		.amdhsa_next_free_vgpr 1
		.amdhsa_next_free_sgpr 1
		.amdhsa_reserve_vcc 0
		.amdhsa_float_round_mode_32 0
		.amdhsa_float_round_mode_16_64 0
		.amdhsa_float_denorm_mode_32 3
		.amdhsa_float_denorm_mode_16_64 3
		.amdhsa_dx10_clamp 1
		.amdhsa_ieee_mode 1
		.amdhsa_fp16_overflow 0
		.amdhsa_workgroup_processor_mode 1
		.amdhsa_memory_ordered 1
		.amdhsa_forward_progress 0
		.amdhsa_shared_vgpr_count 0
		.amdhsa_exception_fp_ieee_invalid_op 0
		.amdhsa_exception_fp_denorm_src 0
		.amdhsa_exception_fp_ieee_div_zero 0
		.amdhsa_exception_fp_ieee_overflow 0
		.amdhsa_exception_fp_ieee_underflow 0
		.amdhsa_exception_fp_ieee_inexact 0
		.amdhsa_exception_int_div_zero 0
	.end_amdhsa_kernel
	.section	.text._ZN7rocprim17ROCPRIM_400000_NS6detail17trampoline_kernelINS0_14default_configENS1_25partition_config_selectorILNS1_17partition_subalgoE8ElNS0_10empty_typeEbEEZZNS1_14partition_implILS5_8ELb0ES3_jPlPS6_PKS6_NS0_5tupleIJS9_S6_EEENSD_IJSA_SA_EEENS0_18inequality_wrapperIZN2at6native12_GLOBAL__N_124unique_dim_cuda_templateIbEESt5tupleIJNSH_6TensorESM_SM_EERKSM_lbbbEUlllE0_EEPmJS6_EEE10hipError_tPvRmT3_T4_T5_T6_T7_T9_mT8_P12ihipStream_tbDpT10_ENKUlT_T0_E_clISt17integral_constantIbLb1EES1B_IbLb0EEEEDaS17_S18_EUlS17_E_NS1_11comp_targetILNS1_3genE5ELNS1_11target_archE942ELNS1_3gpuE9ELNS1_3repE0EEENS1_30default_config_static_selectorELNS0_4arch9wavefront6targetE0EEEvT1_,"axG",@progbits,_ZN7rocprim17ROCPRIM_400000_NS6detail17trampoline_kernelINS0_14default_configENS1_25partition_config_selectorILNS1_17partition_subalgoE8ElNS0_10empty_typeEbEEZZNS1_14partition_implILS5_8ELb0ES3_jPlPS6_PKS6_NS0_5tupleIJS9_S6_EEENSD_IJSA_SA_EEENS0_18inequality_wrapperIZN2at6native12_GLOBAL__N_124unique_dim_cuda_templateIbEESt5tupleIJNSH_6TensorESM_SM_EERKSM_lbbbEUlllE0_EEPmJS6_EEE10hipError_tPvRmT3_T4_T5_T6_T7_T9_mT8_P12ihipStream_tbDpT10_ENKUlT_T0_E_clISt17integral_constantIbLb1EES1B_IbLb0EEEEDaS17_S18_EUlS17_E_NS1_11comp_targetILNS1_3genE5ELNS1_11target_archE942ELNS1_3gpuE9ELNS1_3repE0EEENS1_30default_config_static_selectorELNS0_4arch9wavefront6targetE0EEEvT1_,comdat
.Lfunc_end1068:
	.size	_ZN7rocprim17ROCPRIM_400000_NS6detail17trampoline_kernelINS0_14default_configENS1_25partition_config_selectorILNS1_17partition_subalgoE8ElNS0_10empty_typeEbEEZZNS1_14partition_implILS5_8ELb0ES3_jPlPS6_PKS6_NS0_5tupleIJS9_S6_EEENSD_IJSA_SA_EEENS0_18inequality_wrapperIZN2at6native12_GLOBAL__N_124unique_dim_cuda_templateIbEESt5tupleIJNSH_6TensorESM_SM_EERKSM_lbbbEUlllE0_EEPmJS6_EEE10hipError_tPvRmT3_T4_T5_T6_T7_T9_mT8_P12ihipStream_tbDpT10_ENKUlT_T0_E_clISt17integral_constantIbLb1EES1B_IbLb0EEEEDaS17_S18_EUlS17_E_NS1_11comp_targetILNS1_3genE5ELNS1_11target_archE942ELNS1_3gpuE9ELNS1_3repE0EEENS1_30default_config_static_selectorELNS0_4arch9wavefront6targetE0EEEvT1_, .Lfunc_end1068-_ZN7rocprim17ROCPRIM_400000_NS6detail17trampoline_kernelINS0_14default_configENS1_25partition_config_selectorILNS1_17partition_subalgoE8ElNS0_10empty_typeEbEEZZNS1_14partition_implILS5_8ELb0ES3_jPlPS6_PKS6_NS0_5tupleIJS9_S6_EEENSD_IJSA_SA_EEENS0_18inequality_wrapperIZN2at6native12_GLOBAL__N_124unique_dim_cuda_templateIbEESt5tupleIJNSH_6TensorESM_SM_EERKSM_lbbbEUlllE0_EEPmJS6_EEE10hipError_tPvRmT3_T4_T5_T6_T7_T9_mT8_P12ihipStream_tbDpT10_ENKUlT_T0_E_clISt17integral_constantIbLb1EES1B_IbLb0EEEEDaS17_S18_EUlS17_E_NS1_11comp_targetILNS1_3genE5ELNS1_11target_archE942ELNS1_3gpuE9ELNS1_3repE0EEENS1_30default_config_static_selectorELNS0_4arch9wavefront6targetE0EEEvT1_
                                        ; -- End function
	.section	.AMDGPU.csdata,"",@progbits
; Kernel info:
; codeLenInByte = 0
; NumSgprs: 0
; NumVgprs: 0
; ScratchSize: 0
; MemoryBound: 0
; FloatMode: 240
; IeeeMode: 1
; LDSByteSize: 0 bytes/workgroup (compile time only)
; SGPRBlocks: 0
; VGPRBlocks: 0
; NumSGPRsForWavesPerEU: 1
; NumVGPRsForWavesPerEU: 1
; Occupancy: 16
; WaveLimiterHint : 0
; COMPUTE_PGM_RSRC2:SCRATCH_EN: 0
; COMPUTE_PGM_RSRC2:USER_SGPR: 15
; COMPUTE_PGM_RSRC2:TRAP_HANDLER: 0
; COMPUTE_PGM_RSRC2:TGID_X_EN: 1
; COMPUTE_PGM_RSRC2:TGID_Y_EN: 0
; COMPUTE_PGM_RSRC2:TGID_Z_EN: 0
; COMPUTE_PGM_RSRC2:TIDIG_COMP_CNT: 0
	.section	.text._ZN7rocprim17ROCPRIM_400000_NS6detail17trampoline_kernelINS0_14default_configENS1_25partition_config_selectorILNS1_17partition_subalgoE8ElNS0_10empty_typeEbEEZZNS1_14partition_implILS5_8ELb0ES3_jPlPS6_PKS6_NS0_5tupleIJS9_S6_EEENSD_IJSA_SA_EEENS0_18inequality_wrapperIZN2at6native12_GLOBAL__N_124unique_dim_cuda_templateIbEESt5tupleIJNSH_6TensorESM_SM_EERKSM_lbbbEUlllE0_EEPmJS6_EEE10hipError_tPvRmT3_T4_T5_T6_T7_T9_mT8_P12ihipStream_tbDpT10_ENKUlT_T0_E_clISt17integral_constantIbLb1EES1B_IbLb0EEEEDaS17_S18_EUlS17_E_NS1_11comp_targetILNS1_3genE4ELNS1_11target_archE910ELNS1_3gpuE8ELNS1_3repE0EEENS1_30default_config_static_selectorELNS0_4arch9wavefront6targetE0EEEvT1_,"axG",@progbits,_ZN7rocprim17ROCPRIM_400000_NS6detail17trampoline_kernelINS0_14default_configENS1_25partition_config_selectorILNS1_17partition_subalgoE8ElNS0_10empty_typeEbEEZZNS1_14partition_implILS5_8ELb0ES3_jPlPS6_PKS6_NS0_5tupleIJS9_S6_EEENSD_IJSA_SA_EEENS0_18inequality_wrapperIZN2at6native12_GLOBAL__N_124unique_dim_cuda_templateIbEESt5tupleIJNSH_6TensorESM_SM_EERKSM_lbbbEUlllE0_EEPmJS6_EEE10hipError_tPvRmT3_T4_T5_T6_T7_T9_mT8_P12ihipStream_tbDpT10_ENKUlT_T0_E_clISt17integral_constantIbLb1EES1B_IbLb0EEEEDaS17_S18_EUlS17_E_NS1_11comp_targetILNS1_3genE4ELNS1_11target_archE910ELNS1_3gpuE8ELNS1_3repE0EEENS1_30default_config_static_selectorELNS0_4arch9wavefront6targetE0EEEvT1_,comdat
	.globl	_ZN7rocprim17ROCPRIM_400000_NS6detail17trampoline_kernelINS0_14default_configENS1_25partition_config_selectorILNS1_17partition_subalgoE8ElNS0_10empty_typeEbEEZZNS1_14partition_implILS5_8ELb0ES3_jPlPS6_PKS6_NS0_5tupleIJS9_S6_EEENSD_IJSA_SA_EEENS0_18inequality_wrapperIZN2at6native12_GLOBAL__N_124unique_dim_cuda_templateIbEESt5tupleIJNSH_6TensorESM_SM_EERKSM_lbbbEUlllE0_EEPmJS6_EEE10hipError_tPvRmT3_T4_T5_T6_T7_T9_mT8_P12ihipStream_tbDpT10_ENKUlT_T0_E_clISt17integral_constantIbLb1EES1B_IbLb0EEEEDaS17_S18_EUlS17_E_NS1_11comp_targetILNS1_3genE4ELNS1_11target_archE910ELNS1_3gpuE8ELNS1_3repE0EEENS1_30default_config_static_selectorELNS0_4arch9wavefront6targetE0EEEvT1_ ; -- Begin function _ZN7rocprim17ROCPRIM_400000_NS6detail17trampoline_kernelINS0_14default_configENS1_25partition_config_selectorILNS1_17partition_subalgoE8ElNS0_10empty_typeEbEEZZNS1_14partition_implILS5_8ELb0ES3_jPlPS6_PKS6_NS0_5tupleIJS9_S6_EEENSD_IJSA_SA_EEENS0_18inequality_wrapperIZN2at6native12_GLOBAL__N_124unique_dim_cuda_templateIbEESt5tupleIJNSH_6TensorESM_SM_EERKSM_lbbbEUlllE0_EEPmJS6_EEE10hipError_tPvRmT3_T4_T5_T6_T7_T9_mT8_P12ihipStream_tbDpT10_ENKUlT_T0_E_clISt17integral_constantIbLb1EES1B_IbLb0EEEEDaS17_S18_EUlS17_E_NS1_11comp_targetILNS1_3genE4ELNS1_11target_archE910ELNS1_3gpuE8ELNS1_3repE0EEENS1_30default_config_static_selectorELNS0_4arch9wavefront6targetE0EEEvT1_
	.p2align	8
	.type	_ZN7rocprim17ROCPRIM_400000_NS6detail17trampoline_kernelINS0_14default_configENS1_25partition_config_selectorILNS1_17partition_subalgoE8ElNS0_10empty_typeEbEEZZNS1_14partition_implILS5_8ELb0ES3_jPlPS6_PKS6_NS0_5tupleIJS9_S6_EEENSD_IJSA_SA_EEENS0_18inequality_wrapperIZN2at6native12_GLOBAL__N_124unique_dim_cuda_templateIbEESt5tupleIJNSH_6TensorESM_SM_EERKSM_lbbbEUlllE0_EEPmJS6_EEE10hipError_tPvRmT3_T4_T5_T6_T7_T9_mT8_P12ihipStream_tbDpT10_ENKUlT_T0_E_clISt17integral_constantIbLb1EES1B_IbLb0EEEEDaS17_S18_EUlS17_E_NS1_11comp_targetILNS1_3genE4ELNS1_11target_archE910ELNS1_3gpuE8ELNS1_3repE0EEENS1_30default_config_static_selectorELNS0_4arch9wavefront6targetE0EEEvT1_,@function
_ZN7rocprim17ROCPRIM_400000_NS6detail17trampoline_kernelINS0_14default_configENS1_25partition_config_selectorILNS1_17partition_subalgoE8ElNS0_10empty_typeEbEEZZNS1_14partition_implILS5_8ELb0ES3_jPlPS6_PKS6_NS0_5tupleIJS9_S6_EEENSD_IJSA_SA_EEENS0_18inequality_wrapperIZN2at6native12_GLOBAL__N_124unique_dim_cuda_templateIbEESt5tupleIJNSH_6TensorESM_SM_EERKSM_lbbbEUlllE0_EEPmJS6_EEE10hipError_tPvRmT3_T4_T5_T6_T7_T9_mT8_P12ihipStream_tbDpT10_ENKUlT_T0_E_clISt17integral_constantIbLb1EES1B_IbLb0EEEEDaS17_S18_EUlS17_E_NS1_11comp_targetILNS1_3genE4ELNS1_11target_archE910ELNS1_3gpuE8ELNS1_3repE0EEENS1_30default_config_static_selectorELNS0_4arch9wavefront6targetE0EEEvT1_: ; @_ZN7rocprim17ROCPRIM_400000_NS6detail17trampoline_kernelINS0_14default_configENS1_25partition_config_selectorILNS1_17partition_subalgoE8ElNS0_10empty_typeEbEEZZNS1_14partition_implILS5_8ELb0ES3_jPlPS6_PKS6_NS0_5tupleIJS9_S6_EEENSD_IJSA_SA_EEENS0_18inequality_wrapperIZN2at6native12_GLOBAL__N_124unique_dim_cuda_templateIbEESt5tupleIJNSH_6TensorESM_SM_EERKSM_lbbbEUlllE0_EEPmJS6_EEE10hipError_tPvRmT3_T4_T5_T6_T7_T9_mT8_P12ihipStream_tbDpT10_ENKUlT_T0_E_clISt17integral_constantIbLb1EES1B_IbLb0EEEEDaS17_S18_EUlS17_E_NS1_11comp_targetILNS1_3genE4ELNS1_11target_archE910ELNS1_3gpuE8ELNS1_3repE0EEENS1_30default_config_static_selectorELNS0_4arch9wavefront6targetE0EEEvT1_
; %bb.0:
	.section	.rodata,"a",@progbits
	.p2align	6, 0x0
	.amdhsa_kernel _ZN7rocprim17ROCPRIM_400000_NS6detail17trampoline_kernelINS0_14default_configENS1_25partition_config_selectorILNS1_17partition_subalgoE8ElNS0_10empty_typeEbEEZZNS1_14partition_implILS5_8ELb0ES3_jPlPS6_PKS6_NS0_5tupleIJS9_S6_EEENSD_IJSA_SA_EEENS0_18inequality_wrapperIZN2at6native12_GLOBAL__N_124unique_dim_cuda_templateIbEESt5tupleIJNSH_6TensorESM_SM_EERKSM_lbbbEUlllE0_EEPmJS6_EEE10hipError_tPvRmT3_T4_T5_T6_T7_T9_mT8_P12ihipStream_tbDpT10_ENKUlT_T0_E_clISt17integral_constantIbLb1EES1B_IbLb0EEEEDaS17_S18_EUlS17_E_NS1_11comp_targetILNS1_3genE4ELNS1_11target_archE910ELNS1_3gpuE8ELNS1_3repE0EEENS1_30default_config_static_selectorELNS0_4arch9wavefront6targetE0EEEvT1_
		.amdhsa_group_segment_fixed_size 0
		.amdhsa_private_segment_fixed_size 0
		.amdhsa_kernarg_size 120
		.amdhsa_user_sgpr_count 15
		.amdhsa_user_sgpr_dispatch_ptr 0
		.amdhsa_user_sgpr_queue_ptr 0
		.amdhsa_user_sgpr_kernarg_segment_ptr 1
		.amdhsa_user_sgpr_dispatch_id 0
		.amdhsa_user_sgpr_private_segment_size 0
		.amdhsa_wavefront_size32 1
		.amdhsa_uses_dynamic_stack 0
		.amdhsa_enable_private_segment 0
		.amdhsa_system_sgpr_workgroup_id_x 1
		.amdhsa_system_sgpr_workgroup_id_y 0
		.amdhsa_system_sgpr_workgroup_id_z 0
		.amdhsa_system_sgpr_workgroup_info 0
		.amdhsa_system_vgpr_workitem_id 0
		.amdhsa_next_free_vgpr 1
		.amdhsa_next_free_sgpr 1
		.amdhsa_reserve_vcc 0
		.amdhsa_float_round_mode_32 0
		.amdhsa_float_round_mode_16_64 0
		.amdhsa_float_denorm_mode_32 3
		.amdhsa_float_denorm_mode_16_64 3
		.amdhsa_dx10_clamp 1
		.amdhsa_ieee_mode 1
		.amdhsa_fp16_overflow 0
		.amdhsa_workgroup_processor_mode 1
		.amdhsa_memory_ordered 1
		.amdhsa_forward_progress 0
		.amdhsa_shared_vgpr_count 0
		.amdhsa_exception_fp_ieee_invalid_op 0
		.amdhsa_exception_fp_denorm_src 0
		.amdhsa_exception_fp_ieee_div_zero 0
		.amdhsa_exception_fp_ieee_overflow 0
		.amdhsa_exception_fp_ieee_underflow 0
		.amdhsa_exception_fp_ieee_inexact 0
		.amdhsa_exception_int_div_zero 0
	.end_amdhsa_kernel
	.section	.text._ZN7rocprim17ROCPRIM_400000_NS6detail17trampoline_kernelINS0_14default_configENS1_25partition_config_selectorILNS1_17partition_subalgoE8ElNS0_10empty_typeEbEEZZNS1_14partition_implILS5_8ELb0ES3_jPlPS6_PKS6_NS0_5tupleIJS9_S6_EEENSD_IJSA_SA_EEENS0_18inequality_wrapperIZN2at6native12_GLOBAL__N_124unique_dim_cuda_templateIbEESt5tupleIJNSH_6TensorESM_SM_EERKSM_lbbbEUlllE0_EEPmJS6_EEE10hipError_tPvRmT3_T4_T5_T6_T7_T9_mT8_P12ihipStream_tbDpT10_ENKUlT_T0_E_clISt17integral_constantIbLb1EES1B_IbLb0EEEEDaS17_S18_EUlS17_E_NS1_11comp_targetILNS1_3genE4ELNS1_11target_archE910ELNS1_3gpuE8ELNS1_3repE0EEENS1_30default_config_static_selectorELNS0_4arch9wavefront6targetE0EEEvT1_,"axG",@progbits,_ZN7rocprim17ROCPRIM_400000_NS6detail17trampoline_kernelINS0_14default_configENS1_25partition_config_selectorILNS1_17partition_subalgoE8ElNS0_10empty_typeEbEEZZNS1_14partition_implILS5_8ELb0ES3_jPlPS6_PKS6_NS0_5tupleIJS9_S6_EEENSD_IJSA_SA_EEENS0_18inequality_wrapperIZN2at6native12_GLOBAL__N_124unique_dim_cuda_templateIbEESt5tupleIJNSH_6TensorESM_SM_EERKSM_lbbbEUlllE0_EEPmJS6_EEE10hipError_tPvRmT3_T4_T5_T6_T7_T9_mT8_P12ihipStream_tbDpT10_ENKUlT_T0_E_clISt17integral_constantIbLb1EES1B_IbLb0EEEEDaS17_S18_EUlS17_E_NS1_11comp_targetILNS1_3genE4ELNS1_11target_archE910ELNS1_3gpuE8ELNS1_3repE0EEENS1_30default_config_static_selectorELNS0_4arch9wavefront6targetE0EEEvT1_,comdat
.Lfunc_end1069:
	.size	_ZN7rocprim17ROCPRIM_400000_NS6detail17trampoline_kernelINS0_14default_configENS1_25partition_config_selectorILNS1_17partition_subalgoE8ElNS0_10empty_typeEbEEZZNS1_14partition_implILS5_8ELb0ES3_jPlPS6_PKS6_NS0_5tupleIJS9_S6_EEENSD_IJSA_SA_EEENS0_18inequality_wrapperIZN2at6native12_GLOBAL__N_124unique_dim_cuda_templateIbEESt5tupleIJNSH_6TensorESM_SM_EERKSM_lbbbEUlllE0_EEPmJS6_EEE10hipError_tPvRmT3_T4_T5_T6_T7_T9_mT8_P12ihipStream_tbDpT10_ENKUlT_T0_E_clISt17integral_constantIbLb1EES1B_IbLb0EEEEDaS17_S18_EUlS17_E_NS1_11comp_targetILNS1_3genE4ELNS1_11target_archE910ELNS1_3gpuE8ELNS1_3repE0EEENS1_30default_config_static_selectorELNS0_4arch9wavefront6targetE0EEEvT1_, .Lfunc_end1069-_ZN7rocprim17ROCPRIM_400000_NS6detail17trampoline_kernelINS0_14default_configENS1_25partition_config_selectorILNS1_17partition_subalgoE8ElNS0_10empty_typeEbEEZZNS1_14partition_implILS5_8ELb0ES3_jPlPS6_PKS6_NS0_5tupleIJS9_S6_EEENSD_IJSA_SA_EEENS0_18inequality_wrapperIZN2at6native12_GLOBAL__N_124unique_dim_cuda_templateIbEESt5tupleIJNSH_6TensorESM_SM_EERKSM_lbbbEUlllE0_EEPmJS6_EEE10hipError_tPvRmT3_T4_T5_T6_T7_T9_mT8_P12ihipStream_tbDpT10_ENKUlT_T0_E_clISt17integral_constantIbLb1EES1B_IbLb0EEEEDaS17_S18_EUlS17_E_NS1_11comp_targetILNS1_3genE4ELNS1_11target_archE910ELNS1_3gpuE8ELNS1_3repE0EEENS1_30default_config_static_selectorELNS0_4arch9wavefront6targetE0EEEvT1_
                                        ; -- End function
	.section	.AMDGPU.csdata,"",@progbits
; Kernel info:
; codeLenInByte = 0
; NumSgprs: 0
; NumVgprs: 0
; ScratchSize: 0
; MemoryBound: 0
; FloatMode: 240
; IeeeMode: 1
; LDSByteSize: 0 bytes/workgroup (compile time only)
; SGPRBlocks: 0
; VGPRBlocks: 0
; NumSGPRsForWavesPerEU: 1
; NumVGPRsForWavesPerEU: 1
; Occupancy: 16
; WaveLimiterHint : 0
; COMPUTE_PGM_RSRC2:SCRATCH_EN: 0
; COMPUTE_PGM_RSRC2:USER_SGPR: 15
; COMPUTE_PGM_RSRC2:TRAP_HANDLER: 0
; COMPUTE_PGM_RSRC2:TGID_X_EN: 1
; COMPUTE_PGM_RSRC2:TGID_Y_EN: 0
; COMPUTE_PGM_RSRC2:TGID_Z_EN: 0
; COMPUTE_PGM_RSRC2:TIDIG_COMP_CNT: 0
	.section	.text._ZN7rocprim17ROCPRIM_400000_NS6detail17trampoline_kernelINS0_14default_configENS1_25partition_config_selectorILNS1_17partition_subalgoE8ElNS0_10empty_typeEbEEZZNS1_14partition_implILS5_8ELb0ES3_jPlPS6_PKS6_NS0_5tupleIJS9_S6_EEENSD_IJSA_SA_EEENS0_18inequality_wrapperIZN2at6native12_GLOBAL__N_124unique_dim_cuda_templateIbEESt5tupleIJNSH_6TensorESM_SM_EERKSM_lbbbEUlllE0_EEPmJS6_EEE10hipError_tPvRmT3_T4_T5_T6_T7_T9_mT8_P12ihipStream_tbDpT10_ENKUlT_T0_E_clISt17integral_constantIbLb1EES1B_IbLb0EEEEDaS17_S18_EUlS17_E_NS1_11comp_targetILNS1_3genE3ELNS1_11target_archE908ELNS1_3gpuE7ELNS1_3repE0EEENS1_30default_config_static_selectorELNS0_4arch9wavefront6targetE0EEEvT1_,"axG",@progbits,_ZN7rocprim17ROCPRIM_400000_NS6detail17trampoline_kernelINS0_14default_configENS1_25partition_config_selectorILNS1_17partition_subalgoE8ElNS0_10empty_typeEbEEZZNS1_14partition_implILS5_8ELb0ES3_jPlPS6_PKS6_NS0_5tupleIJS9_S6_EEENSD_IJSA_SA_EEENS0_18inequality_wrapperIZN2at6native12_GLOBAL__N_124unique_dim_cuda_templateIbEESt5tupleIJNSH_6TensorESM_SM_EERKSM_lbbbEUlllE0_EEPmJS6_EEE10hipError_tPvRmT3_T4_T5_T6_T7_T9_mT8_P12ihipStream_tbDpT10_ENKUlT_T0_E_clISt17integral_constantIbLb1EES1B_IbLb0EEEEDaS17_S18_EUlS17_E_NS1_11comp_targetILNS1_3genE3ELNS1_11target_archE908ELNS1_3gpuE7ELNS1_3repE0EEENS1_30default_config_static_selectorELNS0_4arch9wavefront6targetE0EEEvT1_,comdat
	.globl	_ZN7rocprim17ROCPRIM_400000_NS6detail17trampoline_kernelINS0_14default_configENS1_25partition_config_selectorILNS1_17partition_subalgoE8ElNS0_10empty_typeEbEEZZNS1_14partition_implILS5_8ELb0ES3_jPlPS6_PKS6_NS0_5tupleIJS9_S6_EEENSD_IJSA_SA_EEENS0_18inequality_wrapperIZN2at6native12_GLOBAL__N_124unique_dim_cuda_templateIbEESt5tupleIJNSH_6TensorESM_SM_EERKSM_lbbbEUlllE0_EEPmJS6_EEE10hipError_tPvRmT3_T4_T5_T6_T7_T9_mT8_P12ihipStream_tbDpT10_ENKUlT_T0_E_clISt17integral_constantIbLb1EES1B_IbLb0EEEEDaS17_S18_EUlS17_E_NS1_11comp_targetILNS1_3genE3ELNS1_11target_archE908ELNS1_3gpuE7ELNS1_3repE0EEENS1_30default_config_static_selectorELNS0_4arch9wavefront6targetE0EEEvT1_ ; -- Begin function _ZN7rocprim17ROCPRIM_400000_NS6detail17trampoline_kernelINS0_14default_configENS1_25partition_config_selectorILNS1_17partition_subalgoE8ElNS0_10empty_typeEbEEZZNS1_14partition_implILS5_8ELb0ES3_jPlPS6_PKS6_NS0_5tupleIJS9_S6_EEENSD_IJSA_SA_EEENS0_18inequality_wrapperIZN2at6native12_GLOBAL__N_124unique_dim_cuda_templateIbEESt5tupleIJNSH_6TensorESM_SM_EERKSM_lbbbEUlllE0_EEPmJS6_EEE10hipError_tPvRmT3_T4_T5_T6_T7_T9_mT8_P12ihipStream_tbDpT10_ENKUlT_T0_E_clISt17integral_constantIbLb1EES1B_IbLb0EEEEDaS17_S18_EUlS17_E_NS1_11comp_targetILNS1_3genE3ELNS1_11target_archE908ELNS1_3gpuE7ELNS1_3repE0EEENS1_30default_config_static_selectorELNS0_4arch9wavefront6targetE0EEEvT1_
	.p2align	8
	.type	_ZN7rocprim17ROCPRIM_400000_NS6detail17trampoline_kernelINS0_14default_configENS1_25partition_config_selectorILNS1_17partition_subalgoE8ElNS0_10empty_typeEbEEZZNS1_14partition_implILS5_8ELb0ES3_jPlPS6_PKS6_NS0_5tupleIJS9_S6_EEENSD_IJSA_SA_EEENS0_18inequality_wrapperIZN2at6native12_GLOBAL__N_124unique_dim_cuda_templateIbEESt5tupleIJNSH_6TensorESM_SM_EERKSM_lbbbEUlllE0_EEPmJS6_EEE10hipError_tPvRmT3_T4_T5_T6_T7_T9_mT8_P12ihipStream_tbDpT10_ENKUlT_T0_E_clISt17integral_constantIbLb1EES1B_IbLb0EEEEDaS17_S18_EUlS17_E_NS1_11comp_targetILNS1_3genE3ELNS1_11target_archE908ELNS1_3gpuE7ELNS1_3repE0EEENS1_30default_config_static_selectorELNS0_4arch9wavefront6targetE0EEEvT1_,@function
_ZN7rocprim17ROCPRIM_400000_NS6detail17trampoline_kernelINS0_14default_configENS1_25partition_config_selectorILNS1_17partition_subalgoE8ElNS0_10empty_typeEbEEZZNS1_14partition_implILS5_8ELb0ES3_jPlPS6_PKS6_NS0_5tupleIJS9_S6_EEENSD_IJSA_SA_EEENS0_18inequality_wrapperIZN2at6native12_GLOBAL__N_124unique_dim_cuda_templateIbEESt5tupleIJNSH_6TensorESM_SM_EERKSM_lbbbEUlllE0_EEPmJS6_EEE10hipError_tPvRmT3_T4_T5_T6_T7_T9_mT8_P12ihipStream_tbDpT10_ENKUlT_T0_E_clISt17integral_constantIbLb1EES1B_IbLb0EEEEDaS17_S18_EUlS17_E_NS1_11comp_targetILNS1_3genE3ELNS1_11target_archE908ELNS1_3gpuE7ELNS1_3repE0EEENS1_30default_config_static_selectorELNS0_4arch9wavefront6targetE0EEEvT1_: ; @_ZN7rocprim17ROCPRIM_400000_NS6detail17trampoline_kernelINS0_14default_configENS1_25partition_config_selectorILNS1_17partition_subalgoE8ElNS0_10empty_typeEbEEZZNS1_14partition_implILS5_8ELb0ES3_jPlPS6_PKS6_NS0_5tupleIJS9_S6_EEENSD_IJSA_SA_EEENS0_18inequality_wrapperIZN2at6native12_GLOBAL__N_124unique_dim_cuda_templateIbEESt5tupleIJNSH_6TensorESM_SM_EERKSM_lbbbEUlllE0_EEPmJS6_EEE10hipError_tPvRmT3_T4_T5_T6_T7_T9_mT8_P12ihipStream_tbDpT10_ENKUlT_T0_E_clISt17integral_constantIbLb1EES1B_IbLb0EEEEDaS17_S18_EUlS17_E_NS1_11comp_targetILNS1_3genE3ELNS1_11target_archE908ELNS1_3gpuE7ELNS1_3repE0EEENS1_30default_config_static_selectorELNS0_4arch9wavefront6targetE0EEEvT1_
; %bb.0:
	.section	.rodata,"a",@progbits
	.p2align	6, 0x0
	.amdhsa_kernel _ZN7rocprim17ROCPRIM_400000_NS6detail17trampoline_kernelINS0_14default_configENS1_25partition_config_selectorILNS1_17partition_subalgoE8ElNS0_10empty_typeEbEEZZNS1_14partition_implILS5_8ELb0ES3_jPlPS6_PKS6_NS0_5tupleIJS9_S6_EEENSD_IJSA_SA_EEENS0_18inequality_wrapperIZN2at6native12_GLOBAL__N_124unique_dim_cuda_templateIbEESt5tupleIJNSH_6TensorESM_SM_EERKSM_lbbbEUlllE0_EEPmJS6_EEE10hipError_tPvRmT3_T4_T5_T6_T7_T9_mT8_P12ihipStream_tbDpT10_ENKUlT_T0_E_clISt17integral_constantIbLb1EES1B_IbLb0EEEEDaS17_S18_EUlS17_E_NS1_11comp_targetILNS1_3genE3ELNS1_11target_archE908ELNS1_3gpuE7ELNS1_3repE0EEENS1_30default_config_static_selectorELNS0_4arch9wavefront6targetE0EEEvT1_
		.amdhsa_group_segment_fixed_size 0
		.amdhsa_private_segment_fixed_size 0
		.amdhsa_kernarg_size 120
		.amdhsa_user_sgpr_count 15
		.amdhsa_user_sgpr_dispatch_ptr 0
		.amdhsa_user_sgpr_queue_ptr 0
		.amdhsa_user_sgpr_kernarg_segment_ptr 1
		.amdhsa_user_sgpr_dispatch_id 0
		.amdhsa_user_sgpr_private_segment_size 0
		.amdhsa_wavefront_size32 1
		.amdhsa_uses_dynamic_stack 0
		.amdhsa_enable_private_segment 0
		.amdhsa_system_sgpr_workgroup_id_x 1
		.amdhsa_system_sgpr_workgroup_id_y 0
		.amdhsa_system_sgpr_workgroup_id_z 0
		.amdhsa_system_sgpr_workgroup_info 0
		.amdhsa_system_vgpr_workitem_id 0
		.amdhsa_next_free_vgpr 1
		.amdhsa_next_free_sgpr 1
		.amdhsa_reserve_vcc 0
		.amdhsa_float_round_mode_32 0
		.amdhsa_float_round_mode_16_64 0
		.amdhsa_float_denorm_mode_32 3
		.amdhsa_float_denorm_mode_16_64 3
		.amdhsa_dx10_clamp 1
		.amdhsa_ieee_mode 1
		.amdhsa_fp16_overflow 0
		.amdhsa_workgroup_processor_mode 1
		.amdhsa_memory_ordered 1
		.amdhsa_forward_progress 0
		.amdhsa_shared_vgpr_count 0
		.amdhsa_exception_fp_ieee_invalid_op 0
		.amdhsa_exception_fp_denorm_src 0
		.amdhsa_exception_fp_ieee_div_zero 0
		.amdhsa_exception_fp_ieee_overflow 0
		.amdhsa_exception_fp_ieee_underflow 0
		.amdhsa_exception_fp_ieee_inexact 0
		.amdhsa_exception_int_div_zero 0
	.end_amdhsa_kernel
	.section	.text._ZN7rocprim17ROCPRIM_400000_NS6detail17trampoline_kernelINS0_14default_configENS1_25partition_config_selectorILNS1_17partition_subalgoE8ElNS0_10empty_typeEbEEZZNS1_14partition_implILS5_8ELb0ES3_jPlPS6_PKS6_NS0_5tupleIJS9_S6_EEENSD_IJSA_SA_EEENS0_18inequality_wrapperIZN2at6native12_GLOBAL__N_124unique_dim_cuda_templateIbEESt5tupleIJNSH_6TensorESM_SM_EERKSM_lbbbEUlllE0_EEPmJS6_EEE10hipError_tPvRmT3_T4_T5_T6_T7_T9_mT8_P12ihipStream_tbDpT10_ENKUlT_T0_E_clISt17integral_constantIbLb1EES1B_IbLb0EEEEDaS17_S18_EUlS17_E_NS1_11comp_targetILNS1_3genE3ELNS1_11target_archE908ELNS1_3gpuE7ELNS1_3repE0EEENS1_30default_config_static_selectorELNS0_4arch9wavefront6targetE0EEEvT1_,"axG",@progbits,_ZN7rocprim17ROCPRIM_400000_NS6detail17trampoline_kernelINS0_14default_configENS1_25partition_config_selectorILNS1_17partition_subalgoE8ElNS0_10empty_typeEbEEZZNS1_14partition_implILS5_8ELb0ES3_jPlPS6_PKS6_NS0_5tupleIJS9_S6_EEENSD_IJSA_SA_EEENS0_18inequality_wrapperIZN2at6native12_GLOBAL__N_124unique_dim_cuda_templateIbEESt5tupleIJNSH_6TensorESM_SM_EERKSM_lbbbEUlllE0_EEPmJS6_EEE10hipError_tPvRmT3_T4_T5_T6_T7_T9_mT8_P12ihipStream_tbDpT10_ENKUlT_T0_E_clISt17integral_constantIbLb1EES1B_IbLb0EEEEDaS17_S18_EUlS17_E_NS1_11comp_targetILNS1_3genE3ELNS1_11target_archE908ELNS1_3gpuE7ELNS1_3repE0EEENS1_30default_config_static_selectorELNS0_4arch9wavefront6targetE0EEEvT1_,comdat
.Lfunc_end1070:
	.size	_ZN7rocprim17ROCPRIM_400000_NS6detail17trampoline_kernelINS0_14default_configENS1_25partition_config_selectorILNS1_17partition_subalgoE8ElNS0_10empty_typeEbEEZZNS1_14partition_implILS5_8ELb0ES3_jPlPS6_PKS6_NS0_5tupleIJS9_S6_EEENSD_IJSA_SA_EEENS0_18inequality_wrapperIZN2at6native12_GLOBAL__N_124unique_dim_cuda_templateIbEESt5tupleIJNSH_6TensorESM_SM_EERKSM_lbbbEUlllE0_EEPmJS6_EEE10hipError_tPvRmT3_T4_T5_T6_T7_T9_mT8_P12ihipStream_tbDpT10_ENKUlT_T0_E_clISt17integral_constantIbLb1EES1B_IbLb0EEEEDaS17_S18_EUlS17_E_NS1_11comp_targetILNS1_3genE3ELNS1_11target_archE908ELNS1_3gpuE7ELNS1_3repE0EEENS1_30default_config_static_selectorELNS0_4arch9wavefront6targetE0EEEvT1_, .Lfunc_end1070-_ZN7rocprim17ROCPRIM_400000_NS6detail17trampoline_kernelINS0_14default_configENS1_25partition_config_selectorILNS1_17partition_subalgoE8ElNS0_10empty_typeEbEEZZNS1_14partition_implILS5_8ELb0ES3_jPlPS6_PKS6_NS0_5tupleIJS9_S6_EEENSD_IJSA_SA_EEENS0_18inequality_wrapperIZN2at6native12_GLOBAL__N_124unique_dim_cuda_templateIbEESt5tupleIJNSH_6TensorESM_SM_EERKSM_lbbbEUlllE0_EEPmJS6_EEE10hipError_tPvRmT3_T4_T5_T6_T7_T9_mT8_P12ihipStream_tbDpT10_ENKUlT_T0_E_clISt17integral_constantIbLb1EES1B_IbLb0EEEEDaS17_S18_EUlS17_E_NS1_11comp_targetILNS1_3genE3ELNS1_11target_archE908ELNS1_3gpuE7ELNS1_3repE0EEENS1_30default_config_static_selectorELNS0_4arch9wavefront6targetE0EEEvT1_
                                        ; -- End function
	.section	.AMDGPU.csdata,"",@progbits
; Kernel info:
; codeLenInByte = 0
; NumSgprs: 0
; NumVgprs: 0
; ScratchSize: 0
; MemoryBound: 0
; FloatMode: 240
; IeeeMode: 1
; LDSByteSize: 0 bytes/workgroup (compile time only)
; SGPRBlocks: 0
; VGPRBlocks: 0
; NumSGPRsForWavesPerEU: 1
; NumVGPRsForWavesPerEU: 1
; Occupancy: 16
; WaveLimiterHint : 0
; COMPUTE_PGM_RSRC2:SCRATCH_EN: 0
; COMPUTE_PGM_RSRC2:USER_SGPR: 15
; COMPUTE_PGM_RSRC2:TRAP_HANDLER: 0
; COMPUTE_PGM_RSRC2:TGID_X_EN: 1
; COMPUTE_PGM_RSRC2:TGID_Y_EN: 0
; COMPUTE_PGM_RSRC2:TGID_Z_EN: 0
; COMPUTE_PGM_RSRC2:TIDIG_COMP_CNT: 0
	.section	.text._ZN7rocprim17ROCPRIM_400000_NS6detail17trampoline_kernelINS0_14default_configENS1_25partition_config_selectorILNS1_17partition_subalgoE8ElNS0_10empty_typeEbEEZZNS1_14partition_implILS5_8ELb0ES3_jPlPS6_PKS6_NS0_5tupleIJS9_S6_EEENSD_IJSA_SA_EEENS0_18inequality_wrapperIZN2at6native12_GLOBAL__N_124unique_dim_cuda_templateIbEESt5tupleIJNSH_6TensorESM_SM_EERKSM_lbbbEUlllE0_EEPmJS6_EEE10hipError_tPvRmT3_T4_T5_T6_T7_T9_mT8_P12ihipStream_tbDpT10_ENKUlT_T0_E_clISt17integral_constantIbLb1EES1B_IbLb0EEEEDaS17_S18_EUlS17_E_NS1_11comp_targetILNS1_3genE2ELNS1_11target_archE906ELNS1_3gpuE6ELNS1_3repE0EEENS1_30default_config_static_selectorELNS0_4arch9wavefront6targetE0EEEvT1_,"axG",@progbits,_ZN7rocprim17ROCPRIM_400000_NS6detail17trampoline_kernelINS0_14default_configENS1_25partition_config_selectorILNS1_17partition_subalgoE8ElNS0_10empty_typeEbEEZZNS1_14partition_implILS5_8ELb0ES3_jPlPS6_PKS6_NS0_5tupleIJS9_S6_EEENSD_IJSA_SA_EEENS0_18inequality_wrapperIZN2at6native12_GLOBAL__N_124unique_dim_cuda_templateIbEESt5tupleIJNSH_6TensorESM_SM_EERKSM_lbbbEUlllE0_EEPmJS6_EEE10hipError_tPvRmT3_T4_T5_T6_T7_T9_mT8_P12ihipStream_tbDpT10_ENKUlT_T0_E_clISt17integral_constantIbLb1EES1B_IbLb0EEEEDaS17_S18_EUlS17_E_NS1_11comp_targetILNS1_3genE2ELNS1_11target_archE906ELNS1_3gpuE6ELNS1_3repE0EEENS1_30default_config_static_selectorELNS0_4arch9wavefront6targetE0EEEvT1_,comdat
	.globl	_ZN7rocprim17ROCPRIM_400000_NS6detail17trampoline_kernelINS0_14default_configENS1_25partition_config_selectorILNS1_17partition_subalgoE8ElNS0_10empty_typeEbEEZZNS1_14partition_implILS5_8ELb0ES3_jPlPS6_PKS6_NS0_5tupleIJS9_S6_EEENSD_IJSA_SA_EEENS0_18inequality_wrapperIZN2at6native12_GLOBAL__N_124unique_dim_cuda_templateIbEESt5tupleIJNSH_6TensorESM_SM_EERKSM_lbbbEUlllE0_EEPmJS6_EEE10hipError_tPvRmT3_T4_T5_T6_T7_T9_mT8_P12ihipStream_tbDpT10_ENKUlT_T0_E_clISt17integral_constantIbLb1EES1B_IbLb0EEEEDaS17_S18_EUlS17_E_NS1_11comp_targetILNS1_3genE2ELNS1_11target_archE906ELNS1_3gpuE6ELNS1_3repE0EEENS1_30default_config_static_selectorELNS0_4arch9wavefront6targetE0EEEvT1_ ; -- Begin function _ZN7rocprim17ROCPRIM_400000_NS6detail17trampoline_kernelINS0_14default_configENS1_25partition_config_selectorILNS1_17partition_subalgoE8ElNS0_10empty_typeEbEEZZNS1_14partition_implILS5_8ELb0ES3_jPlPS6_PKS6_NS0_5tupleIJS9_S6_EEENSD_IJSA_SA_EEENS0_18inequality_wrapperIZN2at6native12_GLOBAL__N_124unique_dim_cuda_templateIbEESt5tupleIJNSH_6TensorESM_SM_EERKSM_lbbbEUlllE0_EEPmJS6_EEE10hipError_tPvRmT3_T4_T5_T6_T7_T9_mT8_P12ihipStream_tbDpT10_ENKUlT_T0_E_clISt17integral_constantIbLb1EES1B_IbLb0EEEEDaS17_S18_EUlS17_E_NS1_11comp_targetILNS1_3genE2ELNS1_11target_archE906ELNS1_3gpuE6ELNS1_3repE0EEENS1_30default_config_static_selectorELNS0_4arch9wavefront6targetE0EEEvT1_
	.p2align	8
	.type	_ZN7rocprim17ROCPRIM_400000_NS6detail17trampoline_kernelINS0_14default_configENS1_25partition_config_selectorILNS1_17partition_subalgoE8ElNS0_10empty_typeEbEEZZNS1_14partition_implILS5_8ELb0ES3_jPlPS6_PKS6_NS0_5tupleIJS9_S6_EEENSD_IJSA_SA_EEENS0_18inequality_wrapperIZN2at6native12_GLOBAL__N_124unique_dim_cuda_templateIbEESt5tupleIJNSH_6TensorESM_SM_EERKSM_lbbbEUlllE0_EEPmJS6_EEE10hipError_tPvRmT3_T4_T5_T6_T7_T9_mT8_P12ihipStream_tbDpT10_ENKUlT_T0_E_clISt17integral_constantIbLb1EES1B_IbLb0EEEEDaS17_S18_EUlS17_E_NS1_11comp_targetILNS1_3genE2ELNS1_11target_archE906ELNS1_3gpuE6ELNS1_3repE0EEENS1_30default_config_static_selectorELNS0_4arch9wavefront6targetE0EEEvT1_,@function
_ZN7rocprim17ROCPRIM_400000_NS6detail17trampoline_kernelINS0_14default_configENS1_25partition_config_selectorILNS1_17partition_subalgoE8ElNS0_10empty_typeEbEEZZNS1_14partition_implILS5_8ELb0ES3_jPlPS6_PKS6_NS0_5tupleIJS9_S6_EEENSD_IJSA_SA_EEENS0_18inequality_wrapperIZN2at6native12_GLOBAL__N_124unique_dim_cuda_templateIbEESt5tupleIJNSH_6TensorESM_SM_EERKSM_lbbbEUlllE0_EEPmJS6_EEE10hipError_tPvRmT3_T4_T5_T6_T7_T9_mT8_P12ihipStream_tbDpT10_ENKUlT_T0_E_clISt17integral_constantIbLb1EES1B_IbLb0EEEEDaS17_S18_EUlS17_E_NS1_11comp_targetILNS1_3genE2ELNS1_11target_archE906ELNS1_3gpuE6ELNS1_3repE0EEENS1_30default_config_static_selectorELNS0_4arch9wavefront6targetE0EEEvT1_: ; @_ZN7rocprim17ROCPRIM_400000_NS6detail17trampoline_kernelINS0_14default_configENS1_25partition_config_selectorILNS1_17partition_subalgoE8ElNS0_10empty_typeEbEEZZNS1_14partition_implILS5_8ELb0ES3_jPlPS6_PKS6_NS0_5tupleIJS9_S6_EEENSD_IJSA_SA_EEENS0_18inequality_wrapperIZN2at6native12_GLOBAL__N_124unique_dim_cuda_templateIbEESt5tupleIJNSH_6TensorESM_SM_EERKSM_lbbbEUlllE0_EEPmJS6_EEE10hipError_tPvRmT3_T4_T5_T6_T7_T9_mT8_P12ihipStream_tbDpT10_ENKUlT_T0_E_clISt17integral_constantIbLb1EES1B_IbLb0EEEEDaS17_S18_EUlS17_E_NS1_11comp_targetILNS1_3genE2ELNS1_11target_archE906ELNS1_3gpuE6ELNS1_3repE0EEENS1_30default_config_static_selectorELNS0_4arch9wavefront6targetE0EEEvT1_
; %bb.0:
	.section	.rodata,"a",@progbits
	.p2align	6, 0x0
	.amdhsa_kernel _ZN7rocprim17ROCPRIM_400000_NS6detail17trampoline_kernelINS0_14default_configENS1_25partition_config_selectorILNS1_17partition_subalgoE8ElNS0_10empty_typeEbEEZZNS1_14partition_implILS5_8ELb0ES3_jPlPS6_PKS6_NS0_5tupleIJS9_S6_EEENSD_IJSA_SA_EEENS0_18inequality_wrapperIZN2at6native12_GLOBAL__N_124unique_dim_cuda_templateIbEESt5tupleIJNSH_6TensorESM_SM_EERKSM_lbbbEUlllE0_EEPmJS6_EEE10hipError_tPvRmT3_T4_T5_T6_T7_T9_mT8_P12ihipStream_tbDpT10_ENKUlT_T0_E_clISt17integral_constantIbLb1EES1B_IbLb0EEEEDaS17_S18_EUlS17_E_NS1_11comp_targetILNS1_3genE2ELNS1_11target_archE906ELNS1_3gpuE6ELNS1_3repE0EEENS1_30default_config_static_selectorELNS0_4arch9wavefront6targetE0EEEvT1_
		.amdhsa_group_segment_fixed_size 0
		.amdhsa_private_segment_fixed_size 0
		.amdhsa_kernarg_size 120
		.amdhsa_user_sgpr_count 15
		.amdhsa_user_sgpr_dispatch_ptr 0
		.amdhsa_user_sgpr_queue_ptr 0
		.amdhsa_user_sgpr_kernarg_segment_ptr 1
		.amdhsa_user_sgpr_dispatch_id 0
		.amdhsa_user_sgpr_private_segment_size 0
		.amdhsa_wavefront_size32 1
		.amdhsa_uses_dynamic_stack 0
		.amdhsa_enable_private_segment 0
		.amdhsa_system_sgpr_workgroup_id_x 1
		.amdhsa_system_sgpr_workgroup_id_y 0
		.amdhsa_system_sgpr_workgroup_id_z 0
		.amdhsa_system_sgpr_workgroup_info 0
		.amdhsa_system_vgpr_workitem_id 0
		.amdhsa_next_free_vgpr 1
		.amdhsa_next_free_sgpr 1
		.amdhsa_reserve_vcc 0
		.amdhsa_float_round_mode_32 0
		.amdhsa_float_round_mode_16_64 0
		.amdhsa_float_denorm_mode_32 3
		.amdhsa_float_denorm_mode_16_64 3
		.amdhsa_dx10_clamp 1
		.amdhsa_ieee_mode 1
		.amdhsa_fp16_overflow 0
		.amdhsa_workgroup_processor_mode 1
		.amdhsa_memory_ordered 1
		.amdhsa_forward_progress 0
		.amdhsa_shared_vgpr_count 0
		.amdhsa_exception_fp_ieee_invalid_op 0
		.amdhsa_exception_fp_denorm_src 0
		.amdhsa_exception_fp_ieee_div_zero 0
		.amdhsa_exception_fp_ieee_overflow 0
		.amdhsa_exception_fp_ieee_underflow 0
		.amdhsa_exception_fp_ieee_inexact 0
		.amdhsa_exception_int_div_zero 0
	.end_amdhsa_kernel
	.section	.text._ZN7rocprim17ROCPRIM_400000_NS6detail17trampoline_kernelINS0_14default_configENS1_25partition_config_selectorILNS1_17partition_subalgoE8ElNS0_10empty_typeEbEEZZNS1_14partition_implILS5_8ELb0ES3_jPlPS6_PKS6_NS0_5tupleIJS9_S6_EEENSD_IJSA_SA_EEENS0_18inequality_wrapperIZN2at6native12_GLOBAL__N_124unique_dim_cuda_templateIbEESt5tupleIJNSH_6TensorESM_SM_EERKSM_lbbbEUlllE0_EEPmJS6_EEE10hipError_tPvRmT3_T4_T5_T6_T7_T9_mT8_P12ihipStream_tbDpT10_ENKUlT_T0_E_clISt17integral_constantIbLb1EES1B_IbLb0EEEEDaS17_S18_EUlS17_E_NS1_11comp_targetILNS1_3genE2ELNS1_11target_archE906ELNS1_3gpuE6ELNS1_3repE0EEENS1_30default_config_static_selectorELNS0_4arch9wavefront6targetE0EEEvT1_,"axG",@progbits,_ZN7rocprim17ROCPRIM_400000_NS6detail17trampoline_kernelINS0_14default_configENS1_25partition_config_selectorILNS1_17partition_subalgoE8ElNS0_10empty_typeEbEEZZNS1_14partition_implILS5_8ELb0ES3_jPlPS6_PKS6_NS0_5tupleIJS9_S6_EEENSD_IJSA_SA_EEENS0_18inequality_wrapperIZN2at6native12_GLOBAL__N_124unique_dim_cuda_templateIbEESt5tupleIJNSH_6TensorESM_SM_EERKSM_lbbbEUlllE0_EEPmJS6_EEE10hipError_tPvRmT3_T4_T5_T6_T7_T9_mT8_P12ihipStream_tbDpT10_ENKUlT_T0_E_clISt17integral_constantIbLb1EES1B_IbLb0EEEEDaS17_S18_EUlS17_E_NS1_11comp_targetILNS1_3genE2ELNS1_11target_archE906ELNS1_3gpuE6ELNS1_3repE0EEENS1_30default_config_static_selectorELNS0_4arch9wavefront6targetE0EEEvT1_,comdat
.Lfunc_end1071:
	.size	_ZN7rocprim17ROCPRIM_400000_NS6detail17trampoline_kernelINS0_14default_configENS1_25partition_config_selectorILNS1_17partition_subalgoE8ElNS0_10empty_typeEbEEZZNS1_14partition_implILS5_8ELb0ES3_jPlPS6_PKS6_NS0_5tupleIJS9_S6_EEENSD_IJSA_SA_EEENS0_18inequality_wrapperIZN2at6native12_GLOBAL__N_124unique_dim_cuda_templateIbEESt5tupleIJNSH_6TensorESM_SM_EERKSM_lbbbEUlllE0_EEPmJS6_EEE10hipError_tPvRmT3_T4_T5_T6_T7_T9_mT8_P12ihipStream_tbDpT10_ENKUlT_T0_E_clISt17integral_constantIbLb1EES1B_IbLb0EEEEDaS17_S18_EUlS17_E_NS1_11comp_targetILNS1_3genE2ELNS1_11target_archE906ELNS1_3gpuE6ELNS1_3repE0EEENS1_30default_config_static_selectorELNS0_4arch9wavefront6targetE0EEEvT1_, .Lfunc_end1071-_ZN7rocprim17ROCPRIM_400000_NS6detail17trampoline_kernelINS0_14default_configENS1_25partition_config_selectorILNS1_17partition_subalgoE8ElNS0_10empty_typeEbEEZZNS1_14partition_implILS5_8ELb0ES3_jPlPS6_PKS6_NS0_5tupleIJS9_S6_EEENSD_IJSA_SA_EEENS0_18inequality_wrapperIZN2at6native12_GLOBAL__N_124unique_dim_cuda_templateIbEESt5tupleIJNSH_6TensorESM_SM_EERKSM_lbbbEUlllE0_EEPmJS6_EEE10hipError_tPvRmT3_T4_T5_T6_T7_T9_mT8_P12ihipStream_tbDpT10_ENKUlT_T0_E_clISt17integral_constantIbLb1EES1B_IbLb0EEEEDaS17_S18_EUlS17_E_NS1_11comp_targetILNS1_3genE2ELNS1_11target_archE906ELNS1_3gpuE6ELNS1_3repE0EEENS1_30default_config_static_selectorELNS0_4arch9wavefront6targetE0EEEvT1_
                                        ; -- End function
	.section	.AMDGPU.csdata,"",@progbits
; Kernel info:
; codeLenInByte = 0
; NumSgprs: 0
; NumVgprs: 0
; ScratchSize: 0
; MemoryBound: 0
; FloatMode: 240
; IeeeMode: 1
; LDSByteSize: 0 bytes/workgroup (compile time only)
; SGPRBlocks: 0
; VGPRBlocks: 0
; NumSGPRsForWavesPerEU: 1
; NumVGPRsForWavesPerEU: 1
; Occupancy: 16
; WaveLimiterHint : 0
; COMPUTE_PGM_RSRC2:SCRATCH_EN: 0
; COMPUTE_PGM_RSRC2:USER_SGPR: 15
; COMPUTE_PGM_RSRC2:TRAP_HANDLER: 0
; COMPUTE_PGM_RSRC2:TGID_X_EN: 1
; COMPUTE_PGM_RSRC2:TGID_Y_EN: 0
; COMPUTE_PGM_RSRC2:TGID_Z_EN: 0
; COMPUTE_PGM_RSRC2:TIDIG_COMP_CNT: 0
	.section	.text._ZN7rocprim17ROCPRIM_400000_NS6detail17trampoline_kernelINS0_14default_configENS1_25partition_config_selectorILNS1_17partition_subalgoE8ElNS0_10empty_typeEbEEZZNS1_14partition_implILS5_8ELb0ES3_jPlPS6_PKS6_NS0_5tupleIJS9_S6_EEENSD_IJSA_SA_EEENS0_18inequality_wrapperIZN2at6native12_GLOBAL__N_124unique_dim_cuda_templateIbEESt5tupleIJNSH_6TensorESM_SM_EERKSM_lbbbEUlllE0_EEPmJS6_EEE10hipError_tPvRmT3_T4_T5_T6_T7_T9_mT8_P12ihipStream_tbDpT10_ENKUlT_T0_E_clISt17integral_constantIbLb1EES1B_IbLb0EEEEDaS17_S18_EUlS17_E_NS1_11comp_targetILNS1_3genE10ELNS1_11target_archE1200ELNS1_3gpuE4ELNS1_3repE0EEENS1_30default_config_static_selectorELNS0_4arch9wavefront6targetE0EEEvT1_,"axG",@progbits,_ZN7rocprim17ROCPRIM_400000_NS6detail17trampoline_kernelINS0_14default_configENS1_25partition_config_selectorILNS1_17partition_subalgoE8ElNS0_10empty_typeEbEEZZNS1_14partition_implILS5_8ELb0ES3_jPlPS6_PKS6_NS0_5tupleIJS9_S6_EEENSD_IJSA_SA_EEENS0_18inequality_wrapperIZN2at6native12_GLOBAL__N_124unique_dim_cuda_templateIbEESt5tupleIJNSH_6TensorESM_SM_EERKSM_lbbbEUlllE0_EEPmJS6_EEE10hipError_tPvRmT3_T4_T5_T6_T7_T9_mT8_P12ihipStream_tbDpT10_ENKUlT_T0_E_clISt17integral_constantIbLb1EES1B_IbLb0EEEEDaS17_S18_EUlS17_E_NS1_11comp_targetILNS1_3genE10ELNS1_11target_archE1200ELNS1_3gpuE4ELNS1_3repE0EEENS1_30default_config_static_selectorELNS0_4arch9wavefront6targetE0EEEvT1_,comdat
	.globl	_ZN7rocprim17ROCPRIM_400000_NS6detail17trampoline_kernelINS0_14default_configENS1_25partition_config_selectorILNS1_17partition_subalgoE8ElNS0_10empty_typeEbEEZZNS1_14partition_implILS5_8ELb0ES3_jPlPS6_PKS6_NS0_5tupleIJS9_S6_EEENSD_IJSA_SA_EEENS0_18inequality_wrapperIZN2at6native12_GLOBAL__N_124unique_dim_cuda_templateIbEESt5tupleIJNSH_6TensorESM_SM_EERKSM_lbbbEUlllE0_EEPmJS6_EEE10hipError_tPvRmT3_T4_T5_T6_T7_T9_mT8_P12ihipStream_tbDpT10_ENKUlT_T0_E_clISt17integral_constantIbLb1EES1B_IbLb0EEEEDaS17_S18_EUlS17_E_NS1_11comp_targetILNS1_3genE10ELNS1_11target_archE1200ELNS1_3gpuE4ELNS1_3repE0EEENS1_30default_config_static_selectorELNS0_4arch9wavefront6targetE0EEEvT1_ ; -- Begin function _ZN7rocprim17ROCPRIM_400000_NS6detail17trampoline_kernelINS0_14default_configENS1_25partition_config_selectorILNS1_17partition_subalgoE8ElNS0_10empty_typeEbEEZZNS1_14partition_implILS5_8ELb0ES3_jPlPS6_PKS6_NS0_5tupleIJS9_S6_EEENSD_IJSA_SA_EEENS0_18inequality_wrapperIZN2at6native12_GLOBAL__N_124unique_dim_cuda_templateIbEESt5tupleIJNSH_6TensorESM_SM_EERKSM_lbbbEUlllE0_EEPmJS6_EEE10hipError_tPvRmT3_T4_T5_T6_T7_T9_mT8_P12ihipStream_tbDpT10_ENKUlT_T0_E_clISt17integral_constantIbLb1EES1B_IbLb0EEEEDaS17_S18_EUlS17_E_NS1_11comp_targetILNS1_3genE10ELNS1_11target_archE1200ELNS1_3gpuE4ELNS1_3repE0EEENS1_30default_config_static_selectorELNS0_4arch9wavefront6targetE0EEEvT1_
	.p2align	8
	.type	_ZN7rocprim17ROCPRIM_400000_NS6detail17trampoline_kernelINS0_14default_configENS1_25partition_config_selectorILNS1_17partition_subalgoE8ElNS0_10empty_typeEbEEZZNS1_14partition_implILS5_8ELb0ES3_jPlPS6_PKS6_NS0_5tupleIJS9_S6_EEENSD_IJSA_SA_EEENS0_18inequality_wrapperIZN2at6native12_GLOBAL__N_124unique_dim_cuda_templateIbEESt5tupleIJNSH_6TensorESM_SM_EERKSM_lbbbEUlllE0_EEPmJS6_EEE10hipError_tPvRmT3_T4_T5_T6_T7_T9_mT8_P12ihipStream_tbDpT10_ENKUlT_T0_E_clISt17integral_constantIbLb1EES1B_IbLb0EEEEDaS17_S18_EUlS17_E_NS1_11comp_targetILNS1_3genE10ELNS1_11target_archE1200ELNS1_3gpuE4ELNS1_3repE0EEENS1_30default_config_static_selectorELNS0_4arch9wavefront6targetE0EEEvT1_,@function
_ZN7rocprim17ROCPRIM_400000_NS6detail17trampoline_kernelINS0_14default_configENS1_25partition_config_selectorILNS1_17partition_subalgoE8ElNS0_10empty_typeEbEEZZNS1_14partition_implILS5_8ELb0ES3_jPlPS6_PKS6_NS0_5tupleIJS9_S6_EEENSD_IJSA_SA_EEENS0_18inequality_wrapperIZN2at6native12_GLOBAL__N_124unique_dim_cuda_templateIbEESt5tupleIJNSH_6TensorESM_SM_EERKSM_lbbbEUlllE0_EEPmJS6_EEE10hipError_tPvRmT3_T4_T5_T6_T7_T9_mT8_P12ihipStream_tbDpT10_ENKUlT_T0_E_clISt17integral_constantIbLb1EES1B_IbLb0EEEEDaS17_S18_EUlS17_E_NS1_11comp_targetILNS1_3genE10ELNS1_11target_archE1200ELNS1_3gpuE4ELNS1_3repE0EEENS1_30default_config_static_selectorELNS0_4arch9wavefront6targetE0EEEvT1_: ; @_ZN7rocprim17ROCPRIM_400000_NS6detail17trampoline_kernelINS0_14default_configENS1_25partition_config_selectorILNS1_17partition_subalgoE8ElNS0_10empty_typeEbEEZZNS1_14partition_implILS5_8ELb0ES3_jPlPS6_PKS6_NS0_5tupleIJS9_S6_EEENSD_IJSA_SA_EEENS0_18inequality_wrapperIZN2at6native12_GLOBAL__N_124unique_dim_cuda_templateIbEESt5tupleIJNSH_6TensorESM_SM_EERKSM_lbbbEUlllE0_EEPmJS6_EEE10hipError_tPvRmT3_T4_T5_T6_T7_T9_mT8_P12ihipStream_tbDpT10_ENKUlT_T0_E_clISt17integral_constantIbLb1EES1B_IbLb0EEEEDaS17_S18_EUlS17_E_NS1_11comp_targetILNS1_3genE10ELNS1_11target_archE1200ELNS1_3gpuE4ELNS1_3repE0EEENS1_30default_config_static_selectorELNS0_4arch9wavefront6targetE0EEEvT1_
; %bb.0:
	.section	.rodata,"a",@progbits
	.p2align	6, 0x0
	.amdhsa_kernel _ZN7rocprim17ROCPRIM_400000_NS6detail17trampoline_kernelINS0_14default_configENS1_25partition_config_selectorILNS1_17partition_subalgoE8ElNS0_10empty_typeEbEEZZNS1_14partition_implILS5_8ELb0ES3_jPlPS6_PKS6_NS0_5tupleIJS9_S6_EEENSD_IJSA_SA_EEENS0_18inequality_wrapperIZN2at6native12_GLOBAL__N_124unique_dim_cuda_templateIbEESt5tupleIJNSH_6TensorESM_SM_EERKSM_lbbbEUlllE0_EEPmJS6_EEE10hipError_tPvRmT3_T4_T5_T6_T7_T9_mT8_P12ihipStream_tbDpT10_ENKUlT_T0_E_clISt17integral_constantIbLb1EES1B_IbLb0EEEEDaS17_S18_EUlS17_E_NS1_11comp_targetILNS1_3genE10ELNS1_11target_archE1200ELNS1_3gpuE4ELNS1_3repE0EEENS1_30default_config_static_selectorELNS0_4arch9wavefront6targetE0EEEvT1_
		.amdhsa_group_segment_fixed_size 0
		.amdhsa_private_segment_fixed_size 0
		.amdhsa_kernarg_size 120
		.amdhsa_user_sgpr_count 15
		.amdhsa_user_sgpr_dispatch_ptr 0
		.amdhsa_user_sgpr_queue_ptr 0
		.amdhsa_user_sgpr_kernarg_segment_ptr 1
		.amdhsa_user_sgpr_dispatch_id 0
		.amdhsa_user_sgpr_private_segment_size 0
		.amdhsa_wavefront_size32 1
		.amdhsa_uses_dynamic_stack 0
		.amdhsa_enable_private_segment 0
		.amdhsa_system_sgpr_workgroup_id_x 1
		.amdhsa_system_sgpr_workgroup_id_y 0
		.amdhsa_system_sgpr_workgroup_id_z 0
		.amdhsa_system_sgpr_workgroup_info 0
		.amdhsa_system_vgpr_workitem_id 0
		.amdhsa_next_free_vgpr 1
		.amdhsa_next_free_sgpr 1
		.amdhsa_reserve_vcc 0
		.amdhsa_float_round_mode_32 0
		.amdhsa_float_round_mode_16_64 0
		.amdhsa_float_denorm_mode_32 3
		.amdhsa_float_denorm_mode_16_64 3
		.amdhsa_dx10_clamp 1
		.amdhsa_ieee_mode 1
		.amdhsa_fp16_overflow 0
		.amdhsa_workgroup_processor_mode 1
		.amdhsa_memory_ordered 1
		.amdhsa_forward_progress 0
		.amdhsa_shared_vgpr_count 0
		.amdhsa_exception_fp_ieee_invalid_op 0
		.amdhsa_exception_fp_denorm_src 0
		.amdhsa_exception_fp_ieee_div_zero 0
		.amdhsa_exception_fp_ieee_overflow 0
		.amdhsa_exception_fp_ieee_underflow 0
		.amdhsa_exception_fp_ieee_inexact 0
		.amdhsa_exception_int_div_zero 0
	.end_amdhsa_kernel
	.section	.text._ZN7rocprim17ROCPRIM_400000_NS6detail17trampoline_kernelINS0_14default_configENS1_25partition_config_selectorILNS1_17partition_subalgoE8ElNS0_10empty_typeEbEEZZNS1_14partition_implILS5_8ELb0ES3_jPlPS6_PKS6_NS0_5tupleIJS9_S6_EEENSD_IJSA_SA_EEENS0_18inequality_wrapperIZN2at6native12_GLOBAL__N_124unique_dim_cuda_templateIbEESt5tupleIJNSH_6TensorESM_SM_EERKSM_lbbbEUlllE0_EEPmJS6_EEE10hipError_tPvRmT3_T4_T5_T6_T7_T9_mT8_P12ihipStream_tbDpT10_ENKUlT_T0_E_clISt17integral_constantIbLb1EES1B_IbLb0EEEEDaS17_S18_EUlS17_E_NS1_11comp_targetILNS1_3genE10ELNS1_11target_archE1200ELNS1_3gpuE4ELNS1_3repE0EEENS1_30default_config_static_selectorELNS0_4arch9wavefront6targetE0EEEvT1_,"axG",@progbits,_ZN7rocprim17ROCPRIM_400000_NS6detail17trampoline_kernelINS0_14default_configENS1_25partition_config_selectorILNS1_17partition_subalgoE8ElNS0_10empty_typeEbEEZZNS1_14partition_implILS5_8ELb0ES3_jPlPS6_PKS6_NS0_5tupleIJS9_S6_EEENSD_IJSA_SA_EEENS0_18inequality_wrapperIZN2at6native12_GLOBAL__N_124unique_dim_cuda_templateIbEESt5tupleIJNSH_6TensorESM_SM_EERKSM_lbbbEUlllE0_EEPmJS6_EEE10hipError_tPvRmT3_T4_T5_T6_T7_T9_mT8_P12ihipStream_tbDpT10_ENKUlT_T0_E_clISt17integral_constantIbLb1EES1B_IbLb0EEEEDaS17_S18_EUlS17_E_NS1_11comp_targetILNS1_3genE10ELNS1_11target_archE1200ELNS1_3gpuE4ELNS1_3repE0EEENS1_30default_config_static_selectorELNS0_4arch9wavefront6targetE0EEEvT1_,comdat
.Lfunc_end1072:
	.size	_ZN7rocprim17ROCPRIM_400000_NS6detail17trampoline_kernelINS0_14default_configENS1_25partition_config_selectorILNS1_17partition_subalgoE8ElNS0_10empty_typeEbEEZZNS1_14partition_implILS5_8ELb0ES3_jPlPS6_PKS6_NS0_5tupleIJS9_S6_EEENSD_IJSA_SA_EEENS0_18inequality_wrapperIZN2at6native12_GLOBAL__N_124unique_dim_cuda_templateIbEESt5tupleIJNSH_6TensorESM_SM_EERKSM_lbbbEUlllE0_EEPmJS6_EEE10hipError_tPvRmT3_T4_T5_T6_T7_T9_mT8_P12ihipStream_tbDpT10_ENKUlT_T0_E_clISt17integral_constantIbLb1EES1B_IbLb0EEEEDaS17_S18_EUlS17_E_NS1_11comp_targetILNS1_3genE10ELNS1_11target_archE1200ELNS1_3gpuE4ELNS1_3repE0EEENS1_30default_config_static_selectorELNS0_4arch9wavefront6targetE0EEEvT1_, .Lfunc_end1072-_ZN7rocprim17ROCPRIM_400000_NS6detail17trampoline_kernelINS0_14default_configENS1_25partition_config_selectorILNS1_17partition_subalgoE8ElNS0_10empty_typeEbEEZZNS1_14partition_implILS5_8ELb0ES3_jPlPS6_PKS6_NS0_5tupleIJS9_S6_EEENSD_IJSA_SA_EEENS0_18inequality_wrapperIZN2at6native12_GLOBAL__N_124unique_dim_cuda_templateIbEESt5tupleIJNSH_6TensorESM_SM_EERKSM_lbbbEUlllE0_EEPmJS6_EEE10hipError_tPvRmT3_T4_T5_T6_T7_T9_mT8_P12ihipStream_tbDpT10_ENKUlT_T0_E_clISt17integral_constantIbLb1EES1B_IbLb0EEEEDaS17_S18_EUlS17_E_NS1_11comp_targetILNS1_3genE10ELNS1_11target_archE1200ELNS1_3gpuE4ELNS1_3repE0EEENS1_30default_config_static_selectorELNS0_4arch9wavefront6targetE0EEEvT1_
                                        ; -- End function
	.section	.AMDGPU.csdata,"",@progbits
; Kernel info:
; codeLenInByte = 0
; NumSgprs: 0
; NumVgprs: 0
; ScratchSize: 0
; MemoryBound: 0
; FloatMode: 240
; IeeeMode: 1
; LDSByteSize: 0 bytes/workgroup (compile time only)
; SGPRBlocks: 0
; VGPRBlocks: 0
; NumSGPRsForWavesPerEU: 1
; NumVGPRsForWavesPerEU: 1
; Occupancy: 15
; WaveLimiterHint : 0
; COMPUTE_PGM_RSRC2:SCRATCH_EN: 0
; COMPUTE_PGM_RSRC2:USER_SGPR: 15
; COMPUTE_PGM_RSRC2:TRAP_HANDLER: 0
; COMPUTE_PGM_RSRC2:TGID_X_EN: 1
; COMPUTE_PGM_RSRC2:TGID_Y_EN: 0
; COMPUTE_PGM_RSRC2:TGID_Z_EN: 0
; COMPUTE_PGM_RSRC2:TIDIG_COMP_CNT: 0
	.section	.text._ZN7rocprim17ROCPRIM_400000_NS6detail17trampoline_kernelINS0_14default_configENS1_25partition_config_selectorILNS1_17partition_subalgoE8ElNS0_10empty_typeEbEEZZNS1_14partition_implILS5_8ELb0ES3_jPlPS6_PKS6_NS0_5tupleIJS9_S6_EEENSD_IJSA_SA_EEENS0_18inequality_wrapperIZN2at6native12_GLOBAL__N_124unique_dim_cuda_templateIbEESt5tupleIJNSH_6TensorESM_SM_EERKSM_lbbbEUlllE0_EEPmJS6_EEE10hipError_tPvRmT3_T4_T5_T6_T7_T9_mT8_P12ihipStream_tbDpT10_ENKUlT_T0_E_clISt17integral_constantIbLb1EES1B_IbLb0EEEEDaS17_S18_EUlS17_E_NS1_11comp_targetILNS1_3genE9ELNS1_11target_archE1100ELNS1_3gpuE3ELNS1_3repE0EEENS1_30default_config_static_selectorELNS0_4arch9wavefront6targetE0EEEvT1_,"axG",@progbits,_ZN7rocprim17ROCPRIM_400000_NS6detail17trampoline_kernelINS0_14default_configENS1_25partition_config_selectorILNS1_17partition_subalgoE8ElNS0_10empty_typeEbEEZZNS1_14partition_implILS5_8ELb0ES3_jPlPS6_PKS6_NS0_5tupleIJS9_S6_EEENSD_IJSA_SA_EEENS0_18inequality_wrapperIZN2at6native12_GLOBAL__N_124unique_dim_cuda_templateIbEESt5tupleIJNSH_6TensorESM_SM_EERKSM_lbbbEUlllE0_EEPmJS6_EEE10hipError_tPvRmT3_T4_T5_T6_T7_T9_mT8_P12ihipStream_tbDpT10_ENKUlT_T0_E_clISt17integral_constantIbLb1EES1B_IbLb0EEEEDaS17_S18_EUlS17_E_NS1_11comp_targetILNS1_3genE9ELNS1_11target_archE1100ELNS1_3gpuE3ELNS1_3repE0EEENS1_30default_config_static_selectorELNS0_4arch9wavefront6targetE0EEEvT1_,comdat
	.globl	_ZN7rocprim17ROCPRIM_400000_NS6detail17trampoline_kernelINS0_14default_configENS1_25partition_config_selectorILNS1_17partition_subalgoE8ElNS0_10empty_typeEbEEZZNS1_14partition_implILS5_8ELb0ES3_jPlPS6_PKS6_NS0_5tupleIJS9_S6_EEENSD_IJSA_SA_EEENS0_18inequality_wrapperIZN2at6native12_GLOBAL__N_124unique_dim_cuda_templateIbEESt5tupleIJNSH_6TensorESM_SM_EERKSM_lbbbEUlllE0_EEPmJS6_EEE10hipError_tPvRmT3_T4_T5_T6_T7_T9_mT8_P12ihipStream_tbDpT10_ENKUlT_T0_E_clISt17integral_constantIbLb1EES1B_IbLb0EEEEDaS17_S18_EUlS17_E_NS1_11comp_targetILNS1_3genE9ELNS1_11target_archE1100ELNS1_3gpuE3ELNS1_3repE0EEENS1_30default_config_static_selectorELNS0_4arch9wavefront6targetE0EEEvT1_ ; -- Begin function _ZN7rocprim17ROCPRIM_400000_NS6detail17trampoline_kernelINS0_14default_configENS1_25partition_config_selectorILNS1_17partition_subalgoE8ElNS0_10empty_typeEbEEZZNS1_14partition_implILS5_8ELb0ES3_jPlPS6_PKS6_NS0_5tupleIJS9_S6_EEENSD_IJSA_SA_EEENS0_18inequality_wrapperIZN2at6native12_GLOBAL__N_124unique_dim_cuda_templateIbEESt5tupleIJNSH_6TensorESM_SM_EERKSM_lbbbEUlllE0_EEPmJS6_EEE10hipError_tPvRmT3_T4_T5_T6_T7_T9_mT8_P12ihipStream_tbDpT10_ENKUlT_T0_E_clISt17integral_constantIbLb1EES1B_IbLb0EEEEDaS17_S18_EUlS17_E_NS1_11comp_targetILNS1_3genE9ELNS1_11target_archE1100ELNS1_3gpuE3ELNS1_3repE0EEENS1_30default_config_static_selectorELNS0_4arch9wavefront6targetE0EEEvT1_
	.p2align	8
	.type	_ZN7rocprim17ROCPRIM_400000_NS6detail17trampoline_kernelINS0_14default_configENS1_25partition_config_selectorILNS1_17partition_subalgoE8ElNS0_10empty_typeEbEEZZNS1_14partition_implILS5_8ELb0ES3_jPlPS6_PKS6_NS0_5tupleIJS9_S6_EEENSD_IJSA_SA_EEENS0_18inequality_wrapperIZN2at6native12_GLOBAL__N_124unique_dim_cuda_templateIbEESt5tupleIJNSH_6TensorESM_SM_EERKSM_lbbbEUlllE0_EEPmJS6_EEE10hipError_tPvRmT3_T4_T5_T6_T7_T9_mT8_P12ihipStream_tbDpT10_ENKUlT_T0_E_clISt17integral_constantIbLb1EES1B_IbLb0EEEEDaS17_S18_EUlS17_E_NS1_11comp_targetILNS1_3genE9ELNS1_11target_archE1100ELNS1_3gpuE3ELNS1_3repE0EEENS1_30default_config_static_selectorELNS0_4arch9wavefront6targetE0EEEvT1_,@function
_ZN7rocprim17ROCPRIM_400000_NS6detail17trampoline_kernelINS0_14default_configENS1_25partition_config_selectorILNS1_17partition_subalgoE8ElNS0_10empty_typeEbEEZZNS1_14partition_implILS5_8ELb0ES3_jPlPS6_PKS6_NS0_5tupleIJS9_S6_EEENSD_IJSA_SA_EEENS0_18inequality_wrapperIZN2at6native12_GLOBAL__N_124unique_dim_cuda_templateIbEESt5tupleIJNSH_6TensorESM_SM_EERKSM_lbbbEUlllE0_EEPmJS6_EEE10hipError_tPvRmT3_T4_T5_T6_T7_T9_mT8_P12ihipStream_tbDpT10_ENKUlT_T0_E_clISt17integral_constantIbLb1EES1B_IbLb0EEEEDaS17_S18_EUlS17_E_NS1_11comp_targetILNS1_3genE9ELNS1_11target_archE1100ELNS1_3gpuE3ELNS1_3repE0EEENS1_30default_config_static_selectorELNS0_4arch9wavefront6targetE0EEEvT1_: ; @_ZN7rocprim17ROCPRIM_400000_NS6detail17trampoline_kernelINS0_14default_configENS1_25partition_config_selectorILNS1_17partition_subalgoE8ElNS0_10empty_typeEbEEZZNS1_14partition_implILS5_8ELb0ES3_jPlPS6_PKS6_NS0_5tupleIJS9_S6_EEENSD_IJSA_SA_EEENS0_18inequality_wrapperIZN2at6native12_GLOBAL__N_124unique_dim_cuda_templateIbEESt5tupleIJNSH_6TensorESM_SM_EERKSM_lbbbEUlllE0_EEPmJS6_EEE10hipError_tPvRmT3_T4_T5_T6_T7_T9_mT8_P12ihipStream_tbDpT10_ENKUlT_T0_E_clISt17integral_constantIbLb1EES1B_IbLb0EEEEDaS17_S18_EUlS17_E_NS1_11comp_targetILNS1_3genE9ELNS1_11target_archE1100ELNS1_3gpuE3ELNS1_3repE0EEENS1_30default_config_static_selectorELNS0_4arch9wavefront6targetE0EEEvT1_
; %bb.0:
	s_clause 0x3
	s_load_b128 s[4:7], s[0:1], 0x8
	s_load_b256 s[16:23], s[0:1], 0x40
	s_load_b32 s14, s[0:1], 0x70
	s_load_b128 s[8:11], s[0:1], 0x60
	s_mov_b32 s3, 0
	v_lshlrev_b32_e32 v39, 3, v0
	v_lshrrev_b32_e32 v17, 2, v0
	v_or_b32_e32 v24, 0x200, v0
	v_or_b32_e32 v22, 0x400, v0
	;; [unrolled: 1-line block ×7, first 2 shown]
	s_waitcnt lgkmcnt(0)
	s_lshl_b64 s[24:25], s[6:7], 3
	s_load_b64 s[12:13], s[18:19], 0x0
	s_add_u32 s24, s4, s24
	s_addc_u32 s5, s5, s25
	s_add_i32 s25, s14, -1
	s_lshl_b32 s14, s14, 12
	s_lshl_b32 s4, s25, 12
	;; [unrolled: 1-line block ×3, first 2 shown]
	s_add_i32 s4, s6, s4
	s_add_u32 s18, s6, s14
	s_addc_u32 s19, s7, 0
	s_cmp_eq_u32 s15, s25
	v_cmp_ge_u64_e64 s18, s[18:19], s[20:21]
	s_cselect_b32 s14, -1, 0
	s_lshl_b64 s[2:3], s[2:3], 3
	s_delay_alu instid0(VALU_DEP_1) | instskip(NEXT) | instid1(SALU_CYCLE_1)
	s_and_b32 s19, s14, s18
	s_xor_b32 s18, s19, -1
	s_add_u32 s2, s24, s2
	s_addc_u32 s3, s5, s3
	s_and_b32 vcc_lo, exec_lo, s18
	s_mov_b32 s5, -1
	s_cbranch_vccz .LBB1073_2
; %bb.1:
	v_add_co_u32 v9, s5, s2, v39
	s_delay_alu instid0(VALU_DEP_1)
	v_add_co_ci_u32_e64 v10, null, s3, 0, s5
	global_load_b64 v[1:2], v39, s[2:3]
	v_add_co_u32 v3, vcc_lo, v9, 0x2000
	v_add_co_ci_u32_e32 v4, vcc_lo, 0, v10, vcc_lo
	v_add_co_u32 v5, vcc_lo, v9, 0x4000
	v_add_co_ci_u32_e32 v6, vcc_lo, 0, v10, vcc_lo
	;; [unrolled: 2-line block ×4, first 2 shown]
	s_clause 0x6
	global_load_b64 v[11:12], v[3:4], off offset:-4096
	global_load_b64 v[3:4], v[3:4], off
	global_load_b64 v[13:14], v[5:6], off offset:-4096
	global_load_b64 v[5:6], v[5:6], off
	global_load_b64 v[15:16], v[7:8], off offset:-4096
	global_load_b64 v[7:8], v[7:8], off
	global_load_b64 v[9:10], v[9:10], off
	v_lshrrev_b32_e32 v26, 2, v24
	v_lshrrev_b32_e32 v27, 2, v22
	v_lshrrev_b32_e32 v28, 2, v23
	v_lshrrev_b32_e32 v29, 2, v21
	v_and_b32_e32 v25, 0x78, v17
	v_lshrrev_b32_e32 v30, 2, v20
	v_lshrrev_b32_e32 v31, 2, v19
	;; [unrolled: 1-line block ×3, first 2 shown]
	v_and_b32_e32 v26, 0xf8, v26
	v_and_b32_e32 v27, 0x178, v27
	;; [unrolled: 1-line block ×4, first 2 shown]
	v_add_nc_u32_e32 v25, v25, v39
	v_and_b32_e32 v30, 0x2f8, v30
	v_and_b32_e32 v31, 0x378, v31
	;; [unrolled: 1-line block ×3, first 2 shown]
	v_add_nc_u32_e32 v26, v26, v39
	v_add_nc_u32_e32 v27, v27, v39
	;; [unrolled: 1-line block ×4, first 2 shown]
	s_mov_b32 s5, 0
	v_add_nc_u32_e32 v30, v30, v39
	v_add_nc_u32_e32 v31, v31, v39
	;; [unrolled: 1-line block ×3, first 2 shown]
	s_waitcnt vmcnt(7)
	ds_store_b64 v25, v[1:2]
	s_waitcnt vmcnt(6)
	ds_store_b64 v26, v[11:12] offset:4096
	s_waitcnt vmcnt(5)
	ds_store_b64 v27, v[3:4] offset:8192
	;; [unrolled: 2-line block ×7, first 2 shown]
	s_waitcnt lgkmcnt(0)
	s_barrier
.LBB1073_2:
	s_and_not1_b32 vcc_lo, exec_lo, s5
	s_sub_i32 s20, s20, s4
	s_cbranch_vccnz .LBB1073_13
; %bb.3:
	s_mov_b32 s4, exec_lo
                                        ; implicit-def: $vgpr1_vgpr2_vgpr3_vgpr4_vgpr5_vgpr6_vgpr7_vgpr8_vgpr9_vgpr10_vgpr11_vgpr12_vgpr13_vgpr14_vgpr15_vgpr16
	v_cmpx_gt_u32_e64 s20, v0
	s_cbranch_execnz .LBB1073_23
; %bb.4:
	s_or_b32 exec_lo, exec_lo, s4
	s_delay_alu instid0(SALU_CYCLE_1)
	s_mov_b32 s4, exec_lo
	v_cmpx_gt_u32_e64 s20, v24
	s_cbranch_execnz .LBB1073_24
.LBB1073_5:
	s_or_b32 exec_lo, exec_lo, s4
	s_delay_alu instid0(SALU_CYCLE_1)
	s_mov_b32 s4, exec_lo
	v_cmpx_gt_u32_e64 s20, v22
	s_cbranch_execnz .LBB1073_25
.LBB1073_6:
	s_or_b32 exec_lo, exec_lo, s4
	s_delay_alu instid0(SALU_CYCLE_1)
	s_mov_b32 s4, exec_lo
	v_cmpx_gt_u32_e64 s20, v23
	s_cbranch_execnz .LBB1073_26
.LBB1073_7:
	s_or_b32 exec_lo, exec_lo, s4
	s_delay_alu instid0(SALU_CYCLE_1)
	s_mov_b32 s4, exec_lo
	v_cmpx_gt_u32_e64 s20, v21
	s_cbranch_execnz .LBB1073_27
.LBB1073_8:
	s_or_b32 exec_lo, exec_lo, s4
	s_delay_alu instid0(SALU_CYCLE_1)
	s_mov_b32 s4, exec_lo
	v_cmpx_gt_u32_e64 s20, v20
	s_cbranch_execnz .LBB1073_28
.LBB1073_9:
	s_or_b32 exec_lo, exec_lo, s4
	s_delay_alu instid0(SALU_CYCLE_1)
	s_mov_b32 s4, exec_lo
	v_cmpx_gt_u32_e64 s20, v19
	s_cbranch_execnz .LBB1073_29
.LBB1073_10:
	s_or_b32 exec_lo, exec_lo, s4
	s_delay_alu instid0(SALU_CYCLE_1)
	s_mov_b32 s4, exec_lo
	v_cmpx_gt_u32_e64 s20, v18
	s_cbranch_execz .LBB1073_12
.LBB1073_11:
	v_lshlrev_b32_e32 v15, 3, v18
	global_load_b64 v[15:16], v15, s[2:3]
.LBB1073_12:
	s_or_b32 exec_lo, exec_lo, s4
	v_lshrrev_b32_e32 v24, 2, v24
	v_lshrrev_b32_e32 v22, 2, v22
	;; [unrolled: 1-line block ×4, first 2 shown]
	v_and_b32_e32 v25, 0x78, v17
	v_lshrrev_b32_e32 v20, 2, v20
	v_lshrrev_b32_e32 v19, 2, v19
	;; [unrolled: 1-line block ×3, first 2 shown]
	v_and_b32_e32 v24, 0xf8, v24
	v_and_b32_e32 v22, 0x1f8, v22
	;; [unrolled: 1-line block ×4, first 2 shown]
	v_add_nc_u32_e32 v25, v25, v39
	v_and_b32_e32 v20, 0x3f8, v20
	v_and_b32_e32 v19, 0x3f8, v19
	;; [unrolled: 1-line block ×3, first 2 shown]
	v_add_nc_u32_e32 v24, v24, v39
	v_add_nc_u32_e32 v22, v22, v39
	v_add_nc_u32_e32 v23, v23, v39
	v_add_nc_u32_e32 v21, v21, v39
	v_add_nc_u32_e32 v20, v20, v39
	v_add_nc_u32_e32 v19, v19, v39
	v_add_nc_u32_e32 v18, v18, v39
	s_waitcnt vmcnt(0)
	ds_store_b64 v25, v[1:2]
	ds_store_b64 v24, v[3:4] offset:4096
	ds_store_b64 v22, v[5:6] offset:8192
	;; [unrolled: 1-line block ×7, first 2 shown]
	s_waitcnt lgkmcnt(0)
	s_barrier
.LBB1073_13:
	v_add_lshl_u32 v1, v17, v39, 3
	s_waitcnt lgkmcnt(0)
	buffer_gl0_inv
	s_cmp_lg_u32 s15, 0
	v_cmp_lt_i64_e64 s24, s[22:23], 1
	s_cselect_b32 s21, -1, 0
	ds_load_2addr_b64 v[13:16], v1 offset1:1
	ds_load_2addr_b64 v[9:12], v1 offset0:2 offset1:3
	ds_load_2addr_b64 v[5:8], v1 offset0:4 offset1:5
	;; [unrolled: 1-line block ×3, first 2 shown]
	s_cmp_lg_u64 s[6:7], 0
	v_cmp_gt_i64_e64 s7, s[22:23], 0
	s_cselect_b32 s4, -1, 0
	s_mov_b32 s6, 0
	s_or_b32 s4, s21, s4
	s_waitcnt lgkmcnt(0)
	s_and_b32 vcc_lo, exec_lo, s4
	s_barrier
	buffer_gl0_inv
	s_cbranch_vccz .LBB1073_22
; %bb.14:
	s_add_u32 s2, s2, -8
	s_addc_u32 s3, s3, -1
	s_and_b32 vcc_lo, exec_lo, s18
	s_load_b64 s[4:5], s[2:3], 0x0
	ds_store_b64 v39, v[3:4]
	s_cbranch_vccz .LBB1073_30
; %bb.15:
	v_cndmask_b32_e64 v26, 0, 1, s7
	s_and_not1_b32 vcc_lo, exec_lo, s7
	s_cbranch_vccnz .LBB1073_31
; %bb.16:
	v_mad_u64_u32 v[17:18], null, v1, s22, s[8:9]
	v_mul_lo_u32 v21, v1, s23
	v_mul_lo_u32 v22, v2, s22
	v_mad_u64_u32 v[19:20], null, v3, s22, s[8:9]
	v_mul_lo_u32 v23, v3, s23
	v_mul_lo_u32 v24, v4, s22
	s_mov_b32 s27, 0
	s_mov_b32 s25, -1
	s_delay_alu instid0(VALU_DEP_4) | instskip(NEXT) | instid1(VALU_DEP_2)
	v_add3_u32 v18, v22, v18, v21
	v_add3_u32 v20, v24, v20, v23
	s_clause 0x1
	global_load_u8 v21, v[17:18], off
	global_load_u8 v22, v[19:20], off
	s_waitcnt vmcnt(1)
	v_cmp_ne_u16_e32 vcc_lo, 0, v21
	s_waitcnt vmcnt(0)
	v_cmp_ne_u16_e64 s2, 0, v22
	s_delay_alu instid0(VALU_DEP_1) | instskip(NEXT) | instid1(SALU_CYCLE_1)
	s_xor_b32 s2, vcc_lo, s2
	s_xor_b32 s2, s2, -1
	s_delay_alu instid0(SALU_CYCLE_1)
	s_and_saveexec_b32 s26, s2
	s_cbranch_execz .LBB1073_33
; %bb.17:
	s_mov_b64 s[6:7], 1
                                        ; implicit-def: $sgpr25
	s_set_inst_prefetch_distance 0x1
	s_branch .LBB1073_20
	.p2align	6
.LBB1073_18:                            ;   in Loop: Header=BB1073_20 Depth=1
	v_add_co_u32 v21, s2, v17, s6
	s_delay_alu instid0(VALU_DEP_1) | instskip(SKIP_1) | instid1(VALU_DEP_1)
	v_add_co_ci_u32_e64 v22, s2, s7, v18, s2
	v_add_co_u32 v23, s2, v19, s6
	v_add_co_ci_u32_e64 v24, s2, s7, v20, s2
	s_clause 0x1
	global_load_u8 v21, v[21:22], off
	global_load_u8 v22, v[23:24], off
	s_waitcnt vmcnt(1)
	v_cmp_ne_u16_e64 s2, 0, v21
	s_waitcnt vmcnt(0)
	v_cmp_ne_u16_e64 s3, 0, v22
	s_delay_alu instid0(VALU_DEP_1) | instskip(SKIP_4) | instid1(SALU_CYCLE_1)
	s_xor_b32 s28, s2, s3
	s_add_u32 s2, s6, 1
	s_addc_u32 s3, s7, 0
	s_and_not1_b32 s25, s25, exec_lo
	s_and_b32 s28, s28, exec_lo
	s_or_b32 s25, s25, s28
.LBB1073_19:                            ;   in Loop: Header=BB1073_20 Depth=1
	v_dual_mov_b32 v22, s7 :: v_dual_mov_b32 v21, s6
	s_and_b32 s28, exec_lo, s25
	s_mov_b64 s[6:7], s[2:3]
	s_or_b32 s27, s28, s27
	s_delay_alu instid0(SALU_CYCLE_1)
	s_and_not1_b32 exec_lo, exec_lo, s27
	s_cbranch_execz .LBB1073_32
.LBB1073_20:                            ; =>This Inner Loop Header: Depth=1
	s_or_b32 s25, s25, exec_lo
	s_cmp_eq_u64 s[22:23], s[6:7]
	s_cbranch_scc0 .LBB1073_18
; %bb.21:                               ;   in Loop: Header=BB1073_20 Depth=1
	s_mov_b64 s[6:7], s[22:23]
                                        ; implicit-def: $sgpr2_sgpr3
	s_branch .LBB1073_19
.LBB1073_22:
                                        ; implicit-def: $sgpr2
                                        ; implicit-def: $vgpr18
	s_branch .LBB1073_174
.LBB1073_23:
	global_load_b64 v[1:2], v39, s[2:3]
	s_or_b32 exec_lo, exec_lo, s4
	s_delay_alu instid0(SALU_CYCLE_1)
	s_mov_b32 s4, exec_lo
	v_cmpx_gt_u32_e64 s20, v24
	s_cbranch_execz .LBB1073_5
.LBB1073_24:
	v_lshlrev_b32_e32 v3, 3, v24
	global_load_b64 v[3:4], v3, s[2:3]
	s_or_b32 exec_lo, exec_lo, s4
	s_delay_alu instid0(SALU_CYCLE_1)
	s_mov_b32 s4, exec_lo
	v_cmpx_gt_u32_e64 s20, v22
	s_cbranch_execz .LBB1073_6
.LBB1073_25:
	v_lshlrev_b32_e32 v5, 3, v22
	global_load_b64 v[5:6], v5, s[2:3]
	s_or_b32 exec_lo, exec_lo, s4
	s_delay_alu instid0(SALU_CYCLE_1)
	s_mov_b32 s4, exec_lo
	v_cmpx_gt_u32_e64 s20, v23
	s_cbranch_execz .LBB1073_7
.LBB1073_26:
	v_lshlrev_b32_e32 v7, 3, v23
	global_load_b64 v[7:8], v7, s[2:3]
	s_or_b32 exec_lo, exec_lo, s4
	s_delay_alu instid0(SALU_CYCLE_1)
	s_mov_b32 s4, exec_lo
	v_cmpx_gt_u32_e64 s20, v21
	s_cbranch_execz .LBB1073_8
.LBB1073_27:
	v_lshlrev_b32_e32 v9, 3, v21
	global_load_b64 v[9:10], v9, s[2:3]
	s_or_b32 exec_lo, exec_lo, s4
	s_delay_alu instid0(SALU_CYCLE_1)
	s_mov_b32 s4, exec_lo
	v_cmpx_gt_u32_e64 s20, v20
	s_cbranch_execz .LBB1073_9
.LBB1073_28:
	v_lshlrev_b32_e32 v11, 3, v20
	global_load_b64 v[11:12], v11, s[2:3]
	s_or_b32 exec_lo, exec_lo, s4
	s_delay_alu instid0(SALU_CYCLE_1)
	s_mov_b32 s4, exec_lo
	v_cmpx_gt_u32_e64 s20, v19
	s_cbranch_execz .LBB1073_10
.LBB1073_29:
	v_lshlrev_b32_e32 v13, 3, v19
	global_load_b64 v[13:14], v13, s[2:3]
	s_or_b32 exec_lo, exec_lo, s4
	s_delay_alu instid0(SALU_CYCLE_1)
	s_mov_b32 s4, exec_lo
	v_cmpx_gt_u32_e64 s20, v18
	s_cbranch_execnz .LBB1073_11
	s_branch .LBB1073_12
.LBB1073_30:
                                        ; implicit-def: $sgpr2
                                        ; implicit-def: $vgpr18
	s_cbranch_execnz .LBB1073_98
	s_branch .LBB1073_173
.LBB1073_31:
	v_mov_b32_e32 v17, 0
	s_mov_b32 s2, 0
	s_branch .LBB1073_41
.LBB1073_32:
	s_set_inst_prefetch_distance 0x2
	s_or_b32 exec_lo, exec_lo, s27
	v_cmp_gt_i64_e64 s2, s[22:23], v[21:22]
	s_delay_alu instid0(VALU_DEP_1)
	s_or_not1_b32 s25, s2, exec_lo
.LBB1073_33:
	s_or_b32 exec_lo, exec_lo, s26
	v_mad_u64_u32 v[19:20], null, v7, s22, s[8:9]
	v_mul_lo_u32 v21, v7, s23
	v_mul_lo_u32 v22, v8, s22
	s_mov_b32 s27, 0
	s_delay_alu instid0(VALU_DEP_1) | instskip(SKIP_3) | instid1(VALU_DEP_1)
	v_add3_u32 v20, v22, v20, v21
	global_load_u8 v21, v[19:20], off
	s_waitcnt vmcnt(0)
	v_cmp_ne_u16_e64 s2, 0, v21
	s_xor_b32 s3, vcc_lo, s2
	s_mov_b32 s2, -1
	s_xor_b32 s3, s3, -1
	s_delay_alu instid0(SALU_CYCLE_1)
	s_and_saveexec_b32 s26, s3
	s_cbranch_execz .LBB1073_40
; %bb.34:
	s_mov_b64 s[6:7], 1
                                        ; implicit-def: $sgpr28
	s_set_inst_prefetch_distance 0x1
	s_branch .LBB1073_37
	.p2align	6
.LBB1073_35:                            ;   in Loop: Header=BB1073_37 Depth=1
	v_add_co_u32 v21, vcc_lo, v19, s6
	v_add_co_ci_u32_e32 v22, vcc_lo, s7, v20, vcc_lo
	v_add_co_u32 v23, vcc_lo, v17, s6
	v_add_co_ci_u32_e32 v24, vcc_lo, s7, v18, vcc_lo
	s_clause 0x1
	global_load_u8 v21, v[21:22], off
	global_load_u8 v22, v[23:24], off
	s_waitcnt vmcnt(1)
	v_cmp_ne_u16_e32 vcc_lo, 0, v21
	s_waitcnt vmcnt(0)
	v_cmp_ne_u16_e64 s2, 0, v22
	s_delay_alu instid0(VALU_DEP_1) | instskip(SKIP_4) | instid1(SALU_CYCLE_1)
	s_xor_b32 s29, vcc_lo, s2
	s_add_u32 s2, s6, 1
	s_addc_u32 s3, s7, 0
	s_and_not1_b32 s28, s28, exec_lo
	s_and_b32 s29, s29, exec_lo
	s_or_b32 s28, s28, s29
.LBB1073_36:                            ;   in Loop: Header=BB1073_37 Depth=1
	v_dual_mov_b32 v22, s7 :: v_dual_mov_b32 v21, s6
	s_and_b32 s29, exec_lo, s28
	s_mov_b64 s[6:7], s[2:3]
	s_or_b32 s27, s29, s27
	s_delay_alu instid0(SALU_CYCLE_1)
	s_and_not1_b32 exec_lo, exec_lo, s27
	s_cbranch_execz .LBB1073_39
.LBB1073_37:                            ; =>This Inner Loop Header: Depth=1
	s_or_b32 s28, s28, exec_lo
	s_cmp_eq_u64 s[22:23], s[6:7]
	s_cbranch_scc0 .LBB1073_35
; %bb.38:                               ;   in Loop: Header=BB1073_37 Depth=1
	s_mov_b64 s[6:7], s[22:23]
                                        ; implicit-def: $sgpr2_sgpr3
	s_branch .LBB1073_36
.LBB1073_39:
	s_set_inst_prefetch_distance 0x2
	s_or_b32 exec_lo, exec_lo, s27
	v_cmp_gt_i64_e32 vcc_lo, s[22:23], v[21:22]
	s_or_not1_b32 s2, vcc_lo, exec_lo
.LBB1073_40:
	s_or_b32 exec_lo, exec_lo, s26
	v_cndmask_b32_e64 v17, 0, 1, s25
.LBB1073_41:
	v_and_b32_e32 v18, 0xff, v0
	v_lshlrev_b16 v19, 8, v0
	v_and_b32_e32 v20, 0xff, v0
	v_lshlrev_b16 v21, 8, v0
	;; [unrolled: 2-line block ×3, first 2 shown]
	v_lshlrev_b16 v17, 8, v17
	v_cndmask_b32_e64 v24, 0, 1, s2
	v_or_b32_e32 v18, v18, v19
	v_or_b32_e32 v19, v20, v21
	v_or_b32_e32 v20, v22, v23
	v_cmp_ne_u32_e32 vcc_lo, 1, v26
	v_or_b32_e32 v17, v24, v17
	v_and_b32_e32 v18, 0xffff, v18
	v_lshlrev_b32_e32 v19, 16, v19
	v_and_b32_e32 v20, 0xffff, v20
	s_delay_alu instid0(VALU_DEP_4) | instskip(NEXT) | instid1(VALU_DEP_3)
	v_lshlrev_b32_e32 v17, 16, v17
	v_or_b32_e32 v27, v18, v19
	s_delay_alu instid0(VALU_DEP_2)
	v_or_b32_e32 v24, v20, v17
	s_cbranch_vccnz .LBB1073_48
; %bb.42:
	v_mad_u64_u32 v[17:18], null, v5, s22, s[8:9]
	v_mul_lo_u32 v21, v5, s23
	v_mul_lo_u32 v22, v6, s22
	v_mad_u64_u32 v[19:20], null, v7, s22, s[8:9]
	v_mul_lo_u32 v23, v7, s23
	v_mul_lo_u32 v25, v8, s22
	s_mov_b32 s26, 0
	s_delay_alu instid0(VALU_DEP_4) | instskip(NEXT) | instid1(VALU_DEP_2)
	v_add3_u32 v18, v22, v18, v21
	v_add3_u32 v20, v25, v20, v23
	s_clause 0x1
	global_load_u8 v21, v[17:18], off
	global_load_u8 v22, v[19:20], off
	s_waitcnt vmcnt(1)
	v_cmp_ne_u16_e32 vcc_lo, 0, v21
	s_waitcnt vmcnt(0)
	v_cmp_ne_u16_e64 s2, 0, v22
	s_delay_alu instid0(VALU_DEP_1) | instskip(SKIP_2) | instid1(SALU_CYCLE_1)
	s_xor_b32 s3, vcc_lo, s2
	s_mov_b32 s2, -1
	s_xor_b32 s3, s3, -1
	s_and_saveexec_b32 s25, s3
	s_cbranch_execz .LBB1073_50
; %bb.43:
	s_mov_b64 s[6:7], 1
                                        ; implicit-def: $sgpr27
	s_set_inst_prefetch_distance 0x1
	s_branch .LBB1073_46
	.p2align	6
.LBB1073_44:                            ;   in Loop: Header=BB1073_46 Depth=1
	v_add_co_u32 v21, s2, v17, s6
	s_delay_alu instid0(VALU_DEP_1) | instskip(SKIP_1) | instid1(VALU_DEP_1)
	v_add_co_ci_u32_e64 v22, s2, s7, v18, s2
	v_add_co_u32 v28, s2, v19, s6
	v_add_co_ci_u32_e64 v29, s2, s7, v20, s2
	s_clause 0x1
	global_load_u8 v21, v[21:22], off
	global_load_u8 v22, v[28:29], off
	s_waitcnt vmcnt(1)
	v_cmp_ne_u16_e64 s2, 0, v21
	s_waitcnt vmcnt(0)
	v_cmp_ne_u16_e64 s3, 0, v22
	s_delay_alu instid0(VALU_DEP_1) | instskip(SKIP_4) | instid1(SALU_CYCLE_1)
	s_xor_b32 s28, s2, s3
	s_add_u32 s2, s6, 1
	s_addc_u32 s3, s7, 0
	s_and_not1_b32 s27, s27, exec_lo
	s_and_b32 s28, s28, exec_lo
	s_or_b32 s27, s27, s28
.LBB1073_45:                            ;   in Loop: Header=BB1073_46 Depth=1
	v_dual_mov_b32 v22, s7 :: v_dual_mov_b32 v21, s6
	s_and_b32 s28, exec_lo, s27
	s_mov_b64 s[6:7], s[2:3]
	s_or_b32 s26, s28, s26
	s_delay_alu instid0(SALU_CYCLE_1)
	s_and_not1_b32 exec_lo, exec_lo, s26
	s_cbranch_execz .LBB1073_49
.LBB1073_46:                            ; =>This Inner Loop Header: Depth=1
	s_or_b32 s27, s27, exec_lo
	s_cmp_eq_u64 s[22:23], s[6:7]
	s_cbranch_scc0 .LBB1073_44
; %bb.47:                               ;   in Loop: Header=BB1073_46 Depth=1
	s_mov_b64 s[6:7], s[22:23]
                                        ; implicit-def: $sgpr2_sgpr3
	s_branch .LBB1073_45
.LBB1073_48:
                                        ; implicit-def: $sgpr2
                                        ; implicit-def: $vgpr18_vgpr19
	s_cbranch_execnz .LBB1073_58
	s_branch .LBB1073_59
.LBB1073_49:
	s_set_inst_prefetch_distance 0x2
	s_or_b32 exec_lo, exec_lo, s26
	v_cmp_gt_i64_e64 s2, s[22:23], v[21:22]
	s_delay_alu instid0(VALU_DEP_1)
	s_or_not1_b32 s2, s2, exec_lo
.LBB1073_50:
	s_or_b32 exec_lo, exec_lo, s25
	v_mad_u64_u32 v[20:21], null, v11, s22, s[8:9]
	v_mul_lo_u32 v19, v11, s23
	v_mul_lo_u32 v22, v12, s22
	v_and_b32_e32 v23, 0xff, v24
	s_mov_b32 s25, 0
	s_delay_alu instid0(VALU_DEP_2) | instskip(SKIP_3) | instid1(VALU_DEP_1)
	v_add3_u32 v21, v22, v21, v19
	v_cndmask_b32_e64 v22, 0, 1, s2
	global_load_u8 v19, v[20:21], off
	v_lshlrev_b16 v22, 8, v22
	v_or_b32_e32 v22, v23, v22
	s_delay_alu instid0(VALU_DEP_1) | instskip(SKIP_2) | instid1(VALU_DEP_2)
	v_and_b32_e32 v22, 0xffff, v22
	s_waitcnt vmcnt(0)
	v_cmp_ne_u16_e64 s2, 0, v19
	v_and_or_b32 v19, 0xffff0000, v24, v22
	s_delay_alu instid0(VALU_DEP_2) | instskip(SKIP_2) | instid1(SALU_CYCLE_1)
	s_xor_b32 s3, vcc_lo, s2
	s_mov_b32 s2, -1
	s_xor_b32 s3, s3, -1
	s_and_saveexec_b32 s26, s3
	s_cbranch_execz .LBB1073_57
; %bb.51:
	s_mov_b64 s[6:7], 1
	s_mov_b32 s27, 0
                                        ; implicit-def: $sgpr28
	s_set_inst_prefetch_distance 0x1
	s_branch .LBB1073_54
	.p2align	6
.LBB1073_52:                            ;   in Loop: Header=BB1073_54 Depth=1
	v_add_co_u32 v22, vcc_lo, v20, s6
	v_add_co_ci_u32_e32 v23, vcc_lo, s7, v21, vcc_lo
	v_add_co_u32 v28, vcc_lo, v17, s6
	v_add_co_ci_u32_e32 v29, vcc_lo, s7, v18, vcc_lo
	s_clause 0x1
	global_load_u8 v22, v[22:23], off
	global_load_u8 v23, v[28:29], off
	s_waitcnt vmcnt(1)
	v_cmp_ne_u16_e32 vcc_lo, 0, v22
	s_waitcnt vmcnt(0)
	v_cmp_ne_u16_e64 s2, 0, v23
	s_delay_alu instid0(VALU_DEP_1) | instskip(SKIP_4) | instid1(SALU_CYCLE_1)
	s_xor_b32 s29, vcc_lo, s2
	s_add_u32 s2, s6, 1
	s_addc_u32 s3, s7, 0
	s_and_not1_b32 s28, s28, exec_lo
	s_and_b32 s29, s29, exec_lo
	s_or_b32 s28, s28, s29
.LBB1073_53:                            ;   in Loop: Header=BB1073_54 Depth=1
	v_dual_mov_b32 v23, s7 :: v_dual_mov_b32 v22, s6
	s_and_b32 s29, exec_lo, s28
	s_mov_b64 s[6:7], s[2:3]
	s_or_b32 s27, s29, s27
	s_delay_alu instid0(SALU_CYCLE_1)
	s_and_not1_b32 exec_lo, exec_lo, s27
	s_cbranch_execz .LBB1073_56
.LBB1073_54:                            ; =>This Inner Loop Header: Depth=1
	s_or_b32 s28, s28, exec_lo
	s_cmp_eq_u64 s[22:23], s[6:7]
	s_cbranch_scc0 .LBB1073_52
; %bb.55:                               ;   in Loop: Header=BB1073_54 Depth=1
	s_mov_b64 s[6:7], s[22:23]
                                        ; implicit-def: $sgpr2_sgpr3
	s_branch .LBB1073_53
.LBB1073_56:
	s_set_inst_prefetch_distance 0x2
	s_or_b32 exec_lo, exec_lo, s27
	v_cmp_gt_i64_e32 vcc_lo, s[22:23], v[22:23]
	s_or_not1_b32 s2, vcc_lo, exec_lo
.LBB1073_57:
	s_or_b32 exec_lo, exec_lo, s26
	s_delay_alu instid0(SALU_CYCLE_1)
	s_and_b32 vcc_lo, exec_lo, s25
	s_cbranch_vccz .LBB1073_59
.LBB1073_58:
	s_delay_alu instid0(VALU_DEP_1)
	v_and_b32_e32 v19, 0xffff00ff, v24
	s_and_not1_b32 s2, s2, exec_lo
.LBB1073_59:
	s_delay_alu instid0(VALU_DEP_1) | instskip(SKIP_2) | instid1(VALU_DEP_2)
	v_and_b32_e32 v17, 0xffffff00, v19
	v_cndmask_b32_e64 v18, 0, 1, s2
	v_cmp_ne_u32_e32 vcc_lo, 1, v26
	v_or_b32_e32 v17, v18, v17
	s_delay_alu instid0(VALU_DEP_1) | instskip(NEXT) | instid1(VALU_DEP_1)
	v_and_b32_e32 v17, 0xffff, v17
	v_and_or_b32 v18, 0xffff0000, v19, v17
	s_cbranch_vccnz .LBB1073_66
; %bb.60:
	v_mad_u64_u32 v[20:21], null, v9, s22, s[8:9]
	v_mul_lo_u32 v17, v9, s23
	v_mul_lo_u32 v19, v10, s22
	v_mad_u64_u32 v[22:23], null, v11, s22, s[8:9]
	v_mul_lo_u32 v24, v11, s23
	v_mul_lo_u32 v25, v12, s22
	s_delay_alu instid0(VALU_DEP_4) | instskip(NEXT) | instid1(VALU_DEP_2)
	v_add3_u32 v21, v19, v21, v17
	v_add3_u32 v23, v25, v23, v24
	s_clause 0x1
	global_load_u8 v17, v[20:21], off
	global_load_u8 v19, v[22:23], off
	s_waitcnt vmcnt(1)
	v_cmp_ne_u16_e32 vcc_lo, 0, v17
	s_waitcnt vmcnt(0)
	v_cmp_ne_u16_e64 s2, 0, v19
	s_delay_alu instid0(VALU_DEP_1) | instskip(SKIP_2) | instid1(SALU_CYCLE_1)
	s_xor_b32 s3, vcc_lo, s2
	s_mov_b32 s2, -1
	s_xor_b32 s3, s3, -1
	s_and_saveexec_b32 s25, s3
	s_cbranch_execz .LBB1073_68
; %bb.61:
	s_mov_b64 s[6:7], 1
	s_mov_b32 s26, 0
                                        ; implicit-def: $sgpr27
	s_set_inst_prefetch_distance 0x1
	s_branch .LBB1073_64
	.p2align	6
.LBB1073_62:                            ;   in Loop: Header=BB1073_64 Depth=1
	v_add_co_u32 v24, s2, v20, s6
	s_delay_alu instid0(VALU_DEP_1) | instskip(SKIP_1) | instid1(VALU_DEP_1)
	v_add_co_ci_u32_e64 v25, s2, s7, v21, s2
	v_add_co_u32 v28, s2, v22, s6
	v_add_co_ci_u32_e64 v29, s2, s7, v23, s2
	s_clause 0x1
	global_load_u8 v17, v[24:25], off
	global_load_u8 v19, v[28:29], off
	s_waitcnt vmcnt(1)
	v_cmp_ne_u16_e64 s2, 0, v17
	s_waitcnt vmcnt(0)
	v_cmp_ne_u16_e64 s3, 0, v19
	s_delay_alu instid0(VALU_DEP_1) | instskip(SKIP_4) | instid1(SALU_CYCLE_1)
	s_xor_b32 s28, s2, s3
	s_add_u32 s2, s6, 1
	s_addc_u32 s3, s7, 0
	s_and_not1_b32 s27, s27, exec_lo
	s_and_b32 s28, s28, exec_lo
	s_or_b32 s27, s27, s28
.LBB1073_63:                            ;   in Loop: Header=BB1073_64 Depth=1
	v_dual_mov_b32 v25, s7 :: v_dual_mov_b32 v24, s6
	s_and_b32 s28, exec_lo, s27
	s_mov_b64 s[6:7], s[2:3]
	s_or_b32 s26, s28, s26
	s_delay_alu instid0(SALU_CYCLE_1)
	s_and_not1_b32 exec_lo, exec_lo, s26
	s_cbranch_execz .LBB1073_67
.LBB1073_64:                            ; =>This Inner Loop Header: Depth=1
	s_or_b32 s27, s27, exec_lo
	s_cmp_eq_u64 s[22:23], s[6:7]
	s_cbranch_scc0 .LBB1073_62
; %bb.65:                               ;   in Loop: Header=BB1073_64 Depth=1
	s_mov_b64 s[6:7], s[22:23]
                                        ; implicit-def: $sgpr2_sgpr3
	s_branch .LBB1073_63
.LBB1073_66:
                                        ; implicit-def: $sgpr25
                                        ; implicit-def: $vgpr19_vgpr20
	s_cbranch_execnz .LBB1073_76
	s_branch .LBB1073_77
.LBB1073_67:
	s_set_inst_prefetch_distance 0x2
	s_or_b32 exec_lo, exec_lo, s26
	v_cmp_gt_i64_e64 s2, s[22:23], v[24:25]
	s_delay_alu instid0(VALU_DEP_1)
	s_or_not1_b32 s2, s2, exec_lo
.LBB1073_68:
	s_or_b32 exec_lo, exec_lo, s25
	v_mad_u64_u32 v[22:23], null, v15, s22, s[8:9]
	v_mul_lo_u32 v17, v15, s23
	v_mul_lo_u32 v19, v16, s22
	v_cndmask_b32_e64 v24, 0, 1, s2
	s_mov_b32 s26, 0
	s_mov_b32 s25, -1
	s_delay_alu instid0(VALU_DEP_1) | instskip(NEXT) | instid1(VALU_DEP_3)
	v_lshlrev_b16 v24, 8, v24
	v_add3_u32 v23, v19, v23, v17
	v_lshrrev_b32_e32 v19, 16, v27
	global_load_u8 v17, v[22:23], off
	v_and_b32_e32 v19, 0xff, v19
	s_delay_alu instid0(VALU_DEP_1) | instskip(NEXT) | instid1(VALU_DEP_1)
	v_or_b32_e32 v19, v19, v24
	v_lshlrev_b32_e32 v19, 16, v19
	s_delay_alu instid0(VALU_DEP_1) | instskip(SKIP_2) | instid1(VALU_DEP_1)
	v_and_or_b32 v19, 0xffff, v27, v19
	s_waitcnt vmcnt(0)
	v_cmp_ne_u16_e64 s2, 0, v17
	s_xor_b32 s2, vcc_lo, s2
	s_delay_alu instid0(SALU_CYCLE_1) | instskip(NEXT) | instid1(SALU_CYCLE_1)
	s_xor_b32 s2, s2, -1
	s_and_saveexec_b32 s27, s2
	s_cbranch_execz .LBB1073_75
; %bb.69:
	s_mov_b64 s[6:7], 1
	s_mov_b32 s25, 0
                                        ; implicit-def: $sgpr28
	s_set_inst_prefetch_distance 0x1
	s_branch .LBB1073_72
	.p2align	6
.LBB1073_70:                            ;   in Loop: Header=BB1073_72 Depth=1
	v_add_co_u32 v24, vcc_lo, v22, s6
	v_add_co_ci_u32_e32 v25, vcc_lo, s7, v23, vcc_lo
	v_add_co_u32 v28, vcc_lo, v20, s6
	v_add_co_ci_u32_e32 v29, vcc_lo, s7, v21, vcc_lo
	s_clause 0x1
	global_load_u8 v17, v[24:25], off
	global_load_u8 v24, v[28:29], off
	s_waitcnt vmcnt(1)
	v_cmp_ne_u16_e32 vcc_lo, 0, v17
	s_waitcnt vmcnt(0)
	v_cmp_ne_u16_e64 s2, 0, v24
	s_delay_alu instid0(VALU_DEP_1) | instskip(SKIP_4) | instid1(SALU_CYCLE_1)
	s_xor_b32 s29, vcc_lo, s2
	s_add_u32 s2, s6, 1
	s_addc_u32 s3, s7, 0
	s_and_not1_b32 s28, s28, exec_lo
	s_and_b32 s29, s29, exec_lo
	s_or_b32 s28, s28, s29
.LBB1073_71:                            ;   in Loop: Header=BB1073_72 Depth=1
	v_dual_mov_b32 v25, s7 :: v_dual_mov_b32 v24, s6
	s_and_b32 s29, exec_lo, s28
	s_mov_b64 s[6:7], s[2:3]
	s_or_b32 s25, s29, s25
	s_delay_alu instid0(SALU_CYCLE_1)
	s_and_not1_b32 exec_lo, exec_lo, s25
	s_cbranch_execz .LBB1073_74
.LBB1073_72:                            ; =>This Inner Loop Header: Depth=1
	s_or_b32 s28, s28, exec_lo
	s_cmp_eq_u64 s[22:23], s[6:7]
	s_cbranch_scc0 .LBB1073_70
; %bb.73:                               ;   in Loop: Header=BB1073_72 Depth=1
	s_mov_b64 s[6:7], s[22:23]
                                        ; implicit-def: $sgpr2_sgpr3
	s_branch .LBB1073_71
.LBB1073_74:
	s_set_inst_prefetch_distance 0x2
	s_or_b32 exec_lo, exec_lo, s25
	v_cmp_gt_i64_e32 vcc_lo, s[22:23], v[24:25]
	s_or_not1_b32 s25, vcc_lo, exec_lo
.LBB1073_75:
	s_or_b32 exec_lo, exec_lo, s27
	s_delay_alu instid0(SALU_CYCLE_1)
	s_and_b32 vcc_lo, exec_lo, s26
	s_cbranch_vccz .LBB1073_77
.LBB1073_76:
	v_and_b32_e32 v19, 0xffffff, v27
	s_and_not1_b32 s25, s25, exec_lo
.LBB1073_77:
	v_cmp_ne_u32_e32 vcc_lo, 1, v26
	s_mov_b32 s2, 0
	s_cbranch_vccnz .LBB1073_86
; %bb.78:
	v_mad_u64_u32 v[20:21], null, v13, s22, s[8:9]
	v_mul_lo_u32 v17, v13, s23
	v_mul_lo_u32 v24, v14, s22
	v_mad_u64_u32 v[22:23], null, v15, s22, s[8:9]
	v_mul_lo_u32 v25, v15, s23
	v_mul_lo_u32 v27, v16, s22
	s_mov_b32 s27, 0
	s_delay_alu instid0(VALU_DEP_4) | instskip(NEXT) | instid1(VALU_DEP_2)
	v_add3_u32 v21, v24, v21, v17
	v_add3_u32 v23, v27, v23, v25
	s_clause 0x1
	global_load_u8 v17, v[20:21], off
	global_load_u8 v24, v[22:23], off
	s_waitcnt vmcnt(1)
	v_cmp_ne_u16_e32 vcc_lo, 0, v17
	s_waitcnt vmcnt(0)
	v_cmp_ne_u16_e64 s2, 0, v24
	s_delay_alu instid0(VALU_DEP_1) | instskip(SKIP_2) | instid1(SALU_CYCLE_1)
	s_xor_b32 s3, vcc_lo, s2
	s_mov_b32 s2, -1
	s_xor_b32 s3, s3, -1
	s_and_saveexec_b32 s26, s3
	s_cbranch_execz .LBB1073_85
; %bb.79:
	s_mov_b64 s[6:7], 1
                                        ; implicit-def: $sgpr28
	s_set_inst_prefetch_distance 0x1
	s_branch .LBB1073_82
	.p2align	6
.LBB1073_80:                            ;   in Loop: Header=BB1073_82 Depth=1
	v_add_co_u32 v24, vcc_lo, v20, s6
	v_add_co_ci_u32_e32 v25, vcc_lo, s7, v21, vcc_lo
	v_add_co_u32 v27, vcc_lo, v22, s6
	v_add_co_ci_u32_e32 v28, vcc_lo, s7, v23, vcc_lo
	s_clause 0x1
	global_load_u8 v17, v[24:25], off
	global_load_u8 v24, v[27:28], off
	s_waitcnt vmcnt(1)
	v_cmp_ne_u16_e32 vcc_lo, 0, v17
	s_waitcnt vmcnt(0)
	v_cmp_ne_u16_e64 s2, 0, v24
	s_delay_alu instid0(VALU_DEP_1) | instskip(SKIP_4) | instid1(SALU_CYCLE_1)
	s_xor_b32 s29, vcc_lo, s2
	s_add_u32 s2, s6, 1
	s_addc_u32 s3, s7, 0
	s_and_not1_b32 s28, s28, exec_lo
	s_and_b32 s29, s29, exec_lo
	s_or_b32 s28, s28, s29
.LBB1073_81:                            ;   in Loop: Header=BB1073_82 Depth=1
	v_dual_mov_b32 v25, s7 :: v_dual_mov_b32 v24, s6
	s_and_b32 s29, exec_lo, s28
	s_mov_b64 s[6:7], s[2:3]
	s_or_b32 s27, s29, s27
	s_delay_alu instid0(SALU_CYCLE_1)
	s_and_not1_b32 exec_lo, exec_lo, s27
	s_cbranch_execz .LBB1073_84
.LBB1073_82:                            ; =>This Inner Loop Header: Depth=1
	s_or_b32 s28, s28, exec_lo
	s_cmp_eq_u64 s[22:23], s[6:7]
	s_cbranch_scc0 .LBB1073_80
; %bb.83:                               ;   in Loop: Header=BB1073_82 Depth=1
	s_mov_b64 s[6:7], s[22:23]
                                        ; implicit-def: $sgpr2_sgpr3
	s_branch .LBB1073_81
.LBB1073_84:
	s_set_inst_prefetch_distance 0x2
	s_or_b32 exec_lo, exec_lo, s27
	v_cmp_gt_i64_e32 vcc_lo, s[22:23], v[24:25]
	s_or_not1_b32 s2, vcc_lo, exec_lo
.LBB1073_85:
	s_or_b32 exec_lo, exec_lo, s26
.LBB1073_86:
	s_waitcnt lgkmcnt(0)
	v_dual_mov_b32 v22, s5 :: v_dual_mov_b32 v21, s4
	s_mov_b32 s3, exec_lo
	s_barrier
	buffer_gl0_inv
	v_cmpx_ne_u32_e32 0, v0
	s_cbranch_execz .LBB1073_88
; %bb.87:
	v_add_nc_u32_e32 v17, -8, v39
	ds_load_b64 v[21:22], v17
.LBB1073_88:
	s_or_b32 exec_lo, exec_lo, s3
	v_cndmask_b32_e64 v17, 0, 1, s2
	v_lshrrev_b32_e32 v20, 24, v19
	v_cndmask_b32_e64 v23, 0, 1, s25
	v_and_b32_e32 v19, 0xff, v19
	v_cmp_ne_u32_e32 vcc_lo, 1, v26
	v_lshlrev_b16 v17, 8, v17
	v_lshlrev_b16 v20, 8, v20
	s_mov_b32 s25, 0
	s_mov_b32 s2, 0
	s_and_b32 vcc_lo, exec_lo, vcc_lo
	v_or_b32_e32 v17, v19, v17
	v_or_b32_e32 v19, v23, v20
	s_delay_alu instid0(VALU_DEP_2) | instskip(NEXT) | instid1(VALU_DEP_2)
	v_and_b32_e32 v17, 0xffff, v17
	v_lshlrev_b32_e32 v25, 16, v19
	s_cbranch_vccnz .LBB1073_97
; %bb.89:
	s_waitcnt lgkmcnt(0)
	v_mad_u64_u32 v[19:20], null, v21, s22, s[8:9]
	v_mul_lo_u32 v23, v21, s23
	v_mul_lo_u32 v24, v22, s22
	v_mad_u64_u32 v[21:22], null, v13, s22, s[8:9]
	v_mul_lo_u32 v26, v13, s23
	v_mul_lo_u32 v27, v14, s22
	s_mov_b32 s27, 0
	s_delay_alu instid0(VALU_DEP_4) | instskip(NEXT) | instid1(VALU_DEP_2)
	v_add3_u32 v20, v24, v20, v23
	v_add3_u32 v22, v27, v22, v26
	s_clause 0x1
	global_load_u8 v23, v[19:20], off
	global_load_u8 v24, v[21:22], off
	s_waitcnt vmcnt(1)
	v_cmp_ne_u16_e32 vcc_lo, 0, v23
	s_waitcnt vmcnt(0)
	v_cmp_ne_u16_e64 s2, 0, v24
	s_delay_alu instid0(VALU_DEP_1) | instskip(SKIP_2) | instid1(SALU_CYCLE_1)
	s_xor_b32 s3, vcc_lo, s2
	s_mov_b32 s2, -1
	s_xor_b32 s3, s3, -1
	s_and_saveexec_b32 s26, s3
	s_cbranch_execz .LBB1073_96
; %bb.90:
	s_mov_b64 s[6:7], 1
                                        ; implicit-def: $sgpr28
	s_set_inst_prefetch_distance 0x1
	s_branch .LBB1073_93
	.p2align	6
.LBB1073_91:                            ;   in Loop: Header=BB1073_93 Depth=1
	v_add_co_u32 v23, vcc_lo, v19, s6
	v_add_co_ci_u32_e32 v24, vcc_lo, s7, v20, vcc_lo
	v_add_co_u32 v26, vcc_lo, v21, s6
	v_add_co_ci_u32_e32 v27, vcc_lo, s7, v22, vcc_lo
	s_clause 0x1
	global_load_u8 v23, v[23:24], off
	global_load_u8 v24, v[26:27], off
	s_waitcnt vmcnt(1)
	v_cmp_ne_u16_e32 vcc_lo, 0, v23
	s_waitcnt vmcnt(0)
	v_cmp_ne_u16_e64 s2, 0, v24
	s_delay_alu instid0(VALU_DEP_1) | instskip(SKIP_4) | instid1(SALU_CYCLE_1)
	s_xor_b32 s29, vcc_lo, s2
	s_add_u32 s2, s6, 1
	s_addc_u32 s3, s7, 0
	s_and_not1_b32 s28, s28, exec_lo
	s_and_b32 s29, s29, exec_lo
	s_or_b32 s28, s28, s29
.LBB1073_92:                            ;   in Loop: Header=BB1073_93 Depth=1
	v_dual_mov_b32 v24, s7 :: v_dual_mov_b32 v23, s6
	s_and_b32 s29, exec_lo, s28
	s_mov_b64 s[6:7], s[2:3]
	s_or_b32 s27, s29, s27
	s_delay_alu instid0(SALU_CYCLE_1)
	s_and_not1_b32 exec_lo, exec_lo, s27
	s_cbranch_execz .LBB1073_95
.LBB1073_93:                            ; =>This Inner Loop Header: Depth=1
	s_or_b32 s28, s28, exec_lo
	s_cmp_eq_u64 s[22:23], s[6:7]
	s_cbranch_scc0 .LBB1073_91
; %bb.94:                               ;   in Loop: Header=BB1073_93 Depth=1
	s_mov_b64 s[6:7], s[22:23]
                                        ; implicit-def: $sgpr2_sgpr3
	s_branch .LBB1073_92
.LBB1073_95:
	s_set_inst_prefetch_distance 0x2
	s_or_b32 exec_lo, exec_lo, s27
	v_cmp_gt_i64_e32 vcc_lo, s[22:23], v[23:24]
	s_or_not1_b32 s2, vcc_lo, exec_lo
.LBB1073_96:
	s_or_b32 exec_lo, exec_lo, s26
.LBB1073_97:
	s_delay_alu instid0(VALU_DEP_1)
	v_or_b32_e32 v17, v17, v25
	s_and_b32 vcc_lo, exec_lo, s25
	s_cbranch_vccz .LBB1073_173
.LBB1073_98:
	v_or_b32_e32 v17, 7, v39
	s_xor_b32 s24, s24, -1
	s_mov_b32 s3, -1
	s_mov_b32 s25, 0
	s_mov_b32 s26, 0
	v_cmp_gt_u32_e32 vcc_lo, s20, v17
	s_and_b32 s2, vcc_lo, s24
	s_delay_alu instid0(SALU_CYCLE_1)
	s_and_saveexec_b32 s27, s2
	s_cbranch_execz .LBB1073_107
; %bb.99:
	v_mad_u64_u32 v[17:18], null, v1, s22, s[8:9]
	s_waitcnt lgkmcnt(0)
	v_mul_lo_u32 v21, v1, s23
	v_mul_lo_u32 v22, v2, s22
	v_mad_u64_u32 v[19:20], null, v3, s22, s[8:9]
	v_mul_lo_u32 v23, v3, s23
	v_mul_lo_u32 v24, v4, s22
	s_mov_b32 s28, 0
	s_delay_alu instid0(VALU_DEP_4) | instskip(NEXT) | instid1(VALU_DEP_2)
	v_add3_u32 v18, v22, v18, v21
	v_add3_u32 v20, v24, v20, v23
	s_clause 0x1
	global_load_u8 v21, v[17:18], off
	global_load_u8 v22, v[19:20], off
	s_waitcnt vmcnt(1)
	v_cmp_ne_u16_e32 vcc_lo, 0, v21
	s_waitcnt vmcnt(0)
	v_cmp_ne_u16_e64 s2, 0, v22
	s_delay_alu instid0(VALU_DEP_1) | instskip(NEXT) | instid1(SALU_CYCLE_1)
	s_xor_b32 s2, vcc_lo, s2
	s_xor_b32 s2, s2, -1
	s_delay_alu instid0(SALU_CYCLE_1)
	s_and_saveexec_b32 s26, s2
	s_cbranch_execz .LBB1073_106
; %bb.100:
	s_mov_b64 s[6:7], 1
                                        ; implicit-def: $sgpr29
	s_set_inst_prefetch_distance 0x1
	s_branch .LBB1073_103
	.p2align	6
.LBB1073_101:                           ;   in Loop: Header=BB1073_103 Depth=1
	v_add_co_u32 v21, vcc_lo, v17, s6
	v_add_co_ci_u32_e32 v22, vcc_lo, s7, v18, vcc_lo
	v_add_co_u32 v23, vcc_lo, v19, s6
	v_add_co_ci_u32_e32 v24, vcc_lo, s7, v20, vcc_lo
	s_clause 0x1
	global_load_u8 v21, v[21:22], off
	global_load_u8 v22, v[23:24], off
	s_waitcnt vmcnt(1)
	v_cmp_ne_u16_e32 vcc_lo, 0, v21
	s_waitcnt vmcnt(0)
	v_cmp_ne_u16_e64 s2, 0, v22
	s_delay_alu instid0(VALU_DEP_1) | instskip(SKIP_4) | instid1(SALU_CYCLE_1)
	s_xor_b32 s30, vcc_lo, s2
	s_add_u32 s2, s6, 1
	s_addc_u32 s3, s7, 0
	s_and_not1_b32 s29, s29, exec_lo
	s_and_b32 s30, s30, exec_lo
	s_or_b32 s29, s29, s30
.LBB1073_102:                           ;   in Loop: Header=BB1073_103 Depth=1
	v_dual_mov_b32 v22, s7 :: v_dual_mov_b32 v21, s6
	s_and_b32 s30, exec_lo, s29
	s_mov_b64 s[6:7], s[2:3]
	s_or_b32 s28, s30, s28
	s_delay_alu instid0(SALU_CYCLE_1)
	s_and_not1_b32 exec_lo, exec_lo, s28
	s_cbranch_execz .LBB1073_105
.LBB1073_103:                           ; =>This Inner Loop Header: Depth=1
	s_or_b32 s29, s29, exec_lo
	s_cmp_eq_u64 s[22:23], s[6:7]
	s_cbranch_scc0 .LBB1073_101
; %bb.104:                              ;   in Loop: Header=BB1073_103 Depth=1
	s_mov_b64 s[6:7], s[22:23]
                                        ; implicit-def: $sgpr2_sgpr3
	s_branch .LBB1073_102
.LBB1073_105:
	s_set_inst_prefetch_distance 0x2
	s_or_b32 exec_lo, exec_lo, s28
	v_cmp_gt_i64_e32 vcc_lo, s[22:23], v[21:22]
	s_or_not1_b32 s3, vcc_lo, exec_lo
.LBB1073_106:
	s_or_b32 exec_lo, exec_lo, s26
	s_delay_alu instid0(SALU_CYCLE_1)
	s_and_b32 s26, s3, exec_lo
.LBB1073_107:
	s_or_b32 exec_lo, exec_lo, s27
	v_or_b32_e32 v17, 6, v39
	s_delay_alu instid0(VALU_DEP_1) | instskip(SKIP_1) | instid1(SALU_CYCLE_1)
	v_cmp_gt_u32_e32 vcc_lo, s20, v17
	s_and_b32 s2, vcc_lo, s24
	s_and_saveexec_b32 s27, s2
	s_cbranch_execz .LBB1073_116
; %bb.108:
	v_mad_u64_u32 v[17:18], null, v7, s22, s[8:9]
	s_waitcnt lgkmcnt(0)
	v_mul_lo_u32 v21, v7, s23
	v_mul_lo_u32 v22, v8, s22
	v_mad_u64_u32 v[19:20], null, v1, s22, s[8:9]
	v_mul_lo_u32 v23, v1, s23
	v_mul_lo_u32 v24, v2, s22
	s_mov_b32 s28, 0
	s_delay_alu instid0(VALU_DEP_4) | instskip(NEXT) | instid1(VALU_DEP_2)
	v_add3_u32 v18, v22, v18, v21
	v_add3_u32 v20, v24, v20, v23
	s_clause 0x1
	global_load_u8 v21, v[17:18], off
	global_load_u8 v22, v[19:20], off
	s_waitcnt vmcnt(1)
	v_cmp_ne_u16_e32 vcc_lo, 0, v21
	s_waitcnt vmcnt(0)
	v_cmp_ne_u16_e64 s2, 0, v22
	s_delay_alu instid0(VALU_DEP_1) | instskip(SKIP_2) | instid1(SALU_CYCLE_1)
	s_xor_b32 s3, vcc_lo, s2
	s_mov_b32 s2, -1
	s_xor_b32 s3, s3, -1
	s_and_saveexec_b32 s25, s3
	s_cbranch_execz .LBB1073_115
; %bb.109:
	s_mov_b64 s[6:7], 1
                                        ; implicit-def: $sgpr29
	s_set_inst_prefetch_distance 0x1
	s_branch .LBB1073_112
	.p2align	6
.LBB1073_110:                           ;   in Loop: Header=BB1073_112 Depth=1
	v_add_co_u32 v21, vcc_lo, v17, s6
	v_add_co_ci_u32_e32 v22, vcc_lo, s7, v18, vcc_lo
	v_add_co_u32 v23, vcc_lo, v19, s6
	v_add_co_ci_u32_e32 v24, vcc_lo, s7, v20, vcc_lo
	s_clause 0x1
	global_load_u8 v21, v[21:22], off
	global_load_u8 v22, v[23:24], off
	s_waitcnt vmcnt(1)
	v_cmp_ne_u16_e32 vcc_lo, 0, v21
	s_waitcnt vmcnt(0)
	v_cmp_ne_u16_e64 s2, 0, v22
	s_delay_alu instid0(VALU_DEP_1) | instskip(SKIP_4) | instid1(SALU_CYCLE_1)
	s_xor_b32 s30, vcc_lo, s2
	s_add_u32 s2, s6, 1
	s_addc_u32 s3, s7, 0
	s_and_not1_b32 s29, s29, exec_lo
	s_and_b32 s30, s30, exec_lo
	s_or_b32 s29, s29, s30
.LBB1073_111:                           ;   in Loop: Header=BB1073_112 Depth=1
	v_dual_mov_b32 v22, s7 :: v_dual_mov_b32 v21, s6
	s_and_b32 s30, exec_lo, s29
	s_mov_b64 s[6:7], s[2:3]
	s_or_b32 s28, s30, s28
	s_delay_alu instid0(SALU_CYCLE_1)
	s_and_not1_b32 exec_lo, exec_lo, s28
	s_cbranch_execz .LBB1073_114
.LBB1073_112:                           ; =>This Inner Loop Header: Depth=1
	s_or_b32 s29, s29, exec_lo
	s_cmp_eq_u64 s[22:23], s[6:7]
	s_cbranch_scc0 .LBB1073_110
; %bb.113:                              ;   in Loop: Header=BB1073_112 Depth=1
	s_mov_b64 s[6:7], s[22:23]
                                        ; implicit-def: $sgpr2_sgpr3
	s_branch .LBB1073_111
.LBB1073_114:
	s_set_inst_prefetch_distance 0x2
	s_or_b32 exec_lo, exec_lo, s28
	v_cmp_gt_i64_e32 vcc_lo, s[22:23], v[21:22]
	s_or_not1_b32 s2, vcc_lo, exec_lo
.LBB1073_115:
	s_or_b32 exec_lo, exec_lo, s25
	s_delay_alu instid0(SALU_CYCLE_1)
	s_and_b32 s25, s2, exec_lo
.LBB1073_116:
	s_or_b32 exec_lo, exec_lo, s27
	v_or_b32_e32 v17, 5, v39
	s_mov_b32 s3, -1
	s_mov_b32 s28, 0
	s_mov_b32 s27, 0
	s_delay_alu instid0(VALU_DEP_1) | instskip(SKIP_1) | instid1(SALU_CYCLE_1)
	v_cmp_gt_u32_e32 vcc_lo, s20, v17
	s_and_b32 s2, vcc_lo, s24
	s_and_saveexec_b32 s29, s2
	s_cbranch_execz .LBB1073_125
; %bb.117:
	v_mad_u64_u32 v[17:18], null, v5, s22, s[8:9]
	s_waitcnt lgkmcnt(0)
	v_mul_lo_u32 v21, v5, s23
	v_mul_lo_u32 v22, v6, s22
	v_mad_u64_u32 v[19:20], null, v7, s22, s[8:9]
	v_mul_lo_u32 v23, v7, s23
	v_mul_lo_u32 v24, v8, s22
	s_mov_b32 s30, 0
	s_delay_alu instid0(VALU_DEP_4) | instskip(NEXT) | instid1(VALU_DEP_2)
	v_add3_u32 v18, v22, v18, v21
	v_add3_u32 v20, v24, v20, v23
	s_clause 0x1
	global_load_u8 v21, v[17:18], off
	global_load_u8 v22, v[19:20], off
	s_waitcnt vmcnt(1)
	v_cmp_ne_u16_e32 vcc_lo, 0, v21
	s_waitcnt vmcnt(0)
	v_cmp_ne_u16_e64 s2, 0, v22
	s_delay_alu instid0(VALU_DEP_1) | instskip(NEXT) | instid1(SALU_CYCLE_1)
	s_xor_b32 s2, vcc_lo, s2
	s_xor_b32 s2, s2, -1
	s_delay_alu instid0(SALU_CYCLE_1)
	s_and_saveexec_b32 s27, s2
	s_cbranch_execz .LBB1073_124
; %bb.118:
	s_mov_b64 s[6:7], 1
                                        ; implicit-def: $sgpr31
	s_set_inst_prefetch_distance 0x1
	s_branch .LBB1073_121
	.p2align	6
.LBB1073_119:                           ;   in Loop: Header=BB1073_121 Depth=1
	v_add_co_u32 v21, vcc_lo, v17, s6
	v_add_co_ci_u32_e32 v22, vcc_lo, s7, v18, vcc_lo
	v_add_co_u32 v23, vcc_lo, v19, s6
	v_add_co_ci_u32_e32 v24, vcc_lo, s7, v20, vcc_lo
	s_clause 0x1
	global_load_u8 v21, v[21:22], off
	global_load_u8 v22, v[23:24], off
	s_waitcnt vmcnt(1)
	v_cmp_ne_u16_e32 vcc_lo, 0, v21
	s_waitcnt vmcnt(0)
	v_cmp_ne_u16_e64 s2, 0, v22
	s_delay_alu instid0(VALU_DEP_1) | instskip(SKIP_4) | instid1(SALU_CYCLE_1)
	s_xor_b32 s33, vcc_lo, s2
	s_add_u32 s2, s6, 1
	s_addc_u32 s3, s7, 0
	s_and_not1_b32 s31, s31, exec_lo
	s_and_b32 s33, s33, exec_lo
	s_or_b32 s31, s31, s33
.LBB1073_120:                           ;   in Loop: Header=BB1073_121 Depth=1
	v_dual_mov_b32 v22, s7 :: v_dual_mov_b32 v21, s6
	s_and_b32 s33, exec_lo, s31
	s_mov_b64 s[6:7], s[2:3]
	s_or_b32 s30, s33, s30
	s_delay_alu instid0(SALU_CYCLE_1)
	s_and_not1_b32 exec_lo, exec_lo, s30
	s_cbranch_execz .LBB1073_123
.LBB1073_121:                           ; =>This Inner Loop Header: Depth=1
	s_or_b32 s31, s31, exec_lo
	s_cmp_eq_u64 s[22:23], s[6:7]
	s_cbranch_scc0 .LBB1073_119
; %bb.122:                              ;   in Loop: Header=BB1073_121 Depth=1
	s_mov_b64 s[6:7], s[22:23]
                                        ; implicit-def: $sgpr2_sgpr3
	s_branch .LBB1073_120
.LBB1073_123:
	s_set_inst_prefetch_distance 0x2
	s_or_b32 exec_lo, exec_lo, s30
	v_cmp_gt_i64_e32 vcc_lo, s[22:23], v[21:22]
	s_or_not1_b32 s3, vcc_lo, exec_lo
.LBB1073_124:
	s_or_b32 exec_lo, exec_lo, s27
	s_delay_alu instid0(SALU_CYCLE_1)
	s_and_b32 s27, s3, exec_lo
.LBB1073_125:
	s_or_b32 exec_lo, exec_lo, s29
	v_or_b32_e32 v17, 4, v39
	s_delay_alu instid0(VALU_DEP_1) | instskip(SKIP_1) | instid1(SALU_CYCLE_1)
	v_cmp_gt_u32_e32 vcc_lo, s20, v17
	s_and_b32 s2, vcc_lo, s24
	s_and_saveexec_b32 s29, s2
	s_cbranch_execz .LBB1073_134
; %bb.126:
	v_mad_u64_u32 v[17:18], null, v11, s22, s[8:9]
	s_waitcnt lgkmcnt(0)
	v_mul_lo_u32 v21, v11, s23
	v_mul_lo_u32 v22, v12, s22
	v_mad_u64_u32 v[19:20], null, v5, s22, s[8:9]
	v_mul_lo_u32 v23, v5, s23
	v_mul_lo_u32 v24, v6, s22
	s_mov_b32 s30, 0
	s_delay_alu instid0(VALU_DEP_4) | instskip(NEXT) | instid1(VALU_DEP_2)
	v_add3_u32 v18, v22, v18, v21
	v_add3_u32 v20, v24, v20, v23
	s_clause 0x1
	global_load_u8 v21, v[17:18], off
	global_load_u8 v22, v[19:20], off
	s_waitcnt vmcnt(1)
	v_cmp_ne_u16_e32 vcc_lo, 0, v21
	s_waitcnt vmcnt(0)
	v_cmp_ne_u16_e64 s2, 0, v22
	s_delay_alu instid0(VALU_DEP_1) | instskip(SKIP_2) | instid1(SALU_CYCLE_1)
	s_xor_b32 s3, vcc_lo, s2
	s_mov_b32 s2, -1
	s_xor_b32 s3, s3, -1
	s_and_saveexec_b32 s28, s3
	s_cbranch_execz .LBB1073_133
; %bb.127:
	s_mov_b64 s[6:7], 1
                                        ; implicit-def: $sgpr31
	s_set_inst_prefetch_distance 0x1
	s_branch .LBB1073_130
	.p2align	6
.LBB1073_128:                           ;   in Loop: Header=BB1073_130 Depth=1
	v_add_co_u32 v21, vcc_lo, v17, s6
	v_add_co_ci_u32_e32 v22, vcc_lo, s7, v18, vcc_lo
	v_add_co_u32 v23, vcc_lo, v19, s6
	v_add_co_ci_u32_e32 v24, vcc_lo, s7, v20, vcc_lo
	s_clause 0x1
	global_load_u8 v21, v[21:22], off
	global_load_u8 v22, v[23:24], off
	s_waitcnt vmcnt(1)
	v_cmp_ne_u16_e32 vcc_lo, 0, v21
	s_waitcnt vmcnt(0)
	v_cmp_ne_u16_e64 s2, 0, v22
	s_delay_alu instid0(VALU_DEP_1) | instskip(SKIP_4) | instid1(SALU_CYCLE_1)
	s_xor_b32 s33, vcc_lo, s2
	s_add_u32 s2, s6, 1
	s_addc_u32 s3, s7, 0
	s_and_not1_b32 s31, s31, exec_lo
	s_and_b32 s33, s33, exec_lo
	s_or_b32 s31, s31, s33
.LBB1073_129:                           ;   in Loop: Header=BB1073_130 Depth=1
	v_dual_mov_b32 v22, s7 :: v_dual_mov_b32 v21, s6
	s_and_b32 s33, exec_lo, s31
	s_mov_b64 s[6:7], s[2:3]
	s_or_b32 s30, s33, s30
	s_delay_alu instid0(SALU_CYCLE_1)
	s_and_not1_b32 exec_lo, exec_lo, s30
	s_cbranch_execz .LBB1073_132
.LBB1073_130:                           ; =>This Inner Loop Header: Depth=1
	s_or_b32 s31, s31, exec_lo
	s_cmp_eq_u64 s[22:23], s[6:7]
	s_cbranch_scc0 .LBB1073_128
; %bb.131:                              ;   in Loop: Header=BB1073_130 Depth=1
	s_mov_b64 s[6:7], s[22:23]
                                        ; implicit-def: $sgpr2_sgpr3
	s_branch .LBB1073_129
.LBB1073_132:
	s_set_inst_prefetch_distance 0x2
	s_or_b32 exec_lo, exec_lo, s30
	v_cmp_gt_i64_e32 vcc_lo, s[22:23], v[21:22]
	s_or_not1_b32 s2, vcc_lo, exec_lo
.LBB1073_133:
	s_or_b32 exec_lo, exec_lo, s28
	s_delay_alu instid0(SALU_CYCLE_1)
	s_and_b32 s28, s2, exec_lo
.LBB1073_134:
	s_or_b32 exec_lo, exec_lo, s29
	v_or_b32_e32 v17, 3, v39
	s_mov_b32 s3, -1
	s_mov_b32 s30, 0
	s_mov_b32 s29, 0
	s_delay_alu instid0(VALU_DEP_1) | instskip(SKIP_1) | instid1(SALU_CYCLE_1)
	v_cmp_gt_u32_e32 vcc_lo, s20, v17
	s_and_b32 s2, vcc_lo, s24
	s_and_saveexec_b32 s31, s2
	s_cbranch_execz .LBB1073_143
; %bb.135:
	v_mad_u64_u32 v[17:18], null, v9, s22, s[8:9]
	s_waitcnt lgkmcnt(0)
	v_mul_lo_u32 v21, v9, s23
	v_mul_lo_u32 v22, v10, s22
	v_mad_u64_u32 v[19:20], null, v11, s22, s[8:9]
	v_mul_lo_u32 v23, v11, s23
	v_mul_lo_u32 v24, v12, s22
	s_mov_b32 s33, 0
	s_delay_alu instid0(VALU_DEP_4) | instskip(NEXT) | instid1(VALU_DEP_2)
	v_add3_u32 v18, v22, v18, v21
	v_add3_u32 v20, v24, v20, v23
	s_clause 0x1
	global_load_u8 v21, v[17:18], off
	global_load_u8 v22, v[19:20], off
	s_waitcnt vmcnt(1)
	v_cmp_ne_u16_e32 vcc_lo, 0, v21
	s_waitcnt vmcnt(0)
	v_cmp_ne_u16_e64 s2, 0, v22
	s_delay_alu instid0(VALU_DEP_1) | instskip(NEXT) | instid1(SALU_CYCLE_1)
	s_xor_b32 s2, vcc_lo, s2
	s_xor_b32 s2, s2, -1
	s_delay_alu instid0(SALU_CYCLE_1)
	s_and_saveexec_b32 s29, s2
	s_cbranch_execz .LBB1073_142
; %bb.136:
	s_mov_b64 s[6:7], 1
                                        ; implicit-def: $sgpr34
	s_set_inst_prefetch_distance 0x1
	s_branch .LBB1073_139
	.p2align	6
.LBB1073_137:                           ;   in Loop: Header=BB1073_139 Depth=1
	v_add_co_u32 v21, vcc_lo, v17, s6
	v_add_co_ci_u32_e32 v22, vcc_lo, s7, v18, vcc_lo
	v_add_co_u32 v23, vcc_lo, v19, s6
	v_add_co_ci_u32_e32 v24, vcc_lo, s7, v20, vcc_lo
	s_clause 0x1
	global_load_u8 v21, v[21:22], off
	global_load_u8 v22, v[23:24], off
	s_waitcnt vmcnt(1)
	v_cmp_ne_u16_e32 vcc_lo, 0, v21
	s_waitcnt vmcnt(0)
	v_cmp_ne_u16_e64 s2, 0, v22
	s_delay_alu instid0(VALU_DEP_1) | instskip(SKIP_4) | instid1(SALU_CYCLE_1)
	s_xor_b32 s35, vcc_lo, s2
	s_add_u32 s2, s6, 1
	s_addc_u32 s3, s7, 0
	s_and_not1_b32 s34, s34, exec_lo
	s_and_b32 s35, s35, exec_lo
	s_or_b32 s34, s34, s35
.LBB1073_138:                           ;   in Loop: Header=BB1073_139 Depth=1
	v_dual_mov_b32 v22, s7 :: v_dual_mov_b32 v21, s6
	s_and_b32 s35, exec_lo, s34
	s_mov_b64 s[6:7], s[2:3]
	s_or_b32 s33, s35, s33
	s_delay_alu instid0(SALU_CYCLE_1)
	s_and_not1_b32 exec_lo, exec_lo, s33
	s_cbranch_execz .LBB1073_141
.LBB1073_139:                           ; =>This Inner Loop Header: Depth=1
	s_or_b32 s34, s34, exec_lo
	s_cmp_eq_u64 s[22:23], s[6:7]
	s_cbranch_scc0 .LBB1073_137
; %bb.140:                              ;   in Loop: Header=BB1073_139 Depth=1
	s_mov_b64 s[6:7], s[22:23]
                                        ; implicit-def: $sgpr2_sgpr3
	s_branch .LBB1073_138
.LBB1073_141:
	s_set_inst_prefetch_distance 0x2
	s_or_b32 exec_lo, exec_lo, s33
	v_cmp_gt_i64_e32 vcc_lo, s[22:23], v[21:22]
	s_or_not1_b32 s3, vcc_lo, exec_lo
.LBB1073_142:
	s_or_b32 exec_lo, exec_lo, s29
	s_delay_alu instid0(SALU_CYCLE_1)
	s_and_b32 s29, s3, exec_lo
.LBB1073_143:
	s_or_b32 exec_lo, exec_lo, s31
	v_or_b32_e32 v17, 2, v39
	s_delay_alu instid0(VALU_DEP_1) | instskip(SKIP_1) | instid1(SALU_CYCLE_1)
	v_cmp_gt_u32_e32 vcc_lo, s20, v17
	s_and_b32 s2, vcc_lo, s24
	s_and_saveexec_b32 s31, s2
	s_cbranch_execz .LBB1073_152
; %bb.144:
	v_mad_u64_u32 v[17:18], null, v15, s22, s[8:9]
	s_waitcnt lgkmcnt(0)
	v_mul_lo_u32 v21, v15, s23
	v_mul_lo_u32 v22, v16, s22
	v_mad_u64_u32 v[19:20], null, v9, s22, s[8:9]
	v_mul_lo_u32 v23, v9, s23
	v_mul_lo_u32 v24, v10, s22
	s_mov_b32 s33, 0
	s_delay_alu instid0(VALU_DEP_4) | instskip(NEXT) | instid1(VALU_DEP_2)
	v_add3_u32 v18, v22, v18, v21
	v_add3_u32 v20, v24, v20, v23
	s_clause 0x1
	global_load_u8 v21, v[17:18], off
	global_load_u8 v22, v[19:20], off
	s_waitcnt vmcnt(1)
	v_cmp_ne_u16_e32 vcc_lo, 0, v21
	s_waitcnt vmcnt(0)
	v_cmp_ne_u16_e64 s2, 0, v22
	s_delay_alu instid0(VALU_DEP_1) | instskip(SKIP_2) | instid1(SALU_CYCLE_1)
	s_xor_b32 s3, vcc_lo, s2
	s_mov_b32 s2, -1
	s_xor_b32 s3, s3, -1
	s_and_saveexec_b32 s30, s3
	s_cbranch_execz .LBB1073_151
; %bb.145:
	s_mov_b64 s[6:7], 1
                                        ; implicit-def: $sgpr34
	s_set_inst_prefetch_distance 0x1
	s_branch .LBB1073_148
	.p2align	6
.LBB1073_146:                           ;   in Loop: Header=BB1073_148 Depth=1
	v_add_co_u32 v21, vcc_lo, v17, s6
	v_add_co_ci_u32_e32 v22, vcc_lo, s7, v18, vcc_lo
	v_add_co_u32 v23, vcc_lo, v19, s6
	v_add_co_ci_u32_e32 v24, vcc_lo, s7, v20, vcc_lo
	s_clause 0x1
	global_load_u8 v21, v[21:22], off
	global_load_u8 v22, v[23:24], off
	s_waitcnt vmcnt(1)
	v_cmp_ne_u16_e32 vcc_lo, 0, v21
	s_waitcnt vmcnt(0)
	v_cmp_ne_u16_e64 s2, 0, v22
	s_delay_alu instid0(VALU_DEP_1) | instskip(SKIP_4) | instid1(SALU_CYCLE_1)
	s_xor_b32 s35, vcc_lo, s2
	s_add_u32 s2, s6, 1
	s_addc_u32 s3, s7, 0
	s_and_not1_b32 s34, s34, exec_lo
	s_and_b32 s35, s35, exec_lo
	s_or_b32 s34, s34, s35
.LBB1073_147:                           ;   in Loop: Header=BB1073_148 Depth=1
	v_dual_mov_b32 v22, s7 :: v_dual_mov_b32 v21, s6
	s_and_b32 s35, exec_lo, s34
	s_mov_b64 s[6:7], s[2:3]
	s_or_b32 s33, s35, s33
	s_delay_alu instid0(SALU_CYCLE_1)
	s_and_not1_b32 exec_lo, exec_lo, s33
	s_cbranch_execz .LBB1073_150
.LBB1073_148:                           ; =>This Inner Loop Header: Depth=1
	s_or_b32 s34, s34, exec_lo
	s_cmp_eq_u64 s[22:23], s[6:7]
	s_cbranch_scc0 .LBB1073_146
; %bb.149:                              ;   in Loop: Header=BB1073_148 Depth=1
	s_mov_b64 s[6:7], s[22:23]
                                        ; implicit-def: $sgpr2_sgpr3
	s_branch .LBB1073_147
.LBB1073_150:
	s_set_inst_prefetch_distance 0x2
	s_or_b32 exec_lo, exec_lo, s33
	v_cmp_gt_i64_e32 vcc_lo, s[22:23], v[21:22]
	s_or_not1_b32 s2, vcc_lo, exec_lo
.LBB1073_151:
	s_or_b32 exec_lo, exec_lo, s30
	s_delay_alu instid0(SALU_CYCLE_1)
	s_and_b32 s30, s2, exec_lo
.LBB1073_152:
	s_or_b32 exec_lo, exec_lo, s31
	v_or_b32_e32 v17, 1, v39
	s_mov_b32 s3, -1
	s_mov_b32 s2, 0
	s_delay_alu instid0(VALU_DEP_1) | instskip(SKIP_1) | instid1(SALU_CYCLE_1)
	v_cmp_gt_u32_e32 vcc_lo, s20, v17
	s_and_b32 s6, vcc_lo, s24
	s_and_saveexec_b32 s31, s6
	s_cbranch_execz .LBB1073_161
; %bb.153:
	v_mad_u64_u32 v[17:18], null, v13, s22, s[8:9]
	s_waitcnt lgkmcnt(0)
	v_mul_lo_u32 v21, v13, s23
	v_mul_lo_u32 v22, v14, s22
	v_mad_u64_u32 v[19:20], null, v15, s22, s[8:9]
	v_mul_lo_u32 v23, v15, s23
	v_mul_lo_u32 v24, v16, s22
	s_mov_b32 s34, 0
	s_delay_alu instid0(VALU_DEP_4) | instskip(NEXT) | instid1(VALU_DEP_2)
	v_add3_u32 v18, v22, v18, v21
	v_add3_u32 v20, v24, v20, v23
	s_clause 0x1
	global_load_u8 v21, v[17:18], off
	global_load_u8 v22, v[19:20], off
	s_waitcnt vmcnt(1)
	v_cmp_ne_u16_e32 vcc_lo, 0, v21
	s_waitcnt vmcnt(0)
	v_cmp_ne_u16_e64 s2, 0, v22
	s_delay_alu instid0(VALU_DEP_1) | instskip(NEXT) | instid1(SALU_CYCLE_1)
	s_xor_b32 s2, vcc_lo, s2
	s_xor_b32 s2, s2, -1
	s_delay_alu instid0(SALU_CYCLE_1)
	s_and_saveexec_b32 s33, s2
	s_cbranch_execz .LBB1073_160
; %bb.154:
	s_mov_b64 s[6:7], 1
                                        ; implicit-def: $sgpr35
	s_set_inst_prefetch_distance 0x1
	s_branch .LBB1073_157
	.p2align	6
.LBB1073_155:                           ;   in Loop: Header=BB1073_157 Depth=1
	v_add_co_u32 v21, vcc_lo, v17, s6
	v_add_co_ci_u32_e32 v22, vcc_lo, s7, v18, vcc_lo
	v_add_co_u32 v23, vcc_lo, v19, s6
	v_add_co_ci_u32_e32 v24, vcc_lo, s7, v20, vcc_lo
	s_clause 0x1
	global_load_u8 v21, v[21:22], off
	global_load_u8 v22, v[23:24], off
	s_waitcnt vmcnt(1)
	v_cmp_ne_u16_e32 vcc_lo, 0, v21
	s_waitcnt vmcnt(0)
	v_cmp_ne_u16_e64 s2, 0, v22
	s_delay_alu instid0(VALU_DEP_1) | instskip(SKIP_4) | instid1(SALU_CYCLE_1)
	s_xor_b32 s36, vcc_lo, s2
	s_add_u32 s2, s6, 1
	s_addc_u32 s3, s7, 0
	s_and_not1_b32 s35, s35, exec_lo
	s_and_b32 s36, s36, exec_lo
	s_or_b32 s35, s35, s36
.LBB1073_156:                           ;   in Loop: Header=BB1073_157 Depth=1
	v_dual_mov_b32 v22, s7 :: v_dual_mov_b32 v21, s6
	s_and_b32 s36, exec_lo, s35
	s_mov_b64 s[6:7], s[2:3]
	s_or_b32 s34, s36, s34
	s_delay_alu instid0(SALU_CYCLE_1)
	s_and_not1_b32 exec_lo, exec_lo, s34
	s_cbranch_execz .LBB1073_159
.LBB1073_157:                           ; =>This Inner Loop Header: Depth=1
	s_or_b32 s35, s35, exec_lo
	s_cmp_eq_u64 s[22:23], s[6:7]
	s_cbranch_scc0 .LBB1073_155
; %bb.158:                              ;   in Loop: Header=BB1073_157 Depth=1
	s_mov_b64 s[6:7], s[22:23]
                                        ; implicit-def: $sgpr2_sgpr3
	s_branch .LBB1073_156
.LBB1073_159:
	s_set_inst_prefetch_distance 0x2
	s_or_b32 exec_lo, exec_lo, s34
	v_cmp_gt_i64_e32 vcc_lo, s[22:23], v[21:22]
	s_or_not1_b32 s3, vcc_lo, exec_lo
.LBB1073_160:
	s_or_b32 exec_lo, exec_lo, s33
	s_delay_alu instid0(SALU_CYCLE_1)
	s_and_b32 s2, s3, exec_lo
.LBB1073_161:
	s_or_b32 exec_lo, exec_lo, s31
	s_waitcnt lgkmcnt(0)
	v_dual_mov_b32 v20, s5 :: v_dual_mov_b32 v19, s4
	s_mov_b32 s3, exec_lo
	s_barrier
	buffer_gl0_inv
	v_cmpx_ne_u32_e32 0, v0
	s_cbranch_execz .LBB1073_163
; %bb.162:
	v_add_nc_u32_e32 v17, -8, v39
	ds_load_b64 v[19:20], v17
.LBB1073_163:
	s_or_b32 exec_lo, exec_lo, s3
	v_cndmask_b32_e64 v18, 0, 1, s29
	v_cndmask_b32_e64 v22, 0, 1, s27
	;; [unrolled: 1-line block ×7, first 2 shown]
	v_lshlrev_b16 v18, 8, v18
	v_lshlrev_b16 v22, 8, v22
	v_lshlrev_b16 v23, 8, v23
	v_cmp_gt_u32_e32 vcc_lo, s20, v39
	v_lshlrev_b16 v25, 8, v25
	v_or_b32_e32 v17, v17, v18
	v_or_b32_e32 v18, v21, v22
	;; [unrolled: 1-line block ×3, first 2 shown]
	s_mov_b32 s3, -1
	v_and_b32_e32 v23, 0xffff, v25
	v_lshlrev_b32_e32 v24, 16, v17
	v_and_b32_e32 v25, 0xffff, v18
	v_lshlrev_b32_e32 v26, 16, v21
	s_and_b32 s4, vcc_lo, s24
	s_mov_b32 s2, 0
	s_and_saveexec_b32 s6, s4
	s_cbranch_execz .LBB1073_172
; %bb.164:
	s_waitcnt lgkmcnt(0)
	v_mad_u64_u32 v[17:18], null, v19, s22, s[8:9]
	v_mul_lo_u32 v21, v19, s23
	v_mul_lo_u32 v22, v20, s22
	v_mad_u64_u32 v[19:20], null, v13, s22, s[8:9]
	v_mul_lo_u32 v27, v13, s23
	v_mul_lo_u32 v28, v14, s22
	s_mov_b32 s24, 0
	s_delay_alu instid0(VALU_DEP_4) | instskip(NEXT) | instid1(VALU_DEP_2)
	v_add3_u32 v18, v22, v18, v21
	v_add3_u32 v20, v28, v20, v27
	s_clause 0x1
	global_load_u8 v21, v[17:18], off
	global_load_u8 v22, v[19:20], off
	s_waitcnt vmcnt(1)
	v_cmp_ne_u16_e32 vcc_lo, 0, v21
	s_waitcnt vmcnt(0)
	v_cmp_ne_u16_e64 s2, 0, v22
	s_delay_alu instid0(VALU_DEP_1) | instskip(NEXT) | instid1(SALU_CYCLE_1)
	s_xor_b32 s2, vcc_lo, s2
	s_xor_b32 s2, s2, -1
	s_delay_alu instid0(SALU_CYCLE_1)
	s_and_saveexec_b32 s7, s2
	s_cbranch_execz .LBB1073_171
; %bb.165:
	s_mov_b64 s[4:5], 1
                                        ; implicit-def: $sgpr25
	s_set_inst_prefetch_distance 0x1
	s_branch .LBB1073_168
	.p2align	6
.LBB1073_166:                           ;   in Loop: Header=BB1073_168 Depth=1
	v_add_co_u32 v21, vcc_lo, v17, s4
	v_add_co_ci_u32_e32 v22, vcc_lo, s5, v18, vcc_lo
	v_add_co_u32 v27, vcc_lo, v19, s4
	v_add_co_ci_u32_e32 v28, vcc_lo, s5, v20, vcc_lo
	s_clause 0x1
	global_load_u8 v21, v[21:22], off
	global_load_u8 v22, v[27:28], off
	s_waitcnt vmcnt(1)
	v_cmp_ne_u16_e32 vcc_lo, 0, v21
	s_waitcnt vmcnt(0)
	v_cmp_ne_u16_e64 s2, 0, v22
	s_delay_alu instid0(VALU_DEP_1) | instskip(SKIP_4) | instid1(SALU_CYCLE_1)
	s_xor_b32 s26, vcc_lo, s2
	s_add_u32 s2, s4, 1
	s_addc_u32 s3, s5, 0
	s_and_not1_b32 s25, s25, exec_lo
	s_and_b32 s26, s26, exec_lo
	s_or_b32 s25, s25, s26
.LBB1073_167:                           ;   in Loop: Header=BB1073_168 Depth=1
	v_dual_mov_b32 v22, s5 :: v_dual_mov_b32 v21, s4
	s_and_b32 s26, exec_lo, s25
	s_mov_b64 s[4:5], s[2:3]
	s_or_b32 s24, s26, s24
	s_delay_alu instid0(SALU_CYCLE_1)
	s_and_not1_b32 exec_lo, exec_lo, s24
	s_cbranch_execz .LBB1073_170
.LBB1073_168:                           ; =>This Inner Loop Header: Depth=1
	s_or_b32 s25, s25, exec_lo
	s_cmp_eq_u64 s[22:23], s[4:5]
	s_cbranch_scc0 .LBB1073_166
; %bb.169:                              ;   in Loop: Header=BB1073_168 Depth=1
	s_mov_b64 s[4:5], s[22:23]
                                        ; implicit-def: $sgpr2_sgpr3
	s_branch .LBB1073_167
.LBB1073_170:
	s_set_inst_prefetch_distance 0x2
	s_or_b32 exec_lo, exec_lo, s24
	v_cmp_gt_i64_e32 vcc_lo, s[22:23], v[21:22]
	s_or_not1_b32 s3, vcc_lo, exec_lo
.LBB1073_171:
	s_or_b32 exec_lo, exec_lo, s7
	s_delay_alu instid0(SALU_CYCLE_1)
	s_and_b32 s2, s3, exec_lo
.LBB1073_172:
	s_or_b32 exec_lo, exec_lo, s6
	v_or_b32_e32 v17, v23, v24
	v_or_b32_e32 v18, v25, v26
.LBB1073_173:
	s_mov_b32 s6, -1
	s_cbranch_execnz .LBB1073_325
.LBB1073_174:
	v_cmp_lt_i64_e64 s7, s[22:23], 1
	v_cmp_gt_i64_e64 s2, s[22:23], 0
	s_and_b32 vcc_lo, exec_lo, s18
	ds_store_b64 v39, v[3:4]
	s_cbranch_vccz .LBB1073_182
; %bb.175:
	v_cndmask_b32_e64 v26, 0, 1, s2
	s_and_not1_b32 vcc_lo, exec_lo, s2
	s_cbranch_vccnz .LBB1073_183
; %bb.176:
	v_mad_u64_u32 v[17:18], null, v1, s22, s[8:9]
	s_waitcnt lgkmcnt(0)
	v_mul_lo_u32 v21, v1, s23
	v_mul_lo_u32 v22, v2, s22
	v_mad_u64_u32 v[19:20], null, v3, s22, s[8:9]
	v_mul_lo_u32 v23, v3, s23
	v_mul_lo_u32 v24, v4, s22
	s_mov_b32 s26, 0
	s_mov_b32 s24, -1
	s_delay_alu instid0(VALU_DEP_4) | instskip(NEXT) | instid1(VALU_DEP_2)
	v_add3_u32 v18, v22, v18, v21
	v_add3_u32 v20, v24, v20, v23
	s_clause 0x1
	global_load_u8 v21, v[17:18], off
	global_load_u8 v22, v[19:20], off
	s_waitcnt vmcnt(1)
	v_cmp_ne_u16_e32 vcc_lo, 0, v21
	s_waitcnt vmcnt(0)
	v_cmp_ne_u16_e64 s2, 0, v22
	s_delay_alu instid0(VALU_DEP_1) | instskip(NEXT) | instid1(SALU_CYCLE_1)
	s_xor_b32 s2, vcc_lo, s2
	s_xor_b32 s2, s2, -1
	s_delay_alu instid0(SALU_CYCLE_1)
	s_and_saveexec_b32 s25, s2
	s_cbranch_execz .LBB1073_185
; %bb.177:
	s_mov_b64 s[4:5], 1
                                        ; implicit-def: $sgpr24
	s_set_inst_prefetch_distance 0x1
	s_branch .LBB1073_180
	.p2align	6
.LBB1073_178:                           ;   in Loop: Header=BB1073_180 Depth=1
	v_add_co_u32 v21, s2, v17, s4
	s_delay_alu instid0(VALU_DEP_1) | instskip(SKIP_1) | instid1(VALU_DEP_1)
	v_add_co_ci_u32_e64 v22, s2, s5, v18, s2
	v_add_co_u32 v23, s2, v19, s4
	v_add_co_ci_u32_e64 v24, s2, s5, v20, s2
	s_clause 0x1
	global_load_u8 v21, v[21:22], off
	global_load_u8 v22, v[23:24], off
	s_waitcnt vmcnt(1)
	v_cmp_ne_u16_e64 s2, 0, v21
	s_waitcnt vmcnt(0)
	v_cmp_ne_u16_e64 s3, 0, v22
	s_delay_alu instid0(VALU_DEP_1) | instskip(SKIP_4) | instid1(SALU_CYCLE_1)
	s_xor_b32 s27, s2, s3
	s_add_u32 s2, s4, 1
	s_addc_u32 s3, s5, 0
	s_and_not1_b32 s24, s24, exec_lo
	s_and_b32 s27, s27, exec_lo
	s_or_b32 s24, s24, s27
.LBB1073_179:                           ;   in Loop: Header=BB1073_180 Depth=1
	v_dual_mov_b32 v22, s5 :: v_dual_mov_b32 v21, s4
	s_and_b32 s27, exec_lo, s24
	s_mov_b64 s[4:5], s[2:3]
	s_or_b32 s26, s27, s26
	s_delay_alu instid0(SALU_CYCLE_1)
	s_and_not1_b32 exec_lo, exec_lo, s26
	s_cbranch_execz .LBB1073_184
.LBB1073_180:                           ; =>This Inner Loop Header: Depth=1
	s_or_b32 s24, s24, exec_lo
	s_cmp_eq_u64 s[22:23], s[4:5]
	s_cbranch_scc0 .LBB1073_178
; %bb.181:                              ;   in Loop: Header=BB1073_180 Depth=1
	s_mov_b64 s[4:5], s[22:23]
                                        ; implicit-def: $sgpr2_sgpr3
	s_branch .LBB1073_179
.LBB1073_182:
                                        ; implicit-def: $sgpr2
                                        ; implicit-def: $vgpr18
	s_cbranch_execnz .LBB1073_250
	s_branch .LBB1073_325
.LBB1073_183:
	v_mov_b32_e32 v17, 0
	s_mov_b32 s2, 0
	s_branch .LBB1073_193
.LBB1073_184:
	s_set_inst_prefetch_distance 0x2
	s_or_b32 exec_lo, exec_lo, s26
	v_cmp_gt_i64_e64 s2, s[22:23], v[21:22]
	s_delay_alu instid0(VALU_DEP_1)
	s_or_not1_b32 s24, s2, exec_lo
.LBB1073_185:
	s_or_b32 exec_lo, exec_lo, s25
	v_mad_u64_u32 v[19:20], null, v7, s22, s[8:9]
	v_mul_lo_u32 v21, v7, s23
	v_mul_lo_u32 v22, v8, s22
	s_mov_b32 s26, 0
	s_delay_alu instid0(VALU_DEP_1) | instskip(SKIP_3) | instid1(VALU_DEP_1)
	v_add3_u32 v20, v22, v20, v21
	global_load_u8 v21, v[19:20], off
	s_waitcnt vmcnt(0)
	v_cmp_ne_u16_e64 s2, 0, v21
	s_xor_b32 s3, vcc_lo, s2
	s_mov_b32 s2, -1
	s_xor_b32 s3, s3, -1
	s_delay_alu instid0(SALU_CYCLE_1)
	s_and_saveexec_b32 s25, s3
	s_cbranch_execz .LBB1073_192
; %bb.186:
	s_mov_b64 s[4:5], 1
                                        ; implicit-def: $sgpr27
	s_set_inst_prefetch_distance 0x1
	s_branch .LBB1073_189
	.p2align	6
.LBB1073_187:                           ;   in Loop: Header=BB1073_189 Depth=1
	v_add_co_u32 v21, vcc_lo, v19, s4
	v_add_co_ci_u32_e32 v22, vcc_lo, s5, v20, vcc_lo
	v_add_co_u32 v23, vcc_lo, v17, s4
	v_add_co_ci_u32_e32 v24, vcc_lo, s5, v18, vcc_lo
	s_clause 0x1
	global_load_u8 v21, v[21:22], off
	global_load_u8 v22, v[23:24], off
	s_waitcnt vmcnt(1)
	v_cmp_ne_u16_e32 vcc_lo, 0, v21
	s_waitcnt vmcnt(0)
	v_cmp_ne_u16_e64 s2, 0, v22
	s_delay_alu instid0(VALU_DEP_1) | instskip(SKIP_4) | instid1(SALU_CYCLE_1)
	s_xor_b32 s28, vcc_lo, s2
	s_add_u32 s2, s4, 1
	s_addc_u32 s3, s5, 0
	s_and_not1_b32 s27, s27, exec_lo
	s_and_b32 s28, s28, exec_lo
	s_or_b32 s27, s27, s28
.LBB1073_188:                           ;   in Loop: Header=BB1073_189 Depth=1
	v_dual_mov_b32 v22, s5 :: v_dual_mov_b32 v21, s4
	s_and_b32 s28, exec_lo, s27
	s_mov_b64 s[4:5], s[2:3]
	s_or_b32 s26, s28, s26
	s_delay_alu instid0(SALU_CYCLE_1)
	s_and_not1_b32 exec_lo, exec_lo, s26
	s_cbranch_execz .LBB1073_191
.LBB1073_189:                           ; =>This Inner Loop Header: Depth=1
	s_or_b32 s27, s27, exec_lo
	s_cmp_eq_u64 s[22:23], s[4:5]
	s_cbranch_scc0 .LBB1073_187
; %bb.190:                              ;   in Loop: Header=BB1073_189 Depth=1
	s_mov_b64 s[4:5], s[22:23]
                                        ; implicit-def: $sgpr2_sgpr3
	s_branch .LBB1073_188
.LBB1073_191:
	s_set_inst_prefetch_distance 0x2
	s_or_b32 exec_lo, exec_lo, s26
	v_cmp_gt_i64_e32 vcc_lo, s[22:23], v[21:22]
	s_or_not1_b32 s2, vcc_lo, exec_lo
.LBB1073_192:
	s_or_b32 exec_lo, exec_lo, s25
	v_cndmask_b32_e64 v17, 0, 1, s24
.LBB1073_193:
	v_and_b32_e32 v18, 0xff, v0
	s_waitcnt lgkmcnt(0)
	v_lshlrev_b16 v19, 8, v0
	v_and_b32_e32 v20, 0xff, v0
	v_lshlrev_b16 v21, 8, v0
	v_and_b32_e32 v22, 0xff, v0
	v_lshlrev_b16 v23, 8, v0
	v_lshlrev_b16 v17, 8, v17
	v_cndmask_b32_e64 v24, 0, 1, s2
	v_or_b32_e32 v18, v18, v19
	v_or_b32_e32 v19, v20, v21
	;; [unrolled: 1-line block ×3, first 2 shown]
	v_cmp_ne_u32_e32 vcc_lo, 1, v26
	v_or_b32_e32 v17, v24, v17
	v_and_b32_e32 v18, 0xffff, v18
	v_lshlrev_b32_e32 v19, 16, v19
	v_and_b32_e32 v20, 0xffff, v20
	s_delay_alu instid0(VALU_DEP_4) | instskip(NEXT) | instid1(VALU_DEP_3)
	v_lshlrev_b32_e32 v17, 16, v17
	v_or_b32_e32 v27, v18, v19
	s_delay_alu instid0(VALU_DEP_2)
	v_or_b32_e32 v24, v20, v17
	s_cbranch_vccnz .LBB1073_200
; %bb.194:
	v_mad_u64_u32 v[17:18], null, v5, s22, s[8:9]
	v_mul_lo_u32 v21, v5, s23
	v_mul_lo_u32 v22, v6, s22
	v_mad_u64_u32 v[19:20], null, v7, s22, s[8:9]
	v_mul_lo_u32 v23, v7, s23
	v_mul_lo_u32 v25, v8, s22
	s_mov_b32 s25, 0
	s_delay_alu instid0(VALU_DEP_4) | instskip(NEXT) | instid1(VALU_DEP_2)
	v_add3_u32 v18, v22, v18, v21
	v_add3_u32 v20, v25, v20, v23
	s_clause 0x1
	global_load_u8 v21, v[17:18], off
	global_load_u8 v22, v[19:20], off
	s_waitcnt vmcnt(1)
	v_cmp_ne_u16_e32 vcc_lo, 0, v21
	s_waitcnt vmcnt(0)
	v_cmp_ne_u16_e64 s2, 0, v22
	s_delay_alu instid0(VALU_DEP_1) | instskip(SKIP_2) | instid1(SALU_CYCLE_1)
	s_xor_b32 s3, vcc_lo, s2
	s_mov_b32 s2, -1
	s_xor_b32 s3, s3, -1
	s_and_saveexec_b32 s24, s3
	s_cbranch_execz .LBB1073_202
; %bb.195:
	s_mov_b64 s[4:5], 1
                                        ; implicit-def: $sgpr26
	s_set_inst_prefetch_distance 0x1
	s_branch .LBB1073_198
	.p2align	6
.LBB1073_196:                           ;   in Loop: Header=BB1073_198 Depth=1
	v_add_co_u32 v21, s2, v17, s4
	s_delay_alu instid0(VALU_DEP_1) | instskip(SKIP_1) | instid1(VALU_DEP_1)
	v_add_co_ci_u32_e64 v22, s2, s5, v18, s2
	v_add_co_u32 v28, s2, v19, s4
	v_add_co_ci_u32_e64 v29, s2, s5, v20, s2
	s_clause 0x1
	global_load_u8 v21, v[21:22], off
	global_load_u8 v22, v[28:29], off
	s_waitcnt vmcnt(1)
	v_cmp_ne_u16_e64 s2, 0, v21
	s_waitcnt vmcnt(0)
	v_cmp_ne_u16_e64 s3, 0, v22
	s_delay_alu instid0(VALU_DEP_1) | instskip(SKIP_4) | instid1(SALU_CYCLE_1)
	s_xor_b32 s27, s2, s3
	s_add_u32 s2, s4, 1
	s_addc_u32 s3, s5, 0
	s_and_not1_b32 s26, s26, exec_lo
	s_and_b32 s27, s27, exec_lo
	s_or_b32 s26, s26, s27
.LBB1073_197:                           ;   in Loop: Header=BB1073_198 Depth=1
	v_dual_mov_b32 v22, s5 :: v_dual_mov_b32 v21, s4
	s_and_b32 s27, exec_lo, s26
	s_mov_b64 s[4:5], s[2:3]
	s_or_b32 s25, s27, s25
	s_delay_alu instid0(SALU_CYCLE_1)
	s_and_not1_b32 exec_lo, exec_lo, s25
	s_cbranch_execz .LBB1073_201
.LBB1073_198:                           ; =>This Inner Loop Header: Depth=1
	s_or_b32 s26, s26, exec_lo
	s_cmp_eq_u64 s[22:23], s[4:5]
	s_cbranch_scc0 .LBB1073_196
; %bb.199:                              ;   in Loop: Header=BB1073_198 Depth=1
	s_mov_b64 s[4:5], s[22:23]
                                        ; implicit-def: $sgpr2_sgpr3
	s_branch .LBB1073_197
.LBB1073_200:
                                        ; implicit-def: $sgpr2
                                        ; implicit-def: $vgpr18_vgpr19
	s_cbranch_execnz .LBB1073_210
	s_branch .LBB1073_211
.LBB1073_201:
	s_set_inst_prefetch_distance 0x2
	s_or_b32 exec_lo, exec_lo, s25
	v_cmp_gt_i64_e64 s2, s[22:23], v[21:22]
	s_delay_alu instid0(VALU_DEP_1)
	s_or_not1_b32 s2, s2, exec_lo
.LBB1073_202:
	s_or_b32 exec_lo, exec_lo, s24
	v_mad_u64_u32 v[20:21], null, v11, s22, s[8:9]
	v_mul_lo_u32 v19, v11, s23
	v_mul_lo_u32 v22, v12, s22
	v_and_b32_e32 v23, 0xff, v24
	s_mov_b32 s24, 0
	s_delay_alu instid0(VALU_DEP_2) | instskip(SKIP_3) | instid1(VALU_DEP_1)
	v_add3_u32 v21, v22, v21, v19
	v_cndmask_b32_e64 v22, 0, 1, s2
	global_load_u8 v19, v[20:21], off
	v_lshlrev_b16 v22, 8, v22
	v_or_b32_e32 v22, v23, v22
	s_delay_alu instid0(VALU_DEP_1) | instskip(SKIP_2) | instid1(VALU_DEP_2)
	v_and_b32_e32 v22, 0xffff, v22
	s_waitcnt vmcnt(0)
	v_cmp_ne_u16_e64 s2, 0, v19
	v_and_or_b32 v19, 0xffff0000, v24, v22
	s_delay_alu instid0(VALU_DEP_2) | instskip(SKIP_2) | instid1(SALU_CYCLE_1)
	s_xor_b32 s3, vcc_lo, s2
	s_mov_b32 s2, -1
	s_xor_b32 s3, s3, -1
	s_and_saveexec_b32 s25, s3
	s_cbranch_execz .LBB1073_209
; %bb.203:
	s_mov_b64 s[4:5], 1
	s_mov_b32 s26, 0
                                        ; implicit-def: $sgpr27
	s_set_inst_prefetch_distance 0x1
	s_branch .LBB1073_206
	.p2align	6
.LBB1073_204:                           ;   in Loop: Header=BB1073_206 Depth=1
	v_add_co_u32 v22, vcc_lo, v20, s4
	v_add_co_ci_u32_e32 v23, vcc_lo, s5, v21, vcc_lo
	v_add_co_u32 v28, vcc_lo, v17, s4
	v_add_co_ci_u32_e32 v29, vcc_lo, s5, v18, vcc_lo
	s_clause 0x1
	global_load_u8 v22, v[22:23], off
	global_load_u8 v23, v[28:29], off
	s_waitcnt vmcnt(1)
	v_cmp_ne_u16_e32 vcc_lo, 0, v22
	s_waitcnt vmcnt(0)
	v_cmp_ne_u16_e64 s2, 0, v23
	s_delay_alu instid0(VALU_DEP_1) | instskip(SKIP_4) | instid1(SALU_CYCLE_1)
	s_xor_b32 s28, vcc_lo, s2
	s_add_u32 s2, s4, 1
	s_addc_u32 s3, s5, 0
	s_and_not1_b32 s27, s27, exec_lo
	s_and_b32 s28, s28, exec_lo
	s_or_b32 s27, s27, s28
.LBB1073_205:                           ;   in Loop: Header=BB1073_206 Depth=1
	v_dual_mov_b32 v23, s5 :: v_dual_mov_b32 v22, s4
	s_and_b32 s28, exec_lo, s27
	s_mov_b64 s[4:5], s[2:3]
	s_or_b32 s26, s28, s26
	s_delay_alu instid0(SALU_CYCLE_1)
	s_and_not1_b32 exec_lo, exec_lo, s26
	s_cbranch_execz .LBB1073_208
.LBB1073_206:                           ; =>This Inner Loop Header: Depth=1
	s_or_b32 s27, s27, exec_lo
	s_cmp_eq_u64 s[22:23], s[4:5]
	s_cbranch_scc0 .LBB1073_204
; %bb.207:                              ;   in Loop: Header=BB1073_206 Depth=1
	s_mov_b64 s[4:5], s[22:23]
                                        ; implicit-def: $sgpr2_sgpr3
	s_branch .LBB1073_205
.LBB1073_208:
	s_set_inst_prefetch_distance 0x2
	s_or_b32 exec_lo, exec_lo, s26
	v_cmp_gt_i64_e32 vcc_lo, s[22:23], v[22:23]
	s_or_not1_b32 s2, vcc_lo, exec_lo
.LBB1073_209:
	s_or_b32 exec_lo, exec_lo, s25
	s_delay_alu instid0(SALU_CYCLE_1)
	s_and_b32 vcc_lo, exec_lo, s24
	s_cbranch_vccz .LBB1073_211
.LBB1073_210:
	s_delay_alu instid0(VALU_DEP_1)
	v_and_b32_e32 v19, 0xffff00ff, v24
	s_and_not1_b32 s2, s2, exec_lo
.LBB1073_211:
	s_delay_alu instid0(VALU_DEP_1) | instskip(SKIP_2) | instid1(VALU_DEP_2)
	v_and_b32_e32 v17, 0xffffff00, v19
	v_cndmask_b32_e64 v18, 0, 1, s2
	v_cmp_ne_u32_e32 vcc_lo, 1, v26
	v_or_b32_e32 v17, v18, v17
	s_delay_alu instid0(VALU_DEP_1) | instskip(NEXT) | instid1(VALU_DEP_1)
	v_and_b32_e32 v17, 0xffff, v17
	v_and_or_b32 v18, 0xffff0000, v19, v17
	s_cbranch_vccnz .LBB1073_218
; %bb.212:
	v_mad_u64_u32 v[20:21], null, v9, s22, s[8:9]
	v_mul_lo_u32 v17, v9, s23
	v_mul_lo_u32 v19, v10, s22
	v_mad_u64_u32 v[22:23], null, v11, s22, s[8:9]
	v_mul_lo_u32 v24, v11, s23
	v_mul_lo_u32 v25, v12, s22
	s_delay_alu instid0(VALU_DEP_4) | instskip(NEXT) | instid1(VALU_DEP_2)
	v_add3_u32 v21, v19, v21, v17
	v_add3_u32 v23, v25, v23, v24
	s_clause 0x1
	global_load_u8 v17, v[20:21], off
	global_load_u8 v19, v[22:23], off
	s_waitcnt vmcnt(1)
	v_cmp_ne_u16_e32 vcc_lo, 0, v17
	s_waitcnt vmcnt(0)
	v_cmp_ne_u16_e64 s2, 0, v19
	s_delay_alu instid0(VALU_DEP_1) | instskip(SKIP_2) | instid1(SALU_CYCLE_1)
	s_xor_b32 s3, vcc_lo, s2
	s_mov_b32 s2, -1
	s_xor_b32 s3, s3, -1
	s_and_saveexec_b32 s24, s3
	s_cbranch_execz .LBB1073_220
; %bb.213:
	s_mov_b64 s[4:5], 1
	s_mov_b32 s25, 0
                                        ; implicit-def: $sgpr26
	s_set_inst_prefetch_distance 0x1
	s_branch .LBB1073_216
	.p2align	6
.LBB1073_214:                           ;   in Loop: Header=BB1073_216 Depth=1
	v_add_co_u32 v24, s2, v20, s4
	s_delay_alu instid0(VALU_DEP_1) | instskip(SKIP_1) | instid1(VALU_DEP_1)
	v_add_co_ci_u32_e64 v25, s2, s5, v21, s2
	v_add_co_u32 v28, s2, v22, s4
	v_add_co_ci_u32_e64 v29, s2, s5, v23, s2
	s_clause 0x1
	global_load_u8 v17, v[24:25], off
	global_load_u8 v19, v[28:29], off
	s_waitcnt vmcnt(1)
	v_cmp_ne_u16_e64 s2, 0, v17
	s_waitcnt vmcnt(0)
	v_cmp_ne_u16_e64 s3, 0, v19
	s_delay_alu instid0(VALU_DEP_1) | instskip(SKIP_4) | instid1(SALU_CYCLE_1)
	s_xor_b32 s27, s2, s3
	s_add_u32 s2, s4, 1
	s_addc_u32 s3, s5, 0
	s_and_not1_b32 s26, s26, exec_lo
	s_and_b32 s27, s27, exec_lo
	s_or_b32 s26, s26, s27
.LBB1073_215:                           ;   in Loop: Header=BB1073_216 Depth=1
	v_dual_mov_b32 v25, s5 :: v_dual_mov_b32 v24, s4
	s_and_b32 s27, exec_lo, s26
	s_mov_b64 s[4:5], s[2:3]
	s_or_b32 s25, s27, s25
	s_delay_alu instid0(SALU_CYCLE_1)
	s_and_not1_b32 exec_lo, exec_lo, s25
	s_cbranch_execz .LBB1073_219
.LBB1073_216:                           ; =>This Inner Loop Header: Depth=1
	s_or_b32 s26, s26, exec_lo
	s_cmp_eq_u64 s[22:23], s[4:5]
	s_cbranch_scc0 .LBB1073_214
; %bb.217:                              ;   in Loop: Header=BB1073_216 Depth=1
	s_mov_b64 s[4:5], s[22:23]
                                        ; implicit-def: $sgpr2_sgpr3
	s_branch .LBB1073_215
.LBB1073_218:
                                        ; implicit-def: $sgpr24
                                        ; implicit-def: $vgpr19_vgpr20
	s_cbranch_execnz .LBB1073_228
	s_branch .LBB1073_229
.LBB1073_219:
	s_set_inst_prefetch_distance 0x2
	s_or_b32 exec_lo, exec_lo, s25
	v_cmp_gt_i64_e64 s2, s[22:23], v[24:25]
	s_delay_alu instid0(VALU_DEP_1)
	s_or_not1_b32 s2, s2, exec_lo
.LBB1073_220:
	s_or_b32 exec_lo, exec_lo, s24
	v_mad_u64_u32 v[22:23], null, v15, s22, s[8:9]
	v_mul_lo_u32 v17, v15, s23
	v_mul_lo_u32 v19, v16, s22
	v_cndmask_b32_e64 v24, 0, 1, s2
	s_mov_b32 s25, 0
	s_mov_b32 s24, -1
	s_delay_alu instid0(VALU_DEP_1) | instskip(NEXT) | instid1(VALU_DEP_3)
	v_lshlrev_b16 v24, 8, v24
	v_add3_u32 v23, v19, v23, v17
	v_lshrrev_b32_e32 v19, 16, v27
	global_load_u8 v17, v[22:23], off
	v_and_b32_e32 v19, 0xff, v19
	s_delay_alu instid0(VALU_DEP_1) | instskip(NEXT) | instid1(VALU_DEP_1)
	v_or_b32_e32 v19, v19, v24
	v_lshlrev_b32_e32 v19, 16, v19
	s_delay_alu instid0(VALU_DEP_1) | instskip(SKIP_2) | instid1(VALU_DEP_1)
	v_and_or_b32 v19, 0xffff, v27, v19
	s_waitcnt vmcnt(0)
	v_cmp_ne_u16_e64 s2, 0, v17
	s_xor_b32 s2, vcc_lo, s2
	s_delay_alu instid0(SALU_CYCLE_1) | instskip(NEXT) | instid1(SALU_CYCLE_1)
	s_xor_b32 s2, s2, -1
	s_and_saveexec_b32 s26, s2
	s_cbranch_execz .LBB1073_227
; %bb.221:
	s_mov_b64 s[4:5], 1
	s_mov_b32 s24, 0
                                        ; implicit-def: $sgpr27
	s_set_inst_prefetch_distance 0x1
	s_branch .LBB1073_224
	.p2align	6
.LBB1073_222:                           ;   in Loop: Header=BB1073_224 Depth=1
	v_add_co_u32 v24, vcc_lo, v22, s4
	v_add_co_ci_u32_e32 v25, vcc_lo, s5, v23, vcc_lo
	v_add_co_u32 v28, vcc_lo, v20, s4
	v_add_co_ci_u32_e32 v29, vcc_lo, s5, v21, vcc_lo
	s_clause 0x1
	global_load_u8 v17, v[24:25], off
	global_load_u8 v24, v[28:29], off
	s_waitcnt vmcnt(1)
	v_cmp_ne_u16_e32 vcc_lo, 0, v17
	s_waitcnt vmcnt(0)
	v_cmp_ne_u16_e64 s2, 0, v24
	s_delay_alu instid0(VALU_DEP_1) | instskip(SKIP_4) | instid1(SALU_CYCLE_1)
	s_xor_b32 s28, vcc_lo, s2
	s_add_u32 s2, s4, 1
	s_addc_u32 s3, s5, 0
	s_and_not1_b32 s27, s27, exec_lo
	s_and_b32 s28, s28, exec_lo
	s_or_b32 s27, s27, s28
.LBB1073_223:                           ;   in Loop: Header=BB1073_224 Depth=1
	v_dual_mov_b32 v25, s5 :: v_dual_mov_b32 v24, s4
	s_and_b32 s28, exec_lo, s27
	s_mov_b64 s[4:5], s[2:3]
	s_or_b32 s24, s28, s24
	s_delay_alu instid0(SALU_CYCLE_1)
	s_and_not1_b32 exec_lo, exec_lo, s24
	s_cbranch_execz .LBB1073_226
.LBB1073_224:                           ; =>This Inner Loop Header: Depth=1
	s_or_b32 s27, s27, exec_lo
	s_cmp_eq_u64 s[22:23], s[4:5]
	s_cbranch_scc0 .LBB1073_222
; %bb.225:                              ;   in Loop: Header=BB1073_224 Depth=1
	s_mov_b64 s[4:5], s[22:23]
                                        ; implicit-def: $sgpr2_sgpr3
	s_branch .LBB1073_223
.LBB1073_226:
	s_set_inst_prefetch_distance 0x2
	s_or_b32 exec_lo, exec_lo, s24
	v_cmp_gt_i64_e32 vcc_lo, s[22:23], v[24:25]
	s_or_not1_b32 s24, vcc_lo, exec_lo
.LBB1073_227:
	s_or_b32 exec_lo, exec_lo, s26
	s_delay_alu instid0(SALU_CYCLE_1)
	s_and_b32 vcc_lo, exec_lo, s25
	s_cbranch_vccz .LBB1073_229
.LBB1073_228:
	v_and_b32_e32 v19, 0xffffff, v27
	s_and_not1_b32 s24, s24, exec_lo
.LBB1073_229:
	v_cmp_ne_u32_e32 vcc_lo, 1, v26
	s_mov_b32 s2, 0
	s_cbranch_vccnz .LBB1073_238
; %bb.230:
	v_mad_u64_u32 v[20:21], null, v13, s22, s[8:9]
	v_mul_lo_u32 v17, v13, s23
	v_mul_lo_u32 v24, v14, s22
	v_mad_u64_u32 v[22:23], null, v15, s22, s[8:9]
	v_mul_lo_u32 v25, v15, s23
	v_mul_lo_u32 v27, v16, s22
	s_mov_b32 s26, 0
	s_delay_alu instid0(VALU_DEP_4) | instskip(NEXT) | instid1(VALU_DEP_2)
	v_add3_u32 v21, v24, v21, v17
	v_add3_u32 v23, v27, v23, v25
	s_clause 0x1
	global_load_u8 v17, v[20:21], off
	global_load_u8 v24, v[22:23], off
	s_waitcnt vmcnt(1)
	v_cmp_ne_u16_e32 vcc_lo, 0, v17
	s_waitcnt vmcnt(0)
	v_cmp_ne_u16_e64 s2, 0, v24
	s_delay_alu instid0(VALU_DEP_1) | instskip(SKIP_2) | instid1(SALU_CYCLE_1)
	s_xor_b32 s3, vcc_lo, s2
	s_mov_b32 s2, -1
	s_xor_b32 s3, s3, -1
	s_and_saveexec_b32 s25, s3
	s_cbranch_execz .LBB1073_237
; %bb.231:
	s_mov_b64 s[4:5], 1
                                        ; implicit-def: $sgpr27
	s_set_inst_prefetch_distance 0x1
	s_branch .LBB1073_234
	.p2align	6
.LBB1073_232:                           ;   in Loop: Header=BB1073_234 Depth=1
	v_add_co_u32 v24, vcc_lo, v20, s4
	v_add_co_ci_u32_e32 v25, vcc_lo, s5, v21, vcc_lo
	v_add_co_u32 v27, vcc_lo, v22, s4
	v_add_co_ci_u32_e32 v28, vcc_lo, s5, v23, vcc_lo
	s_clause 0x1
	global_load_u8 v17, v[24:25], off
	global_load_u8 v24, v[27:28], off
	s_waitcnt vmcnt(1)
	v_cmp_ne_u16_e32 vcc_lo, 0, v17
	s_waitcnt vmcnt(0)
	v_cmp_ne_u16_e64 s2, 0, v24
	s_delay_alu instid0(VALU_DEP_1) | instskip(SKIP_4) | instid1(SALU_CYCLE_1)
	s_xor_b32 s28, vcc_lo, s2
	s_add_u32 s2, s4, 1
	s_addc_u32 s3, s5, 0
	s_and_not1_b32 s27, s27, exec_lo
	s_and_b32 s28, s28, exec_lo
	s_or_b32 s27, s27, s28
.LBB1073_233:                           ;   in Loop: Header=BB1073_234 Depth=1
	v_dual_mov_b32 v25, s5 :: v_dual_mov_b32 v24, s4
	s_and_b32 s28, exec_lo, s27
	s_mov_b64 s[4:5], s[2:3]
	s_or_b32 s26, s28, s26
	s_delay_alu instid0(SALU_CYCLE_1)
	s_and_not1_b32 exec_lo, exec_lo, s26
	s_cbranch_execz .LBB1073_236
.LBB1073_234:                           ; =>This Inner Loop Header: Depth=1
	s_or_b32 s27, s27, exec_lo
	s_cmp_eq_u64 s[22:23], s[4:5]
	s_cbranch_scc0 .LBB1073_232
; %bb.235:                              ;   in Loop: Header=BB1073_234 Depth=1
	s_mov_b64 s[4:5], s[22:23]
                                        ; implicit-def: $sgpr2_sgpr3
	s_branch .LBB1073_233
.LBB1073_236:
	s_set_inst_prefetch_distance 0x2
	s_or_b32 exec_lo, exec_lo, s26
	v_cmp_gt_i64_e32 vcc_lo, s[22:23], v[24:25]
	s_or_not1_b32 s2, vcc_lo, exec_lo
.LBB1073_237:
	s_or_b32 exec_lo, exec_lo, s25
.LBB1073_238:
	v_cndmask_b32_e64 v17, 0, 1, s2
	v_lshrrev_b32_e32 v19, 16, v19
	v_cndmask_b32_e64 v20, 0, 1, s24
	s_barrier
	s_delay_alu instid0(VALU_DEP_3) | instskip(NEXT) | instid1(VALU_DEP_3)
	v_lshlrev_b16 v17, 8, v17
	v_and_b32_e32 v19, 0xffffff00, v19
	buffer_gl0_inv
                                        ; implicit-def: $sgpr2
	s_mov_b32 s3, exec_lo
	v_or_b32_e32 v17, 1, v17
	v_or_b32_e32 v19, v20, v19
	s_delay_alu instid0(VALU_DEP_2) | instskip(NEXT) | instid1(VALU_DEP_2)
	v_and_b32_e32 v17, 0xffff, v17
	v_lshlrev_b32_e32 v19, 16, v19
	s_delay_alu instid0(VALU_DEP_1)
	v_or_b32_e32 v17, v17, v19
	v_cmpx_ne_u32_e32 0, v0
	s_xor_b32 s24, exec_lo, s3
	s_cbranch_execz .LBB1073_249
; %bb.239:
	v_cmp_ne_u32_e32 vcc_lo, 1, v26
	s_mov_b32 s2, 0
	s_cbranch_vccnz .LBB1073_248
; %bb.240:
	v_add_nc_u32_e32 v19, -8, v39
	v_mul_lo_u32 v25, v13, s23
	s_mov_b32 s26, 0
	ds_load_b64 v[23:24], v19
	v_mad_u64_u32 v[19:20], null, v13, s22, s[8:9]
	s_waitcnt lgkmcnt(0)
	v_mul_lo_u32 v26, v23, s23
	v_mul_lo_u32 v24, v24, s22
	v_mad_u64_u32 v[21:22], null, v23, s22, s[8:9]
	v_mul_lo_u32 v23, v14, s22
	s_delay_alu instid0(VALU_DEP_2) | instskip(NEXT) | instid1(VALU_DEP_2)
	v_add3_u32 v22, v24, v22, v26
	v_add3_u32 v20, v23, v20, v25
	s_clause 0x1
	global_load_u8 v23, v[21:22], off
	global_load_u8 v24, v[19:20], off
	s_waitcnt vmcnt(1)
	v_cmp_ne_u16_e32 vcc_lo, 0, v23
	s_waitcnt vmcnt(0)
	v_cmp_ne_u16_e64 s2, 0, v24
	s_delay_alu instid0(VALU_DEP_1) | instskip(SKIP_2) | instid1(SALU_CYCLE_1)
	s_xor_b32 s3, vcc_lo, s2
	s_mov_b32 s2, -1
	s_xor_b32 s3, s3, -1
	s_and_saveexec_b32 s25, s3
	s_cbranch_execz .LBB1073_247
; %bb.241:
	s_mov_b64 s[4:5], 1
                                        ; implicit-def: $sgpr27
	s_set_inst_prefetch_distance 0x1
	s_branch .LBB1073_244
	.p2align	6
.LBB1073_242:                           ;   in Loop: Header=BB1073_244 Depth=1
	v_add_co_u32 v23, vcc_lo, v21, s4
	v_add_co_ci_u32_e32 v24, vcc_lo, s5, v22, vcc_lo
	v_add_co_u32 v25, vcc_lo, v19, s4
	v_add_co_ci_u32_e32 v26, vcc_lo, s5, v20, vcc_lo
	s_clause 0x1
	global_load_u8 v23, v[23:24], off
	global_load_u8 v24, v[25:26], off
	s_waitcnt vmcnt(1)
	v_cmp_ne_u16_e32 vcc_lo, 0, v23
	s_waitcnt vmcnt(0)
	v_cmp_ne_u16_e64 s2, 0, v24
	s_delay_alu instid0(VALU_DEP_1) | instskip(SKIP_4) | instid1(SALU_CYCLE_1)
	s_xor_b32 s28, vcc_lo, s2
	s_add_u32 s2, s4, 1
	s_addc_u32 s3, s5, 0
	s_and_not1_b32 s27, s27, exec_lo
	s_and_b32 s28, s28, exec_lo
	s_or_b32 s27, s27, s28
.LBB1073_243:                           ;   in Loop: Header=BB1073_244 Depth=1
	v_dual_mov_b32 v24, s5 :: v_dual_mov_b32 v23, s4
	s_and_b32 s28, exec_lo, s27
	s_mov_b64 s[4:5], s[2:3]
	s_or_b32 s26, s28, s26
	s_delay_alu instid0(SALU_CYCLE_1)
	s_and_not1_b32 exec_lo, exec_lo, s26
	s_cbranch_execz .LBB1073_246
.LBB1073_244:                           ; =>This Inner Loop Header: Depth=1
	s_or_b32 s27, s27, exec_lo
	s_cmp_eq_u64 s[22:23], s[4:5]
	s_cbranch_scc0 .LBB1073_242
; %bb.245:                              ;   in Loop: Header=BB1073_244 Depth=1
	s_mov_b64 s[4:5], s[22:23]
                                        ; implicit-def: $sgpr2_sgpr3
	s_branch .LBB1073_243
.LBB1073_246:
	s_set_inst_prefetch_distance 0x2
	s_or_b32 exec_lo, exec_lo, s26
	v_cmp_gt_i64_e32 vcc_lo, s[22:23], v[23:24]
	s_or_not1_b32 s2, vcc_lo, exec_lo
.LBB1073_247:
	s_or_b32 exec_lo, exec_lo, s25
.LBB1073_248:
	s_delay_alu instid0(SALU_CYCLE_1)
	s_and_b32 s2, s2, exec_lo
	s_or_b32 s6, s6, exec_lo
.LBB1073_249:
	s_or_b32 exec_lo, exec_lo, s24
	s_branch .LBB1073_325
.LBB1073_250:
	v_or_b32_e32 v17, 7, v39
	v_mul_lo_u32 v24, v1, s23
	v_mul_lo_u32 v26, v2, s22
	s_xor_b32 s7, s7, -1
	s_mov_b32 s3, -1
	v_cmp_gt_u32_e32 vcc_lo, s20, v17
	s_mov_b32 s24, 0
	s_mov_b32 s25, 0
	s_and_b32 s2, vcc_lo, s7
	s_delay_alu instid0(SALU_CYCLE_1)
	s_and_saveexec_b32 s26, s2
	s_cbranch_execz .LBB1073_259
; %bb.251:
	v_mad_u64_u32 v[17:18], null, v1, s22, s[8:9]
	s_waitcnt lgkmcnt(0)
	v_mad_u64_u32 v[19:20], null, v3, s22, s[8:9]
	v_mul_lo_u32 v21, v3, s23
	v_mul_lo_u32 v22, v4, s22
	s_mov_b32 s27, 0
	s_delay_alu instid0(VALU_DEP_4) | instskip(NEXT) | instid1(VALU_DEP_2)
	v_add3_u32 v18, v26, v18, v24
	v_add3_u32 v20, v22, v20, v21
	s_clause 0x1
	global_load_u8 v21, v[17:18], off
	global_load_u8 v22, v[19:20], off
	s_waitcnt vmcnt(1)
	v_cmp_ne_u16_e32 vcc_lo, 0, v21
	s_waitcnt vmcnt(0)
	v_cmp_ne_u16_e64 s2, 0, v22
	s_delay_alu instid0(VALU_DEP_1) | instskip(NEXT) | instid1(SALU_CYCLE_1)
	s_xor_b32 s2, vcc_lo, s2
	s_xor_b32 s2, s2, -1
	s_delay_alu instid0(SALU_CYCLE_1)
	s_and_saveexec_b32 s25, s2
	s_cbranch_execz .LBB1073_258
; %bb.252:
	s_mov_b64 s[4:5], 1
                                        ; implicit-def: $sgpr28
	s_set_inst_prefetch_distance 0x1
	s_branch .LBB1073_255
	.p2align	6
.LBB1073_253:                           ;   in Loop: Header=BB1073_255 Depth=1
	v_add_co_u32 v21, vcc_lo, v17, s4
	v_add_co_ci_u32_e32 v22, vcc_lo, s5, v18, vcc_lo
	v_add_co_u32 v27, vcc_lo, v19, s4
	v_add_co_ci_u32_e32 v28, vcc_lo, s5, v20, vcc_lo
	s_clause 0x1
	global_load_u8 v21, v[21:22], off
	global_load_u8 v22, v[27:28], off
	s_waitcnt vmcnt(1)
	v_cmp_ne_u16_e32 vcc_lo, 0, v21
	s_waitcnt vmcnt(0)
	v_cmp_ne_u16_e64 s2, 0, v22
	s_delay_alu instid0(VALU_DEP_1) | instskip(SKIP_4) | instid1(SALU_CYCLE_1)
	s_xor_b32 s29, vcc_lo, s2
	s_add_u32 s2, s4, 1
	s_addc_u32 s3, s5, 0
	s_and_not1_b32 s28, s28, exec_lo
	s_and_b32 s29, s29, exec_lo
	s_or_b32 s28, s28, s29
.LBB1073_254:                           ;   in Loop: Header=BB1073_255 Depth=1
	v_dual_mov_b32 v22, s5 :: v_dual_mov_b32 v21, s4
	s_and_b32 s29, exec_lo, s28
	s_mov_b64 s[4:5], s[2:3]
	s_or_b32 s27, s29, s27
	s_delay_alu instid0(SALU_CYCLE_1)
	s_and_not1_b32 exec_lo, exec_lo, s27
	s_cbranch_execz .LBB1073_257
.LBB1073_255:                           ; =>This Inner Loop Header: Depth=1
	s_or_b32 s28, s28, exec_lo
	s_cmp_eq_u64 s[22:23], s[4:5]
	s_cbranch_scc0 .LBB1073_253
; %bb.256:                              ;   in Loop: Header=BB1073_255 Depth=1
	s_mov_b64 s[4:5], s[22:23]
                                        ; implicit-def: $sgpr2_sgpr3
	s_branch .LBB1073_254
.LBB1073_257:
	s_set_inst_prefetch_distance 0x2
	s_or_b32 exec_lo, exec_lo, s27
	v_cmp_gt_i64_e32 vcc_lo, s[22:23], v[21:22]
	s_or_not1_b32 s3, vcc_lo, exec_lo
.LBB1073_258:
	s_or_b32 exec_lo, exec_lo, s25
	s_delay_alu instid0(SALU_CYCLE_1)
	s_and_b32 s25, s3, exec_lo
.LBB1073_259:
	s_or_b32 exec_lo, exec_lo, s26
	v_or_b32_e32 v17, 6, v39
	v_mul_lo_u32 v23, v7, s23
	v_mul_lo_u32 v25, v8, s22
	s_delay_alu instid0(VALU_DEP_3) | instskip(SKIP_1) | instid1(SALU_CYCLE_1)
	v_cmp_gt_u32_e32 vcc_lo, s20, v17
	s_and_b32 s2, vcc_lo, s7
	s_and_saveexec_b32 s26, s2
	s_cbranch_execz .LBB1073_268
; %bb.260:
	v_mad_u64_u32 v[17:18], null, v7, s22, s[8:9]
	s_waitcnt lgkmcnt(0)
	v_mad_u64_u32 v[19:20], null, v1, s22, s[8:9]
	s_mov_b32 s27, 0
	s_delay_alu instid0(VALU_DEP_2) | instskip(NEXT) | instid1(VALU_DEP_2)
	v_add3_u32 v18, v25, v18, v23
	v_add3_u32 v20, v26, v20, v24
	s_clause 0x1
	global_load_u8 v21, v[17:18], off
	global_load_u8 v22, v[19:20], off
	s_waitcnt vmcnt(1)
	v_cmp_ne_u16_e32 vcc_lo, 0, v21
	s_waitcnt vmcnt(0)
	v_cmp_ne_u16_e64 s2, 0, v22
	s_delay_alu instid0(VALU_DEP_1) | instskip(SKIP_2) | instid1(SALU_CYCLE_1)
	s_xor_b32 s3, vcc_lo, s2
	s_mov_b32 s2, -1
	s_xor_b32 s3, s3, -1
	s_and_saveexec_b32 s24, s3
	s_cbranch_execz .LBB1073_267
; %bb.261:
	s_mov_b64 s[4:5], 1
                                        ; implicit-def: $sgpr28
	s_set_inst_prefetch_distance 0x1
	s_branch .LBB1073_264
	.p2align	6
.LBB1073_262:                           ;   in Loop: Header=BB1073_264 Depth=1
	v_add_co_u32 v21, vcc_lo, v17, s4
	v_add_co_ci_u32_e32 v22, vcc_lo, s5, v18, vcc_lo
	v_add_co_u32 v26, vcc_lo, v19, s4
	v_add_co_ci_u32_e32 v27, vcc_lo, s5, v20, vcc_lo
	s_clause 0x1
	global_load_u8 v21, v[21:22], off
	global_load_u8 v22, v[26:27], off
	s_waitcnt vmcnt(1)
	v_cmp_ne_u16_e32 vcc_lo, 0, v21
	s_waitcnt vmcnt(0)
	v_cmp_ne_u16_e64 s2, 0, v22
	s_delay_alu instid0(VALU_DEP_1) | instskip(SKIP_4) | instid1(SALU_CYCLE_1)
	s_xor_b32 s29, vcc_lo, s2
	s_add_u32 s2, s4, 1
	s_addc_u32 s3, s5, 0
	s_and_not1_b32 s28, s28, exec_lo
	s_and_b32 s29, s29, exec_lo
	s_or_b32 s28, s28, s29
.LBB1073_263:                           ;   in Loop: Header=BB1073_264 Depth=1
	v_dual_mov_b32 v22, s5 :: v_dual_mov_b32 v21, s4
	s_and_b32 s29, exec_lo, s28
	s_mov_b64 s[4:5], s[2:3]
	s_or_b32 s27, s29, s27
	s_delay_alu instid0(SALU_CYCLE_1)
	s_and_not1_b32 exec_lo, exec_lo, s27
	s_cbranch_execz .LBB1073_266
.LBB1073_264:                           ; =>This Inner Loop Header: Depth=1
	s_or_b32 s28, s28, exec_lo
	s_cmp_eq_u64 s[22:23], s[4:5]
	s_cbranch_scc0 .LBB1073_262
; %bb.265:                              ;   in Loop: Header=BB1073_264 Depth=1
	s_mov_b64 s[4:5], s[22:23]
                                        ; implicit-def: $sgpr2_sgpr3
	s_branch .LBB1073_263
.LBB1073_266:
	s_set_inst_prefetch_distance 0x2
	s_or_b32 exec_lo, exec_lo, s27
	v_cmp_gt_i64_e32 vcc_lo, s[22:23], v[21:22]
	s_or_not1_b32 s2, vcc_lo, exec_lo
.LBB1073_267:
	s_or_b32 exec_lo, exec_lo, s24
	s_delay_alu instid0(SALU_CYCLE_1)
	s_and_b32 s24, s2, exec_lo
.LBB1073_268:
	s_or_b32 exec_lo, exec_lo, s26
	v_or_b32_e32 v17, 5, v39
	v_mul_lo_u32 v26, v5, s23
	v_mul_lo_u32 v27, v6, s22
	s_mov_b32 s3, -1
	s_mov_b32 s26, 0
	v_cmp_gt_u32_e32 vcc_lo, s20, v17
	s_mov_b32 s27, 0
	s_and_b32 s2, vcc_lo, s7
	s_delay_alu instid0(SALU_CYCLE_1)
	s_and_saveexec_b32 s28, s2
	s_cbranch_execz .LBB1073_277
; %bb.269:
	v_mad_u64_u32 v[17:18], null, v5, s22, s[8:9]
	s_waitcnt lgkmcnt(0)
	v_mad_u64_u32 v[19:20], null, v7, s22, s[8:9]
	s_mov_b32 s29, 0
	s_delay_alu instid0(VALU_DEP_2) | instskip(NEXT) | instid1(VALU_DEP_2)
	v_add3_u32 v18, v27, v18, v26
	v_add3_u32 v20, v25, v20, v23
	s_clause 0x1
	global_load_u8 v21, v[17:18], off
	global_load_u8 v22, v[19:20], off
	s_waitcnt vmcnt(1)
	v_cmp_ne_u16_e32 vcc_lo, 0, v21
	s_waitcnt vmcnt(0)
	v_cmp_ne_u16_e64 s2, 0, v22
	s_delay_alu instid0(VALU_DEP_1) | instskip(NEXT) | instid1(SALU_CYCLE_1)
	s_xor_b32 s2, vcc_lo, s2
	s_xor_b32 s2, s2, -1
	s_delay_alu instid0(SALU_CYCLE_1)
	s_and_saveexec_b32 s27, s2
	s_cbranch_execz .LBB1073_276
; %bb.270:
	s_mov_b64 s[4:5], 1
                                        ; implicit-def: $sgpr30
	s_set_inst_prefetch_distance 0x1
	s_branch .LBB1073_273
	.p2align	6
.LBB1073_271:                           ;   in Loop: Header=BB1073_273 Depth=1
	v_add_co_u32 v21, vcc_lo, v17, s4
	v_add_co_ci_u32_e32 v22, vcc_lo, s5, v18, vcc_lo
	v_add_co_u32 v23, vcc_lo, v19, s4
	v_add_co_ci_u32_e32 v24, vcc_lo, s5, v20, vcc_lo
	s_clause 0x1
	global_load_u8 v21, v[21:22], off
	global_load_u8 v22, v[23:24], off
	s_waitcnt vmcnt(1)
	v_cmp_ne_u16_e32 vcc_lo, 0, v21
	s_waitcnt vmcnt(0)
	v_cmp_ne_u16_e64 s2, 0, v22
	s_delay_alu instid0(VALU_DEP_1) | instskip(SKIP_4) | instid1(SALU_CYCLE_1)
	s_xor_b32 s31, vcc_lo, s2
	s_add_u32 s2, s4, 1
	s_addc_u32 s3, s5, 0
	s_and_not1_b32 s30, s30, exec_lo
	s_and_b32 s31, s31, exec_lo
	s_or_b32 s30, s30, s31
.LBB1073_272:                           ;   in Loop: Header=BB1073_273 Depth=1
	v_dual_mov_b32 v22, s5 :: v_dual_mov_b32 v21, s4
	s_and_b32 s31, exec_lo, s30
	s_mov_b64 s[4:5], s[2:3]
	s_or_b32 s29, s31, s29
	s_delay_alu instid0(SALU_CYCLE_1)
	s_and_not1_b32 exec_lo, exec_lo, s29
	s_cbranch_execz .LBB1073_275
.LBB1073_273:                           ; =>This Inner Loop Header: Depth=1
	s_or_b32 s30, s30, exec_lo
	s_cmp_eq_u64 s[22:23], s[4:5]
	s_cbranch_scc0 .LBB1073_271
; %bb.274:                              ;   in Loop: Header=BB1073_273 Depth=1
	s_mov_b64 s[4:5], s[22:23]
                                        ; implicit-def: $sgpr2_sgpr3
	s_branch .LBB1073_272
.LBB1073_275:
	s_set_inst_prefetch_distance 0x2
	s_or_b32 exec_lo, exec_lo, s29
	v_cmp_gt_i64_e32 vcc_lo, s[22:23], v[21:22]
	s_or_not1_b32 s3, vcc_lo, exec_lo
.LBB1073_276:
	s_or_b32 exec_lo, exec_lo, s27
	s_delay_alu instid0(SALU_CYCLE_1)
	s_and_b32 s27, s3, exec_lo
.LBB1073_277:
	s_or_b32 exec_lo, exec_lo, s28
	v_or_b32_e32 v17, 4, v39
	v_mul_lo_u32 v23, v11, s23
	v_mul_lo_u32 v24, v12, s22
	s_delay_alu instid0(VALU_DEP_3) | instskip(SKIP_1) | instid1(SALU_CYCLE_1)
	v_cmp_gt_u32_e32 vcc_lo, s20, v17
	s_and_b32 s2, vcc_lo, s7
	s_and_saveexec_b32 s28, s2
	s_cbranch_execz .LBB1073_286
; %bb.278:
	v_mad_u64_u32 v[17:18], null, v11, s22, s[8:9]
	s_waitcnt lgkmcnt(0)
	v_mad_u64_u32 v[19:20], null, v5, s22, s[8:9]
	s_mov_b32 s29, 0
	s_delay_alu instid0(VALU_DEP_2) | instskip(NEXT) | instid1(VALU_DEP_2)
	v_add3_u32 v18, v24, v18, v23
	v_add3_u32 v20, v27, v20, v26
	s_clause 0x1
	global_load_u8 v21, v[17:18], off
	global_load_u8 v22, v[19:20], off
	s_waitcnt vmcnt(1)
	v_cmp_ne_u16_e32 vcc_lo, 0, v21
	s_waitcnt vmcnt(0)
	v_cmp_ne_u16_e64 s2, 0, v22
	s_delay_alu instid0(VALU_DEP_1) | instskip(SKIP_2) | instid1(SALU_CYCLE_1)
	s_xor_b32 s3, vcc_lo, s2
	s_mov_b32 s2, -1
	s_xor_b32 s3, s3, -1
	s_and_saveexec_b32 s26, s3
	s_cbranch_execz .LBB1073_285
; %bb.279:
	s_mov_b64 s[4:5], 1
                                        ; implicit-def: $sgpr30
	s_set_inst_prefetch_distance 0x1
	s_branch .LBB1073_282
	.p2align	6
.LBB1073_280:                           ;   in Loop: Header=BB1073_282 Depth=1
	v_add_co_u32 v21, vcc_lo, v17, s4
	v_add_co_ci_u32_e32 v22, vcc_lo, s5, v18, vcc_lo
	v_add_co_u32 v25, vcc_lo, v19, s4
	v_add_co_ci_u32_e32 v26, vcc_lo, s5, v20, vcc_lo
	s_clause 0x1
	global_load_u8 v21, v[21:22], off
	global_load_u8 v22, v[25:26], off
	s_waitcnt vmcnt(1)
	v_cmp_ne_u16_e32 vcc_lo, 0, v21
	s_waitcnt vmcnt(0)
	v_cmp_ne_u16_e64 s2, 0, v22
	s_delay_alu instid0(VALU_DEP_1) | instskip(SKIP_4) | instid1(SALU_CYCLE_1)
	s_xor_b32 s31, vcc_lo, s2
	s_add_u32 s2, s4, 1
	s_addc_u32 s3, s5, 0
	s_and_not1_b32 s30, s30, exec_lo
	s_and_b32 s31, s31, exec_lo
	s_or_b32 s30, s30, s31
.LBB1073_281:                           ;   in Loop: Header=BB1073_282 Depth=1
	v_dual_mov_b32 v22, s5 :: v_dual_mov_b32 v21, s4
	s_and_b32 s31, exec_lo, s30
	s_mov_b64 s[4:5], s[2:3]
	s_or_b32 s29, s31, s29
	s_delay_alu instid0(SALU_CYCLE_1)
	s_and_not1_b32 exec_lo, exec_lo, s29
	s_cbranch_execz .LBB1073_284
.LBB1073_282:                           ; =>This Inner Loop Header: Depth=1
	s_or_b32 s30, s30, exec_lo
	s_cmp_eq_u64 s[22:23], s[4:5]
	s_cbranch_scc0 .LBB1073_280
; %bb.283:                              ;   in Loop: Header=BB1073_282 Depth=1
	s_mov_b64 s[4:5], s[22:23]
                                        ; implicit-def: $sgpr2_sgpr3
	s_branch .LBB1073_281
.LBB1073_284:
	s_set_inst_prefetch_distance 0x2
	s_or_b32 exec_lo, exec_lo, s29
	v_cmp_gt_i64_e32 vcc_lo, s[22:23], v[21:22]
	s_or_not1_b32 s2, vcc_lo, exec_lo
.LBB1073_285:
	s_or_b32 exec_lo, exec_lo, s26
	s_delay_alu instid0(SALU_CYCLE_1)
	s_and_b32 s26, s2, exec_lo
.LBB1073_286:
	s_or_b32 exec_lo, exec_lo, s28
	v_or_b32_e32 v17, 3, v39
	v_mul_lo_u32 v25, v9, s23
	v_mul_lo_u32 v26, v10, s22
	s_mov_b32 s3, -1
	s_mov_b32 s29, 0
	v_cmp_gt_u32_e32 vcc_lo, s20, v17
	s_mov_b32 s28, 0
	s_and_b32 s2, vcc_lo, s7
	s_delay_alu instid0(SALU_CYCLE_1)
	s_and_saveexec_b32 s30, s2
	s_cbranch_execz .LBB1073_295
; %bb.287:
	v_mad_u64_u32 v[17:18], null, v9, s22, s[8:9]
	s_waitcnt lgkmcnt(0)
	v_mad_u64_u32 v[19:20], null, v11, s22, s[8:9]
	s_mov_b32 s31, 0
	s_delay_alu instid0(VALU_DEP_2) | instskip(NEXT) | instid1(VALU_DEP_2)
	v_add3_u32 v18, v26, v18, v25
	v_add3_u32 v20, v24, v20, v23
	s_clause 0x1
	global_load_u8 v21, v[17:18], off
	global_load_u8 v22, v[19:20], off
	s_waitcnt vmcnt(1)
	v_cmp_ne_u16_e32 vcc_lo, 0, v21
	s_waitcnt vmcnt(0)
	v_cmp_ne_u16_e64 s2, 0, v22
	s_delay_alu instid0(VALU_DEP_1) | instskip(NEXT) | instid1(SALU_CYCLE_1)
	s_xor_b32 s2, vcc_lo, s2
	s_xor_b32 s2, s2, -1
	s_delay_alu instid0(SALU_CYCLE_1)
	s_and_saveexec_b32 s28, s2
	s_cbranch_execz .LBB1073_294
; %bb.288:
	s_mov_b64 s[4:5], 1
                                        ; implicit-def: $sgpr33
	s_set_inst_prefetch_distance 0x1
	s_branch .LBB1073_291
	.p2align	6
.LBB1073_289:                           ;   in Loop: Header=BB1073_291 Depth=1
	v_add_co_u32 v21, vcc_lo, v17, s4
	v_add_co_ci_u32_e32 v22, vcc_lo, s5, v18, vcc_lo
	v_add_co_u32 v23, vcc_lo, v19, s4
	v_add_co_ci_u32_e32 v24, vcc_lo, s5, v20, vcc_lo
	s_clause 0x1
	global_load_u8 v21, v[21:22], off
	global_load_u8 v22, v[23:24], off
	s_waitcnt vmcnt(1)
	v_cmp_ne_u16_e32 vcc_lo, 0, v21
	s_waitcnt vmcnt(0)
	v_cmp_ne_u16_e64 s2, 0, v22
	s_delay_alu instid0(VALU_DEP_1) | instskip(SKIP_4) | instid1(SALU_CYCLE_1)
	s_xor_b32 s34, vcc_lo, s2
	s_add_u32 s2, s4, 1
	s_addc_u32 s3, s5, 0
	s_and_not1_b32 s33, s33, exec_lo
	s_and_b32 s34, s34, exec_lo
	s_or_b32 s33, s33, s34
.LBB1073_290:                           ;   in Loop: Header=BB1073_291 Depth=1
	v_dual_mov_b32 v22, s5 :: v_dual_mov_b32 v21, s4
	s_and_b32 s34, exec_lo, s33
	s_mov_b64 s[4:5], s[2:3]
	s_or_b32 s31, s34, s31
	s_delay_alu instid0(SALU_CYCLE_1)
	s_and_not1_b32 exec_lo, exec_lo, s31
	s_cbranch_execz .LBB1073_293
.LBB1073_291:                           ; =>This Inner Loop Header: Depth=1
	s_or_b32 s33, s33, exec_lo
	s_cmp_eq_u64 s[22:23], s[4:5]
	s_cbranch_scc0 .LBB1073_289
; %bb.292:                              ;   in Loop: Header=BB1073_291 Depth=1
	s_mov_b64 s[4:5], s[22:23]
                                        ; implicit-def: $sgpr2_sgpr3
	s_branch .LBB1073_290
.LBB1073_293:
	s_set_inst_prefetch_distance 0x2
	s_or_b32 exec_lo, exec_lo, s31
	v_cmp_gt_i64_e32 vcc_lo, s[22:23], v[21:22]
	s_or_not1_b32 s3, vcc_lo, exec_lo
.LBB1073_294:
	s_or_b32 exec_lo, exec_lo, s28
	s_delay_alu instid0(SALU_CYCLE_1)
	s_and_b32 s28, s3, exec_lo
.LBB1073_295:
	s_or_b32 exec_lo, exec_lo, s30
	v_or_b32_e32 v17, 2, v39
	v_mul_lo_u32 v23, v15, s23
	v_mul_lo_u32 v24, v16, s22
	s_delay_alu instid0(VALU_DEP_3) | instskip(SKIP_1) | instid1(SALU_CYCLE_1)
	v_cmp_gt_u32_e32 vcc_lo, s20, v17
	s_and_b32 s2, vcc_lo, s7
	s_and_saveexec_b32 s30, s2
	s_cbranch_execz .LBB1073_304
; %bb.296:
	v_mad_u64_u32 v[17:18], null, v15, s22, s[8:9]
	s_waitcnt lgkmcnt(0)
	v_mad_u64_u32 v[19:20], null, v9, s22, s[8:9]
	s_mov_b32 s31, 0
	s_delay_alu instid0(VALU_DEP_2) | instskip(NEXT) | instid1(VALU_DEP_2)
	v_add3_u32 v18, v24, v18, v23
	v_add3_u32 v20, v26, v20, v25
	s_clause 0x1
	global_load_u8 v21, v[17:18], off
	global_load_u8 v22, v[19:20], off
	s_waitcnt vmcnt(1)
	v_cmp_ne_u16_e32 vcc_lo, 0, v21
	s_waitcnt vmcnt(0)
	v_cmp_ne_u16_e64 s2, 0, v22
	s_delay_alu instid0(VALU_DEP_1) | instskip(SKIP_2) | instid1(SALU_CYCLE_1)
	s_xor_b32 s3, vcc_lo, s2
	s_mov_b32 s2, -1
	s_xor_b32 s3, s3, -1
	s_and_saveexec_b32 s29, s3
	s_cbranch_execz .LBB1073_303
; %bb.297:
	s_mov_b64 s[4:5], 1
                                        ; implicit-def: $sgpr33
	s_set_inst_prefetch_distance 0x1
	s_branch .LBB1073_300
	.p2align	6
.LBB1073_298:                           ;   in Loop: Header=BB1073_300 Depth=1
	v_add_co_u32 v21, vcc_lo, v17, s4
	v_add_co_ci_u32_e32 v22, vcc_lo, s5, v18, vcc_lo
	v_add_co_u32 v25, vcc_lo, v19, s4
	v_add_co_ci_u32_e32 v26, vcc_lo, s5, v20, vcc_lo
	s_clause 0x1
	global_load_u8 v21, v[21:22], off
	global_load_u8 v22, v[25:26], off
	s_waitcnt vmcnt(1)
	v_cmp_ne_u16_e32 vcc_lo, 0, v21
	s_waitcnt vmcnt(0)
	v_cmp_ne_u16_e64 s2, 0, v22
	s_delay_alu instid0(VALU_DEP_1) | instskip(SKIP_4) | instid1(SALU_CYCLE_1)
	s_xor_b32 s34, vcc_lo, s2
	s_add_u32 s2, s4, 1
	s_addc_u32 s3, s5, 0
	s_and_not1_b32 s33, s33, exec_lo
	s_and_b32 s34, s34, exec_lo
	s_or_b32 s33, s33, s34
.LBB1073_299:                           ;   in Loop: Header=BB1073_300 Depth=1
	v_dual_mov_b32 v22, s5 :: v_dual_mov_b32 v21, s4
	s_and_b32 s34, exec_lo, s33
	s_mov_b64 s[4:5], s[2:3]
	s_or_b32 s31, s34, s31
	s_delay_alu instid0(SALU_CYCLE_1)
	s_and_not1_b32 exec_lo, exec_lo, s31
	s_cbranch_execz .LBB1073_302
.LBB1073_300:                           ; =>This Inner Loop Header: Depth=1
	s_or_b32 s33, s33, exec_lo
	s_cmp_eq_u64 s[22:23], s[4:5]
	s_cbranch_scc0 .LBB1073_298
; %bb.301:                              ;   in Loop: Header=BB1073_300 Depth=1
	s_mov_b64 s[4:5], s[22:23]
                                        ; implicit-def: $sgpr2_sgpr3
	s_branch .LBB1073_299
.LBB1073_302:
	s_set_inst_prefetch_distance 0x2
	s_or_b32 exec_lo, exec_lo, s31
	v_cmp_gt_i64_e32 vcc_lo, s[22:23], v[21:22]
	s_or_not1_b32 s2, vcc_lo, exec_lo
.LBB1073_303:
	s_or_b32 exec_lo, exec_lo, s29
	s_delay_alu instid0(SALU_CYCLE_1)
	s_and_b32 s29, s2, exec_lo
.LBB1073_304:
	s_or_b32 exec_lo, exec_lo, s30
	v_or_b32_e32 v17, 1, v39
	s_mov_b32 s3, -1
	s_mov_b32 s2, 0
	s_delay_alu instid0(VALU_DEP_1) | instskip(SKIP_2) | instid1(SALU_CYCLE_1)
	v_cmp_gt_u32_e32 vcc_lo, s20, v17
	s_waitcnt lgkmcnt(0)
	s_and_b32 s4, vcc_lo, s7
	s_and_saveexec_b32 s30, s4
	s_cbranch_execz .LBB1073_313
; %bb.305:
	v_mad_u64_u32 v[17:18], null, v13, s22, s[8:9]
	v_mul_lo_u32 v21, v13, s23
	v_mul_lo_u32 v22, v14, s22
	v_mad_u64_u32 v[19:20], null, v15, s22, s[8:9]
	s_mov_b32 s33, 0
	s_delay_alu instid0(VALU_DEP_2) | instskip(NEXT) | instid1(VALU_DEP_2)
	v_add3_u32 v18, v22, v18, v21
	v_add3_u32 v20, v24, v20, v23
	s_clause 0x1
	global_load_u8 v21, v[17:18], off
	global_load_u8 v22, v[19:20], off
	s_waitcnt vmcnt(1)
	v_cmp_ne_u16_e32 vcc_lo, 0, v21
	s_waitcnt vmcnt(0)
	v_cmp_ne_u16_e64 s2, 0, v22
	s_delay_alu instid0(VALU_DEP_1) | instskip(NEXT) | instid1(SALU_CYCLE_1)
	s_xor_b32 s2, vcc_lo, s2
	s_xor_b32 s2, s2, -1
	s_delay_alu instid0(SALU_CYCLE_1)
	s_and_saveexec_b32 s31, s2
	s_cbranch_execz .LBB1073_312
; %bb.306:
	s_mov_b64 s[4:5], 1
                                        ; implicit-def: $sgpr34
	s_set_inst_prefetch_distance 0x1
	s_branch .LBB1073_309
	.p2align	6
.LBB1073_307:                           ;   in Loop: Header=BB1073_309 Depth=1
	v_add_co_u32 v21, vcc_lo, v17, s4
	v_add_co_ci_u32_e32 v22, vcc_lo, s5, v18, vcc_lo
	v_add_co_u32 v23, vcc_lo, v19, s4
	v_add_co_ci_u32_e32 v24, vcc_lo, s5, v20, vcc_lo
	s_clause 0x1
	global_load_u8 v21, v[21:22], off
	global_load_u8 v22, v[23:24], off
	s_waitcnt vmcnt(1)
	v_cmp_ne_u16_e32 vcc_lo, 0, v21
	s_waitcnt vmcnt(0)
	v_cmp_ne_u16_e64 s2, 0, v22
	s_delay_alu instid0(VALU_DEP_1) | instskip(SKIP_4) | instid1(SALU_CYCLE_1)
	s_xor_b32 s35, vcc_lo, s2
	s_add_u32 s2, s4, 1
	s_addc_u32 s3, s5, 0
	s_and_not1_b32 s34, s34, exec_lo
	s_and_b32 s35, s35, exec_lo
	s_or_b32 s34, s34, s35
.LBB1073_308:                           ;   in Loop: Header=BB1073_309 Depth=1
	v_dual_mov_b32 v22, s5 :: v_dual_mov_b32 v21, s4
	s_and_b32 s35, exec_lo, s34
	s_mov_b64 s[4:5], s[2:3]
	s_or_b32 s33, s35, s33
	s_delay_alu instid0(SALU_CYCLE_1)
	s_and_not1_b32 exec_lo, exec_lo, s33
	s_cbranch_execz .LBB1073_311
.LBB1073_309:                           ; =>This Inner Loop Header: Depth=1
	s_or_b32 s34, s34, exec_lo
	s_cmp_eq_u64 s[22:23], s[4:5]
	s_cbranch_scc0 .LBB1073_307
; %bb.310:                              ;   in Loop: Header=BB1073_309 Depth=1
	s_mov_b64 s[4:5], s[22:23]
                                        ; implicit-def: $sgpr2_sgpr3
	s_branch .LBB1073_308
.LBB1073_311:
	s_set_inst_prefetch_distance 0x2
	s_or_b32 exec_lo, exec_lo, s33
	v_cmp_gt_i64_e32 vcc_lo, s[22:23], v[21:22]
	s_or_not1_b32 s3, vcc_lo, exec_lo
.LBB1073_312:
	s_or_b32 exec_lo, exec_lo, s31
	s_delay_alu instid0(SALU_CYCLE_1)
	s_and_b32 s2, s3, exec_lo
.LBB1073_313:
	s_or_b32 exec_lo, exec_lo, s30
	v_cndmask_b32_e64 v18, 0, 1, s28
	v_cndmask_b32_e64 v19, 0, 1, s27
	;; [unrolled: 1-line block ×7, first 2 shown]
	v_lshlrev_b16 v19, 8, v19
	v_lshlrev_b16 v20, 8, v20
	;; [unrolled: 1-line block ×4, first 2 shown]
	s_mov_b32 s24, exec_lo
	v_or_b32_e32 v19, v22, v19
	v_or_b32_e32 v20, v23, v20
	;; [unrolled: 1-line block ×4, first 2 shown]
	s_delay_alu instid0(VALU_DEP_4) | instskip(NEXT) | instid1(VALU_DEP_4)
	v_and_b32_e32 v18, 0xffff, v19
	v_lshlrev_b32_e32 v19, 16, v20
	s_delay_alu instid0(VALU_DEP_4) | instskip(NEXT) | instid1(VALU_DEP_4)
	v_and_b32_e32 v20, 0xffff, v21
	v_lshlrev_b32_e32 v17, 16, v17
	s_barrier
	buffer_gl0_inv
	v_or_b32_e32 v18, v18, v19
                                        ; implicit-def: $sgpr2
	v_or_b32_e32 v17, v20, v17
	v_cmpx_ne_u32_e32 0, v0
	s_cbranch_execz .LBB1073_324
; %bb.314:
	v_cmp_gt_u32_e32 vcc_lo, s20, v39
	s_mov_b32 s3, -1
	s_mov_b32 s2, 0
	s_and_b32 s4, vcc_lo, s7
	s_delay_alu instid0(SALU_CYCLE_1)
	s_and_saveexec_b32 s7, s4
	s_cbranch_execz .LBB1073_323
; %bb.315:
	v_add_nc_u32_e32 v19, -8, v39
	v_mul_lo_u32 v25, v13, s23
	ds_load_b64 v[23:24], v19
	v_mad_u64_u32 v[19:20], null, v13, s22, s[8:9]
	s_waitcnt lgkmcnt(0)
	v_mul_lo_u32 v26, v23, s23
	v_mul_lo_u32 v24, v24, s22
	v_mad_u64_u32 v[21:22], null, v23, s22, s[8:9]
	v_mul_lo_u32 v23, v14, s22
	s_mov_b32 s9, 0
	s_delay_alu instid0(VALU_DEP_2) | instskip(NEXT) | instid1(VALU_DEP_2)
	v_add3_u32 v22, v24, v22, v26
	v_add3_u32 v20, v23, v20, v25
	s_clause 0x1
	global_load_u8 v23, v[21:22], off
	global_load_u8 v24, v[19:20], off
	s_waitcnt vmcnt(1)
	v_cmp_ne_u16_e32 vcc_lo, 0, v23
	s_waitcnt vmcnt(0)
	v_cmp_ne_u16_e64 s2, 0, v24
	s_delay_alu instid0(VALU_DEP_1) | instskip(NEXT) | instid1(SALU_CYCLE_1)
	s_xor_b32 s2, vcc_lo, s2
	s_xor_b32 s2, s2, -1
	s_delay_alu instid0(SALU_CYCLE_1)
	s_and_saveexec_b32 s8, s2
	s_cbranch_execz .LBB1073_322
; %bb.316:
	s_mov_b64 s[4:5], 1
                                        ; implicit-def: $sgpr25
	s_set_inst_prefetch_distance 0x1
	s_branch .LBB1073_319
	.p2align	6
.LBB1073_317:                           ;   in Loop: Header=BB1073_319 Depth=1
	v_add_co_u32 v23, vcc_lo, v21, s4
	v_add_co_ci_u32_e32 v24, vcc_lo, s5, v22, vcc_lo
	v_add_co_u32 v25, vcc_lo, v19, s4
	v_add_co_ci_u32_e32 v26, vcc_lo, s5, v20, vcc_lo
	s_clause 0x1
	global_load_u8 v23, v[23:24], off
	global_load_u8 v24, v[25:26], off
	s_waitcnt vmcnt(1)
	v_cmp_ne_u16_e32 vcc_lo, 0, v23
	s_waitcnt vmcnt(0)
	v_cmp_ne_u16_e64 s2, 0, v24
	s_delay_alu instid0(VALU_DEP_1) | instskip(SKIP_4) | instid1(SALU_CYCLE_1)
	s_xor_b32 s26, vcc_lo, s2
	s_add_u32 s2, s4, 1
	s_addc_u32 s3, s5, 0
	s_and_not1_b32 s25, s25, exec_lo
	s_and_b32 s26, s26, exec_lo
	s_or_b32 s25, s25, s26
.LBB1073_318:                           ;   in Loop: Header=BB1073_319 Depth=1
	v_dual_mov_b32 v24, s5 :: v_dual_mov_b32 v23, s4
	s_and_b32 s26, exec_lo, s25
	s_mov_b64 s[4:5], s[2:3]
	s_or_b32 s9, s26, s9
	s_delay_alu instid0(SALU_CYCLE_1)
	s_and_not1_b32 exec_lo, exec_lo, s9
	s_cbranch_execz .LBB1073_321
.LBB1073_319:                           ; =>This Inner Loop Header: Depth=1
	s_or_b32 s25, s25, exec_lo
	s_cmp_eq_u64 s[22:23], s[4:5]
	s_cbranch_scc0 .LBB1073_317
; %bb.320:                              ;   in Loop: Header=BB1073_319 Depth=1
	s_mov_b64 s[4:5], s[22:23]
                                        ; implicit-def: $sgpr2_sgpr3
	s_branch .LBB1073_318
.LBB1073_321:
	s_set_inst_prefetch_distance 0x2
	s_or_b32 exec_lo, exec_lo, s9
	v_cmp_gt_i64_e32 vcc_lo, s[22:23], v[23:24]
	s_or_not1_b32 s3, vcc_lo, exec_lo
.LBB1073_322:
	s_or_b32 exec_lo, exec_lo, s8
	s_delay_alu instid0(SALU_CYCLE_1)
	s_and_b32 s2, s3, exec_lo
.LBB1073_323:
	s_or_b32 exec_lo, exec_lo, s7
	s_delay_alu instid0(SALU_CYCLE_1)
	s_and_b32 s2, s2, exec_lo
	s_or_b32 s6, s6, exec_lo
.LBB1073_324:
	s_or_b32 exec_lo, exec_lo, s24
.LBB1073_325:
	s_and_saveexec_b32 s3, s6
	s_cbranch_execz .LBB1073_327
; %bb.326:
	s_waitcnt lgkmcnt(0)
	v_and_b32_e32 v19, 0xffffff00, v17
	v_cndmask_b32_e64 v20, 0, 1, s2
	s_delay_alu instid0(VALU_DEP_1) | instskip(NEXT) | instid1(VALU_DEP_1)
	v_or_b32_e32 v19, v20, v19
	v_and_b32_e32 v19, 0xffff, v19
	s_delay_alu instid0(VALU_DEP_1)
	v_and_or_b32 v17, 0xffff0000, v17, v19
.LBB1073_327:
	s_or_b32 exec_lo, exec_lo, s3
	s_delay_alu instid0(SALU_CYCLE_1)
	s_and_not1_b32 vcc_lo, exec_lo, s19
	s_cbranch_vccnz .LBB1073_329
; %bb.328:
	v_cmp_gt_u32_e32 vcc_lo, s20, v39
	s_waitcnt lgkmcnt(0)
	v_or_b32_e32 v20, 1, v39
	v_and_b32_e32 v21, 0xffffff00, v18
	v_or_b32_e32 v22, 2, v39
	v_cndmask_b32_e32 v19, 0, v17, vcc_lo
	s_delay_alu instid0(VALU_DEP_4) | instskip(SKIP_1) | instid1(VALU_DEP_4)
	v_cmp_gt_u32_e32 vcc_lo, s20, v20
	v_or_b32_e32 v20, 4, v39
	v_cmp_gt_u32_e64 s2, s20, v22
	v_or_b32_e32 v22, 3, v39
	v_and_b32_e32 v19, 0xff, v19
	s_delay_alu instid0(VALU_DEP_2) | instskip(NEXT) | instid1(VALU_DEP_2)
	v_cmp_gt_u32_e64 s3, s20, v22
	v_cndmask_b32_e32 v19, v19, v17, vcc_lo
	v_cmp_gt_u32_e32 vcc_lo, s20, v20
	v_cndmask_b32_e32 v20, v21, v18, vcc_lo
	v_or_b32_e32 v21, 5, v39
	s_delay_alu instid0(VALU_DEP_2) | instskip(SKIP_1) | instid1(VALU_DEP_1)
	v_and_b32_e32 v20, 0xffff00ff, v20
	v_and_b32_e32 v19, 0xffff, v19
	v_cndmask_b32_e64 v19, v19, v17, s2
	s_delay_alu instid0(VALU_DEP_4) | instskip(SKIP_1) | instid1(VALU_DEP_3)
	v_cmp_gt_u32_e64 s2, s20, v21
	v_or_b32_e32 v21, 6, v39
	v_and_b32_e32 v19, 0xffffff, v19
	s_delay_alu instid0(VALU_DEP_3) | instskip(NEXT) | instid1(VALU_DEP_2)
	v_cndmask_b32_e64 v20, v20, v18, s2
	v_cndmask_b32_e64 v19, v19, v17, s3
	s_delay_alu instid0(VALU_DEP_1) | instskip(SKIP_2) | instid1(VALU_DEP_3)
	v_dual_cndmask_b32 v19, v19, v17 :: v_dual_and_b32 v20, 0xff00ffff, v20
	v_cmp_gt_u32_e32 vcc_lo, s20, v21
	v_or_b32_e32 v21, 7, v39
	v_cndmask_b32_e64 v19, v19, v17, s2
	s_delay_alu instid0(VALU_DEP_1) | instskip(NEXT) | instid1(VALU_DEP_1)
	v_dual_cndmask_b32 v20, v20, v18 :: v_dual_cndmask_b32 v19, v19, v17
	v_and_b32_e32 v20, 0xffffff, v20
	s_delay_alu instid0(VALU_DEP_4) | instskip(NEXT) | instid1(VALU_DEP_2)
	v_cmp_gt_u32_e32 vcc_lo, s20, v21
	v_dual_cndmask_b32 v18, v20, v18 :: v_dual_cndmask_b32 v17, v19, v17
.LBB1073_329:
	s_delay_alu instid0(VALU_DEP_1) | instskip(SKIP_1) | instid1(VALU_DEP_2)
	v_and_b32_e32 v26, 0xff, v17
	s_waitcnt lgkmcnt(0)
	v_alignbit_b32 v19, v18, v17, 24
	v_bfe_u32 v28, v17, 8, 8
	v_bfe_u32 v30, v17, 16, 8
	v_and_b32_e32 v34, 0xff, v18
	v_bfe_u32 v36, v18, 8, 8
	v_and_b32_e32 v32, 0xff, v19
	v_add_nc_u32_e32 v19, v28, v26
	v_mbcnt_lo_u32_b32 v41, -1, 0
	v_bfe_u32 v38, v18, 16, 8
	v_lshrrev_b32_e32 v40, 24, v18
	v_lshrrev_b32_e32 v42, 5, v0
	v_add3_u32 v19, v19, v30, v32
	v_and_b32_e32 v20, 15, v41
	v_and_b32_e32 v21, 16, v41
	s_and_b32 vcc_lo, exec_lo, s21
	s_mov_b32 s19, -1
	v_add3_u32 v19, v19, v34, v36
	v_cmp_eq_u32_e64 s4, 0, v20
	v_cmp_lt_u32_e64 s2, 1, v20
	v_cmp_lt_u32_e64 s5, 3, v20
	;; [unrolled: 1-line block ×3, first 2 shown]
	v_add3_u32 v43, v19, v38, v40
	v_or_b32_e32 v19, 31, v0
	v_cmp_eq_u32_e64 s7, 0, v21
	s_barrier
	buffer_gl0_inv
	v_cmp_eq_u32_e64 s6, v19, v0
	s_cbranch_vccz .LBB1073_360
; %bb.330:
	v_mov_b32_dpp v19, v43 row_shr:1 row_mask:0xf bank_mask:0xf
	s_delay_alu instid0(VALU_DEP_1) | instskip(NEXT) | instid1(VALU_DEP_1)
	v_cndmask_b32_e64 v19, v19, 0, s4
	v_add_nc_u32_e32 v19, v19, v43
	s_delay_alu instid0(VALU_DEP_1) | instskip(NEXT) | instid1(VALU_DEP_1)
	v_mov_b32_dpp v20, v19 row_shr:2 row_mask:0xf bank_mask:0xf
	v_cndmask_b32_e64 v20, 0, v20, s2
	s_delay_alu instid0(VALU_DEP_1) | instskip(NEXT) | instid1(VALU_DEP_1)
	v_add_nc_u32_e32 v19, v19, v20
	v_mov_b32_dpp v20, v19 row_shr:4 row_mask:0xf bank_mask:0xf
	s_delay_alu instid0(VALU_DEP_1) | instskip(NEXT) | instid1(VALU_DEP_1)
	v_cndmask_b32_e64 v20, 0, v20, s5
	v_add_nc_u32_e32 v19, v19, v20
	s_delay_alu instid0(VALU_DEP_1) | instskip(NEXT) | instid1(VALU_DEP_1)
	v_mov_b32_dpp v20, v19 row_shr:8 row_mask:0xf bank_mask:0xf
	v_cndmask_b32_e64 v20, 0, v20, s3
	s_delay_alu instid0(VALU_DEP_1) | instskip(SKIP_3) | instid1(VALU_DEP_1)
	v_add_nc_u32_e32 v19, v19, v20
	ds_swizzle_b32 v20, v19 offset:swizzle(BROADCAST,32,15)
	s_waitcnt lgkmcnt(0)
	v_cndmask_b32_e64 v20, v20, 0, s7
	v_add_nc_u32_e32 v19, v19, v20
	s_and_saveexec_b32 s8, s6
	s_cbranch_execz .LBB1073_332
; %bb.331:
	v_lshlrev_b32_e32 v20, 2, v42
	ds_store_b32 v20, v19
.LBB1073_332:
	s_or_b32 exec_lo, exec_lo, s8
	s_delay_alu instid0(SALU_CYCLE_1)
	s_mov_b32 s8, exec_lo
	s_waitcnt lgkmcnt(0)
	s_barrier
	buffer_gl0_inv
	v_cmpx_gt_u32_e32 16, v0
	s_cbranch_execz .LBB1073_334
; %bb.333:
	v_lshlrev_b32_e32 v20, 2, v0
	ds_load_b32 v21, v20
	s_waitcnt lgkmcnt(0)
	v_mov_b32_dpp v22, v21 row_shr:1 row_mask:0xf bank_mask:0xf
	s_delay_alu instid0(VALU_DEP_1) | instskip(NEXT) | instid1(VALU_DEP_1)
	v_cndmask_b32_e64 v22, v22, 0, s4
	v_add_nc_u32_e32 v21, v22, v21
	s_delay_alu instid0(VALU_DEP_1) | instskip(NEXT) | instid1(VALU_DEP_1)
	v_mov_b32_dpp v22, v21 row_shr:2 row_mask:0xf bank_mask:0xf
	v_cndmask_b32_e64 v22, 0, v22, s2
	s_delay_alu instid0(VALU_DEP_1) | instskip(NEXT) | instid1(VALU_DEP_1)
	v_add_nc_u32_e32 v21, v21, v22
	v_mov_b32_dpp v22, v21 row_shr:4 row_mask:0xf bank_mask:0xf
	s_delay_alu instid0(VALU_DEP_1) | instskip(NEXT) | instid1(VALU_DEP_1)
	v_cndmask_b32_e64 v22, 0, v22, s5
	v_add_nc_u32_e32 v21, v21, v22
	s_delay_alu instid0(VALU_DEP_1) | instskip(NEXT) | instid1(VALU_DEP_1)
	v_mov_b32_dpp v22, v21 row_shr:8 row_mask:0xf bank_mask:0xf
	v_cndmask_b32_e64 v22, 0, v22, s3
	s_delay_alu instid0(VALU_DEP_1)
	v_add_nc_u32_e32 v21, v21, v22
	ds_store_b32 v20, v21
.LBB1073_334:
	s_or_b32 exec_lo, exec_lo, s8
	v_cmp_gt_u32_e32 vcc_lo, 32, v0
	s_mov_b32 s9, exec_lo
	s_waitcnt lgkmcnt(0)
	s_barrier
	buffer_gl0_inv
                                        ; implicit-def: $vgpr27
	v_cmpx_lt_u32_e32 31, v0
	s_cbranch_execz .LBB1073_336
; %bb.335:
	v_lshl_add_u32 v20, v42, 2, -4
	ds_load_b32 v27, v20
	s_waitcnt lgkmcnt(0)
	v_add_nc_u32_e32 v19, v27, v19
.LBB1073_336:
	s_or_b32 exec_lo, exec_lo, s9
	v_add_nc_u32_e32 v20, -1, v41
	s_delay_alu instid0(VALU_DEP_1) | instskip(NEXT) | instid1(VALU_DEP_1)
	v_cmp_gt_i32_e64 s8, 0, v20
	v_cndmask_b32_e64 v20, v20, v41, s8
	v_cmp_eq_u32_e64 s8, 0, v41
	s_delay_alu instid0(VALU_DEP_2)
	v_lshlrev_b32_e32 v20, 2, v20
	ds_bpermute_b32 v29, v20, v19
	s_and_saveexec_b32 s9, vcc_lo
	s_cbranch_execz .LBB1073_359
; %bb.337:
	v_mov_b32_e32 v22, 0
	ds_load_b32 v19, v22 offset:60
	s_and_saveexec_b32 s19, s8
	s_cbranch_execz .LBB1073_339
; %bb.338:
	s_add_i32 s20, s15, 32
	s_mov_b32 s21, 0
	v_mov_b32_e32 v20, 1
	s_lshl_b64 s[20:21], s[20:21], 3
	s_delay_alu instid0(SALU_CYCLE_1)
	s_add_u32 s20, s10, s20
	s_addc_u32 s21, s11, s21
	s_waitcnt lgkmcnt(0)
	global_store_b64 v22, v[19:20], s[20:21]
.LBB1073_339:
	s_or_b32 exec_lo, exec_lo, s19
	v_xad_u32 v20, v41, -1, s15
	s_mov_b32 s20, 0
	s_mov_b32 s19, exec_lo
	s_delay_alu instid0(VALU_DEP_1) | instskip(NEXT) | instid1(VALU_DEP_1)
	v_add_nc_u32_e32 v21, 32, v20
	v_lshlrev_b64 v[21:22], 3, v[21:22]
	s_delay_alu instid0(VALU_DEP_1) | instskip(NEXT) | instid1(VALU_DEP_2)
	v_add_co_u32 v24, vcc_lo, s10, v21
	v_add_co_ci_u32_e32 v25, vcc_lo, s11, v22, vcc_lo
	global_load_b64 v[22:23], v[24:25], off glc
	s_waitcnt vmcnt(0)
	v_and_b32_e32 v21, 0xff, v23
	s_delay_alu instid0(VALU_DEP_1)
	v_cmpx_eq_u16_e32 0, v21
	s_cbranch_execz .LBB1073_345
; %bb.340:
	s_mov_b32 s21, 1
	.p2align	6
.LBB1073_341:                           ; =>This Loop Header: Depth=1
                                        ;     Child Loop BB1073_342 Depth 2
	s_delay_alu instid0(SALU_CYCLE_1)
	s_max_u32 s22, s21, 1
.LBB1073_342:                           ;   Parent Loop BB1073_341 Depth=1
                                        ; =>  This Inner Loop Header: Depth=2
	s_delay_alu instid0(SALU_CYCLE_1)
	s_add_i32 s22, s22, -1
	s_sleep 1
	s_cmp_eq_u32 s22, 0
	s_cbranch_scc0 .LBB1073_342
; %bb.343:                              ;   in Loop: Header=BB1073_341 Depth=1
	global_load_b64 v[22:23], v[24:25], off glc
	s_cmp_lt_u32 s21, 32
	s_cselect_b32 s22, -1, 0
	s_delay_alu instid0(SALU_CYCLE_1) | instskip(SKIP_3) | instid1(VALU_DEP_1)
	s_cmp_lg_u32 s22, 0
	s_addc_u32 s21, s21, 0
	s_waitcnt vmcnt(0)
	v_and_b32_e32 v21, 0xff, v23
	v_cmp_ne_u16_e32 vcc_lo, 0, v21
	s_or_b32 s20, vcc_lo, s20
	s_delay_alu instid0(SALU_CYCLE_1)
	s_and_not1_b32 exec_lo, exec_lo, s20
	s_cbranch_execnz .LBB1073_341
; %bb.344:
	s_or_b32 exec_lo, exec_lo, s20
.LBB1073_345:
	s_delay_alu instid0(SALU_CYCLE_1)
	s_or_b32 exec_lo, exec_lo, s19
	v_cmp_ne_u32_e32 vcc_lo, 31, v41
	v_lshlrev_b32_e64 v33, v41, -1
	v_add_nc_u32_e32 v37, 2, v41
	v_add_nc_u32_e32 v46, 4, v41
	v_add_nc_u32_e32 v48, 8, v41
	v_add_co_ci_u32_e32 v21, vcc_lo, 0, v41, vcc_lo
	v_add_nc_u32_e32 v50, 16, v41
	s_delay_alu instid0(VALU_DEP_2)
	v_lshlrev_b32_e32 v31, 2, v21
	v_and_b32_e32 v21, 0xff, v23
	ds_bpermute_b32 v24, v31, v22
	v_cmp_eq_u16_e32 vcc_lo, 2, v21
	v_and_or_b32 v21, vcc_lo, v33, 0x80000000
	v_cmp_gt_u32_e32 vcc_lo, 30, v41
	s_delay_alu instid0(VALU_DEP_2) | instskip(SKIP_1) | instid1(VALU_DEP_2)
	v_ctz_i32_b32_e32 v21, v21
	v_cndmask_b32_e64 v25, 0, 1, vcc_lo
	v_cmp_lt_u32_e32 vcc_lo, v41, v21
	s_waitcnt lgkmcnt(0)
	s_delay_alu instid0(VALU_DEP_2) | instskip(NEXT) | instid1(VALU_DEP_1)
	v_dual_cndmask_b32 v24, 0, v24 :: v_dual_lshlrev_b32 v25, 1, v25
	v_add_lshl_u32 v35, v25, v41, 2
	v_cmp_gt_u32_e32 vcc_lo, 28, v41
	s_delay_alu instid0(VALU_DEP_3) | instskip(SKIP_4) | instid1(VALU_DEP_1)
	v_add_nc_u32_e32 v22, v24, v22
	v_cndmask_b32_e64 v25, 0, 1, vcc_lo
	v_cmp_le_u32_e32 vcc_lo, v37, v21
	ds_bpermute_b32 v24, v35, v22
	v_lshlrev_b32_e32 v25, 2, v25
	v_add_lshl_u32 v44, v25, v41, 2
	s_waitcnt lgkmcnt(0)
	v_cndmask_b32_e32 v24, 0, v24, vcc_lo
	v_cmp_gt_u32_e32 vcc_lo, 24, v41
	s_delay_alu instid0(VALU_DEP_2) | instskip(SKIP_4) | instid1(VALU_DEP_1)
	v_add_nc_u32_e32 v22, v22, v24
	v_cndmask_b32_e64 v25, 0, 1, vcc_lo
	v_cmp_le_u32_e32 vcc_lo, v46, v21
	ds_bpermute_b32 v24, v44, v22
	v_lshlrev_b32_e32 v25, 3, v25
	v_add_lshl_u32 v47, v25, v41, 2
	s_waitcnt lgkmcnt(0)
	v_cndmask_b32_e32 v24, 0, v24, vcc_lo
	v_cmp_gt_u32_e32 vcc_lo, 16, v41
	s_delay_alu instid0(VALU_DEP_2) | instskip(SKIP_4) | instid1(VALU_DEP_1)
	v_add_nc_u32_e32 v22, v22, v24
	v_cndmask_b32_e64 v25, 0, 1, vcc_lo
	v_cmp_le_u32_e32 vcc_lo, v48, v21
	ds_bpermute_b32 v24, v47, v22
	v_lshlrev_b32_e32 v25, 4, v25
	v_add_lshl_u32 v49, v25, v41, 2
	s_waitcnt lgkmcnt(0)
	v_cndmask_b32_e32 v24, 0, v24, vcc_lo
	v_cmp_le_u32_e32 vcc_lo, v50, v21
	s_delay_alu instid0(VALU_DEP_2) | instskip(SKIP_3) | instid1(VALU_DEP_1)
	v_add_nc_u32_e32 v22, v22, v24
	ds_bpermute_b32 v24, v49, v22
	s_waitcnt lgkmcnt(0)
	v_cndmask_b32_e32 v21, 0, v24, vcc_lo
	v_dual_mov_b32 v21, 0 :: v_dual_add_nc_u32 v22, v22, v21
	s_branch .LBB1073_347
.LBB1073_346:                           ;   in Loop: Header=BB1073_347 Depth=1
	s_or_b32 exec_lo, exec_lo, s19
	ds_bpermute_b32 v25, v31, v22
	v_and_b32_e32 v24, 0xff, v23
	v_subrev_nc_u32_e32 v20, 32, v20
	s_delay_alu instid0(VALU_DEP_2) | instskip(SKIP_1) | instid1(VALU_DEP_1)
	v_cmp_eq_u16_e32 vcc_lo, 2, v24
	v_and_or_b32 v24, vcc_lo, v33, 0x80000000
	v_ctz_i32_b32_e32 v24, v24
	s_delay_alu instid0(VALU_DEP_1) | instskip(SKIP_3) | instid1(VALU_DEP_2)
	v_cmp_lt_u32_e32 vcc_lo, v41, v24
	s_waitcnt lgkmcnt(0)
	v_cndmask_b32_e32 v25, 0, v25, vcc_lo
	v_cmp_le_u32_e32 vcc_lo, v37, v24
	v_add_nc_u32_e32 v22, v25, v22
	ds_bpermute_b32 v25, v35, v22
	s_waitcnt lgkmcnt(0)
	v_cndmask_b32_e32 v25, 0, v25, vcc_lo
	v_cmp_le_u32_e32 vcc_lo, v46, v24
	s_delay_alu instid0(VALU_DEP_2) | instskip(SKIP_4) | instid1(VALU_DEP_2)
	v_add_nc_u32_e32 v22, v22, v25
	ds_bpermute_b32 v25, v44, v22
	s_waitcnt lgkmcnt(0)
	v_cndmask_b32_e32 v25, 0, v25, vcc_lo
	v_cmp_le_u32_e32 vcc_lo, v48, v24
	v_add_nc_u32_e32 v22, v22, v25
	ds_bpermute_b32 v25, v47, v22
	s_waitcnt lgkmcnt(0)
	v_cndmask_b32_e32 v25, 0, v25, vcc_lo
	v_cmp_le_u32_e32 vcc_lo, v50, v24
	s_delay_alu instid0(VALU_DEP_2) | instskip(SKIP_3) | instid1(VALU_DEP_1)
	v_add_nc_u32_e32 v22, v22, v25
	ds_bpermute_b32 v25, v49, v22
	s_waitcnt lgkmcnt(0)
	v_cndmask_b32_e32 v24, 0, v25, vcc_lo
	v_add3_u32 v22, v24, v45, v22
.LBB1073_347:                           ; =>This Loop Header: Depth=1
                                        ;     Child Loop BB1073_350 Depth 2
                                        ;       Child Loop BB1073_351 Depth 3
	v_and_b32_e32 v23, 0xff, v23
	s_delay_alu instid0(VALU_DEP_2) | instskip(NEXT) | instid1(VALU_DEP_2)
	v_mov_b32_e32 v45, v22
	v_cmp_ne_u16_e32 vcc_lo, 2, v23
	v_cndmask_b32_e64 v23, 0, 1, vcc_lo
	;;#ASMSTART
	;;#ASMEND
	s_delay_alu instid0(VALU_DEP_1)
	v_cmp_ne_u32_e32 vcc_lo, 0, v23
	s_cmp_lg_u32 vcc_lo, exec_lo
	s_cbranch_scc1 .LBB1073_354
; %bb.348:                              ;   in Loop: Header=BB1073_347 Depth=1
	v_lshlrev_b64 v[22:23], 3, v[20:21]
	s_mov_b32 s19, exec_lo
	s_delay_alu instid0(VALU_DEP_1) | instskip(NEXT) | instid1(VALU_DEP_2)
	v_add_co_u32 v24, vcc_lo, s10, v22
	v_add_co_ci_u32_e32 v25, vcc_lo, s11, v23, vcc_lo
	global_load_b64 v[22:23], v[24:25], off glc
	s_waitcnt vmcnt(0)
	v_and_b32_e32 v51, 0xff, v23
	s_delay_alu instid0(VALU_DEP_1)
	v_cmpx_eq_u16_e32 0, v51
	s_cbranch_execz .LBB1073_346
; %bb.349:                              ;   in Loop: Header=BB1073_347 Depth=1
	s_mov_b32 s21, 1
	s_mov_b32 s20, 0
	.p2align	6
.LBB1073_350:                           ;   Parent Loop BB1073_347 Depth=1
                                        ; =>  This Loop Header: Depth=2
                                        ;       Child Loop BB1073_351 Depth 3
	s_max_u32 s22, s21, 1
.LBB1073_351:                           ;   Parent Loop BB1073_347 Depth=1
                                        ;     Parent Loop BB1073_350 Depth=2
                                        ; =>    This Inner Loop Header: Depth=3
	s_delay_alu instid0(SALU_CYCLE_1)
	s_add_i32 s22, s22, -1
	s_sleep 1
	s_cmp_eq_u32 s22, 0
	s_cbranch_scc0 .LBB1073_351
; %bb.352:                              ;   in Loop: Header=BB1073_350 Depth=2
	global_load_b64 v[22:23], v[24:25], off glc
	s_cmp_lt_u32 s21, 32
	s_cselect_b32 s22, -1, 0
	s_delay_alu instid0(SALU_CYCLE_1) | instskip(SKIP_3) | instid1(VALU_DEP_1)
	s_cmp_lg_u32 s22, 0
	s_addc_u32 s21, s21, 0
	s_waitcnt vmcnt(0)
	v_and_b32_e32 v51, 0xff, v23
	v_cmp_ne_u16_e32 vcc_lo, 0, v51
	s_or_b32 s20, vcc_lo, s20
	s_delay_alu instid0(SALU_CYCLE_1)
	s_and_not1_b32 exec_lo, exec_lo, s20
	s_cbranch_execnz .LBB1073_350
; %bb.353:                              ;   in Loop: Header=BB1073_347 Depth=1
	s_or_b32 exec_lo, exec_lo, s20
	s_branch .LBB1073_346
.LBB1073_354:                           ;   in Loop: Header=BB1073_347 Depth=1
                                        ; implicit-def: $vgpr22
                                        ; implicit-def: $vgpr23
	s_cbranch_execz .LBB1073_347
; %bb.355:
	s_and_saveexec_b32 s19, s8
	s_cbranch_execz .LBB1073_357
; %bb.356:
	s_add_i32 s20, s15, 32
	s_mov_b32 s21, 0
	v_dual_mov_b32 v21, 2 :: v_dual_add_nc_u32 v20, v45, v19
	s_lshl_b64 s[20:21], s[20:21], 3
	v_mov_b32_e32 v22, 0
	v_add_nc_u32_e64 v23, 0x8400, 0
	s_add_u32 s20, s10, s20
	s_addc_u32 s21, s11, s21
	global_store_b64 v22, v[20:21], s[20:21]
	ds_store_2addr_b32 v23, v19, v45 offset1:2
.LBB1073_357:
	s_or_b32 exec_lo, exec_lo, s19
	v_cmp_eq_u32_e32 vcc_lo, 0, v0
	s_and_b32 exec_lo, exec_lo, vcc_lo
	s_cbranch_execz .LBB1073_359
; %bb.358:
	v_mov_b32_e32 v19, 0
	ds_store_b32 v19, v45 offset:60
.LBB1073_359:
	s_or_b32 exec_lo, exec_lo, s9
	s_waitcnt lgkmcnt(0)
	v_cndmask_b32_e64 v20, v29, v27, s8
	v_cmp_ne_u32_e32 vcc_lo, 0, v0
	v_mov_b32_e32 v19, 0
	s_waitcnt_vscnt null, 0x0
	s_barrier
	buffer_gl0_inv
	v_cndmask_b32_e32 v20, 0, v20, vcc_lo
	ds_load_b32 v19, v19 offset:60
	s_waitcnt lgkmcnt(0)
	s_barrier
	buffer_gl0_inv
	v_add_nc_u32_e32 v37, v19, v20
	v_add_nc_u32_e64 v19, 0x8400, 0
	s_delay_alu instid0(VALU_DEP_2) | instskip(SKIP_2) | instid1(VALU_DEP_1)
	v_add_nc_u32_e32 v35, v37, v26
	ds_load_2addr_b32 v[19:20], v19 offset1:2
	v_add_nc_u32_e32 v33, v35, v28
	v_add_nc_u32_e32 v31, v33, v30
	s_delay_alu instid0(VALU_DEP_1) | instskip(NEXT) | instid1(VALU_DEP_1)
	v_add_nc_u32_e32 v29, v31, v32
	v_add_nc_u32_e32 v27, v29, v34
	s_delay_alu instid0(VALU_DEP_1) | instskip(NEXT) | instid1(VALU_DEP_1)
	v_add_nc_u32_e32 v25, v27, v36
	v_add_nc_u32_e32 v23, v25, v38
	s_load_b64 s[8:9], s[0:1], 0x28
	v_lshrrev_b64 v[21:22], 24, v[17:18]
	s_branch .LBB1073_370
.LBB1073_360:
                                        ; implicit-def: $vgpr23
                                        ; implicit-def: $vgpr25
                                        ; implicit-def: $vgpr27
                                        ; implicit-def: $vgpr29
                                        ; implicit-def: $vgpr31
                                        ; implicit-def: $vgpr33
                                        ; implicit-def: $vgpr35
                                        ; implicit-def: $vgpr37
                                        ; implicit-def: $vgpr20
	s_load_b64 s[8:9], s[0:1], 0x28
	v_lshrrev_b64 v[21:22], 24, v[17:18]
	s_and_b32 vcc_lo, exec_lo, s19
	s_cbranch_vccz .LBB1073_370
; %bb.361:
	s_waitcnt lgkmcnt(0)
	v_mov_b32_dpp v19, v43 row_shr:1 row_mask:0xf bank_mask:0xf
	s_delay_alu instid0(VALU_DEP_1) | instskip(NEXT) | instid1(VALU_DEP_1)
	v_cndmask_b32_e64 v19, v19, 0, s4
	v_add_nc_u32_e32 v19, v19, v43
	s_delay_alu instid0(VALU_DEP_1) | instskip(NEXT) | instid1(VALU_DEP_1)
	v_mov_b32_dpp v20, v19 row_shr:2 row_mask:0xf bank_mask:0xf
	v_cndmask_b32_e64 v20, 0, v20, s2
	s_delay_alu instid0(VALU_DEP_1) | instskip(NEXT) | instid1(VALU_DEP_1)
	v_add_nc_u32_e32 v19, v19, v20
	v_mov_b32_dpp v20, v19 row_shr:4 row_mask:0xf bank_mask:0xf
	s_delay_alu instid0(VALU_DEP_1) | instskip(NEXT) | instid1(VALU_DEP_1)
	v_cndmask_b32_e64 v20, 0, v20, s5
	v_add_nc_u32_e32 v19, v19, v20
	s_delay_alu instid0(VALU_DEP_1) | instskip(NEXT) | instid1(VALU_DEP_1)
	v_mov_b32_dpp v20, v19 row_shr:8 row_mask:0xf bank_mask:0xf
	v_cndmask_b32_e64 v20, 0, v20, s3
	s_delay_alu instid0(VALU_DEP_1) | instskip(SKIP_3) | instid1(VALU_DEP_1)
	v_add_nc_u32_e32 v19, v19, v20
	ds_swizzle_b32 v20, v19 offset:swizzle(BROADCAST,32,15)
	s_waitcnt lgkmcnt(0)
	v_cndmask_b32_e64 v20, v20, 0, s7
	v_add_nc_u32_e32 v19, v19, v20
	s_and_saveexec_b32 s0, s6
	s_cbranch_execz .LBB1073_363
; %bb.362:
	v_lshlrev_b32_e32 v20, 2, v42
	ds_store_b32 v20, v19
.LBB1073_363:
	s_or_b32 exec_lo, exec_lo, s0
	s_delay_alu instid0(SALU_CYCLE_1)
	s_mov_b32 s0, exec_lo
	s_waitcnt lgkmcnt(0)
	s_barrier
	buffer_gl0_inv
	v_cmpx_gt_u32_e32 16, v0
	s_cbranch_execz .LBB1073_365
; %bb.364:
	v_lshlrev_b32_e32 v20, 2, v0
	ds_load_b32 v22, v20
	s_waitcnt lgkmcnt(0)
	v_mov_b32_dpp v23, v22 row_shr:1 row_mask:0xf bank_mask:0xf
	s_delay_alu instid0(VALU_DEP_1) | instskip(NEXT) | instid1(VALU_DEP_1)
	v_cndmask_b32_e64 v23, v23, 0, s4
	v_add_nc_u32_e32 v22, v23, v22
	s_delay_alu instid0(VALU_DEP_1) | instskip(NEXT) | instid1(VALU_DEP_1)
	v_mov_b32_dpp v23, v22 row_shr:2 row_mask:0xf bank_mask:0xf
	v_cndmask_b32_e64 v23, 0, v23, s2
	s_delay_alu instid0(VALU_DEP_1) | instskip(NEXT) | instid1(VALU_DEP_1)
	v_add_nc_u32_e32 v22, v22, v23
	v_mov_b32_dpp v23, v22 row_shr:4 row_mask:0xf bank_mask:0xf
	s_delay_alu instid0(VALU_DEP_1) | instskip(NEXT) | instid1(VALU_DEP_1)
	v_cndmask_b32_e64 v23, 0, v23, s5
	v_add_nc_u32_e32 v22, v22, v23
	s_delay_alu instid0(VALU_DEP_1) | instskip(NEXT) | instid1(VALU_DEP_1)
	v_mov_b32_dpp v23, v22 row_shr:8 row_mask:0xf bank_mask:0xf
	v_cndmask_b32_e64 v23, 0, v23, s3
	s_delay_alu instid0(VALU_DEP_1)
	v_add_nc_u32_e32 v22, v22, v23
	ds_store_b32 v20, v22
.LBB1073_365:
	s_or_b32 exec_lo, exec_lo, s0
	v_mov_b32_e32 v20, 0
	v_mov_b32_e32 v22, 0
	s_mov_b32 s0, exec_lo
	s_waitcnt lgkmcnt(0)
	s_barrier
	buffer_gl0_inv
	v_cmpx_lt_u32_e32 31, v0
	s_cbranch_execz .LBB1073_367
; %bb.366:
	v_lshl_add_u32 v22, v42, 2, -4
	ds_load_b32 v22, v22
.LBB1073_367:
	s_or_b32 exec_lo, exec_lo, s0
	v_add_nc_u32_e32 v23, -1, v41
	s_waitcnt lgkmcnt(0)
	v_add_nc_u32_e32 v19, v22, v19
	s_delay_alu instid0(VALU_DEP_2) | instskip(SKIP_2) | instid1(VALU_DEP_2)
	v_cmp_gt_i32_e32 vcc_lo, 0, v23
	v_cndmask_b32_e32 v23, v23, v41, vcc_lo
	v_cmp_eq_u32_e32 vcc_lo, 0, v0
	v_lshlrev_b32_e32 v23, 2, v23
	ds_bpermute_b32 v23, v23, v19
	ds_load_b32 v19, v20 offset:60
	s_and_saveexec_b32 s0, vcc_lo
	s_cbranch_execz .LBB1073_369
; %bb.368:
	v_mov_b32_e32 v24, 0
	v_mov_b32_e32 v20, 2
	s_waitcnt lgkmcnt(0)
	global_store_b64 v24, v[19:20], s[10:11] offset:256
.LBB1073_369:
	s_or_b32 exec_lo, exec_lo, s0
	v_cmp_eq_u32_e64 s0, 0, v41
	s_waitcnt lgkmcnt(0)
	s_waitcnt_vscnt null, 0x0
	s_barrier
	buffer_gl0_inv
	v_cndmask_b32_e64 v20, v23, v22, s0
	s_delay_alu instid0(VALU_DEP_1) | instskip(NEXT) | instid1(VALU_DEP_1)
	v_cndmask_b32_e64 v37, v20, 0, vcc_lo
	v_dual_mov_b32 v20, 0 :: v_dual_add_nc_u32 v35, v37, v26
	s_delay_alu instid0(VALU_DEP_1) | instskip(NEXT) | instid1(VALU_DEP_1)
	v_add_nc_u32_e32 v33, v35, v28
	v_add_nc_u32_e32 v31, v33, v30
	s_delay_alu instid0(VALU_DEP_1) | instskip(NEXT) | instid1(VALU_DEP_1)
	v_add_nc_u32_e32 v29, v31, v32
	v_add_nc_u32_e32 v27, v29, v34
	;; [unrolled: 3-line block ×3, first 2 shown]
.LBB1073_370:
	s_waitcnt lgkmcnt(0)
	v_cmp_gt_u32_e32 vcc_lo, 0x201, v19
	v_lshrrev_b32_e32 v43, 8, v17
	v_lshrrev_b32_e32 v42, 16, v17
	;; [unrolled: 1-line block ×4, first 2 shown]
	s_mov_b32 s0, -1
	s_cbranch_vccnz .LBB1073_374
; %bb.371:
	s_and_b32 vcc_lo, exec_lo, s0
	s_cbranch_vccnz .LBB1073_399
.LBB1073_372:
	v_cmp_eq_u32_e32 vcc_lo, 0, v0
	s_and_b32 s0, vcc_lo, s14
	s_delay_alu instid0(SALU_CYCLE_1)
	s_and_saveexec_b32 s1, s0
	s_cbranch_execnz .LBB1073_419
.LBB1073_373:
	s_nop 0
	s_sendmsg sendmsg(MSG_DEALLOC_VGPRS)
	s_endpgm
.LBB1073_374:
	v_add_nc_u32_e32 v24, v20, v19
	s_delay_alu instid0(VALU_DEP_1) | instskip(SKIP_1) | instid1(SALU_CYCLE_1)
	v_cmp_lt_u32_e32 vcc_lo, v37, v24
	s_or_b32 s1, s18, vcc_lo
	s_and_saveexec_b32 s0, s1
	s_cbranch_execz .LBB1073_377
; %bb.375:
	v_and_b32_e32 v26, 1, v17
	s_delay_alu instid0(VALU_DEP_1)
	v_cmp_eq_u32_e32 vcc_lo, 1, v26
	s_and_b32 exec_lo, exec_lo, vcc_lo
	s_cbranch_execz .LBB1073_377
; %bb.376:
	v_mov_b32_e32 v38, 0
	s_lshl_b64 s[2:3], s[12:13], 3
	s_delay_alu instid0(SALU_CYCLE_1) | instskip(SKIP_1) | instid1(VALU_DEP_1)
	s_add_u32 s1, s8, s2
	s_addc_u32 s2, s9, s3
	v_lshlrev_b64 v[44:45], 3, v[37:38]
	s_delay_alu instid0(VALU_DEP_1) | instskip(NEXT) | instid1(VALU_DEP_2)
	v_add_co_u32 v44, vcc_lo, s1, v44
	v_add_co_ci_u32_e32 v45, vcc_lo, s2, v45, vcc_lo
	global_store_b64 v[44:45], v[13:14], off
.LBB1073_377:
	s_or_b32 exec_lo, exec_lo, s0
	v_cmp_lt_u32_e32 vcc_lo, v35, v24
	s_or_b32 s1, s18, vcc_lo
	s_delay_alu instid0(SALU_CYCLE_1)
	s_and_saveexec_b32 s0, s1
	s_cbranch_execz .LBB1073_380
; %bb.378:
	v_and_b32_e32 v26, 1, v43
	s_delay_alu instid0(VALU_DEP_1)
	v_cmp_eq_u32_e32 vcc_lo, 1, v26
	s_and_b32 exec_lo, exec_lo, vcc_lo
	s_cbranch_execz .LBB1073_380
; %bb.379:
	v_mov_b32_e32 v36, 0
	s_lshl_b64 s[2:3], s[12:13], 3
	s_delay_alu instid0(SALU_CYCLE_1) | instskip(SKIP_1) | instid1(VALU_DEP_1)
	s_add_u32 s1, s8, s2
	s_addc_u32 s2, s9, s3
	v_lshlrev_b64 v[44:45], 3, v[35:36]
	s_delay_alu instid0(VALU_DEP_1) | instskip(NEXT) | instid1(VALU_DEP_2)
	v_add_co_u32 v44, vcc_lo, s1, v44
	v_add_co_ci_u32_e32 v45, vcc_lo, s2, v45, vcc_lo
	global_store_b64 v[44:45], v[15:16], off
.LBB1073_380:
	s_or_b32 exec_lo, exec_lo, s0
	v_cmp_lt_u32_e32 vcc_lo, v33, v24
	s_or_b32 s1, s18, vcc_lo
	s_delay_alu instid0(SALU_CYCLE_1)
	;; [unrolled: 24-line block ×7, first 2 shown]
	s_and_saveexec_b32 s0, s1
	s_cbranch_execz .LBB1073_398
; %bb.396:
	v_and_b32_e32 v24, 1, v40
	s_delay_alu instid0(VALU_DEP_1)
	v_cmp_eq_u32_e32 vcc_lo, 1, v24
	s_and_b32 exec_lo, exec_lo, vcc_lo
	s_cbranch_execz .LBB1073_398
; %bb.397:
	v_mov_b32_e32 v24, 0
	s_lshl_b64 s[2:3], s[12:13], 3
	s_delay_alu instid0(SALU_CYCLE_1) | instskip(SKIP_1) | instid1(VALU_DEP_1)
	s_add_u32 s1, s8, s2
	s_addc_u32 s2, s9, s3
	v_lshlrev_b64 v[44:45], 3, v[23:24]
	s_delay_alu instid0(VALU_DEP_1) | instskip(NEXT) | instid1(VALU_DEP_2)
	v_add_co_u32 v44, vcc_lo, s1, v44
	v_add_co_ci_u32_e32 v45, vcc_lo, s2, v45, vcc_lo
	global_store_b64 v[44:45], v[3:4], off
.LBB1073_398:
	s_or_b32 exec_lo, exec_lo, s0
	s_branch .LBB1073_372
.LBB1073_399:
	v_and_b32_e32 v17, 1, v17
	s_mov_b32 s0, exec_lo
	s_delay_alu instid0(VALU_DEP_1)
	v_cmpx_eq_u32_e32 1, v17
	s_cbranch_execz .LBB1073_401
; %bb.400:
	v_sub_nc_u32_e32 v17, v37, v20
	s_delay_alu instid0(VALU_DEP_1)
	v_lshlrev_b32_e32 v17, 3, v17
	ds_store_b64 v17, v[13:14]
.LBB1073_401:
	s_or_b32 exec_lo, exec_lo, s0
	v_and_b32_e32 v13, 1, v43
	s_mov_b32 s0, exec_lo
	s_delay_alu instid0(VALU_DEP_1)
	v_cmpx_eq_u32_e32 1, v13
	s_cbranch_execz .LBB1073_403
; %bb.402:
	v_sub_nc_u32_e32 v13, v35, v20
	s_delay_alu instid0(VALU_DEP_1)
	v_lshlrev_b32_e32 v13, 3, v13
	ds_store_b64 v13, v[15:16]
.LBB1073_403:
	s_or_b32 exec_lo, exec_lo, s0
	v_and_b32_e32 v13, 1, v42
	s_mov_b32 s0, exec_lo
	s_delay_alu instid0(VALU_DEP_1)
	v_cmpx_eq_u32_e32 1, v13
	s_cbranch_execz .LBB1073_405
; %bb.404:
	v_sub_nc_u32_e32 v13, v33, v20
	s_delay_alu instid0(VALU_DEP_1)
	v_lshlrev_b32_e32 v13, 3, v13
	ds_store_b64 v13, v[9:10]
.LBB1073_405:
	s_or_b32 exec_lo, exec_lo, s0
	v_and_b32_e32 v9, 1, v21
	s_mov_b32 s0, exec_lo
	s_delay_alu instid0(VALU_DEP_1)
	v_cmpx_eq_u32_e32 1, v9
	s_cbranch_execz .LBB1073_407
; %bb.406:
	v_sub_nc_u32_e32 v9, v31, v20
	s_delay_alu instid0(VALU_DEP_1)
	v_lshlrev_b32_e32 v9, 3, v9
	ds_store_b64 v9, v[11:12]
.LBB1073_407:
	s_or_b32 exec_lo, exec_lo, s0
	v_and_b32_e32 v9, 1, v18
	s_mov_b32 s0, exec_lo
	s_delay_alu instid0(VALU_DEP_1)
	v_cmpx_eq_u32_e32 1, v9
	s_cbranch_execz .LBB1073_409
; %bb.408:
	v_sub_nc_u32_e32 v9, v29, v20
	s_delay_alu instid0(VALU_DEP_1)
	v_lshlrev_b32_e32 v9, 3, v9
	ds_store_b64 v9, v[5:6]
.LBB1073_409:
	s_or_b32 exec_lo, exec_lo, s0
	v_and_b32_e32 v5, 1, v41
	s_mov_b32 s0, exec_lo
	s_delay_alu instid0(VALU_DEP_1)
	v_cmpx_eq_u32_e32 1, v5
	s_cbranch_execz .LBB1073_411
; %bb.410:
	v_sub_nc_u32_e32 v5, v27, v20
	s_delay_alu instid0(VALU_DEP_1)
	v_lshlrev_b32_e32 v5, 3, v5
	ds_store_b64 v5, v[7:8]
.LBB1073_411:
	s_or_b32 exec_lo, exec_lo, s0
	v_and_b32_e32 v5, 1, v22
	s_mov_b32 s0, exec_lo
	s_delay_alu instid0(VALU_DEP_1)
	v_cmpx_eq_u32_e32 1, v5
	s_cbranch_execz .LBB1073_413
; %bb.412:
	v_sub_nc_u32_e32 v5, v25, v20
	s_delay_alu instid0(VALU_DEP_1)
	v_lshlrev_b32_e32 v5, 3, v5
	ds_store_b64 v5, v[1:2]
.LBB1073_413:
	s_or_b32 exec_lo, exec_lo, s0
	v_and_b32_e32 v1, 1, v40
	s_mov_b32 s0, exec_lo
	s_delay_alu instid0(VALU_DEP_1)
	v_cmpx_eq_u32_e32 1, v1
	s_cbranch_execz .LBB1073_415
; %bb.414:
	v_sub_nc_u32_e32 v1, v23, v20
	s_delay_alu instid0(VALU_DEP_1)
	v_lshlrev_b32_e32 v1, 3, v1
	ds_store_b64 v1, v[3:4]
.LBB1073_415:
	s_or_b32 exec_lo, exec_lo, s0
	s_delay_alu instid0(SALU_CYCLE_1)
	s_mov_b32 s1, exec_lo
	s_waitcnt lgkmcnt(0)
	s_waitcnt_vscnt null, 0x0
	s_barrier
	buffer_gl0_inv
	v_cmpx_lt_u32_e64 v0, v19
	s_cbranch_execz .LBB1073_418
; %bb.416:
	v_dual_mov_b32 v2, 0 :: v_dual_mov_b32 v1, v20
	s_lshl_b64 s[2:3], s[12:13], 3
	v_mov_b32_e32 v3, v0
	s_delay_alu instid0(VALU_DEP_2) | instskip(NEXT) | instid1(VALU_DEP_1)
	v_lshlrev_b64 v[1:2], 3, v[1:2]
	v_add_co_u32 v1, vcc_lo, s2, v1
	s_delay_alu instid0(VALU_DEP_2) | instskip(SKIP_1) | instid1(VALU_DEP_2)
	v_add_co_ci_u32_e32 v2, vcc_lo, s3, v2, vcc_lo
	s_mov_b32 s2, 0
	v_add_co_u32 v1, vcc_lo, s8, v1
	s_delay_alu instid0(VALU_DEP_2) | instskip(NEXT) | instid1(VALU_DEP_2)
	v_add_co_ci_u32_e32 v2, vcc_lo, s9, v2, vcc_lo
	v_add_co_u32 v1, vcc_lo, v1, v39
	s_delay_alu instid0(VALU_DEP_2)
	v_add_co_ci_u32_e32 v2, vcc_lo, 0, v2, vcc_lo
	.p2align	6
.LBB1073_417:                           ; =>This Inner Loop Header: Depth=1
	ds_load_b64 v[4:5], v39
	v_add_nc_u32_e32 v3, 0x200, v3
	v_add_nc_u32_e32 v39, 0x1000, v39
	s_delay_alu instid0(VALU_DEP_2) | instskip(SKIP_4) | instid1(VALU_DEP_1)
	v_cmp_ge_u32_e32 vcc_lo, v3, v19
	s_or_b32 s2, vcc_lo, s2
	s_waitcnt lgkmcnt(0)
	global_store_b64 v[1:2], v[4:5], off
	v_add_co_u32 v1, s0, 0x1000, v1
	v_add_co_ci_u32_e64 v2, s0, 0, v2, s0
	s_and_not1_b32 exec_lo, exec_lo, s2
	s_cbranch_execnz .LBB1073_417
.LBB1073_418:
	s_or_b32 exec_lo, exec_lo, s1
	v_cmp_eq_u32_e32 vcc_lo, 0, v0
	s_and_b32 s0, vcc_lo, s14
	s_delay_alu instid0(SALU_CYCLE_1)
	s_and_saveexec_b32 s1, s0
	s_cbranch_execz .LBB1073_373
.LBB1073_419:
	v_add_co_u32 v0, s0, s12, v19
	s_delay_alu instid0(VALU_DEP_1) | instskip(SKIP_1) | instid1(VALU_DEP_3)
	v_add_co_ci_u32_e64 v1, null, s13, 0, s0
	v_mov_b32_e32 v2, 0
	v_add_co_u32 v0, vcc_lo, v0, v20
	s_delay_alu instid0(VALU_DEP_3)
	v_add_co_ci_u32_e32 v1, vcc_lo, 0, v1, vcc_lo
	global_store_b64 v2, v[0:1], s[16:17]
	s_nop 0
	s_sendmsg sendmsg(MSG_DEALLOC_VGPRS)
	s_endpgm
	.section	.rodata,"a",@progbits
	.p2align	6, 0x0
	.amdhsa_kernel _ZN7rocprim17ROCPRIM_400000_NS6detail17trampoline_kernelINS0_14default_configENS1_25partition_config_selectorILNS1_17partition_subalgoE8ElNS0_10empty_typeEbEEZZNS1_14partition_implILS5_8ELb0ES3_jPlPS6_PKS6_NS0_5tupleIJS9_S6_EEENSD_IJSA_SA_EEENS0_18inequality_wrapperIZN2at6native12_GLOBAL__N_124unique_dim_cuda_templateIbEESt5tupleIJNSH_6TensorESM_SM_EERKSM_lbbbEUlllE0_EEPmJS6_EEE10hipError_tPvRmT3_T4_T5_T6_T7_T9_mT8_P12ihipStream_tbDpT10_ENKUlT_T0_E_clISt17integral_constantIbLb1EES1B_IbLb0EEEEDaS17_S18_EUlS17_E_NS1_11comp_targetILNS1_3genE9ELNS1_11target_archE1100ELNS1_3gpuE3ELNS1_3repE0EEENS1_30default_config_static_selectorELNS0_4arch9wavefront6targetE0EEEvT1_
		.amdhsa_group_segment_fixed_size 33804
		.amdhsa_private_segment_fixed_size 0
		.amdhsa_kernarg_size 120
		.amdhsa_user_sgpr_count 15
		.amdhsa_user_sgpr_dispatch_ptr 0
		.amdhsa_user_sgpr_queue_ptr 0
		.amdhsa_user_sgpr_kernarg_segment_ptr 1
		.amdhsa_user_sgpr_dispatch_id 0
		.amdhsa_user_sgpr_private_segment_size 0
		.amdhsa_wavefront_size32 1
		.amdhsa_uses_dynamic_stack 0
		.amdhsa_enable_private_segment 0
		.amdhsa_system_sgpr_workgroup_id_x 1
		.amdhsa_system_sgpr_workgroup_id_y 0
		.amdhsa_system_sgpr_workgroup_id_z 0
		.amdhsa_system_sgpr_workgroup_info 0
		.amdhsa_system_vgpr_workitem_id 0
		.amdhsa_next_free_vgpr 52
		.amdhsa_next_free_sgpr 37
		.amdhsa_reserve_vcc 1
		.amdhsa_float_round_mode_32 0
		.amdhsa_float_round_mode_16_64 0
		.amdhsa_float_denorm_mode_32 3
		.amdhsa_float_denorm_mode_16_64 3
		.amdhsa_dx10_clamp 1
		.amdhsa_ieee_mode 1
		.amdhsa_fp16_overflow 0
		.amdhsa_workgroup_processor_mode 1
		.amdhsa_memory_ordered 1
		.amdhsa_forward_progress 0
		.amdhsa_shared_vgpr_count 0
		.amdhsa_exception_fp_ieee_invalid_op 0
		.amdhsa_exception_fp_denorm_src 0
		.amdhsa_exception_fp_ieee_div_zero 0
		.amdhsa_exception_fp_ieee_overflow 0
		.amdhsa_exception_fp_ieee_underflow 0
		.amdhsa_exception_fp_ieee_inexact 0
		.amdhsa_exception_int_div_zero 0
	.end_amdhsa_kernel
	.section	.text._ZN7rocprim17ROCPRIM_400000_NS6detail17trampoline_kernelINS0_14default_configENS1_25partition_config_selectorILNS1_17partition_subalgoE8ElNS0_10empty_typeEbEEZZNS1_14partition_implILS5_8ELb0ES3_jPlPS6_PKS6_NS0_5tupleIJS9_S6_EEENSD_IJSA_SA_EEENS0_18inequality_wrapperIZN2at6native12_GLOBAL__N_124unique_dim_cuda_templateIbEESt5tupleIJNSH_6TensorESM_SM_EERKSM_lbbbEUlllE0_EEPmJS6_EEE10hipError_tPvRmT3_T4_T5_T6_T7_T9_mT8_P12ihipStream_tbDpT10_ENKUlT_T0_E_clISt17integral_constantIbLb1EES1B_IbLb0EEEEDaS17_S18_EUlS17_E_NS1_11comp_targetILNS1_3genE9ELNS1_11target_archE1100ELNS1_3gpuE3ELNS1_3repE0EEENS1_30default_config_static_selectorELNS0_4arch9wavefront6targetE0EEEvT1_,"axG",@progbits,_ZN7rocprim17ROCPRIM_400000_NS6detail17trampoline_kernelINS0_14default_configENS1_25partition_config_selectorILNS1_17partition_subalgoE8ElNS0_10empty_typeEbEEZZNS1_14partition_implILS5_8ELb0ES3_jPlPS6_PKS6_NS0_5tupleIJS9_S6_EEENSD_IJSA_SA_EEENS0_18inequality_wrapperIZN2at6native12_GLOBAL__N_124unique_dim_cuda_templateIbEESt5tupleIJNSH_6TensorESM_SM_EERKSM_lbbbEUlllE0_EEPmJS6_EEE10hipError_tPvRmT3_T4_T5_T6_T7_T9_mT8_P12ihipStream_tbDpT10_ENKUlT_T0_E_clISt17integral_constantIbLb1EES1B_IbLb0EEEEDaS17_S18_EUlS17_E_NS1_11comp_targetILNS1_3genE9ELNS1_11target_archE1100ELNS1_3gpuE3ELNS1_3repE0EEENS1_30default_config_static_selectorELNS0_4arch9wavefront6targetE0EEEvT1_,comdat
.Lfunc_end1073:
	.size	_ZN7rocprim17ROCPRIM_400000_NS6detail17trampoline_kernelINS0_14default_configENS1_25partition_config_selectorILNS1_17partition_subalgoE8ElNS0_10empty_typeEbEEZZNS1_14partition_implILS5_8ELb0ES3_jPlPS6_PKS6_NS0_5tupleIJS9_S6_EEENSD_IJSA_SA_EEENS0_18inequality_wrapperIZN2at6native12_GLOBAL__N_124unique_dim_cuda_templateIbEESt5tupleIJNSH_6TensorESM_SM_EERKSM_lbbbEUlllE0_EEPmJS6_EEE10hipError_tPvRmT3_T4_T5_T6_T7_T9_mT8_P12ihipStream_tbDpT10_ENKUlT_T0_E_clISt17integral_constantIbLb1EES1B_IbLb0EEEEDaS17_S18_EUlS17_E_NS1_11comp_targetILNS1_3genE9ELNS1_11target_archE1100ELNS1_3gpuE3ELNS1_3repE0EEENS1_30default_config_static_selectorELNS0_4arch9wavefront6targetE0EEEvT1_, .Lfunc_end1073-_ZN7rocprim17ROCPRIM_400000_NS6detail17trampoline_kernelINS0_14default_configENS1_25partition_config_selectorILNS1_17partition_subalgoE8ElNS0_10empty_typeEbEEZZNS1_14partition_implILS5_8ELb0ES3_jPlPS6_PKS6_NS0_5tupleIJS9_S6_EEENSD_IJSA_SA_EEENS0_18inequality_wrapperIZN2at6native12_GLOBAL__N_124unique_dim_cuda_templateIbEESt5tupleIJNSH_6TensorESM_SM_EERKSM_lbbbEUlllE0_EEPmJS6_EEE10hipError_tPvRmT3_T4_T5_T6_T7_T9_mT8_P12ihipStream_tbDpT10_ENKUlT_T0_E_clISt17integral_constantIbLb1EES1B_IbLb0EEEEDaS17_S18_EUlS17_E_NS1_11comp_targetILNS1_3genE9ELNS1_11target_archE1100ELNS1_3gpuE3ELNS1_3repE0EEENS1_30default_config_static_selectorELNS0_4arch9wavefront6targetE0EEEvT1_
                                        ; -- End function
	.section	.AMDGPU.csdata,"",@progbits
; Kernel info:
; codeLenInByte = 17648
; NumSgprs: 39
; NumVgprs: 52
; ScratchSize: 0
; MemoryBound: 0
; FloatMode: 240
; IeeeMode: 1
; LDSByteSize: 33804 bytes/workgroup (compile time only)
; SGPRBlocks: 4
; VGPRBlocks: 6
; NumSGPRsForWavesPerEU: 39
; NumVGPRsForWavesPerEU: 52
; Occupancy: 12
; WaveLimiterHint : 1
; COMPUTE_PGM_RSRC2:SCRATCH_EN: 0
; COMPUTE_PGM_RSRC2:USER_SGPR: 15
; COMPUTE_PGM_RSRC2:TRAP_HANDLER: 0
; COMPUTE_PGM_RSRC2:TGID_X_EN: 1
; COMPUTE_PGM_RSRC2:TGID_Y_EN: 0
; COMPUTE_PGM_RSRC2:TGID_Z_EN: 0
; COMPUTE_PGM_RSRC2:TIDIG_COMP_CNT: 0
	.section	.text._ZN7rocprim17ROCPRIM_400000_NS6detail17trampoline_kernelINS0_14default_configENS1_25partition_config_selectorILNS1_17partition_subalgoE8ElNS0_10empty_typeEbEEZZNS1_14partition_implILS5_8ELb0ES3_jPlPS6_PKS6_NS0_5tupleIJS9_S6_EEENSD_IJSA_SA_EEENS0_18inequality_wrapperIZN2at6native12_GLOBAL__N_124unique_dim_cuda_templateIbEESt5tupleIJNSH_6TensorESM_SM_EERKSM_lbbbEUlllE0_EEPmJS6_EEE10hipError_tPvRmT3_T4_T5_T6_T7_T9_mT8_P12ihipStream_tbDpT10_ENKUlT_T0_E_clISt17integral_constantIbLb1EES1B_IbLb0EEEEDaS17_S18_EUlS17_E_NS1_11comp_targetILNS1_3genE8ELNS1_11target_archE1030ELNS1_3gpuE2ELNS1_3repE0EEENS1_30default_config_static_selectorELNS0_4arch9wavefront6targetE0EEEvT1_,"axG",@progbits,_ZN7rocprim17ROCPRIM_400000_NS6detail17trampoline_kernelINS0_14default_configENS1_25partition_config_selectorILNS1_17partition_subalgoE8ElNS0_10empty_typeEbEEZZNS1_14partition_implILS5_8ELb0ES3_jPlPS6_PKS6_NS0_5tupleIJS9_S6_EEENSD_IJSA_SA_EEENS0_18inequality_wrapperIZN2at6native12_GLOBAL__N_124unique_dim_cuda_templateIbEESt5tupleIJNSH_6TensorESM_SM_EERKSM_lbbbEUlllE0_EEPmJS6_EEE10hipError_tPvRmT3_T4_T5_T6_T7_T9_mT8_P12ihipStream_tbDpT10_ENKUlT_T0_E_clISt17integral_constantIbLb1EES1B_IbLb0EEEEDaS17_S18_EUlS17_E_NS1_11comp_targetILNS1_3genE8ELNS1_11target_archE1030ELNS1_3gpuE2ELNS1_3repE0EEENS1_30default_config_static_selectorELNS0_4arch9wavefront6targetE0EEEvT1_,comdat
	.globl	_ZN7rocprim17ROCPRIM_400000_NS6detail17trampoline_kernelINS0_14default_configENS1_25partition_config_selectorILNS1_17partition_subalgoE8ElNS0_10empty_typeEbEEZZNS1_14partition_implILS5_8ELb0ES3_jPlPS6_PKS6_NS0_5tupleIJS9_S6_EEENSD_IJSA_SA_EEENS0_18inequality_wrapperIZN2at6native12_GLOBAL__N_124unique_dim_cuda_templateIbEESt5tupleIJNSH_6TensorESM_SM_EERKSM_lbbbEUlllE0_EEPmJS6_EEE10hipError_tPvRmT3_T4_T5_T6_T7_T9_mT8_P12ihipStream_tbDpT10_ENKUlT_T0_E_clISt17integral_constantIbLb1EES1B_IbLb0EEEEDaS17_S18_EUlS17_E_NS1_11comp_targetILNS1_3genE8ELNS1_11target_archE1030ELNS1_3gpuE2ELNS1_3repE0EEENS1_30default_config_static_selectorELNS0_4arch9wavefront6targetE0EEEvT1_ ; -- Begin function _ZN7rocprim17ROCPRIM_400000_NS6detail17trampoline_kernelINS0_14default_configENS1_25partition_config_selectorILNS1_17partition_subalgoE8ElNS0_10empty_typeEbEEZZNS1_14partition_implILS5_8ELb0ES3_jPlPS6_PKS6_NS0_5tupleIJS9_S6_EEENSD_IJSA_SA_EEENS0_18inequality_wrapperIZN2at6native12_GLOBAL__N_124unique_dim_cuda_templateIbEESt5tupleIJNSH_6TensorESM_SM_EERKSM_lbbbEUlllE0_EEPmJS6_EEE10hipError_tPvRmT3_T4_T5_T6_T7_T9_mT8_P12ihipStream_tbDpT10_ENKUlT_T0_E_clISt17integral_constantIbLb1EES1B_IbLb0EEEEDaS17_S18_EUlS17_E_NS1_11comp_targetILNS1_3genE8ELNS1_11target_archE1030ELNS1_3gpuE2ELNS1_3repE0EEENS1_30default_config_static_selectorELNS0_4arch9wavefront6targetE0EEEvT1_
	.p2align	8
	.type	_ZN7rocprim17ROCPRIM_400000_NS6detail17trampoline_kernelINS0_14default_configENS1_25partition_config_selectorILNS1_17partition_subalgoE8ElNS0_10empty_typeEbEEZZNS1_14partition_implILS5_8ELb0ES3_jPlPS6_PKS6_NS0_5tupleIJS9_S6_EEENSD_IJSA_SA_EEENS0_18inequality_wrapperIZN2at6native12_GLOBAL__N_124unique_dim_cuda_templateIbEESt5tupleIJNSH_6TensorESM_SM_EERKSM_lbbbEUlllE0_EEPmJS6_EEE10hipError_tPvRmT3_T4_T5_T6_T7_T9_mT8_P12ihipStream_tbDpT10_ENKUlT_T0_E_clISt17integral_constantIbLb1EES1B_IbLb0EEEEDaS17_S18_EUlS17_E_NS1_11comp_targetILNS1_3genE8ELNS1_11target_archE1030ELNS1_3gpuE2ELNS1_3repE0EEENS1_30default_config_static_selectorELNS0_4arch9wavefront6targetE0EEEvT1_,@function
_ZN7rocprim17ROCPRIM_400000_NS6detail17trampoline_kernelINS0_14default_configENS1_25partition_config_selectorILNS1_17partition_subalgoE8ElNS0_10empty_typeEbEEZZNS1_14partition_implILS5_8ELb0ES3_jPlPS6_PKS6_NS0_5tupleIJS9_S6_EEENSD_IJSA_SA_EEENS0_18inequality_wrapperIZN2at6native12_GLOBAL__N_124unique_dim_cuda_templateIbEESt5tupleIJNSH_6TensorESM_SM_EERKSM_lbbbEUlllE0_EEPmJS6_EEE10hipError_tPvRmT3_T4_T5_T6_T7_T9_mT8_P12ihipStream_tbDpT10_ENKUlT_T0_E_clISt17integral_constantIbLb1EES1B_IbLb0EEEEDaS17_S18_EUlS17_E_NS1_11comp_targetILNS1_3genE8ELNS1_11target_archE1030ELNS1_3gpuE2ELNS1_3repE0EEENS1_30default_config_static_selectorELNS0_4arch9wavefront6targetE0EEEvT1_: ; @_ZN7rocprim17ROCPRIM_400000_NS6detail17trampoline_kernelINS0_14default_configENS1_25partition_config_selectorILNS1_17partition_subalgoE8ElNS0_10empty_typeEbEEZZNS1_14partition_implILS5_8ELb0ES3_jPlPS6_PKS6_NS0_5tupleIJS9_S6_EEENSD_IJSA_SA_EEENS0_18inequality_wrapperIZN2at6native12_GLOBAL__N_124unique_dim_cuda_templateIbEESt5tupleIJNSH_6TensorESM_SM_EERKSM_lbbbEUlllE0_EEPmJS6_EEE10hipError_tPvRmT3_T4_T5_T6_T7_T9_mT8_P12ihipStream_tbDpT10_ENKUlT_T0_E_clISt17integral_constantIbLb1EES1B_IbLb0EEEEDaS17_S18_EUlS17_E_NS1_11comp_targetILNS1_3genE8ELNS1_11target_archE1030ELNS1_3gpuE2ELNS1_3repE0EEENS1_30default_config_static_selectorELNS0_4arch9wavefront6targetE0EEEvT1_
; %bb.0:
	.section	.rodata,"a",@progbits
	.p2align	6, 0x0
	.amdhsa_kernel _ZN7rocprim17ROCPRIM_400000_NS6detail17trampoline_kernelINS0_14default_configENS1_25partition_config_selectorILNS1_17partition_subalgoE8ElNS0_10empty_typeEbEEZZNS1_14partition_implILS5_8ELb0ES3_jPlPS6_PKS6_NS0_5tupleIJS9_S6_EEENSD_IJSA_SA_EEENS0_18inequality_wrapperIZN2at6native12_GLOBAL__N_124unique_dim_cuda_templateIbEESt5tupleIJNSH_6TensorESM_SM_EERKSM_lbbbEUlllE0_EEPmJS6_EEE10hipError_tPvRmT3_T4_T5_T6_T7_T9_mT8_P12ihipStream_tbDpT10_ENKUlT_T0_E_clISt17integral_constantIbLb1EES1B_IbLb0EEEEDaS17_S18_EUlS17_E_NS1_11comp_targetILNS1_3genE8ELNS1_11target_archE1030ELNS1_3gpuE2ELNS1_3repE0EEENS1_30default_config_static_selectorELNS0_4arch9wavefront6targetE0EEEvT1_
		.amdhsa_group_segment_fixed_size 0
		.amdhsa_private_segment_fixed_size 0
		.amdhsa_kernarg_size 120
		.amdhsa_user_sgpr_count 15
		.amdhsa_user_sgpr_dispatch_ptr 0
		.amdhsa_user_sgpr_queue_ptr 0
		.amdhsa_user_sgpr_kernarg_segment_ptr 1
		.amdhsa_user_sgpr_dispatch_id 0
		.amdhsa_user_sgpr_private_segment_size 0
		.amdhsa_wavefront_size32 1
		.amdhsa_uses_dynamic_stack 0
		.amdhsa_enable_private_segment 0
		.amdhsa_system_sgpr_workgroup_id_x 1
		.amdhsa_system_sgpr_workgroup_id_y 0
		.amdhsa_system_sgpr_workgroup_id_z 0
		.amdhsa_system_sgpr_workgroup_info 0
		.amdhsa_system_vgpr_workitem_id 0
		.amdhsa_next_free_vgpr 1
		.amdhsa_next_free_sgpr 1
		.amdhsa_reserve_vcc 0
		.amdhsa_float_round_mode_32 0
		.amdhsa_float_round_mode_16_64 0
		.amdhsa_float_denorm_mode_32 3
		.amdhsa_float_denorm_mode_16_64 3
		.amdhsa_dx10_clamp 1
		.amdhsa_ieee_mode 1
		.amdhsa_fp16_overflow 0
		.amdhsa_workgroup_processor_mode 1
		.amdhsa_memory_ordered 1
		.amdhsa_forward_progress 0
		.amdhsa_shared_vgpr_count 0
		.amdhsa_exception_fp_ieee_invalid_op 0
		.amdhsa_exception_fp_denorm_src 0
		.amdhsa_exception_fp_ieee_div_zero 0
		.amdhsa_exception_fp_ieee_overflow 0
		.amdhsa_exception_fp_ieee_underflow 0
		.amdhsa_exception_fp_ieee_inexact 0
		.amdhsa_exception_int_div_zero 0
	.end_amdhsa_kernel
	.section	.text._ZN7rocprim17ROCPRIM_400000_NS6detail17trampoline_kernelINS0_14default_configENS1_25partition_config_selectorILNS1_17partition_subalgoE8ElNS0_10empty_typeEbEEZZNS1_14partition_implILS5_8ELb0ES3_jPlPS6_PKS6_NS0_5tupleIJS9_S6_EEENSD_IJSA_SA_EEENS0_18inequality_wrapperIZN2at6native12_GLOBAL__N_124unique_dim_cuda_templateIbEESt5tupleIJNSH_6TensorESM_SM_EERKSM_lbbbEUlllE0_EEPmJS6_EEE10hipError_tPvRmT3_T4_T5_T6_T7_T9_mT8_P12ihipStream_tbDpT10_ENKUlT_T0_E_clISt17integral_constantIbLb1EES1B_IbLb0EEEEDaS17_S18_EUlS17_E_NS1_11comp_targetILNS1_3genE8ELNS1_11target_archE1030ELNS1_3gpuE2ELNS1_3repE0EEENS1_30default_config_static_selectorELNS0_4arch9wavefront6targetE0EEEvT1_,"axG",@progbits,_ZN7rocprim17ROCPRIM_400000_NS6detail17trampoline_kernelINS0_14default_configENS1_25partition_config_selectorILNS1_17partition_subalgoE8ElNS0_10empty_typeEbEEZZNS1_14partition_implILS5_8ELb0ES3_jPlPS6_PKS6_NS0_5tupleIJS9_S6_EEENSD_IJSA_SA_EEENS0_18inequality_wrapperIZN2at6native12_GLOBAL__N_124unique_dim_cuda_templateIbEESt5tupleIJNSH_6TensorESM_SM_EERKSM_lbbbEUlllE0_EEPmJS6_EEE10hipError_tPvRmT3_T4_T5_T6_T7_T9_mT8_P12ihipStream_tbDpT10_ENKUlT_T0_E_clISt17integral_constantIbLb1EES1B_IbLb0EEEEDaS17_S18_EUlS17_E_NS1_11comp_targetILNS1_3genE8ELNS1_11target_archE1030ELNS1_3gpuE2ELNS1_3repE0EEENS1_30default_config_static_selectorELNS0_4arch9wavefront6targetE0EEEvT1_,comdat
.Lfunc_end1074:
	.size	_ZN7rocprim17ROCPRIM_400000_NS6detail17trampoline_kernelINS0_14default_configENS1_25partition_config_selectorILNS1_17partition_subalgoE8ElNS0_10empty_typeEbEEZZNS1_14partition_implILS5_8ELb0ES3_jPlPS6_PKS6_NS0_5tupleIJS9_S6_EEENSD_IJSA_SA_EEENS0_18inequality_wrapperIZN2at6native12_GLOBAL__N_124unique_dim_cuda_templateIbEESt5tupleIJNSH_6TensorESM_SM_EERKSM_lbbbEUlllE0_EEPmJS6_EEE10hipError_tPvRmT3_T4_T5_T6_T7_T9_mT8_P12ihipStream_tbDpT10_ENKUlT_T0_E_clISt17integral_constantIbLb1EES1B_IbLb0EEEEDaS17_S18_EUlS17_E_NS1_11comp_targetILNS1_3genE8ELNS1_11target_archE1030ELNS1_3gpuE2ELNS1_3repE0EEENS1_30default_config_static_selectorELNS0_4arch9wavefront6targetE0EEEvT1_, .Lfunc_end1074-_ZN7rocprim17ROCPRIM_400000_NS6detail17trampoline_kernelINS0_14default_configENS1_25partition_config_selectorILNS1_17partition_subalgoE8ElNS0_10empty_typeEbEEZZNS1_14partition_implILS5_8ELb0ES3_jPlPS6_PKS6_NS0_5tupleIJS9_S6_EEENSD_IJSA_SA_EEENS0_18inequality_wrapperIZN2at6native12_GLOBAL__N_124unique_dim_cuda_templateIbEESt5tupleIJNSH_6TensorESM_SM_EERKSM_lbbbEUlllE0_EEPmJS6_EEE10hipError_tPvRmT3_T4_T5_T6_T7_T9_mT8_P12ihipStream_tbDpT10_ENKUlT_T0_E_clISt17integral_constantIbLb1EES1B_IbLb0EEEEDaS17_S18_EUlS17_E_NS1_11comp_targetILNS1_3genE8ELNS1_11target_archE1030ELNS1_3gpuE2ELNS1_3repE0EEENS1_30default_config_static_selectorELNS0_4arch9wavefront6targetE0EEEvT1_
                                        ; -- End function
	.section	.AMDGPU.csdata,"",@progbits
; Kernel info:
; codeLenInByte = 0
; NumSgprs: 0
; NumVgprs: 0
; ScratchSize: 0
; MemoryBound: 0
; FloatMode: 240
; IeeeMode: 1
; LDSByteSize: 0 bytes/workgroup (compile time only)
; SGPRBlocks: 0
; VGPRBlocks: 0
; NumSGPRsForWavesPerEU: 1
; NumVGPRsForWavesPerEU: 1
; Occupancy: 16
; WaveLimiterHint : 0
; COMPUTE_PGM_RSRC2:SCRATCH_EN: 0
; COMPUTE_PGM_RSRC2:USER_SGPR: 15
; COMPUTE_PGM_RSRC2:TRAP_HANDLER: 0
; COMPUTE_PGM_RSRC2:TGID_X_EN: 1
; COMPUTE_PGM_RSRC2:TGID_Y_EN: 0
; COMPUTE_PGM_RSRC2:TGID_Z_EN: 0
; COMPUTE_PGM_RSRC2:TIDIG_COMP_CNT: 0
	.section	.text._ZN7rocprim17ROCPRIM_400000_NS6detail17trampoline_kernelINS0_14default_configENS1_25partition_config_selectorILNS1_17partition_subalgoE8ElNS0_10empty_typeEbEEZZNS1_14partition_implILS5_8ELb0ES3_jPlPS6_PKS6_NS0_5tupleIJS9_S6_EEENSD_IJSA_SA_EEENS0_18inequality_wrapperIZN2at6native12_GLOBAL__N_124unique_dim_cuda_templateIbEESt5tupleIJNSH_6TensorESM_SM_EERKSM_lbbbEUlllE0_EEPmJS6_EEE10hipError_tPvRmT3_T4_T5_T6_T7_T9_mT8_P12ihipStream_tbDpT10_ENKUlT_T0_E_clISt17integral_constantIbLb0EES1B_IbLb1EEEEDaS17_S18_EUlS17_E_NS1_11comp_targetILNS1_3genE0ELNS1_11target_archE4294967295ELNS1_3gpuE0ELNS1_3repE0EEENS1_30default_config_static_selectorELNS0_4arch9wavefront6targetE0EEEvT1_,"axG",@progbits,_ZN7rocprim17ROCPRIM_400000_NS6detail17trampoline_kernelINS0_14default_configENS1_25partition_config_selectorILNS1_17partition_subalgoE8ElNS0_10empty_typeEbEEZZNS1_14partition_implILS5_8ELb0ES3_jPlPS6_PKS6_NS0_5tupleIJS9_S6_EEENSD_IJSA_SA_EEENS0_18inequality_wrapperIZN2at6native12_GLOBAL__N_124unique_dim_cuda_templateIbEESt5tupleIJNSH_6TensorESM_SM_EERKSM_lbbbEUlllE0_EEPmJS6_EEE10hipError_tPvRmT3_T4_T5_T6_T7_T9_mT8_P12ihipStream_tbDpT10_ENKUlT_T0_E_clISt17integral_constantIbLb0EES1B_IbLb1EEEEDaS17_S18_EUlS17_E_NS1_11comp_targetILNS1_3genE0ELNS1_11target_archE4294967295ELNS1_3gpuE0ELNS1_3repE0EEENS1_30default_config_static_selectorELNS0_4arch9wavefront6targetE0EEEvT1_,comdat
	.globl	_ZN7rocprim17ROCPRIM_400000_NS6detail17trampoline_kernelINS0_14default_configENS1_25partition_config_selectorILNS1_17partition_subalgoE8ElNS0_10empty_typeEbEEZZNS1_14partition_implILS5_8ELb0ES3_jPlPS6_PKS6_NS0_5tupleIJS9_S6_EEENSD_IJSA_SA_EEENS0_18inequality_wrapperIZN2at6native12_GLOBAL__N_124unique_dim_cuda_templateIbEESt5tupleIJNSH_6TensorESM_SM_EERKSM_lbbbEUlllE0_EEPmJS6_EEE10hipError_tPvRmT3_T4_T5_T6_T7_T9_mT8_P12ihipStream_tbDpT10_ENKUlT_T0_E_clISt17integral_constantIbLb0EES1B_IbLb1EEEEDaS17_S18_EUlS17_E_NS1_11comp_targetILNS1_3genE0ELNS1_11target_archE4294967295ELNS1_3gpuE0ELNS1_3repE0EEENS1_30default_config_static_selectorELNS0_4arch9wavefront6targetE0EEEvT1_ ; -- Begin function _ZN7rocprim17ROCPRIM_400000_NS6detail17trampoline_kernelINS0_14default_configENS1_25partition_config_selectorILNS1_17partition_subalgoE8ElNS0_10empty_typeEbEEZZNS1_14partition_implILS5_8ELb0ES3_jPlPS6_PKS6_NS0_5tupleIJS9_S6_EEENSD_IJSA_SA_EEENS0_18inequality_wrapperIZN2at6native12_GLOBAL__N_124unique_dim_cuda_templateIbEESt5tupleIJNSH_6TensorESM_SM_EERKSM_lbbbEUlllE0_EEPmJS6_EEE10hipError_tPvRmT3_T4_T5_T6_T7_T9_mT8_P12ihipStream_tbDpT10_ENKUlT_T0_E_clISt17integral_constantIbLb0EES1B_IbLb1EEEEDaS17_S18_EUlS17_E_NS1_11comp_targetILNS1_3genE0ELNS1_11target_archE4294967295ELNS1_3gpuE0ELNS1_3repE0EEENS1_30default_config_static_selectorELNS0_4arch9wavefront6targetE0EEEvT1_
	.p2align	8
	.type	_ZN7rocprim17ROCPRIM_400000_NS6detail17trampoline_kernelINS0_14default_configENS1_25partition_config_selectorILNS1_17partition_subalgoE8ElNS0_10empty_typeEbEEZZNS1_14partition_implILS5_8ELb0ES3_jPlPS6_PKS6_NS0_5tupleIJS9_S6_EEENSD_IJSA_SA_EEENS0_18inequality_wrapperIZN2at6native12_GLOBAL__N_124unique_dim_cuda_templateIbEESt5tupleIJNSH_6TensorESM_SM_EERKSM_lbbbEUlllE0_EEPmJS6_EEE10hipError_tPvRmT3_T4_T5_T6_T7_T9_mT8_P12ihipStream_tbDpT10_ENKUlT_T0_E_clISt17integral_constantIbLb0EES1B_IbLb1EEEEDaS17_S18_EUlS17_E_NS1_11comp_targetILNS1_3genE0ELNS1_11target_archE4294967295ELNS1_3gpuE0ELNS1_3repE0EEENS1_30default_config_static_selectorELNS0_4arch9wavefront6targetE0EEEvT1_,@function
_ZN7rocprim17ROCPRIM_400000_NS6detail17trampoline_kernelINS0_14default_configENS1_25partition_config_selectorILNS1_17partition_subalgoE8ElNS0_10empty_typeEbEEZZNS1_14partition_implILS5_8ELb0ES3_jPlPS6_PKS6_NS0_5tupleIJS9_S6_EEENSD_IJSA_SA_EEENS0_18inequality_wrapperIZN2at6native12_GLOBAL__N_124unique_dim_cuda_templateIbEESt5tupleIJNSH_6TensorESM_SM_EERKSM_lbbbEUlllE0_EEPmJS6_EEE10hipError_tPvRmT3_T4_T5_T6_T7_T9_mT8_P12ihipStream_tbDpT10_ENKUlT_T0_E_clISt17integral_constantIbLb0EES1B_IbLb1EEEEDaS17_S18_EUlS17_E_NS1_11comp_targetILNS1_3genE0ELNS1_11target_archE4294967295ELNS1_3gpuE0ELNS1_3repE0EEENS1_30default_config_static_selectorELNS0_4arch9wavefront6targetE0EEEvT1_: ; @_ZN7rocprim17ROCPRIM_400000_NS6detail17trampoline_kernelINS0_14default_configENS1_25partition_config_selectorILNS1_17partition_subalgoE8ElNS0_10empty_typeEbEEZZNS1_14partition_implILS5_8ELb0ES3_jPlPS6_PKS6_NS0_5tupleIJS9_S6_EEENSD_IJSA_SA_EEENS0_18inequality_wrapperIZN2at6native12_GLOBAL__N_124unique_dim_cuda_templateIbEESt5tupleIJNSH_6TensorESM_SM_EERKSM_lbbbEUlllE0_EEPmJS6_EEE10hipError_tPvRmT3_T4_T5_T6_T7_T9_mT8_P12ihipStream_tbDpT10_ENKUlT_T0_E_clISt17integral_constantIbLb0EES1B_IbLb1EEEEDaS17_S18_EUlS17_E_NS1_11comp_targetILNS1_3genE0ELNS1_11target_archE4294967295ELNS1_3gpuE0ELNS1_3repE0EEENS1_30default_config_static_selectorELNS0_4arch9wavefront6targetE0EEEvT1_
; %bb.0:
	.section	.rodata,"a",@progbits
	.p2align	6, 0x0
	.amdhsa_kernel _ZN7rocprim17ROCPRIM_400000_NS6detail17trampoline_kernelINS0_14default_configENS1_25partition_config_selectorILNS1_17partition_subalgoE8ElNS0_10empty_typeEbEEZZNS1_14partition_implILS5_8ELb0ES3_jPlPS6_PKS6_NS0_5tupleIJS9_S6_EEENSD_IJSA_SA_EEENS0_18inequality_wrapperIZN2at6native12_GLOBAL__N_124unique_dim_cuda_templateIbEESt5tupleIJNSH_6TensorESM_SM_EERKSM_lbbbEUlllE0_EEPmJS6_EEE10hipError_tPvRmT3_T4_T5_T6_T7_T9_mT8_P12ihipStream_tbDpT10_ENKUlT_T0_E_clISt17integral_constantIbLb0EES1B_IbLb1EEEEDaS17_S18_EUlS17_E_NS1_11comp_targetILNS1_3genE0ELNS1_11target_archE4294967295ELNS1_3gpuE0ELNS1_3repE0EEENS1_30default_config_static_selectorELNS0_4arch9wavefront6targetE0EEEvT1_
		.amdhsa_group_segment_fixed_size 0
		.amdhsa_private_segment_fixed_size 0
		.amdhsa_kernarg_size 136
		.amdhsa_user_sgpr_count 15
		.amdhsa_user_sgpr_dispatch_ptr 0
		.amdhsa_user_sgpr_queue_ptr 0
		.amdhsa_user_sgpr_kernarg_segment_ptr 1
		.amdhsa_user_sgpr_dispatch_id 0
		.amdhsa_user_sgpr_private_segment_size 0
		.amdhsa_wavefront_size32 1
		.amdhsa_uses_dynamic_stack 0
		.amdhsa_enable_private_segment 0
		.amdhsa_system_sgpr_workgroup_id_x 1
		.amdhsa_system_sgpr_workgroup_id_y 0
		.amdhsa_system_sgpr_workgroup_id_z 0
		.amdhsa_system_sgpr_workgroup_info 0
		.amdhsa_system_vgpr_workitem_id 0
		.amdhsa_next_free_vgpr 1
		.amdhsa_next_free_sgpr 1
		.amdhsa_reserve_vcc 0
		.amdhsa_float_round_mode_32 0
		.amdhsa_float_round_mode_16_64 0
		.amdhsa_float_denorm_mode_32 3
		.amdhsa_float_denorm_mode_16_64 3
		.amdhsa_dx10_clamp 1
		.amdhsa_ieee_mode 1
		.amdhsa_fp16_overflow 0
		.amdhsa_workgroup_processor_mode 1
		.amdhsa_memory_ordered 1
		.amdhsa_forward_progress 0
		.amdhsa_shared_vgpr_count 0
		.amdhsa_exception_fp_ieee_invalid_op 0
		.amdhsa_exception_fp_denorm_src 0
		.amdhsa_exception_fp_ieee_div_zero 0
		.amdhsa_exception_fp_ieee_overflow 0
		.amdhsa_exception_fp_ieee_underflow 0
		.amdhsa_exception_fp_ieee_inexact 0
		.amdhsa_exception_int_div_zero 0
	.end_amdhsa_kernel
	.section	.text._ZN7rocprim17ROCPRIM_400000_NS6detail17trampoline_kernelINS0_14default_configENS1_25partition_config_selectorILNS1_17partition_subalgoE8ElNS0_10empty_typeEbEEZZNS1_14partition_implILS5_8ELb0ES3_jPlPS6_PKS6_NS0_5tupleIJS9_S6_EEENSD_IJSA_SA_EEENS0_18inequality_wrapperIZN2at6native12_GLOBAL__N_124unique_dim_cuda_templateIbEESt5tupleIJNSH_6TensorESM_SM_EERKSM_lbbbEUlllE0_EEPmJS6_EEE10hipError_tPvRmT3_T4_T5_T6_T7_T9_mT8_P12ihipStream_tbDpT10_ENKUlT_T0_E_clISt17integral_constantIbLb0EES1B_IbLb1EEEEDaS17_S18_EUlS17_E_NS1_11comp_targetILNS1_3genE0ELNS1_11target_archE4294967295ELNS1_3gpuE0ELNS1_3repE0EEENS1_30default_config_static_selectorELNS0_4arch9wavefront6targetE0EEEvT1_,"axG",@progbits,_ZN7rocprim17ROCPRIM_400000_NS6detail17trampoline_kernelINS0_14default_configENS1_25partition_config_selectorILNS1_17partition_subalgoE8ElNS0_10empty_typeEbEEZZNS1_14partition_implILS5_8ELb0ES3_jPlPS6_PKS6_NS0_5tupleIJS9_S6_EEENSD_IJSA_SA_EEENS0_18inequality_wrapperIZN2at6native12_GLOBAL__N_124unique_dim_cuda_templateIbEESt5tupleIJNSH_6TensorESM_SM_EERKSM_lbbbEUlllE0_EEPmJS6_EEE10hipError_tPvRmT3_T4_T5_T6_T7_T9_mT8_P12ihipStream_tbDpT10_ENKUlT_T0_E_clISt17integral_constantIbLb0EES1B_IbLb1EEEEDaS17_S18_EUlS17_E_NS1_11comp_targetILNS1_3genE0ELNS1_11target_archE4294967295ELNS1_3gpuE0ELNS1_3repE0EEENS1_30default_config_static_selectorELNS0_4arch9wavefront6targetE0EEEvT1_,comdat
.Lfunc_end1075:
	.size	_ZN7rocprim17ROCPRIM_400000_NS6detail17trampoline_kernelINS0_14default_configENS1_25partition_config_selectorILNS1_17partition_subalgoE8ElNS0_10empty_typeEbEEZZNS1_14partition_implILS5_8ELb0ES3_jPlPS6_PKS6_NS0_5tupleIJS9_S6_EEENSD_IJSA_SA_EEENS0_18inequality_wrapperIZN2at6native12_GLOBAL__N_124unique_dim_cuda_templateIbEESt5tupleIJNSH_6TensorESM_SM_EERKSM_lbbbEUlllE0_EEPmJS6_EEE10hipError_tPvRmT3_T4_T5_T6_T7_T9_mT8_P12ihipStream_tbDpT10_ENKUlT_T0_E_clISt17integral_constantIbLb0EES1B_IbLb1EEEEDaS17_S18_EUlS17_E_NS1_11comp_targetILNS1_3genE0ELNS1_11target_archE4294967295ELNS1_3gpuE0ELNS1_3repE0EEENS1_30default_config_static_selectorELNS0_4arch9wavefront6targetE0EEEvT1_, .Lfunc_end1075-_ZN7rocprim17ROCPRIM_400000_NS6detail17trampoline_kernelINS0_14default_configENS1_25partition_config_selectorILNS1_17partition_subalgoE8ElNS0_10empty_typeEbEEZZNS1_14partition_implILS5_8ELb0ES3_jPlPS6_PKS6_NS0_5tupleIJS9_S6_EEENSD_IJSA_SA_EEENS0_18inequality_wrapperIZN2at6native12_GLOBAL__N_124unique_dim_cuda_templateIbEESt5tupleIJNSH_6TensorESM_SM_EERKSM_lbbbEUlllE0_EEPmJS6_EEE10hipError_tPvRmT3_T4_T5_T6_T7_T9_mT8_P12ihipStream_tbDpT10_ENKUlT_T0_E_clISt17integral_constantIbLb0EES1B_IbLb1EEEEDaS17_S18_EUlS17_E_NS1_11comp_targetILNS1_3genE0ELNS1_11target_archE4294967295ELNS1_3gpuE0ELNS1_3repE0EEENS1_30default_config_static_selectorELNS0_4arch9wavefront6targetE0EEEvT1_
                                        ; -- End function
	.section	.AMDGPU.csdata,"",@progbits
; Kernel info:
; codeLenInByte = 0
; NumSgprs: 0
; NumVgprs: 0
; ScratchSize: 0
; MemoryBound: 0
; FloatMode: 240
; IeeeMode: 1
; LDSByteSize: 0 bytes/workgroup (compile time only)
; SGPRBlocks: 0
; VGPRBlocks: 0
; NumSGPRsForWavesPerEU: 1
; NumVGPRsForWavesPerEU: 1
; Occupancy: 16
; WaveLimiterHint : 0
; COMPUTE_PGM_RSRC2:SCRATCH_EN: 0
; COMPUTE_PGM_RSRC2:USER_SGPR: 15
; COMPUTE_PGM_RSRC2:TRAP_HANDLER: 0
; COMPUTE_PGM_RSRC2:TGID_X_EN: 1
; COMPUTE_PGM_RSRC2:TGID_Y_EN: 0
; COMPUTE_PGM_RSRC2:TGID_Z_EN: 0
; COMPUTE_PGM_RSRC2:TIDIG_COMP_CNT: 0
	.section	.text._ZN7rocprim17ROCPRIM_400000_NS6detail17trampoline_kernelINS0_14default_configENS1_25partition_config_selectorILNS1_17partition_subalgoE8ElNS0_10empty_typeEbEEZZNS1_14partition_implILS5_8ELb0ES3_jPlPS6_PKS6_NS0_5tupleIJS9_S6_EEENSD_IJSA_SA_EEENS0_18inequality_wrapperIZN2at6native12_GLOBAL__N_124unique_dim_cuda_templateIbEESt5tupleIJNSH_6TensorESM_SM_EERKSM_lbbbEUlllE0_EEPmJS6_EEE10hipError_tPvRmT3_T4_T5_T6_T7_T9_mT8_P12ihipStream_tbDpT10_ENKUlT_T0_E_clISt17integral_constantIbLb0EES1B_IbLb1EEEEDaS17_S18_EUlS17_E_NS1_11comp_targetILNS1_3genE5ELNS1_11target_archE942ELNS1_3gpuE9ELNS1_3repE0EEENS1_30default_config_static_selectorELNS0_4arch9wavefront6targetE0EEEvT1_,"axG",@progbits,_ZN7rocprim17ROCPRIM_400000_NS6detail17trampoline_kernelINS0_14default_configENS1_25partition_config_selectorILNS1_17partition_subalgoE8ElNS0_10empty_typeEbEEZZNS1_14partition_implILS5_8ELb0ES3_jPlPS6_PKS6_NS0_5tupleIJS9_S6_EEENSD_IJSA_SA_EEENS0_18inequality_wrapperIZN2at6native12_GLOBAL__N_124unique_dim_cuda_templateIbEESt5tupleIJNSH_6TensorESM_SM_EERKSM_lbbbEUlllE0_EEPmJS6_EEE10hipError_tPvRmT3_T4_T5_T6_T7_T9_mT8_P12ihipStream_tbDpT10_ENKUlT_T0_E_clISt17integral_constantIbLb0EES1B_IbLb1EEEEDaS17_S18_EUlS17_E_NS1_11comp_targetILNS1_3genE5ELNS1_11target_archE942ELNS1_3gpuE9ELNS1_3repE0EEENS1_30default_config_static_selectorELNS0_4arch9wavefront6targetE0EEEvT1_,comdat
	.globl	_ZN7rocprim17ROCPRIM_400000_NS6detail17trampoline_kernelINS0_14default_configENS1_25partition_config_selectorILNS1_17partition_subalgoE8ElNS0_10empty_typeEbEEZZNS1_14partition_implILS5_8ELb0ES3_jPlPS6_PKS6_NS0_5tupleIJS9_S6_EEENSD_IJSA_SA_EEENS0_18inequality_wrapperIZN2at6native12_GLOBAL__N_124unique_dim_cuda_templateIbEESt5tupleIJNSH_6TensorESM_SM_EERKSM_lbbbEUlllE0_EEPmJS6_EEE10hipError_tPvRmT3_T4_T5_T6_T7_T9_mT8_P12ihipStream_tbDpT10_ENKUlT_T0_E_clISt17integral_constantIbLb0EES1B_IbLb1EEEEDaS17_S18_EUlS17_E_NS1_11comp_targetILNS1_3genE5ELNS1_11target_archE942ELNS1_3gpuE9ELNS1_3repE0EEENS1_30default_config_static_selectorELNS0_4arch9wavefront6targetE0EEEvT1_ ; -- Begin function _ZN7rocprim17ROCPRIM_400000_NS6detail17trampoline_kernelINS0_14default_configENS1_25partition_config_selectorILNS1_17partition_subalgoE8ElNS0_10empty_typeEbEEZZNS1_14partition_implILS5_8ELb0ES3_jPlPS6_PKS6_NS0_5tupleIJS9_S6_EEENSD_IJSA_SA_EEENS0_18inequality_wrapperIZN2at6native12_GLOBAL__N_124unique_dim_cuda_templateIbEESt5tupleIJNSH_6TensorESM_SM_EERKSM_lbbbEUlllE0_EEPmJS6_EEE10hipError_tPvRmT3_T4_T5_T6_T7_T9_mT8_P12ihipStream_tbDpT10_ENKUlT_T0_E_clISt17integral_constantIbLb0EES1B_IbLb1EEEEDaS17_S18_EUlS17_E_NS1_11comp_targetILNS1_3genE5ELNS1_11target_archE942ELNS1_3gpuE9ELNS1_3repE0EEENS1_30default_config_static_selectorELNS0_4arch9wavefront6targetE0EEEvT1_
	.p2align	8
	.type	_ZN7rocprim17ROCPRIM_400000_NS6detail17trampoline_kernelINS0_14default_configENS1_25partition_config_selectorILNS1_17partition_subalgoE8ElNS0_10empty_typeEbEEZZNS1_14partition_implILS5_8ELb0ES3_jPlPS6_PKS6_NS0_5tupleIJS9_S6_EEENSD_IJSA_SA_EEENS0_18inequality_wrapperIZN2at6native12_GLOBAL__N_124unique_dim_cuda_templateIbEESt5tupleIJNSH_6TensorESM_SM_EERKSM_lbbbEUlllE0_EEPmJS6_EEE10hipError_tPvRmT3_T4_T5_T6_T7_T9_mT8_P12ihipStream_tbDpT10_ENKUlT_T0_E_clISt17integral_constantIbLb0EES1B_IbLb1EEEEDaS17_S18_EUlS17_E_NS1_11comp_targetILNS1_3genE5ELNS1_11target_archE942ELNS1_3gpuE9ELNS1_3repE0EEENS1_30default_config_static_selectorELNS0_4arch9wavefront6targetE0EEEvT1_,@function
_ZN7rocprim17ROCPRIM_400000_NS6detail17trampoline_kernelINS0_14default_configENS1_25partition_config_selectorILNS1_17partition_subalgoE8ElNS0_10empty_typeEbEEZZNS1_14partition_implILS5_8ELb0ES3_jPlPS6_PKS6_NS0_5tupleIJS9_S6_EEENSD_IJSA_SA_EEENS0_18inequality_wrapperIZN2at6native12_GLOBAL__N_124unique_dim_cuda_templateIbEESt5tupleIJNSH_6TensorESM_SM_EERKSM_lbbbEUlllE0_EEPmJS6_EEE10hipError_tPvRmT3_T4_T5_T6_T7_T9_mT8_P12ihipStream_tbDpT10_ENKUlT_T0_E_clISt17integral_constantIbLb0EES1B_IbLb1EEEEDaS17_S18_EUlS17_E_NS1_11comp_targetILNS1_3genE5ELNS1_11target_archE942ELNS1_3gpuE9ELNS1_3repE0EEENS1_30default_config_static_selectorELNS0_4arch9wavefront6targetE0EEEvT1_: ; @_ZN7rocprim17ROCPRIM_400000_NS6detail17trampoline_kernelINS0_14default_configENS1_25partition_config_selectorILNS1_17partition_subalgoE8ElNS0_10empty_typeEbEEZZNS1_14partition_implILS5_8ELb0ES3_jPlPS6_PKS6_NS0_5tupleIJS9_S6_EEENSD_IJSA_SA_EEENS0_18inequality_wrapperIZN2at6native12_GLOBAL__N_124unique_dim_cuda_templateIbEESt5tupleIJNSH_6TensorESM_SM_EERKSM_lbbbEUlllE0_EEPmJS6_EEE10hipError_tPvRmT3_T4_T5_T6_T7_T9_mT8_P12ihipStream_tbDpT10_ENKUlT_T0_E_clISt17integral_constantIbLb0EES1B_IbLb1EEEEDaS17_S18_EUlS17_E_NS1_11comp_targetILNS1_3genE5ELNS1_11target_archE942ELNS1_3gpuE9ELNS1_3repE0EEENS1_30default_config_static_selectorELNS0_4arch9wavefront6targetE0EEEvT1_
; %bb.0:
	.section	.rodata,"a",@progbits
	.p2align	6, 0x0
	.amdhsa_kernel _ZN7rocprim17ROCPRIM_400000_NS6detail17trampoline_kernelINS0_14default_configENS1_25partition_config_selectorILNS1_17partition_subalgoE8ElNS0_10empty_typeEbEEZZNS1_14partition_implILS5_8ELb0ES3_jPlPS6_PKS6_NS0_5tupleIJS9_S6_EEENSD_IJSA_SA_EEENS0_18inequality_wrapperIZN2at6native12_GLOBAL__N_124unique_dim_cuda_templateIbEESt5tupleIJNSH_6TensorESM_SM_EERKSM_lbbbEUlllE0_EEPmJS6_EEE10hipError_tPvRmT3_T4_T5_T6_T7_T9_mT8_P12ihipStream_tbDpT10_ENKUlT_T0_E_clISt17integral_constantIbLb0EES1B_IbLb1EEEEDaS17_S18_EUlS17_E_NS1_11comp_targetILNS1_3genE5ELNS1_11target_archE942ELNS1_3gpuE9ELNS1_3repE0EEENS1_30default_config_static_selectorELNS0_4arch9wavefront6targetE0EEEvT1_
		.amdhsa_group_segment_fixed_size 0
		.amdhsa_private_segment_fixed_size 0
		.amdhsa_kernarg_size 136
		.amdhsa_user_sgpr_count 15
		.amdhsa_user_sgpr_dispatch_ptr 0
		.amdhsa_user_sgpr_queue_ptr 0
		.amdhsa_user_sgpr_kernarg_segment_ptr 1
		.amdhsa_user_sgpr_dispatch_id 0
		.amdhsa_user_sgpr_private_segment_size 0
		.amdhsa_wavefront_size32 1
		.amdhsa_uses_dynamic_stack 0
		.amdhsa_enable_private_segment 0
		.amdhsa_system_sgpr_workgroup_id_x 1
		.amdhsa_system_sgpr_workgroup_id_y 0
		.amdhsa_system_sgpr_workgroup_id_z 0
		.amdhsa_system_sgpr_workgroup_info 0
		.amdhsa_system_vgpr_workitem_id 0
		.amdhsa_next_free_vgpr 1
		.amdhsa_next_free_sgpr 1
		.amdhsa_reserve_vcc 0
		.amdhsa_float_round_mode_32 0
		.amdhsa_float_round_mode_16_64 0
		.amdhsa_float_denorm_mode_32 3
		.amdhsa_float_denorm_mode_16_64 3
		.amdhsa_dx10_clamp 1
		.amdhsa_ieee_mode 1
		.amdhsa_fp16_overflow 0
		.amdhsa_workgroup_processor_mode 1
		.amdhsa_memory_ordered 1
		.amdhsa_forward_progress 0
		.amdhsa_shared_vgpr_count 0
		.amdhsa_exception_fp_ieee_invalid_op 0
		.amdhsa_exception_fp_denorm_src 0
		.amdhsa_exception_fp_ieee_div_zero 0
		.amdhsa_exception_fp_ieee_overflow 0
		.amdhsa_exception_fp_ieee_underflow 0
		.amdhsa_exception_fp_ieee_inexact 0
		.amdhsa_exception_int_div_zero 0
	.end_amdhsa_kernel
	.section	.text._ZN7rocprim17ROCPRIM_400000_NS6detail17trampoline_kernelINS0_14default_configENS1_25partition_config_selectorILNS1_17partition_subalgoE8ElNS0_10empty_typeEbEEZZNS1_14partition_implILS5_8ELb0ES3_jPlPS6_PKS6_NS0_5tupleIJS9_S6_EEENSD_IJSA_SA_EEENS0_18inequality_wrapperIZN2at6native12_GLOBAL__N_124unique_dim_cuda_templateIbEESt5tupleIJNSH_6TensorESM_SM_EERKSM_lbbbEUlllE0_EEPmJS6_EEE10hipError_tPvRmT3_T4_T5_T6_T7_T9_mT8_P12ihipStream_tbDpT10_ENKUlT_T0_E_clISt17integral_constantIbLb0EES1B_IbLb1EEEEDaS17_S18_EUlS17_E_NS1_11comp_targetILNS1_3genE5ELNS1_11target_archE942ELNS1_3gpuE9ELNS1_3repE0EEENS1_30default_config_static_selectorELNS0_4arch9wavefront6targetE0EEEvT1_,"axG",@progbits,_ZN7rocprim17ROCPRIM_400000_NS6detail17trampoline_kernelINS0_14default_configENS1_25partition_config_selectorILNS1_17partition_subalgoE8ElNS0_10empty_typeEbEEZZNS1_14partition_implILS5_8ELb0ES3_jPlPS6_PKS6_NS0_5tupleIJS9_S6_EEENSD_IJSA_SA_EEENS0_18inequality_wrapperIZN2at6native12_GLOBAL__N_124unique_dim_cuda_templateIbEESt5tupleIJNSH_6TensorESM_SM_EERKSM_lbbbEUlllE0_EEPmJS6_EEE10hipError_tPvRmT3_T4_T5_T6_T7_T9_mT8_P12ihipStream_tbDpT10_ENKUlT_T0_E_clISt17integral_constantIbLb0EES1B_IbLb1EEEEDaS17_S18_EUlS17_E_NS1_11comp_targetILNS1_3genE5ELNS1_11target_archE942ELNS1_3gpuE9ELNS1_3repE0EEENS1_30default_config_static_selectorELNS0_4arch9wavefront6targetE0EEEvT1_,comdat
.Lfunc_end1076:
	.size	_ZN7rocprim17ROCPRIM_400000_NS6detail17trampoline_kernelINS0_14default_configENS1_25partition_config_selectorILNS1_17partition_subalgoE8ElNS0_10empty_typeEbEEZZNS1_14partition_implILS5_8ELb0ES3_jPlPS6_PKS6_NS0_5tupleIJS9_S6_EEENSD_IJSA_SA_EEENS0_18inequality_wrapperIZN2at6native12_GLOBAL__N_124unique_dim_cuda_templateIbEESt5tupleIJNSH_6TensorESM_SM_EERKSM_lbbbEUlllE0_EEPmJS6_EEE10hipError_tPvRmT3_T4_T5_T6_T7_T9_mT8_P12ihipStream_tbDpT10_ENKUlT_T0_E_clISt17integral_constantIbLb0EES1B_IbLb1EEEEDaS17_S18_EUlS17_E_NS1_11comp_targetILNS1_3genE5ELNS1_11target_archE942ELNS1_3gpuE9ELNS1_3repE0EEENS1_30default_config_static_selectorELNS0_4arch9wavefront6targetE0EEEvT1_, .Lfunc_end1076-_ZN7rocprim17ROCPRIM_400000_NS6detail17trampoline_kernelINS0_14default_configENS1_25partition_config_selectorILNS1_17partition_subalgoE8ElNS0_10empty_typeEbEEZZNS1_14partition_implILS5_8ELb0ES3_jPlPS6_PKS6_NS0_5tupleIJS9_S6_EEENSD_IJSA_SA_EEENS0_18inequality_wrapperIZN2at6native12_GLOBAL__N_124unique_dim_cuda_templateIbEESt5tupleIJNSH_6TensorESM_SM_EERKSM_lbbbEUlllE0_EEPmJS6_EEE10hipError_tPvRmT3_T4_T5_T6_T7_T9_mT8_P12ihipStream_tbDpT10_ENKUlT_T0_E_clISt17integral_constantIbLb0EES1B_IbLb1EEEEDaS17_S18_EUlS17_E_NS1_11comp_targetILNS1_3genE5ELNS1_11target_archE942ELNS1_3gpuE9ELNS1_3repE0EEENS1_30default_config_static_selectorELNS0_4arch9wavefront6targetE0EEEvT1_
                                        ; -- End function
	.section	.AMDGPU.csdata,"",@progbits
; Kernel info:
; codeLenInByte = 0
; NumSgprs: 0
; NumVgprs: 0
; ScratchSize: 0
; MemoryBound: 0
; FloatMode: 240
; IeeeMode: 1
; LDSByteSize: 0 bytes/workgroup (compile time only)
; SGPRBlocks: 0
; VGPRBlocks: 0
; NumSGPRsForWavesPerEU: 1
; NumVGPRsForWavesPerEU: 1
; Occupancy: 16
; WaveLimiterHint : 0
; COMPUTE_PGM_RSRC2:SCRATCH_EN: 0
; COMPUTE_PGM_RSRC2:USER_SGPR: 15
; COMPUTE_PGM_RSRC2:TRAP_HANDLER: 0
; COMPUTE_PGM_RSRC2:TGID_X_EN: 1
; COMPUTE_PGM_RSRC2:TGID_Y_EN: 0
; COMPUTE_PGM_RSRC2:TGID_Z_EN: 0
; COMPUTE_PGM_RSRC2:TIDIG_COMP_CNT: 0
	.section	.text._ZN7rocprim17ROCPRIM_400000_NS6detail17trampoline_kernelINS0_14default_configENS1_25partition_config_selectorILNS1_17partition_subalgoE8ElNS0_10empty_typeEbEEZZNS1_14partition_implILS5_8ELb0ES3_jPlPS6_PKS6_NS0_5tupleIJS9_S6_EEENSD_IJSA_SA_EEENS0_18inequality_wrapperIZN2at6native12_GLOBAL__N_124unique_dim_cuda_templateIbEESt5tupleIJNSH_6TensorESM_SM_EERKSM_lbbbEUlllE0_EEPmJS6_EEE10hipError_tPvRmT3_T4_T5_T6_T7_T9_mT8_P12ihipStream_tbDpT10_ENKUlT_T0_E_clISt17integral_constantIbLb0EES1B_IbLb1EEEEDaS17_S18_EUlS17_E_NS1_11comp_targetILNS1_3genE4ELNS1_11target_archE910ELNS1_3gpuE8ELNS1_3repE0EEENS1_30default_config_static_selectorELNS0_4arch9wavefront6targetE0EEEvT1_,"axG",@progbits,_ZN7rocprim17ROCPRIM_400000_NS6detail17trampoline_kernelINS0_14default_configENS1_25partition_config_selectorILNS1_17partition_subalgoE8ElNS0_10empty_typeEbEEZZNS1_14partition_implILS5_8ELb0ES3_jPlPS6_PKS6_NS0_5tupleIJS9_S6_EEENSD_IJSA_SA_EEENS0_18inequality_wrapperIZN2at6native12_GLOBAL__N_124unique_dim_cuda_templateIbEESt5tupleIJNSH_6TensorESM_SM_EERKSM_lbbbEUlllE0_EEPmJS6_EEE10hipError_tPvRmT3_T4_T5_T6_T7_T9_mT8_P12ihipStream_tbDpT10_ENKUlT_T0_E_clISt17integral_constantIbLb0EES1B_IbLb1EEEEDaS17_S18_EUlS17_E_NS1_11comp_targetILNS1_3genE4ELNS1_11target_archE910ELNS1_3gpuE8ELNS1_3repE0EEENS1_30default_config_static_selectorELNS0_4arch9wavefront6targetE0EEEvT1_,comdat
	.globl	_ZN7rocprim17ROCPRIM_400000_NS6detail17trampoline_kernelINS0_14default_configENS1_25partition_config_selectorILNS1_17partition_subalgoE8ElNS0_10empty_typeEbEEZZNS1_14partition_implILS5_8ELb0ES3_jPlPS6_PKS6_NS0_5tupleIJS9_S6_EEENSD_IJSA_SA_EEENS0_18inequality_wrapperIZN2at6native12_GLOBAL__N_124unique_dim_cuda_templateIbEESt5tupleIJNSH_6TensorESM_SM_EERKSM_lbbbEUlllE0_EEPmJS6_EEE10hipError_tPvRmT3_T4_T5_T6_T7_T9_mT8_P12ihipStream_tbDpT10_ENKUlT_T0_E_clISt17integral_constantIbLb0EES1B_IbLb1EEEEDaS17_S18_EUlS17_E_NS1_11comp_targetILNS1_3genE4ELNS1_11target_archE910ELNS1_3gpuE8ELNS1_3repE0EEENS1_30default_config_static_selectorELNS0_4arch9wavefront6targetE0EEEvT1_ ; -- Begin function _ZN7rocprim17ROCPRIM_400000_NS6detail17trampoline_kernelINS0_14default_configENS1_25partition_config_selectorILNS1_17partition_subalgoE8ElNS0_10empty_typeEbEEZZNS1_14partition_implILS5_8ELb0ES3_jPlPS6_PKS6_NS0_5tupleIJS9_S6_EEENSD_IJSA_SA_EEENS0_18inequality_wrapperIZN2at6native12_GLOBAL__N_124unique_dim_cuda_templateIbEESt5tupleIJNSH_6TensorESM_SM_EERKSM_lbbbEUlllE0_EEPmJS6_EEE10hipError_tPvRmT3_T4_T5_T6_T7_T9_mT8_P12ihipStream_tbDpT10_ENKUlT_T0_E_clISt17integral_constantIbLb0EES1B_IbLb1EEEEDaS17_S18_EUlS17_E_NS1_11comp_targetILNS1_3genE4ELNS1_11target_archE910ELNS1_3gpuE8ELNS1_3repE0EEENS1_30default_config_static_selectorELNS0_4arch9wavefront6targetE0EEEvT1_
	.p2align	8
	.type	_ZN7rocprim17ROCPRIM_400000_NS6detail17trampoline_kernelINS0_14default_configENS1_25partition_config_selectorILNS1_17partition_subalgoE8ElNS0_10empty_typeEbEEZZNS1_14partition_implILS5_8ELb0ES3_jPlPS6_PKS6_NS0_5tupleIJS9_S6_EEENSD_IJSA_SA_EEENS0_18inequality_wrapperIZN2at6native12_GLOBAL__N_124unique_dim_cuda_templateIbEESt5tupleIJNSH_6TensorESM_SM_EERKSM_lbbbEUlllE0_EEPmJS6_EEE10hipError_tPvRmT3_T4_T5_T6_T7_T9_mT8_P12ihipStream_tbDpT10_ENKUlT_T0_E_clISt17integral_constantIbLb0EES1B_IbLb1EEEEDaS17_S18_EUlS17_E_NS1_11comp_targetILNS1_3genE4ELNS1_11target_archE910ELNS1_3gpuE8ELNS1_3repE0EEENS1_30default_config_static_selectorELNS0_4arch9wavefront6targetE0EEEvT1_,@function
_ZN7rocprim17ROCPRIM_400000_NS6detail17trampoline_kernelINS0_14default_configENS1_25partition_config_selectorILNS1_17partition_subalgoE8ElNS0_10empty_typeEbEEZZNS1_14partition_implILS5_8ELb0ES3_jPlPS6_PKS6_NS0_5tupleIJS9_S6_EEENSD_IJSA_SA_EEENS0_18inequality_wrapperIZN2at6native12_GLOBAL__N_124unique_dim_cuda_templateIbEESt5tupleIJNSH_6TensorESM_SM_EERKSM_lbbbEUlllE0_EEPmJS6_EEE10hipError_tPvRmT3_T4_T5_T6_T7_T9_mT8_P12ihipStream_tbDpT10_ENKUlT_T0_E_clISt17integral_constantIbLb0EES1B_IbLb1EEEEDaS17_S18_EUlS17_E_NS1_11comp_targetILNS1_3genE4ELNS1_11target_archE910ELNS1_3gpuE8ELNS1_3repE0EEENS1_30default_config_static_selectorELNS0_4arch9wavefront6targetE0EEEvT1_: ; @_ZN7rocprim17ROCPRIM_400000_NS6detail17trampoline_kernelINS0_14default_configENS1_25partition_config_selectorILNS1_17partition_subalgoE8ElNS0_10empty_typeEbEEZZNS1_14partition_implILS5_8ELb0ES3_jPlPS6_PKS6_NS0_5tupleIJS9_S6_EEENSD_IJSA_SA_EEENS0_18inequality_wrapperIZN2at6native12_GLOBAL__N_124unique_dim_cuda_templateIbEESt5tupleIJNSH_6TensorESM_SM_EERKSM_lbbbEUlllE0_EEPmJS6_EEE10hipError_tPvRmT3_T4_T5_T6_T7_T9_mT8_P12ihipStream_tbDpT10_ENKUlT_T0_E_clISt17integral_constantIbLb0EES1B_IbLb1EEEEDaS17_S18_EUlS17_E_NS1_11comp_targetILNS1_3genE4ELNS1_11target_archE910ELNS1_3gpuE8ELNS1_3repE0EEENS1_30default_config_static_selectorELNS0_4arch9wavefront6targetE0EEEvT1_
; %bb.0:
	.section	.rodata,"a",@progbits
	.p2align	6, 0x0
	.amdhsa_kernel _ZN7rocprim17ROCPRIM_400000_NS6detail17trampoline_kernelINS0_14default_configENS1_25partition_config_selectorILNS1_17partition_subalgoE8ElNS0_10empty_typeEbEEZZNS1_14partition_implILS5_8ELb0ES3_jPlPS6_PKS6_NS0_5tupleIJS9_S6_EEENSD_IJSA_SA_EEENS0_18inequality_wrapperIZN2at6native12_GLOBAL__N_124unique_dim_cuda_templateIbEESt5tupleIJNSH_6TensorESM_SM_EERKSM_lbbbEUlllE0_EEPmJS6_EEE10hipError_tPvRmT3_T4_T5_T6_T7_T9_mT8_P12ihipStream_tbDpT10_ENKUlT_T0_E_clISt17integral_constantIbLb0EES1B_IbLb1EEEEDaS17_S18_EUlS17_E_NS1_11comp_targetILNS1_3genE4ELNS1_11target_archE910ELNS1_3gpuE8ELNS1_3repE0EEENS1_30default_config_static_selectorELNS0_4arch9wavefront6targetE0EEEvT1_
		.amdhsa_group_segment_fixed_size 0
		.amdhsa_private_segment_fixed_size 0
		.amdhsa_kernarg_size 136
		.amdhsa_user_sgpr_count 15
		.amdhsa_user_sgpr_dispatch_ptr 0
		.amdhsa_user_sgpr_queue_ptr 0
		.amdhsa_user_sgpr_kernarg_segment_ptr 1
		.amdhsa_user_sgpr_dispatch_id 0
		.amdhsa_user_sgpr_private_segment_size 0
		.amdhsa_wavefront_size32 1
		.amdhsa_uses_dynamic_stack 0
		.amdhsa_enable_private_segment 0
		.amdhsa_system_sgpr_workgroup_id_x 1
		.amdhsa_system_sgpr_workgroup_id_y 0
		.amdhsa_system_sgpr_workgroup_id_z 0
		.amdhsa_system_sgpr_workgroup_info 0
		.amdhsa_system_vgpr_workitem_id 0
		.amdhsa_next_free_vgpr 1
		.amdhsa_next_free_sgpr 1
		.amdhsa_reserve_vcc 0
		.amdhsa_float_round_mode_32 0
		.amdhsa_float_round_mode_16_64 0
		.amdhsa_float_denorm_mode_32 3
		.amdhsa_float_denorm_mode_16_64 3
		.amdhsa_dx10_clamp 1
		.amdhsa_ieee_mode 1
		.amdhsa_fp16_overflow 0
		.amdhsa_workgroup_processor_mode 1
		.amdhsa_memory_ordered 1
		.amdhsa_forward_progress 0
		.amdhsa_shared_vgpr_count 0
		.amdhsa_exception_fp_ieee_invalid_op 0
		.amdhsa_exception_fp_denorm_src 0
		.amdhsa_exception_fp_ieee_div_zero 0
		.amdhsa_exception_fp_ieee_overflow 0
		.amdhsa_exception_fp_ieee_underflow 0
		.amdhsa_exception_fp_ieee_inexact 0
		.amdhsa_exception_int_div_zero 0
	.end_amdhsa_kernel
	.section	.text._ZN7rocprim17ROCPRIM_400000_NS6detail17trampoline_kernelINS0_14default_configENS1_25partition_config_selectorILNS1_17partition_subalgoE8ElNS0_10empty_typeEbEEZZNS1_14partition_implILS5_8ELb0ES3_jPlPS6_PKS6_NS0_5tupleIJS9_S6_EEENSD_IJSA_SA_EEENS0_18inequality_wrapperIZN2at6native12_GLOBAL__N_124unique_dim_cuda_templateIbEESt5tupleIJNSH_6TensorESM_SM_EERKSM_lbbbEUlllE0_EEPmJS6_EEE10hipError_tPvRmT3_T4_T5_T6_T7_T9_mT8_P12ihipStream_tbDpT10_ENKUlT_T0_E_clISt17integral_constantIbLb0EES1B_IbLb1EEEEDaS17_S18_EUlS17_E_NS1_11comp_targetILNS1_3genE4ELNS1_11target_archE910ELNS1_3gpuE8ELNS1_3repE0EEENS1_30default_config_static_selectorELNS0_4arch9wavefront6targetE0EEEvT1_,"axG",@progbits,_ZN7rocprim17ROCPRIM_400000_NS6detail17trampoline_kernelINS0_14default_configENS1_25partition_config_selectorILNS1_17partition_subalgoE8ElNS0_10empty_typeEbEEZZNS1_14partition_implILS5_8ELb0ES3_jPlPS6_PKS6_NS0_5tupleIJS9_S6_EEENSD_IJSA_SA_EEENS0_18inequality_wrapperIZN2at6native12_GLOBAL__N_124unique_dim_cuda_templateIbEESt5tupleIJNSH_6TensorESM_SM_EERKSM_lbbbEUlllE0_EEPmJS6_EEE10hipError_tPvRmT3_T4_T5_T6_T7_T9_mT8_P12ihipStream_tbDpT10_ENKUlT_T0_E_clISt17integral_constantIbLb0EES1B_IbLb1EEEEDaS17_S18_EUlS17_E_NS1_11comp_targetILNS1_3genE4ELNS1_11target_archE910ELNS1_3gpuE8ELNS1_3repE0EEENS1_30default_config_static_selectorELNS0_4arch9wavefront6targetE0EEEvT1_,comdat
.Lfunc_end1077:
	.size	_ZN7rocprim17ROCPRIM_400000_NS6detail17trampoline_kernelINS0_14default_configENS1_25partition_config_selectorILNS1_17partition_subalgoE8ElNS0_10empty_typeEbEEZZNS1_14partition_implILS5_8ELb0ES3_jPlPS6_PKS6_NS0_5tupleIJS9_S6_EEENSD_IJSA_SA_EEENS0_18inequality_wrapperIZN2at6native12_GLOBAL__N_124unique_dim_cuda_templateIbEESt5tupleIJNSH_6TensorESM_SM_EERKSM_lbbbEUlllE0_EEPmJS6_EEE10hipError_tPvRmT3_T4_T5_T6_T7_T9_mT8_P12ihipStream_tbDpT10_ENKUlT_T0_E_clISt17integral_constantIbLb0EES1B_IbLb1EEEEDaS17_S18_EUlS17_E_NS1_11comp_targetILNS1_3genE4ELNS1_11target_archE910ELNS1_3gpuE8ELNS1_3repE0EEENS1_30default_config_static_selectorELNS0_4arch9wavefront6targetE0EEEvT1_, .Lfunc_end1077-_ZN7rocprim17ROCPRIM_400000_NS6detail17trampoline_kernelINS0_14default_configENS1_25partition_config_selectorILNS1_17partition_subalgoE8ElNS0_10empty_typeEbEEZZNS1_14partition_implILS5_8ELb0ES3_jPlPS6_PKS6_NS0_5tupleIJS9_S6_EEENSD_IJSA_SA_EEENS0_18inequality_wrapperIZN2at6native12_GLOBAL__N_124unique_dim_cuda_templateIbEESt5tupleIJNSH_6TensorESM_SM_EERKSM_lbbbEUlllE0_EEPmJS6_EEE10hipError_tPvRmT3_T4_T5_T6_T7_T9_mT8_P12ihipStream_tbDpT10_ENKUlT_T0_E_clISt17integral_constantIbLb0EES1B_IbLb1EEEEDaS17_S18_EUlS17_E_NS1_11comp_targetILNS1_3genE4ELNS1_11target_archE910ELNS1_3gpuE8ELNS1_3repE0EEENS1_30default_config_static_selectorELNS0_4arch9wavefront6targetE0EEEvT1_
                                        ; -- End function
	.section	.AMDGPU.csdata,"",@progbits
; Kernel info:
; codeLenInByte = 0
; NumSgprs: 0
; NumVgprs: 0
; ScratchSize: 0
; MemoryBound: 0
; FloatMode: 240
; IeeeMode: 1
; LDSByteSize: 0 bytes/workgroup (compile time only)
; SGPRBlocks: 0
; VGPRBlocks: 0
; NumSGPRsForWavesPerEU: 1
; NumVGPRsForWavesPerEU: 1
; Occupancy: 16
; WaveLimiterHint : 0
; COMPUTE_PGM_RSRC2:SCRATCH_EN: 0
; COMPUTE_PGM_RSRC2:USER_SGPR: 15
; COMPUTE_PGM_RSRC2:TRAP_HANDLER: 0
; COMPUTE_PGM_RSRC2:TGID_X_EN: 1
; COMPUTE_PGM_RSRC2:TGID_Y_EN: 0
; COMPUTE_PGM_RSRC2:TGID_Z_EN: 0
; COMPUTE_PGM_RSRC2:TIDIG_COMP_CNT: 0
	.section	.text._ZN7rocprim17ROCPRIM_400000_NS6detail17trampoline_kernelINS0_14default_configENS1_25partition_config_selectorILNS1_17partition_subalgoE8ElNS0_10empty_typeEbEEZZNS1_14partition_implILS5_8ELb0ES3_jPlPS6_PKS6_NS0_5tupleIJS9_S6_EEENSD_IJSA_SA_EEENS0_18inequality_wrapperIZN2at6native12_GLOBAL__N_124unique_dim_cuda_templateIbEESt5tupleIJNSH_6TensorESM_SM_EERKSM_lbbbEUlllE0_EEPmJS6_EEE10hipError_tPvRmT3_T4_T5_T6_T7_T9_mT8_P12ihipStream_tbDpT10_ENKUlT_T0_E_clISt17integral_constantIbLb0EES1B_IbLb1EEEEDaS17_S18_EUlS17_E_NS1_11comp_targetILNS1_3genE3ELNS1_11target_archE908ELNS1_3gpuE7ELNS1_3repE0EEENS1_30default_config_static_selectorELNS0_4arch9wavefront6targetE0EEEvT1_,"axG",@progbits,_ZN7rocprim17ROCPRIM_400000_NS6detail17trampoline_kernelINS0_14default_configENS1_25partition_config_selectorILNS1_17partition_subalgoE8ElNS0_10empty_typeEbEEZZNS1_14partition_implILS5_8ELb0ES3_jPlPS6_PKS6_NS0_5tupleIJS9_S6_EEENSD_IJSA_SA_EEENS0_18inequality_wrapperIZN2at6native12_GLOBAL__N_124unique_dim_cuda_templateIbEESt5tupleIJNSH_6TensorESM_SM_EERKSM_lbbbEUlllE0_EEPmJS6_EEE10hipError_tPvRmT3_T4_T5_T6_T7_T9_mT8_P12ihipStream_tbDpT10_ENKUlT_T0_E_clISt17integral_constantIbLb0EES1B_IbLb1EEEEDaS17_S18_EUlS17_E_NS1_11comp_targetILNS1_3genE3ELNS1_11target_archE908ELNS1_3gpuE7ELNS1_3repE0EEENS1_30default_config_static_selectorELNS0_4arch9wavefront6targetE0EEEvT1_,comdat
	.globl	_ZN7rocprim17ROCPRIM_400000_NS6detail17trampoline_kernelINS0_14default_configENS1_25partition_config_selectorILNS1_17partition_subalgoE8ElNS0_10empty_typeEbEEZZNS1_14partition_implILS5_8ELb0ES3_jPlPS6_PKS6_NS0_5tupleIJS9_S6_EEENSD_IJSA_SA_EEENS0_18inequality_wrapperIZN2at6native12_GLOBAL__N_124unique_dim_cuda_templateIbEESt5tupleIJNSH_6TensorESM_SM_EERKSM_lbbbEUlllE0_EEPmJS6_EEE10hipError_tPvRmT3_T4_T5_T6_T7_T9_mT8_P12ihipStream_tbDpT10_ENKUlT_T0_E_clISt17integral_constantIbLb0EES1B_IbLb1EEEEDaS17_S18_EUlS17_E_NS1_11comp_targetILNS1_3genE3ELNS1_11target_archE908ELNS1_3gpuE7ELNS1_3repE0EEENS1_30default_config_static_selectorELNS0_4arch9wavefront6targetE0EEEvT1_ ; -- Begin function _ZN7rocprim17ROCPRIM_400000_NS6detail17trampoline_kernelINS0_14default_configENS1_25partition_config_selectorILNS1_17partition_subalgoE8ElNS0_10empty_typeEbEEZZNS1_14partition_implILS5_8ELb0ES3_jPlPS6_PKS6_NS0_5tupleIJS9_S6_EEENSD_IJSA_SA_EEENS0_18inequality_wrapperIZN2at6native12_GLOBAL__N_124unique_dim_cuda_templateIbEESt5tupleIJNSH_6TensorESM_SM_EERKSM_lbbbEUlllE0_EEPmJS6_EEE10hipError_tPvRmT3_T4_T5_T6_T7_T9_mT8_P12ihipStream_tbDpT10_ENKUlT_T0_E_clISt17integral_constantIbLb0EES1B_IbLb1EEEEDaS17_S18_EUlS17_E_NS1_11comp_targetILNS1_3genE3ELNS1_11target_archE908ELNS1_3gpuE7ELNS1_3repE0EEENS1_30default_config_static_selectorELNS0_4arch9wavefront6targetE0EEEvT1_
	.p2align	8
	.type	_ZN7rocprim17ROCPRIM_400000_NS6detail17trampoline_kernelINS0_14default_configENS1_25partition_config_selectorILNS1_17partition_subalgoE8ElNS0_10empty_typeEbEEZZNS1_14partition_implILS5_8ELb0ES3_jPlPS6_PKS6_NS0_5tupleIJS9_S6_EEENSD_IJSA_SA_EEENS0_18inequality_wrapperIZN2at6native12_GLOBAL__N_124unique_dim_cuda_templateIbEESt5tupleIJNSH_6TensorESM_SM_EERKSM_lbbbEUlllE0_EEPmJS6_EEE10hipError_tPvRmT3_T4_T5_T6_T7_T9_mT8_P12ihipStream_tbDpT10_ENKUlT_T0_E_clISt17integral_constantIbLb0EES1B_IbLb1EEEEDaS17_S18_EUlS17_E_NS1_11comp_targetILNS1_3genE3ELNS1_11target_archE908ELNS1_3gpuE7ELNS1_3repE0EEENS1_30default_config_static_selectorELNS0_4arch9wavefront6targetE0EEEvT1_,@function
_ZN7rocprim17ROCPRIM_400000_NS6detail17trampoline_kernelINS0_14default_configENS1_25partition_config_selectorILNS1_17partition_subalgoE8ElNS0_10empty_typeEbEEZZNS1_14partition_implILS5_8ELb0ES3_jPlPS6_PKS6_NS0_5tupleIJS9_S6_EEENSD_IJSA_SA_EEENS0_18inequality_wrapperIZN2at6native12_GLOBAL__N_124unique_dim_cuda_templateIbEESt5tupleIJNSH_6TensorESM_SM_EERKSM_lbbbEUlllE0_EEPmJS6_EEE10hipError_tPvRmT3_T4_T5_T6_T7_T9_mT8_P12ihipStream_tbDpT10_ENKUlT_T0_E_clISt17integral_constantIbLb0EES1B_IbLb1EEEEDaS17_S18_EUlS17_E_NS1_11comp_targetILNS1_3genE3ELNS1_11target_archE908ELNS1_3gpuE7ELNS1_3repE0EEENS1_30default_config_static_selectorELNS0_4arch9wavefront6targetE0EEEvT1_: ; @_ZN7rocprim17ROCPRIM_400000_NS6detail17trampoline_kernelINS0_14default_configENS1_25partition_config_selectorILNS1_17partition_subalgoE8ElNS0_10empty_typeEbEEZZNS1_14partition_implILS5_8ELb0ES3_jPlPS6_PKS6_NS0_5tupleIJS9_S6_EEENSD_IJSA_SA_EEENS0_18inequality_wrapperIZN2at6native12_GLOBAL__N_124unique_dim_cuda_templateIbEESt5tupleIJNSH_6TensorESM_SM_EERKSM_lbbbEUlllE0_EEPmJS6_EEE10hipError_tPvRmT3_T4_T5_T6_T7_T9_mT8_P12ihipStream_tbDpT10_ENKUlT_T0_E_clISt17integral_constantIbLb0EES1B_IbLb1EEEEDaS17_S18_EUlS17_E_NS1_11comp_targetILNS1_3genE3ELNS1_11target_archE908ELNS1_3gpuE7ELNS1_3repE0EEENS1_30default_config_static_selectorELNS0_4arch9wavefront6targetE0EEEvT1_
; %bb.0:
	.section	.rodata,"a",@progbits
	.p2align	6, 0x0
	.amdhsa_kernel _ZN7rocprim17ROCPRIM_400000_NS6detail17trampoline_kernelINS0_14default_configENS1_25partition_config_selectorILNS1_17partition_subalgoE8ElNS0_10empty_typeEbEEZZNS1_14partition_implILS5_8ELb0ES3_jPlPS6_PKS6_NS0_5tupleIJS9_S6_EEENSD_IJSA_SA_EEENS0_18inequality_wrapperIZN2at6native12_GLOBAL__N_124unique_dim_cuda_templateIbEESt5tupleIJNSH_6TensorESM_SM_EERKSM_lbbbEUlllE0_EEPmJS6_EEE10hipError_tPvRmT3_T4_T5_T6_T7_T9_mT8_P12ihipStream_tbDpT10_ENKUlT_T0_E_clISt17integral_constantIbLb0EES1B_IbLb1EEEEDaS17_S18_EUlS17_E_NS1_11comp_targetILNS1_3genE3ELNS1_11target_archE908ELNS1_3gpuE7ELNS1_3repE0EEENS1_30default_config_static_selectorELNS0_4arch9wavefront6targetE0EEEvT1_
		.amdhsa_group_segment_fixed_size 0
		.amdhsa_private_segment_fixed_size 0
		.amdhsa_kernarg_size 136
		.amdhsa_user_sgpr_count 15
		.amdhsa_user_sgpr_dispatch_ptr 0
		.amdhsa_user_sgpr_queue_ptr 0
		.amdhsa_user_sgpr_kernarg_segment_ptr 1
		.amdhsa_user_sgpr_dispatch_id 0
		.amdhsa_user_sgpr_private_segment_size 0
		.amdhsa_wavefront_size32 1
		.amdhsa_uses_dynamic_stack 0
		.amdhsa_enable_private_segment 0
		.amdhsa_system_sgpr_workgroup_id_x 1
		.amdhsa_system_sgpr_workgroup_id_y 0
		.amdhsa_system_sgpr_workgroup_id_z 0
		.amdhsa_system_sgpr_workgroup_info 0
		.amdhsa_system_vgpr_workitem_id 0
		.amdhsa_next_free_vgpr 1
		.amdhsa_next_free_sgpr 1
		.amdhsa_reserve_vcc 0
		.amdhsa_float_round_mode_32 0
		.amdhsa_float_round_mode_16_64 0
		.amdhsa_float_denorm_mode_32 3
		.amdhsa_float_denorm_mode_16_64 3
		.amdhsa_dx10_clamp 1
		.amdhsa_ieee_mode 1
		.amdhsa_fp16_overflow 0
		.amdhsa_workgroup_processor_mode 1
		.amdhsa_memory_ordered 1
		.amdhsa_forward_progress 0
		.amdhsa_shared_vgpr_count 0
		.amdhsa_exception_fp_ieee_invalid_op 0
		.amdhsa_exception_fp_denorm_src 0
		.amdhsa_exception_fp_ieee_div_zero 0
		.amdhsa_exception_fp_ieee_overflow 0
		.amdhsa_exception_fp_ieee_underflow 0
		.amdhsa_exception_fp_ieee_inexact 0
		.amdhsa_exception_int_div_zero 0
	.end_amdhsa_kernel
	.section	.text._ZN7rocprim17ROCPRIM_400000_NS6detail17trampoline_kernelINS0_14default_configENS1_25partition_config_selectorILNS1_17partition_subalgoE8ElNS0_10empty_typeEbEEZZNS1_14partition_implILS5_8ELb0ES3_jPlPS6_PKS6_NS0_5tupleIJS9_S6_EEENSD_IJSA_SA_EEENS0_18inequality_wrapperIZN2at6native12_GLOBAL__N_124unique_dim_cuda_templateIbEESt5tupleIJNSH_6TensorESM_SM_EERKSM_lbbbEUlllE0_EEPmJS6_EEE10hipError_tPvRmT3_T4_T5_T6_T7_T9_mT8_P12ihipStream_tbDpT10_ENKUlT_T0_E_clISt17integral_constantIbLb0EES1B_IbLb1EEEEDaS17_S18_EUlS17_E_NS1_11comp_targetILNS1_3genE3ELNS1_11target_archE908ELNS1_3gpuE7ELNS1_3repE0EEENS1_30default_config_static_selectorELNS0_4arch9wavefront6targetE0EEEvT1_,"axG",@progbits,_ZN7rocprim17ROCPRIM_400000_NS6detail17trampoline_kernelINS0_14default_configENS1_25partition_config_selectorILNS1_17partition_subalgoE8ElNS0_10empty_typeEbEEZZNS1_14partition_implILS5_8ELb0ES3_jPlPS6_PKS6_NS0_5tupleIJS9_S6_EEENSD_IJSA_SA_EEENS0_18inequality_wrapperIZN2at6native12_GLOBAL__N_124unique_dim_cuda_templateIbEESt5tupleIJNSH_6TensorESM_SM_EERKSM_lbbbEUlllE0_EEPmJS6_EEE10hipError_tPvRmT3_T4_T5_T6_T7_T9_mT8_P12ihipStream_tbDpT10_ENKUlT_T0_E_clISt17integral_constantIbLb0EES1B_IbLb1EEEEDaS17_S18_EUlS17_E_NS1_11comp_targetILNS1_3genE3ELNS1_11target_archE908ELNS1_3gpuE7ELNS1_3repE0EEENS1_30default_config_static_selectorELNS0_4arch9wavefront6targetE0EEEvT1_,comdat
.Lfunc_end1078:
	.size	_ZN7rocprim17ROCPRIM_400000_NS6detail17trampoline_kernelINS0_14default_configENS1_25partition_config_selectorILNS1_17partition_subalgoE8ElNS0_10empty_typeEbEEZZNS1_14partition_implILS5_8ELb0ES3_jPlPS6_PKS6_NS0_5tupleIJS9_S6_EEENSD_IJSA_SA_EEENS0_18inequality_wrapperIZN2at6native12_GLOBAL__N_124unique_dim_cuda_templateIbEESt5tupleIJNSH_6TensorESM_SM_EERKSM_lbbbEUlllE0_EEPmJS6_EEE10hipError_tPvRmT3_T4_T5_T6_T7_T9_mT8_P12ihipStream_tbDpT10_ENKUlT_T0_E_clISt17integral_constantIbLb0EES1B_IbLb1EEEEDaS17_S18_EUlS17_E_NS1_11comp_targetILNS1_3genE3ELNS1_11target_archE908ELNS1_3gpuE7ELNS1_3repE0EEENS1_30default_config_static_selectorELNS0_4arch9wavefront6targetE0EEEvT1_, .Lfunc_end1078-_ZN7rocprim17ROCPRIM_400000_NS6detail17trampoline_kernelINS0_14default_configENS1_25partition_config_selectorILNS1_17partition_subalgoE8ElNS0_10empty_typeEbEEZZNS1_14partition_implILS5_8ELb0ES3_jPlPS6_PKS6_NS0_5tupleIJS9_S6_EEENSD_IJSA_SA_EEENS0_18inequality_wrapperIZN2at6native12_GLOBAL__N_124unique_dim_cuda_templateIbEESt5tupleIJNSH_6TensorESM_SM_EERKSM_lbbbEUlllE0_EEPmJS6_EEE10hipError_tPvRmT3_T4_T5_T6_T7_T9_mT8_P12ihipStream_tbDpT10_ENKUlT_T0_E_clISt17integral_constantIbLb0EES1B_IbLb1EEEEDaS17_S18_EUlS17_E_NS1_11comp_targetILNS1_3genE3ELNS1_11target_archE908ELNS1_3gpuE7ELNS1_3repE0EEENS1_30default_config_static_selectorELNS0_4arch9wavefront6targetE0EEEvT1_
                                        ; -- End function
	.section	.AMDGPU.csdata,"",@progbits
; Kernel info:
; codeLenInByte = 0
; NumSgprs: 0
; NumVgprs: 0
; ScratchSize: 0
; MemoryBound: 0
; FloatMode: 240
; IeeeMode: 1
; LDSByteSize: 0 bytes/workgroup (compile time only)
; SGPRBlocks: 0
; VGPRBlocks: 0
; NumSGPRsForWavesPerEU: 1
; NumVGPRsForWavesPerEU: 1
; Occupancy: 16
; WaveLimiterHint : 0
; COMPUTE_PGM_RSRC2:SCRATCH_EN: 0
; COMPUTE_PGM_RSRC2:USER_SGPR: 15
; COMPUTE_PGM_RSRC2:TRAP_HANDLER: 0
; COMPUTE_PGM_RSRC2:TGID_X_EN: 1
; COMPUTE_PGM_RSRC2:TGID_Y_EN: 0
; COMPUTE_PGM_RSRC2:TGID_Z_EN: 0
; COMPUTE_PGM_RSRC2:TIDIG_COMP_CNT: 0
	.section	.text._ZN7rocprim17ROCPRIM_400000_NS6detail17trampoline_kernelINS0_14default_configENS1_25partition_config_selectorILNS1_17partition_subalgoE8ElNS0_10empty_typeEbEEZZNS1_14partition_implILS5_8ELb0ES3_jPlPS6_PKS6_NS0_5tupleIJS9_S6_EEENSD_IJSA_SA_EEENS0_18inequality_wrapperIZN2at6native12_GLOBAL__N_124unique_dim_cuda_templateIbEESt5tupleIJNSH_6TensorESM_SM_EERKSM_lbbbEUlllE0_EEPmJS6_EEE10hipError_tPvRmT3_T4_T5_T6_T7_T9_mT8_P12ihipStream_tbDpT10_ENKUlT_T0_E_clISt17integral_constantIbLb0EES1B_IbLb1EEEEDaS17_S18_EUlS17_E_NS1_11comp_targetILNS1_3genE2ELNS1_11target_archE906ELNS1_3gpuE6ELNS1_3repE0EEENS1_30default_config_static_selectorELNS0_4arch9wavefront6targetE0EEEvT1_,"axG",@progbits,_ZN7rocprim17ROCPRIM_400000_NS6detail17trampoline_kernelINS0_14default_configENS1_25partition_config_selectorILNS1_17partition_subalgoE8ElNS0_10empty_typeEbEEZZNS1_14partition_implILS5_8ELb0ES3_jPlPS6_PKS6_NS0_5tupleIJS9_S6_EEENSD_IJSA_SA_EEENS0_18inequality_wrapperIZN2at6native12_GLOBAL__N_124unique_dim_cuda_templateIbEESt5tupleIJNSH_6TensorESM_SM_EERKSM_lbbbEUlllE0_EEPmJS6_EEE10hipError_tPvRmT3_T4_T5_T6_T7_T9_mT8_P12ihipStream_tbDpT10_ENKUlT_T0_E_clISt17integral_constantIbLb0EES1B_IbLb1EEEEDaS17_S18_EUlS17_E_NS1_11comp_targetILNS1_3genE2ELNS1_11target_archE906ELNS1_3gpuE6ELNS1_3repE0EEENS1_30default_config_static_selectorELNS0_4arch9wavefront6targetE0EEEvT1_,comdat
	.globl	_ZN7rocprim17ROCPRIM_400000_NS6detail17trampoline_kernelINS0_14default_configENS1_25partition_config_selectorILNS1_17partition_subalgoE8ElNS0_10empty_typeEbEEZZNS1_14partition_implILS5_8ELb0ES3_jPlPS6_PKS6_NS0_5tupleIJS9_S6_EEENSD_IJSA_SA_EEENS0_18inequality_wrapperIZN2at6native12_GLOBAL__N_124unique_dim_cuda_templateIbEESt5tupleIJNSH_6TensorESM_SM_EERKSM_lbbbEUlllE0_EEPmJS6_EEE10hipError_tPvRmT3_T4_T5_T6_T7_T9_mT8_P12ihipStream_tbDpT10_ENKUlT_T0_E_clISt17integral_constantIbLb0EES1B_IbLb1EEEEDaS17_S18_EUlS17_E_NS1_11comp_targetILNS1_3genE2ELNS1_11target_archE906ELNS1_3gpuE6ELNS1_3repE0EEENS1_30default_config_static_selectorELNS0_4arch9wavefront6targetE0EEEvT1_ ; -- Begin function _ZN7rocprim17ROCPRIM_400000_NS6detail17trampoline_kernelINS0_14default_configENS1_25partition_config_selectorILNS1_17partition_subalgoE8ElNS0_10empty_typeEbEEZZNS1_14partition_implILS5_8ELb0ES3_jPlPS6_PKS6_NS0_5tupleIJS9_S6_EEENSD_IJSA_SA_EEENS0_18inequality_wrapperIZN2at6native12_GLOBAL__N_124unique_dim_cuda_templateIbEESt5tupleIJNSH_6TensorESM_SM_EERKSM_lbbbEUlllE0_EEPmJS6_EEE10hipError_tPvRmT3_T4_T5_T6_T7_T9_mT8_P12ihipStream_tbDpT10_ENKUlT_T0_E_clISt17integral_constantIbLb0EES1B_IbLb1EEEEDaS17_S18_EUlS17_E_NS1_11comp_targetILNS1_3genE2ELNS1_11target_archE906ELNS1_3gpuE6ELNS1_3repE0EEENS1_30default_config_static_selectorELNS0_4arch9wavefront6targetE0EEEvT1_
	.p2align	8
	.type	_ZN7rocprim17ROCPRIM_400000_NS6detail17trampoline_kernelINS0_14default_configENS1_25partition_config_selectorILNS1_17partition_subalgoE8ElNS0_10empty_typeEbEEZZNS1_14partition_implILS5_8ELb0ES3_jPlPS6_PKS6_NS0_5tupleIJS9_S6_EEENSD_IJSA_SA_EEENS0_18inequality_wrapperIZN2at6native12_GLOBAL__N_124unique_dim_cuda_templateIbEESt5tupleIJNSH_6TensorESM_SM_EERKSM_lbbbEUlllE0_EEPmJS6_EEE10hipError_tPvRmT3_T4_T5_T6_T7_T9_mT8_P12ihipStream_tbDpT10_ENKUlT_T0_E_clISt17integral_constantIbLb0EES1B_IbLb1EEEEDaS17_S18_EUlS17_E_NS1_11comp_targetILNS1_3genE2ELNS1_11target_archE906ELNS1_3gpuE6ELNS1_3repE0EEENS1_30default_config_static_selectorELNS0_4arch9wavefront6targetE0EEEvT1_,@function
_ZN7rocprim17ROCPRIM_400000_NS6detail17trampoline_kernelINS0_14default_configENS1_25partition_config_selectorILNS1_17partition_subalgoE8ElNS0_10empty_typeEbEEZZNS1_14partition_implILS5_8ELb0ES3_jPlPS6_PKS6_NS0_5tupleIJS9_S6_EEENSD_IJSA_SA_EEENS0_18inequality_wrapperIZN2at6native12_GLOBAL__N_124unique_dim_cuda_templateIbEESt5tupleIJNSH_6TensorESM_SM_EERKSM_lbbbEUlllE0_EEPmJS6_EEE10hipError_tPvRmT3_T4_T5_T6_T7_T9_mT8_P12ihipStream_tbDpT10_ENKUlT_T0_E_clISt17integral_constantIbLb0EES1B_IbLb1EEEEDaS17_S18_EUlS17_E_NS1_11comp_targetILNS1_3genE2ELNS1_11target_archE906ELNS1_3gpuE6ELNS1_3repE0EEENS1_30default_config_static_selectorELNS0_4arch9wavefront6targetE0EEEvT1_: ; @_ZN7rocprim17ROCPRIM_400000_NS6detail17trampoline_kernelINS0_14default_configENS1_25partition_config_selectorILNS1_17partition_subalgoE8ElNS0_10empty_typeEbEEZZNS1_14partition_implILS5_8ELb0ES3_jPlPS6_PKS6_NS0_5tupleIJS9_S6_EEENSD_IJSA_SA_EEENS0_18inequality_wrapperIZN2at6native12_GLOBAL__N_124unique_dim_cuda_templateIbEESt5tupleIJNSH_6TensorESM_SM_EERKSM_lbbbEUlllE0_EEPmJS6_EEE10hipError_tPvRmT3_T4_T5_T6_T7_T9_mT8_P12ihipStream_tbDpT10_ENKUlT_T0_E_clISt17integral_constantIbLb0EES1B_IbLb1EEEEDaS17_S18_EUlS17_E_NS1_11comp_targetILNS1_3genE2ELNS1_11target_archE906ELNS1_3gpuE6ELNS1_3repE0EEENS1_30default_config_static_selectorELNS0_4arch9wavefront6targetE0EEEvT1_
; %bb.0:
	.section	.rodata,"a",@progbits
	.p2align	6, 0x0
	.amdhsa_kernel _ZN7rocprim17ROCPRIM_400000_NS6detail17trampoline_kernelINS0_14default_configENS1_25partition_config_selectorILNS1_17partition_subalgoE8ElNS0_10empty_typeEbEEZZNS1_14partition_implILS5_8ELb0ES3_jPlPS6_PKS6_NS0_5tupleIJS9_S6_EEENSD_IJSA_SA_EEENS0_18inequality_wrapperIZN2at6native12_GLOBAL__N_124unique_dim_cuda_templateIbEESt5tupleIJNSH_6TensorESM_SM_EERKSM_lbbbEUlllE0_EEPmJS6_EEE10hipError_tPvRmT3_T4_T5_T6_T7_T9_mT8_P12ihipStream_tbDpT10_ENKUlT_T0_E_clISt17integral_constantIbLb0EES1B_IbLb1EEEEDaS17_S18_EUlS17_E_NS1_11comp_targetILNS1_3genE2ELNS1_11target_archE906ELNS1_3gpuE6ELNS1_3repE0EEENS1_30default_config_static_selectorELNS0_4arch9wavefront6targetE0EEEvT1_
		.amdhsa_group_segment_fixed_size 0
		.amdhsa_private_segment_fixed_size 0
		.amdhsa_kernarg_size 136
		.amdhsa_user_sgpr_count 15
		.amdhsa_user_sgpr_dispatch_ptr 0
		.amdhsa_user_sgpr_queue_ptr 0
		.amdhsa_user_sgpr_kernarg_segment_ptr 1
		.amdhsa_user_sgpr_dispatch_id 0
		.amdhsa_user_sgpr_private_segment_size 0
		.amdhsa_wavefront_size32 1
		.amdhsa_uses_dynamic_stack 0
		.amdhsa_enable_private_segment 0
		.amdhsa_system_sgpr_workgroup_id_x 1
		.amdhsa_system_sgpr_workgroup_id_y 0
		.amdhsa_system_sgpr_workgroup_id_z 0
		.amdhsa_system_sgpr_workgroup_info 0
		.amdhsa_system_vgpr_workitem_id 0
		.amdhsa_next_free_vgpr 1
		.amdhsa_next_free_sgpr 1
		.amdhsa_reserve_vcc 0
		.amdhsa_float_round_mode_32 0
		.amdhsa_float_round_mode_16_64 0
		.amdhsa_float_denorm_mode_32 3
		.amdhsa_float_denorm_mode_16_64 3
		.amdhsa_dx10_clamp 1
		.amdhsa_ieee_mode 1
		.amdhsa_fp16_overflow 0
		.amdhsa_workgroup_processor_mode 1
		.amdhsa_memory_ordered 1
		.amdhsa_forward_progress 0
		.amdhsa_shared_vgpr_count 0
		.amdhsa_exception_fp_ieee_invalid_op 0
		.amdhsa_exception_fp_denorm_src 0
		.amdhsa_exception_fp_ieee_div_zero 0
		.amdhsa_exception_fp_ieee_overflow 0
		.amdhsa_exception_fp_ieee_underflow 0
		.amdhsa_exception_fp_ieee_inexact 0
		.amdhsa_exception_int_div_zero 0
	.end_amdhsa_kernel
	.section	.text._ZN7rocprim17ROCPRIM_400000_NS6detail17trampoline_kernelINS0_14default_configENS1_25partition_config_selectorILNS1_17partition_subalgoE8ElNS0_10empty_typeEbEEZZNS1_14partition_implILS5_8ELb0ES3_jPlPS6_PKS6_NS0_5tupleIJS9_S6_EEENSD_IJSA_SA_EEENS0_18inequality_wrapperIZN2at6native12_GLOBAL__N_124unique_dim_cuda_templateIbEESt5tupleIJNSH_6TensorESM_SM_EERKSM_lbbbEUlllE0_EEPmJS6_EEE10hipError_tPvRmT3_T4_T5_T6_T7_T9_mT8_P12ihipStream_tbDpT10_ENKUlT_T0_E_clISt17integral_constantIbLb0EES1B_IbLb1EEEEDaS17_S18_EUlS17_E_NS1_11comp_targetILNS1_3genE2ELNS1_11target_archE906ELNS1_3gpuE6ELNS1_3repE0EEENS1_30default_config_static_selectorELNS0_4arch9wavefront6targetE0EEEvT1_,"axG",@progbits,_ZN7rocprim17ROCPRIM_400000_NS6detail17trampoline_kernelINS0_14default_configENS1_25partition_config_selectorILNS1_17partition_subalgoE8ElNS0_10empty_typeEbEEZZNS1_14partition_implILS5_8ELb0ES3_jPlPS6_PKS6_NS0_5tupleIJS9_S6_EEENSD_IJSA_SA_EEENS0_18inequality_wrapperIZN2at6native12_GLOBAL__N_124unique_dim_cuda_templateIbEESt5tupleIJNSH_6TensorESM_SM_EERKSM_lbbbEUlllE0_EEPmJS6_EEE10hipError_tPvRmT3_T4_T5_T6_T7_T9_mT8_P12ihipStream_tbDpT10_ENKUlT_T0_E_clISt17integral_constantIbLb0EES1B_IbLb1EEEEDaS17_S18_EUlS17_E_NS1_11comp_targetILNS1_3genE2ELNS1_11target_archE906ELNS1_3gpuE6ELNS1_3repE0EEENS1_30default_config_static_selectorELNS0_4arch9wavefront6targetE0EEEvT1_,comdat
.Lfunc_end1079:
	.size	_ZN7rocprim17ROCPRIM_400000_NS6detail17trampoline_kernelINS0_14default_configENS1_25partition_config_selectorILNS1_17partition_subalgoE8ElNS0_10empty_typeEbEEZZNS1_14partition_implILS5_8ELb0ES3_jPlPS6_PKS6_NS0_5tupleIJS9_S6_EEENSD_IJSA_SA_EEENS0_18inequality_wrapperIZN2at6native12_GLOBAL__N_124unique_dim_cuda_templateIbEESt5tupleIJNSH_6TensorESM_SM_EERKSM_lbbbEUlllE0_EEPmJS6_EEE10hipError_tPvRmT3_T4_T5_T6_T7_T9_mT8_P12ihipStream_tbDpT10_ENKUlT_T0_E_clISt17integral_constantIbLb0EES1B_IbLb1EEEEDaS17_S18_EUlS17_E_NS1_11comp_targetILNS1_3genE2ELNS1_11target_archE906ELNS1_3gpuE6ELNS1_3repE0EEENS1_30default_config_static_selectorELNS0_4arch9wavefront6targetE0EEEvT1_, .Lfunc_end1079-_ZN7rocprim17ROCPRIM_400000_NS6detail17trampoline_kernelINS0_14default_configENS1_25partition_config_selectorILNS1_17partition_subalgoE8ElNS0_10empty_typeEbEEZZNS1_14partition_implILS5_8ELb0ES3_jPlPS6_PKS6_NS0_5tupleIJS9_S6_EEENSD_IJSA_SA_EEENS0_18inequality_wrapperIZN2at6native12_GLOBAL__N_124unique_dim_cuda_templateIbEESt5tupleIJNSH_6TensorESM_SM_EERKSM_lbbbEUlllE0_EEPmJS6_EEE10hipError_tPvRmT3_T4_T5_T6_T7_T9_mT8_P12ihipStream_tbDpT10_ENKUlT_T0_E_clISt17integral_constantIbLb0EES1B_IbLb1EEEEDaS17_S18_EUlS17_E_NS1_11comp_targetILNS1_3genE2ELNS1_11target_archE906ELNS1_3gpuE6ELNS1_3repE0EEENS1_30default_config_static_selectorELNS0_4arch9wavefront6targetE0EEEvT1_
                                        ; -- End function
	.section	.AMDGPU.csdata,"",@progbits
; Kernel info:
; codeLenInByte = 0
; NumSgprs: 0
; NumVgprs: 0
; ScratchSize: 0
; MemoryBound: 0
; FloatMode: 240
; IeeeMode: 1
; LDSByteSize: 0 bytes/workgroup (compile time only)
; SGPRBlocks: 0
; VGPRBlocks: 0
; NumSGPRsForWavesPerEU: 1
; NumVGPRsForWavesPerEU: 1
; Occupancy: 16
; WaveLimiterHint : 0
; COMPUTE_PGM_RSRC2:SCRATCH_EN: 0
; COMPUTE_PGM_RSRC2:USER_SGPR: 15
; COMPUTE_PGM_RSRC2:TRAP_HANDLER: 0
; COMPUTE_PGM_RSRC2:TGID_X_EN: 1
; COMPUTE_PGM_RSRC2:TGID_Y_EN: 0
; COMPUTE_PGM_RSRC2:TGID_Z_EN: 0
; COMPUTE_PGM_RSRC2:TIDIG_COMP_CNT: 0
	.section	.text._ZN7rocprim17ROCPRIM_400000_NS6detail17trampoline_kernelINS0_14default_configENS1_25partition_config_selectorILNS1_17partition_subalgoE8ElNS0_10empty_typeEbEEZZNS1_14partition_implILS5_8ELb0ES3_jPlPS6_PKS6_NS0_5tupleIJS9_S6_EEENSD_IJSA_SA_EEENS0_18inequality_wrapperIZN2at6native12_GLOBAL__N_124unique_dim_cuda_templateIbEESt5tupleIJNSH_6TensorESM_SM_EERKSM_lbbbEUlllE0_EEPmJS6_EEE10hipError_tPvRmT3_T4_T5_T6_T7_T9_mT8_P12ihipStream_tbDpT10_ENKUlT_T0_E_clISt17integral_constantIbLb0EES1B_IbLb1EEEEDaS17_S18_EUlS17_E_NS1_11comp_targetILNS1_3genE10ELNS1_11target_archE1200ELNS1_3gpuE4ELNS1_3repE0EEENS1_30default_config_static_selectorELNS0_4arch9wavefront6targetE0EEEvT1_,"axG",@progbits,_ZN7rocprim17ROCPRIM_400000_NS6detail17trampoline_kernelINS0_14default_configENS1_25partition_config_selectorILNS1_17partition_subalgoE8ElNS0_10empty_typeEbEEZZNS1_14partition_implILS5_8ELb0ES3_jPlPS6_PKS6_NS0_5tupleIJS9_S6_EEENSD_IJSA_SA_EEENS0_18inequality_wrapperIZN2at6native12_GLOBAL__N_124unique_dim_cuda_templateIbEESt5tupleIJNSH_6TensorESM_SM_EERKSM_lbbbEUlllE0_EEPmJS6_EEE10hipError_tPvRmT3_T4_T5_T6_T7_T9_mT8_P12ihipStream_tbDpT10_ENKUlT_T0_E_clISt17integral_constantIbLb0EES1B_IbLb1EEEEDaS17_S18_EUlS17_E_NS1_11comp_targetILNS1_3genE10ELNS1_11target_archE1200ELNS1_3gpuE4ELNS1_3repE0EEENS1_30default_config_static_selectorELNS0_4arch9wavefront6targetE0EEEvT1_,comdat
	.globl	_ZN7rocprim17ROCPRIM_400000_NS6detail17trampoline_kernelINS0_14default_configENS1_25partition_config_selectorILNS1_17partition_subalgoE8ElNS0_10empty_typeEbEEZZNS1_14partition_implILS5_8ELb0ES3_jPlPS6_PKS6_NS0_5tupleIJS9_S6_EEENSD_IJSA_SA_EEENS0_18inequality_wrapperIZN2at6native12_GLOBAL__N_124unique_dim_cuda_templateIbEESt5tupleIJNSH_6TensorESM_SM_EERKSM_lbbbEUlllE0_EEPmJS6_EEE10hipError_tPvRmT3_T4_T5_T6_T7_T9_mT8_P12ihipStream_tbDpT10_ENKUlT_T0_E_clISt17integral_constantIbLb0EES1B_IbLb1EEEEDaS17_S18_EUlS17_E_NS1_11comp_targetILNS1_3genE10ELNS1_11target_archE1200ELNS1_3gpuE4ELNS1_3repE0EEENS1_30default_config_static_selectorELNS0_4arch9wavefront6targetE0EEEvT1_ ; -- Begin function _ZN7rocprim17ROCPRIM_400000_NS6detail17trampoline_kernelINS0_14default_configENS1_25partition_config_selectorILNS1_17partition_subalgoE8ElNS0_10empty_typeEbEEZZNS1_14partition_implILS5_8ELb0ES3_jPlPS6_PKS6_NS0_5tupleIJS9_S6_EEENSD_IJSA_SA_EEENS0_18inequality_wrapperIZN2at6native12_GLOBAL__N_124unique_dim_cuda_templateIbEESt5tupleIJNSH_6TensorESM_SM_EERKSM_lbbbEUlllE0_EEPmJS6_EEE10hipError_tPvRmT3_T4_T5_T6_T7_T9_mT8_P12ihipStream_tbDpT10_ENKUlT_T0_E_clISt17integral_constantIbLb0EES1B_IbLb1EEEEDaS17_S18_EUlS17_E_NS1_11comp_targetILNS1_3genE10ELNS1_11target_archE1200ELNS1_3gpuE4ELNS1_3repE0EEENS1_30default_config_static_selectorELNS0_4arch9wavefront6targetE0EEEvT1_
	.p2align	8
	.type	_ZN7rocprim17ROCPRIM_400000_NS6detail17trampoline_kernelINS0_14default_configENS1_25partition_config_selectorILNS1_17partition_subalgoE8ElNS0_10empty_typeEbEEZZNS1_14partition_implILS5_8ELb0ES3_jPlPS6_PKS6_NS0_5tupleIJS9_S6_EEENSD_IJSA_SA_EEENS0_18inequality_wrapperIZN2at6native12_GLOBAL__N_124unique_dim_cuda_templateIbEESt5tupleIJNSH_6TensorESM_SM_EERKSM_lbbbEUlllE0_EEPmJS6_EEE10hipError_tPvRmT3_T4_T5_T6_T7_T9_mT8_P12ihipStream_tbDpT10_ENKUlT_T0_E_clISt17integral_constantIbLb0EES1B_IbLb1EEEEDaS17_S18_EUlS17_E_NS1_11comp_targetILNS1_3genE10ELNS1_11target_archE1200ELNS1_3gpuE4ELNS1_3repE0EEENS1_30default_config_static_selectorELNS0_4arch9wavefront6targetE0EEEvT1_,@function
_ZN7rocprim17ROCPRIM_400000_NS6detail17trampoline_kernelINS0_14default_configENS1_25partition_config_selectorILNS1_17partition_subalgoE8ElNS0_10empty_typeEbEEZZNS1_14partition_implILS5_8ELb0ES3_jPlPS6_PKS6_NS0_5tupleIJS9_S6_EEENSD_IJSA_SA_EEENS0_18inequality_wrapperIZN2at6native12_GLOBAL__N_124unique_dim_cuda_templateIbEESt5tupleIJNSH_6TensorESM_SM_EERKSM_lbbbEUlllE0_EEPmJS6_EEE10hipError_tPvRmT3_T4_T5_T6_T7_T9_mT8_P12ihipStream_tbDpT10_ENKUlT_T0_E_clISt17integral_constantIbLb0EES1B_IbLb1EEEEDaS17_S18_EUlS17_E_NS1_11comp_targetILNS1_3genE10ELNS1_11target_archE1200ELNS1_3gpuE4ELNS1_3repE0EEENS1_30default_config_static_selectorELNS0_4arch9wavefront6targetE0EEEvT1_: ; @_ZN7rocprim17ROCPRIM_400000_NS6detail17trampoline_kernelINS0_14default_configENS1_25partition_config_selectorILNS1_17partition_subalgoE8ElNS0_10empty_typeEbEEZZNS1_14partition_implILS5_8ELb0ES3_jPlPS6_PKS6_NS0_5tupleIJS9_S6_EEENSD_IJSA_SA_EEENS0_18inequality_wrapperIZN2at6native12_GLOBAL__N_124unique_dim_cuda_templateIbEESt5tupleIJNSH_6TensorESM_SM_EERKSM_lbbbEUlllE0_EEPmJS6_EEE10hipError_tPvRmT3_T4_T5_T6_T7_T9_mT8_P12ihipStream_tbDpT10_ENKUlT_T0_E_clISt17integral_constantIbLb0EES1B_IbLb1EEEEDaS17_S18_EUlS17_E_NS1_11comp_targetILNS1_3genE10ELNS1_11target_archE1200ELNS1_3gpuE4ELNS1_3repE0EEENS1_30default_config_static_selectorELNS0_4arch9wavefront6targetE0EEEvT1_
; %bb.0:
	.section	.rodata,"a",@progbits
	.p2align	6, 0x0
	.amdhsa_kernel _ZN7rocprim17ROCPRIM_400000_NS6detail17trampoline_kernelINS0_14default_configENS1_25partition_config_selectorILNS1_17partition_subalgoE8ElNS0_10empty_typeEbEEZZNS1_14partition_implILS5_8ELb0ES3_jPlPS6_PKS6_NS0_5tupleIJS9_S6_EEENSD_IJSA_SA_EEENS0_18inequality_wrapperIZN2at6native12_GLOBAL__N_124unique_dim_cuda_templateIbEESt5tupleIJNSH_6TensorESM_SM_EERKSM_lbbbEUlllE0_EEPmJS6_EEE10hipError_tPvRmT3_T4_T5_T6_T7_T9_mT8_P12ihipStream_tbDpT10_ENKUlT_T0_E_clISt17integral_constantIbLb0EES1B_IbLb1EEEEDaS17_S18_EUlS17_E_NS1_11comp_targetILNS1_3genE10ELNS1_11target_archE1200ELNS1_3gpuE4ELNS1_3repE0EEENS1_30default_config_static_selectorELNS0_4arch9wavefront6targetE0EEEvT1_
		.amdhsa_group_segment_fixed_size 0
		.amdhsa_private_segment_fixed_size 0
		.amdhsa_kernarg_size 136
		.amdhsa_user_sgpr_count 15
		.amdhsa_user_sgpr_dispatch_ptr 0
		.amdhsa_user_sgpr_queue_ptr 0
		.amdhsa_user_sgpr_kernarg_segment_ptr 1
		.amdhsa_user_sgpr_dispatch_id 0
		.amdhsa_user_sgpr_private_segment_size 0
		.amdhsa_wavefront_size32 1
		.amdhsa_uses_dynamic_stack 0
		.amdhsa_enable_private_segment 0
		.amdhsa_system_sgpr_workgroup_id_x 1
		.amdhsa_system_sgpr_workgroup_id_y 0
		.amdhsa_system_sgpr_workgroup_id_z 0
		.amdhsa_system_sgpr_workgroup_info 0
		.amdhsa_system_vgpr_workitem_id 0
		.amdhsa_next_free_vgpr 1
		.amdhsa_next_free_sgpr 1
		.amdhsa_reserve_vcc 0
		.amdhsa_float_round_mode_32 0
		.amdhsa_float_round_mode_16_64 0
		.amdhsa_float_denorm_mode_32 3
		.amdhsa_float_denorm_mode_16_64 3
		.amdhsa_dx10_clamp 1
		.amdhsa_ieee_mode 1
		.amdhsa_fp16_overflow 0
		.amdhsa_workgroup_processor_mode 1
		.amdhsa_memory_ordered 1
		.amdhsa_forward_progress 0
		.amdhsa_shared_vgpr_count 0
		.amdhsa_exception_fp_ieee_invalid_op 0
		.amdhsa_exception_fp_denorm_src 0
		.amdhsa_exception_fp_ieee_div_zero 0
		.amdhsa_exception_fp_ieee_overflow 0
		.amdhsa_exception_fp_ieee_underflow 0
		.amdhsa_exception_fp_ieee_inexact 0
		.amdhsa_exception_int_div_zero 0
	.end_amdhsa_kernel
	.section	.text._ZN7rocprim17ROCPRIM_400000_NS6detail17trampoline_kernelINS0_14default_configENS1_25partition_config_selectorILNS1_17partition_subalgoE8ElNS0_10empty_typeEbEEZZNS1_14partition_implILS5_8ELb0ES3_jPlPS6_PKS6_NS0_5tupleIJS9_S6_EEENSD_IJSA_SA_EEENS0_18inequality_wrapperIZN2at6native12_GLOBAL__N_124unique_dim_cuda_templateIbEESt5tupleIJNSH_6TensorESM_SM_EERKSM_lbbbEUlllE0_EEPmJS6_EEE10hipError_tPvRmT3_T4_T5_T6_T7_T9_mT8_P12ihipStream_tbDpT10_ENKUlT_T0_E_clISt17integral_constantIbLb0EES1B_IbLb1EEEEDaS17_S18_EUlS17_E_NS1_11comp_targetILNS1_3genE10ELNS1_11target_archE1200ELNS1_3gpuE4ELNS1_3repE0EEENS1_30default_config_static_selectorELNS0_4arch9wavefront6targetE0EEEvT1_,"axG",@progbits,_ZN7rocprim17ROCPRIM_400000_NS6detail17trampoline_kernelINS0_14default_configENS1_25partition_config_selectorILNS1_17partition_subalgoE8ElNS0_10empty_typeEbEEZZNS1_14partition_implILS5_8ELb0ES3_jPlPS6_PKS6_NS0_5tupleIJS9_S6_EEENSD_IJSA_SA_EEENS0_18inequality_wrapperIZN2at6native12_GLOBAL__N_124unique_dim_cuda_templateIbEESt5tupleIJNSH_6TensorESM_SM_EERKSM_lbbbEUlllE0_EEPmJS6_EEE10hipError_tPvRmT3_T4_T5_T6_T7_T9_mT8_P12ihipStream_tbDpT10_ENKUlT_T0_E_clISt17integral_constantIbLb0EES1B_IbLb1EEEEDaS17_S18_EUlS17_E_NS1_11comp_targetILNS1_3genE10ELNS1_11target_archE1200ELNS1_3gpuE4ELNS1_3repE0EEENS1_30default_config_static_selectorELNS0_4arch9wavefront6targetE0EEEvT1_,comdat
.Lfunc_end1080:
	.size	_ZN7rocprim17ROCPRIM_400000_NS6detail17trampoline_kernelINS0_14default_configENS1_25partition_config_selectorILNS1_17partition_subalgoE8ElNS0_10empty_typeEbEEZZNS1_14partition_implILS5_8ELb0ES3_jPlPS6_PKS6_NS0_5tupleIJS9_S6_EEENSD_IJSA_SA_EEENS0_18inequality_wrapperIZN2at6native12_GLOBAL__N_124unique_dim_cuda_templateIbEESt5tupleIJNSH_6TensorESM_SM_EERKSM_lbbbEUlllE0_EEPmJS6_EEE10hipError_tPvRmT3_T4_T5_T6_T7_T9_mT8_P12ihipStream_tbDpT10_ENKUlT_T0_E_clISt17integral_constantIbLb0EES1B_IbLb1EEEEDaS17_S18_EUlS17_E_NS1_11comp_targetILNS1_3genE10ELNS1_11target_archE1200ELNS1_3gpuE4ELNS1_3repE0EEENS1_30default_config_static_selectorELNS0_4arch9wavefront6targetE0EEEvT1_, .Lfunc_end1080-_ZN7rocprim17ROCPRIM_400000_NS6detail17trampoline_kernelINS0_14default_configENS1_25partition_config_selectorILNS1_17partition_subalgoE8ElNS0_10empty_typeEbEEZZNS1_14partition_implILS5_8ELb0ES3_jPlPS6_PKS6_NS0_5tupleIJS9_S6_EEENSD_IJSA_SA_EEENS0_18inequality_wrapperIZN2at6native12_GLOBAL__N_124unique_dim_cuda_templateIbEESt5tupleIJNSH_6TensorESM_SM_EERKSM_lbbbEUlllE0_EEPmJS6_EEE10hipError_tPvRmT3_T4_T5_T6_T7_T9_mT8_P12ihipStream_tbDpT10_ENKUlT_T0_E_clISt17integral_constantIbLb0EES1B_IbLb1EEEEDaS17_S18_EUlS17_E_NS1_11comp_targetILNS1_3genE10ELNS1_11target_archE1200ELNS1_3gpuE4ELNS1_3repE0EEENS1_30default_config_static_selectorELNS0_4arch9wavefront6targetE0EEEvT1_
                                        ; -- End function
	.section	.AMDGPU.csdata,"",@progbits
; Kernel info:
; codeLenInByte = 0
; NumSgprs: 0
; NumVgprs: 0
; ScratchSize: 0
; MemoryBound: 0
; FloatMode: 240
; IeeeMode: 1
; LDSByteSize: 0 bytes/workgroup (compile time only)
; SGPRBlocks: 0
; VGPRBlocks: 0
; NumSGPRsForWavesPerEU: 1
; NumVGPRsForWavesPerEU: 1
; Occupancy: 15
; WaveLimiterHint : 0
; COMPUTE_PGM_RSRC2:SCRATCH_EN: 0
; COMPUTE_PGM_RSRC2:USER_SGPR: 15
; COMPUTE_PGM_RSRC2:TRAP_HANDLER: 0
; COMPUTE_PGM_RSRC2:TGID_X_EN: 1
; COMPUTE_PGM_RSRC2:TGID_Y_EN: 0
; COMPUTE_PGM_RSRC2:TGID_Z_EN: 0
; COMPUTE_PGM_RSRC2:TIDIG_COMP_CNT: 0
	.section	.text._ZN7rocprim17ROCPRIM_400000_NS6detail17trampoline_kernelINS0_14default_configENS1_25partition_config_selectorILNS1_17partition_subalgoE8ElNS0_10empty_typeEbEEZZNS1_14partition_implILS5_8ELb0ES3_jPlPS6_PKS6_NS0_5tupleIJS9_S6_EEENSD_IJSA_SA_EEENS0_18inequality_wrapperIZN2at6native12_GLOBAL__N_124unique_dim_cuda_templateIbEESt5tupleIJNSH_6TensorESM_SM_EERKSM_lbbbEUlllE0_EEPmJS6_EEE10hipError_tPvRmT3_T4_T5_T6_T7_T9_mT8_P12ihipStream_tbDpT10_ENKUlT_T0_E_clISt17integral_constantIbLb0EES1B_IbLb1EEEEDaS17_S18_EUlS17_E_NS1_11comp_targetILNS1_3genE9ELNS1_11target_archE1100ELNS1_3gpuE3ELNS1_3repE0EEENS1_30default_config_static_selectorELNS0_4arch9wavefront6targetE0EEEvT1_,"axG",@progbits,_ZN7rocprim17ROCPRIM_400000_NS6detail17trampoline_kernelINS0_14default_configENS1_25partition_config_selectorILNS1_17partition_subalgoE8ElNS0_10empty_typeEbEEZZNS1_14partition_implILS5_8ELb0ES3_jPlPS6_PKS6_NS0_5tupleIJS9_S6_EEENSD_IJSA_SA_EEENS0_18inequality_wrapperIZN2at6native12_GLOBAL__N_124unique_dim_cuda_templateIbEESt5tupleIJNSH_6TensorESM_SM_EERKSM_lbbbEUlllE0_EEPmJS6_EEE10hipError_tPvRmT3_T4_T5_T6_T7_T9_mT8_P12ihipStream_tbDpT10_ENKUlT_T0_E_clISt17integral_constantIbLb0EES1B_IbLb1EEEEDaS17_S18_EUlS17_E_NS1_11comp_targetILNS1_3genE9ELNS1_11target_archE1100ELNS1_3gpuE3ELNS1_3repE0EEENS1_30default_config_static_selectorELNS0_4arch9wavefront6targetE0EEEvT1_,comdat
	.globl	_ZN7rocprim17ROCPRIM_400000_NS6detail17trampoline_kernelINS0_14default_configENS1_25partition_config_selectorILNS1_17partition_subalgoE8ElNS0_10empty_typeEbEEZZNS1_14partition_implILS5_8ELb0ES3_jPlPS6_PKS6_NS0_5tupleIJS9_S6_EEENSD_IJSA_SA_EEENS0_18inequality_wrapperIZN2at6native12_GLOBAL__N_124unique_dim_cuda_templateIbEESt5tupleIJNSH_6TensorESM_SM_EERKSM_lbbbEUlllE0_EEPmJS6_EEE10hipError_tPvRmT3_T4_T5_T6_T7_T9_mT8_P12ihipStream_tbDpT10_ENKUlT_T0_E_clISt17integral_constantIbLb0EES1B_IbLb1EEEEDaS17_S18_EUlS17_E_NS1_11comp_targetILNS1_3genE9ELNS1_11target_archE1100ELNS1_3gpuE3ELNS1_3repE0EEENS1_30default_config_static_selectorELNS0_4arch9wavefront6targetE0EEEvT1_ ; -- Begin function _ZN7rocprim17ROCPRIM_400000_NS6detail17trampoline_kernelINS0_14default_configENS1_25partition_config_selectorILNS1_17partition_subalgoE8ElNS0_10empty_typeEbEEZZNS1_14partition_implILS5_8ELb0ES3_jPlPS6_PKS6_NS0_5tupleIJS9_S6_EEENSD_IJSA_SA_EEENS0_18inequality_wrapperIZN2at6native12_GLOBAL__N_124unique_dim_cuda_templateIbEESt5tupleIJNSH_6TensorESM_SM_EERKSM_lbbbEUlllE0_EEPmJS6_EEE10hipError_tPvRmT3_T4_T5_T6_T7_T9_mT8_P12ihipStream_tbDpT10_ENKUlT_T0_E_clISt17integral_constantIbLb0EES1B_IbLb1EEEEDaS17_S18_EUlS17_E_NS1_11comp_targetILNS1_3genE9ELNS1_11target_archE1100ELNS1_3gpuE3ELNS1_3repE0EEENS1_30default_config_static_selectorELNS0_4arch9wavefront6targetE0EEEvT1_
	.p2align	8
	.type	_ZN7rocprim17ROCPRIM_400000_NS6detail17trampoline_kernelINS0_14default_configENS1_25partition_config_selectorILNS1_17partition_subalgoE8ElNS0_10empty_typeEbEEZZNS1_14partition_implILS5_8ELb0ES3_jPlPS6_PKS6_NS0_5tupleIJS9_S6_EEENSD_IJSA_SA_EEENS0_18inequality_wrapperIZN2at6native12_GLOBAL__N_124unique_dim_cuda_templateIbEESt5tupleIJNSH_6TensorESM_SM_EERKSM_lbbbEUlllE0_EEPmJS6_EEE10hipError_tPvRmT3_T4_T5_T6_T7_T9_mT8_P12ihipStream_tbDpT10_ENKUlT_T0_E_clISt17integral_constantIbLb0EES1B_IbLb1EEEEDaS17_S18_EUlS17_E_NS1_11comp_targetILNS1_3genE9ELNS1_11target_archE1100ELNS1_3gpuE3ELNS1_3repE0EEENS1_30default_config_static_selectorELNS0_4arch9wavefront6targetE0EEEvT1_,@function
_ZN7rocprim17ROCPRIM_400000_NS6detail17trampoline_kernelINS0_14default_configENS1_25partition_config_selectorILNS1_17partition_subalgoE8ElNS0_10empty_typeEbEEZZNS1_14partition_implILS5_8ELb0ES3_jPlPS6_PKS6_NS0_5tupleIJS9_S6_EEENSD_IJSA_SA_EEENS0_18inequality_wrapperIZN2at6native12_GLOBAL__N_124unique_dim_cuda_templateIbEESt5tupleIJNSH_6TensorESM_SM_EERKSM_lbbbEUlllE0_EEPmJS6_EEE10hipError_tPvRmT3_T4_T5_T6_T7_T9_mT8_P12ihipStream_tbDpT10_ENKUlT_T0_E_clISt17integral_constantIbLb0EES1B_IbLb1EEEEDaS17_S18_EUlS17_E_NS1_11comp_targetILNS1_3genE9ELNS1_11target_archE1100ELNS1_3gpuE3ELNS1_3repE0EEENS1_30default_config_static_selectorELNS0_4arch9wavefront6targetE0EEEvT1_: ; @_ZN7rocprim17ROCPRIM_400000_NS6detail17trampoline_kernelINS0_14default_configENS1_25partition_config_selectorILNS1_17partition_subalgoE8ElNS0_10empty_typeEbEEZZNS1_14partition_implILS5_8ELb0ES3_jPlPS6_PKS6_NS0_5tupleIJS9_S6_EEENSD_IJSA_SA_EEENS0_18inequality_wrapperIZN2at6native12_GLOBAL__N_124unique_dim_cuda_templateIbEESt5tupleIJNSH_6TensorESM_SM_EERKSM_lbbbEUlllE0_EEPmJS6_EEE10hipError_tPvRmT3_T4_T5_T6_T7_T9_mT8_P12ihipStream_tbDpT10_ENKUlT_T0_E_clISt17integral_constantIbLb0EES1B_IbLb1EEEEDaS17_S18_EUlS17_E_NS1_11comp_targetILNS1_3genE9ELNS1_11target_archE1100ELNS1_3gpuE3ELNS1_3repE0EEENS1_30default_config_static_selectorELNS0_4arch9wavefront6targetE0EEEvT1_
; %bb.0:
	s_clause 0x2
	s_load_b64 s[20:21], s[0:1], 0x28
	s_load_b256 s[8:15], s[0:1], 0x40
	s_load_b128 s[16:19], s[0:1], 0x60
	v_cmp_ne_u32_e64 s3, 0, v0
	v_cmp_eq_u32_e64 s2, 0, v0
	s_delay_alu instid0(VALU_DEP_1)
	s_and_saveexec_b32 s4, s2
	s_cbranch_execz .LBB1081_4
; %bb.1:
	s_mov_b32 s6, exec_lo
	s_mov_b32 s5, exec_lo
	v_mbcnt_lo_u32_b32 v1, s6, 0
                                        ; implicit-def: $vgpr2
	s_delay_alu instid0(VALU_DEP_1)
	v_cmpx_eq_u32_e32 0, v1
	s_cbranch_execz .LBB1081_3
; %bb.2:
	s_load_b64 s[22:23], s[0:1], 0x78
	s_bcnt1_i32_b32 s6, s6
	s_delay_alu instid0(SALU_CYCLE_1)
	v_dual_mov_b32 v2, 0 :: v_dual_mov_b32 v3, s6
	s_waitcnt lgkmcnt(0)
	global_atomic_add_u32 v2, v2, v3, s[22:23] glc
.LBB1081_3:
	s_or_b32 exec_lo, exec_lo, s5
	s_waitcnt vmcnt(0)
	v_readfirstlane_b32 s5, v2
	s_delay_alu instid0(VALU_DEP_1)
	v_dual_mov_b32 v2, 0 :: v_dual_add_nc_u32 v1, s5, v1
	ds_store_b32 v2, v1
.LBB1081_4:
	s_or_b32 exec_lo, exec_lo, s4
	v_dual_mov_b32 v2, 0 :: v_dual_lshlrev_b32 v39, 3, v0
	s_clause 0x1
	s_load_b128 s[4:7], s[0:1], 0x8
	s_load_b32 s0, s[0:1], 0x70
	s_waitcnt lgkmcnt(0)
	s_barrier
	buffer_gl0_inv
	ds_load_b32 v1, v2
	s_waitcnt lgkmcnt(0)
	s_barrier
	buffer_gl0_inv
	global_load_b64 v[3:4], v2, s[10:11]
	v_lshrrev_b32_e32 v19, 2, v0
	v_or_b32_e32 v26, 0x200, v0
	v_or_b32_e32 v25, 0x400, v0
	;; [unrolled: 1-line block ×7, first 2 shown]
	s_lshl_b64 s[10:11], s[6:7], 3
	s_delay_alu instid0(SALU_CYCLE_1)
	s_add_u32 s1, s4, s10
	s_addc_u32 s10, s5, s11
	s_add_i32 s11, s0, -1
	v_readfirstlane_b32 s23, v1
	s_lshl_b32 s4, s11, 12
	v_lshlrev_b32_e32 v1, 12, v1
	s_lshl_b32 s5, s0, 12
	s_add_i32 s0, s6, s4
	s_add_u32 s4, s6, s5
	s_addc_u32 s5, s7, 0
	v_lshlrev_b64 v[1:2], 3, v[1:2]
	v_cmp_ge_u64_e64 s4, s[4:5], s[12:13]
	s_cmp_eq_u32 s23, s11
	s_cselect_b32 s13, -1, 0
	s_delay_alu instid0(VALU_DEP_2) | instskip(NEXT) | instid1(VALU_DEP_2)
	v_add_co_u32 v17, vcc_lo, s1, v1
	s_and_b32 s24, s4, s13
	v_add_co_ci_u32_e32 v18, vcc_lo, s10, v2, vcc_lo
	s_xor_b32 s22, s24, -1
	s_mov_b32 s1, -1
	s_and_b32 vcc_lo, exec_lo, s22
	s_waitcnt vmcnt(0)
	v_readfirstlane_b32 s10, v3
	v_readfirstlane_b32 s11, v4
	s_cbranch_vccz .LBB1081_6
; %bb.5:
	v_add_co_u32 v9, vcc_lo, v17, v39
	v_add_co_ci_u32_e32 v10, vcc_lo, 0, v18, vcc_lo
	v_readfirstlane_b32 s4, v17
	s_delay_alu instid0(VALU_DEP_3) | instskip(NEXT) | instid1(VALU_DEP_3)
	v_add_co_u32 v3, vcc_lo, v9, 0x2000
	v_add_co_ci_u32_e32 v4, vcc_lo, 0, v10, vcc_lo
	v_add_co_u32 v5, vcc_lo, v9, 0x4000
	v_add_co_ci_u32_e32 v6, vcc_lo, 0, v10, vcc_lo
	v_add_co_u32 v7, vcc_lo, v9, 0x6000
	v_readfirstlane_b32 s5, v18
	v_add_co_ci_u32_e32 v8, vcc_lo, 0, v10, vcc_lo
	v_add_co_u32 v9, vcc_lo, 0x7000, v9
	v_add_co_ci_u32_e32 v10, vcc_lo, 0, v10, vcc_lo
	s_clause 0x7
	global_load_b64 v[1:2], v39, s[4:5]
	global_load_b64 v[11:12], v[3:4], off offset:-4096
	global_load_b64 v[3:4], v[3:4], off
	global_load_b64 v[13:14], v[5:6], off offset:-4096
	global_load_b64 v[5:6], v[5:6], off
	;; [unrolled: 2-line block ×3, first 2 shown]
	global_load_b64 v[9:10], v[9:10], off
	v_lshrrev_b32_e32 v28, 2, v26
	v_lshrrev_b32_e32 v29, 2, v25
	;; [unrolled: 1-line block ×4, first 2 shown]
	v_and_b32_e32 v27, 0x78, v19
	v_lshrrev_b32_e32 v32, 2, v22
	v_lshrrev_b32_e32 v33, 2, v21
	;; [unrolled: 1-line block ×3, first 2 shown]
	v_and_b32_e32 v28, 0xf8, v28
	v_and_b32_e32 v29, 0x178, v29
	;; [unrolled: 1-line block ×4, first 2 shown]
	v_add_nc_u32_e32 v27, v27, v39
	v_and_b32_e32 v32, 0x2f8, v32
	v_and_b32_e32 v33, 0x378, v33
	;; [unrolled: 1-line block ×3, first 2 shown]
	v_add_nc_u32_e32 v28, v28, v39
	v_add_nc_u32_e32 v29, v29, v39
	;; [unrolled: 1-line block ×4, first 2 shown]
	s_mov_b32 s1, 0
	v_add_nc_u32_e32 v32, v32, v39
	v_add_nc_u32_e32 v33, v33, v39
	;; [unrolled: 1-line block ×3, first 2 shown]
	s_waitcnt vmcnt(7)
	ds_store_b64 v27, v[1:2]
	s_waitcnt vmcnt(6)
	ds_store_b64 v28, v[11:12] offset:4096
	s_waitcnt vmcnt(5)
	ds_store_b64 v29, v[3:4] offset:8192
	;; [unrolled: 2-line block ×7, first 2 shown]
	s_waitcnt lgkmcnt(0)
	s_barrier
.LBB1081_6:
	s_and_not1_b32 vcc_lo, exec_lo, s1
	s_sub_i32 s12, s12, s0
	s_cbranch_vccnz .LBB1081_17
; %bb.7:
	s_mov_b32 s0, exec_lo
                                        ; implicit-def: $vgpr1_vgpr2_vgpr3_vgpr4_vgpr5_vgpr6_vgpr7_vgpr8_vgpr9_vgpr10_vgpr11_vgpr12_vgpr13_vgpr14_vgpr15_vgpr16
	v_cmpx_gt_u32_e64 s12, v0
	s_cbranch_execnz .LBB1081_27
; %bb.8:
	s_or_b32 exec_lo, exec_lo, s0
	s_delay_alu instid0(SALU_CYCLE_1)
	s_mov_b32 s0, exec_lo
	v_cmpx_gt_u32_e64 s12, v26
	s_cbranch_execnz .LBB1081_28
.LBB1081_9:
	s_or_b32 exec_lo, exec_lo, s0
	s_delay_alu instid0(SALU_CYCLE_1)
	s_mov_b32 s0, exec_lo
	v_cmpx_gt_u32_e64 s12, v25
	s_cbranch_execnz .LBB1081_29
.LBB1081_10:
	s_or_b32 exec_lo, exec_lo, s0
	s_delay_alu instid0(SALU_CYCLE_1)
	s_mov_b32 s0, exec_lo
	v_cmpx_gt_u32_e64 s12, v24
	s_cbranch_execnz .LBB1081_30
.LBB1081_11:
	s_or_b32 exec_lo, exec_lo, s0
	s_delay_alu instid0(SALU_CYCLE_1)
	s_mov_b32 s0, exec_lo
	v_cmpx_gt_u32_e64 s12, v23
	s_cbranch_execnz .LBB1081_31
.LBB1081_12:
	s_or_b32 exec_lo, exec_lo, s0
	s_delay_alu instid0(SALU_CYCLE_1)
	s_mov_b32 s0, exec_lo
	v_cmpx_gt_u32_e64 s12, v22
	s_cbranch_execnz .LBB1081_32
.LBB1081_13:
	s_or_b32 exec_lo, exec_lo, s0
	s_delay_alu instid0(SALU_CYCLE_1)
	s_mov_b32 s0, exec_lo
	v_cmpx_gt_u32_e64 s12, v21
	s_cbranch_execnz .LBB1081_33
.LBB1081_14:
	s_or_b32 exec_lo, exec_lo, s0
	s_delay_alu instid0(SALU_CYCLE_1)
	s_mov_b32 s0, exec_lo
	v_cmpx_gt_u32_e64 s12, v20
	s_cbranch_execz .LBB1081_16
.LBB1081_15:
	v_lshlrev_b32_e32 v15, 3, v20
	v_readfirstlane_b32 s4, v17
	v_readfirstlane_b32 s5, v18
	global_load_b64 v[15:16], v15, s[4:5]
.LBB1081_16:
	s_or_b32 exec_lo, exec_lo, s0
	v_lshrrev_b32_e32 v26, 2, v26
	v_lshrrev_b32_e32 v25, 2, v25
	;; [unrolled: 1-line block ×4, first 2 shown]
	v_and_b32_e32 v27, 0x78, v19
	v_lshrrev_b32_e32 v22, 2, v22
	v_lshrrev_b32_e32 v21, 2, v21
	;; [unrolled: 1-line block ×3, first 2 shown]
	v_and_b32_e32 v26, 0xf8, v26
	v_and_b32_e32 v25, 0x1f8, v25
	;; [unrolled: 1-line block ×4, first 2 shown]
	v_add_nc_u32_e32 v27, v27, v39
	v_and_b32_e32 v22, 0x3f8, v22
	v_and_b32_e32 v21, 0x3f8, v21
	;; [unrolled: 1-line block ×3, first 2 shown]
	v_add_nc_u32_e32 v26, v26, v39
	v_add_nc_u32_e32 v25, v25, v39
	;; [unrolled: 1-line block ×7, first 2 shown]
	s_waitcnt vmcnt(0)
	ds_store_b64 v27, v[1:2]
	ds_store_b64 v26, v[3:4] offset:4096
	ds_store_b64 v25, v[5:6] offset:8192
	;; [unrolled: 1-line block ×7, first 2 shown]
	s_waitcnt lgkmcnt(0)
	s_barrier
.LBB1081_17:
	v_add_lshl_u32 v1, v19, v39, 3
	buffer_gl0_inv
	s_cmp_lg_u32 s23, 0
	ds_load_2addr_b64 v[13:16], v1 offset1:1
	ds_load_2addr_b64 v[9:12], v1 offset0:2 offset1:3
	ds_load_2addr_b64 v[5:8], v1 offset0:4 offset1:5
	;; [unrolled: 1-line block ×3, first 2 shown]
	s_cselect_b32 s25, -1, 0
	s_cmp_lg_u64 s[6:7], 0
	v_cmp_lt_i64_e64 s7, s[14:15], 1
	s_cselect_b32 s0, -1, 0
	s_mov_b32 s6, 0
	s_or_b32 s1, s0, s25
	v_cmp_gt_i64_e64 s0, s[14:15], 0
	s_and_b32 vcc_lo, exec_lo, s1
	s_waitcnt lgkmcnt(0)
	s_barrier
	buffer_gl0_inv
	s_cbranch_vccz .LBB1081_26
; %bb.18:
	global_load_b64 v[19:20], v[17:18], off offset:-8
	s_and_b32 vcc_lo, exec_lo, s22
	ds_store_b64 v39, v[3:4]
	s_cbranch_vccz .LBB1081_34
; %bb.19:
	v_cndmask_b32_e64 v28, 0, 1, s0
	s_and_not1_b32 vcc_lo, exec_lo, s0
	s_cbranch_vccnz .LBB1081_35
; %bb.20:
	v_mad_u64_u32 v[17:18], null, v1, s14, s[16:17]
	v_mul_lo_u32 v23, v1, s15
	v_mul_lo_u32 v24, v2, s14
	v_mad_u64_u32 v[21:22], null, v3, s14, s[16:17]
	v_mul_lo_u32 v25, v3, s15
	v_mul_lo_u32 v26, v4, s14
	s_mov_b32 s27, 0
	s_mov_b32 s6, -1
	s_delay_alu instid0(VALU_DEP_4) | instskip(NEXT) | instid1(VALU_DEP_2)
	v_add3_u32 v18, v24, v18, v23
	v_add3_u32 v22, v26, v22, v25
	s_clause 0x1
	global_load_u8 v23, v[17:18], off
	global_load_u8 v24, v[21:22], off
	s_waitcnt vmcnt(1)
	v_cmp_ne_u16_e32 vcc_lo, 0, v23
	s_waitcnt vmcnt(0)
	v_cmp_ne_u16_e64 s0, 0, v24
	s_delay_alu instid0(VALU_DEP_1) | instskip(NEXT) | instid1(SALU_CYCLE_1)
	s_xor_b32 s0, vcc_lo, s0
	s_xor_b32 s0, s0, -1
	s_delay_alu instid0(SALU_CYCLE_1)
	s_and_saveexec_b32 s26, s0
	s_cbranch_execz .LBB1081_37
; %bb.21:
	s_mov_b64 s[4:5], 1
                                        ; implicit-def: $sgpr6
	s_set_inst_prefetch_distance 0x1
	s_branch .LBB1081_24
	.p2align	6
.LBB1081_22:                            ;   in Loop: Header=BB1081_24 Depth=1
	v_add_co_u32 v23, s0, v17, s4
	s_delay_alu instid0(VALU_DEP_1) | instskip(SKIP_1) | instid1(VALU_DEP_1)
	v_add_co_ci_u32_e64 v24, s0, s5, v18, s0
	v_add_co_u32 v25, s0, v21, s4
	v_add_co_ci_u32_e64 v26, s0, s5, v22, s0
	s_clause 0x1
	global_load_u8 v23, v[23:24], off
	global_load_u8 v24, v[25:26], off
	s_waitcnt vmcnt(1)
	v_cmp_ne_u16_e64 s0, 0, v23
	s_waitcnt vmcnt(0)
	v_cmp_ne_u16_e64 s1, 0, v24
	s_delay_alu instid0(VALU_DEP_1) | instskip(SKIP_4) | instid1(SALU_CYCLE_1)
	s_xor_b32 s28, s0, s1
	s_add_u32 s0, s4, 1
	s_addc_u32 s1, s5, 0
	s_and_not1_b32 s6, s6, exec_lo
	s_and_b32 s28, s28, exec_lo
	s_or_b32 s6, s6, s28
.LBB1081_23:                            ;   in Loop: Header=BB1081_24 Depth=1
	v_dual_mov_b32 v24, s5 :: v_dual_mov_b32 v23, s4
	s_and_b32 s28, exec_lo, s6
	s_mov_b64 s[4:5], s[0:1]
	s_or_b32 s27, s28, s27
	s_delay_alu instid0(SALU_CYCLE_1)
	s_and_not1_b32 exec_lo, exec_lo, s27
	s_cbranch_execz .LBB1081_36
.LBB1081_24:                            ; =>This Inner Loop Header: Depth=1
	s_or_b32 s6, s6, exec_lo
	s_cmp_eq_u64 s[14:15], s[4:5]
	s_cbranch_scc0 .LBB1081_22
; %bb.25:                               ;   in Loop: Header=BB1081_24 Depth=1
	s_mov_b64 s[4:5], s[14:15]
                                        ; implicit-def: $sgpr0_sgpr1
	s_branch .LBB1081_23
.LBB1081_26:
                                        ; implicit-def: $sgpr0
                                        ; implicit-def: $vgpr18
	s_branch .LBB1081_178
.LBB1081_27:
	v_readfirstlane_b32 s4, v17
	v_readfirstlane_b32 s5, v18
	global_load_b64 v[1:2], v39, s[4:5]
	s_or_b32 exec_lo, exec_lo, s0
	s_delay_alu instid0(SALU_CYCLE_1)
	s_mov_b32 s0, exec_lo
	v_cmpx_gt_u32_e64 s12, v26
	s_cbranch_execz .LBB1081_9
.LBB1081_28:
	v_lshlrev_b32_e32 v3, 3, v26
	v_readfirstlane_b32 s4, v17
	v_readfirstlane_b32 s5, v18
	global_load_b64 v[3:4], v3, s[4:5]
	s_or_b32 exec_lo, exec_lo, s0
	s_delay_alu instid0(SALU_CYCLE_1)
	s_mov_b32 s0, exec_lo
	v_cmpx_gt_u32_e64 s12, v25
	s_cbranch_execz .LBB1081_10
.LBB1081_29:
	v_lshlrev_b32_e32 v5, 3, v25
	v_readfirstlane_b32 s4, v17
	v_readfirstlane_b32 s5, v18
	global_load_b64 v[5:6], v5, s[4:5]
	s_or_b32 exec_lo, exec_lo, s0
	s_delay_alu instid0(SALU_CYCLE_1)
	s_mov_b32 s0, exec_lo
	v_cmpx_gt_u32_e64 s12, v24
	s_cbranch_execz .LBB1081_11
.LBB1081_30:
	v_lshlrev_b32_e32 v7, 3, v24
	v_readfirstlane_b32 s4, v17
	v_readfirstlane_b32 s5, v18
	global_load_b64 v[7:8], v7, s[4:5]
	s_or_b32 exec_lo, exec_lo, s0
	s_delay_alu instid0(SALU_CYCLE_1)
	s_mov_b32 s0, exec_lo
	v_cmpx_gt_u32_e64 s12, v23
	s_cbranch_execz .LBB1081_12
.LBB1081_31:
	v_lshlrev_b32_e32 v9, 3, v23
	v_readfirstlane_b32 s4, v17
	v_readfirstlane_b32 s5, v18
	global_load_b64 v[9:10], v9, s[4:5]
	s_or_b32 exec_lo, exec_lo, s0
	s_delay_alu instid0(SALU_CYCLE_1)
	s_mov_b32 s0, exec_lo
	v_cmpx_gt_u32_e64 s12, v22
	s_cbranch_execz .LBB1081_13
.LBB1081_32:
	v_lshlrev_b32_e32 v11, 3, v22
	v_readfirstlane_b32 s4, v17
	v_readfirstlane_b32 s5, v18
	global_load_b64 v[11:12], v11, s[4:5]
	s_or_b32 exec_lo, exec_lo, s0
	s_delay_alu instid0(SALU_CYCLE_1)
	s_mov_b32 s0, exec_lo
	v_cmpx_gt_u32_e64 s12, v21
	s_cbranch_execz .LBB1081_14
.LBB1081_33:
	v_lshlrev_b32_e32 v13, 3, v21
	v_readfirstlane_b32 s4, v17
	v_readfirstlane_b32 s5, v18
	global_load_b64 v[13:14], v13, s[4:5]
	s_or_b32 exec_lo, exec_lo, s0
	s_delay_alu instid0(SALU_CYCLE_1)
	s_mov_b32 s0, exec_lo
	v_cmpx_gt_u32_e64 s12, v20
	s_cbranch_execnz .LBB1081_15
	s_branch .LBB1081_16
.LBB1081_34:
                                        ; implicit-def: $sgpr0
                                        ; implicit-def: $vgpr18
	s_cbranch_execnz .LBB1081_102
	s_branch .LBB1081_177
.LBB1081_35:
	v_mov_b32_e32 v17, 0
	s_mov_b32 s0, 0
	s_branch .LBB1081_45
.LBB1081_36:
	s_set_inst_prefetch_distance 0x2
	s_or_b32 exec_lo, exec_lo, s27
	v_cmp_gt_i64_e64 s0, s[14:15], v[23:24]
	s_delay_alu instid0(VALU_DEP_1)
	s_or_not1_b32 s6, s0, exec_lo
.LBB1081_37:
	s_or_b32 exec_lo, exec_lo, s26
	v_mad_u64_u32 v[21:22], null, v7, s14, s[16:17]
	v_mul_lo_u32 v23, v7, s15
	v_mul_lo_u32 v24, v8, s14
	s_mov_b32 s27, 0
	s_delay_alu instid0(VALU_DEP_1) | instskip(SKIP_3) | instid1(VALU_DEP_1)
	v_add3_u32 v22, v24, v22, v23
	global_load_u8 v23, v[21:22], off
	s_waitcnt vmcnt(0)
	v_cmp_ne_u16_e64 s0, 0, v23
	s_xor_b32 s1, vcc_lo, s0
	s_mov_b32 s0, -1
	s_xor_b32 s1, s1, -1
	s_delay_alu instid0(SALU_CYCLE_1)
	s_and_saveexec_b32 s26, s1
	s_cbranch_execz .LBB1081_44
; %bb.38:
	s_mov_b64 s[4:5], 1
                                        ; implicit-def: $sgpr28
	s_set_inst_prefetch_distance 0x1
	s_branch .LBB1081_41
	.p2align	6
.LBB1081_39:                            ;   in Loop: Header=BB1081_41 Depth=1
	v_add_co_u32 v23, vcc_lo, v21, s4
	v_add_co_ci_u32_e32 v24, vcc_lo, s5, v22, vcc_lo
	v_add_co_u32 v25, vcc_lo, v17, s4
	v_add_co_ci_u32_e32 v26, vcc_lo, s5, v18, vcc_lo
	s_clause 0x1
	global_load_u8 v23, v[23:24], off
	global_load_u8 v24, v[25:26], off
	s_waitcnt vmcnt(1)
	v_cmp_ne_u16_e32 vcc_lo, 0, v23
	s_waitcnt vmcnt(0)
	v_cmp_ne_u16_e64 s0, 0, v24
	s_delay_alu instid0(VALU_DEP_1) | instskip(SKIP_4) | instid1(SALU_CYCLE_1)
	s_xor_b32 s29, vcc_lo, s0
	s_add_u32 s0, s4, 1
	s_addc_u32 s1, s5, 0
	s_and_not1_b32 s28, s28, exec_lo
	s_and_b32 s29, s29, exec_lo
	s_or_b32 s28, s28, s29
.LBB1081_40:                            ;   in Loop: Header=BB1081_41 Depth=1
	v_dual_mov_b32 v24, s5 :: v_dual_mov_b32 v23, s4
	s_and_b32 s29, exec_lo, s28
	s_mov_b64 s[4:5], s[0:1]
	s_or_b32 s27, s29, s27
	s_delay_alu instid0(SALU_CYCLE_1)
	s_and_not1_b32 exec_lo, exec_lo, s27
	s_cbranch_execz .LBB1081_43
.LBB1081_41:                            ; =>This Inner Loop Header: Depth=1
	s_or_b32 s28, s28, exec_lo
	s_cmp_eq_u64 s[14:15], s[4:5]
	s_cbranch_scc0 .LBB1081_39
; %bb.42:                               ;   in Loop: Header=BB1081_41 Depth=1
	s_mov_b64 s[4:5], s[14:15]
                                        ; implicit-def: $sgpr0_sgpr1
	s_branch .LBB1081_40
.LBB1081_43:
	s_set_inst_prefetch_distance 0x2
	s_or_b32 exec_lo, exec_lo, s27
	v_cmp_gt_i64_e32 vcc_lo, s[14:15], v[23:24]
	s_or_not1_b32 s0, vcc_lo, exec_lo
.LBB1081_44:
	s_or_b32 exec_lo, exec_lo, s26
	v_cndmask_b32_e64 v17, 0, 1, s6
.LBB1081_45:
	v_and_b32_e32 v18, 0xff, v0
	v_lshlrev_b16 v21, 8, v0
	v_and_b32_e32 v22, 0xff, v0
	v_lshlrev_b16 v23, 8, v0
	;; [unrolled: 2-line block ×3, first 2 shown]
	v_lshlrev_b16 v17, 8, v17
	v_cndmask_b32_e64 v26, 0, 1, s0
	v_or_b32_e32 v18, v18, v21
	v_or_b32_e32 v21, v22, v23
	;; [unrolled: 1-line block ×3, first 2 shown]
	v_cmp_ne_u32_e32 vcc_lo, 1, v28
	v_or_b32_e32 v17, v26, v17
	v_and_b32_e32 v18, 0xffff, v18
	v_lshlrev_b32_e32 v21, 16, v21
	v_and_b32_e32 v22, 0xffff, v22
	s_delay_alu instid0(VALU_DEP_4) | instskip(NEXT) | instid1(VALU_DEP_3)
	v_lshlrev_b32_e32 v17, 16, v17
	v_or_b32_e32 v29, v18, v21
	s_delay_alu instid0(VALU_DEP_2)
	v_or_b32_e32 v27, v22, v17
	s_cbranch_vccnz .LBB1081_52
; %bb.46:
	v_mad_u64_u32 v[17:18], null, v5, s14, s[16:17]
	v_mul_lo_u32 v23, v5, s15
	v_mul_lo_u32 v24, v6, s14
	v_mad_u64_u32 v[21:22], null, v7, s14, s[16:17]
	v_mul_lo_u32 v25, v7, s15
	v_mul_lo_u32 v26, v8, s14
	s_mov_b32 s26, 0
	s_delay_alu instid0(VALU_DEP_4) | instskip(NEXT) | instid1(VALU_DEP_2)
	v_add3_u32 v18, v24, v18, v23
	v_add3_u32 v22, v26, v22, v25
	s_clause 0x1
	global_load_u8 v23, v[17:18], off
	global_load_u8 v24, v[21:22], off
	s_waitcnt vmcnt(1)
	v_cmp_ne_u16_e32 vcc_lo, 0, v23
	s_waitcnt vmcnt(0)
	v_cmp_ne_u16_e64 s0, 0, v24
	s_delay_alu instid0(VALU_DEP_1) | instskip(SKIP_2) | instid1(SALU_CYCLE_1)
	s_xor_b32 s1, vcc_lo, s0
	s_mov_b32 s0, -1
	s_xor_b32 s1, s1, -1
	s_and_saveexec_b32 s6, s1
	s_cbranch_execz .LBB1081_54
; %bb.47:
	s_mov_b64 s[4:5], 1
                                        ; implicit-def: $sgpr27
	s_set_inst_prefetch_distance 0x1
	s_branch .LBB1081_50
	.p2align	6
.LBB1081_48:                            ;   in Loop: Header=BB1081_50 Depth=1
	v_add_co_u32 v23, s0, v17, s4
	s_delay_alu instid0(VALU_DEP_1) | instskip(SKIP_1) | instid1(VALU_DEP_1)
	v_add_co_ci_u32_e64 v24, s0, s5, v18, s0
	v_add_co_u32 v25, s0, v21, s4
	v_add_co_ci_u32_e64 v26, s0, s5, v22, s0
	s_clause 0x1
	global_load_u8 v23, v[23:24], off
	global_load_u8 v24, v[25:26], off
	s_waitcnt vmcnt(1)
	v_cmp_ne_u16_e64 s0, 0, v23
	s_waitcnt vmcnt(0)
	v_cmp_ne_u16_e64 s1, 0, v24
	s_delay_alu instid0(VALU_DEP_1) | instskip(SKIP_4) | instid1(SALU_CYCLE_1)
	s_xor_b32 s28, s0, s1
	s_add_u32 s0, s4, 1
	s_addc_u32 s1, s5, 0
	s_and_not1_b32 s27, s27, exec_lo
	s_and_b32 s28, s28, exec_lo
	s_or_b32 s27, s27, s28
.LBB1081_49:                            ;   in Loop: Header=BB1081_50 Depth=1
	v_dual_mov_b32 v24, s5 :: v_dual_mov_b32 v23, s4
	s_and_b32 s28, exec_lo, s27
	s_mov_b64 s[4:5], s[0:1]
	s_or_b32 s26, s28, s26
	s_delay_alu instid0(SALU_CYCLE_1)
	s_and_not1_b32 exec_lo, exec_lo, s26
	s_cbranch_execz .LBB1081_53
.LBB1081_50:                            ; =>This Inner Loop Header: Depth=1
	s_or_b32 s27, s27, exec_lo
	s_cmp_eq_u64 s[14:15], s[4:5]
	s_cbranch_scc0 .LBB1081_48
; %bb.51:                               ;   in Loop: Header=BB1081_50 Depth=1
	s_mov_b64 s[4:5], s[14:15]
                                        ; implicit-def: $sgpr0_sgpr1
	s_branch .LBB1081_49
.LBB1081_52:
                                        ; implicit-def: $sgpr0
                                        ; implicit-def: $vgpr21_vgpr22
	s_cbranch_execnz .LBB1081_62
	s_branch .LBB1081_63
.LBB1081_53:
	s_set_inst_prefetch_distance 0x2
	s_or_b32 exec_lo, exec_lo, s26
	v_cmp_gt_i64_e64 s0, s[14:15], v[23:24]
	s_delay_alu instid0(VALU_DEP_1)
	s_or_not1_b32 s0, s0, exec_lo
.LBB1081_54:
	s_or_b32 exec_lo, exec_lo, s6
	v_mad_u64_u32 v[23:24], null, v11, s14, s[16:17]
	v_mul_lo_u32 v21, v11, s15
	v_mul_lo_u32 v22, v12, s14
	v_and_b32_e32 v25, 0xff, v27
	s_mov_b32 s6, 0
	s_delay_alu instid0(VALU_DEP_2) | instskip(SKIP_3) | instid1(VALU_DEP_1)
	v_add3_u32 v24, v22, v24, v21
	v_cndmask_b32_e64 v22, 0, 1, s0
	global_load_u8 v21, v[23:24], off
	v_lshlrev_b16 v22, 8, v22
	v_or_b32_e32 v22, v25, v22
	s_delay_alu instid0(VALU_DEP_1) | instskip(NEXT) | instid1(VALU_DEP_1)
	v_and_b32_e32 v22, 0xffff, v22
	v_and_or_b32 v22, 0xffff0000, v27, v22
	s_waitcnt vmcnt(0)
	v_cmp_ne_u16_e64 s0, 0, v21
	s_delay_alu instid0(VALU_DEP_1) | instskip(SKIP_2) | instid1(SALU_CYCLE_1)
	s_xor_b32 s1, vcc_lo, s0
	s_mov_b32 s0, -1
	s_xor_b32 s1, s1, -1
	s_and_saveexec_b32 s26, s1
	s_cbranch_execz .LBB1081_61
; %bb.55:
	s_mov_b64 s[4:5], 1
	s_mov_b32 s27, 0
                                        ; implicit-def: $sgpr28
	s_set_inst_prefetch_distance 0x1
	s_branch .LBB1081_58
	.p2align	6
.LBB1081_56:                            ;   in Loop: Header=BB1081_58 Depth=1
	v_add_co_u32 v25, vcc_lo, v23, s4
	v_add_co_ci_u32_e32 v26, vcc_lo, s5, v24, vcc_lo
	v_add_co_u32 v30, vcc_lo, v17, s4
	v_add_co_ci_u32_e32 v31, vcc_lo, s5, v18, vcc_lo
	s_clause 0x1
	global_load_u8 v21, v[25:26], off
	global_load_u8 v25, v[30:31], off
	s_waitcnt vmcnt(1)
	v_cmp_ne_u16_e32 vcc_lo, 0, v21
	s_waitcnt vmcnt(0)
	v_cmp_ne_u16_e64 s0, 0, v25
	s_delay_alu instid0(VALU_DEP_1) | instskip(SKIP_4) | instid1(SALU_CYCLE_1)
	s_xor_b32 s29, vcc_lo, s0
	s_add_u32 s0, s4, 1
	s_addc_u32 s1, s5, 0
	s_and_not1_b32 s28, s28, exec_lo
	s_and_b32 s29, s29, exec_lo
	s_or_b32 s28, s28, s29
.LBB1081_57:                            ;   in Loop: Header=BB1081_58 Depth=1
	v_dual_mov_b32 v26, s5 :: v_dual_mov_b32 v25, s4
	s_and_b32 s29, exec_lo, s28
	s_mov_b64 s[4:5], s[0:1]
	s_or_b32 s27, s29, s27
	s_delay_alu instid0(SALU_CYCLE_1)
	s_and_not1_b32 exec_lo, exec_lo, s27
	s_cbranch_execz .LBB1081_60
.LBB1081_58:                            ; =>This Inner Loop Header: Depth=1
	s_or_b32 s28, s28, exec_lo
	s_cmp_eq_u64 s[14:15], s[4:5]
	s_cbranch_scc0 .LBB1081_56
; %bb.59:                               ;   in Loop: Header=BB1081_58 Depth=1
	s_mov_b64 s[4:5], s[14:15]
                                        ; implicit-def: $sgpr0_sgpr1
	s_branch .LBB1081_57
.LBB1081_60:
	s_set_inst_prefetch_distance 0x2
	s_or_b32 exec_lo, exec_lo, s27
	v_cmp_gt_i64_e32 vcc_lo, s[14:15], v[25:26]
	s_or_not1_b32 s0, vcc_lo, exec_lo
.LBB1081_61:
	s_or_b32 exec_lo, exec_lo, s26
	s_delay_alu instid0(SALU_CYCLE_1)
	s_and_b32 vcc_lo, exec_lo, s6
	s_cbranch_vccz .LBB1081_63
.LBB1081_62:
	s_delay_alu instid0(VALU_DEP_1)
	v_and_b32_e32 v22, 0xffff00ff, v27
	s_and_not1_b32 s0, s0, exec_lo
.LBB1081_63:
	s_delay_alu instid0(VALU_DEP_1) | instskip(SKIP_2) | instid1(VALU_DEP_2)
	v_and_b32_e32 v17, 0xffffff00, v22
	v_cndmask_b32_e64 v18, 0, 1, s0
	v_cmp_ne_u32_e32 vcc_lo, 1, v28
	v_or_b32_e32 v17, v18, v17
	s_delay_alu instid0(VALU_DEP_1) | instskip(NEXT) | instid1(VALU_DEP_1)
	v_and_b32_e32 v17, 0xffff, v17
	v_and_or_b32 v18, 0xffff0000, v22, v17
	s_cbranch_vccnz .LBB1081_70
; %bb.64:
	v_mad_u64_u32 v[22:23], null, v9, s14, s[16:17]
	v_mul_lo_u32 v17, v9, s15
	v_mul_lo_u32 v21, v10, s14
	v_mad_u64_u32 v[24:25], null, v11, s14, s[16:17]
	v_mul_lo_u32 v26, v11, s15
	v_mul_lo_u32 v27, v12, s14
	s_delay_alu instid0(VALU_DEP_4) | instskip(NEXT) | instid1(VALU_DEP_2)
	v_add3_u32 v23, v21, v23, v17
	v_add3_u32 v25, v27, v25, v26
	s_clause 0x1
	global_load_u8 v17, v[22:23], off
	global_load_u8 v21, v[24:25], off
	s_waitcnt vmcnt(1)
	v_cmp_ne_u16_e32 vcc_lo, 0, v17
	s_waitcnt vmcnt(0)
	v_cmp_ne_u16_e64 s0, 0, v21
	s_delay_alu instid0(VALU_DEP_1) | instskip(SKIP_2) | instid1(SALU_CYCLE_1)
	s_xor_b32 s1, vcc_lo, s0
	s_mov_b32 s0, -1
	s_xor_b32 s1, s1, -1
	s_and_saveexec_b32 s6, s1
	s_cbranch_execz .LBB1081_72
; %bb.65:
	s_mov_b64 s[4:5], 1
	s_mov_b32 s26, 0
                                        ; implicit-def: $sgpr27
	s_set_inst_prefetch_distance 0x1
	s_branch .LBB1081_68
	.p2align	6
.LBB1081_66:                            ;   in Loop: Header=BB1081_68 Depth=1
	v_add_co_u32 v26, s0, v22, s4
	s_delay_alu instid0(VALU_DEP_1) | instskip(SKIP_1) | instid1(VALU_DEP_1)
	v_add_co_ci_u32_e64 v27, s0, s5, v23, s0
	v_add_co_u32 v30, s0, v24, s4
	v_add_co_ci_u32_e64 v31, s0, s5, v25, s0
	s_clause 0x1
	global_load_u8 v17, v[26:27], off
	global_load_u8 v21, v[30:31], off
	s_waitcnt vmcnt(1)
	v_cmp_ne_u16_e64 s0, 0, v17
	s_waitcnt vmcnt(0)
	v_cmp_ne_u16_e64 s1, 0, v21
	s_delay_alu instid0(VALU_DEP_1) | instskip(SKIP_4) | instid1(SALU_CYCLE_1)
	s_xor_b32 s28, s0, s1
	s_add_u32 s0, s4, 1
	s_addc_u32 s1, s5, 0
	s_and_not1_b32 s27, s27, exec_lo
	s_and_b32 s28, s28, exec_lo
	s_or_b32 s27, s27, s28
.LBB1081_67:                            ;   in Loop: Header=BB1081_68 Depth=1
	v_dual_mov_b32 v27, s5 :: v_dual_mov_b32 v26, s4
	s_and_b32 s28, exec_lo, s27
	s_mov_b64 s[4:5], s[0:1]
	s_or_b32 s26, s28, s26
	s_delay_alu instid0(SALU_CYCLE_1)
	s_and_not1_b32 exec_lo, exec_lo, s26
	s_cbranch_execz .LBB1081_71
.LBB1081_68:                            ; =>This Inner Loop Header: Depth=1
	s_or_b32 s27, s27, exec_lo
	s_cmp_eq_u64 s[14:15], s[4:5]
	s_cbranch_scc0 .LBB1081_66
; %bb.69:                               ;   in Loop: Header=BB1081_68 Depth=1
	s_mov_b64 s[4:5], s[14:15]
                                        ; implicit-def: $sgpr0_sgpr1
	s_branch .LBB1081_67
.LBB1081_70:
                                        ; implicit-def: $sgpr6
                                        ; implicit-def: $vgpr21_vgpr22
	s_cbranch_execnz .LBB1081_80
	s_branch .LBB1081_81
.LBB1081_71:
	s_set_inst_prefetch_distance 0x2
	s_or_b32 exec_lo, exec_lo, s26
	v_cmp_gt_i64_e64 s0, s[14:15], v[26:27]
	s_delay_alu instid0(VALU_DEP_1)
	s_or_not1_b32 s0, s0, exec_lo
.LBB1081_72:
	s_or_b32 exec_lo, exec_lo, s6
	v_mad_u64_u32 v[24:25], null, v15, s14, s[16:17]
	v_mul_lo_u32 v17, v15, s15
	v_mul_lo_u32 v21, v16, s14
	v_cndmask_b32_e64 v26, 0, 1, s0
	s_mov_b32 s26, 0
	s_mov_b32 s6, -1
	s_delay_alu instid0(VALU_DEP_1) | instskip(NEXT) | instid1(VALU_DEP_3)
	v_lshlrev_b16 v26, 8, v26
	v_add3_u32 v25, v21, v25, v17
	v_lshrrev_b32_e32 v21, 16, v29
	global_load_u8 v17, v[24:25], off
	v_and_b32_e32 v21, 0xff, v21
	s_delay_alu instid0(VALU_DEP_1) | instskip(NEXT) | instid1(VALU_DEP_1)
	v_or_b32_e32 v21, v21, v26
	v_lshlrev_b32_e32 v21, 16, v21
	s_delay_alu instid0(VALU_DEP_1) | instskip(SKIP_2) | instid1(VALU_DEP_1)
	v_and_or_b32 v21, 0xffff, v29, v21
	s_waitcnt vmcnt(0)
	v_cmp_ne_u16_e64 s0, 0, v17
	s_xor_b32 s0, vcc_lo, s0
	s_delay_alu instid0(SALU_CYCLE_1) | instskip(NEXT) | instid1(SALU_CYCLE_1)
	s_xor_b32 s0, s0, -1
	s_and_saveexec_b32 s27, s0
	s_cbranch_execz .LBB1081_79
; %bb.73:
	s_mov_b64 s[4:5], 1
	s_mov_b32 s6, 0
                                        ; implicit-def: $sgpr28
	s_set_inst_prefetch_distance 0x1
	s_branch .LBB1081_76
	.p2align	6
.LBB1081_74:                            ;   in Loop: Header=BB1081_76 Depth=1
	v_add_co_u32 v26, vcc_lo, v24, s4
	v_add_co_ci_u32_e32 v27, vcc_lo, s5, v25, vcc_lo
	v_add_co_u32 v30, vcc_lo, v22, s4
	v_add_co_ci_u32_e32 v31, vcc_lo, s5, v23, vcc_lo
	s_clause 0x1
	global_load_u8 v17, v[26:27], off
	global_load_u8 v26, v[30:31], off
	s_waitcnt vmcnt(1)
	v_cmp_ne_u16_e32 vcc_lo, 0, v17
	s_waitcnt vmcnt(0)
	v_cmp_ne_u16_e64 s0, 0, v26
	s_delay_alu instid0(VALU_DEP_1) | instskip(SKIP_4) | instid1(SALU_CYCLE_1)
	s_xor_b32 s29, vcc_lo, s0
	s_add_u32 s0, s4, 1
	s_addc_u32 s1, s5, 0
	s_and_not1_b32 s28, s28, exec_lo
	s_and_b32 s29, s29, exec_lo
	s_or_b32 s28, s28, s29
.LBB1081_75:                            ;   in Loop: Header=BB1081_76 Depth=1
	v_dual_mov_b32 v27, s5 :: v_dual_mov_b32 v26, s4
	s_and_b32 s29, exec_lo, s28
	s_mov_b64 s[4:5], s[0:1]
	s_or_b32 s6, s29, s6
	s_delay_alu instid0(SALU_CYCLE_1)
	s_and_not1_b32 exec_lo, exec_lo, s6
	s_cbranch_execz .LBB1081_78
.LBB1081_76:                            ; =>This Inner Loop Header: Depth=1
	s_or_b32 s28, s28, exec_lo
	s_cmp_eq_u64 s[14:15], s[4:5]
	s_cbranch_scc0 .LBB1081_74
; %bb.77:                               ;   in Loop: Header=BB1081_76 Depth=1
	s_mov_b64 s[4:5], s[14:15]
                                        ; implicit-def: $sgpr0_sgpr1
	s_branch .LBB1081_75
.LBB1081_78:
	s_set_inst_prefetch_distance 0x2
	s_or_b32 exec_lo, exec_lo, s6
	v_cmp_gt_i64_e32 vcc_lo, s[14:15], v[26:27]
	s_or_not1_b32 s6, vcc_lo, exec_lo
.LBB1081_79:
	s_or_b32 exec_lo, exec_lo, s27
	s_delay_alu instid0(SALU_CYCLE_1)
	s_and_b32 vcc_lo, exec_lo, s26
	s_cbranch_vccz .LBB1081_81
.LBB1081_80:
	v_and_b32_e32 v21, 0xffffff, v29
	s_and_not1_b32 s6, s6, exec_lo
.LBB1081_81:
	v_cmp_ne_u32_e32 vcc_lo, 1, v28
	s_mov_b32 s0, 0
	s_cbranch_vccnz .LBB1081_90
; %bb.82:
	v_mad_u64_u32 v[22:23], null, v13, s14, s[16:17]
	v_mul_lo_u32 v17, v13, s15
	v_mul_lo_u32 v26, v14, s14
	v_mad_u64_u32 v[24:25], null, v15, s14, s[16:17]
	v_mul_lo_u32 v27, v15, s15
	v_mul_lo_u32 v29, v16, s14
	s_mov_b32 s27, 0
	s_delay_alu instid0(VALU_DEP_4) | instskip(NEXT) | instid1(VALU_DEP_2)
	v_add3_u32 v23, v26, v23, v17
	v_add3_u32 v25, v29, v25, v27
	s_clause 0x1
	global_load_u8 v17, v[22:23], off
	global_load_u8 v26, v[24:25], off
	s_waitcnt vmcnt(1)
	v_cmp_ne_u16_e32 vcc_lo, 0, v17
	s_waitcnt vmcnt(0)
	v_cmp_ne_u16_e64 s0, 0, v26
	s_delay_alu instid0(VALU_DEP_1) | instskip(SKIP_2) | instid1(SALU_CYCLE_1)
	s_xor_b32 s1, vcc_lo, s0
	s_mov_b32 s0, -1
	s_xor_b32 s1, s1, -1
	s_and_saveexec_b32 s26, s1
	s_cbranch_execz .LBB1081_89
; %bb.83:
	s_mov_b64 s[4:5], 1
                                        ; implicit-def: $sgpr28
	s_set_inst_prefetch_distance 0x1
	s_branch .LBB1081_86
	.p2align	6
.LBB1081_84:                            ;   in Loop: Header=BB1081_86 Depth=1
	v_add_co_u32 v26, vcc_lo, v22, s4
	v_add_co_ci_u32_e32 v27, vcc_lo, s5, v23, vcc_lo
	v_add_co_u32 v29, vcc_lo, v24, s4
	v_add_co_ci_u32_e32 v30, vcc_lo, s5, v25, vcc_lo
	s_clause 0x1
	global_load_u8 v17, v[26:27], off
	global_load_u8 v26, v[29:30], off
	s_waitcnt vmcnt(1)
	v_cmp_ne_u16_e32 vcc_lo, 0, v17
	s_waitcnt vmcnt(0)
	v_cmp_ne_u16_e64 s0, 0, v26
	s_delay_alu instid0(VALU_DEP_1) | instskip(SKIP_4) | instid1(SALU_CYCLE_1)
	s_xor_b32 s29, vcc_lo, s0
	s_add_u32 s0, s4, 1
	s_addc_u32 s1, s5, 0
	s_and_not1_b32 s28, s28, exec_lo
	s_and_b32 s29, s29, exec_lo
	s_or_b32 s28, s28, s29
.LBB1081_85:                            ;   in Loop: Header=BB1081_86 Depth=1
	v_dual_mov_b32 v27, s5 :: v_dual_mov_b32 v26, s4
	s_and_b32 s29, exec_lo, s28
	s_mov_b64 s[4:5], s[0:1]
	s_or_b32 s27, s29, s27
	s_delay_alu instid0(SALU_CYCLE_1)
	s_and_not1_b32 exec_lo, exec_lo, s27
	s_cbranch_execz .LBB1081_88
.LBB1081_86:                            ; =>This Inner Loop Header: Depth=1
	s_or_b32 s28, s28, exec_lo
	s_cmp_eq_u64 s[14:15], s[4:5]
	s_cbranch_scc0 .LBB1081_84
; %bb.87:                               ;   in Loop: Header=BB1081_86 Depth=1
	s_mov_b64 s[4:5], s[14:15]
                                        ; implicit-def: $sgpr0_sgpr1
	s_branch .LBB1081_85
.LBB1081_88:
	s_set_inst_prefetch_distance 0x2
	s_or_b32 exec_lo, exec_lo, s27
	v_cmp_gt_i64_e32 vcc_lo, s[14:15], v[26:27]
	s_or_not1_b32 s0, vcc_lo, exec_lo
.LBB1081_89:
	s_or_b32 exec_lo, exec_lo, s26
.LBB1081_90:
	s_waitcnt vmcnt(0)
	v_dual_mov_b32 v24, v20 :: v_dual_mov_b32 v23, v19
	s_waitcnt lgkmcnt(0)
	s_barrier
	buffer_gl0_inv
	s_and_saveexec_b32 s1, s3
	s_cbranch_execz .LBB1081_92
; %bb.91:
	v_add_nc_u32_e32 v17, -8, v39
	ds_load_b64 v[23:24], v17
.LBB1081_92:
	s_or_b32 exec_lo, exec_lo, s1
	v_cndmask_b32_e64 v17, 0, 1, s0
	v_lshrrev_b32_e32 v22, 24, v21
	v_cndmask_b32_e64 v25, 0, 1, s6
	v_and_b32_e32 v21, 0xff, v21
	v_cmp_ne_u32_e32 vcc_lo, 1, v28
	v_lshlrev_b16 v17, 8, v17
	v_lshlrev_b16 v22, 8, v22
	s_mov_b32 s6, 0
	s_mov_b32 s0, 0
	s_and_b32 vcc_lo, exec_lo, vcc_lo
	v_or_b32_e32 v17, v21, v17
	v_or_b32_e32 v21, v25, v22
	s_delay_alu instid0(VALU_DEP_2) | instskip(NEXT) | instid1(VALU_DEP_2)
	v_and_b32_e32 v17, 0xffff, v17
	v_lshlrev_b32_e32 v27, 16, v21
	s_cbranch_vccnz .LBB1081_101
; %bb.93:
	s_waitcnt lgkmcnt(0)
	v_mad_u64_u32 v[21:22], null, v23, s14, s[16:17]
	v_mul_lo_u32 v25, v23, s15
	v_mul_lo_u32 v26, v24, s14
	v_mad_u64_u32 v[23:24], null, v13, s14, s[16:17]
	v_mul_lo_u32 v28, v13, s15
	v_mul_lo_u32 v29, v14, s14
	s_mov_b32 s27, 0
	s_delay_alu instid0(VALU_DEP_4) | instskip(NEXT) | instid1(VALU_DEP_2)
	v_add3_u32 v22, v26, v22, v25
	v_add3_u32 v24, v29, v24, v28
	s_clause 0x1
	global_load_u8 v25, v[21:22], off
	global_load_u8 v26, v[23:24], off
	s_waitcnt vmcnt(1)
	v_cmp_ne_u16_e32 vcc_lo, 0, v25
	s_waitcnt vmcnt(0)
	v_cmp_ne_u16_e64 s0, 0, v26
	s_delay_alu instid0(VALU_DEP_1) | instskip(SKIP_2) | instid1(SALU_CYCLE_1)
	s_xor_b32 s1, vcc_lo, s0
	s_mov_b32 s0, -1
	s_xor_b32 s1, s1, -1
	s_and_saveexec_b32 s26, s1
	s_cbranch_execz .LBB1081_100
; %bb.94:
	s_mov_b64 s[4:5], 1
                                        ; implicit-def: $sgpr28
	s_set_inst_prefetch_distance 0x1
	s_branch .LBB1081_97
	.p2align	6
.LBB1081_95:                            ;   in Loop: Header=BB1081_97 Depth=1
	v_add_co_u32 v25, vcc_lo, v21, s4
	v_add_co_ci_u32_e32 v26, vcc_lo, s5, v22, vcc_lo
	v_add_co_u32 v28, vcc_lo, v23, s4
	v_add_co_ci_u32_e32 v29, vcc_lo, s5, v24, vcc_lo
	s_clause 0x1
	global_load_u8 v25, v[25:26], off
	global_load_u8 v26, v[28:29], off
	s_waitcnt vmcnt(1)
	v_cmp_ne_u16_e32 vcc_lo, 0, v25
	s_waitcnt vmcnt(0)
	v_cmp_ne_u16_e64 s0, 0, v26
	s_delay_alu instid0(VALU_DEP_1) | instskip(SKIP_4) | instid1(SALU_CYCLE_1)
	s_xor_b32 s29, vcc_lo, s0
	s_add_u32 s0, s4, 1
	s_addc_u32 s1, s5, 0
	s_and_not1_b32 s28, s28, exec_lo
	s_and_b32 s29, s29, exec_lo
	s_or_b32 s28, s28, s29
.LBB1081_96:                            ;   in Loop: Header=BB1081_97 Depth=1
	v_dual_mov_b32 v26, s5 :: v_dual_mov_b32 v25, s4
	s_and_b32 s29, exec_lo, s28
	s_mov_b64 s[4:5], s[0:1]
	s_or_b32 s27, s29, s27
	s_delay_alu instid0(SALU_CYCLE_1)
	s_and_not1_b32 exec_lo, exec_lo, s27
	s_cbranch_execz .LBB1081_99
.LBB1081_97:                            ; =>This Inner Loop Header: Depth=1
	s_or_b32 s28, s28, exec_lo
	s_cmp_eq_u64 s[14:15], s[4:5]
	s_cbranch_scc0 .LBB1081_95
; %bb.98:                               ;   in Loop: Header=BB1081_97 Depth=1
	s_mov_b64 s[4:5], s[14:15]
                                        ; implicit-def: $sgpr0_sgpr1
	s_branch .LBB1081_96
.LBB1081_99:
	s_set_inst_prefetch_distance 0x2
	s_or_b32 exec_lo, exec_lo, s27
	v_cmp_gt_i64_e32 vcc_lo, s[14:15], v[25:26]
	s_or_not1_b32 s0, vcc_lo, exec_lo
.LBB1081_100:
	s_or_b32 exec_lo, exec_lo, s26
.LBB1081_101:
	s_delay_alu instid0(VALU_DEP_1)
	v_or_b32_e32 v17, v17, v27
	s_and_b32 vcc_lo, exec_lo, s6
	s_cbranch_vccz .LBB1081_177
.LBB1081_102:
	v_or_b32_e32 v17, 7, v39
	s_xor_b32 s6, s7, -1
	s_mov_b32 s1, -1
	s_mov_b32 s7, 0
	s_mov_b32 s26, 0
	v_cmp_gt_u32_e32 vcc_lo, s12, v17
	s_and_b32 s0, vcc_lo, s6
	s_delay_alu instid0(SALU_CYCLE_1)
	s_and_saveexec_b32 s27, s0
	s_cbranch_execz .LBB1081_111
; %bb.103:
	v_mad_u64_u32 v[17:18], null, v1, s14, s[16:17]
	s_waitcnt lgkmcnt(0)
	v_mul_lo_u32 v23, v1, s15
	v_mul_lo_u32 v24, v2, s14
	v_mad_u64_u32 v[21:22], null, v3, s14, s[16:17]
	v_mul_lo_u32 v25, v3, s15
	v_mul_lo_u32 v26, v4, s14
	s_mov_b32 s28, 0
	s_delay_alu instid0(VALU_DEP_4) | instskip(NEXT) | instid1(VALU_DEP_2)
	v_add3_u32 v18, v24, v18, v23
	v_add3_u32 v22, v26, v22, v25
	s_clause 0x1
	global_load_u8 v23, v[17:18], off
	global_load_u8 v24, v[21:22], off
	s_waitcnt vmcnt(1)
	v_cmp_ne_u16_e32 vcc_lo, 0, v23
	s_waitcnt vmcnt(0)
	v_cmp_ne_u16_e64 s0, 0, v24
	s_delay_alu instid0(VALU_DEP_1) | instskip(NEXT) | instid1(SALU_CYCLE_1)
	s_xor_b32 s0, vcc_lo, s0
	s_xor_b32 s0, s0, -1
	s_delay_alu instid0(SALU_CYCLE_1)
	s_and_saveexec_b32 s26, s0
	s_cbranch_execz .LBB1081_110
; %bb.104:
	s_mov_b64 s[4:5], 1
                                        ; implicit-def: $sgpr29
	s_set_inst_prefetch_distance 0x1
	s_branch .LBB1081_107
	.p2align	6
.LBB1081_105:                           ;   in Loop: Header=BB1081_107 Depth=1
	v_add_co_u32 v23, vcc_lo, v17, s4
	v_add_co_ci_u32_e32 v24, vcc_lo, s5, v18, vcc_lo
	v_add_co_u32 v25, vcc_lo, v21, s4
	v_add_co_ci_u32_e32 v26, vcc_lo, s5, v22, vcc_lo
	s_clause 0x1
	global_load_u8 v23, v[23:24], off
	global_load_u8 v24, v[25:26], off
	s_waitcnt vmcnt(1)
	v_cmp_ne_u16_e32 vcc_lo, 0, v23
	s_waitcnt vmcnt(0)
	v_cmp_ne_u16_e64 s0, 0, v24
	s_delay_alu instid0(VALU_DEP_1) | instskip(SKIP_4) | instid1(SALU_CYCLE_1)
	s_xor_b32 s30, vcc_lo, s0
	s_add_u32 s0, s4, 1
	s_addc_u32 s1, s5, 0
	s_and_not1_b32 s29, s29, exec_lo
	s_and_b32 s30, s30, exec_lo
	s_or_b32 s29, s29, s30
.LBB1081_106:                           ;   in Loop: Header=BB1081_107 Depth=1
	v_dual_mov_b32 v24, s5 :: v_dual_mov_b32 v23, s4
	s_and_b32 s30, exec_lo, s29
	s_mov_b64 s[4:5], s[0:1]
	s_or_b32 s28, s30, s28
	s_delay_alu instid0(SALU_CYCLE_1)
	s_and_not1_b32 exec_lo, exec_lo, s28
	s_cbranch_execz .LBB1081_109
.LBB1081_107:                           ; =>This Inner Loop Header: Depth=1
	s_or_b32 s29, s29, exec_lo
	s_cmp_eq_u64 s[14:15], s[4:5]
	s_cbranch_scc0 .LBB1081_105
; %bb.108:                              ;   in Loop: Header=BB1081_107 Depth=1
	s_mov_b64 s[4:5], s[14:15]
                                        ; implicit-def: $sgpr0_sgpr1
	s_branch .LBB1081_106
.LBB1081_109:
	s_set_inst_prefetch_distance 0x2
	s_or_b32 exec_lo, exec_lo, s28
	v_cmp_gt_i64_e32 vcc_lo, s[14:15], v[23:24]
	s_or_not1_b32 s1, vcc_lo, exec_lo
.LBB1081_110:
	s_or_b32 exec_lo, exec_lo, s26
	s_delay_alu instid0(SALU_CYCLE_1)
	s_and_b32 s26, s1, exec_lo
.LBB1081_111:
	s_or_b32 exec_lo, exec_lo, s27
	v_or_b32_e32 v17, 6, v39
	s_delay_alu instid0(VALU_DEP_1) | instskip(SKIP_1) | instid1(SALU_CYCLE_1)
	v_cmp_gt_u32_e32 vcc_lo, s12, v17
	s_and_b32 s0, vcc_lo, s6
	s_and_saveexec_b32 s27, s0
	s_cbranch_execz .LBB1081_120
; %bb.112:
	v_mad_u64_u32 v[17:18], null, v7, s14, s[16:17]
	s_waitcnt lgkmcnt(0)
	v_mul_lo_u32 v23, v7, s15
	v_mul_lo_u32 v24, v8, s14
	v_mad_u64_u32 v[21:22], null, v1, s14, s[16:17]
	v_mul_lo_u32 v25, v1, s15
	v_mul_lo_u32 v26, v2, s14
	s_mov_b32 s28, 0
	s_delay_alu instid0(VALU_DEP_4) | instskip(NEXT) | instid1(VALU_DEP_2)
	v_add3_u32 v18, v24, v18, v23
	v_add3_u32 v22, v26, v22, v25
	s_clause 0x1
	global_load_u8 v23, v[17:18], off
	global_load_u8 v24, v[21:22], off
	s_waitcnt vmcnt(1)
	v_cmp_ne_u16_e32 vcc_lo, 0, v23
	s_waitcnt vmcnt(0)
	v_cmp_ne_u16_e64 s0, 0, v24
	s_delay_alu instid0(VALU_DEP_1) | instskip(SKIP_2) | instid1(SALU_CYCLE_1)
	s_xor_b32 s1, vcc_lo, s0
	s_mov_b32 s0, -1
	s_xor_b32 s1, s1, -1
	s_and_saveexec_b32 s7, s1
	s_cbranch_execz .LBB1081_119
; %bb.113:
	s_mov_b64 s[4:5], 1
                                        ; implicit-def: $sgpr29
	s_set_inst_prefetch_distance 0x1
	s_branch .LBB1081_116
	.p2align	6
.LBB1081_114:                           ;   in Loop: Header=BB1081_116 Depth=1
	v_add_co_u32 v23, vcc_lo, v17, s4
	v_add_co_ci_u32_e32 v24, vcc_lo, s5, v18, vcc_lo
	v_add_co_u32 v25, vcc_lo, v21, s4
	v_add_co_ci_u32_e32 v26, vcc_lo, s5, v22, vcc_lo
	s_clause 0x1
	global_load_u8 v23, v[23:24], off
	global_load_u8 v24, v[25:26], off
	s_waitcnt vmcnt(1)
	v_cmp_ne_u16_e32 vcc_lo, 0, v23
	s_waitcnt vmcnt(0)
	v_cmp_ne_u16_e64 s0, 0, v24
	s_delay_alu instid0(VALU_DEP_1) | instskip(SKIP_4) | instid1(SALU_CYCLE_1)
	s_xor_b32 s30, vcc_lo, s0
	s_add_u32 s0, s4, 1
	s_addc_u32 s1, s5, 0
	s_and_not1_b32 s29, s29, exec_lo
	s_and_b32 s30, s30, exec_lo
	s_or_b32 s29, s29, s30
.LBB1081_115:                           ;   in Loop: Header=BB1081_116 Depth=1
	v_dual_mov_b32 v24, s5 :: v_dual_mov_b32 v23, s4
	s_and_b32 s30, exec_lo, s29
	s_mov_b64 s[4:5], s[0:1]
	s_or_b32 s28, s30, s28
	s_delay_alu instid0(SALU_CYCLE_1)
	s_and_not1_b32 exec_lo, exec_lo, s28
	s_cbranch_execz .LBB1081_118
.LBB1081_116:                           ; =>This Inner Loop Header: Depth=1
	s_or_b32 s29, s29, exec_lo
	s_cmp_eq_u64 s[14:15], s[4:5]
	s_cbranch_scc0 .LBB1081_114
; %bb.117:                              ;   in Loop: Header=BB1081_116 Depth=1
	s_mov_b64 s[4:5], s[14:15]
                                        ; implicit-def: $sgpr0_sgpr1
	s_branch .LBB1081_115
.LBB1081_118:
	s_set_inst_prefetch_distance 0x2
	s_or_b32 exec_lo, exec_lo, s28
	v_cmp_gt_i64_e32 vcc_lo, s[14:15], v[23:24]
	s_or_not1_b32 s0, vcc_lo, exec_lo
.LBB1081_119:
	s_or_b32 exec_lo, exec_lo, s7
	s_delay_alu instid0(SALU_CYCLE_1)
	s_and_b32 s7, s0, exec_lo
.LBB1081_120:
	s_or_b32 exec_lo, exec_lo, s27
	v_or_b32_e32 v17, 5, v39
	s_mov_b32 s1, -1
	s_mov_b32 s28, 0
	s_mov_b32 s27, 0
	s_delay_alu instid0(VALU_DEP_1) | instskip(SKIP_1) | instid1(SALU_CYCLE_1)
	v_cmp_gt_u32_e32 vcc_lo, s12, v17
	s_and_b32 s0, vcc_lo, s6
	s_and_saveexec_b32 s29, s0
	s_cbranch_execz .LBB1081_129
; %bb.121:
	v_mad_u64_u32 v[17:18], null, v5, s14, s[16:17]
	s_waitcnt lgkmcnt(0)
	v_mul_lo_u32 v23, v5, s15
	v_mul_lo_u32 v24, v6, s14
	v_mad_u64_u32 v[21:22], null, v7, s14, s[16:17]
	v_mul_lo_u32 v25, v7, s15
	v_mul_lo_u32 v26, v8, s14
	s_mov_b32 s30, 0
	s_delay_alu instid0(VALU_DEP_4) | instskip(NEXT) | instid1(VALU_DEP_2)
	v_add3_u32 v18, v24, v18, v23
	v_add3_u32 v22, v26, v22, v25
	s_clause 0x1
	global_load_u8 v23, v[17:18], off
	global_load_u8 v24, v[21:22], off
	s_waitcnt vmcnt(1)
	v_cmp_ne_u16_e32 vcc_lo, 0, v23
	s_waitcnt vmcnt(0)
	v_cmp_ne_u16_e64 s0, 0, v24
	s_delay_alu instid0(VALU_DEP_1) | instskip(NEXT) | instid1(SALU_CYCLE_1)
	s_xor_b32 s0, vcc_lo, s0
	s_xor_b32 s0, s0, -1
	s_delay_alu instid0(SALU_CYCLE_1)
	s_and_saveexec_b32 s27, s0
	s_cbranch_execz .LBB1081_128
; %bb.122:
	s_mov_b64 s[4:5], 1
                                        ; implicit-def: $sgpr31
	s_set_inst_prefetch_distance 0x1
	s_branch .LBB1081_125
	.p2align	6
.LBB1081_123:                           ;   in Loop: Header=BB1081_125 Depth=1
	v_add_co_u32 v23, vcc_lo, v17, s4
	v_add_co_ci_u32_e32 v24, vcc_lo, s5, v18, vcc_lo
	v_add_co_u32 v25, vcc_lo, v21, s4
	v_add_co_ci_u32_e32 v26, vcc_lo, s5, v22, vcc_lo
	s_clause 0x1
	global_load_u8 v23, v[23:24], off
	global_load_u8 v24, v[25:26], off
	s_waitcnt vmcnt(1)
	v_cmp_ne_u16_e32 vcc_lo, 0, v23
	s_waitcnt vmcnt(0)
	v_cmp_ne_u16_e64 s0, 0, v24
	s_delay_alu instid0(VALU_DEP_1) | instskip(SKIP_4) | instid1(SALU_CYCLE_1)
	s_xor_b32 s33, vcc_lo, s0
	s_add_u32 s0, s4, 1
	s_addc_u32 s1, s5, 0
	s_and_not1_b32 s31, s31, exec_lo
	s_and_b32 s33, s33, exec_lo
	s_or_b32 s31, s31, s33
.LBB1081_124:                           ;   in Loop: Header=BB1081_125 Depth=1
	v_dual_mov_b32 v24, s5 :: v_dual_mov_b32 v23, s4
	s_and_b32 s33, exec_lo, s31
	s_mov_b64 s[4:5], s[0:1]
	s_or_b32 s30, s33, s30
	s_delay_alu instid0(SALU_CYCLE_1)
	s_and_not1_b32 exec_lo, exec_lo, s30
	s_cbranch_execz .LBB1081_127
.LBB1081_125:                           ; =>This Inner Loop Header: Depth=1
	s_or_b32 s31, s31, exec_lo
	s_cmp_eq_u64 s[14:15], s[4:5]
	s_cbranch_scc0 .LBB1081_123
; %bb.126:                              ;   in Loop: Header=BB1081_125 Depth=1
	s_mov_b64 s[4:5], s[14:15]
                                        ; implicit-def: $sgpr0_sgpr1
	s_branch .LBB1081_124
.LBB1081_127:
	s_set_inst_prefetch_distance 0x2
	s_or_b32 exec_lo, exec_lo, s30
	v_cmp_gt_i64_e32 vcc_lo, s[14:15], v[23:24]
	s_or_not1_b32 s1, vcc_lo, exec_lo
.LBB1081_128:
	s_or_b32 exec_lo, exec_lo, s27
	s_delay_alu instid0(SALU_CYCLE_1)
	s_and_b32 s27, s1, exec_lo
.LBB1081_129:
	s_or_b32 exec_lo, exec_lo, s29
	v_or_b32_e32 v17, 4, v39
	s_delay_alu instid0(VALU_DEP_1) | instskip(SKIP_1) | instid1(SALU_CYCLE_1)
	v_cmp_gt_u32_e32 vcc_lo, s12, v17
	s_and_b32 s0, vcc_lo, s6
	s_and_saveexec_b32 s29, s0
	s_cbranch_execz .LBB1081_138
; %bb.130:
	v_mad_u64_u32 v[17:18], null, v11, s14, s[16:17]
	s_waitcnt lgkmcnt(0)
	v_mul_lo_u32 v23, v11, s15
	v_mul_lo_u32 v24, v12, s14
	v_mad_u64_u32 v[21:22], null, v5, s14, s[16:17]
	v_mul_lo_u32 v25, v5, s15
	v_mul_lo_u32 v26, v6, s14
	s_mov_b32 s30, 0
	s_delay_alu instid0(VALU_DEP_4) | instskip(NEXT) | instid1(VALU_DEP_2)
	v_add3_u32 v18, v24, v18, v23
	v_add3_u32 v22, v26, v22, v25
	s_clause 0x1
	global_load_u8 v23, v[17:18], off
	global_load_u8 v24, v[21:22], off
	s_waitcnt vmcnt(1)
	v_cmp_ne_u16_e32 vcc_lo, 0, v23
	s_waitcnt vmcnt(0)
	v_cmp_ne_u16_e64 s0, 0, v24
	s_delay_alu instid0(VALU_DEP_1) | instskip(SKIP_2) | instid1(SALU_CYCLE_1)
	s_xor_b32 s1, vcc_lo, s0
	s_mov_b32 s0, -1
	s_xor_b32 s1, s1, -1
	s_and_saveexec_b32 s28, s1
	s_cbranch_execz .LBB1081_137
; %bb.131:
	s_mov_b64 s[4:5], 1
                                        ; implicit-def: $sgpr31
	s_set_inst_prefetch_distance 0x1
	s_branch .LBB1081_134
	.p2align	6
.LBB1081_132:                           ;   in Loop: Header=BB1081_134 Depth=1
	v_add_co_u32 v23, vcc_lo, v17, s4
	v_add_co_ci_u32_e32 v24, vcc_lo, s5, v18, vcc_lo
	v_add_co_u32 v25, vcc_lo, v21, s4
	v_add_co_ci_u32_e32 v26, vcc_lo, s5, v22, vcc_lo
	s_clause 0x1
	global_load_u8 v23, v[23:24], off
	global_load_u8 v24, v[25:26], off
	s_waitcnt vmcnt(1)
	v_cmp_ne_u16_e32 vcc_lo, 0, v23
	s_waitcnt vmcnt(0)
	v_cmp_ne_u16_e64 s0, 0, v24
	s_delay_alu instid0(VALU_DEP_1) | instskip(SKIP_4) | instid1(SALU_CYCLE_1)
	s_xor_b32 s33, vcc_lo, s0
	s_add_u32 s0, s4, 1
	s_addc_u32 s1, s5, 0
	s_and_not1_b32 s31, s31, exec_lo
	s_and_b32 s33, s33, exec_lo
	s_or_b32 s31, s31, s33
.LBB1081_133:                           ;   in Loop: Header=BB1081_134 Depth=1
	v_dual_mov_b32 v24, s5 :: v_dual_mov_b32 v23, s4
	s_and_b32 s33, exec_lo, s31
	s_mov_b64 s[4:5], s[0:1]
	s_or_b32 s30, s33, s30
	s_delay_alu instid0(SALU_CYCLE_1)
	s_and_not1_b32 exec_lo, exec_lo, s30
	s_cbranch_execz .LBB1081_136
.LBB1081_134:                           ; =>This Inner Loop Header: Depth=1
	s_or_b32 s31, s31, exec_lo
	s_cmp_eq_u64 s[14:15], s[4:5]
	s_cbranch_scc0 .LBB1081_132
; %bb.135:                              ;   in Loop: Header=BB1081_134 Depth=1
	s_mov_b64 s[4:5], s[14:15]
                                        ; implicit-def: $sgpr0_sgpr1
	s_branch .LBB1081_133
.LBB1081_136:
	s_set_inst_prefetch_distance 0x2
	s_or_b32 exec_lo, exec_lo, s30
	v_cmp_gt_i64_e32 vcc_lo, s[14:15], v[23:24]
	s_or_not1_b32 s0, vcc_lo, exec_lo
.LBB1081_137:
	s_or_b32 exec_lo, exec_lo, s28
	s_delay_alu instid0(SALU_CYCLE_1)
	s_and_b32 s28, s0, exec_lo
.LBB1081_138:
	s_or_b32 exec_lo, exec_lo, s29
	v_or_b32_e32 v17, 3, v39
	s_mov_b32 s1, -1
	s_mov_b32 s30, 0
	s_mov_b32 s29, 0
	s_delay_alu instid0(VALU_DEP_1) | instskip(SKIP_1) | instid1(SALU_CYCLE_1)
	v_cmp_gt_u32_e32 vcc_lo, s12, v17
	s_and_b32 s0, vcc_lo, s6
	s_and_saveexec_b32 s31, s0
	s_cbranch_execz .LBB1081_147
; %bb.139:
	v_mad_u64_u32 v[17:18], null, v9, s14, s[16:17]
	s_waitcnt lgkmcnt(0)
	v_mul_lo_u32 v23, v9, s15
	v_mul_lo_u32 v24, v10, s14
	v_mad_u64_u32 v[21:22], null, v11, s14, s[16:17]
	v_mul_lo_u32 v25, v11, s15
	v_mul_lo_u32 v26, v12, s14
	s_mov_b32 s33, 0
	s_delay_alu instid0(VALU_DEP_4) | instskip(NEXT) | instid1(VALU_DEP_2)
	v_add3_u32 v18, v24, v18, v23
	v_add3_u32 v22, v26, v22, v25
	s_clause 0x1
	global_load_u8 v23, v[17:18], off
	global_load_u8 v24, v[21:22], off
	s_waitcnt vmcnt(1)
	v_cmp_ne_u16_e32 vcc_lo, 0, v23
	s_waitcnt vmcnt(0)
	v_cmp_ne_u16_e64 s0, 0, v24
	s_delay_alu instid0(VALU_DEP_1) | instskip(NEXT) | instid1(SALU_CYCLE_1)
	s_xor_b32 s0, vcc_lo, s0
	s_xor_b32 s0, s0, -1
	s_delay_alu instid0(SALU_CYCLE_1)
	s_and_saveexec_b32 s29, s0
	s_cbranch_execz .LBB1081_146
; %bb.140:
	s_mov_b64 s[4:5], 1
                                        ; implicit-def: $sgpr34
	s_set_inst_prefetch_distance 0x1
	s_branch .LBB1081_143
	.p2align	6
.LBB1081_141:                           ;   in Loop: Header=BB1081_143 Depth=1
	v_add_co_u32 v23, vcc_lo, v17, s4
	v_add_co_ci_u32_e32 v24, vcc_lo, s5, v18, vcc_lo
	v_add_co_u32 v25, vcc_lo, v21, s4
	v_add_co_ci_u32_e32 v26, vcc_lo, s5, v22, vcc_lo
	s_clause 0x1
	global_load_u8 v23, v[23:24], off
	global_load_u8 v24, v[25:26], off
	s_waitcnt vmcnt(1)
	v_cmp_ne_u16_e32 vcc_lo, 0, v23
	s_waitcnt vmcnt(0)
	v_cmp_ne_u16_e64 s0, 0, v24
	s_delay_alu instid0(VALU_DEP_1) | instskip(SKIP_4) | instid1(SALU_CYCLE_1)
	s_xor_b32 s35, vcc_lo, s0
	s_add_u32 s0, s4, 1
	s_addc_u32 s1, s5, 0
	s_and_not1_b32 s34, s34, exec_lo
	s_and_b32 s35, s35, exec_lo
	s_or_b32 s34, s34, s35
.LBB1081_142:                           ;   in Loop: Header=BB1081_143 Depth=1
	v_dual_mov_b32 v24, s5 :: v_dual_mov_b32 v23, s4
	s_and_b32 s35, exec_lo, s34
	s_mov_b64 s[4:5], s[0:1]
	s_or_b32 s33, s35, s33
	s_delay_alu instid0(SALU_CYCLE_1)
	s_and_not1_b32 exec_lo, exec_lo, s33
	s_cbranch_execz .LBB1081_145
.LBB1081_143:                           ; =>This Inner Loop Header: Depth=1
	s_or_b32 s34, s34, exec_lo
	s_cmp_eq_u64 s[14:15], s[4:5]
	s_cbranch_scc0 .LBB1081_141
; %bb.144:                              ;   in Loop: Header=BB1081_143 Depth=1
	s_mov_b64 s[4:5], s[14:15]
                                        ; implicit-def: $sgpr0_sgpr1
	s_branch .LBB1081_142
.LBB1081_145:
	s_set_inst_prefetch_distance 0x2
	s_or_b32 exec_lo, exec_lo, s33
	v_cmp_gt_i64_e32 vcc_lo, s[14:15], v[23:24]
	s_or_not1_b32 s1, vcc_lo, exec_lo
.LBB1081_146:
	s_or_b32 exec_lo, exec_lo, s29
	s_delay_alu instid0(SALU_CYCLE_1)
	s_and_b32 s29, s1, exec_lo
.LBB1081_147:
	s_or_b32 exec_lo, exec_lo, s31
	v_or_b32_e32 v17, 2, v39
	s_delay_alu instid0(VALU_DEP_1) | instskip(SKIP_1) | instid1(SALU_CYCLE_1)
	v_cmp_gt_u32_e32 vcc_lo, s12, v17
	s_and_b32 s0, vcc_lo, s6
	s_and_saveexec_b32 s31, s0
	s_cbranch_execz .LBB1081_156
; %bb.148:
	v_mad_u64_u32 v[17:18], null, v15, s14, s[16:17]
	s_waitcnt lgkmcnt(0)
	v_mul_lo_u32 v23, v15, s15
	v_mul_lo_u32 v24, v16, s14
	v_mad_u64_u32 v[21:22], null, v9, s14, s[16:17]
	v_mul_lo_u32 v25, v9, s15
	v_mul_lo_u32 v26, v10, s14
	s_mov_b32 s33, 0
	s_delay_alu instid0(VALU_DEP_4) | instskip(NEXT) | instid1(VALU_DEP_2)
	v_add3_u32 v18, v24, v18, v23
	v_add3_u32 v22, v26, v22, v25
	s_clause 0x1
	global_load_u8 v23, v[17:18], off
	global_load_u8 v24, v[21:22], off
	s_waitcnt vmcnt(1)
	v_cmp_ne_u16_e32 vcc_lo, 0, v23
	s_waitcnt vmcnt(0)
	v_cmp_ne_u16_e64 s0, 0, v24
	s_delay_alu instid0(VALU_DEP_1) | instskip(SKIP_2) | instid1(SALU_CYCLE_1)
	s_xor_b32 s1, vcc_lo, s0
	s_mov_b32 s0, -1
	s_xor_b32 s1, s1, -1
	s_and_saveexec_b32 s30, s1
	s_cbranch_execz .LBB1081_155
; %bb.149:
	s_mov_b64 s[4:5], 1
                                        ; implicit-def: $sgpr34
	s_set_inst_prefetch_distance 0x1
	s_branch .LBB1081_152
	.p2align	6
.LBB1081_150:                           ;   in Loop: Header=BB1081_152 Depth=1
	v_add_co_u32 v23, vcc_lo, v17, s4
	v_add_co_ci_u32_e32 v24, vcc_lo, s5, v18, vcc_lo
	v_add_co_u32 v25, vcc_lo, v21, s4
	v_add_co_ci_u32_e32 v26, vcc_lo, s5, v22, vcc_lo
	s_clause 0x1
	global_load_u8 v23, v[23:24], off
	global_load_u8 v24, v[25:26], off
	s_waitcnt vmcnt(1)
	v_cmp_ne_u16_e32 vcc_lo, 0, v23
	s_waitcnt vmcnt(0)
	v_cmp_ne_u16_e64 s0, 0, v24
	s_delay_alu instid0(VALU_DEP_1) | instskip(SKIP_4) | instid1(SALU_CYCLE_1)
	s_xor_b32 s35, vcc_lo, s0
	s_add_u32 s0, s4, 1
	s_addc_u32 s1, s5, 0
	s_and_not1_b32 s34, s34, exec_lo
	s_and_b32 s35, s35, exec_lo
	s_or_b32 s34, s34, s35
.LBB1081_151:                           ;   in Loop: Header=BB1081_152 Depth=1
	v_dual_mov_b32 v24, s5 :: v_dual_mov_b32 v23, s4
	s_and_b32 s35, exec_lo, s34
	s_mov_b64 s[4:5], s[0:1]
	s_or_b32 s33, s35, s33
	s_delay_alu instid0(SALU_CYCLE_1)
	s_and_not1_b32 exec_lo, exec_lo, s33
	s_cbranch_execz .LBB1081_154
.LBB1081_152:                           ; =>This Inner Loop Header: Depth=1
	s_or_b32 s34, s34, exec_lo
	s_cmp_eq_u64 s[14:15], s[4:5]
	s_cbranch_scc0 .LBB1081_150
; %bb.153:                              ;   in Loop: Header=BB1081_152 Depth=1
	s_mov_b64 s[4:5], s[14:15]
                                        ; implicit-def: $sgpr0_sgpr1
	s_branch .LBB1081_151
.LBB1081_154:
	s_set_inst_prefetch_distance 0x2
	s_or_b32 exec_lo, exec_lo, s33
	v_cmp_gt_i64_e32 vcc_lo, s[14:15], v[23:24]
	s_or_not1_b32 s0, vcc_lo, exec_lo
.LBB1081_155:
	s_or_b32 exec_lo, exec_lo, s30
	s_delay_alu instid0(SALU_CYCLE_1)
	s_and_b32 s30, s0, exec_lo
.LBB1081_156:
	s_or_b32 exec_lo, exec_lo, s31
	v_or_b32_e32 v17, 1, v39
	s_mov_b32 s1, -1
	s_mov_b32 s0, 0
	s_delay_alu instid0(VALU_DEP_1) | instskip(SKIP_1) | instid1(SALU_CYCLE_1)
	v_cmp_gt_u32_e32 vcc_lo, s12, v17
	s_and_b32 s4, vcc_lo, s6
	s_and_saveexec_b32 s31, s4
	s_cbranch_execz .LBB1081_165
; %bb.157:
	v_mad_u64_u32 v[17:18], null, v13, s14, s[16:17]
	s_waitcnt lgkmcnt(0)
	v_mul_lo_u32 v23, v13, s15
	v_mul_lo_u32 v24, v14, s14
	v_mad_u64_u32 v[21:22], null, v15, s14, s[16:17]
	v_mul_lo_u32 v25, v15, s15
	v_mul_lo_u32 v26, v16, s14
	s_mov_b32 s34, 0
	s_delay_alu instid0(VALU_DEP_4) | instskip(NEXT) | instid1(VALU_DEP_2)
	v_add3_u32 v18, v24, v18, v23
	v_add3_u32 v22, v26, v22, v25
	s_clause 0x1
	global_load_u8 v23, v[17:18], off
	global_load_u8 v24, v[21:22], off
	s_waitcnt vmcnt(1)
	v_cmp_ne_u16_e32 vcc_lo, 0, v23
	s_waitcnt vmcnt(0)
	v_cmp_ne_u16_e64 s0, 0, v24
	s_delay_alu instid0(VALU_DEP_1) | instskip(NEXT) | instid1(SALU_CYCLE_1)
	s_xor_b32 s0, vcc_lo, s0
	s_xor_b32 s0, s0, -1
	s_delay_alu instid0(SALU_CYCLE_1)
	s_and_saveexec_b32 s33, s0
	s_cbranch_execz .LBB1081_164
; %bb.158:
	s_mov_b64 s[4:5], 1
                                        ; implicit-def: $sgpr35
	s_set_inst_prefetch_distance 0x1
	s_branch .LBB1081_161
	.p2align	6
.LBB1081_159:                           ;   in Loop: Header=BB1081_161 Depth=1
	v_add_co_u32 v23, vcc_lo, v17, s4
	v_add_co_ci_u32_e32 v24, vcc_lo, s5, v18, vcc_lo
	v_add_co_u32 v25, vcc_lo, v21, s4
	v_add_co_ci_u32_e32 v26, vcc_lo, s5, v22, vcc_lo
	s_clause 0x1
	global_load_u8 v23, v[23:24], off
	global_load_u8 v24, v[25:26], off
	s_waitcnt vmcnt(1)
	v_cmp_ne_u16_e32 vcc_lo, 0, v23
	s_waitcnt vmcnt(0)
	v_cmp_ne_u16_e64 s0, 0, v24
	s_delay_alu instid0(VALU_DEP_1) | instskip(SKIP_4) | instid1(SALU_CYCLE_1)
	s_xor_b32 s36, vcc_lo, s0
	s_add_u32 s0, s4, 1
	s_addc_u32 s1, s5, 0
	s_and_not1_b32 s35, s35, exec_lo
	s_and_b32 s36, s36, exec_lo
	s_or_b32 s35, s35, s36
.LBB1081_160:                           ;   in Loop: Header=BB1081_161 Depth=1
	v_dual_mov_b32 v24, s5 :: v_dual_mov_b32 v23, s4
	s_and_b32 s36, exec_lo, s35
	s_mov_b64 s[4:5], s[0:1]
	s_or_b32 s34, s36, s34
	s_delay_alu instid0(SALU_CYCLE_1)
	s_and_not1_b32 exec_lo, exec_lo, s34
	s_cbranch_execz .LBB1081_163
.LBB1081_161:                           ; =>This Inner Loop Header: Depth=1
	s_or_b32 s35, s35, exec_lo
	s_cmp_eq_u64 s[14:15], s[4:5]
	s_cbranch_scc0 .LBB1081_159
; %bb.162:                              ;   in Loop: Header=BB1081_161 Depth=1
	s_mov_b64 s[4:5], s[14:15]
                                        ; implicit-def: $sgpr0_sgpr1
	s_branch .LBB1081_160
.LBB1081_163:
	s_set_inst_prefetch_distance 0x2
	s_or_b32 exec_lo, exec_lo, s34
	v_cmp_gt_i64_e32 vcc_lo, s[14:15], v[23:24]
	s_or_not1_b32 s1, vcc_lo, exec_lo
.LBB1081_164:
	s_or_b32 exec_lo, exec_lo, s33
	s_delay_alu instid0(SALU_CYCLE_1)
	s_and_b32 s0, s1, exec_lo
.LBB1081_165:
	s_or_b32 exec_lo, exec_lo, s31
	s_waitcnt vmcnt(0) lgkmcnt(0)
	s_barrier
	buffer_gl0_inv
	s_and_saveexec_b32 s1, s3
	s_cbranch_execz .LBB1081_167
; %bb.166:
	v_add_nc_u32_e32 v17, -8, v39
	ds_load_b64 v[19:20], v17
.LBB1081_167:
	s_or_b32 exec_lo, exec_lo, s1
	v_cndmask_b32_e64 v18, 0, 1, s29
	v_cndmask_b32_e64 v22, 0, 1, s27
	;; [unrolled: 1-line block ×7, first 2 shown]
	v_lshlrev_b16 v18, 8, v18
	v_lshlrev_b16 v22, 8, v22
	v_lshlrev_b16 v23, 8, v23
	v_cmp_gt_u32_e32 vcc_lo, s12, v39
	v_lshlrev_b16 v25, 8, v25
	v_or_b32_e32 v17, v17, v18
	v_or_b32_e32 v18, v21, v22
	;; [unrolled: 1-line block ×3, first 2 shown]
	s_mov_b32 s1, -1
	v_and_b32_e32 v23, 0xffff, v25
	v_lshlrev_b32_e32 v24, 16, v17
	v_and_b32_e32 v25, 0xffff, v18
	v_lshlrev_b32_e32 v26, 16, v21
	s_and_b32 s4, vcc_lo, s6
	s_mov_b32 s0, 0
	s_and_saveexec_b32 s6, s4
	s_cbranch_execz .LBB1081_176
; %bb.168:
	s_waitcnt lgkmcnt(0)
	v_mad_u64_u32 v[17:18], null, v19, s14, s[16:17]
	v_mul_lo_u32 v21, v19, s15
	v_mul_lo_u32 v22, v20, s14
	v_mad_u64_u32 v[19:20], null, v13, s14, s[16:17]
	v_mul_lo_u32 v27, v13, s15
	v_mul_lo_u32 v28, v14, s14
	s_mov_b32 s26, 0
	s_delay_alu instid0(VALU_DEP_4) | instskip(NEXT) | instid1(VALU_DEP_2)
	v_add3_u32 v18, v22, v18, v21
	v_add3_u32 v20, v28, v20, v27
	s_clause 0x1
	global_load_u8 v21, v[17:18], off
	global_load_u8 v22, v[19:20], off
	s_waitcnt vmcnt(1)
	v_cmp_ne_u16_e32 vcc_lo, 0, v21
	s_waitcnt vmcnt(0)
	v_cmp_ne_u16_e64 s0, 0, v22
	s_delay_alu instid0(VALU_DEP_1) | instskip(NEXT) | instid1(SALU_CYCLE_1)
	s_xor_b32 s0, vcc_lo, s0
	s_xor_b32 s0, s0, -1
	s_delay_alu instid0(SALU_CYCLE_1)
	s_and_saveexec_b32 s7, s0
	s_cbranch_execz .LBB1081_175
; %bb.169:
	s_mov_b64 s[4:5], 1
                                        ; implicit-def: $sgpr27
	s_set_inst_prefetch_distance 0x1
	s_branch .LBB1081_172
	.p2align	6
.LBB1081_170:                           ;   in Loop: Header=BB1081_172 Depth=1
	v_add_co_u32 v21, vcc_lo, v17, s4
	v_add_co_ci_u32_e32 v22, vcc_lo, s5, v18, vcc_lo
	v_add_co_u32 v27, vcc_lo, v19, s4
	v_add_co_ci_u32_e32 v28, vcc_lo, s5, v20, vcc_lo
	s_clause 0x1
	global_load_u8 v21, v[21:22], off
	global_load_u8 v22, v[27:28], off
	s_waitcnt vmcnt(1)
	v_cmp_ne_u16_e32 vcc_lo, 0, v21
	s_waitcnt vmcnt(0)
	v_cmp_ne_u16_e64 s0, 0, v22
	s_delay_alu instid0(VALU_DEP_1) | instskip(SKIP_4) | instid1(SALU_CYCLE_1)
	s_xor_b32 s28, vcc_lo, s0
	s_add_u32 s0, s4, 1
	s_addc_u32 s1, s5, 0
	s_and_not1_b32 s27, s27, exec_lo
	s_and_b32 s28, s28, exec_lo
	s_or_b32 s27, s27, s28
.LBB1081_171:                           ;   in Loop: Header=BB1081_172 Depth=1
	v_dual_mov_b32 v22, s5 :: v_dual_mov_b32 v21, s4
	s_and_b32 s28, exec_lo, s27
	s_mov_b64 s[4:5], s[0:1]
	s_or_b32 s26, s28, s26
	s_delay_alu instid0(SALU_CYCLE_1)
	s_and_not1_b32 exec_lo, exec_lo, s26
	s_cbranch_execz .LBB1081_174
.LBB1081_172:                           ; =>This Inner Loop Header: Depth=1
	s_or_b32 s27, s27, exec_lo
	s_cmp_eq_u64 s[14:15], s[4:5]
	s_cbranch_scc0 .LBB1081_170
; %bb.173:                              ;   in Loop: Header=BB1081_172 Depth=1
	s_mov_b64 s[4:5], s[14:15]
                                        ; implicit-def: $sgpr0_sgpr1
	s_branch .LBB1081_171
.LBB1081_174:
	s_set_inst_prefetch_distance 0x2
	s_or_b32 exec_lo, exec_lo, s26
	v_cmp_gt_i64_e32 vcc_lo, s[14:15], v[21:22]
	s_or_not1_b32 s1, vcc_lo, exec_lo
.LBB1081_175:
	s_or_b32 exec_lo, exec_lo, s7
	s_delay_alu instid0(SALU_CYCLE_1)
	s_and_b32 s0, s1, exec_lo
.LBB1081_176:
	s_or_b32 exec_lo, exec_lo, s6
	v_or_b32_e32 v17, v23, v24
	v_or_b32_e32 v18, v25, v26
.LBB1081_177:
	s_mov_b32 s6, -1
	s_cbranch_execnz .LBB1081_329
.LBB1081_178:
	v_cmp_lt_i64_e64 s7, s[14:15], 1
	v_cmp_gt_i64_e64 s0, s[14:15], 0
	s_and_b32 vcc_lo, exec_lo, s22
	ds_store_b64 v39, v[3:4]
	s_cbranch_vccz .LBB1081_186
; %bb.179:
	v_cndmask_b32_e64 v26, 0, 1, s0
	s_and_not1_b32 vcc_lo, exec_lo, s0
	s_cbranch_vccnz .LBB1081_187
; %bb.180:
	v_mad_u64_u32 v[17:18], null, v1, s14, s[16:17]
	v_mul_lo_u32 v21, v1, s15
	v_mul_lo_u32 v22, v2, s14
	s_waitcnt vmcnt(0) lgkmcnt(1)
	v_mad_u64_u32 v[19:20], null, v3, s14, s[16:17]
	v_mul_lo_u32 v23, v3, s15
	v_mul_lo_u32 v24, v4, s14
	s_mov_b32 s28, 0
	s_mov_b32 s26, -1
	s_delay_alu instid0(VALU_DEP_4) | instskip(NEXT) | instid1(VALU_DEP_2)
	v_add3_u32 v18, v22, v18, v21
	v_add3_u32 v20, v24, v20, v23
	s_clause 0x1
	global_load_u8 v21, v[17:18], off
	global_load_u8 v22, v[19:20], off
	s_waitcnt vmcnt(1)
	v_cmp_ne_u16_e32 vcc_lo, 0, v21
	s_waitcnt vmcnt(0)
	v_cmp_ne_u16_e64 s0, 0, v22
	s_delay_alu instid0(VALU_DEP_1) | instskip(NEXT) | instid1(SALU_CYCLE_1)
	s_xor_b32 s0, vcc_lo, s0
	s_xor_b32 s0, s0, -1
	s_delay_alu instid0(SALU_CYCLE_1)
	s_and_saveexec_b32 s27, s0
	s_cbranch_execz .LBB1081_189
; %bb.181:
	s_mov_b64 s[4:5], 1
                                        ; implicit-def: $sgpr26
	s_set_inst_prefetch_distance 0x1
	s_branch .LBB1081_184
	.p2align	6
.LBB1081_182:                           ;   in Loop: Header=BB1081_184 Depth=1
	v_add_co_u32 v21, s0, v17, s4
	s_delay_alu instid0(VALU_DEP_1) | instskip(SKIP_1) | instid1(VALU_DEP_1)
	v_add_co_ci_u32_e64 v22, s0, s5, v18, s0
	v_add_co_u32 v23, s0, v19, s4
	v_add_co_ci_u32_e64 v24, s0, s5, v20, s0
	s_clause 0x1
	global_load_u8 v21, v[21:22], off
	global_load_u8 v22, v[23:24], off
	s_waitcnt vmcnt(1)
	v_cmp_ne_u16_e64 s0, 0, v21
	s_waitcnt vmcnt(0)
	v_cmp_ne_u16_e64 s1, 0, v22
	s_delay_alu instid0(VALU_DEP_1) | instskip(SKIP_4) | instid1(SALU_CYCLE_1)
	s_xor_b32 s29, s0, s1
	s_add_u32 s0, s4, 1
	s_addc_u32 s1, s5, 0
	s_and_not1_b32 s26, s26, exec_lo
	s_and_b32 s29, s29, exec_lo
	s_or_b32 s26, s26, s29
.LBB1081_183:                           ;   in Loop: Header=BB1081_184 Depth=1
	v_dual_mov_b32 v22, s5 :: v_dual_mov_b32 v21, s4
	s_and_b32 s29, exec_lo, s26
	s_mov_b64 s[4:5], s[0:1]
	s_or_b32 s28, s29, s28
	s_delay_alu instid0(SALU_CYCLE_1)
	s_and_not1_b32 exec_lo, exec_lo, s28
	s_cbranch_execz .LBB1081_188
.LBB1081_184:                           ; =>This Inner Loop Header: Depth=1
	s_or_b32 s26, s26, exec_lo
	s_cmp_eq_u64 s[14:15], s[4:5]
	s_cbranch_scc0 .LBB1081_182
; %bb.185:                              ;   in Loop: Header=BB1081_184 Depth=1
	s_mov_b64 s[4:5], s[14:15]
                                        ; implicit-def: $sgpr0_sgpr1
	s_branch .LBB1081_183
.LBB1081_186:
                                        ; implicit-def: $sgpr0
                                        ; implicit-def: $vgpr18
	s_cbranch_execnz .LBB1081_254
	s_branch .LBB1081_329
.LBB1081_187:
	v_mov_b32_e32 v17, 0
	s_mov_b32 s0, 0
	s_branch .LBB1081_197
.LBB1081_188:
	s_set_inst_prefetch_distance 0x2
	s_or_b32 exec_lo, exec_lo, s28
	v_cmp_gt_i64_e64 s0, s[14:15], v[21:22]
	s_delay_alu instid0(VALU_DEP_1)
	s_or_not1_b32 s26, s0, exec_lo
.LBB1081_189:
	s_or_b32 exec_lo, exec_lo, s27
	v_mad_u64_u32 v[19:20], null, v7, s14, s[16:17]
	v_mul_lo_u32 v21, v7, s15
	v_mul_lo_u32 v22, v8, s14
	s_mov_b32 s28, 0
	s_delay_alu instid0(VALU_DEP_1) | instskip(SKIP_3) | instid1(VALU_DEP_1)
	v_add3_u32 v20, v22, v20, v21
	global_load_u8 v21, v[19:20], off
	s_waitcnt vmcnt(0)
	v_cmp_ne_u16_e64 s0, 0, v21
	s_xor_b32 s1, vcc_lo, s0
	s_mov_b32 s0, -1
	s_xor_b32 s1, s1, -1
	s_delay_alu instid0(SALU_CYCLE_1)
	s_and_saveexec_b32 s27, s1
	s_cbranch_execz .LBB1081_196
; %bb.190:
	s_mov_b64 s[4:5], 1
                                        ; implicit-def: $sgpr29
	s_set_inst_prefetch_distance 0x1
	s_branch .LBB1081_193
	.p2align	6
.LBB1081_191:                           ;   in Loop: Header=BB1081_193 Depth=1
	v_add_co_u32 v21, vcc_lo, v19, s4
	v_add_co_ci_u32_e32 v22, vcc_lo, s5, v20, vcc_lo
	v_add_co_u32 v23, vcc_lo, v17, s4
	v_add_co_ci_u32_e32 v24, vcc_lo, s5, v18, vcc_lo
	s_clause 0x1
	global_load_u8 v21, v[21:22], off
	global_load_u8 v22, v[23:24], off
	s_waitcnt vmcnt(1)
	v_cmp_ne_u16_e32 vcc_lo, 0, v21
	s_waitcnt vmcnt(0)
	v_cmp_ne_u16_e64 s0, 0, v22
	s_delay_alu instid0(VALU_DEP_1) | instskip(SKIP_4) | instid1(SALU_CYCLE_1)
	s_xor_b32 s30, vcc_lo, s0
	s_add_u32 s0, s4, 1
	s_addc_u32 s1, s5, 0
	s_and_not1_b32 s29, s29, exec_lo
	s_and_b32 s30, s30, exec_lo
	s_or_b32 s29, s29, s30
.LBB1081_192:                           ;   in Loop: Header=BB1081_193 Depth=1
	v_dual_mov_b32 v22, s5 :: v_dual_mov_b32 v21, s4
	s_and_b32 s30, exec_lo, s29
	s_mov_b64 s[4:5], s[0:1]
	s_or_b32 s28, s30, s28
	s_delay_alu instid0(SALU_CYCLE_1)
	s_and_not1_b32 exec_lo, exec_lo, s28
	s_cbranch_execz .LBB1081_195
.LBB1081_193:                           ; =>This Inner Loop Header: Depth=1
	s_or_b32 s29, s29, exec_lo
	s_cmp_eq_u64 s[14:15], s[4:5]
	s_cbranch_scc0 .LBB1081_191
; %bb.194:                              ;   in Loop: Header=BB1081_193 Depth=1
	s_mov_b64 s[4:5], s[14:15]
                                        ; implicit-def: $sgpr0_sgpr1
	s_branch .LBB1081_192
.LBB1081_195:
	s_set_inst_prefetch_distance 0x2
	s_or_b32 exec_lo, exec_lo, s28
	v_cmp_gt_i64_e32 vcc_lo, s[14:15], v[21:22]
	s_or_not1_b32 s0, vcc_lo, exec_lo
.LBB1081_196:
	s_or_b32 exec_lo, exec_lo, s27
	v_cndmask_b32_e64 v17, 0, 1, s26
.LBB1081_197:
	v_and_b32_e32 v18, 0xff, v0
	s_waitcnt vmcnt(0) lgkmcnt(1)
	v_lshlrev_b16 v19, 8, v0
	v_and_b32_e32 v20, 0xff, v0
	v_lshlrev_b16 v21, 8, v0
	v_and_b32_e32 v22, 0xff, v0
	v_lshlrev_b16 v23, 8, v0
	v_lshlrev_b16 v17, 8, v17
	v_cndmask_b32_e64 v24, 0, 1, s0
	v_or_b32_e32 v18, v18, v19
	v_or_b32_e32 v19, v20, v21
	;; [unrolled: 1-line block ×3, first 2 shown]
	v_cmp_ne_u32_e32 vcc_lo, 1, v26
	v_or_b32_e32 v17, v24, v17
	v_and_b32_e32 v18, 0xffff, v18
	v_lshlrev_b32_e32 v19, 16, v19
	v_and_b32_e32 v20, 0xffff, v20
	s_delay_alu instid0(VALU_DEP_4) | instskip(NEXT) | instid1(VALU_DEP_3)
	v_lshlrev_b32_e32 v17, 16, v17
	v_or_b32_e32 v27, v18, v19
	s_delay_alu instid0(VALU_DEP_2)
	v_or_b32_e32 v24, v20, v17
	s_cbranch_vccnz .LBB1081_204
; %bb.198:
	v_mad_u64_u32 v[17:18], null, v5, s14, s[16:17]
	v_mul_lo_u32 v21, v5, s15
	v_mul_lo_u32 v22, v6, s14
	v_mad_u64_u32 v[19:20], null, v7, s14, s[16:17]
	v_mul_lo_u32 v23, v7, s15
	v_mul_lo_u32 v25, v8, s14
	s_mov_b32 s27, 0
	s_delay_alu instid0(VALU_DEP_4) | instskip(NEXT) | instid1(VALU_DEP_2)
	v_add3_u32 v18, v22, v18, v21
	v_add3_u32 v20, v25, v20, v23
	s_clause 0x1
	global_load_u8 v21, v[17:18], off
	global_load_u8 v22, v[19:20], off
	s_waitcnt vmcnt(1)
	v_cmp_ne_u16_e32 vcc_lo, 0, v21
	s_waitcnt vmcnt(0)
	v_cmp_ne_u16_e64 s0, 0, v22
	s_delay_alu instid0(VALU_DEP_1) | instskip(SKIP_2) | instid1(SALU_CYCLE_1)
	s_xor_b32 s1, vcc_lo, s0
	s_mov_b32 s0, -1
	s_xor_b32 s1, s1, -1
	s_and_saveexec_b32 s26, s1
	s_cbranch_execz .LBB1081_206
; %bb.199:
	s_mov_b64 s[4:5], 1
                                        ; implicit-def: $sgpr28
	s_set_inst_prefetch_distance 0x1
	s_branch .LBB1081_202
	.p2align	6
.LBB1081_200:                           ;   in Loop: Header=BB1081_202 Depth=1
	v_add_co_u32 v21, s0, v17, s4
	s_delay_alu instid0(VALU_DEP_1) | instskip(SKIP_1) | instid1(VALU_DEP_1)
	v_add_co_ci_u32_e64 v22, s0, s5, v18, s0
	v_add_co_u32 v28, s0, v19, s4
	v_add_co_ci_u32_e64 v29, s0, s5, v20, s0
	s_clause 0x1
	global_load_u8 v21, v[21:22], off
	global_load_u8 v22, v[28:29], off
	s_waitcnt vmcnt(1)
	v_cmp_ne_u16_e64 s0, 0, v21
	s_waitcnt vmcnt(0)
	v_cmp_ne_u16_e64 s1, 0, v22
	s_delay_alu instid0(VALU_DEP_1) | instskip(SKIP_4) | instid1(SALU_CYCLE_1)
	s_xor_b32 s29, s0, s1
	s_add_u32 s0, s4, 1
	s_addc_u32 s1, s5, 0
	s_and_not1_b32 s28, s28, exec_lo
	s_and_b32 s29, s29, exec_lo
	s_or_b32 s28, s28, s29
.LBB1081_201:                           ;   in Loop: Header=BB1081_202 Depth=1
	v_dual_mov_b32 v22, s5 :: v_dual_mov_b32 v21, s4
	s_and_b32 s29, exec_lo, s28
	s_mov_b64 s[4:5], s[0:1]
	s_or_b32 s27, s29, s27
	s_delay_alu instid0(SALU_CYCLE_1)
	s_and_not1_b32 exec_lo, exec_lo, s27
	s_cbranch_execz .LBB1081_205
.LBB1081_202:                           ; =>This Inner Loop Header: Depth=1
	s_or_b32 s28, s28, exec_lo
	s_cmp_eq_u64 s[14:15], s[4:5]
	s_cbranch_scc0 .LBB1081_200
; %bb.203:                              ;   in Loop: Header=BB1081_202 Depth=1
	s_mov_b64 s[4:5], s[14:15]
                                        ; implicit-def: $sgpr0_sgpr1
	s_branch .LBB1081_201
.LBB1081_204:
                                        ; implicit-def: $sgpr0
                                        ; implicit-def: $vgpr18_vgpr19
	s_cbranch_execnz .LBB1081_214
	s_branch .LBB1081_215
.LBB1081_205:
	s_set_inst_prefetch_distance 0x2
	s_or_b32 exec_lo, exec_lo, s27
	v_cmp_gt_i64_e64 s0, s[14:15], v[21:22]
	s_delay_alu instid0(VALU_DEP_1)
	s_or_not1_b32 s0, s0, exec_lo
.LBB1081_206:
	s_or_b32 exec_lo, exec_lo, s26
	v_mad_u64_u32 v[20:21], null, v11, s14, s[16:17]
	v_mul_lo_u32 v19, v11, s15
	v_mul_lo_u32 v22, v12, s14
	v_and_b32_e32 v23, 0xff, v24
	s_mov_b32 s26, 0
	s_delay_alu instid0(VALU_DEP_2) | instskip(SKIP_3) | instid1(VALU_DEP_1)
	v_add3_u32 v21, v22, v21, v19
	v_cndmask_b32_e64 v22, 0, 1, s0
	global_load_u8 v19, v[20:21], off
	v_lshlrev_b16 v22, 8, v22
	v_or_b32_e32 v22, v23, v22
	s_delay_alu instid0(VALU_DEP_1) | instskip(SKIP_2) | instid1(VALU_DEP_2)
	v_and_b32_e32 v22, 0xffff, v22
	s_waitcnt vmcnt(0)
	v_cmp_ne_u16_e64 s0, 0, v19
	v_and_or_b32 v19, 0xffff0000, v24, v22
	s_delay_alu instid0(VALU_DEP_2) | instskip(SKIP_2) | instid1(SALU_CYCLE_1)
	s_xor_b32 s1, vcc_lo, s0
	s_mov_b32 s0, -1
	s_xor_b32 s1, s1, -1
	s_and_saveexec_b32 s27, s1
	s_cbranch_execz .LBB1081_213
; %bb.207:
	s_mov_b64 s[4:5], 1
	s_mov_b32 s28, 0
                                        ; implicit-def: $sgpr29
	s_set_inst_prefetch_distance 0x1
	s_branch .LBB1081_210
	.p2align	6
.LBB1081_208:                           ;   in Loop: Header=BB1081_210 Depth=1
	v_add_co_u32 v22, vcc_lo, v20, s4
	v_add_co_ci_u32_e32 v23, vcc_lo, s5, v21, vcc_lo
	v_add_co_u32 v28, vcc_lo, v17, s4
	v_add_co_ci_u32_e32 v29, vcc_lo, s5, v18, vcc_lo
	s_clause 0x1
	global_load_u8 v22, v[22:23], off
	global_load_u8 v23, v[28:29], off
	s_waitcnt vmcnt(1)
	v_cmp_ne_u16_e32 vcc_lo, 0, v22
	s_waitcnt vmcnt(0)
	v_cmp_ne_u16_e64 s0, 0, v23
	s_delay_alu instid0(VALU_DEP_1) | instskip(SKIP_4) | instid1(SALU_CYCLE_1)
	s_xor_b32 s30, vcc_lo, s0
	s_add_u32 s0, s4, 1
	s_addc_u32 s1, s5, 0
	s_and_not1_b32 s29, s29, exec_lo
	s_and_b32 s30, s30, exec_lo
	s_or_b32 s29, s29, s30
.LBB1081_209:                           ;   in Loop: Header=BB1081_210 Depth=1
	v_dual_mov_b32 v23, s5 :: v_dual_mov_b32 v22, s4
	s_and_b32 s30, exec_lo, s29
	s_mov_b64 s[4:5], s[0:1]
	s_or_b32 s28, s30, s28
	s_delay_alu instid0(SALU_CYCLE_1)
	s_and_not1_b32 exec_lo, exec_lo, s28
	s_cbranch_execz .LBB1081_212
.LBB1081_210:                           ; =>This Inner Loop Header: Depth=1
	s_or_b32 s29, s29, exec_lo
	s_cmp_eq_u64 s[14:15], s[4:5]
	s_cbranch_scc0 .LBB1081_208
; %bb.211:                              ;   in Loop: Header=BB1081_210 Depth=1
	s_mov_b64 s[4:5], s[14:15]
                                        ; implicit-def: $sgpr0_sgpr1
	s_branch .LBB1081_209
.LBB1081_212:
	s_set_inst_prefetch_distance 0x2
	s_or_b32 exec_lo, exec_lo, s28
	v_cmp_gt_i64_e32 vcc_lo, s[14:15], v[22:23]
	s_or_not1_b32 s0, vcc_lo, exec_lo
.LBB1081_213:
	s_or_b32 exec_lo, exec_lo, s27
	s_delay_alu instid0(SALU_CYCLE_1)
	s_and_b32 vcc_lo, exec_lo, s26
	s_cbranch_vccz .LBB1081_215
.LBB1081_214:
	s_delay_alu instid0(VALU_DEP_1)
	v_and_b32_e32 v19, 0xffff00ff, v24
	s_and_not1_b32 s0, s0, exec_lo
.LBB1081_215:
	s_delay_alu instid0(VALU_DEP_1) | instskip(SKIP_2) | instid1(VALU_DEP_2)
	v_and_b32_e32 v17, 0xffffff00, v19
	v_cndmask_b32_e64 v18, 0, 1, s0
	v_cmp_ne_u32_e32 vcc_lo, 1, v26
	v_or_b32_e32 v17, v18, v17
	s_delay_alu instid0(VALU_DEP_1) | instskip(NEXT) | instid1(VALU_DEP_1)
	v_and_b32_e32 v17, 0xffff, v17
	v_and_or_b32 v18, 0xffff0000, v19, v17
	s_cbranch_vccnz .LBB1081_222
; %bb.216:
	v_mad_u64_u32 v[20:21], null, v9, s14, s[16:17]
	v_mul_lo_u32 v17, v9, s15
	v_mul_lo_u32 v19, v10, s14
	v_mad_u64_u32 v[22:23], null, v11, s14, s[16:17]
	v_mul_lo_u32 v24, v11, s15
	v_mul_lo_u32 v25, v12, s14
	s_delay_alu instid0(VALU_DEP_4) | instskip(NEXT) | instid1(VALU_DEP_2)
	v_add3_u32 v21, v19, v21, v17
	v_add3_u32 v23, v25, v23, v24
	s_clause 0x1
	global_load_u8 v17, v[20:21], off
	global_load_u8 v19, v[22:23], off
	s_waitcnt vmcnt(1)
	v_cmp_ne_u16_e32 vcc_lo, 0, v17
	s_waitcnt vmcnt(0)
	v_cmp_ne_u16_e64 s0, 0, v19
	s_delay_alu instid0(VALU_DEP_1) | instskip(SKIP_2) | instid1(SALU_CYCLE_1)
	s_xor_b32 s1, vcc_lo, s0
	s_mov_b32 s0, -1
	s_xor_b32 s1, s1, -1
	s_and_saveexec_b32 s26, s1
	s_cbranch_execz .LBB1081_224
; %bb.217:
	s_mov_b64 s[4:5], 1
	s_mov_b32 s27, 0
                                        ; implicit-def: $sgpr28
	s_set_inst_prefetch_distance 0x1
	s_branch .LBB1081_220
	.p2align	6
.LBB1081_218:                           ;   in Loop: Header=BB1081_220 Depth=1
	v_add_co_u32 v24, s0, v20, s4
	s_delay_alu instid0(VALU_DEP_1) | instskip(SKIP_1) | instid1(VALU_DEP_1)
	v_add_co_ci_u32_e64 v25, s0, s5, v21, s0
	v_add_co_u32 v28, s0, v22, s4
	v_add_co_ci_u32_e64 v29, s0, s5, v23, s0
	s_clause 0x1
	global_load_u8 v17, v[24:25], off
	global_load_u8 v19, v[28:29], off
	s_waitcnt vmcnt(1)
	v_cmp_ne_u16_e64 s0, 0, v17
	s_waitcnt vmcnt(0)
	v_cmp_ne_u16_e64 s1, 0, v19
	s_delay_alu instid0(VALU_DEP_1) | instskip(SKIP_4) | instid1(SALU_CYCLE_1)
	s_xor_b32 s29, s0, s1
	s_add_u32 s0, s4, 1
	s_addc_u32 s1, s5, 0
	s_and_not1_b32 s28, s28, exec_lo
	s_and_b32 s29, s29, exec_lo
	s_or_b32 s28, s28, s29
.LBB1081_219:                           ;   in Loop: Header=BB1081_220 Depth=1
	v_dual_mov_b32 v25, s5 :: v_dual_mov_b32 v24, s4
	s_and_b32 s29, exec_lo, s28
	s_mov_b64 s[4:5], s[0:1]
	s_or_b32 s27, s29, s27
	s_delay_alu instid0(SALU_CYCLE_1)
	s_and_not1_b32 exec_lo, exec_lo, s27
	s_cbranch_execz .LBB1081_223
.LBB1081_220:                           ; =>This Inner Loop Header: Depth=1
	s_or_b32 s28, s28, exec_lo
	s_cmp_eq_u64 s[14:15], s[4:5]
	s_cbranch_scc0 .LBB1081_218
; %bb.221:                              ;   in Loop: Header=BB1081_220 Depth=1
	s_mov_b64 s[4:5], s[14:15]
                                        ; implicit-def: $sgpr0_sgpr1
	s_branch .LBB1081_219
.LBB1081_222:
                                        ; implicit-def: $sgpr26
                                        ; implicit-def: $vgpr19_vgpr20
	s_cbranch_execnz .LBB1081_232
	s_branch .LBB1081_233
.LBB1081_223:
	s_set_inst_prefetch_distance 0x2
	s_or_b32 exec_lo, exec_lo, s27
	v_cmp_gt_i64_e64 s0, s[14:15], v[24:25]
	s_delay_alu instid0(VALU_DEP_1)
	s_or_not1_b32 s0, s0, exec_lo
.LBB1081_224:
	s_or_b32 exec_lo, exec_lo, s26
	v_mad_u64_u32 v[22:23], null, v15, s14, s[16:17]
	v_mul_lo_u32 v17, v15, s15
	v_mul_lo_u32 v19, v16, s14
	v_cndmask_b32_e64 v24, 0, 1, s0
	s_mov_b32 s27, 0
	s_mov_b32 s26, -1
	s_delay_alu instid0(VALU_DEP_1) | instskip(NEXT) | instid1(VALU_DEP_3)
	v_lshlrev_b16 v24, 8, v24
	v_add3_u32 v23, v19, v23, v17
	v_lshrrev_b32_e32 v19, 16, v27
	global_load_u8 v17, v[22:23], off
	v_and_b32_e32 v19, 0xff, v19
	s_delay_alu instid0(VALU_DEP_1) | instskip(NEXT) | instid1(VALU_DEP_1)
	v_or_b32_e32 v19, v19, v24
	v_lshlrev_b32_e32 v19, 16, v19
	s_delay_alu instid0(VALU_DEP_1) | instskip(SKIP_2) | instid1(VALU_DEP_1)
	v_and_or_b32 v19, 0xffff, v27, v19
	s_waitcnt vmcnt(0)
	v_cmp_ne_u16_e64 s0, 0, v17
	s_xor_b32 s0, vcc_lo, s0
	s_delay_alu instid0(SALU_CYCLE_1) | instskip(NEXT) | instid1(SALU_CYCLE_1)
	s_xor_b32 s0, s0, -1
	s_and_saveexec_b32 s28, s0
	s_cbranch_execz .LBB1081_231
; %bb.225:
	s_mov_b64 s[4:5], 1
	s_mov_b32 s26, 0
                                        ; implicit-def: $sgpr29
	s_set_inst_prefetch_distance 0x1
	s_branch .LBB1081_228
	.p2align	6
.LBB1081_226:                           ;   in Loop: Header=BB1081_228 Depth=1
	v_add_co_u32 v24, vcc_lo, v22, s4
	v_add_co_ci_u32_e32 v25, vcc_lo, s5, v23, vcc_lo
	v_add_co_u32 v28, vcc_lo, v20, s4
	v_add_co_ci_u32_e32 v29, vcc_lo, s5, v21, vcc_lo
	s_clause 0x1
	global_load_u8 v17, v[24:25], off
	global_load_u8 v24, v[28:29], off
	s_waitcnt vmcnt(1)
	v_cmp_ne_u16_e32 vcc_lo, 0, v17
	s_waitcnt vmcnt(0)
	v_cmp_ne_u16_e64 s0, 0, v24
	s_delay_alu instid0(VALU_DEP_1) | instskip(SKIP_4) | instid1(SALU_CYCLE_1)
	s_xor_b32 s30, vcc_lo, s0
	s_add_u32 s0, s4, 1
	s_addc_u32 s1, s5, 0
	s_and_not1_b32 s29, s29, exec_lo
	s_and_b32 s30, s30, exec_lo
	s_or_b32 s29, s29, s30
.LBB1081_227:                           ;   in Loop: Header=BB1081_228 Depth=1
	v_dual_mov_b32 v25, s5 :: v_dual_mov_b32 v24, s4
	s_and_b32 s30, exec_lo, s29
	s_mov_b64 s[4:5], s[0:1]
	s_or_b32 s26, s30, s26
	s_delay_alu instid0(SALU_CYCLE_1)
	s_and_not1_b32 exec_lo, exec_lo, s26
	s_cbranch_execz .LBB1081_230
.LBB1081_228:                           ; =>This Inner Loop Header: Depth=1
	s_or_b32 s29, s29, exec_lo
	s_cmp_eq_u64 s[14:15], s[4:5]
	s_cbranch_scc0 .LBB1081_226
; %bb.229:                              ;   in Loop: Header=BB1081_228 Depth=1
	s_mov_b64 s[4:5], s[14:15]
                                        ; implicit-def: $sgpr0_sgpr1
	s_branch .LBB1081_227
.LBB1081_230:
	s_set_inst_prefetch_distance 0x2
	s_or_b32 exec_lo, exec_lo, s26
	v_cmp_gt_i64_e32 vcc_lo, s[14:15], v[24:25]
	s_or_not1_b32 s26, vcc_lo, exec_lo
.LBB1081_231:
	s_or_b32 exec_lo, exec_lo, s28
	s_delay_alu instid0(SALU_CYCLE_1)
	s_and_b32 vcc_lo, exec_lo, s27
	s_cbranch_vccz .LBB1081_233
.LBB1081_232:
	v_and_b32_e32 v19, 0xffffff, v27
	s_and_not1_b32 s26, s26, exec_lo
.LBB1081_233:
	v_cmp_ne_u32_e32 vcc_lo, 1, v26
	s_mov_b32 s0, 0
	s_cbranch_vccnz .LBB1081_242
; %bb.234:
	v_mad_u64_u32 v[20:21], null, v13, s14, s[16:17]
	v_mul_lo_u32 v17, v13, s15
	v_mul_lo_u32 v24, v14, s14
	v_mad_u64_u32 v[22:23], null, v15, s14, s[16:17]
	v_mul_lo_u32 v25, v15, s15
	v_mul_lo_u32 v27, v16, s14
	s_mov_b32 s28, 0
	s_delay_alu instid0(VALU_DEP_4) | instskip(NEXT) | instid1(VALU_DEP_2)
	v_add3_u32 v21, v24, v21, v17
	v_add3_u32 v23, v27, v23, v25
	s_clause 0x1
	global_load_u8 v17, v[20:21], off
	global_load_u8 v24, v[22:23], off
	s_waitcnt vmcnt(1)
	v_cmp_ne_u16_e32 vcc_lo, 0, v17
	s_waitcnt vmcnt(0)
	v_cmp_ne_u16_e64 s0, 0, v24
	s_delay_alu instid0(VALU_DEP_1) | instskip(SKIP_2) | instid1(SALU_CYCLE_1)
	s_xor_b32 s1, vcc_lo, s0
	s_mov_b32 s0, -1
	s_xor_b32 s1, s1, -1
	s_and_saveexec_b32 s27, s1
	s_cbranch_execz .LBB1081_241
; %bb.235:
	s_mov_b64 s[4:5], 1
                                        ; implicit-def: $sgpr29
	s_set_inst_prefetch_distance 0x1
	s_branch .LBB1081_238
	.p2align	6
.LBB1081_236:                           ;   in Loop: Header=BB1081_238 Depth=1
	v_add_co_u32 v24, vcc_lo, v20, s4
	v_add_co_ci_u32_e32 v25, vcc_lo, s5, v21, vcc_lo
	v_add_co_u32 v27, vcc_lo, v22, s4
	v_add_co_ci_u32_e32 v28, vcc_lo, s5, v23, vcc_lo
	s_clause 0x1
	global_load_u8 v17, v[24:25], off
	global_load_u8 v24, v[27:28], off
	s_waitcnt vmcnt(1)
	v_cmp_ne_u16_e32 vcc_lo, 0, v17
	s_waitcnt vmcnt(0)
	v_cmp_ne_u16_e64 s0, 0, v24
	s_delay_alu instid0(VALU_DEP_1) | instskip(SKIP_4) | instid1(SALU_CYCLE_1)
	s_xor_b32 s30, vcc_lo, s0
	s_add_u32 s0, s4, 1
	s_addc_u32 s1, s5, 0
	s_and_not1_b32 s29, s29, exec_lo
	s_and_b32 s30, s30, exec_lo
	s_or_b32 s29, s29, s30
.LBB1081_237:                           ;   in Loop: Header=BB1081_238 Depth=1
	v_dual_mov_b32 v25, s5 :: v_dual_mov_b32 v24, s4
	s_and_b32 s30, exec_lo, s29
	s_mov_b64 s[4:5], s[0:1]
	s_or_b32 s28, s30, s28
	s_delay_alu instid0(SALU_CYCLE_1)
	s_and_not1_b32 exec_lo, exec_lo, s28
	s_cbranch_execz .LBB1081_240
.LBB1081_238:                           ; =>This Inner Loop Header: Depth=1
	s_or_b32 s29, s29, exec_lo
	s_cmp_eq_u64 s[14:15], s[4:5]
	s_cbranch_scc0 .LBB1081_236
; %bb.239:                              ;   in Loop: Header=BB1081_238 Depth=1
	s_mov_b64 s[4:5], s[14:15]
                                        ; implicit-def: $sgpr0_sgpr1
	s_branch .LBB1081_237
.LBB1081_240:
	s_set_inst_prefetch_distance 0x2
	s_or_b32 exec_lo, exec_lo, s28
	v_cmp_gt_i64_e32 vcc_lo, s[14:15], v[24:25]
	s_or_not1_b32 s0, vcc_lo, exec_lo
.LBB1081_241:
	s_or_b32 exec_lo, exec_lo, s27
.LBB1081_242:
	v_cndmask_b32_e64 v17, 0, 1, s0
	v_lshrrev_b32_e32 v19, 16, v19
	v_cndmask_b32_e64 v20, 0, 1, s26
	s_waitcnt lgkmcnt(0)
	s_barrier
	v_lshlrev_b16 v17, 8, v17
	v_and_b32_e32 v19, 0xffffff00, v19
	buffer_gl0_inv
                                        ; implicit-def: $sgpr0
	v_or_b32_e32 v17, 1, v17
	v_or_b32_e32 v19, v20, v19
	s_delay_alu instid0(VALU_DEP_2) | instskip(NEXT) | instid1(VALU_DEP_2)
	v_and_b32_e32 v17, 0xffff, v17
	v_lshlrev_b32_e32 v19, 16, v19
	s_delay_alu instid0(VALU_DEP_1) | instskip(SKIP_1) | instid1(SALU_CYCLE_1)
	v_or_b32_e32 v17, v17, v19
	s_and_saveexec_b32 s1, s3
	s_xor_b32 s26, exec_lo, s1
	s_cbranch_execz .LBB1081_253
; %bb.243:
	v_cmp_ne_u32_e32 vcc_lo, 1, v26
	s_mov_b32 s0, 0
	s_cbranch_vccnz .LBB1081_252
; %bb.244:
	v_add_nc_u32_e32 v19, -8, v39
	v_mul_lo_u32 v25, v13, s15
	s_mov_b32 s28, 0
	ds_load_b64 v[23:24], v19
	v_mad_u64_u32 v[19:20], null, v13, s14, s[16:17]
	s_waitcnt lgkmcnt(0)
	v_mul_lo_u32 v26, v23, s15
	v_mul_lo_u32 v24, v24, s14
	v_mad_u64_u32 v[21:22], null, v23, s14, s[16:17]
	v_mul_lo_u32 v23, v14, s14
	s_delay_alu instid0(VALU_DEP_2) | instskip(NEXT) | instid1(VALU_DEP_2)
	v_add3_u32 v22, v24, v22, v26
	v_add3_u32 v20, v23, v20, v25
	s_clause 0x1
	global_load_u8 v23, v[21:22], off
	global_load_u8 v24, v[19:20], off
	s_waitcnt vmcnt(1)
	v_cmp_ne_u16_e32 vcc_lo, 0, v23
	s_waitcnt vmcnt(0)
	v_cmp_ne_u16_e64 s0, 0, v24
	s_delay_alu instid0(VALU_DEP_1) | instskip(SKIP_2) | instid1(SALU_CYCLE_1)
	s_xor_b32 s1, vcc_lo, s0
	s_mov_b32 s0, -1
	s_xor_b32 s1, s1, -1
	s_and_saveexec_b32 s27, s1
	s_cbranch_execz .LBB1081_251
; %bb.245:
	s_mov_b64 s[4:5], 1
                                        ; implicit-def: $sgpr29
	s_set_inst_prefetch_distance 0x1
	s_branch .LBB1081_248
	.p2align	6
.LBB1081_246:                           ;   in Loop: Header=BB1081_248 Depth=1
	v_add_co_u32 v23, vcc_lo, v21, s4
	v_add_co_ci_u32_e32 v24, vcc_lo, s5, v22, vcc_lo
	v_add_co_u32 v25, vcc_lo, v19, s4
	v_add_co_ci_u32_e32 v26, vcc_lo, s5, v20, vcc_lo
	s_clause 0x1
	global_load_u8 v23, v[23:24], off
	global_load_u8 v24, v[25:26], off
	s_waitcnt vmcnt(1)
	v_cmp_ne_u16_e32 vcc_lo, 0, v23
	s_waitcnt vmcnt(0)
	v_cmp_ne_u16_e64 s0, 0, v24
	s_delay_alu instid0(VALU_DEP_1) | instskip(SKIP_4) | instid1(SALU_CYCLE_1)
	s_xor_b32 s30, vcc_lo, s0
	s_add_u32 s0, s4, 1
	s_addc_u32 s1, s5, 0
	s_and_not1_b32 s29, s29, exec_lo
	s_and_b32 s30, s30, exec_lo
	s_or_b32 s29, s29, s30
.LBB1081_247:                           ;   in Loop: Header=BB1081_248 Depth=1
	v_dual_mov_b32 v24, s5 :: v_dual_mov_b32 v23, s4
	s_and_b32 s30, exec_lo, s29
	s_mov_b64 s[4:5], s[0:1]
	s_or_b32 s28, s30, s28
	s_delay_alu instid0(SALU_CYCLE_1)
	s_and_not1_b32 exec_lo, exec_lo, s28
	s_cbranch_execz .LBB1081_250
.LBB1081_248:                           ; =>This Inner Loop Header: Depth=1
	s_or_b32 s29, s29, exec_lo
	s_cmp_eq_u64 s[14:15], s[4:5]
	s_cbranch_scc0 .LBB1081_246
; %bb.249:                              ;   in Loop: Header=BB1081_248 Depth=1
	s_mov_b64 s[4:5], s[14:15]
                                        ; implicit-def: $sgpr0_sgpr1
	s_branch .LBB1081_247
.LBB1081_250:
	s_set_inst_prefetch_distance 0x2
	s_or_b32 exec_lo, exec_lo, s28
	v_cmp_gt_i64_e32 vcc_lo, s[14:15], v[23:24]
	s_or_not1_b32 s0, vcc_lo, exec_lo
.LBB1081_251:
	s_or_b32 exec_lo, exec_lo, s27
.LBB1081_252:
	s_delay_alu instid0(SALU_CYCLE_1)
	s_and_b32 s0, s0, exec_lo
	s_or_b32 s6, s6, exec_lo
.LBB1081_253:
	s_or_b32 exec_lo, exec_lo, s26
	s_branch .LBB1081_329
.LBB1081_254:
	v_or_b32_e32 v17, 7, v39
	s_waitcnt lgkmcnt(1)
	v_mul_lo_u32 v24, v1, s15
	v_mul_lo_u32 v26, v2, s14
	s_xor_b32 s7, s7, -1
	s_mov_b32 s1, -1
	v_cmp_gt_u32_e32 vcc_lo, s12, v17
	s_mov_b32 s26, 0
	s_mov_b32 s27, 0
	s_and_b32 s0, vcc_lo, s7
	s_delay_alu instid0(SALU_CYCLE_1)
	s_and_saveexec_b32 s28, s0
	s_cbranch_execz .LBB1081_263
; %bb.255:
	v_mad_u64_u32 v[17:18], null, v1, s14, s[16:17]
	s_waitcnt vmcnt(0)
	v_mad_u64_u32 v[19:20], null, v3, s14, s[16:17]
	v_mul_lo_u32 v21, v3, s15
	v_mul_lo_u32 v22, v4, s14
	s_mov_b32 s29, 0
	s_delay_alu instid0(VALU_DEP_4) | instskip(NEXT) | instid1(VALU_DEP_2)
	v_add3_u32 v18, v26, v18, v24
	v_add3_u32 v20, v22, v20, v21
	s_clause 0x1
	global_load_u8 v21, v[17:18], off
	global_load_u8 v22, v[19:20], off
	s_waitcnt vmcnt(1)
	v_cmp_ne_u16_e32 vcc_lo, 0, v21
	s_waitcnt vmcnt(0)
	v_cmp_ne_u16_e64 s0, 0, v22
	s_delay_alu instid0(VALU_DEP_1) | instskip(NEXT) | instid1(SALU_CYCLE_1)
	s_xor_b32 s0, vcc_lo, s0
	s_xor_b32 s0, s0, -1
	s_delay_alu instid0(SALU_CYCLE_1)
	s_and_saveexec_b32 s27, s0
	s_cbranch_execz .LBB1081_262
; %bb.256:
	s_mov_b64 s[4:5], 1
                                        ; implicit-def: $sgpr30
	s_set_inst_prefetch_distance 0x1
	s_branch .LBB1081_259
	.p2align	6
.LBB1081_257:                           ;   in Loop: Header=BB1081_259 Depth=1
	v_add_co_u32 v21, vcc_lo, v17, s4
	v_add_co_ci_u32_e32 v22, vcc_lo, s5, v18, vcc_lo
	v_add_co_u32 v27, vcc_lo, v19, s4
	v_add_co_ci_u32_e32 v28, vcc_lo, s5, v20, vcc_lo
	s_clause 0x1
	global_load_u8 v21, v[21:22], off
	global_load_u8 v22, v[27:28], off
	s_waitcnt vmcnt(1)
	v_cmp_ne_u16_e32 vcc_lo, 0, v21
	s_waitcnt vmcnt(0)
	v_cmp_ne_u16_e64 s0, 0, v22
	s_delay_alu instid0(VALU_DEP_1) | instskip(SKIP_4) | instid1(SALU_CYCLE_1)
	s_xor_b32 s31, vcc_lo, s0
	s_add_u32 s0, s4, 1
	s_addc_u32 s1, s5, 0
	s_and_not1_b32 s30, s30, exec_lo
	s_and_b32 s31, s31, exec_lo
	s_or_b32 s30, s30, s31
.LBB1081_258:                           ;   in Loop: Header=BB1081_259 Depth=1
	v_dual_mov_b32 v22, s5 :: v_dual_mov_b32 v21, s4
	s_and_b32 s31, exec_lo, s30
	s_mov_b64 s[4:5], s[0:1]
	s_or_b32 s29, s31, s29
	s_delay_alu instid0(SALU_CYCLE_1)
	s_and_not1_b32 exec_lo, exec_lo, s29
	s_cbranch_execz .LBB1081_261
.LBB1081_259:                           ; =>This Inner Loop Header: Depth=1
	s_or_b32 s30, s30, exec_lo
	s_cmp_eq_u64 s[14:15], s[4:5]
	s_cbranch_scc0 .LBB1081_257
; %bb.260:                              ;   in Loop: Header=BB1081_259 Depth=1
	s_mov_b64 s[4:5], s[14:15]
                                        ; implicit-def: $sgpr0_sgpr1
	s_branch .LBB1081_258
.LBB1081_261:
	s_set_inst_prefetch_distance 0x2
	s_or_b32 exec_lo, exec_lo, s29
	v_cmp_gt_i64_e32 vcc_lo, s[14:15], v[21:22]
	s_or_not1_b32 s1, vcc_lo, exec_lo
.LBB1081_262:
	s_or_b32 exec_lo, exec_lo, s27
	s_delay_alu instid0(SALU_CYCLE_1)
	s_and_b32 s27, s1, exec_lo
.LBB1081_263:
	s_or_b32 exec_lo, exec_lo, s28
	v_or_b32_e32 v17, 6, v39
	v_mul_lo_u32 v23, v7, s15
	v_mul_lo_u32 v25, v8, s14
	s_delay_alu instid0(VALU_DEP_3) | instskip(SKIP_1) | instid1(SALU_CYCLE_1)
	v_cmp_gt_u32_e32 vcc_lo, s12, v17
	s_and_b32 s0, vcc_lo, s7
	s_and_saveexec_b32 s28, s0
	s_cbranch_execz .LBB1081_272
; %bb.264:
	v_mad_u64_u32 v[17:18], null, v7, s14, s[16:17]
	s_waitcnt vmcnt(0)
	v_mad_u64_u32 v[19:20], null, v1, s14, s[16:17]
	s_mov_b32 s29, 0
	s_delay_alu instid0(VALU_DEP_2) | instskip(NEXT) | instid1(VALU_DEP_2)
	v_add3_u32 v18, v25, v18, v23
	v_add3_u32 v20, v26, v20, v24
	s_clause 0x1
	global_load_u8 v21, v[17:18], off
	global_load_u8 v22, v[19:20], off
	s_waitcnt vmcnt(1)
	v_cmp_ne_u16_e32 vcc_lo, 0, v21
	s_waitcnt vmcnt(0)
	v_cmp_ne_u16_e64 s0, 0, v22
	s_delay_alu instid0(VALU_DEP_1) | instskip(SKIP_2) | instid1(SALU_CYCLE_1)
	s_xor_b32 s1, vcc_lo, s0
	s_mov_b32 s0, -1
	s_xor_b32 s1, s1, -1
	s_and_saveexec_b32 s26, s1
	s_cbranch_execz .LBB1081_271
; %bb.265:
	s_mov_b64 s[4:5], 1
                                        ; implicit-def: $sgpr30
	s_set_inst_prefetch_distance 0x1
	s_branch .LBB1081_268
	.p2align	6
.LBB1081_266:                           ;   in Loop: Header=BB1081_268 Depth=1
	v_add_co_u32 v21, vcc_lo, v17, s4
	v_add_co_ci_u32_e32 v22, vcc_lo, s5, v18, vcc_lo
	v_add_co_u32 v26, vcc_lo, v19, s4
	v_add_co_ci_u32_e32 v27, vcc_lo, s5, v20, vcc_lo
	s_clause 0x1
	global_load_u8 v21, v[21:22], off
	global_load_u8 v22, v[26:27], off
	s_waitcnt vmcnt(1)
	v_cmp_ne_u16_e32 vcc_lo, 0, v21
	s_waitcnt vmcnt(0)
	v_cmp_ne_u16_e64 s0, 0, v22
	s_delay_alu instid0(VALU_DEP_1) | instskip(SKIP_4) | instid1(SALU_CYCLE_1)
	s_xor_b32 s31, vcc_lo, s0
	s_add_u32 s0, s4, 1
	s_addc_u32 s1, s5, 0
	s_and_not1_b32 s30, s30, exec_lo
	s_and_b32 s31, s31, exec_lo
	s_or_b32 s30, s30, s31
.LBB1081_267:                           ;   in Loop: Header=BB1081_268 Depth=1
	v_dual_mov_b32 v22, s5 :: v_dual_mov_b32 v21, s4
	s_and_b32 s31, exec_lo, s30
	s_mov_b64 s[4:5], s[0:1]
	s_or_b32 s29, s31, s29
	s_delay_alu instid0(SALU_CYCLE_1)
	s_and_not1_b32 exec_lo, exec_lo, s29
	s_cbranch_execz .LBB1081_270
.LBB1081_268:                           ; =>This Inner Loop Header: Depth=1
	s_or_b32 s30, s30, exec_lo
	s_cmp_eq_u64 s[14:15], s[4:5]
	s_cbranch_scc0 .LBB1081_266
; %bb.269:                              ;   in Loop: Header=BB1081_268 Depth=1
	s_mov_b64 s[4:5], s[14:15]
                                        ; implicit-def: $sgpr0_sgpr1
	s_branch .LBB1081_267
.LBB1081_270:
	s_set_inst_prefetch_distance 0x2
	s_or_b32 exec_lo, exec_lo, s29
	v_cmp_gt_i64_e32 vcc_lo, s[14:15], v[21:22]
	s_or_not1_b32 s0, vcc_lo, exec_lo
.LBB1081_271:
	s_or_b32 exec_lo, exec_lo, s26
	s_delay_alu instid0(SALU_CYCLE_1)
	s_and_b32 s26, s0, exec_lo
.LBB1081_272:
	s_or_b32 exec_lo, exec_lo, s28
	v_or_b32_e32 v17, 5, v39
	v_mul_lo_u32 v26, v5, s15
	v_mul_lo_u32 v27, v6, s14
	s_mov_b32 s1, -1
	s_mov_b32 s28, 0
	v_cmp_gt_u32_e32 vcc_lo, s12, v17
	s_mov_b32 s29, 0
	s_and_b32 s0, vcc_lo, s7
	s_delay_alu instid0(SALU_CYCLE_1)
	s_and_saveexec_b32 s30, s0
	s_cbranch_execz .LBB1081_281
; %bb.273:
	v_mad_u64_u32 v[17:18], null, v5, s14, s[16:17]
	s_waitcnt vmcnt(0)
	v_mad_u64_u32 v[19:20], null, v7, s14, s[16:17]
	s_mov_b32 s31, 0
	s_delay_alu instid0(VALU_DEP_2) | instskip(NEXT) | instid1(VALU_DEP_2)
	v_add3_u32 v18, v27, v18, v26
	v_add3_u32 v20, v25, v20, v23
	s_clause 0x1
	global_load_u8 v21, v[17:18], off
	global_load_u8 v22, v[19:20], off
	s_waitcnt vmcnt(1)
	v_cmp_ne_u16_e32 vcc_lo, 0, v21
	s_waitcnt vmcnt(0)
	v_cmp_ne_u16_e64 s0, 0, v22
	s_delay_alu instid0(VALU_DEP_1) | instskip(NEXT) | instid1(SALU_CYCLE_1)
	s_xor_b32 s0, vcc_lo, s0
	s_xor_b32 s0, s0, -1
	s_delay_alu instid0(SALU_CYCLE_1)
	s_and_saveexec_b32 s29, s0
	s_cbranch_execz .LBB1081_280
; %bb.274:
	s_mov_b64 s[4:5], 1
                                        ; implicit-def: $sgpr33
	s_set_inst_prefetch_distance 0x1
	s_branch .LBB1081_277
	.p2align	6
.LBB1081_275:                           ;   in Loop: Header=BB1081_277 Depth=1
	v_add_co_u32 v21, vcc_lo, v17, s4
	v_add_co_ci_u32_e32 v22, vcc_lo, s5, v18, vcc_lo
	v_add_co_u32 v23, vcc_lo, v19, s4
	v_add_co_ci_u32_e32 v24, vcc_lo, s5, v20, vcc_lo
	s_clause 0x1
	global_load_u8 v21, v[21:22], off
	global_load_u8 v22, v[23:24], off
	s_waitcnt vmcnt(1)
	v_cmp_ne_u16_e32 vcc_lo, 0, v21
	s_waitcnt vmcnt(0)
	v_cmp_ne_u16_e64 s0, 0, v22
	s_delay_alu instid0(VALU_DEP_1) | instskip(SKIP_4) | instid1(SALU_CYCLE_1)
	s_xor_b32 s34, vcc_lo, s0
	s_add_u32 s0, s4, 1
	s_addc_u32 s1, s5, 0
	s_and_not1_b32 s33, s33, exec_lo
	s_and_b32 s34, s34, exec_lo
	s_or_b32 s33, s33, s34
.LBB1081_276:                           ;   in Loop: Header=BB1081_277 Depth=1
	v_dual_mov_b32 v22, s5 :: v_dual_mov_b32 v21, s4
	s_and_b32 s34, exec_lo, s33
	s_mov_b64 s[4:5], s[0:1]
	s_or_b32 s31, s34, s31
	s_delay_alu instid0(SALU_CYCLE_1)
	s_and_not1_b32 exec_lo, exec_lo, s31
	s_cbranch_execz .LBB1081_279
.LBB1081_277:                           ; =>This Inner Loop Header: Depth=1
	s_or_b32 s33, s33, exec_lo
	s_cmp_eq_u64 s[14:15], s[4:5]
	s_cbranch_scc0 .LBB1081_275
; %bb.278:                              ;   in Loop: Header=BB1081_277 Depth=1
	s_mov_b64 s[4:5], s[14:15]
                                        ; implicit-def: $sgpr0_sgpr1
	s_branch .LBB1081_276
.LBB1081_279:
	s_set_inst_prefetch_distance 0x2
	s_or_b32 exec_lo, exec_lo, s31
	v_cmp_gt_i64_e32 vcc_lo, s[14:15], v[21:22]
	s_or_not1_b32 s1, vcc_lo, exec_lo
.LBB1081_280:
	s_or_b32 exec_lo, exec_lo, s29
	s_delay_alu instid0(SALU_CYCLE_1)
	s_and_b32 s29, s1, exec_lo
.LBB1081_281:
	s_or_b32 exec_lo, exec_lo, s30
	v_or_b32_e32 v17, 4, v39
	v_mul_lo_u32 v23, v11, s15
	v_mul_lo_u32 v24, v12, s14
	s_delay_alu instid0(VALU_DEP_3) | instskip(SKIP_1) | instid1(SALU_CYCLE_1)
	v_cmp_gt_u32_e32 vcc_lo, s12, v17
	s_and_b32 s0, vcc_lo, s7
	s_and_saveexec_b32 s30, s0
	s_cbranch_execz .LBB1081_290
; %bb.282:
	v_mad_u64_u32 v[17:18], null, v11, s14, s[16:17]
	s_waitcnt vmcnt(0)
	v_mad_u64_u32 v[19:20], null, v5, s14, s[16:17]
	s_mov_b32 s31, 0
	s_delay_alu instid0(VALU_DEP_2) | instskip(NEXT) | instid1(VALU_DEP_2)
	v_add3_u32 v18, v24, v18, v23
	v_add3_u32 v20, v27, v20, v26
	s_clause 0x1
	global_load_u8 v21, v[17:18], off
	global_load_u8 v22, v[19:20], off
	s_waitcnt vmcnt(1)
	v_cmp_ne_u16_e32 vcc_lo, 0, v21
	s_waitcnt vmcnt(0)
	v_cmp_ne_u16_e64 s0, 0, v22
	s_delay_alu instid0(VALU_DEP_1) | instskip(SKIP_2) | instid1(SALU_CYCLE_1)
	s_xor_b32 s1, vcc_lo, s0
	s_mov_b32 s0, -1
	s_xor_b32 s1, s1, -1
	s_and_saveexec_b32 s28, s1
	s_cbranch_execz .LBB1081_289
; %bb.283:
	s_mov_b64 s[4:5], 1
                                        ; implicit-def: $sgpr33
	s_set_inst_prefetch_distance 0x1
	s_branch .LBB1081_286
	.p2align	6
.LBB1081_284:                           ;   in Loop: Header=BB1081_286 Depth=1
	v_add_co_u32 v21, vcc_lo, v17, s4
	v_add_co_ci_u32_e32 v22, vcc_lo, s5, v18, vcc_lo
	v_add_co_u32 v25, vcc_lo, v19, s4
	v_add_co_ci_u32_e32 v26, vcc_lo, s5, v20, vcc_lo
	s_clause 0x1
	global_load_u8 v21, v[21:22], off
	global_load_u8 v22, v[25:26], off
	s_waitcnt vmcnt(1)
	v_cmp_ne_u16_e32 vcc_lo, 0, v21
	s_waitcnt vmcnt(0)
	v_cmp_ne_u16_e64 s0, 0, v22
	s_delay_alu instid0(VALU_DEP_1) | instskip(SKIP_4) | instid1(SALU_CYCLE_1)
	s_xor_b32 s34, vcc_lo, s0
	s_add_u32 s0, s4, 1
	s_addc_u32 s1, s5, 0
	s_and_not1_b32 s33, s33, exec_lo
	s_and_b32 s34, s34, exec_lo
	s_or_b32 s33, s33, s34
.LBB1081_285:                           ;   in Loop: Header=BB1081_286 Depth=1
	v_dual_mov_b32 v22, s5 :: v_dual_mov_b32 v21, s4
	s_and_b32 s34, exec_lo, s33
	s_mov_b64 s[4:5], s[0:1]
	s_or_b32 s31, s34, s31
	s_delay_alu instid0(SALU_CYCLE_1)
	s_and_not1_b32 exec_lo, exec_lo, s31
	s_cbranch_execz .LBB1081_288
.LBB1081_286:                           ; =>This Inner Loop Header: Depth=1
	s_or_b32 s33, s33, exec_lo
	s_cmp_eq_u64 s[14:15], s[4:5]
	s_cbranch_scc0 .LBB1081_284
; %bb.287:                              ;   in Loop: Header=BB1081_286 Depth=1
	s_mov_b64 s[4:5], s[14:15]
                                        ; implicit-def: $sgpr0_sgpr1
	s_branch .LBB1081_285
.LBB1081_288:
	s_set_inst_prefetch_distance 0x2
	s_or_b32 exec_lo, exec_lo, s31
	v_cmp_gt_i64_e32 vcc_lo, s[14:15], v[21:22]
	s_or_not1_b32 s0, vcc_lo, exec_lo
.LBB1081_289:
	s_or_b32 exec_lo, exec_lo, s28
	s_delay_alu instid0(SALU_CYCLE_1)
	s_and_b32 s28, s0, exec_lo
.LBB1081_290:
	s_or_b32 exec_lo, exec_lo, s30
	v_or_b32_e32 v17, 3, v39
	v_mul_lo_u32 v25, v9, s15
	v_mul_lo_u32 v26, v10, s14
	s_mov_b32 s1, -1
	s_mov_b32 s31, 0
	v_cmp_gt_u32_e32 vcc_lo, s12, v17
	s_mov_b32 s30, 0
	s_and_b32 s0, vcc_lo, s7
	s_delay_alu instid0(SALU_CYCLE_1)
	s_and_saveexec_b32 s33, s0
	s_cbranch_execz .LBB1081_299
; %bb.291:
	v_mad_u64_u32 v[17:18], null, v9, s14, s[16:17]
	s_waitcnt vmcnt(0)
	v_mad_u64_u32 v[19:20], null, v11, s14, s[16:17]
	s_mov_b32 s34, 0
	s_delay_alu instid0(VALU_DEP_2) | instskip(NEXT) | instid1(VALU_DEP_2)
	v_add3_u32 v18, v26, v18, v25
	v_add3_u32 v20, v24, v20, v23
	s_clause 0x1
	global_load_u8 v21, v[17:18], off
	global_load_u8 v22, v[19:20], off
	s_waitcnt vmcnt(1)
	v_cmp_ne_u16_e32 vcc_lo, 0, v21
	s_waitcnt vmcnt(0)
	v_cmp_ne_u16_e64 s0, 0, v22
	s_delay_alu instid0(VALU_DEP_1) | instskip(NEXT) | instid1(SALU_CYCLE_1)
	s_xor_b32 s0, vcc_lo, s0
	s_xor_b32 s0, s0, -1
	s_delay_alu instid0(SALU_CYCLE_1)
	s_and_saveexec_b32 s30, s0
	s_cbranch_execz .LBB1081_298
; %bb.292:
	s_mov_b64 s[4:5], 1
                                        ; implicit-def: $sgpr35
	s_set_inst_prefetch_distance 0x1
	s_branch .LBB1081_295
	.p2align	6
.LBB1081_293:                           ;   in Loop: Header=BB1081_295 Depth=1
	v_add_co_u32 v21, vcc_lo, v17, s4
	v_add_co_ci_u32_e32 v22, vcc_lo, s5, v18, vcc_lo
	v_add_co_u32 v23, vcc_lo, v19, s4
	v_add_co_ci_u32_e32 v24, vcc_lo, s5, v20, vcc_lo
	s_clause 0x1
	global_load_u8 v21, v[21:22], off
	global_load_u8 v22, v[23:24], off
	s_waitcnt vmcnt(1)
	v_cmp_ne_u16_e32 vcc_lo, 0, v21
	s_waitcnt vmcnt(0)
	v_cmp_ne_u16_e64 s0, 0, v22
	s_delay_alu instid0(VALU_DEP_1) | instskip(SKIP_4) | instid1(SALU_CYCLE_1)
	s_xor_b32 s36, vcc_lo, s0
	s_add_u32 s0, s4, 1
	s_addc_u32 s1, s5, 0
	s_and_not1_b32 s35, s35, exec_lo
	s_and_b32 s36, s36, exec_lo
	s_or_b32 s35, s35, s36
.LBB1081_294:                           ;   in Loop: Header=BB1081_295 Depth=1
	v_dual_mov_b32 v22, s5 :: v_dual_mov_b32 v21, s4
	s_and_b32 s36, exec_lo, s35
	s_mov_b64 s[4:5], s[0:1]
	s_or_b32 s34, s36, s34
	s_delay_alu instid0(SALU_CYCLE_1)
	s_and_not1_b32 exec_lo, exec_lo, s34
	s_cbranch_execz .LBB1081_297
.LBB1081_295:                           ; =>This Inner Loop Header: Depth=1
	s_or_b32 s35, s35, exec_lo
	s_cmp_eq_u64 s[14:15], s[4:5]
	s_cbranch_scc0 .LBB1081_293
; %bb.296:                              ;   in Loop: Header=BB1081_295 Depth=1
	s_mov_b64 s[4:5], s[14:15]
                                        ; implicit-def: $sgpr0_sgpr1
	s_branch .LBB1081_294
.LBB1081_297:
	s_set_inst_prefetch_distance 0x2
	s_or_b32 exec_lo, exec_lo, s34
	v_cmp_gt_i64_e32 vcc_lo, s[14:15], v[21:22]
	s_or_not1_b32 s1, vcc_lo, exec_lo
.LBB1081_298:
	s_or_b32 exec_lo, exec_lo, s30
	s_delay_alu instid0(SALU_CYCLE_1)
	s_and_b32 s30, s1, exec_lo
.LBB1081_299:
	s_or_b32 exec_lo, exec_lo, s33
	v_or_b32_e32 v17, 2, v39
	v_mul_lo_u32 v23, v15, s15
	v_mul_lo_u32 v24, v16, s14
	s_delay_alu instid0(VALU_DEP_3) | instskip(SKIP_1) | instid1(SALU_CYCLE_1)
	v_cmp_gt_u32_e32 vcc_lo, s12, v17
	s_and_b32 s0, vcc_lo, s7
	s_and_saveexec_b32 s33, s0
	s_cbranch_execz .LBB1081_308
; %bb.300:
	v_mad_u64_u32 v[17:18], null, v15, s14, s[16:17]
	s_waitcnt vmcnt(0)
	v_mad_u64_u32 v[19:20], null, v9, s14, s[16:17]
	s_mov_b32 s34, 0
	s_delay_alu instid0(VALU_DEP_2) | instskip(NEXT) | instid1(VALU_DEP_2)
	v_add3_u32 v18, v24, v18, v23
	v_add3_u32 v20, v26, v20, v25
	s_clause 0x1
	global_load_u8 v21, v[17:18], off
	global_load_u8 v22, v[19:20], off
	s_waitcnt vmcnt(1)
	v_cmp_ne_u16_e32 vcc_lo, 0, v21
	s_waitcnt vmcnt(0)
	v_cmp_ne_u16_e64 s0, 0, v22
	s_delay_alu instid0(VALU_DEP_1) | instskip(SKIP_2) | instid1(SALU_CYCLE_1)
	s_xor_b32 s1, vcc_lo, s0
	s_mov_b32 s0, -1
	s_xor_b32 s1, s1, -1
	s_and_saveexec_b32 s31, s1
	s_cbranch_execz .LBB1081_307
; %bb.301:
	s_mov_b64 s[4:5], 1
                                        ; implicit-def: $sgpr35
	s_set_inst_prefetch_distance 0x1
	s_branch .LBB1081_304
	.p2align	6
.LBB1081_302:                           ;   in Loop: Header=BB1081_304 Depth=1
	v_add_co_u32 v21, vcc_lo, v17, s4
	v_add_co_ci_u32_e32 v22, vcc_lo, s5, v18, vcc_lo
	v_add_co_u32 v25, vcc_lo, v19, s4
	v_add_co_ci_u32_e32 v26, vcc_lo, s5, v20, vcc_lo
	s_clause 0x1
	global_load_u8 v21, v[21:22], off
	global_load_u8 v22, v[25:26], off
	s_waitcnt vmcnt(1)
	v_cmp_ne_u16_e32 vcc_lo, 0, v21
	s_waitcnt vmcnt(0)
	v_cmp_ne_u16_e64 s0, 0, v22
	s_delay_alu instid0(VALU_DEP_1) | instskip(SKIP_4) | instid1(SALU_CYCLE_1)
	s_xor_b32 s36, vcc_lo, s0
	s_add_u32 s0, s4, 1
	s_addc_u32 s1, s5, 0
	s_and_not1_b32 s35, s35, exec_lo
	s_and_b32 s36, s36, exec_lo
	s_or_b32 s35, s35, s36
.LBB1081_303:                           ;   in Loop: Header=BB1081_304 Depth=1
	v_dual_mov_b32 v22, s5 :: v_dual_mov_b32 v21, s4
	s_and_b32 s36, exec_lo, s35
	s_mov_b64 s[4:5], s[0:1]
	s_or_b32 s34, s36, s34
	s_delay_alu instid0(SALU_CYCLE_1)
	s_and_not1_b32 exec_lo, exec_lo, s34
	s_cbranch_execz .LBB1081_306
.LBB1081_304:                           ; =>This Inner Loop Header: Depth=1
	s_or_b32 s35, s35, exec_lo
	s_cmp_eq_u64 s[14:15], s[4:5]
	s_cbranch_scc0 .LBB1081_302
; %bb.305:                              ;   in Loop: Header=BB1081_304 Depth=1
	s_mov_b64 s[4:5], s[14:15]
                                        ; implicit-def: $sgpr0_sgpr1
	s_branch .LBB1081_303
.LBB1081_306:
	s_set_inst_prefetch_distance 0x2
	s_or_b32 exec_lo, exec_lo, s34
	v_cmp_gt_i64_e32 vcc_lo, s[14:15], v[21:22]
	s_or_not1_b32 s0, vcc_lo, exec_lo
.LBB1081_307:
	s_or_b32 exec_lo, exec_lo, s31
	s_delay_alu instid0(SALU_CYCLE_1)
	s_and_b32 s31, s0, exec_lo
.LBB1081_308:
	s_or_b32 exec_lo, exec_lo, s33
	v_or_b32_e32 v17, 1, v39
	s_mov_b32 s1, -1
	s_mov_b32 s0, 0
	s_delay_alu instid0(VALU_DEP_1) | instskip(SKIP_1) | instid1(SALU_CYCLE_1)
	v_cmp_gt_u32_e32 vcc_lo, s12, v17
	s_and_b32 s4, vcc_lo, s7
	s_and_saveexec_b32 s33, s4
	s_cbranch_execz .LBB1081_317
; %bb.309:
	v_mad_u64_u32 v[17:18], null, v13, s14, s[16:17]
	v_mul_lo_u32 v21, v13, s15
	v_mul_lo_u32 v22, v14, s14
	s_waitcnt vmcnt(0)
	v_mad_u64_u32 v[19:20], null, v15, s14, s[16:17]
	s_mov_b32 s35, 0
	s_delay_alu instid0(VALU_DEP_2) | instskip(NEXT) | instid1(VALU_DEP_2)
	v_add3_u32 v18, v22, v18, v21
	v_add3_u32 v20, v24, v20, v23
	s_clause 0x1
	global_load_u8 v21, v[17:18], off
	global_load_u8 v22, v[19:20], off
	s_waitcnt vmcnt(1)
	v_cmp_ne_u16_e32 vcc_lo, 0, v21
	s_waitcnt vmcnt(0)
	v_cmp_ne_u16_e64 s0, 0, v22
	s_delay_alu instid0(VALU_DEP_1) | instskip(NEXT) | instid1(SALU_CYCLE_1)
	s_xor_b32 s0, vcc_lo, s0
	s_xor_b32 s0, s0, -1
	s_delay_alu instid0(SALU_CYCLE_1)
	s_and_saveexec_b32 s34, s0
	s_cbranch_execz .LBB1081_316
; %bb.310:
	s_mov_b64 s[4:5], 1
                                        ; implicit-def: $sgpr36
	s_set_inst_prefetch_distance 0x1
	s_branch .LBB1081_313
	.p2align	6
.LBB1081_311:                           ;   in Loop: Header=BB1081_313 Depth=1
	v_add_co_u32 v21, vcc_lo, v17, s4
	v_add_co_ci_u32_e32 v22, vcc_lo, s5, v18, vcc_lo
	v_add_co_u32 v23, vcc_lo, v19, s4
	v_add_co_ci_u32_e32 v24, vcc_lo, s5, v20, vcc_lo
	s_clause 0x1
	global_load_u8 v21, v[21:22], off
	global_load_u8 v22, v[23:24], off
	s_waitcnt vmcnt(1)
	v_cmp_ne_u16_e32 vcc_lo, 0, v21
	s_waitcnt vmcnt(0)
	v_cmp_ne_u16_e64 s0, 0, v22
	s_delay_alu instid0(VALU_DEP_1) | instskip(SKIP_4) | instid1(SALU_CYCLE_1)
	s_xor_b32 s37, vcc_lo, s0
	s_add_u32 s0, s4, 1
	s_addc_u32 s1, s5, 0
	s_and_not1_b32 s36, s36, exec_lo
	s_and_b32 s37, s37, exec_lo
	s_or_b32 s36, s36, s37
.LBB1081_312:                           ;   in Loop: Header=BB1081_313 Depth=1
	v_dual_mov_b32 v22, s5 :: v_dual_mov_b32 v21, s4
	s_and_b32 s37, exec_lo, s36
	s_mov_b64 s[4:5], s[0:1]
	s_or_b32 s35, s37, s35
	s_delay_alu instid0(SALU_CYCLE_1)
	s_and_not1_b32 exec_lo, exec_lo, s35
	s_cbranch_execz .LBB1081_315
.LBB1081_313:                           ; =>This Inner Loop Header: Depth=1
	s_or_b32 s36, s36, exec_lo
	s_cmp_eq_u64 s[14:15], s[4:5]
	s_cbranch_scc0 .LBB1081_311
; %bb.314:                              ;   in Loop: Header=BB1081_313 Depth=1
	s_mov_b64 s[4:5], s[14:15]
                                        ; implicit-def: $sgpr0_sgpr1
	s_branch .LBB1081_312
.LBB1081_315:
	s_set_inst_prefetch_distance 0x2
	s_or_b32 exec_lo, exec_lo, s35
	v_cmp_gt_i64_e32 vcc_lo, s[14:15], v[21:22]
	s_or_not1_b32 s1, vcc_lo, exec_lo
.LBB1081_316:
	s_or_b32 exec_lo, exec_lo, s34
	s_delay_alu instid0(SALU_CYCLE_1)
	s_and_b32 s0, s1, exec_lo
.LBB1081_317:
	s_or_b32 exec_lo, exec_lo, s33
	v_cndmask_b32_e64 v18, 0, 1, s30
	s_waitcnt vmcnt(0)
	v_cndmask_b32_e64 v19, 0, 1, s29
	v_cndmask_b32_e64 v20, 0, 1, s27
	;; [unrolled: 1-line block ×6, first 2 shown]
	v_lshlrev_b16 v19, 8, v19
	v_lshlrev_b16 v20, 8, v20
	;; [unrolled: 1-line block ×4, first 2 shown]
	s_waitcnt lgkmcnt(0)
	v_or_b32_e32 v19, v22, v19
	v_or_b32_e32 v20, v23, v20
	;; [unrolled: 1-line block ×4, first 2 shown]
	s_barrier
	v_and_b32_e32 v18, 0xffff, v19
	v_lshlrev_b32_e32 v19, 16, v20
	v_and_b32_e32 v20, 0xffff, v21
	v_lshlrev_b32_e32 v17, 16, v17
	buffer_gl0_inv
                                        ; implicit-def: $sgpr0
	v_or_b32_e32 v18, v18, v19
	v_or_b32_e32 v17, v20, v17
	s_and_saveexec_b32 s26, s3
	s_cbranch_execz .LBB1081_328
; %bb.318:
	v_cmp_gt_u32_e32 vcc_lo, s12, v39
	s_mov_b32 s1, -1
	s_mov_b32 s0, 0
	s_and_b32 s4, vcc_lo, s7
	s_delay_alu instid0(SALU_CYCLE_1)
	s_and_saveexec_b32 s3, s4
	s_cbranch_execz .LBB1081_327
; %bb.319:
	v_add_nc_u32_e32 v19, -8, v39
	v_mul_lo_u32 v25, v13, s15
	ds_load_b64 v[23:24], v19
	v_mad_u64_u32 v[19:20], null, v13, s14, s[16:17]
	s_waitcnt lgkmcnt(0)
	v_mul_lo_u32 v26, v23, s15
	v_mul_lo_u32 v24, v24, s14
	v_mad_u64_u32 v[21:22], null, v23, s14, s[16:17]
	v_mul_lo_u32 v23, v14, s14
	s_mov_b32 s16, 0
	s_delay_alu instid0(VALU_DEP_2) | instskip(NEXT) | instid1(VALU_DEP_2)
	v_add3_u32 v22, v24, v22, v26
	v_add3_u32 v20, v23, v20, v25
	s_clause 0x1
	global_load_u8 v23, v[21:22], off
	global_load_u8 v24, v[19:20], off
	s_waitcnt vmcnt(1)
	v_cmp_ne_u16_e32 vcc_lo, 0, v23
	s_waitcnt vmcnt(0)
	v_cmp_ne_u16_e64 s0, 0, v24
	s_delay_alu instid0(VALU_DEP_1) | instskip(NEXT) | instid1(SALU_CYCLE_1)
	s_xor_b32 s0, vcc_lo, s0
	s_xor_b32 s0, s0, -1
	s_delay_alu instid0(SALU_CYCLE_1)
	s_and_saveexec_b32 s7, s0
	s_cbranch_execz .LBB1081_326
; %bb.320:
	s_mov_b64 s[4:5], 1
                                        ; implicit-def: $sgpr17
	s_set_inst_prefetch_distance 0x1
	s_branch .LBB1081_323
	.p2align	6
.LBB1081_321:                           ;   in Loop: Header=BB1081_323 Depth=1
	v_add_co_u32 v23, vcc_lo, v21, s4
	v_add_co_ci_u32_e32 v24, vcc_lo, s5, v22, vcc_lo
	v_add_co_u32 v25, vcc_lo, v19, s4
	v_add_co_ci_u32_e32 v26, vcc_lo, s5, v20, vcc_lo
	s_clause 0x1
	global_load_u8 v23, v[23:24], off
	global_load_u8 v24, v[25:26], off
	s_waitcnt vmcnt(1)
	v_cmp_ne_u16_e32 vcc_lo, 0, v23
	s_waitcnt vmcnt(0)
	v_cmp_ne_u16_e64 s0, 0, v24
	s_delay_alu instid0(VALU_DEP_1) | instskip(SKIP_4) | instid1(SALU_CYCLE_1)
	s_xor_b32 s27, vcc_lo, s0
	s_add_u32 s0, s4, 1
	s_addc_u32 s1, s5, 0
	s_and_not1_b32 s17, s17, exec_lo
	s_and_b32 s27, s27, exec_lo
	s_or_b32 s17, s17, s27
.LBB1081_322:                           ;   in Loop: Header=BB1081_323 Depth=1
	v_dual_mov_b32 v24, s5 :: v_dual_mov_b32 v23, s4
	s_and_b32 s27, exec_lo, s17
	s_mov_b64 s[4:5], s[0:1]
	s_or_b32 s16, s27, s16
	s_delay_alu instid0(SALU_CYCLE_1)
	s_and_not1_b32 exec_lo, exec_lo, s16
	s_cbranch_execz .LBB1081_325
.LBB1081_323:                           ; =>This Inner Loop Header: Depth=1
	s_or_b32 s17, s17, exec_lo
	s_cmp_eq_u64 s[14:15], s[4:5]
	s_cbranch_scc0 .LBB1081_321
; %bb.324:                              ;   in Loop: Header=BB1081_323 Depth=1
	s_mov_b64 s[4:5], s[14:15]
                                        ; implicit-def: $sgpr0_sgpr1
	s_branch .LBB1081_322
.LBB1081_325:
	s_set_inst_prefetch_distance 0x2
	s_or_b32 exec_lo, exec_lo, s16
	v_cmp_gt_i64_e32 vcc_lo, s[14:15], v[23:24]
	s_or_not1_b32 s1, vcc_lo, exec_lo
.LBB1081_326:
	s_or_b32 exec_lo, exec_lo, s7
	s_delay_alu instid0(SALU_CYCLE_1)
	s_and_b32 s0, s1, exec_lo
.LBB1081_327:
	s_or_b32 exec_lo, exec_lo, s3
	s_delay_alu instid0(SALU_CYCLE_1)
	s_and_b32 s0, s0, exec_lo
	s_or_b32 s6, s6, exec_lo
.LBB1081_328:
	s_or_b32 exec_lo, exec_lo, s26
.LBB1081_329:
	s_and_saveexec_b32 s1, s6
	s_cbranch_execz .LBB1081_331
; %bb.330:
	s_waitcnt vmcnt(0) lgkmcnt(0)
	v_and_b32_e32 v19, 0xffffff00, v17
	v_cndmask_b32_e64 v20, 0, 1, s0
	s_delay_alu instid0(VALU_DEP_1) | instskip(NEXT) | instid1(VALU_DEP_1)
	v_or_b32_e32 v19, v20, v19
	v_and_b32_e32 v19, 0xffff, v19
	s_delay_alu instid0(VALU_DEP_1)
	v_and_or_b32 v17, 0xffff0000, v17, v19
.LBB1081_331:
	s_or_b32 exec_lo, exec_lo, s1
	s_delay_alu instid0(SALU_CYCLE_1)
	s_and_not1_b32 vcc_lo, exec_lo, s24
	s_cbranch_vccnz .LBB1081_333
; %bb.332:
	v_cmp_gt_u32_e32 vcc_lo, s12, v39
	s_waitcnt vmcnt(0) lgkmcnt(0)
	v_or_b32_e32 v20, 1, v39
	v_and_b32_e32 v21, 0xffffff00, v18
	v_or_b32_e32 v22, 2, v39
	v_cndmask_b32_e32 v19, 0, v17, vcc_lo
	s_delay_alu instid0(VALU_DEP_4) | instskip(SKIP_1) | instid1(VALU_DEP_4)
	v_cmp_gt_u32_e32 vcc_lo, s12, v20
	v_or_b32_e32 v20, 4, v39
	v_cmp_gt_u32_e64 s0, s12, v22
	v_or_b32_e32 v22, 3, v39
	v_and_b32_e32 v19, 0xff, v19
	s_delay_alu instid0(VALU_DEP_2) | instskip(NEXT) | instid1(VALU_DEP_2)
	v_cmp_gt_u32_e64 s1, s12, v22
	v_cndmask_b32_e32 v19, v19, v17, vcc_lo
	v_cmp_gt_u32_e32 vcc_lo, s12, v20
	v_cndmask_b32_e32 v20, v21, v18, vcc_lo
	v_or_b32_e32 v21, 5, v39
	s_delay_alu instid0(VALU_DEP_2) | instskip(SKIP_1) | instid1(VALU_DEP_1)
	v_and_b32_e32 v20, 0xffff00ff, v20
	v_and_b32_e32 v19, 0xffff, v19
	v_cndmask_b32_e64 v19, v19, v17, s0
	s_delay_alu instid0(VALU_DEP_4) | instskip(SKIP_1) | instid1(VALU_DEP_3)
	v_cmp_gt_u32_e64 s0, s12, v21
	v_or_b32_e32 v21, 6, v39
	v_and_b32_e32 v19, 0xffffff, v19
	s_delay_alu instid0(VALU_DEP_3) | instskip(NEXT) | instid1(VALU_DEP_2)
	v_cndmask_b32_e64 v20, v20, v18, s0
	v_cndmask_b32_e64 v19, v19, v17, s1
	s_delay_alu instid0(VALU_DEP_1) | instskip(SKIP_2) | instid1(VALU_DEP_3)
	v_dual_cndmask_b32 v19, v19, v17 :: v_dual_and_b32 v20, 0xff00ffff, v20
	v_cmp_gt_u32_e32 vcc_lo, s12, v21
	v_or_b32_e32 v21, 7, v39
	v_cndmask_b32_e64 v19, v19, v17, s0
	s_delay_alu instid0(VALU_DEP_1) | instskip(NEXT) | instid1(VALU_DEP_1)
	v_dual_cndmask_b32 v20, v20, v18 :: v_dual_cndmask_b32 v19, v19, v17
	v_and_b32_e32 v20, 0xffffff, v20
	s_delay_alu instid0(VALU_DEP_4) | instskip(NEXT) | instid1(VALU_DEP_2)
	v_cmp_gt_u32_e32 vcc_lo, s12, v21
	v_dual_cndmask_b32 v18, v20, v18 :: v_dual_cndmask_b32 v17, v19, v17
.LBB1081_333:
	s_delay_alu instid0(VALU_DEP_1) | instskip(SKIP_1) | instid1(VALU_DEP_2)
	v_and_b32_e32 v26, 0xff, v17
	s_waitcnt vmcnt(0) lgkmcnt(0)
	v_alignbit_b32 v19, v18, v17, 24
	v_bfe_u32 v28, v17, 8, 8
	v_bfe_u32 v30, v17, 16, 8
	v_and_b32_e32 v34, 0xff, v18
	v_bfe_u32 v36, v18, 8, 8
	v_and_b32_e32 v32, 0xff, v19
	v_add_nc_u32_e32 v19, v28, v26
	v_mbcnt_lo_u32_b32 v41, -1, 0
	v_bfe_u32 v38, v18, 16, 8
	v_lshrrev_b32_e32 v40, 24, v18
	v_lshrrev_b32_e32 v42, 5, v0
	v_add3_u32 v19, v19, v30, v32
	v_and_b32_e32 v20, 15, v41
	v_and_b32_e32 v21, 16, v41
	s_and_b32 vcc_lo, exec_lo, s25
	s_mov_b32 s7, -1
	v_add3_u32 v19, v19, v34, v36
	v_cmp_eq_u32_e64 s3, 0, v20
	v_cmp_lt_u32_e64 s0, 1, v20
	v_cmp_lt_u32_e64 s4, 3, v20
	;; [unrolled: 1-line block ×3, first 2 shown]
	v_add3_u32 v43, v19, v38, v40
	v_or_b32_e32 v19, 31, v0
	v_cmp_eq_u32_e64 s6, 0, v21
	s_barrier
	buffer_gl0_inv
	v_cmp_eq_u32_e64 s5, v19, v0
	s_cbranch_vccz .LBB1081_359
; %bb.334:
	v_mov_b32_dpp v19, v43 row_shr:1 row_mask:0xf bank_mask:0xf
	s_delay_alu instid0(VALU_DEP_1) | instskip(NEXT) | instid1(VALU_DEP_1)
	v_cndmask_b32_e64 v19, v19, 0, s3
	v_add_nc_u32_e32 v19, v19, v43
	s_delay_alu instid0(VALU_DEP_1) | instskip(NEXT) | instid1(VALU_DEP_1)
	v_mov_b32_dpp v20, v19 row_shr:2 row_mask:0xf bank_mask:0xf
	v_cndmask_b32_e64 v20, 0, v20, s0
	s_delay_alu instid0(VALU_DEP_1) | instskip(NEXT) | instid1(VALU_DEP_1)
	v_add_nc_u32_e32 v19, v19, v20
	v_mov_b32_dpp v20, v19 row_shr:4 row_mask:0xf bank_mask:0xf
	s_delay_alu instid0(VALU_DEP_1) | instskip(NEXT) | instid1(VALU_DEP_1)
	v_cndmask_b32_e64 v20, 0, v20, s4
	v_add_nc_u32_e32 v19, v19, v20
	s_delay_alu instid0(VALU_DEP_1) | instskip(NEXT) | instid1(VALU_DEP_1)
	v_mov_b32_dpp v20, v19 row_shr:8 row_mask:0xf bank_mask:0xf
	v_cndmask_b32_e64 v20, 0, v20, s1
	s_delay_alu instid0(VALU_DEP_1) | instskip(SKIP_3) | instid1(VALU_DEP_1)
	v_add_nc_u32_e32 v19, v19, v20
	ds_swizzle_b32 v20, v19 offset:swizzle(BROADCAST,32,15)
	s_waitcnt lgkmcnt(0)
	v_cndmask_b32_e64 v20, v20, 0, s6
	v_add_nc_u32_e32 v19, v19, v20
	s_and_saveexec_b32 s7, s5
	s_cbranch_execz .LBB1081_336
; %bb.335:
	v_lshlrev_b32_e32 v20, 2, v42
	ds_store_b32 v20, v19
.LBB1081_336:
	s_or_b32 exec_lo, exec_lo, s7
	s_delay_alu instid0(SALU_CYCLE_1)
	s_mov_b32 s7, exec_lo
	s_waitcnt lgkmcnt(0)
	s_barrier
	buffer_gl0_inv
	v_cmpx_gt_u32_e32 16, v0
	s_cbranch_execz .LBB1081_338
; %bb.337:
	v_lshlrev_b32_e32 v20, 2, v0
	ds_load_b32 v21, v20
	s_waitcnt lgkmcnt(0)
	v_mov_b32_dpp v22, v21 row_shr:1 row_mask:0xf bank_mask:0xf
	s_delay_alu instid0(VALU_DEP_1) | instskip(NEXT) | instid1(VALU_DEP_1)
	v_cndmask_b32_e64 v22, v22, 0, s3
	v_add_nc_u32_e32 v21, v22, v21
	s_delay_alu instid0(VALU_DEP_1) | instskip(NEXT) | instid1(VALU_DEP_1)
	v_mov_b32_dpp v22, v21 row_shr:2 row_mask:0xf bank_mask:0xf
	v_cndmask_b32_e64 v22, 0, v22, s0
	s_delay_alu instid0(VALU_DEP_1) | instskip(NEXT) | instid1(VALU_DEP_1)
	v_add_nc_u32_e32 v21, v21, v22
	v_mov_b32_dpp v22, v21 row_shr:4 row_mask:0xf bank_mask:0xf
	s_delay_alu instid0(VALU_DEP_1) | instskip(NEXT) | instid1(VALU_DEP_1)
	v_cndmask_b32_e64 v22, 0, v22, s4
	v_add_nc_u32_e32 v21, v21, v22
	s_delay_alu instid0(VALU_DEP_1) | instskip(NEXT) | instid1(VALU_DEP_1)
	v_mov_b32_dpp v22, v21 row_shr:8 row_mask:0xf bank_mask:0xf
	v_cndmask_b32_e64 v22, 0, v22, s1
	s_delay_alu instid0(VALU_DEP_1)
	v_add_nc_u32_e32 v21, v21, v22
	ds_store_b32 v20, v21
.LBB1081_338:
	s_or_b32 exec_lo, exec_lo, s7
	v_cmp_gt_u32_e32 vcc_lo, 32, v0
	s_mov_b32 s12, exec_lo
	s_waitcnt lgkmcnt(0)
	s_barrier
	buffer_gl0_inv
                                        ; implicit-def: $vgpr27
	v_cmpx_lt_u32_e32 31, v0
	s_cbranch_execz .LBB1081_340
; %bb.339:
	v_lshl_add_u32 v20, v42, 2, -4
	ds_load_b32 v27, v20
	s_waitcnt lgkmcnt(0)
	v_add_nc_u32_e32 v19, v27, v19
.LBB1081_340:
	s_or_b32 exec_lo, exec_lo, s12
	v_add_nc_u32_e32 v20, -1, v41
	s_delay_alu instid0(VALU_DEP_1) | instskip(NEXT) | instid1(VALU_DEP_1)
	v_cmp_gt_i32_e64 s7, 0, v20
	v_cndmask_b32_e64 v20, v20, v41, s7
	v_cmp_eq_u32_e64 s7, 0, v41
	s_delay_alu instid0(VALU_DEP_2)
	v_lshlrev_b32_e32 v20, 2, v20
	ds_bpermute_b32 v29, v20, v19
	s_and_saveexec_b32 s12, vcc_lo
	s_cbranch_execz .LBB1081_358
; %bb.341:
	v_mov_b32_e32 v22, 0
	ds_load_b32 v19, v22 offset:60
	s_and_saveexec_b32 s14, s7
	s_cbranch_execz .LBB1081_343
; %bb.342:
	s_add_i32 s16, s23, 32
	s_mov_b32 s17, 0
	v_mov_b32_e32 v20, 1
	s_lshl_b64 s[16:17], s[16:17], 3
	s_delay_alu instid0(SALU_CYCLE_1)
	s_add_u32 s16, s18, s16
	s_addc_u32 s17, s19, s17
	s_waitcnt lgkmcnt(0)
	global_store_b64 v22, v[19:20], s[16:17]
.LBB1081_343:
	s_or_b32 exec_lo, exec_lo, s14
	v_xad_u32 v20, v41, -1, s23
	s_mov_b32 s15, 0
	s_mov_b32 s14, exec_lo
	s_delay_alu instid0(VALU_DEP_1) | instskip(NEXT) | instid1(VALU_DEP_1)
	v_add_nc_u32_e32 v21, 32, v20
	v_lshlrev_b64 v[21:22], 3, v[21:22]
	s_delay_alu instid0(VALU_DEP_1) | instskip(NEXT) | instid1(VALU_DEP_2)
	v_add_co_u32 v24, vcc_lo, s18, v21
	v_add_co_ci_u32_e32 v25, vcc_lo, s19, v22, vcc_lo
	global_load_b64 v[22:23], v[24:25], off glc
	s_waitcnt vmcnt(0)
	v_and_b32_e32 v21, 0xff, v23
	s_delay_alu instid0(VALU_DEP_1)
	v_cmpx_eq_u16_e32 0, v21
	s_cbranch_execz .LBB1081_346
.LBB1081_344:                           ; =>This Inner Loop Header: Depth=1
	global_load_b64 v[22:23], v[24:25], off glc
	s_waitcnt vmcnt(0)
	v_and_b32_e32 v21, 0xff, v23
	s_delay_alu instid0(VALU_DEP_1) | instskip(SKIP_1) | instid1(SALU_CYCLE_1)
	v_cmp_ne_u16_e32 vcc_lo, 0, v21
	s_or_b32 s15, vcc_lo, s15
	s_and_not1_b32 exec_lo, exec_lo, s15
	s_cbranch_execnz .LBB1081_344
; %bb.345:
	s_or_b32 exec_lo, exec_lo, s15
.LBB1081_346:
	s_delay_alu instid0(SALU_CYCLE_1)
	s_or_b32 exec_lo, exec_lo, s14
	v_cmp_ne_u32_e32 vcc_lo, 31, v41
	v_lshlrev_b32_e64 v33, v41, -1
	v_add_nc_u32_e32 v37, 2, v41
	v_add_nc_u32_e32 v45, 4, v41
	;; [unrolled: 1-line block ×3, first 2 shown]
	v_add_co_ci_u32_e32 v21, vcc_lo, 0, v41, vcc_lo
	v_add_nc_u32_e32 v50, 16, v41
	s_delay_alu instid0(VALU_DEP_2)
	v_lshlrev_b32_e32 v31, 2, v21
	v_and_b32_e32 v21, 0xff, v23
	ds_bpermute_b32 v24, v31, v22
	v_cmp_eq_u16_e32 vcc_lo, 2, v21
	v_and_or_b32 v21, vcc_lo, v33, 0x80000000
	v_cmp_gt_u32_e32 vcc_lo, 30, v41
	s_delay_alu instid0(VALU_DEP_2) | instskip(SKIP_1) | instid1(VALU_DEP_2)
	v_ctz_i32_b32_e32 v21, v21
	v_cndmask_b32_e64 v25, 0, 1, vcc_lo
	v_cmp_lt_u32_e32 vcc_lo, v41, v21
	s_waitcnt lgkmcnt(0)
	s_delay_alu instid0(VALU_DEP_2) | instskip(NEXT) | instid1(VALU_DEP_1)
	v_dual_cndmask_b32 v24, 0, v24 :: v_dual_lshlrev_b32 v25, 1, v25
	v_add_lshl_u32 v35, v25, v41, 2
	v_cmp_gt_u32_e32 vcc_lo, 28, v41
	s_delay_alu instid0(VALU_DEP_3) | instskip(SKIP_4) | instid1(VALU_DEP_1)
	v_add_nc_u32_e32 v22, v24, v22
	v_cndmask_b32_e64 v25, 0, 1, vcc_lo
	v_cmp_le_u32_e32 vcc_lo, v37, v21
	ds_bpermute_b32 v24, v35, v22
	v_lshlrev_b32_e32 v25, 2, v25
	v_add_lshl_u32 v44, v25, v41, 2
	s_waitcnt lgkmcnt(0)
	v_cndmask_b32_e32 v24, 0, v24, vcc_lo
	v_cmp_gt_u32_e32 vcc_lo, 24, v41
	s_delay_alu instid0(VALU_DEP_2) | instskip(SKIP_4) | instid1(VALU_DEP_1)
	v_add_nc_u32_e32 v22, v22, v24
	v_cndmask_b32_e64 v25, 0, 1, vcc_lo
	v_cmp_le_u32_e32 vcc_lo, v45, v21
	ds_bpermute_b32 v24, v44, v22
	v_lshlrev_b32_e32 v25, 3, v25
	v_add_lshl_u32 v47, v25, v41, 2
	s_waitcnt lgkmcnt(0)
	v_cndmask_b32_e32 v24, 0, v24, vcc_lo
	v_cmp_gt_u32_e32 vcc_lo, 16, v41
	s_delay_alu instid0(VALU_DEP_2) | instskip(SKIP_4) | instid1(VALU_DEP_1)
	v_add_nc_u32_e32 v22, v22, v24
	v_cndmask_b32_e64 v25, 0, 1, vcc_lo
	v_cmp_le_u32_e32 vcc_lo, v48, v21
	ds_bpermute_b32 v24, v47, v22
	v_lshlrev_b32_e32 v25, 4, v25
	v_add_lshl_u32 v49, v25, v41, 2
	s_waitcnt lgkmcnt(0)
	v_cndmask_b32_e32 v24, 0, v24, vcc_lo
	v_cmp_le_u32_e32 vcc_lo, v50, v21
	s_delay_alu instid0(VALU_DEP_2) | instskip(SKIP_3) | instid1(VALU_DEP_1)
	v_add_nc_u32_e32 v22, v22, v24
	ds_bpermute_b32 v24, v49, v22
	s_waitcnt lgkmcnt(0)
	v_cndmask_b32_e32 v21, 0, v24, vcc_lo
	v_dual_mov_b32 v21, 0 :: v_dual_add_nc_u32 v22, v22, v21
	s_branch .LBB1081_348
.LBB1081_347:                           ;   in Loop: Header=BB1081_348 Depth=1
	s_or_b32 exec_lo, exec_lo, s14
	ds_bpermute_b32 v25, v31, v22
	v_and_b32_e32 v24, 0xff, v23
	v_subrev_nc_u32_e32 v20, 32, v20
	s_delay_alu instid0(VALU_DEP_2) | instskip(SKIP_1) | instid1(VALU_DEP_1)
	v_cmp_eq_u16_e32 vcc_lo, 2, v24
	v_and_or_b32 v24, vcc_lo, v33, 0x80000000
	v_ctz_i32_b32_e32 v24, v24
	s_delay_alu instid0(VALU_DEP_1) | instskip(SKIP_3) | instid1(VALU_DEP_2)
	v_cmp_lt_u32_e32 vcc_lo, v41, v24
	s_waitcnt lgkmcnt(0)
	v_cndmask_b32_e32 v25, 0, v25, vcc_lo
	v_cmp_le_u32_e32 vcc_lo, v37, v24
	v_add_nc_u32_e32 v22, v25, v22
	ds_bpermute_b32 v25, v35, v22
	s_waitcnt lgkmcnt(0)
	v_cndmask_b32_e32 v25, 0, v25, vcc_lo
	v_cmp_le_u32_e32 vcc_lo, v45, v24
	s_delay_alu instid0(VALU_DEP_2) | instskip(SKIP_4) | instid1(VALU_DEP_2)
	v_add_nc_u32_e32 v22, v22, v25
	ds_bpermute_b32 v25, v44, v22
	s_waitcnt lgkmcnt(0)
	v_cndmask_b32_e32 v25, 0, v25, vcc_lo
	v_cmp_le_u32_e32 vcc_lo, v48, v24
	v_add_nc_u32_e32 v22, v22, v25
	ds_bpermute_b32 v25, v47, v22
	s_waitcnt lgkmcnt(0)
	v_cndmask_b32_e32 v25, 0, v25, vcc_lo
	v_cmp_le_u32_e32 vcc_lo, v50, v24
	s_delay_alu instid0(VALU_DEP_2) | instskip(SKIP_3) | instid1(VALU_DEP_1)
	v_add_nc_u32_e32 v22, v22, v25
	ds_bpermute_b32 v25, v49, v22
	s_waitcnt lgkmcnt(0)
	v_cndmask_b32_e32 v24, 0, v25, vcc_lo
	v_add3_u32 v22, v24, v46, v22
.LBB1081_348:                           ; =>This Loop Header: Depth=1
                                        ;     Child Loop BB1081_351 Depth 2
	s_delay_alu instid0(VALU_DEP_1) | instskip(NEXT) | instid1(VALU_DEP_1)
	v_dual_mov_b32 v46, v22 :: v_dual_and_b32 v23, 0xff, v23
	v_cmp_ne_u16_e32 vcc_lo, 2, v23
	v_cndmask_b32_e64 v23, 0, 1, vcc_lo
	;;#ASMSTART
	;;#ASMEND
	s_delay_alu instid0(VALU_DEP_1)
	v_cmp_ne_u32_e32 vcc_lo, 0, v23
	s_cmp_lg_u32 vcc_lo, exec_lo
	s_cbranch_scc1 .LBB1081_353
; %bb.349:                              ;   in Loop: Header=BB1081_348 Depth=1
	v_lshlrev_b64 v[22:23], 3, v[20:21]
	s_mov_b32 s14, exec_lo
	s_delay_alu instid0(VALU_DEP_1) | instskip(NEXT) | instid1(VALU_DEP_2)
	v_add_co_u32 v24, vcc_lo, s18, v22
	v_add_co_ci_u32_e32 v25, vcc_lo, s19, v23, vcc_lo
	global_load_b64 v[22:23], v[24:25], off glc
	s_waitcnt vmcnt(0)
	v_and_b32_e32 v51, 0xff, v23
	s_delay_alu instid0(VALU_DEP_1)
	v_cmpx_eq_u16_e32 0, v51
	s_cbranch_execz .LBB1081_347
; %bb.350:                              ;   in Loop: Header=BB1081_348 Depth=1
	s_mov_b32 s15, 0
.LBB1081_351:                           ;   Parent Loop BB1081_348 Depth=1
                                        ; =>  This Inner Loop Header: Depth=2
	global_load_b64 v[22:23], v[24:25], off glc
	s_waitcnt vmcnt(0)
	v_and_b32_e32 v51, 0xff, v23
	s_delay_alu instid0(VALU_DEP_1) | instskip(SKIP_1) | instid1(SALU_CYCLE_1)
	v_cmp_ne_u16_e32 vcc_lo, 0, v51
	s_or_b32 s15, vcc_lo, s15
	s_and_not1_b32 exec_lo, exec_lo, s15
	s_cbranch_execnz .LBB1081_351
; %bb.352:                              ;   in Loop: Header=BB1081_348 Depth=1
	s_or_b32 exec_lo, exec_lo, s15
	s_branch .LBB1081_347
.LBB1081_353:                           ;   in Loop: Header=BB1081_348 Depth=1
                                        ; implicit-def: $vgpr22
                                        ; implicit-def: $vgpr23
	s_cbranch_execz .LBB1081_348
; %bb.354:
	s_and_saveexec_b32 s14, s7
	s_cbranch_execz .LBB1081_356
; %bb.355:
	s_add_i32 s16, s23, 32
	s_mov_b32 s17, 0
	v_dual_mov_b32 v21, 2 :: v_dual_add_nc_u32 v20, v46, v19
	s_lshl_b64 s[16:17], s[16:17], 3
	v_mov_b32_e32 v22, 0
	v_add_nc_u32_e64 v23, 0x8400, 0
	s_add_u32 s16, s18, s16
	s_addc_u32 s17, s19, s17
	global_store_b64 v22, v[20:21], s[16:17]
	ds_store_2addr_b32 v23, v19, v46 offset1:2
.LBB1081_356:
	s_or_b32 exec_lo, exec_lo, s14
	s_delay_alu instid0(SALU_CYCLE_1)
	s_and_b32 exec_lo, exec_lo, s2
	s_cbranch_execz .LBB1081_358
; %bb.357:
	v_mov_b32_e32 v19, 0
	ds_store_b32 v19, v46 offset:60
.LBB1081_358:
	s_or_b32 exec_lo, exec_lo, s12
	v_mov_b32_e32 v19, 0
	s_waitcnt lgkmcnt(0)
	s_waitcnt_vscnt null, 0x0
	s_barrier
	buffer_gl0_inv
	v_cndmask_b32_e64 v20, v29, v27, s7
	ds_load_b32 v19, v19 offset:60
	s_waitcnt lgkmcnt(0)
	s_barrier
	buffer_gl0_inv
	v_cndmask_b32_e64 v20, v20, 0, s2
	s_delay_alu instid0(VALU_DEP_1) | instskip(SKIP_1) | instid1(VALU_DEP_2)
	v_add_nc_u32_e32 v37, v19, v20
	v_add_nc_u32_e64 v19, 0x8400, 0
	v_add_nc_u32_e32 v35, v37, v26
	ds_load_2addr_b32 v[19:20], v19 offset1:2
	v_add_nc_u32_e32 v33, v35, v28
	s_delay_alu instid0(VALU_DEP_1) | instskip(NEXT) | instid1(VALU_DEP_1)
	v_add_nc_u32_e32 v31, v33, v30
	v_add_nc_u32_e32 v29, v31, v32
	s_delay_alu instid0(VALU_DEP_1) | instskip(NEXT) | instid1(VALU_DEP_1)
	v_add_nc_u32_e32 v27, v29, v34
	v_add_nc_u32_e32 v25, v27, v36
	s_delay_alu instid0(VALU_DEP_1)
	v_add_nc_u32_e32 v23, v25, v38
	v_lshrrev_b64 v[21:22], 24, v[17:18]
	s_branch .LBB1081_369
.LBB1081_359:
                                        ; implicit-def: $vgpr23
                                        ; implicit-def: $vgpr25
                                        ; implicit-def: $vgpr27
                                        ; implicit-def: $vgpr29
                                        ; implicit-def: $vgpr31
                                        ; implicit-def: $vgpr33
                                        ; implicit-def: $vgpr35
                                        ; implicit-def: $vgpr37
                                        ; implicit-def: $vgpr20
	v_lshrrev_b64 v[21:22], 24, v[17:18]
	s_and_b32 vcc_lo, exec_lo, s7
	s_cbranch_vccz .LBB1081_369
; %bb.360:
	s_waitcnt lgkmcnt(0)
	v_mov_b32_dpp v19, v43 row_shr:1 row_mask:0xf bank_mask:0xf
	s_delay_alu instid0(VALU_DEP_1) | instskip(NEXT) | instid1(VALU_DEP_1)
	v_cndmask_b32_e64 v19, v19, 0, s3
	v_add_nc_u32_e32 v19, v19, v43
	s_delay_alu instid0(VALU_DEP_1) | instskip(NEXT) | instid1(VALU_DEP_1)
	v_mov_b32_dpp v20, v19 row_shr:2 row_mask:0xf bank_mask:0xf
	v_cndmask_b32_e64 v20, 0, v20, s0
	s_delay_alu instid0(VALU_DEP_1) | instskip(NEXT) | instid1(VALU_DEP_1)
	v_add_nc_u32_e32 v19, v19, v20
	v_mov_b32_dpp v20, v19 row_shr:4 row_mask:0xf bank_mask:0xf
	s_delay_alu instid0(VALU_DEP_1) | instskip(NEXT) | instid1(VALU_DEP_1)
	v_cndmask_b32_e64 v20, 0, v20, s4
	v_add_nc_u32_e32 v19, v19, v20
	s_delay_alu instid0(VALU_DEP_1) | instskip(NEXT) | instid1(VALU_DEP_1)
	v_mov_b32_dpp v20, v19 row_shr:8 row_mask:0xf bank_mask:0xf
	v_cndmask_b32_e64 v20, 0, v20, s1
	s_delay_alu instid0(VALU_DEP_1) | instskip(SKIP_3) | instid1(VALU_DEP_1)
	v_add_nc_u32_e32 v19, v19, v20
	ds_swizzle_b32 v20, v19 offset:swizzle(BROADCAST,32,15)
	s_waitcnt lgkmcnt(0)
	v_cndmask_b32_e64 v20, v20, 0, s6
	v_add_nc_u32_e32 v19, v19, v20
	s_and_saveexec_b32 s6, s5
	s_cbranch_execz .LBB1081_362
; %bb.361:
	v_lshlrev_b32_e32 v20, 2, v42
	ds_store_b32 v20, v19
.LBB1081_362:
	s_or_b32 exec_lo, exec_lo, s6
	s_delay_alu instid0(SALU_CYCLE_1)
	s_mov_b32 s5, exec_lo
	s_waitcnt lgkmcnt(0)
	s_barrier
	buffer_gl0_inv
	v_cmpx_gt_u32_e32 16, v0
	s_cbranch_execz .LBB1081_364
; %bb.363:
	v_lshlrev_b32_e32 v20, 2, v0
	ds_load_b32 v22, v20
	s_waitcnt lgkmcnt(0)
	v_mov_b32_dpp v23, v22 row_shr:1 row_mask:0xf bank_mask:0xf
	s_delay_alu instid0(VALU_DEP_1) | instskip(NEXT) | instid1(VALU_DEP_1)
	v_cndmask_b32_e64 v23, v23, 0, s3
	v_add_nc_u32_e32 v22, v23, v22
	s_delay_alu instid0(VALU_DEP_1) | instskip(NEXT) | instid1(VALU_DEP_1)
	v_mov_b32_dpp v23, v22 row_shr:2 row_mask:0xf bank_mask:0xf
	v_cndmask_b32_e64 v23, 0, v23, s0
	s_delay_alu instid0(VALU_DEP_1) | instskip(NEXT) | instid1(VALU_DEP_1)
	v_add_nc_u32_e32 v22, v22, v23
	v_mov_b32_dpp v23, v22 row_shr:4 row_mask:0xf bank_mask:0xf
	s_delay_alu instid0(VALU_DEP_1) | instskip(NEXT) | instid1(VALU_DEP_1)
	v_cndmask_b32_e64 v23, 0, v23, s4
	v_add_nc_u32_e32 v22, v22, v23
	s_delay_alu instid0(VALU_DEP_1) | instskip(NEXT) | instid1(VALU_DEP_1)
	v_mov_b32_dpp v23, v22 row_shr:8 row_mask:0xf bank_mask:0xf
	v_cndmask_b32_e64 v23, 0, v23, s1
	s_delay_alu instid0(VALU_DEP_1)
	v_add_nc_u32_e32 v22, v22, v23
	ds_store_b32 v20, v22
.LBB1081_364:
	s_or_b32 exec_lo, exec_lo, s5
	v_mov_b32_e32 v20, 0
	v_mov_b32_e32 v22, 0
	s_mov_b32 s0, exec_lo
	s_waitcnt lgkmcnt(0)
	s_barrier
	buffer_gl0_inv
	v_cmpx_lt_u32_e32 31, v0
	s_cbranch_execz .LBB1081_366
; %bb.365:
	v_lshl_add_u32 v22, v42, 2, -4
	ds_load_b32 v22, v22
.LBB1081_366:
	s_or_b32 exec_lo, exec_lo, s0
	v_add_nc_u32_e32 v23, -1, v41
	s_waitcnt lgkmcnt(0)
	v_add_nc_u32_e32 v19, v22, v19
	s_delay_alu instid0(VALU_DEP_2) | instskip(SKIP_1) | instid1(VALU_DEP_1)
	v_cmp_gt_i32_e32 vcc_lo, 0, v23
	v_cndmask_b32_e32 v23, v23, v41, vcc_lo
	v_lshlrev_b32_e32 v23, 2, v23
	ds_bpermute_b32 v23, v23, v19
	ds_load_b32 v19, v20 offset:60
	s_and_saveexec_b32 s0, s2
	s_cbranch_execz .LBB1081_368
; %bb.367:
	v_mov_b32_e32 v24, 0
	v_mov_b32_e32 v20, 2
	s_waitcnt lgkmcnt(0)
	global_store_b64 v24, v[19:20], s[18:19] offset:256
.LBB1081_368:
	s_or_b32 exec_lo, exec_lo, s0
	v_cmp_eq_u32_e32 vcc_lo, 0, v41
	s_waitcnt lgkmcnt(0)
	s_waitcnt_vscnt null, 0x0
	s_barrier
	buffer_gl0_inv
	v_cndmask_b32_e32 v20, v23, v22, vcc_lo
	s_delay_alu instid0(VALU_DEP_1) | instskip(NEXT) | instid1(VALU_DEP_1)
	v_cndmask_b32_e64 v37, v20, 0, s2
	v_dual_mov_b32 v20, 0 :: v_dual_add_nc_u32 v35, v37, v26
	s_delay_alu instid0(VALU_DEP_1) | instskip(NEXT) | instid1(VALU_DEP_1)
	v_add_nc_u32_e32 v33, v35, v28
	v_add_nc_u32_e32 v31, v33, v30
	s_delay_alu instid0(VALU_DEP_1) | instskip(NEXT) | instid1(VALU_DEP_1)
	v_add_nc_u32_e32 v29, v31, v32
	v_add_nc_u32_e32 v27, v29, v34
	;; [unrolled: 3-line block ×3, first 2 shown]
.LBB1081_369:
	s_waitcnt lgkmcnt(0)
	v_cmp_gt_u32_e32 vcc_lo, 0x201, v19
	v_lshrrev_b32_e32 v43, 8, v17
	v_lshrrev_b32_e32 v42, 16, v17
	;; [unrolled: 1-line block ×4, first 2 shown]
	s_mov_b32 s0, -1
	s_cbranch_vccnz .LBB1081_373
; %bb.370:
	s_and_b32 vcc_lo, exec_lo, s0
	s_cbranch_vccnz .LBB1081_398
.LBB1081_371:
	s_and_b32 s0, s2, s13
	s_delay_alu instid0(SALU_CYCLE_1)
	s_and_saveexec_b32 s1, s0
	s_cbranch_execnz .LBB1081_418
.LBB1081_372:
	s_nop 0
	s_sendmsg sendmsg(MSG_DEALLOC_VGPRS)
	s_endpgm
.LBB1081_373:
	v_add_nc_u32_e32 v24, v20, v19
	s_delay_alu instid0(VALU_DEP_1) | instskip(SKIP_1) | instid1(SALU_CYCLE_1)
	v_cmp_lt_u32_e32 vcc_lo, v37, v24
	s_or_b32 s1, s22, vcc_lo
	s_and_saveexec_b32 s0, s1
	s_cbranch_execz .LBB1081_376
; %bb.374:
	v_and_b32_e32 v26, 1, v17
	s_delay_alu instid0(VALU_DEP_1)
	v_cmp_eq_u32_e32 vcc_lo, 1, v26
	s_and_b32 exec_lo, exec_lo, vcc_lo
	s_cbranch_execz .LBB1081_376
; %bb.375:
	v_mov_b32_e32 v38, 0
	s_lshl_b64 s[4:5], s[10:11], 3
	s_delay_alu instid0(SALU_CYCLE_1) | instskip(SKIP_1) | instid1(VALU_DEP_1)
	s_add_u32 s1, s20, s4
	s_addc_u32 s3, s21, s5
	v_lshlrev_b64 v[44:45], 3, v[37:38]
	s_delay_alu instid0(VALU_DEP_1) | instskip(NEXT) | instid1(VALU_DEP_2)
	v_add_co_u32 v44, vcc_lo, s1, v44
	v_add_co_ci_u32_e32 v45, vcc_lo, s3, v45, vcc_lo
	global_store_b64 v[44:45], v[13:14], off
.LBB1081_376:
	s_or_b32 exec_lo, exec_lo, s0
	v_cmp_lt_u32_e32 vcc_lo, v35, v24
	s_or_b32 s1, s22, vcc_lo
	s_delay_alu instid0(SALU_CYCLE_1)
	s_and_saveexec_b32 s0, s1
	s_cbranch_execz .LBB1081_379
; %bb.377:
	v_and_b32_e32 v26, 1, v43
	s_delay_alu instid0(VALU_DEP_1)
	v_cmp_eq_u32_e32 vcc_lo, 1, v26
	s_and_b32 exec_lo, exec_lo, vcc_lo
	s_cbranch_execz .LBB1081_379
; %bb.378:
	v_mov_b32_e32 v36, 0
	s_lshl_b64 s[4:5], s[10:11], 3
	s_delay_alu instid0(SALU_CYCLE_1) | instskip(SKIP_1) | instid1(VALU_DEP_1)
	s_add_u32 s1, s20, s4
	s_addc_u32 s3, s21, s5
	v_lshlrev_b64 v[44:45], 3, v[35:36]
	s_delay_alu instid0(VALU_DEP_1) | instskip(NEXT) | instid1(VALU_DEP_2)
	v_add_co_u32 v44, vcc_lo, s1, v44
	v_add_co_ci_u32_e32 v45, vcc_lo, s3, v45, vcc_lo
	global_store_b64 v[44:45], v[15:16], off
.LBB1081_379:
	s_or_b32 exec_lo, exec_lo, s0
	v_cmp_lt_u32_e32 vcc_lo, v33, v24
	s_or_b32 s1, s22, vcc_lo
	s_delay_alu instid0(SALU_CYCLE_1)
	;; [unrolled: 24-line block ×7, first 2 shown]
	s_and_saveexec_b32 s0, s1
	s_cbranch_execz .LBB1081_397
; %bb.395:
	v_and_b32_e32 v24, 1, v40
	s_delay_alu instid0(VALU_DEP_1)
	v_cmp_eq_u32_e32 vcc_lo, 1, v24
	s_and_b32 exec_lo, exec_lo, vcc_lo
	s_cbranch_execz .LBB1081_397
; %bb.396:
	v_mov_b32_e32 v24, 0
	s_lshl_b64 s[4:5], s[10:11], 3
	s_delay_alu instid0(SALU_CYCLE_1) | instskip(SKIP_1) | instid1(VALU_DEP_1)
	s_add_u32 s1, s20, s4
	s_addc_u32 s3, s21, s5
	v_lshlrev_b64 v[44:45], 3, v[23:24]
	s_delay_alu instid0(VALU_DEP_1) | instskip(NEXT) | instid1(VALU_DEP_2)
	v_add_co_u32 v44, vcc_lo, s1, v44
	v_add_co_ci_u32_e32 v45, vcc_lo, s3, v45, vcc_lo
	global_store_b64 v[44:45], v[3:4], off
.LBB1081_397:
	s_or_b32 exec_lo, exec_lo, s0
	s_branch .LBB1081_371
.LBB1081_398:
	v_and_b32_e32 v17, 1, v17
	s_mov_b32 s0, exec_lo
	s_delay_alu instid0(VALU_DEP_1)
	v_cmpx_eq_u32_e32 1, v17
	s_cbranch_execz .LBB1081_400
; %bb.399:
	v_sub_nc_u32_e32 v17, v37, v20
	s_delay_alu instid0(VALU_DEP_1)
	v_lshlrev_b32_e32 v17, 3, v17
	ds_store_b64 v17, v[13:14]
.LBB1081_400:
	s_or_b32 exec_lo, exec_lo, s0
	v_and_b32_e32 v13, 1, v43
	s_mov_b32 s0, exec_lo
	s_delay_alu instid0(VALU_DEP_1)
	v_cmpx_eq_u32_e32 1, v13
	s_cbranch_execz .LBB1081_402
; %bb.401:
	v_sub_nc_u32_e32 v13, v35, v20
	s_delay_alu instid0(VALU_DEP_1)
	v_lshlrev_b32_e32 v13, 3, v13
	ds_store_b64 v13, v[15:16]
.LBB1081_402:
	s_or_b32 exec_lo, exec_lo, s0
	;; [unrolled: 12-line block ×8, first 2 shown]
	s_delay_alu instid0(SALU_CYCLE_1)
	s_mov_b32 s1, exec_lo
	s_waitcnt lgkmcnt(0)
	s_waitcnt_vscnt null, 0x0
	s_barrier
	buffer_gl0_inv
	v_cmpx_lt_u32_e64 v0, v19
	s_cbranch_execz .LBB1081_417
; %bb.415:
	v_dual_mov_b32 v2, 0 :: v_dual_mov_b32 v1, v20
	s_lshl_b64 s[4:5], s[10:11], 3
	s_mov_b32 s3, 0
	s_delay_alu instid0(VALU_DEP_1) | instskip(NEXT) | instid1(VALU_DEP_1)
	v_lshlrev_b64 v[1:2], 3, v[1:2]
	v_add_co_u32 v1, vcc_lo, s4, v1
	s_delay_alu instid0(VALU_DEP_2) | instskip(NEXT) | instid1(VALU_DEP_2)
	v_add_co_ci_u32_e32 v2, vcc_lo, s5, v2, vcc_lo
	v_add_co_u32 v1, vcc_lo, s20, v1
	s_delay_alu instid0(VALU_DEP_2) | instskip(NEXT) | instid1(VALU_DEP_2)
	v_add_co_ci_u32_e32 v2, vcc_lo, s21, v2, vcc_lo
	v_add_co_u32 v1, vcc_lo, v1, v39
	s_delay_alu instid0(VALU_DEP_2)
	v_add_co_ci_u32_e32 v2, vcc_lo, 0, v2, vcc_lo
	.p2align	6
.LBB1081_416:                           ; =>This Inner Loop Header: Depth=1
	ds_load_b64 v[3:4], v39
	v_add_nc_u32_e32 v0, 0x200, v0
	v_add_nc_u32_e32 v39, 0x1000, v39
	s_delay_alu instid0(VALU_DEP_2) | instskip(SKIP_4) | instid1(VALU_DEP_1)
	v_cmp_ge_u32_e32 vcc_lo, v0, v19
	s_or_b32 s3, vcc_lo, s3
	s_waitcnt lgkmcnt(0)
	global_store_b64 v[1:2], v[3:4], off
	v_add_co_u32 v1, s0, 0x1000, v1
	v_add_co_ci_u32_e64 v2, s0, 0, v2, s0
	s_and_not1_b32 exec_lo, exec_lo, s3
	s_cbranch_execnz .LBB1081_416
.LBB1081_417:
	s_or_b32 exec_lo, exec_lo, s1
	s_and_b32 s0, s2, s13
	s_delay_alu instid0(SALU_CYCLE_1)
	s_and_saveexec_b32 s1, s0
	s_cbranch_execz .LBB1081_372
.LBB1081_418:
	v_add_co_u32 v0, s0, s10, v19
	s_delay_alu instid0(VALU_DEP_1) | instskip(SKIP_1) | instid1(VALU_DEP_3)
	v_add_co_ci_u32_e64 v1, null, s11, 0, s0
	v_mov_b32_e32 v2, 0
	v_add_co_u32 v0, vcc_lo, v0, v20
	s_delay_alu instid0(VALU_DEP_3)
	v_add_co_ci_u32_e32 v1, vcc_lo, 0, v1, vcc_lo
	global_store_b64 v2, v[0:1], s[8:9]
	s_nop 0
	s_sendmsg sendmsg(MSG_DEALLOC_VGPRS)
	s_endpgm
	.section	.rodata,"a",@progbits
	.p2align	6, 0x0
	.amdhsa_kernel _ZN7rocprim17ROCPRIM_400000_NS6detail17trampoline_kernelINS0_14default_configENS1_25partition_config_selectorILNS1_17partition_subalgoE8ElNS0_10empty_typeEbEEZZNS1_14partition_implILS5_8ELb0ES3_jPlPS6_PKS6_NS0_5tupleIJS9_S6_EEENSD_IJSA_SA_EEENS0_18inequality_wrapperIZN2at6native12_GLOBAL__N_124unique_dim_cuda_templateIbEESt5tupleIJNSH_6TensorESM_SM_EERKSM_lbbbEUlllE0_EEPmJS6_EEE10hipError_tPvRmT3_T4_T5_T6_T7_T9_mT8_P12ihipStream_tbDpT10_ENKUlT_T0_E_clISt17integral_constantIbLb0EES1B_IbLb1EEEEDaS17_S18_EUlS17_E_NS1_11comp_targetILNS1_3genE9ELNS1_11target_archE1100ELNS1_3gpuE3ELNS1_3repE0EEENS1_30default_config_static_selectorELNS0_4arch9wavefront6targetE0EEEvT1_
		.amdhsa_group_segment_fixed_size 33804
		.amdhsa_private_segment_fixed_size 0
		.amdhsa_kernarg_size 136
		.amdhsa_user_sgpr_count 15
		.amdhsa_user_sgpr_dispatch_ptr 0
		.amdhsa_user_sgpr_queue_ptr 0
		.amdhsa_user_sgpr_kernarg_segment_ptr 1
		.amdhsa_user_sgpr_dispatch_id 0
		.amdhsa_user_sgpr_private_segment_size 0
		.amdhsa_wavefront_size32 1
		.amdhsa_uses_dynamic_stack 0
		.amdhsa_enable_private_segment 0
		.amdhsa_system_sgpr_workgroup_id_x 1
		.amdhsa_system_sgpr_workgroup_id_y 0
		.amdhsa_system_sgpr_workgroup_id_z 0
		.amdhsa_system_sgpr_workgroup_info 0
		.amdhsa_system_vgpr_workitem_id 0
		.amdhsa_next_free_vgpr 52
		.amdhsa_next_free_sgpr 38
		.amdhsa_reserve_vcc 1
		.amdhsa_float_round_mode_32 0
		.amdhsa_float_round_mode_16_64 0
		.amdhsa_float_denorm_mode_32 3
		.amdhsa_float_denorm_mode_16_64 3
		.amdhsa_dx10_clamp 1
		.amdhsa_ieee_mode 1
		.amdhsa_fp16_overflow 0
		.amdhsa_workgroup_processor_mode 1
		.amdhsa_memory_ordered 1
		.amdhsa_forward_progress 0
		.amdhsa_shared_vgpr_count 0
		.amdhsa_exception_fp_ieee_invalid_op 0
		.amdhsa_exception_fp_denorm_src 0
		.amdhsa_exception_fp_ieee_div_zero 0
		.amdhsa_exception_fp_ieee_overflow 0
		.amdhsa_exception_fp_ieee_underflow 0
		.amdhsa_exception_fp_ieee_inexact 0
		.amdhsa_exception_int_div_zero 0
	.end_amdhsa_kernel
	.section	.text._ZN7rocprim17ROCPRIM_400000_NS6detail17trampoline_kernelINS0_14default_configENS1_25partition_config_selectorILNS1_17partition_subalgoE8ElNS0_10empty_typeEbEEZZNS1_14partition_implILS5_8ELb0ES3_jPlPS6_PKS6_NS0_5tupleIJS9_S6_EEENSD_IJSA_SA_EEENS0_18inequality_wrapperIZN2at6native12_GLOBAL__N_124unique_dim_cuda_templateIbEESt5tupleIJNSH_6TensorESM_SM_EERKSM_lbbbEUlllE0_EEPmJS6_EEE10hipError_tPvRmT3_T4_T5_T6_T7_T9_mT8_P12ihipStream_tbDpT10_ENKUlT_T0_E_clISt17integral_constantIbLb0EES1B_IbLb1EEEEDaS17_S18_EUlS17_E_NS1_11comp_targetILNS1_3genE9ELNS1_11target_archE1100ELNS1_3gpuE3ELNS1_3repE0EEENS1_30default_config_static_selectorELNS0_4arch9wavefront6targetE0EEEvT1_,"axG",@progbits,_ZN7rocprim17ROCPRIM_400000_NS6detail17trampoline_kernelINS0_14default_configENS1_25partition_config_selectorILNS1_17partition_subalgoE8ElNS0_10empty_typeEbEEZZNS1_14partition_implILS5_8ELb0ES3_jPlPS6_PKS6_NS0_5tupleIJS9_S6_EEENSD_IJSA_SA_EEENS0_18inequality_wrapperIZN2at6native12_GLOBAL__N_124unique_dim_cuda_templateIbEESt5tupleIJNSH_6TensorESM_SM_EERKSM_lbbbEUlllE0_EEPmJS6_EEE10hipError_tPvRmT3_T4_T5_T6_T7_T9_mT8_P12ihipStream_tbDpT10_ENKUlT_T0_E_clISt17integral_constantIbLb0EES1B_IbLb1EEEEDaS17_S18_EUlS17_E_NS1_11comp_targetILNS1_3genE9ELNS1_11target_archE1100ELNS1_3gpuE3ELNS1_3repE0EEENS1_30default_config_static_selectorELNS0_4arch9wavefront6targetE0EEEvT1_,comdat
.Lfunc_end1081:
	.size	_ZN7rocprim17ROCPRIM_400000_NS6detail17trampoline_kernelINS0_14default_configENS1_25partition_config_selectorILNS1_17partition_subalgoE8ElNS0_10empty_typeEbEEZZNS1_14partition_implILS5_8ELb0ES3_jPlPS6_PKS6_NS0_5tupleIJS9_S6_EEENSD_IJSA_SA_EEENS0_18inequality_wrapperIZN2at6native12_GLOBAL__N_124unique_dim_cuda_templateIbEESt5tupleIJNSH_6TensorESM_SM_EERKSM_lbbbEUlllE0_EEPmJS6_EEE10hipError_tPvRmT3_T4_T5_T6_T7_T9_mT8_P12ihipStream_tbDpT10_ENKUlT_T0_E_clISt17integral_constantIbLb0EES1B_IbLb1EEEEDaS17_S18_EUlS17_E_NS1_11comp_targetILNS1_3genE9ELNS1_11target_archE1100ELNS1_3gpuE3ELNS1_3repE0EEENS1_30default_config_static_selectorELNS0_4arch9wavefront6targetE0EEEvT1_, .Lfunc_end1081-_ZN7rocprim17ROCPRIM_400000_NS6detail17trampoline_kernelINS0_14default_configENS1_25partition_config_selectorILNS1_17partition_subalgoE8ElNS0_10empty_typeEbEEZZNS1_14partition_implILS5_8ELb0ES3_jPlPS6_PKS6_NS0_5tupleIJS9_S6_EEENSD_IJSA_SA_EEENS0_18inequality_wrapperIZN2at6native12_GLOBAL__N_124unique_dim_cuda_templateIbEESt5tupleIJNSH_6TensorESM_SM_EERKSM_lbbbEUlllE0_EEPmJS6_EEE10hipError_tPvRmT3_T4_T5_T6_T7_T9_mT8_P12ihipStream_tbDpT10_ENKUlT_T0_E_clISt17integral_constantIbLb0EES1B_IbLb1EEEEDaS17_S18_EUlS17_E_NS1_11comp_targetILNS1_3genE9ELNS1_11target_archE1100ELNS1_3gpuE3ELNS1_3repE0EEENS1_30default_config_static_selectorELNS0_4arch9wavefront6targetE0EEEvT1_
                                        ; -- End function
	.section	.AMDGPU.csdata,"",@progbits
; Kernel info:
; codeLenInByte = 17756
; NumSgprs: 40
; NumVgprs: 52
; ScratchSize: 0
; MemoryBound: 0
; FloatMode: 240
; IeeeMode: 1
; LDSByteSize: 33804 bytes/workgroup (compile time only)
; SGPRBlocks: 4
; VGPRBlocks: 6
; NumSGPRsForWavesPerEU: 40
; NumVGPRsForWavesPerEU: 52
; Occupancy: 12
; WaveLimiterHint : 1
; COMPUTE_PGM_RSRC2:SCRATCH_EN: 0
; COMPUTE_PGM_RSRC2:USER_SGPR: 15
; COMPUTE_PGM_RSRC2:TRAP_HANDLER: 0
; COMPUTE_PGM_RSRC2:TGID_X_EN: 1
; COMPUTE_PGM_RSRC2:TGID_Y_EN: 0
; COMPUTE_PGM_RSRC2:TGID_Z_EN: 0
; COMPUTE_PGM_RSRC2:TIDIG_COMP_CNT: 0
	.section	.text._ZN7rocprim17ROCPRIM_400000_NS6detail17trampoline_kernelINS0_14default_configENS1_25partition_config_selectorILNS1_17partition_subalgoE8ElNS0_10empty_typeEbEEZZNS1_14partition_implILS5_8ELb0ES3_jPlPS6_PKS6_NS0_5tupleIJS9_S6_EEENSD_IJSA_SA_EEENS0_18inequality_wrapperIZN2at6native12_GLOBAL__N_124unique_dim_cuda_templateIbEESt5tupleIJNSH_6TensorESM_SM_EERKSM_lbbbEUlllE0_EEPmJS6_EEE10hipError_tPvRmT3_T4_T5_T6_T7_T9_mT8_P12ihipStream_tbDpT10_ENKUlT_T0_E_clISt17integral_constantIbLb0EES1B_IbLb1EEEEDaS17_S18_EUlS17_E_NS1_11comp_targetILNS1_3genE8ELNS1_11target_archE1030ELNS1_3gpuE2ELNS1_3repE0EEENS1_30default_config_static_selectorELNS0_4arch9wavefront6targetE0EEEvT1_,"axG",@progbits,_ZN7rocprim17ROCPRIM_400000_NS6detail17trampoline_kernelINS0_14default_configENS1_25partition_config_selectorILNS1_17partition_subalgoE8ElNS0_10empty_typeEbEEZZNS1_14partition_implILS5_8ELb0ES3_jPlPS6_PKS6_NS0_5tupleIJS9_S6_EEENSD_IJSA_SA_EEENS0_18inequality_wrapperIZN2at6native12_GLOBAL__N_124unique_dim_cuda_templateIbEESt5tupleIJNSH_6TensorESM_SM_EERKSM_lbbbEUlllE0_EEPmJS6_EEE10hipError_tPvRmT3_T4_T5_T6_T7_T9_mT8_P12ihipStream_tbDpT10_ENKUlT_T0_E_clISt17integral_constantIbLb0EES1B_IbLb1EEEEDaS17_S18_EUlS17_E_NS1_11comp_targetILNS1_3genE8ELNS1_11target_archE1030ELNS1_3gpuE2ELNS1_3repE0EEENS1_30default_config_static_selectorELNS0_4arch9wavefront6targetE0EEEvT1_,comdat
	.globl	_ZN7rocprim17ROCPRIM_400000_NS6detail17trampoline_kernelINS0_14default_configENS1_25partition_config_selectorILNS1_17partition_subalgoE8ElNS0_10empty_typeEbEEZZNS1_14partition_implILS5_8ELb0ES3_jPlPS6_PKS6_NS0_5tupleIJS9_S6_EEENSD_IJSA_SA_EEENS0_18inequality_wrapperIZN2at6native12_GLOBAL__N_124unique_dim_cuda_templateIbEESt5tupleIJNSH_6TensorESM_SM_EERKSM_lbbbEUlllE0_EEPmJS6_EEE10hipError_tPvRmT3_T4_T5_T6_T7_T9_mT8_P12ihipStream_tbDpT10_ENKUlT_T0_E_clISt17integral_constantIbLb0EES1B_IbLb1EEEEDaS17_S18_EUlS17_E_NS1_11comp_targetILNS1_3genE8ELNS1_11target_archE1030ELNS1_3gpuE2ELNS1_3repE0EEENS1_30default_config_static_selectorELNS0_4arch9wavefront6targetE0EEEvT1_ ; -- Begin function _ZN7rocprim17ROCPRIM_400000_NS6detail17trampoline_kernelINS0_14default_configENS1_25partition_config_selectorILNS1_17partition_subalgoE8ElNS0_10empty_typeEbEEZZNS1_14partition_implILS5_8ELb0ES3_jPlPS6_PKS6_NS0_5tupleIJS9_S6_EEENSD_IJSA_SA_EEENS0_18inequality_wrapperIZN2at6native12_GLOBAL__N_124unique_dim_cuda_templateIbEESt5tupleIJNSH_6TensorESM_SM_EERKSM_lbbbEUlllE0_EEPmJS6_EEE10hipError_tPvRmT3_T4_T5_T6_T7_T9_mT8_P12ihipStream_tbDpT10_ENKUlT_T0_E_clISt17integral_constantIbLb0EES1B_IbLb1EEEEDaS17_S18_EUlS17_E_NS1_11comp_targetILNS1_3genE8ELNS1_11target_archE1030ELNS1_3gpuE2ELNS1_3repE0EEENS1_30default_config_static_selectorELNS0_4arch9wavefront6targetE0EEEvT1_
	.p2align	8
	.type	_ZN7rocprim17ROCPRIM_400000_NS6detail17trampoline_kernelINS0_14default_configENS1_25partition_config_selectorILNS1_17partition_subalgoE8ElNS0_10empty_typeEbEEZZNS1_14partition_implILS5_8ELb0ES3_jPlPS6_PKS6_NS0_5tupleIJS9_S6_EEENSD_IJSA_SA_EEENS0_18inequality_wrapperIZN2at6native12_GLOBAL__N_124unique_dim_cuda_templateIbEESt5tupleIJNSH_6TensorESM_SM_EERKSM_lbbbEUlllE0_EEPmJS6_EEE10hipError_tPvRmT3_T4_T5_T6_T7_T9_mT8_P12ihipStream_tbDpT10_ENKUlT_T0_E_clISt17integral_constantIbLb0EES1B_IbLb1EEEEDaS17_S18_EUlS17_E_NS1_11comp_targetILNS1_3genE8ELNS1_11target_archE1030ELNS1_3gpuE2ELNS1_3repE0EEENS1_30default_config_static_selectorELNS0_4arch9wavefront6targetE0EEEvT1_,@function
_ZN7rocprim17ROCPRIM_400000_NS6detail17trampoline_kernelINS0_14default_configENS1_25partition_config_selectorILNS1_17partition_subalgoE8ElNS0_10empty_typeEbEEZZNS1_14partition_implILS5_8ELb0ES3_jPlPS6_PKS6_NS0_5tupleIJS9_S6_EEENSD_IJSA_SA_EEENS0_18inequality_wrapperIZN2at6native12_GLOBAL__N_124unique_dim_cuda_templateIbEESt5tupleIJNSH_6TensorESM_SM_EERKSM_lbbbEUlllE0_EEPmJS6_EEE10hipError_tPvRmT3_T4_T5_T6_T7_T9_mT8_P12ihipStream_tbDpT10_ENKUlT_T0_E_clISt17integral_constantIbLb0EES1B_IbLb1EEEEDaS17_S18_EUlS17_E_NS1_11comp_targetILNS1_3genE8ELNS1_11target_archE1030ELNS1_3gpuE2ELNS1_3repE0EEENS1_30default_config_static_selectorELNS0_4arch9wavefront6targetE0EEEvT1_: ; @_ZN7rocprim17ROCPRIM_400000_NS6detail17trampoline_kernelINS0_14default_configENS1_25partition_config_selectorILNS1_17partition_subalgoE8ElNS0_10empty_typeEbEEZZNS1_14partition_implILS5_8ELb0ES3_jPlPS6_PKS6_NS0_5tupleIJS9_S6_EEENSD_IJSA_SA_EEENS0_18inequality_wrapperIZN2at6native12_GLOBAL__N_124unique_dim_cuda_templateIbEESt5tupleIJNSH_6TensorESM_SM_EERKSM_lbbbEUlllE0_EEPmJS6_EEE10hipError_tPvRmT3_T4_T5_T6_T7_T9_mT8_P12ihipStream_tbDpT10_ENKUlT_T0_E_clISt17integral_constantIbLb0EES1B_IbLb1EEEEDaS17_S18_EUlS17_E_NS1_11comp_targetILNS1_3genE8ELNS1_11target_archE1030ELNS1_3gpuE2ELNS1_3repE0EEENS1_30default_config_static_selectorELNS0_4arch9wavefront6targetE0EEEvT1_
; %bb.0:
	.section	.rodata,"a",@progbits
	.p2align	6, 0x0
	.amdhsa_kernel _ZN7rocprim17ROCPRIM_400000_NS6detail17trampoline_kernelINS0_14default_configENS1_25partition_config_selectorILNS1_17partition_subalgoE8ElNS0_10empty_typeEbEEZZNS1_14partition_implILS5_8ELb0ES3_jPlPS6_PKS6_NS0_5tupleIJS9_S6_EEENSD_IJSA_SA_EEENS0_18inequality_wrapperIZN2at6native12_GLOBAL__N_124unique_dim_cuda_templateIbEESt5tupleIJNSH_6TensorESM_SM_EERKSM_lbbbEUlllE0_EEPmJS6_EEE10hipError_tPvRmT3_T4_T5_T6_T7_T9_mT8_P12ihipStream_tbDpT10_ENKUlT_T0_E_clISt17integral_constantIbLb0EES1B_IbLb1EEEEDaS17_S18_EUlS17_E_NS1_11comp_targetILNS1_3genE8ELNS1_11target_archE1030ELNS1_3gpuE2ELNS1_3repE0EEENS1_30default_config_static_selectorELNS0_4arch9wavefront6targetE0EEEvT1_
		.amdhsa_group_segment_fixed_size 0
		.amdhsa_private_segment_fixed_size 0
		.amdhsa_kernarg_size 136
		.amdhsa_user_sgpr_count 15
		.amdhsa_user_sgpr_dispatch_ptr 0
		.amdhsa_user_sgpr_queue_ptr 0
		.amdhsa_user_sgpr_kernarg_segment_ptr 1
		.amdhsa_user_sgpr_dispatch_id 0
		.amdhsa_user_sgpr_private_segment_size 0
		.amdhsa_wavefront_size32 1
		.amdhsa_uses_dynamic_stack 0
		.amdhsa_enable_private_segment 0
		.amdhsa_system_sgpr_workgroup_id_x 1
		.amdhsa_system_sgpr_workgroup_id_y 0
		.amdhsa_system_sgpr_workgroup_id_z 0
		.amdhsa_system_sgpr_workgroup_info 0
		.amdhsa_system_vgpr_workitem_id 0
		.amdhsa_next_free_vgpr 1
		.amdhsa_next_free_sgpr 1
		.amdhsa_reserve_vcc 0
		.amdhsa_float_round_mode_32 0
		.amdhsa_float_round_mode_16_64 0
		.amdhsa_float_denorm_mode_32 3
		.amdhsa_float_denorm_mode_16_64 3
		.amdhsa_dx10_clamp 1
		.amdhsa_ieee_mode 1
		.amdhsa_fp16_overflow 0
		.amdhsa_workgroup_processor_mode 1
		.amdhsa_memory_ordered 1
		.amdhsa_forward_progress 0
		.amdhsa_shared_vgpr_count 0
		.amdhsa_exception_fp_ieee_invalid_op 0
		.amdhsa_exception_fp_denorm_src 0
		.amdhsa_exception_fp_ieee_div_zero 0
		.amdhsa_exception_fp_ieee_overflow 0
		.amdhsa_exception_fp_ieee_underflow 0
		.amdhsa_exception_fp_ieee_inexact 0
		.amdhsa_exception_int_div_zero 0
	.end_amdhsa_kernel
	.section	.text._ZN7rocprim17ROCPRIM_400000_NS6detail17trampoline_kernelINS0_14default_configENS1_25partition_config_selectorILNS1_17partition_subalgoE8ElNS0_10empty_typeEbEEZZNS1_14partition_implILS5_8ELb0ES3_jPlPS6_PKS6_NS0_5tupleIJS9_S6_EEENSD_IJSA_SA_EEENS0_18inequality_wrapperIZN2at6native12_GLOBAL__N_124unique_dim_cuda_templateIbEESt5tupleIJNSH_6TensorESM_SM_EERKSM_lbbbEUlllE0_EEPmJS6_EEE10hipError_tPvRmT3_T4_T5_T6_T7_T9_mT8_P12ihipStream_tbDpT10_ENKUlT_T0_E_clISt17integral_constantIbLb0EES1B_IbLb1EEEEDaS17_S18_EUlS17_E_NS1_11comp_targetILNS1_3genE8ELNS1_11target_archE1030ELNS1_3gpuE2ELNS1_3repE0EEENS1_30default_config_static_selectorELNS0_4arch9wavefront6targetE0EEEvT1_,"axG",@progbits,_ZN7rocprim17ROCPRIM_400000_NS6detail17trampoline_kernelINS0_14default_configENS1_25partition_config_selectorILNS1_17partition_subalgoE8ElNS0_10empty_typeEbEEZZNS1_14partition_implILS5_8ELb0ES3_jPlPS6_PKS6_NS0_5tupleIJS9_S6_EEENSD_IJSA_SA_EEENS0_18inequality_wrapperIZN2at6native12_GLOBAL__N_124unique_dim_cuda_templateIbEESt5tupleIJNSH_6TensorESM_SM_EERKSM_lbbbEUlllE0_EEPmJS6_EEE10hipError_tPvRmT3_T4_T5_T6_T7_T9_mT8_P12ihipStream_tbDpT10_ENKUlT_T0_E_clISt17integral_constantIbLb0EES1B_IbLb1EEEEDaS17_S18_EUlS17_E_NS1_11comp_targetILNS1_3genE8ELNS1_11target_archE1030ELNS1_3gpuE2ELNS1_3repE0EEENS1_30default_config_static_selectorELNS0_4arch9wavefront6targetE0EEEvT1_,comdat
.Lfunc_end1082:
	.size	_ZN7rocprim17ROCPRIM_400000_NS6detail17trampoline_kernelINS0_14default_configENS1_25partition_config_selectorILNS1_17partition_subalgoE8ElNS0_10empty_typeEbEEZZNS1_14partition_implILS5_8ELb0ES3_jPlPS6_PKS6_NS0_5tupleIJS9_S6_EEENSD_IJSA_SA_EEENS0_18inequality_wrapperIZN2at6native12_GLOBAL__N_124unique_dim_cuda_templateIbEESt5tupleIJNSH_6TensorESM_SM_EERKSM_lbbbEUlllE0_EEPmJS6_EEE10hipError_tPvRmT3_T4_T5_T6_T7_T9_mT8_P12ihipStream_tbDpT10_ENKUlT_T0_E_clISt17integral_constantIbLb0EES1B_IbLb1EEEEDaS17_S18_EUlS17_E_NS1_11comp_targetILNS1_3genE8ELNS1_11target_archE1030ELNS1_3gpuE2ELNS1_3repE0EEENS1_30default_config_static_selectorELNS0_4arch9wavefront6targetE0EEEvT1_, .Lfunc_end1082-_ZN7rocprim17ROCPRIM_400000_NS6detail17trampoline_kernelINS0_14default_configENS1_25partition_config_selectorILNS1_17partition_subalgoE8ElNS0_10empty_typeEbEEZZNS1_14partition_implILS5_8ELb0ES3_jPlPS6_PKS6_NS0_5tupleIJS9_S6_EEENSD_IJSA_SA_EEENS0_18inequality_wrapperIZN2at6native12_GLOBAL__N_124unique_dim_cuda_templateIbEESt5tupleIJNSH_6TensorESM_SM_EERKSM_lbbbEUlllE0_EEPmJS6_EEE10hipError_tPvRmT3_T4_T5_T6_T7_T9_mT8_P12ihipStream_tbDpT10_ENKUlT_T0_E_clISt17integral_constantIbLb0EES1B_IbLb1EEEEDaS17_S18_EUlS17_E_NS1_11comp_targetILNS1_3genE8ELNS1_11target_archE1030ELNS1_3gpuE2ELNS1_3repE0EEENS1_30default_config_static_selectorELNS0_4arch9wavefront6targetE0EEEvT1_
                                        ; -- End function
	.section	.AMDGPU.csdata,"",@progbits
; Kernel info:
; codeLenInByte = 0
; NumSgprs: 0
; NumVgprs: 0
; ScratchSize: 0
; MemoryBound: 0
; FloatMode: 240
; IeeeMode: 1
; LDSByteSize: 0 bytes/workgroup (compile time only)
; SGPRBlocks: 0
; VGPRBlocks: 0
; NumSGPRsForWavesPerEU: 1
; NumVGPRsForWavesPerEU: 1
; Occupancy: 16
; WaveLimiterHint : 0
; COMPUTE_PGM_RSRC2:SCRATCH_EN: 0
; COMPUTE_PGM_RSRC2:USER_SGPR: 15
; COMPUTE_PGM_RSRC2:TRAP_HANDLER: 0
; COMPUTE_PGM_RSRC2:TGID_X_EN: 1
; COMPUTE_PGM_RSRC2:TGID_Y_EN: 0
; COMPUTE_PGM_RSRC2:TGID_Z_EN: 0
; COMPUTE_PGM_RSRC2:TIDIG_COMP_CNT: 0
	.section	.text._ZN7rocprim17ROCPRIM_400000_NS6detail17trampoline_kernelINS0_14default_configENS1_25partition_config_selectorILNS1_17partition_subalgoE9EllbEEZZNS1_14partition_implILS5_9ELb0ES3_jPlS8_PNS0_10empty_typeENS0_5tupleIJS8_S9_EEENSB_IJS8_SA_EEENS0_18inequality_wrapperIZN2at6native12_GLOBAL__N_124unique_dim_cuda_templateIbEESt5tupleIJNSF_6TensorESK_SK_EERKSK_lbbbEUlllE0_EEPmJS9_EEE10hipError_tPvRmT3_T4_T5_T6_T7_T9_mT8_P12ihipStream_tbDpT10_ENKUlT_T0_E_clISt17integral_constantIbLb0EES1A_EEDaS15_S16_EUlS15_E_NS1_11comp_targetILNS1_3genE0ELNS1_11target_archE4294967295ELNS1_3gpuE0ELNS1_3repE0EEENS1_30default_config_static_selectorELNS0_4arch9wavefront6targetE0EEEvT1_,"axG",@progbits,_ZN7rocprim17ROCPRIM_400000_NS6detail17trampoline_kernelINS0_14default_configENS1_25partition_config_selectorILNS1_17partition_subalgoE9EllbEEZZNS1_14partition_implILS5_9ELb0ES3_jPlS8_PNS0_10empty_typeENS0_5tupleIJS8_S9_EEENSB_IJS8_SA_EEENS0_18inequality_wrapperIZN2at6native12_GLOBAL__N_124unique_dim_cuda_templateIbEESt5tupleIJNSF_6TensorESK_SK_EERKSK_lbbbEUlllE0_EEPmJS9_EEE10hipError_tPvRmT3_T4_T5_T6_T7_T9_mT8_P12ihipStream_tbDpT10_ENKUlT_T0_E_clISt17integral_constantIbLb0EES1A_EEDaS15_S16_EUlS15_E_NS1_11comp_targetILNS1_3genE0ELNS1_11target_archE4294967295ELNS1_3gpuE0ELNS1_3repE0EEENS1_30default_config_static_selectorELNS0_4arch9wavefront6targetE0EEEvT1_,comdat
	.globl	_ZN7rocprim17ROCPRIM_400000_NS6detail17trampoline_kernelINS0_14default_configENS1_25partition_config_selectorILNS1_17partition_subalgoE9EllbEEZZNS1_14partition_implILS5_9ELb0ES3_jPlS8_PNS0_10empty_typeENS0_5tupleIJS8_S9_EEENSB_IJS8_SA_EEENS0_18inequality_wrapperIZN2at6native12_GLOBAL__N_124unique_dim_cuda_templateIbEESt5tupleIJNSF_6TensorESK_SK_EERKSK_lbbbEUlllE0_EEPmJS9_EEE10hipError_tPvRmT3_T4_T5_T6_T7_T9_mT8_P12ihipStream_tbDpT10_ENKUlT_T0_E_clISt17integral_constantIbLb0EES1A_EEDaS15_S16_EUlS15_E_NS1_11comp_targetILNS1_3genE0ELNS1_11target_archE4294967295ELNS1_3gpuE0ELNS1_3repE0EEENS1_30default_config_static_selectorELNS0_4arch9wavefront6targetE0EEEvT1_ ; -- Begin function _ZN7rocprim17ROCPRIM_400000_NS6detail17trampoline_kernelINS0_14default_configENS1_25partition_config_selectorILNS1_17partition_subalgoE9EllbEEZZNS1_14partition_implILS5_9ELb0ES3_jPlS8_PNS0_10empty_typeENS0_5tupleIJS8_S9_EEENSB_IJS8_SA_EEENS0_18inequality_wrapperIZN2at6native12_GLOBAL__N_124unique_dim_cuda_templateIbEESt5tupleIJNSF_6TensorESK_SK_EERKSK_lbbbEUlllE0_EEPmJS9_EEE10hipError_tPvRmT3_T4_T5_T6_T7_T9_mT8_P12ihipStream_tbDpT10_ENKUlT_T0_E_clISt17integral_constantIbLb0EES1A_EEDaS15_S16_EUlS15_E_NS1_11comp_targetILNS1_3genE0ELNS1_11target_archE4294967295ELNS1_3gpuE0ELNS1_3repE0EEENS1_30default_config_static_selectorELNS0_4arch9wavefront6targetE0EEEvT1_
	.p2align	8
	.type	_ZN7rocprim17ROCPRIM_400000_NS6detail17trampoline_kernelINS0_14default_configENS1_25partition_config_selectorILNS1_17partition_subalgoE9EllbEEZZNS1_14partition_implILS5_9ELb0ES3_jPlS8_PNS0_10empty_typeENS0_5tupleIJS8_S9_EEENSB_IJS8_SA_EEENS0_18inequality_wrapperIZN2at6native12_GLOBAL__N_124unique_dim_cuda_templateIbEESt5tupleIJNSF_6TensorESK_SK_EERKSK_lbbbEUlllE0_EEPmJS9_EEE10hipError_tPvRmT3_T4_T5_T6_T7_T9_mT8_P12ihipStream_tbDpT10_ENKUlT_T0_E_clISt17integral_constantIbLb0EES1A_EEDaS15_S16_EUlS15_E_NS1_11comp_targetILNS1_3genE0ELNS1_11target_archE4294967295ELNS1_3gpuE0ELNS1_3repE0EEENS1_30default_config_static_selectorELNS0_4arch9wavefront6targetE0EEEvT1_,@function
_ZN7rocprim17ROCPRIM_400000_NS6detail17trampoline_kernelINS0_14default_configENS1_25partition_config_selectorILNS1_17partition_subalgoE9EllbEEZZNS1_14partition_implILS5_9ELb0ES3_jPlS8_PNS0_10empty_typeENS0_5tupleIJS8_S9_EEENSB_IJS8_SA_EEENS0_18inequality_wrapperIZN2at6native12_GLOBAL__N_124unique_dim_cuda_templateIbEESt5tupleIJNSF_6TensorESK_SK_EERKSK_lbbbEUlllE0_EEPmJS9_EEE10hipError_tPvRmT3_T4_T5_T6_T7_T9_mT8_P12ihipStream_tbDpT10_ENKUlT_T0_E_clISt17integral_constantIbLb0EES1A_EEDaS15_S16_EUlS15_E_NS1_11comp_targetILNS1_3genE0ELNS1_11target_archE4294967295ELNS1_3gpuE0ELNS1_3repE0EEENS1_30default_config_static_selectorELNS0_4arch9wavefront6targetE0EEEvT1_: ; @_ZN7rocprim17ROCPRIM_400000_NS6detail17trampoline_kernelINS0_14default_configENS1_25partition_config_selectorILNS1_17partition_subalgoE9EllbEEZZNS1_14partition_implILS5_9ELb0ES3_jPlS8_PNS0_10empty_typeENS0_5tupleIJS8_S9_EEENSB_IJS8_SA_EEENS0_18inequality_wrapperIZN2at6native12_GLOBAL__N_124unique_dim_cuda_templateIbEESt5tupleIJNSF_6TensorESK_SK_EERKSK_lbbbEUlllE0_EEPmJS9_EEE10hipError_tPvRmT3_T4_T5_T6_T7_T9_mT8_P12ihipStream_tbDpT10_ENKUlT_T0_E_clISt17integral_constantIbLb0EES1A_EEDaS15_S16_EUlS15_E_NS1_11comp_targetILNS1_3genE0ELNS1_11target_archE4294967295ELNS1_3gpuE0ELNS1_3repE0EEENS1_30default_config_static_selectorELNS0_4arch9wavefront6targetE0EEEvT1_
; %bb.0:
	.section	.rodata,"a",@progbits
	.p2align	6, 0x0
	.amdhsa_kernel _ZN7rocprim17ROCPRIM_400000_NS6detail17trampoline_kernelINS0_14default_configENS1_25partition_config_selectorILNS1_17partition_subalgoE9EllbEEZZNS1_14partition_implILS5_9ELb0ES3_jPlS8_PNS0_10empty_typeENS0_5tupleIJS8_S9_EEENSB_IJS8_SA_EEENS0_18inequality_wrapperIZN2at6native12_GLOBAL__N_124unique_dim_cuda_templateIbEESt5tupleIJNSF_6TensorESK_SK_EERKSK_lbbbEUlllE0_EEPmJS9_EEE10hipError_tPvRmT3_T4_T5_T6_T7_T9_mT8_P12ihipStream_tbDpT10_ENKUlT_T0_E_clISt17integral_constantIbLb0EES1A_EEDaS15_S16_EUlS15_E_NS1_11comp_targetILNS1_3genE0ELNS1_11target_archE4294967295ELNS1_3gpuE0ELNS1_3repE0EEENS1_30default_config_static_selectorELNS0_4arch9wavefront6targetE0EEEvT1_
		.amdhsa_group_segment_fixed_size 0
		.amdhsa_private_segment_fixed_size 0
		.amdhsa_kernarg_size 120
		.amdhsa_user_sgpr_count 15
		.amdhsa_user_sgpr_dispatch_ptr 0
		.amdhsa_user_sgpr_queue_ptr 0
		.amdhsa_user_sgpr_kernarg_segment_ptr 1
		.amdhsa_user_sgpr_dispatch_id 0
		.amdhsa_user_sgpr_private_segment_size 0
		.amdhsa_wavefront_size32 1
		.amdhsa_uses_dynamic_stack 0
		.amdhsa_enable_private_segment 0
		.amdhsa_system_sgpr_workgroup_id_x 1
		.amdhsa_system_sgpr_workgroup_id_y 0
		.amdhsa_system_sgpr_workgroup_id_z 0
		.amdhsa_system_sgpr_workgroup_info 0
		.amdhsa_system_vgpr_workitem_id 0
		.amdhsa_next_free_vgpr 1
		.amdhsa_next_free_sgpr 1
		.amdhsa_reserve_vcc 0
		.amdhsa_float_round_mode_32 0
		.amdhsa_float_round_mode_16_64 0
		.amdhsa_float_denorm_mode_32 3
		.amdhsa_float_denorm_mode_16_64 3
		.amdhsa_dx10_clamp 1
		.amdhsa_ieee_mode 1
		.amdhsa_fp16_overflow 0
		.amdhsa_workgroup_processor_mode 1
		.amdhsa_memory_ordered 1
		.amdhsa_forward_progress 0
		.amdhsa_shared_vgpr_count 0
		.amdhsa_exception_fp_ieee_invalid_op 0
		.amdhsa_exception_fp_denorm_src 0
		.amdhsa_exception_fp_ieee_div_zero 0
		.amdhsa_exception_fp_ieee_overflow 0
		.amdhsa_exception_fp_ieee_underflow 0
		.amdhsa_exception_fp_ieee_inexact 0
		.amdhsa_exception_int_div_zero 0
	.end_amdhsa_kernel
	.section	.text._ZN7rocprim17ROCPRIM_400000_NS6detail17trampoline_kernelINS0_14default_configENS1_25partition_config_selectorILNS1_17partition_subalgoE9EllbEEZZNS1_14partition_implILS5_9ELb0ES3_jPlS8_PNS0_10empty_typeENS0_5tupleIJS8_S9_EEENSB_IJS8_SA_EEENS0_18inequality_wrapperIZN2at6native12_GLOBAL__N_124unique_dim_cuda_templateIbEESt5tupleIJNSF_6TensorESK_SK_EERKSK_lbbbEUlllE0_EEPmJS9_EEE10hipError_tPvRmT3_T4_T5_T6_T7_T9_mT8_P12ihipStream_tbDpT10_ENKUlT_T0_E_clISt17integral_constantIbLb0EES1A_EEDaS15_S16_EUlS15_E_NS1_11comp_targetILNS1_3genE0ELNS1_11target_archE4294967295ELNS1_3gpuE0ELNS1_3repE0EEENS1_30default_config_static_selectorELNS0_4arch9wavefront6targetE0EEEvT1_,"axG",@progbits,_ZN7rocprim17ROCPRIM_400000_NS6detail17trampoline_kernelINS0_14default_configENS1_25partition_config_selectorILNS1_17partition_subalgoE9EllbEEZZNS1_14partition_implILS5_9ELb0ES3_jPlS8_PNS0_10empty_typeENS0_5tupleIJS8_S9_EEENSB_IJS8_SA_EEENS0_18inequality_wrapperIZN2at6native12_GLOBAL__N_124unique_dim_cuda_templateIbEESt5tupleIJNSF_6TensorESK_SK_EERKSK_lbbbEUlllE0_EEPmJS9_EEE10hipError_tPvRmT3_T4_T5_T6_T7_T9_mT8_P12ihipStream_tbDpT10_ENKUlT_T0_E_clISt17integral_constantIbLb0EES1A_EEDaS15_S16_EUlS15_E_NS1_11comp_targetILNS1_3genE0ELNS1_11target_archE4294967295ELNS1_3gpuE0ELNS1_3repE0EEENS1_30default_config_static_selectorELNS0_4arch9wavefront6targetE0EEEvT1_,comdat
.Lfunc_end1083:
	.size	_ZN7rocprim17ROCPRIM_400000_NS6detail17trampoline_kernelINS0_14default_configENS1_25partition_config_selectorILNS1_17partition_subalgoE9EllbEEZZNS1_14partition_implILS5_9ELb0ES3_jPlS8_PNS0_10empty_typeENS0_5tupleIJS8_S9_EEENSB_IJS8_SA_EEENS0_18inequality_wrapperIZN2at6native12_GLOBAL__N_124unique_dim_cuda_templateIbEESt5tupleIJNSF_6TensorESK_SK_EERKSK_lbbbEUlllE0_EEPmJS9_EEE10hipError_tPvRmT3_T4_T5_T6_T7_T9_mT8_P12ihipStream_tbDpT10_ENKUlT_T0_E_clISt17integral_constantIbLb0EES1A_EEDaS15_S16_EUlS15_E_NS1_11comp_targetILNS1_3genE0ELNS1_11target_archE4294967295ELNS1_3gpuE0ELNS1_3repE0EEENS1_30default_config_static_selectorELNS0_4arch9wavefront6targetE0EEEvT1_, .Lfunc_end1083-_ZN7rocprim17ROCPRIM_400000_NS6detail17trampoline_kernelINS0_14default_configENS1_25partition_config_selectorILNS1_17partition_subalgoE9EllbEEZZNS1_14partition_implILS5_9ELb0ES3_jPlS8_PNS0_10empty_typeENS0_5tupleIJS8_S9_EEENSB_IJS8_SA_EEENS0_18inequality_wrapperIZN2at6native12_GLOBAL__N_124unique_dim_cuda_templateIbEESt5tupleIJNSF_6TensorESK_SK_EERKSK_lbbbEUlllE0_EEPmJS9_EEE10hipError_tPvRmT3_T4_T5_T6_T7_T9_mT8_P12ihipStream_tbDpT10_ENKUlT_T0_E_clISt17integral_constantIbLb0EES1A_EEDaS15_S16_EUlS15_E_NS1_11comp_targetILNS1_3genE0ELNS1_11target_archE4294967295ELNS1_3gpuE0ELNS1_3repE0EEENS1_30default_config_static_selectorELNS0_4arch9wavefront6targetE0EEEvT1_
                                        ; -- End function
	.section	.AMDGPU.csdata,"",@progbits
; Kernel info:
; codeLenInByte = 0
; NumSgprs: 0
; NumVgprs: 0
; ScratchSize: 0
; MemoryBound: 0
; FloatMode: 240
; IeeeMode: 1
; LDSByteSize: 0 bytes/workgroup (compile time only)
; SGPRBlocks: 0
; VGPRBlocks: 0
; NumSGPRsForWavesPerEU: 1
; NumVGPRsForWavesPerEU: 1
; Occupancy: 16
; WaveLimiterHint : 0
; COMPUTE_PGM_RSRC2:SCRATCH_EN: 0
; COMPUTE_PGM_RSRC2:USER_SGPR: 15
; COMPUTE_PGM_RSRC2:TRAP_HANDLER: 0
; COMPUTE_PGM_RSRC2:TGID_X_EN: 1
; COMPUTE_PGM_RSRC2:TGID_Y_EN: 0
; COMPUTE_PGM_RSRC2:TGID_Z_EN: 0
; COMPUTE_PGM_RSRC2:TIDIG_COMP_CNT: 0
	.section	.text._ZN7rocprim17ROCPRIM_400000_NS6detail17trampoline_kernelINS0_14default_configENS1_25partition_config_selectorILNS1_17partition_subalgoE9EllbEEZZNS1_14partition_implILS5_9ELb0ES3_jPlS8_PNS0_10empty_typeENS0_5tupleIJS8_S9_EEENSB_IJS8_SA_EEENS0_18inequality_wrapperIZN2at6native12_GLOBAL__N_124unique_dim_cuda_templateIbEESt5tupleIJNSF_6TensorESK_SK_EERKSK_lbbbEUlllE0_EEPmJS9_EEE10hipError_tPvRmT3_T4_T5_T6_T7_T9_mT8_P12ihipStream_tbDpT10_ENKUlT_T0_E_clISt17integral_constantIbLb0EES1A_EEDaS15_S16_EUlS15_E_NS1_11comp_targetILNS1_3genE5ELNS1_11target_archE942ELNS1_3gpuE9ELNS1_3repE0EEENS1_30default_config_static_selectorELNS0_4arch9wavefront6targetE0EEEvT1_,"axG",@progbits,_ZN7rocprim17ROCPRIM_400000_NS6detail17trampoline_kernelINS0_14default_configENS1_25partition_config_selectorILNS1_17partition_subalgoE9EllbEEZZNS1_14partition_implILS5_9ELb0ES3_jPlS8_PNS0_10empty_typeENS0_5tupleIJS8_S9_EEENSB_IJS8_SA_EEENS0_18inequality_wrapperIZN2at6native12_GLOBAL__N_124unique_dim_cuda_templateIbEESt5tupleIJNSF_6TensorESK_SK_EERKSK_lbbbEUlllE0_EEPmJS9_EEE10hipError_tPvRmT3_T4_T5_T6_T7_T9_mT8_P12ihipStream_tbDpT10_ENKUlT_T0_E_clISt17integral_constantIbLb0EES1A_EEDaS15_S16_EUlS15_E_NS1_11comp_targetILNS1_3genE5ELNS1_11target_archE942ELNS1_3gpuE9ELNS1_3repE0EEENS1_30default_config_static_selectorELNS0_4arch9wavefront6targetE0EEEvT1_,comdat
	.globl	_ZN7rocprim17ROCPRIM_400000_NS6detail17trampoline_kernelINS0_14default_configENS1_25partition_config_selectorILNS1_17partition_subalgoE9EllbEEZZNS1_14partition_implILS5_9ELb0ES3_jPlS8_PNS0_10empty_typeENS0_5tupleIJS8_S9_EEENSB_IJS8_SA_EEENS0_18inequality_wrapperIZN2at6native12_GLOBAL__N_124unique_dim_cuda_templateIbEESt5tupleIJNSF_6TensorESK_SK_EERKSK_lbbbEUlllE0_EEPmJS9_EEE10hipError_tPvRmT3_T4_T5_T6_T7_T9_mT8_P12ihipStream_tbDpT10_ENKUlT_T0_E_clISt17integral_constantIbLb0EES1A_EEDaS15_S16_EUlS15_E_NS1_11comp_targetILNS1_3genE5ELNS1_11target_archE942ELNS1_3gpuE9ELNS1_3repE0EEENS1_30default_config_static_selectorELNS0_4arch9wavefront6targetE0EEEvT1_ ; -- Begin function _ZN7rocprim17ROCPRIM_400000_NS6detail17trampoline_kernelINS0_14default_configENS1_25partition_config_selectorILNS1_17partition_subalgoE9EllbEEZZNS1_14partition_implILS5_9ELb0ES3_jPlS8_PNS0_10empty_typeENS0_5tupleIJS8_S9_EEENSB_IJS8_SA_EEENS0_18inequality_wrapperIZN2at6native12_GLOBAL__N_124unique_dim_cuda_templateIbEESt5tupleIJNSF_6TensorESK_SK_EERKSK_lbbbEUlllE0_EEPmJS9_EEE10hipError_tPvRmT3_T4_T5_T6_T7_T9_mT8_P12ihipStream_tbDpT10_ENKUlT_T0_E_clISt17integral_constantIbLb0EES1A_EEDaS15_S16_EUlS15_E_NS1_11comp_targetILNS1_3genE5ELNS1_11target_archE942ELNS1_3gpuE9ELNS1_3repE0EEENS1_30default_config_static_selectorELNS0_4arch9wavefront6targetE0EEEvT1_
	.p2align	8
	.type	_ZN7rocprim17ROCPRIM_400000_NS6detail17trampoline_kernelINS0_14default_configENS1_25partition_config_selectorILNS1_17partition_subalgoE9EllbEEZZNS1_14partition_implILS5_9ELb0ES3_jPlS8_PNS0_10empty_typeENS0_5tupleIJS8_S9_EEENSB_IJS8_SA_EEENS0_18inequality_wrapperIZN2at6native12_GLOBAL__N_124unique_dim_cuda_templateIbEESt5tupleIJNSF_6TensorESK_SK_EERKSK_lbbbEUlllE0_EEPmJS9_EEE10hipError_tPvRmT3_T4_T5_T6_T7_T9_mT8_P12ihipStream_tbDpT10_ENKUlT_T0_E_clISt17integral_constantIbLb0EES1A_EEDaS15_S16_EUlS15_E_NS1_11comp_targetILNS1_3genE5ELNS1_11target_archE942ELNS1_3gpuE9ELNS1_3repE0EEENS1_30default_config_static_selectorELNS0_4arch9wavefront6targetE0EEEvT1_,@function
_ZN7rocprim17ROCPRIM_400000_NS6detail17trampoline_kernelINS0_14default_configENS1_25partition_config_selectorILNS1_17partition_subalgoE9EllbEEZZNS1_14partition_implILS5_9ELb0ES3_jPlS8_PNS0_10empty_typeENS0_5tupleIJS8_S9_EEENSB_IJS8_SA_EEENS0_18inequality_wrapperIZN2at6native12_GLOBAL__N_124unique_dim_cuda_templateIbEESt5tupleIJNSF_6TensorESK_SK_EERKSK_lbbbEUlllE0_EEPmJS9_EEE10hipError_tPvRmT3_T4_T5_T6_T7_T9_mT8_P12ihipStream_tbDpT10_ENKUlT_T0_E_clISt17integral_constantIbLb0EES1A_EEDaS15_S16_EUlS15_E_NS1_11comp_targetILNS1_3genE5ELNS1_11target_archE942ELNS1_3gpuE9ELNS1_3repE0EEENS1_30default_config_static_selectorELNS0_4arch9wavefront6targetE0EEEvT1_: ; @_ZN7rocprim17ROCPRIM_400000_NS6detail17trampoline_kernelINS0_14default_configENS1_25partition_config_selectorILNS1_17partition_subalgoE9EllbEEZZNS1_14partition_implILS5_9ELb0ES3_jPlS8_PNS0_10empty_typeENS0_5tupleIJS8_S9_EEENSB_IJS8_SA_EEENS0_18inequality_wrapperIZN2at6native12_GLOBAL__N_124unique_dim_cuda_templateIbEESt5tupleIJNSF_6TensorESK_SK_EERKSK_lbbbEUlllE0_EEPmJS9_EEE10hipError_tPvRmT3_T4_T5_T6_T7_T9_mT8_P12ihipStream_tbDpT10_ENKUlT_T0_E_clISt17integral_constantIbLb0EES1A_EEDaS15_S16_EUlS15_E_NS1_11comp_targetILNS1_3genE5ELNS1_11target_archE942ELNS1_3gpuE9ELNS1_3repE0EEENS1_30default_config_static_selectorELNS0_4arch9wavefront6targetE0EEEvT1_
; %bb.0:
	.section	.rodata,"a",@progbits
	.p2align	6, 0x0
	.amdhsa_kernel _ZN7rocprim17ROCPRIM_400000_NS6detail17trampoline_kernelINS0_14default_configENS1_25partition_config_selectorILNS1_17partition_subalgoE9EllbEEZZNS1_14partition_implILS5_9ELb0ES3_jPlS8_PNS0_10empty_typeENS0_5tupleIJS8_S9_EEENSB_IJS8_SA_EEENS0_18inequality_wrapperIZN2at6native12_GLOBAL__N_124unique_dim_cuda_templateIbEESt5tupleIJNSF_6TensorESK_SK_EERKSK_lbbbEUlllE0_EEPmJS9_EEE10hipError_tPvRmT3_T4_T5_T6_T7_T9_mT8_P12ihipStream_tbDpT10_ENKUlT_T0_E_clISt17integral_constantIbLb0EES1A_EEDaS15_S16_EUlS15_E_NS1_11comp_targetILNS1_3genE5ELNS1_11target_archE942ELNS1_3gpuE9ELNS1_3repE0EEENS1_30default_config_static_selectorELNS0_4arch9wavefront6targetE0EEEvT1_
		.amdhsa_group_segment_fixed_size 0
		.amdhsa_private_segment_fixed_size 0
		.amdhsa_kernarg_size 120
		.amdhsa_user_sgpr_count 15
		.amdhsa_user_sgpr_dispatch_ptr 0
		.amdhsa_user_sgpr_queue_ptr 0
		.amdhsa_user_sgpr_kernarg_segment_ptr 1
		.amdhsa_user_sgpr_dispatch_id 0
		.amdhsa_user_sgpr_private_segment_size 0
		.amdhsa_wavefront_size32 1
		.amdhsa_uses_dynamic_stack 0
		.amdhsa_enable_private_segment 0
		.amdhsa_system_sgpr_workgroup_id_x 1
		.amdhsa_system_sgpr_workgroup_id_y 0
		.amdhsa_system_sgpr_workgroup_id_z 0
		.amdhsa_system_sgpr_workgroup_info 0
		.amdhsa_system_vgpr_workitem_id 0
		.amdhsa_next_free_vgpr 1
		.amdhsa_next_free_sgpr 1
		.amdhsa_reserve_vcc 0
		.amdhsa_float_round_mode_32 0
		.amdhsa_float_round_mode_16_64 0
		.amdhsa_float_denorm_mode_32 3
		.amdhsa_float_denorm_mode_16_64 3
		.amdhsa_dx10_clamp 1
		.amdhsa_ieee_mode 1
		.amdhsa_fp16_overflow 0
		.amdhsa_workgroup_processor_mode 1
		.amdhsa_memory_ordered 1
		.amdhsa_forward_progress 0
		.amdhsa_shared_vgpr_count 0
		.amdhsa_exception_fp_ieee_invalid_op 0
		.amdhsa_exception_fp_denorm_src 0
		.amdhsa_exception_fp_ieee_div_zero 0
		.amdhsa_exception_fp_ieee_overflow 0
		.amdhsa_exception_fp_ieee_underflow 0
		.amdhsa_exception_fp_ieee_inexact 0
		.amdhsa_exception_int_div_zero 0
	.end_amdhsa_kernel
	.section	.text._ZN7rocprim17ROCPRIM_400000_NS6detail17trampoline_kernelINS0_14default_configENS1_25partition_config_selectorILNS1_17partition_subalgoE9EllbEEZZNS1_14partition_implILS5_9ELb0ES3_jPlS8_PNS0_10empty_typeENS0_5tupleIJS8_S9_EEENSB_IJS8_SA_EEENS0_18inequality_wrapperIZN2at6native12_GLOBAL__N_124unique_dim_cuda_templateIbEESt5tupleIJNSF_6TensorESK_SK_EERKSK_lbbbEUlllE0_EEPmJS9_EEE10hipError_tPvRmT3_T4_T5_T6_T7_T9_mT8_P12ihipStream_tbDpT10_ENKUlT_T0_E_clISt17integral_constantIbLb0EES1A_EEDaS15_S16_EUlS15_E_NS1_11comp_targetILNS1_3genE5ELNS1_11target_archE942ELNS1_3gpuE9ELNS1_3repE0EEENS1_30default_config_static_selectorELNS0_4arch9wavefront6targetE0EEEvT1_,"axG",@progbits,_ZN7rocprim17ROCPRIM_400000_NS6detail17trampoline_kernelINS0_14default_configENS1_25partition_config_selectorILNS1_17partition_subalgoE9EllbEEZZNS1_14partition_implILS5_9ELb0ES3_jPlS8_PNS0_10empty_typeENS0_5tupleIJS8_S9_EEENSB_IJS8_SA_EEENS0_18inequality_wrapperIZN2at6native12_GLOBAL__N_124unique_dim_cuda_templateIbEESt5tupleIJNSF_6TensorESK_SK_EERKSK_lbbbEUlllE0_EEPmJS9_EEE10hipError_tPvRmT3_T4_T5_T6_T7_T9_mT8_P12ihipStream_tbDpT10_ENKUlT_T0_E_clISt17integral_constantIbLb0EES1A_EEDaS15_S16_EUlS15_E_NS1_11comp_targetILNS1_3genE5ELNS1_11target_archE942ELNS1_3gpuE9ELNS1_3repE0EEENS1_30default_config_static_selectorELNS0_4arch9wavefront6targetE0EEEvT1_,comdat
.Lfunc_end1084:
	.size	_ZN7rocprim17ROCPRIM_400000_NS6detail17trampoline_kernelINS0_14default_configENS1_25partition_config_selectorILNS1_17partition_subalgoE9EllbEEZZNS1_14partition_implILS5_9ELb0ES3_jPlS8_PNS0_10empty_typeENS0_5tupleIJS8_S9_EEENSB_IJS8_SA_EEENS0_18inequality_wrapperIZN2at6native12_GLOBAL__N_124unique_dim_cuda_templateIbEESt5tupleIJNSF_6TensorESK_SK_EERKSK_lbbbEUlllE0_EEPmJS9_EEE10hipError_tPvRmT3_T4_T5_T6_T7_T9_mT8_P12ihipStream_tbDpT10_ENKUlT_T0_E_clISt17integral_constantIbLb0EES1A_EEDaS15_S16_EUlS15_E_NS1_11comp_targetILNS1_3genE5ELNS1_11target_archE942ELNS1_3gpuE9ELNS1_3repE0EEENS1_30default_config_static_selectorELNS0_4arch9wavefront6targetE0EEEvT1_, .Lfunc_end1084-_ZN7rocprim17ROCPRIM_400000_NS6detail17trampoline_kernelINS0_14default_configENS1_25partition_config_selectorILNS1_17partition_subalgoE9EllbEEZZNS1_14partition_implILS5_9ELb0ES3_jPlS8_PNS0_10empty_typeENS0_5tupleIJS8_S9_EEENSB_IJS8_SA_EEENS0_18inequality_wrapperIZN2at6native12_GLOBAL__N_124unique_dim_cuda_templateIbEESt5tupleIJNSF_6TensorESK_SK_EERKSK_lbbbEUlllE0_EEPmJS9_EEE10hipError_tPvRmT3_T4_T5_T6_T7_T9_mT8_P12ihipStream_tbDpT10_ENKUlT_T0_E_clISt17integral_constantIbLb0EES1A_EEDaS15_S16_EUlS15_E_NS1_11comp_targetILNS1_3genE5ELNS1_11target_archE942ELNS1_3gpuE9ELNS1_3repE0EEENS1_30default_config_static_selectorELNS0_4arch9wavefront6targetE0EEEvT1_
                                        ; -- End function
	.section	.AMDGPU.csdata,"",@progbits
; Kernel info:
; codeLenInByte = 0
; NumSgprs: 0
; NumVgprs: 0
; ScratchSize: 0
; MemoryBound: 0
; FloatMode: 240
; IeeeMode: 1
; LDSByteSize: 0 bytes/workgroup (compile time only)
; SGPRBlocks: 0
; VGPRBlocks: 0
; NumSGPRsForWavesPerEU: 1
; NumVGPRsForWavesPerEU: 1
; Occupancy: 16
; WaveLimiterHint : 0
; COMPUTE_PGM_RSRC2:SCRATCH_EN: 0
; COMPUTE_PGM_RSRC2:USER_SGPR: 15
; COMPUTE_PGM_RSRC2:TRAP_HANDLER: 0
; COMPUTE_PGM_RSRC2:TGID_X_EN: 1
; COMPUTE_PGM_RSRC2:TGID_Y_EN: 0
; COMPUTE_PGM_RSRC2:TGID_Z_EN: 0
; COMPUTE_PGM_RSRC2:TIDIG_COMP_CNT: 0
	.section	.text._ZN7rocprim17ROCPRIM_400000_NS6detail17trampoline_kernelINS0_14default_configENS1_25partition_config_selectorILNS1_17partition_subalgoE9EllbEEZZNS1_14partition_implILS5_9ELb0ES3_jPlS8_PNS0_10empty_typeENS0_5tupleIJS8_S9_EEENSB_IJS8_SA_EEENS0_18inequality_wrapperIZN2at6native12_GLOBAL__N_124unique_dim_cuda_templateIbEESt5tupleIJNSF_6TensorESK_SK_EERKSK_lbbbEUlllE0_EEPmJS9_EEE10hipError_tPvRmT3_T4_T5_T6_T7_T9_mT8_P12ihipStream_tbDpT10_ENKUlT_T0_E_clISt17integral_constantIbLb0EES1A_EEDaS15_S16_EUlS15_E_NS1_11comp_targetILNS1_3genE4ELNS1_11target_archE910ELNS1_3gpuE8ELNS1_3repE0EEENS1_30default_config_static_selectorELNS0_4arch9wavefront6targetE0EEEvT1_,"axG",@progbits,_ZN7rocprim17ROCPRIM_400000_NS6detail17trampoline_kernelINS0_14default_configENS1_25partition_config_selectorILNS1_17partition_subalgoE9EllbEEZZNS1_14partition_implILS5_9ELb0ES3_jPlS8_PNS0_10empty_typeENS0_5tupleIJS8_S9_EEENSB_IJS8_SA_EEENS0_18inequality_wrapperIZN2at6native12_GLOBAL__N_124unique_dim_cuda_templateIbEESt5tupleIJNSF_6TensorESK_SK_EERKSK_lbbbEUlllE0_EEPmJS9_EEE10hipError_tPvRmT3_T4_T5_T6_T7_T9_mT8_P12ihipStream_tbDpT10_ENKUlT_T0_E_clISt17integral_constantIbLb0EES1A_EEDaS15_S16_EUlS15_E_NS1_11comp_targetILNS1_3genE4ELNS1_11target_archE910ELNS1_3gpuE8ELNS1_3repE0EEENS1_30default_config_static_selectorELNS0_4arch9wavefront6targetE0EEEvT1_,comdat
	.globl	_ZN7rocprim17ROCPRIM_400000_NS6detail17trampoline_kernelINS0_14default_configENS1_25partition_config_selectorILNS1_17partition_subalgoE9EllbEEZZNS1_14partition_implILS5_9ELb0ES3_jPlS8_PNS0_10empty_typeENS0_5tupleIJS8_S9_EEENSB_IJS8_SA_EEENS0_18inequality_wrapperIZN2at6native12_GLOBAL__N_124unique_dim_cuda_templateIbEESt5tupleIJNSF_6TensorESK_SK_EERKSK_lbbbEUlllE0_EEPmJS9_EEE10hipError_tPvRmT3_T4_T5_T6_T7_T9_mT8_P12ihipStream_tbDpT10_ENKUlT_T0_E_clISt17integral_constantIbLb0EES1A_EEDaS15_S16_EUlS15_E_NS1_11comp_targetILNS1_3genE4ELNS1_11target_archE910ELNS1_3gpuE8ELNS1_3repE0EEENS1_30default_config_static_selectorELNS0_4arch9wavefront6targetE0EEEvT1_ ; -- Begin function _ZN7rocprim17ROCPRIM_400000_NS6detail17trampoline_kernelINS0_14default_configENS1_25partition_config_selectorILNS1_17partition_subalgoE9EllbEEZZNS1_14partition_implILS5_9ELb0ES3_jPlS8_PNS0_10empty_typeENS0_5tupleIJS8_S9_EEENSB_IJS8_SA_EEENS0_18inequality_wrapperIZN2at6native12_GLOBAL__N_124unique_dim_cuda_templateIbEESt5tupleIJNSF_6TensorESK_SK_EERKSK_lbbbEUlllE0_EEPmJS9_EEE10hipError_tPvRmT3_T4_T5_T6_T7_T9_mT8_P12ihipStream_tbDpT10_ENKUlT_T0_E_clISt17integral_constantIbLb0EES1A_EEDaS15_S16_EUlS15_E_NS1_11comp_targetILNS1_3genE4ELNS1_11target_archE910ELNS1_3gpuE8ELNS1_3repE0EEENS1_30default_config_static_selectorELNS0_4arch9wavefront6targetE0EEEvT1_
	.p2align	8
	.type	_ZN7rocprim17ROCPRIM_400000_NS6detail17trampoline_kernelINS0_14default_configENS1_25partition_config_selectorILNS1_17partition_subalgoE9EllbEEZZNS1_14partition_implILS5_9ELb0ES3_jPlS8_PNS0_10empty_typeENS0_5tupleIJS8_S9_EEENSB_IJS8_SA_EEENS0_18inequality_wrapperIZN2at6native12_GLOBAL__N_124unique_dim_cuda_templateIbEESt5tupleIJNSF_6TensorESK_SK_EERKSK_lbbbEUlllE0_EEPmJS9_EEE10hipError_tPvRmT3_T4_T5_T6_T7_T9_mT8_P12ihipStream_tbDpT10_ENKUlT_T0_E_clISt17integral_constantIbLb0EES1A_EEDaS15_S16_EUlS15_E_NS1_11comp_targetILNS1_3genE4ELNS1_11target_archE910ELNS1_3gpuE8ELNS1_3repE0EEENS1_30default_config_static_selectorELNS0_4arch9wavefront6targetE0EEEvT1_,@function
_ZN7rocprim17ROCPRIM_400000_NS6detail17trampoline_kernelINS0_14default_configENS1_25partition_config_selectorILNS1_17partition_subalgoE9EllbEEZZNS1_14partition_implILS5_9ELb0ES3_jPlS8_PNS0_10empty_typeENS0_5tupleIJS8_S9_EEENSB_IJS8_SA_EEENS0_18inequality_wrapperIZN2at6native12_GLOBAL__N_124unique_dim_cuda_templateIbEESt5tupleIJNSF_6TensorESK_SK_EERKSK_lbbbEUlllE0_EEPmJS9_EEE10hipError_tPvRmT3_T4_T5_T6_T7_T9_mT8_P12ihipStream_tbDpT10_ENKUlT_T0_E_clISt17integral_constantIbLb0EES1A_EEDaS15_S16_EUlS15_E_NS1_11comp_targetILNS1_3genE4ELNS1_11target_archE910ELNS1_3gpuE8ELNS1_3repE0EEENS1_30default_config_static_selectorELNS0_4arch9wavefront6targetE0EEEvT1_: ; @_ZN7rocprim17ROCPRIM_400000_NS6detail17trampoline_kernelINS0_14default_configENS1_25partition_config_selectorILNS1_17partition_subalgoE9EllbEEZZNS1_14partition_implILS5_9ELb0ES3_jPlS8_PNS0_10empty_typeENS0_5tupleIJS8_S9_EEENSB_IJS8_SA_EEENS0_18inequality_wrapperIZN2at6native12_GLOBAL__N_124unique_dim_cuda_templateIbEESt5tupleIJNSF_6TensorESK_SK_EERKSK_lbbbEUlllE0_EEPmJS9_EEE10hipError_tPvRmT3_T4_T5_T6_T7_T9_mT8_P12ihipStream_tbDpT10_ENKUlT_T0_E_clISt17integral_constantIbLb0EES1A_EEDaS15_S16_EUlS15_E_NS1_11comp_targetILNS1_3genE4ELNS1_11target_archE910ELNS1_3gpuE8ELNS1_3repE0EEENS1_30default_config_static_selectorELNS0_4arch9wavefront6targetE0EEEvT1_
; %bb.0:
	.section	.rodata,"a",@progbits
	.p2align	6, 0x0
	.amdhsa_kernel _ZN7rocprim17ROCPRIM_400000_NS6detail17trampoline_kernelINS0_14default_configENS1_25partition_config_selectorILNS1_17partition_subalgoE9EllbEEZZNS1_14partition_implILS5_9ELb0ES3_jPlS8_PNS0_10empty_typeENS0_5tupleIJS8_S9_EEENSB_IJS8_SA_EEENS0_18inequality_wrapperIZN2at6native12_GLOBAL__N_124unique_dim_cuda_templateIbEESt5tupleIJNSF_6TensorESK_SK_EERKSK_lbbbEUlllE0_EEPmJS9_EEE10hipError_tPvRmT3_T4_T5_T6_T7_T9_mT8_P12ihipStream_tbDpT10_ENKUlT_T0_E_clISt17integral_constantIbLb0EES1A_EEDaS15_S16_EUlS15_E_NS1_11comp_targetILNS1_3genE4ELNS1_11target_archE910ELNS1_3gpuE8ELNS1_3repE0EEENS1_30default_config_static_selectorELNS0_4arch9wavefront6targetE0EEEvT1_
		.amdhsa_group_segment_fixed_size 0
		.amdhsa_private_segment_fixed_size 0
		.amdhsa_kernarg_size 120
		.amdhsa_user_sgpr_count 15
		.amdhsa_user_sgpr_dispatch_ptr 0
		.amdhsa_user_sgpr_queue_ptr 0
		.amdhsa_user_sgpr_kernarg_segment_ptr 1
		.amdhsa_user_sgpr_dispatch_id 0
		.amdhsa_user_sgpr_private_segment_size 0
		.amdhsa_wavefront_size32 1
		.amdhsa_uses_dynamic_stack 0
		.amdhsa_enable_private_segment 0
		.amdhsa_system_sgpr_workgroup_id_x 1
		.amdhsa_system_sgpr_workgroup_id_y 0
		.amdhsa_system_sgpr_workgroup_id_z 0
		.amdhsa_system_sgpr_workgroup_info 0
		.amdhsa_system_vgpr_workitem_id 0
		.amdhsa_next_free_vgpr 1
		.amdhsa_next_free_sgpr 1
		.amdhsa_reserve_vcc 0
		.amdhsa_float_round_mode_32 0
		.amdhsa_float_round_mode_16_64 0
		.amdhsa_float_denorm_mode_32 3
		.amdhsa_float_denorm_mode_16_64 3
		.amdhsa_dx10_clamp 1
		.amdhsa_ieee_mode 1
		.amdhsa_fp16_overflow 0
		.amdhsa_workgroup_processor_mode 1
		.amdhsa_memory_ordered 1
		.amdhsa_forward_progress 0
		.amdhsa_shared_vgpr_count 0
		.amdhsa_exception_fp_ieee_invalid_op 0
		.amdhsa_exception_fp_denorm_src 0
		.amdhsa_exception_fp_ieee_div_zero 0
		.amdhsa_exception_fp_ieee_overflow 0
		.amdhsa_exception_fp_ieee_underflow 0
		.amdhsa_exception_fp_ieee_inexact 0
		.amdhsa_exception_int_div_zero 0
	.end_amdhsa_kernel
	.section	.text._ZN7rocprim17ROCPRIM_400000_NS6detail17trampoline_kernelINS0_14default_configENS1_25partition_config_selectorILNS1_17partition_subalgoE9EllbEEZZNS1_14partition_implILS5_9ELb0ES3_jPlS8_PNS0_10empty_typeENS0_5tupleIJS8_S9_EEENSB_IJS8_SA_EEENS0_18inequality_wrapperIZN2at6native12_GLOBAL__N_124unique_dim_cuda_templateIbEESt5tupleIJNSF_6TensorESK_SK_EERKSK_lbbbEUlllE0_EEPmJS9_EEE10hipError_tPvRmT3_T4_T5_T6_T7_T9_mT8_P12ihipStream_tbDpT10_ENKUlT_T0_E_clISt17integral_constantIbLb0EES1A_EEDaS15_S16_EUlS15_E_NS1_11comp_targetILNS1_3genE4ELNS1_11target_archE910ELNS1_3gpuE8ELNS1_3repE0EEENS1_30default_config_static_selectorELNS0_4arch9wavefront6targetE0EEEvT1_,"axG",@progbits,_ZN7rocprim17ROCPRIM_400000_NS6detail17trampoline_kernelINS0_14default_configENS1_25partition_config_selectorILNS1_17partition_subalgoE9EllbEEZZNS1_14partition_implILS5_9ELb0ES3_jPlS8_PNS0_10empty_typeENS0_5tupleIJS8_S9_EEENSB_IJS8_SA_EEENS0_18inequality_wrapperIZN2at6native12_GLOBAL__N_124unique_dim_cuda_templateIbEESt5tupleIJNSF_6TensorESK_SK_EERKSK_lbbbEUlllE0_EEPmJS9_EEE10hipError_tPvRmT3_T4_T5_T6_T7_T9_mT8_P12ihipStream_tbDpT10_ENKUlT_T0_E_clISt17integral_constantIbLb0EES1A_EEDaS15_S16_EUlS15_E_NS1_11comp_targetILNS1_3genE4ELNS1_11target_archE910ELNS1_3gpuE8ELNS1_3repE0EEENS1_30default_config_static_selectorELNS0_4arch9wavefront6targetE0EEEvT1_,comdat
.Lfunc_end1085:
	.size	_ZN7rocprim17ROCPRIM_400000_NS6detail17trampoline_kernelINS0_14default_configENS1_25partition_config_selectorILNS1_17partition_subalgoE9EllbEEZZNS1_14partition_implILS5_9ELb0ES3_jPlS8_PNS0_10empty_typeENS0_5tupleIJS8_S9_EEENSB_IJS8_SA_EEENS0_18inequality_wrapperIZN2at6native12_GLOBAL__N_124unique_dim_cuda_templateIbEESt5tupleIJNSF_6TensorESK_SK_EERKSK_lbbbEUlllE0_EEPmJS9_EEE10hipError_tPvRmT3_T4_T5_T6_T7_T9_mT8_P12ihipStream_tbDpT10_ENKUlT_T0_E_clISt17integral_constantIbLb0EES1A_EEDaS15_S16_EUlS15_E_NS1_11comp_targetILNS1_3genE4ELNS1_11target_archE910ELNS1_3gpuE8ELNS1_3repE0EEENS1_30default_config_static_selectorELNS0_4arch9wavefront6targetE0EEEvT1_, .Lfunc_end1085-_ZN7rocprim17ROCPRIM_400000_NS6detail17trampoline_kernelINS0_14default_configENS1_25partition_config_selectorILNS1_17partition_subalgoE9EllbEEZZNS1_14partition_implILS5_9ELb0ES3_jPlS8_PNS0_10empty_typeENS0_5tupleIJS8_S9_EEENSB_IJS8_SA_EEENS0_18inequality_wrapperIZN2at6native12_GLOBAL__N_124unique_dim_cuda_templateIbEESt5tupleIJNSF_6TensorESK_SK_EERKSK_lbbbEUlllE0_EEPmJS9_EEE10hipError_tPvRmT3_T4_T5_T6_T7_T9_mT8_P12ihipStream_tbDpT10_ENKUlT_T0_E_clISt17integral_constantIbLb0EES1A_EEDaS15_S16_EUlS15_E_NS1_11comp_targetILNS1_3genE4ELNS1_11target_archE910ELNS1_3gpuE8ELNS1_3repE0EEENS1_30default_config_static_selectorELNS0_4arch9wavefront6targetE0EEEvT1_
                                        ; -- End function
	.section	.AMDGPU.csdata,"",@progbits
; Kernel info:
; codeLenInByte = 0
; NumSgprs: 0
; NumVgprs: 0
; ScratchSize: 0
; MemoryBound: 0
; FloatMode: 240
; IeeeMode: 1
; LDSByteSize: 0 bytes/workgroup (compile time only)
; SGPRBlocks: 0
; VGPRBlocks: 0
; NumSGPRsForWavesPerEU: 1
; NumVGPRsForWavesPerEU: 1
; Occupancy: 16
; WaveLimiterHint : 0
; COMPUTE_PGM_RSRC2:SCRATCH_EN: 0
; COMPUTE_PGM_RSRC2:USER_SGPR: 15
; COMPUTE_PGM_RSRC2:TRAP_HANDLER: 0
; COMPUTE_PGM_RSRC2:TGID_X_EN: 1
; COMPUTE_PGM_RSRC2:TGID_Y_EN: 0
; COMPUTE_PGM_RSRC2:TGID_Z_EN: 0
; COMPUTE_PGM_RSRC2:TIDIG_COMP_CNT: 0
	.section	.text._ZN7rocprim17ROCPRIM_400000_NS6detail17trampoline_kernelINS0_14default_configENS1_25partition_config_selectorILNS1_17partition_subalgoE9EllbEEZZNS1_14partition_implILS5_9ELb0ES3_jPlS8_PNS0_10empty_typeENS0_5tupleIJS8_S9_EEENSB_IJS8_SA_EEENS0_18inequality_wrapperIZN2at6native12_GLOBAL__N_124unique_dim_cuda_templateIbEESt5tupleIJNSF_6TensorESK_SK_EERKSK_lbbbEUlllE0_EEPmJS9_EEE10hipError_tPvRmT3_T4_T5_T6_T7_T9_mT8_P12ihipStream_tbDpT10_ENKUlT_T0_E_clISt17integral_constantIbLb0EES1A_EEDaS15_S16_EUlS15_E_NS1_11comp_targetILNS1_3genE3ELNS1_11target_archE908ELNS1_3gpuE7ELNS1_3repE0EEENS1_30default_config_static_selectorELNS0_4arch9wavefront6targetE0EEEvT1_,"axG",@progbits,_ZN7rocprim17ROCPRIM_400000_NS6detail17trampoline_kernelINS0_14default_configENS1_25partition_config_selectorILNS1_17partition_subalgoE9EllbEEZZNS1_14partition_implILS5_9ELb0ES3_jPlS8_PNS0_10empty_typeENS0_5tupleIJS8_S9_EEENSB_IJS8_SA_EEENS0_18inequality_wrapperIZN2at6native12_GLOBAL__N_124unique_dim_cuda_templateIbEESt5tupleIJNSF_6TensorESK_SK_EERKSK_lbbbEUlllE0_EEPmJS9_EEE10hipError_tPvRmT3_T4_T5_T6_T7_T9_mT8_P12ihipStream_tbDpT10_ENKUlT_T0_E_clISt17integral_constantIbLb0EES1A_EEDaS15_S16_EUlS15_E_NS1_11comp_targetILNS1_3genE3ELNS1_11target_archE908ELNS1_3gpuE7ELNS1_3repE0EEENS1_30default_config_static_selectorELNS0_4arch9wavefront6targetE0EEEvT1_,comdat
	.globl	_ZN7rocprim17ROCPRIM_400000_NS6detail17trampoline_kernelINS0_14default_configENS1_25partition_config_selectorILNS1_17partition_subalgoE9EllbEEZZNS1_14partition_implILS5_9ELb0ES3_jPlS8_PNS0_10empty_typeENS0_5tupleIJS8_S9_EEENSB_IJS8_SA_EEENS0_18inequality_wrapperIZN2at6native12_GLOBAL__N_124unique_dim_cuda_templateIbEESt5tupleIJNSF_6TensorESK_SK_EERKSK_lbbbEUlllE0_EEPmJS9_EEE10hipError_tPvRmT3_T4_T5_T6_T7_T9_mT8_P12ihipStream_tbDpT10_ENKUlT_T0_E_clISt17integral_constantIbLb0EES1A_EEDaS15_S16_EUlS15_E_NS1_11comp_targetILNS1_3genE3ELNS1_11target_archE908ELNS1_3gpuE7ELNS1_3repE0EEENS1_30default_config_static_selectorELNS0_4arch9wavefront6targetE0EEEvT1_ ; -- Begin function _ZN7rocprim17ROCPRIM_400000_NS6detail17trampoline_kernelINS0_14default_configENS1_25partition_config_selectorILNS1_17partition_subalgoE9EllbEEZZNS1_14partition_implILS5_9ELb0ES3_jPlS8_PNS0_10empty_typeENS0_5tupleIJS8_S9_EEENSB_IJS8_SA_EEENS0_18inequality_wrapperIZN2at6native12_GLOBAL__N_124unique_dim_cuda_templateIbEESt5tupleIJNSF_6TensorESK_SK_EERKSK_lbbbEUlllE0_EEPmJS9_EEE10hipError_tPvRmT3_T4_T5_T6_T7_T9_mT8_P12ihipStream_tbDpT10_ENKUlT_T0_E_clISt17integral_constantIbLb0EES1A_EEDaS15_S16_EUlS15_E_NS1_11comp_targetILNS1_3genE3ELNS1_11target_archE908ELNS1_3gpuE7ELNS1_3repE0EEENS1_30default_config_static_selectorELNS0_4arch9wavefront6targetE0EEEvT1_
	.p2align	8
	.type	_ZN7rocprim17ROCPRIM_400000_NS6detail17trampoline_kernelINS0_14default_configENS1_25partition_config_selectorILNS1_17partition_subalgoE9EllbEEZZNS1_14partition_implILS5_9ELb0ES3_jPlS8_PNS0_10empty_typeENS0_5tupleIJS8_S9_EEENSB_IJS8_SA_EEENS0_18inequality_wrapperIZN2at6native12_GLOBAL__N_124unique_dim_cuda_templateIbEESt5tupleIJNSF_6TensorESK_SK_EERKSK_lbbbEUlllE0_EEPmJS9_EEE10hipError_tPvRmT3_T4_T5_T6_T7_T9_mT8_P12ihipStream_tbDpT10_ENKUlT_T0_E_clISt17integral_constantIbLb0EES1A_EEDaS15_S16_EUlS15_E_NS1_11comp_targetILNS1_3genE3ELNS1_11target_archE908ELNS1_3gpuE7ELNS1_3repE0EEENS1_30default_config_static_selectorELNS0_4arch9wavefront6targetE0EEEvT1_,@function
_ZN7rocprim17ROCPRIM_400000_NS6detail17trampoline_kernelINS0_14default_configENS1_25partition_config_selectorILNS1_17partition_subalgoE9EllbEEZZNS1_14partition_implILS5_9ELb0ES3_jPlS8_PNS0_10empty_typeENS0_5tupleIJS8_S9_EEENSB_IJS8_SA_EEENS0_18inequality_wrapperIZN2at6native12_GLOBAL__N_124unique_dim_cuda_templateIbEESt5tupleIJNSF_6TensorESK_SK_EERKSK_lbbbEUlllE0_EEPmJS9_EEE10hipError_tPvRmT3_T4_T5_T6_T7_T9_mT8_P12ihipStream_tbDpT10_ENKUlT_T0_E_clISt17integral_constantIbLb0EES1A_EEDaS15_S16_EUlS15_E_NS1_11comp_targetILNS1_3genE3ELNS1_11target_archE908ELNS1_3gpuE7ELNS1_3repE0EEENS1_30default_config_static_selectorELNS0_4arch9wavefront6targetE0EEEvT1_: ; @_ZN7rocprim17ROCPRIM_400000_NS6detail17trampoline_kernelINS0_14default_configENS1_25partition_config_selectorILNS1_17partition_subalgoE9EllbEEZZNS1_14partition_implILS5_9ELb0ES3_jPlS8_PNS0_10empty_typeENS0_5tupleIJS8_S9_EEENSB_IJS8_SA_EEENS0_18inequality_wrapperIZN2at6native12_GLOBAL__N_124unique_dim_cuda_templateIbEESt5tupleIJNSF_6TensorESK_SK_EERKSK_lbbbEUlllE0_EEPmJS9_EEE10hipError_tPvRmT3_T4_T5_T6_T7_T9_mT8_P12ihipStream_tbDpT10_ENKUlT_T0_E_clISt17integral_constantIbLb0EES1A_EEDaS15_S16_EUlS15_E_NS1_11comp_targetILNS1_3genE3ELNS1_11target_archE908ELNS1_3gpuE7ELNS1_3repE0EEENS1_30default_config_static_selectorELNS0_4arch9wavefront6targetE0EEEvT1_
; %bb.0:
	.section	.rodata,"a",@progbits
	.p2align	6, 0x0
	.amdhsa_kernel _ZN7rocprim17ROCPRIM_400000_NS6detail17trampoline_kernelINS0_14default_configENS1_25partition_config_selectorILNS1_17partition_subalgoE9EllbEEZZNS1_14partition_implILS5_9ELb0ES3_jPlS8_PNS0_10empty_typeENS0_5tupleIJS8_S9_EEENSB_IJS8_SA_EEENS0_18inequality_wrapperIZN2at6native12_GLOBAL__N_124unique_dim_cuda_templateIbEESt5tupleIJNSF_6TensorESK_SK_EERKSK_lbbbEUlllE0_EEPmJS9_EEE10hipError_tPvRmT3_T4_T5_T6_T7_T9_mT8_P12ihipStream_tbDpT10_ENKUlT_T0_E_clISt17integral_constantIbLb0EES1A_EEDaS15_S16_EUlS15_E_NS1_11comp_targetILNS1_3genE3ELNS1_11target_archE908ELNS1_3gpuE7ELNS1_3repE0EEENS1_30default_config_static_selectorELNS0_4arch9wavefront6targetE0EEEvT1_
		.amdhsa_group_segment_fixed_size 0
		.amdhsa_private_segment_fixed_size 0
		.amdhsa_kernarg_size 120
		.amdhsa_user_sgpr_count 15
		.amdhsa_user_sgpr_dispatch_ptr 0
		.amdhsa_user_sgpr_queue_ptr 0
		.amdhsa_user_sgpr_kernarg_segment_ptr 1
		.amdhsa_user_sgpr_dispatch_id 0
		.amdhsa_user_sgpr_private_segment_size 0
		.amdhsa_wavefront_size32 1
		.amdhsa_uses_dynamic_stack 0
		.amdhsa_enable_private_segment 0
		.amdhsa_system_sgpr_workgroup_id_x 1
		.amdhsa_system_sgpr_workgroup_id_y 0
		.amdhsa_system_sgpr_workgroup_id_z 0
		.amdhsa_system_sgpr_workgroup_info 0
		.amdhsa_system_vgpr_workitem_id 0
		.amdhsa_next_free_vgpr 1
		.amdhsa_next_free_sgpr 1
		.amdhsa_reserve_vcc 0
		.amdhsa_float_round_mode_32 0
		.amdhsa_float_round_mode_16_64 0
		.amdhsa_float_denorm_mode_32 3
		.amdhsa_float_denorm_mode_16_64 3
		.amdhsa_dx10_clamp 1
		.amdhsa_ieee_mode 1
		.amdhsa_fp16_overflow 0
		.amdhsa_workgroup_processor_mode 1
		.amdhsa_memory_ordered 1
		.amdhsa_forward_progress 0
		.amdhsa_shared_vgpr_count 0
		.amdhsa_exception_fp_ieee_invalid_op 0
		.amdhsa_exception_fp_denorm_src 0
		.amdhsa_exception_fp_ieee_div_zero 0
		.amdhsa_exception_fp_ieee_overflow 0
		.amdhsa_exception_fp_ieee_underflow 0
		.amdhsa_exception_fp_ieee_inexact 0
		.amdhsa_exception_int_div_zero 0
	.end_amdhsa_kernel
	.section	.text._ZN7rocprim17ROCPRIM_400000_NS6detail17trampoline_kernelINS0_14default_configENS1_25partition_config_selectorILNS1_17partition_subalgoE9EllbEEZZNS1_14partition_implILS5_9ELb0ES3_jPlS8_PNS0_10empty_typeENS0_5tupleIJS8_S9_EEENSB_IJS8_SA_EEENS0_18inequality_wrapperIZN2at6native12_GLOBAL__N_124unique_dim_cuda_templateIbEESt5tupleIJNSF_6TensorESK_SK_EERKSK_lbbbEUlllE0_EEPmJS9_EEE10hipError_tPvRmT3_T4_T5_T6_T7_T9_mT8_P12ihipStream_tbDpT10_ENKUlT_T0_E_clISt17integral_constantIbLb0EES1A_EEDaS15_S16_EUlS15_E_NS1_11comp_targetILNS1_3genE3ELNS1_11target_archE908ELNS1_3gpuE7ELNS1_3repE0EEENS1_30default_config_static_selectorELNS0_4arch9wavefront6targetE0EEEvT1_,"axG",@progbits,_ZN7rocprim17ROCPRIM_400000_NS6detail17trampoline_kernelINS0_14default_configENS1_25partition_config_selectorILNS1_17partition_subalgoE9EllbEEZZNS1_14partition_implILS5_9ELb0ES3_jPlS8_PNS0_10empty_typeENS0_5tupleIJS8_S9_EEENSB_IJS8_SA_EEENS0_18inequality_wrapperIZN2at6native12_GLOBAL__N_124unique_dim_cuda_templateIbEESt5tupleIJNSF_6TensorESK_SK_EERKSK_lbbbEUlllE0_EEPmJS9_EEE10hipError_tPvRmT3_T4_T5_T6_T7_T9_mT8_P12ihipStream_tbDpT10_ENKUlT_T0_E_clISt17integral_constantIbLb0EES1A_EEDaS15_S16_EUlS15_E_NS1_11comp_targetILNS1_3genE3ELNS1_11target_archE908ELNS1_3gpuE7ELNS1_3repE0EEENS1_30default_config_static_selectorELNS0_4arch9wavefront6targetE0EEEvT1_,comdat
.Lfunc_end1086:
	.size	_ZN7rocprim17ROCPRIM_400000_NS6detail17trampoline_kernelINS0_14default_configENS1_25partition_config_selectorILNS1_17partition_subalgoE9EllbEEZZNS1_14partition_implILS5_9ELb0ES3_jPlS8_PNS0_10empty_typeENS0_5tupleIJS8_S9_EEENSB_IJS8_SA_EEENS0_18inequality_wrapperIZN2at6native12_GLOBAL__N_124unique_dim_cuda_templateIbEESt5tupleIJNSF_6TensorESK_SK_EERKSK_lbbbEUlllE0_EEPmJS9_EEE10hipError_tPvRmT3_T4_T5_T6_T7_T9_mT8_P12ihipStream_tbDpT10_ENKUlT_T0_E_clISt17integral_constantIbLb0EES1A_EEDaS15_S16_EUlS15_E_NS1_11comp_targetILNS1_3genE3ELNS1_11target_archE908ELNS1_3gpuE7ELNS1_3repE0EEENS1_30default_config_static_selectorELNS0_4arch9wavefront6targetE0EEEvT1_, .Lfunc_end1086-_ZN7rocprim17ROCPRIM_400000_NS6detail17trampoline_kernelINS0_14default_configENS1_25partition_config_selectorILNS1_17partition_subalgoE9EllbEEZZNS1_14partition_implILS5_9ELb0ES3_jPlS8_PNS0_10empty_typeENS0_5tupleIJS8_S9_EEENSB_IJS8_SA_EEENS0_18inequality_wrapperIZN2at6native12_GLOBAL__N_124unique_dim_cuda_templateIbEESt5tupleIJNSF_6TensorESK_SK_EERKSK_lbbbEUlllE0_EEPmJS9_EEE10hipError_tPvRmT3_T4_T5_T6_T7_T9_mT8_P12ihipStream_tbDpT10_ENKUlT_T0_E_clISt17integral_constantIbLb0EES1A_EEDaS15_S16_EUlS15_E_NS1_11comp_targetILNS1_3genE3ELNS1_11target_archE908ELNS1_3gpuE7ELNS1_3repE0EEENS1_30default_config_static_selectorELNS0_4arch9wavefront6targetE0EEEvT1_
                                        ; -- End function
	.section	.AMDGPU.csdata,"",@progbits
; Kernel info:
; codeLenInByte = 0
; NumSgprs: 0
; NumVgprs: 0
; ScratchSize: 0
; MemoryBound: 0
; FloatMode: 240
; IeeeMode: 1
; LDSByteSize: 0 bytes/workgroup (compile time only)
; SGPRBlocks: 0
; VGPRBlocks: 0
; NumSGPRsForWavesPerEU: 1
; NumVGPRsForWavesPerEU: 1
; Occupancy: 16
; WaveLimiterHint : 0
; COMPUTE_PGM_RSRC2:SCRATCH_EN: 0
; COMPUTE_PGM_RSRC2:USER_SGPR: 15
; COMPUTE_PGM_RSRC2:TRAP_HANDLER: 0
; COMPUTE_PGM_RSRC2:TGID_X_EN: 1
; COMPUTE_PGM_RSRC2:TGID_Y_EN: 0
; COMPUTE_PGM_RSRC2:TGID_Z_EN: 0
; COMPUTE_PGM_RSRC2:TIDIG_COMP_CNT: 0
	.section	.text._ZN7rocprim17ROCPRIM_400000_NS6detail17trampoline_kernelINS0_14default_configENS1_25partition_config_selectorILNS1_17partition_subalgoE9EllbEEZZNS1_14partition_implILS5_9ELb0ES3_jPlS8_PNS0_10empty_typeENS0_5tupleIJS8_S9_EEENSB_IJS8_SA_EEENS0_18inequality_wrapperIZN2at6native12_GLOBAL__N_124unique_dim_cuda_templateIbEESt5tupleIJNSF_6TensorESK_SK_EERKSK_lbbbEUlllE0_EEPmJS9_EEE10hipError_tPvRmT3_T4_T5_T6_T7_T9_mT8_P12ihipStream_tbDpT10_ENKUlT_T0_E_clISt17integral_constantIbLb0EES1A_EEDaS15_S16_EUlS15_E_NS1_11comp_targetILNS1_3genE2ELNS1_11target_archE906ELNS1_3gpuE6ELNS1_3repE0EEENS1_30default_config_static_selectorELNS0_4arch9wavefront6targetE0EEEvT1_,"axG",@progbits,_ZN7rocprim17ROCPRIM_400000_NS6detail17trampoline_kernelINS0_14default_configENS1_25partition_config_selectorILNS1_17partition_subalgoE9EllbEEZZNS1_14partition_implILS5_9ELb0ES3_jPlS8_PNS0_10empty_typeENS0_5tupleIJS8_S9_EEENSB_IJS8_SA_EEENS0_18inequality_wrapperIZN2at6native12_GLOBAL__N_124unique_dim_cuda_templateIbEESt5tupleIJNSF_6TensorESK_SK_EERKSK_lbbbEUlllE0_EEPmJS9_EEE10hipError_tPvRmT3_T4_T5_T6_T7_T9_mT8_P12ihipStream_tbDpT10_ENKUlT_T0_E_clISt17integral_constantIbLb0EES1A_EEDaS15_S16_EUlS15_E_NS1_11comp_targetILNS1_3genE2ELNS1_11target_archE906ELNS1_3gpuE6ELNS1_3repE0EEENS1_30default_config_static_selectorELNS0_4arch9wavefront6targetE0EEEvT1_,comdat
	.globl	_ZN7rocprim17ROCPRIM_400000_NS6detail17trampoline_kernelINS0_14default_configENS1_25partition_config_selectorILNS1_17partition_subalgoE9EllbEEZZNS1_14partition_implILS5_9ELb0ES3_jPlS8_PNS0_10empty_typeENS0_5tupleIJS8_S9_EEENSB_IJS8_SA_EEENS0_18inequality_wrapperIZN2at6native12_GLOBAL__N_124unique_dim_cuda_templateIbEESt5tupleIJNSF_6TensorESK_SK_EERKSK_lbbbEUlllE0_EEPmJS9_EEE10hipError_tPvRmT3_T4_T5_T6_T7_T9_mT8_P12ihipStream_tbDpT10_ENKUlT_T0_E_clISt17integral_constantIbLb0EES1A_EEDaS15_S16_EUlS15_E_NS1_11comp_targetILNS1_3genE2ELNS1_11target_archE906ELNS1_3gpuE6ELNS1_3repE0EEENS1_30default_config_static_selectorELNS0_4arch9wavefront6targetE0EEEvT1_ ; -- Begin function _ZN7rocprim17ROCPRIM_400000_NS6detail17trampoline_kernelINS0_14default_configENS1_25partition_config_selectorILNS1_17partition_subalgoE9EllbEEZZNS1_14partition_implILS5_9ELb0ES3_jPlS8_PNS0_10empty_typeENS0_5tupleIJS8_S9_EEENSB_IJS8_SA_EEENS0_18inequality_wrapperIZN2at6native12_GLOBAL__N_124unique_dim_cuda_templateIbEESt5tupleIJNSF_6TensorESK_SK_EERKSK_lbbbEUlllE0_EEPmJS9_EEE10hipError_tPvRmT3_T4_T5_T6_T7_T9_mT8_P12ihipStream_tbDpT10_ENKUlT_T0_E_clISt17integral_constantIbLb0EES1A_EEDaS15_S16_EUlS15_E_NS1_11comp_targetILNS1_3genE2ELNS1_11target_archE906ELNS1_3gpuE6ELNS1_3repE0EEENS1_30default_config_static_selectorELNS0_4arch9wavefront6targetE0EEEvT1_
	.p2align	8
	.type	_ZN7rocprim17ROCPRIM_400000_NS6detail17trampoline_kernelINS0_14default_configENS1_25partition_config_selectorILNS1_17partition_subalgoE9EllbEEZZNS1_14partition_implILS5_9ELb0ES3_jPlS8_PNS0_10empty_typeENS0_5tupleIJS8_S9_EEENSB_IJS8_SA_EEENS0_18inequality_wrapperIZN2at6native12_GLOBAL__N_124unique_dim_cuda_templateIbEESt5tupleIJNSF_6TensorESK_SK_EERKSK_lbbbEUlllE0_EEPmJS9_EEE10hipError_tPvRmT3_T4_T5_T6_T7_T9_mT8_P12ihipStream_tbDpT10_ENKUlT_T0_E_clISt17integral_constantIbLb0EES1A_EEDaS15_S16_EUlS15_E_NS1_11comp_targetILNS1_3genE2ELNS1_11target_archE906ELNS1_3gpuE6ELNS1_3repE0EEENS1_30default_config_static_selectorELNS0_4arch9wavefront6targetE0EEEvT1_,@function
_ZN7rocprim17ROCPRIM_400000_NS6detail17trampoline_kernelINS0_14default_configENS1_25partition_config_selectorILNS1_17partition_subalgoE9EllbEEZZNS1_14partition_implILS5_9ELb0ES3_jPlS8_PNS0_10empty_typeENS0_5tupleIJS8_S9_EEENSB_IJS8_SA_EEENS0_18inequality_wrapperIZN2at6native12_GLOBAL__N_124unique_dim_cuda_templateIbEESt5tupleIJNSF_6TensorESK_SK_EERKSK_lbbbEUlllE0_EEPmJS9_EEE10hipError_tPvRmT3_T4_T5_T6_T7_T9_mT8_P12ihipStream_tbDpT10_ENKUlT_T0_E_clISt17integral_constantIbLb0EES1A_EEDaS15_S16_EUlS15_E_NS1_11comp_targetILNS1_3genE2ELNS1_11target_archE906ELNS1_3gpuE6ELNS1_3repE0EEENS1_30default_config_static_selectorELNS0_4arch9wavefront6targetE0EEEvT1_: ; @_ZN7rocprim17ROCPRIM_400000_NS6detail17trampoline_kernelINS0_14default_configENS1_25partition_config_selectorILNS1_17partition_subalgoE9EllbEEZZNS1_14partition_implILS5_9ELb0ES3_jPlS8_PNS0_10empty_typeENS0_5tupleIJS8_S9_EEENSB_IJS8_SA_EEENS0_18inequality_wrapperIZN2at6native12_GLOBAL__N_124unique_dim_cuda_templateIbEESt5tupleIJNSF_6TensorESK_SK_EERKSK_lbbbEUlllE0_EEPmJS9_EEE10hipError_tPvRmT3_T4_T5_T6_T7_T9_mT8_P12ihipStream_tbDpT10_ENKUlT_T0_E_clISt17integral_constantIbLb0EES1A_EEDaS15_S16_EUlS15_E_NS1_11comp_targetILNS1_3genE2ELNS1_11target_archE906ELNS1_3gpuE6ELNS1_3repE0EEENS1_30default_config_static_selectorELNS0_4arch9wavefront6targetE0EEEvT1_
; %bb.0:
	.section	.rodata,"a",@progbits
	.p2align	6, 0x0
	.amdhsa_kernel _ZN7rocprim17ROCPRIM_400000_NS6detail17trampoline_kernelINS0_14default_configENS1_25partition_config_selectorILNS1_17partition_subalgoE9EllbEEZZNS1_14partition_implILS5_9ELb0ES3_jPlS8_PNS0_10empty_typeENS0_5tupleIJS8_S9_EEENSB_IJS8_SA_EEENS0_18inequality_wrapperIZN2at6native12_GLOBAL__N_124unique_dim_cuda_templateIbEESt5tupleIJNSF_6TensorESK_SK_EERKSK_lbbbEUlllE0_EEPmJS9_EEE10hipError_tPvRmT3_T4_T5_T6_T7_T9_mT8_P12ihipStream_tbDpT10_ENKUlT_T0_E_clISt17integral_constantIbLb0EES1A_EEDaS15_S16_EUlS15_E_NS1_11comp_targetILNS1_3genE2ELNS1_11target_archE906ELNS1_3gpuE6ELNS1_3repE0EEENS1_30default_config_static_selectorELNS0_4arch9wavefront6targetE0EEEvT1_
		.amdhsa_group_segment_fixed_size 0
		.amdhsa_private_segment_fixed_size 0
		.amdhsa_kernarg_size 120
		.amdhsa_user_sgpr_count 15
		.amdhsa_user_sgpr_dispatch_ptr 0
		.amdhsa_user_sgpr_queue_ptr 0
		.amdhsa_user_sgpr_kernarg_segment_ptr 1
		.amdhsa_user_sgpr_dispatch_id 0
		.amdhsa_user_sgpr_private_segment_size 0
		.amdhsa_wavefront_size32 1
		.amdhsa_uses_dynamic_stack 0
		.amdhsa_enable_private_segment 0
		.amdhsa_system_sgpr_workgroup_id_x 1
		.amdhsa_system_sgpr_workgroup_id_y 0
		.amdhsa_system_sgpr_workgroup_id_z 0
		.amdhsa_system_sgpr_workgroup_info 0
		.amdhsa_system_vgpr_workitem_id 0
		.amdhsa_next_free_vgpr 1
		.amdhsa_next_free_sgpr 1
		.amdhsa_reserve_vcc 0
		.amdhsa_float_round_mode_32 0
		.amdhsa_float_round_mode_16_64 0
		.amdhsa_float_denorm_mode_32 3
		.amdhsa_float_denorm_mode_16_64 3
		.amdhsa_dx10_clamp 1
		.amdhsa_ieee_mode 1
		.amdhsa_fp16_overflow 0
		.amdhsa_workgroup_processor_mode 1
		.amdhsa_memory_ordered 1
		.amdhsa_forward_progress 0
		.amdhsa_shared_vgpr_count 0
		.amdhsa_exception_fp_ieee_invalid_op 0
		.amdhsa_exception_fp_denorm_src 0
		.amdhsa_exception_fp_ieee_div_zero 0
		.amdhsa_exception_fp_ieee_overflow 0
		.amdhsa_exception_fp_ieee_underflow 0
		.amdhsa_exception_fp_ieee_inexact 0
		.amdhsa_exception_int_div_zero 0
	.end_amdhsa_kernel
	.section	.text._ZN7rocprim17ROCPRIM_400000_NS6detail17trampoline_kernelINS0_14default_configENS1_25partition_config_selectorILNS1_17partition_subalgoE9EllbEEZZNS1_14partition_implILS5_9ELb0ES3_jPlS8_PNS0_10empty_typeENS0_5tupleIJS8_S9_EEENSB_IJS8_SA_EEENS0_18inequality_wrapperIZN2at6native12_GLOBAL__N_124unique_dim_cuda_templateIbEESt5tupleIJNSF_6TensorESK_SK_EERKSK_lbbbEUlllE0_EEPmJS9_EEE10hipError_tPvRmT3_T4_T5_T6_T7_T9_mT8_P12ihipStream_tbDpT10_ENKUlT_T0_E_clISt17integral_constantIbLb0EES1A_EEDaS15_S16_EUlS15_E_NS1_11comp_targetILNS1_3genE2ELNS1_11target_archE906ELNS1_3gpuE6ELNS1_3repE0EEENS1_30default_config_static_selectorELNS0_4arch9wavefront6targetE0EEEvT1_,"axG",@progbits,_ZN7rocprim17ROCPRIM_400000_NS6detail17trampoline_kernelINS0_14default_configENS1_25partition_config_selectorILNS1_17partition_subalgoE9EllbEEZZNS1_14partition_implILS5_9ELb0ES3_jPlS8_PNS0_10empty_typeENS0_5tupleIJS8_S9_EEENSB_IJS8_SA_EEENS0_18inequality_wrapperIZN2at6native12_GLOBAL__N_124unique_dim_cuda_templateIbEESt5tupleIJNSF_6TensorESK_SK_EERKSK_lbbbEUlllE0_EEPmJS9_EEE10hipError_tPvRmT3_T4_T5_T6_T7_T9_mT8_P12ihipStream_tbDpT10_ENKUlT_T0_E_clISt17integral_constantIbLb0EES1A_EEDaS15_S16_EUlS15_E_NS1_11comp_targetILNS1_3genE2ELNS1_11target_archE906ELNS1_3gpuE6ELNS1_3repE0EEENS1_30default_config_static_selectorELNS0_4arch9wavefront6targetE0EEEvT1_,comdat
.Lfunc_end1087:
	.size	_ZN7rocprim17ROCPRIM_400000_NS6detail17trampoline_kernelINS0_14default_configENS1_25partition_config_selectorILNS1_17partition_subalgoE9EllbEEZZNS1_14partition_implILS5_9ELb0ES3_jPlS8_PNS0_10empty_typeENS0_5tupleIJS8_S9_EEENSB_IJS8_SA_EEENS0_18inequality_wrapperIZN2at6native12_GLOBAL__N_124unique_dim_cuda_templateIbEESt5tupleIJNSF_6TensorESK_SK_EERKSK_lbbbEUlllE0_EEPmJS9_EEE10hipError_tPvRmT3_T4_T5_T6_T7_T9_mT8_P12ihipStream_tbDpT10_ENKUlT_T0_E_clISt17integral_constantIbLb0EES1A_EEDaS15_S16_EUlS15_E_NS1_11comp_targetILNS1_3genE2ELNS1_11target_archE906ELNS1_3gpuE6ELNS1_3repE0EEENS1_30default_config_static_selectorELNS0_4arch9wavefront6targetE0EEEvT1_, .Lfunc_end1087-_ZN7rocprim17ROCPRIM_400000_NS6detail17trampoline_kernelINS0_14default_configENS1_25partition_config_selectorILNS1_17partition_subalgoE9EllbEEZZNS1_14partition_implILS5_9ELb0ES3_jPlS8_PNS0_10empty_typeENS0_5tupleIJS8_S9_EEENSB_IJS8_SA_EEENS0_18inequality_wrapperIZN2at6native12_GLOBAL__N_124unique_dim_cuda_templateIbEESt5tupleIJNSF_6TensorESK_SK_EERKSK_lbbbEUlllE0_EEPmJS9_EEE10hipError_tPvRmT3_T4_T5_T6_T7_T9_mT8_P12ihipStream_tbDpT10_ENKUlT_T0_E_clISt17integral_constantIbLb0EES1A_EEDaS15_S16_EUlS15_E_NS1_11comp_targetILNS1_3genE2ELNS1_11target_archE906ELNS1_3gpuE6ELNS1_3repE0EEENS1_30default_config_static_selectorELNS0_4arch9wavefront6targetE0EEEvT1_
                                        ; -- End function
	.section	.AMDGPU.csdata,"",@progbits
; Kernel info:
; codeLenInByte = 0
; NumSgprs: 0
; NumVgprs: 0
; ScratchSize: 0
; MemoryBound: 0
; FloatMode: 240
; IeeeMode: 1
; LDSByteSize: 0 bytes/workgroup (compile time only)
; SGPRBlocks: 0
; VGPRBlocks: 0
; NumSGPRsForWavesPerEU: 1
; NumVGPRsForWavesPerEU: 1
; Occupancy: 15
; WaveLimiterHint : 0
; COMPUTE_PGM_RSRC2:SCRATCH_EN: 0
; COMPUTE_PGM_RSRC2:USER_SGPR: 15
; COMPUTE_PGM_RSRC2:TRAP_HANDLER: 0
; COMPUTE_PGM_RSRC2:TGID_X_EN: 1
; COMPUTE_PGM_RSRC2:TGID_Y_EN: 0
; COMPUTE_PGM_RSRC2:TGID_Z_EN: 0
; COMPUTE_PGM_RSRC2:TIDIG_COMP_CNT: 0
	.section	.text._ZN7rocprim17ROCPRIM_400000_NS6detail17trampoline_kernelINS0_14default_configENS1_25partition_config_selectorILNS1_17partition_subalgoE9EllbEEZZNS1_14partition_implILS5_9ELb0ES3_jPlS8_PNS0_10empty_typeENS0_5tupleIJS8_S9_EEENSB_IJS8_SA_EEENS0_18inequality_wrapperIZN2at6native12_GLOBAL__N_124unique_dim_cuda_templateIbEESt5tupleIJNSF_6TensorESK_SK_EERKSK_lbbbEUlllE0_EEPmJS9_EEE10hipError_tPvRmT3_T4_T5_T6_T7_T9_mT8_P12ihipStream_tbDpT10_ENKUlT_T0_E_clISt17integral_constantIbLb0EES1A_EEDaS15_S16_EUlS15_E_NS1_11comp_targetILNS1_3genE10ELNS1_11target_archE1200ELNS1_3gpuE4ELNS1_3repE0EEENS1_30default_config_static_selectorELNS0_4arch9wavefront6targetE0EEEvT1_,"axG",@progbits,_ZN7rocprim17ROCPRIM_400000_NS6detail17trampoline_kernelINS0_14default_configENS1_25partition_config_selectorILNS1_17partition_subalgoE9EllbEEZZNS1_14partition_implILS5_9ELb0ES3_jPlS8_PNS0_10empty_typeENS0_5tupleIJS8_S9_EEENSB_IJS8_SA_EEENS0_18inequality_wrapperIZN2at6native12_GLOBAL__N_124unique_dim_cuda_templateIbEESt5tupleIJNSF_6TensorESK_SK_EERKSK_lbbbEUlllE0_EEPmJS9_EEE10hipError_tPvRmT3_T4_T5_T6_T7_T9_mT8_P12ihipStream_tbDpT10_ENKUlT_T0_E_clISt17integral_constantIbLb0EES1A_EEDaS15_S16_EUlS15_E_NS1_11comp_targetILNS1_3genE10ELNS1_11target_archE1200ELNS1_3gpuE4ELNS1_3repE0EEENS1_30default_config_static_selectorELNS0_4arch9wavefront6targetE0EEEvT1_,comdat
	.globl	_ZN7rocprim17ROCPRIM_400000_NS6detail17trampoline_kernelINS0_14default_configENS1_25partition_config_selectorILNS1_17partition_subalgoE9EllbEEZZNS1_14partition_implILS5_9ELb0ES3_jPlS8_PNS0_10empty_typeENS0_5tupleIJS8_S9_EEENSB_IJS8_SA_EEENS0_18inequality_wrapperIZN2at6native12_GLOBAL__N_124unique_dim_cuda_templateIbEESt5tupleIJNSF_6TensorESK_SK_EERKSK_lbbbEUlllE0_EEPmJS9_EEE10hipError_tPvRmT3_T4_T5_T6_T7_T9_mT8_P12ihipStream_tbDpT10_ENKUlT_T0_E_clISt17integral_constantIbLb0EES1A_EEDaS15_S16_EUlS15_E_NS1_11comp_targetILNS1_3genE10ELNS1_11target_archE1200ELNS1_3gpuE4ELNS1_3repE0EEENS1_30default_config_static_selectorELNS0_4arch9wavefront6targetE0EEEvT1_ ; -- Begin function _ZN7rocprim17ROCPRIM_400000_NS6detail17trampoline_kernelINS0_14default_configENS1_25partition_config_selectorILNS1_17partition_subalgoE9EllbEEZZNS1_14partition_implILS5_9ELb0ES3_jPlS8_PNS0_10empty_typeENS0_5tupleIJS8_S9_EEENSB_IJS8_SA_EEENS0_18inequality_wrapperIZN2at6native12_GLOBAL__N_124unique_dim_cuda_templateIbEESt5tupleIJNSF_6TensorESK_SK_EERKSK_lbbbEUlllE0_EEPmJS9_EEE10hipError_tPvRmT3_T4_T5_T6_T7_T9_mT8_P12ihipStream_tbDpT10_ENKUlT_T0_E_clISt17integral_constantIbLb0EES1A_EEDaS15_S16_EUlS15_E_NS1_11comp_targetILNS1_3genE10ELNS1_11target_archE1200ELNS1_3gpuE4ELNS1_3repE0EEENS1_30default_config_static_selectorELNS0_4arch9wavefront6targetE0EEEvT1_
	.p2align	8
	.type	_ZN7rocprim17ROCPRIM_400000_NS6detail17trampoline_kernelINS0_14default_configENS1_25partition_config_selectorILNS1_17partition_subalgoE9EllbEEZZNS1_14partition_implILS5_9ELb0ES3_jPlS8_PNS0_10empty_typeENS0_5tupleIJS8_S9_EEENSB_IJS8_SA_EEENS0_18inequality_wrapperIZN2at6native12_GLOBAL__N_124unique_dim_cuda_templateIbEESt5tupleIJNSF_6TensorESK_SK_EERKSK_lbbbEUlllE0_EEPmJS9_EEE10hipError_tPvRmT3_T4_T5_T6_T7_T9_mT8_P12ihipStream_tbDpT10_ENKUlT_T0_E_clISt17integral_constantIbLb0EES1A_EEDaS15_S16_EUlS15_E_NS1_11comp_targetILNS1_3genE10ELNS1_11target_archE1200ELNS1_3gpuE4ELNS1_3repE0EEENS1_30default_config_static_selectorELNS0_4arch9wavefront6targetE0EEEvT1_,@function
_ZN7rocprim17ROCPRIM_400000_NS6detail17trampoline_kernelINS0_14default_configENS1_25partition_config_selectorILNS1_17partition_subalgoE9EllbEEZZNS1_14partition_implILS5_9ELb0ES3_jPlS8_PNS0_10empty_typeENS0_5tupleIJS8_S9_EEENSB_IJS8_SA_EEENS0_18inequality_wrapperIZN2at6native12_GLOBAL__N_124unique_dim_cuda_templateIbEESt5tupleIJNSF_6TensorESK_SK_EERKSK_lbbbEUlllE0_EEPmJS9_EEE10hipError_tPvRmT3_T4_T5_T6_T7_T9_mT8_P12ihipStream_tbDpT10_ENKUlT_T0_E_clISt17integral_constantIbLb0EES1A_EEDaS15_S16_EUlS15_E_NS1_11comp_targetILNS1_3genE10ELNS1_11target_archE1200ELNS1_3gpuE4ELNS1_3repE0EEENS1_30default_config_static_selectorELNS0_4arch9wavefront6targetE0EEEvT1_: ; @_ZN7rocprim17ROCPRIM_400000_NS6detail17trampoline_kernelINS0_14default_configENS1_25partition_config_selectorILNS1_17partition_subalgoE9EllbEEZZNS1_14partition_implILS5_9ELb0ES3_jPlS8_PNS0_10empty_typeENS0_5tupleIJS8_S9_EEENSB_IJS8_SA_EEENS0_18inequality_wrapperIZN2at6native12_GLOBAL__N_124unique_dim_cuda_templateIbEESt5tupleIJNSF_6TensorESK_SK_EERKSK_lbbbEUlllE0_EEPmJS9_EEE10hipError_tPvRmT3_T4_T5_T6_T7_T9_mT8_P12ihipStream_tbDpT10_ENKUlT_T0_E_clISt17integral_constantIbLb0EES1A_EEDaS15_S16_EUlS15_E_NS1_11comp_targetILNS1_3genE10ELNS1_11target_archE1200ELNS1_3gpuE4ELNS1_3repE0EEENS1_30default_config_static_selectorELNS0_4arch9wavefront6targetE0EEEvT1_
; %bb.0:
	.section	.rodata,"a",@progbits
	.p2align	6, 0x0
	.amdhsa_kernel _ZN7rocprim17ROCPRIM_400000_NS6detail17trampoline_kernelINS0_14default_configENS1_25partition_config_selectorILNS1_17partition_subalgoE9EllbEEZZNS1_14partition_implILS5_9ELb0ES3_jPlS8_PNS0_10empty_typeENS0_5tupleIJS8_S9_EEENSB_IJS8_SA_EEENS0_18inequality_wrapperIZN2at6native12_GLOBAL__N_124unique_dim_cuda_templateIbEESt5tupleIJNSF_6TensorESK_SK_EERKSK_lbbbEUlllE0_EEPmJS9_EEE10hipError_tPvRmT3_T4_T5_T6_T7_T9_mT8_P12ihipStream_tbDpT10_ENKUlT_T0_E_clISt17integral_constantIbLb0EES1A_EEDaS15_S16_EUlS15_E_NS1_11comp_targetILNS1_3genE10ELNS1_11target_archE1200ELNS1_3gpuE4ELNS1_3repE0EEENS1_30default_config_static_selectorELNS0_4arch9wavefront6targetE0EEEvT1_
		.amdhsa_group_segment_fixed_size 0
		.amdhsa_private_segment_fixed_size 0
		.amdhsa_kernarg_size 120
		.amdhsa_user_sgpr_count 15
		.amdhsa_user_sgpr_dispatch_ptr 0
		.amdhsa_user_sgpr_queue_ptr 0
		.amdhsa_user_sgpr_kernarg_segment_ptr 1
		.amdhsa_user_sgpr_dispatch_id 0
		.amdhsa_user_sgpr_private_segment_size 0
		.amdhsa_wavefront_size32 1
		.amdhsa_uses_dynamic_stack 0
		.amdhsa_enable_private_segment 0
		.amdhsa_system_sgpr_workgroup_id_x 1
		.amdhsa_system_sgpr_workgroup_id_y 0
		.amdhsa_system_sgpr_workgroup_id_z 0
		.amdhsa_system_sgpr_workgroup_info 0
		.amdhsa_system_vgpr_workitem_id 0
		.amdhsa_next_free_vgpr 1
		.amdhsa_next_free_sgpr 1
		.amdhsa_reserve_vcc 0
		.amdhsa_float_round_mode_32 0
		.amdhsa_float_round_mode_16_64 0
		.amdhsa_float_denorm_mode_32 3
		.amdhsa_float_denorm_mode_16_64 3
		.amdhsa_dx10_clamp 1
		.amdhsa_ieee_mode 1
		.amdhsa_fp16_overflow 0
		.amdhsa_workgroup_processor_mode 1
		.amdhsa_memory_ordered 1
		.amdhsa_forward_progress 0
		.amdhsa_shared_vgpr_count 0
		.amdhsa_exception_fp_ieee_invalid_op 0
		.amdhsa_exception_fp_denorm_src 0
		.amdhsa_exception_fp_ieee_div_zero 0
		.amdhsa_exception_fp_ieee_overflow 0
		.amdhsa_exception_fp_ieee_underflow 0
		.amdhsa_exception_fp_ieee_inexact 0
		.amdhsa_exception_int_div_zero 0
	.end_amdhsa_kernel
	.section	.text._ZN7rocprim17ROCPRIM_400000_NS6detail17trampoline_kernelINS0_14default_configENS1_25partition_config_selectorILNS1_17partition_subalgoE9EllbEEZZNS1_14partition_implILS5_9ELb0ES3_jPlS8_PNS0_10empty_typeENS0_5tupleIJS8_S9_EEENSB_IJS8_SA_EEENS0_18inequality_wrapperIZN2at6native12_GLOBAL__N_124unique_dim_cuda_templateIbEESt5tupleIJNSF_6TensorESK_SK_EERKSK_lbbbEUlllE0_EEPmJS9_EEE10hipError_tPvRmT3_T4_T5_T6_T7_T9_mT8_P12ihipStream_tbDpT10_ENKUlT_T0_E_clISt17integral_constantIbLb0EES1A_EEDaS15_S16_EUlS15_E_NS1_11comp_targetILNS1_3genE10ELNS1_11target_archE1200ELNS1_3gpuE4ELNS1_3repE0EEENS1_30default_config_static_selectorELNS0_4arch9wavefront6targetE0EEEvT1_,"axG",@progbits,_ZN7rocprim17ROCPRIM_400000_NS6detail17trampoline_kernelINS0_14default_configENS1_25partition_config_selectorILNS1_17partition_subalgoE9EllbEEZZNS1_14partition_implILS5_9ELb0ES3_jPlS8_PNS0_10empty_typeENS0_5tupleIJS8_S9_EEENSB_IJS8_SA_EEENS0_18inequality_wrapperIZN2at6native12_GLOBAL__N_124unique_dim_cuda_templateIbEESt5tupleIJNSF_6TensorESK_SK_EERKSK_lbbbEUlllE0_EEPmJS9_EEE10hipError_tPvRmT3_T4_T5_T6_T7_T9_mT8_P12ihipStream_tbDpT10_ENKUlT_T0_E_clISt17integral_constantIbLb0EES1A_EEDaS15_S16_EUlS15_E_NS1_11comp_targetILNS1_3genE10ELNS1_11target_archE1200ELNS1_3gpuE4ELNS1_3repE0EEENS1_30default_config_static_selectorELNS0_4arch9wavefront6targetE0EEEvT1_,comdat
.Lfunc_end1088:
	.size	_ZN7rocprim17ROCPRIM_400000_NS6detail17trampoline_kernelINS0_14default_configENS1_25partition_config_selectorILNS1_17partition_subalgoE9EllbEEZZNS1_14partition_implILS5_9ELb0ES3_jPlS8_PNS0_10empty_typeENS0_5tupleIJS8_S9_EEENSB_IJS8_SA_EEENS0_18inequality_wrapperIZN2at6native12_GLOBAL__N_124unique_dim_cuda_templateIbEESt5tupleIJNSF_6TensorESK_SK_EERKSK_lbbbEUlllE0_EEPmJS9_EEE10hipError_tPvRmT3_T4_T5_T6_T7_T9_mT8_P12ihipStream_tbDpT10_ENKUlT_T0_E_clISt17integral_constantIbLb0EES1A_EEDaS15_S16_EUlS15_E_NS1_11comp_targetILNS1_3genE10ELNS1_11target_archE1200ELNS1_3gpuE4ELNS1_3repE0EEENS1_30default_config_static_selectorELNS0_4arch9wavefront6targetE0EEEvT1_, .Lfunc_end1088-_ZN7rocprim17ROCPRIM_400000_NS6detail17trampoline_kernelINS0_14default_configENS1_25partition_config_selectorILNS1_17partition_subalgoE9EllbEEZZNS1_14partition_implILS5_9ELb0ES3_jPlS8_PNS0_10empty_typeENS0_5tupleIJS8_S9_EEENSB_IJS8_SA_EEENS0_18inequality_wrapperIZN2at6native12_GLOBAL__N_124unique_dim_cuda_templateIbEESt5tupleIJNSF_6TensorESK_SK_EERKSK_lbbbEUlllE0_EEPmJS9_EEE10hipError_tPvRmT3_T4_T5_T6_T7_T9_mT8_P12ihipStream_tbDpT10_ENKUlT_T0_E_clISt17integral_constantIbLb0EES1A_EEDaS15_S16_EUlS15_E_NS1_11comp_targetILNS1_3genE10ELNS1_11target_archE1200ELNS1_3gpuE4ELNS1_3repE0EEENS1_30default_config_static_selectorELNS0_4arch9wavefront6targetE0EEEvT1_
                                        ; -- End function
	.section	.AMDGPU.csdata,"",@progbits
; Kernel info:
; codeLenInByte = 0
; NumSgprs: 0
; NumVgprs: 0
; ScratchSize: 0
; MemoryBound: 0
; FloatMode: 240
; IeeeMode: 1
; LDSByteSize: 0 bytes/workgroup (compile time only)
; SGPRBlocks: 0
; VGPRBlocks: 0
; NumSGPRsForWavesPerEU: 1
; NumVGPRsForWavesPerEU: 1
; Occupancy: 15
; WaveLimiterHint : 0
; COMPUTE_PGM_RSRC2:SCRATCH_EN: 0
; COMPUTE_PGM_RSRC2:USER_SGPR: 15
; COMPUTE_PGM_RSRC2:TRAP_HANDLER: 0
; COMPUTE_PGM_RSRC2:TGID_X_EN: 1
; COMPUTE_PGM_RSRC2:TGID_Y_EN: 0
; COMPUTE_PGM_RSRC2:TGID_Z_EN: 0
; COMPUTE_PGM_RSRC2:TIDIG_COMP_CNT: 0
	.section	.text._ZN7rocprim17ROCPRIM_400000_NS6detail17trampoline_kernelINS0_14default_configENS1_25partition_config_selectorILNS1_17partition_subalgoE9EllbEEZZNS1_14partition_implILS5_9ELb0ES3_jPlS8_PNS0_10empty_typeENS0_5tupleIJS8_S9_EEENSB_IJS8_SA_EEENS0_18inequality_wrapperIZN2at6native12_GLOBAL__N_124unique_dim_cuda_templateIbEESt5tupleIJNSF_6TensorESK_SK_EERKSK_lbbbEUlllE0_EEPmJS9_EEE10hipError_tPvRmT3_T4_T5_T6_T7_T9_mT8_P12ihipStream_tbDpT10_ENKUlT_T0_E_clISt17integral_constantIbLb0EES1A_EEDaS15_S16_EUlS15_E_NS1_11comp_targetILNS1_3genE9ELNS1_11target_archE1100ELNS1_3gpuE3ELNS1_3repE0EEENS1_30default_config_static_selectorELNS0_4arch9wavefront6targetE0EEEvT1_,"axG",@progbits,_ZN7rocprim17ROCPRIM_400000_NS6detail17trampoline_kernelINS0_14default_configENS1_25partition_config_selectorILNS1_17partition_subalgoE9EllbEEZZNS1_14partition_implILS5_9ELb0ES3_jPlS8_PNS0_10empty_typeENS0_5tupleIJS8_S9_EEENSB_IJS8_SA_EEENS0_18inequality_wrapperIZN2at6native12_GLOBAL__N_124unique_dim_cuda_templateIbEESt5tupleIJNSF_6TensorESK_SK_EERKSK_lbbbEUlllE0_EEPmJS9_EEE10hipError_tPvRmT3_T4_T5_T6_T7_T9_mT8_P12ihipStream_tbDpT10_ENKUlT_T0_E_clISt17integral_constantIbLb0EES1A_EEDaS15_S16_EUlS15_E_NS1_11comp_targetILNS1_3genE9ELNS1_11target_archE1100ELNS1_3gpuE3ELNS1_3repE0EEENS1_30default_config_static_selectorELNS0_4arch9wavefront6targetE0EEEvT1_,comdat
	.globl	_ZN7rocprim17ROCPRIM_400000_NS6detail17trampoline_kernelINS0_14default_configENS1_25partition_config_selectorILNS1_17partition_subalgoE9EllbEEZZNS1_14partition_implILS5_9ELb0ES3_jPlS8_PNS0_10empty_typeENS0_5tupleIJS8_S9_EEENSB_IJS8_SA_EEENS0_18inequality_wrapperIZN2at6native12_GLOBAL__N_124unique_dim_cuda_templateIbEESt5tupleIJNSF_6TensorESK_SK_EERKSK_lbbbEUlllE0_EEPmJS9_EEE10hipError_tPvRmT3_T4_T5_T6_T7_T9_mT8_P12ihipStream_tbDpT10_ENKUlT_T0_E_clISt17integral_constantIbLb0EES1A_EEDaS15_S16_EUlS15_E_NS1_11comp_targetILNS1_3genE9ELNS1_11target_archE1100ELNS1_3gpuE3ELNS1_3repE0EEENS1_30default_config_static_selectorELNS0_4arch9wavefront6targetE0EEEvT1_ ; -- Begin function _ZN7rocprim17ROCPRIM_400000_NS6detail17trampoline_kernelINS0_14default_configENS1_25partition_config_selectorILNS1_17partition_subalgoE9EllbEEZZNS1_14partition_implILS5_9ELb0ES3_jPlS8_PNS0_10empty_typeENS0_5tupleIJS8_S9_EEENSB_IJS8_SA_EEENS0_18inequality_wrapperIZN2at6native12_GLOBAL__N_124unique_dim_cuda_templateIbEESt5tupleIJNSF_6TensorESK_SK_EERKSK_lbbbEUlllE0_EEPmJS9_EEE10hipError_tPvRmT3_T4_T5_T6_T7_T9_mT8_P12ihipStream_tbDpT10_ENKUlT_T0_E_clISt17integral_constantIbLb0EES1A_EEDaS15_S16_EUlS15_E_NS1_11comp_targetILNS1_3genE9ELNS1_11target_archE1100ELNS1_3gpuE3ELNS1_3repE0EEENS1_30default_config_static_selectorELNS0_4arch9wavefront6targetE0EEEvT1_
	.p2align	8
	.type	_ZN7rocprim17ROCPRIM_400000_NS6detail17trampoline_kernelINS0_14default_configENS1_25partition_config_selectorILNS1_17partition_subalgoE9EllbEEZZNS1_14partition_implILS5_9ELb0ES3_jPlS8_PNS0_10empty_typeENS0_5tupleIJS8_S9_EEENSB_IJS8_SA_EEENS0_18inequality_wrapperIZN2at6native12_GLOBAL__N_124unique_dim_cuda_templateIbEESt5tupleIJNSF_6TensorESK_SK_EERKSK_lbbbEUlllE0_EEPmJS9_EEE10hipError_tPvRmT3_T4_T5_T6_T7_T9_mT8_P12ihipStream_tbDpT10_ENKUlT_T0_E_clISt17integral_constantIbLb0EES1A_EEDaS15_S16_EUlS15_E_NS1_11comp_targetILNS1_3genE9ELNS1_11target_archE1100ELNS1_3gpuE3ELNS1_3repE0EEENS1_30default_config_static_selectorELNS0_4arch9wavefront6targetE0EEEvT1_,@function
_ZN7rocprim17ROCPRIM_400000_NS6detail17trampoline_kernelINS0_14default_configENS1_25partition_config_selectorILNS1_17partition_subalgoE9EllbEEZZNS1_14partition_implILS5_9ELb0ES3_jPlS8_PNS0_10empty_typeENS0_5tupleIJS8_S9_EEENSB_IJS8_SA_EEENS0_18inequality_wrapperIZN2at6native12_GLOBAL__N_124unique_dim_cuda_templateIbEESt5tupleIJNSF_6TensorESK_SK_EERKSK_lbbbEUlllE0_EEPmJS9_EEE10hipError_tPvRmT3_T4_T5_T6_T7_T9_mT8_P12ihipStream_tbDpT10_ENKUlT_T0_E_clISt17integral_constantIbLb0EES1A_EEDaS15_S16_EUlS15_E_NS1_11comp_targetILNS1_3genE9ELNS1_11target_archE1100ELNS1_3gpuE3ELNS1_3repE0EEENS1_30default_config_static_selectorELNS0_4arch9wavefront6targetE0EEEvT1_: ; @_ZN7rocprim17ROCPRIM_400000_NS6detail17trampoline_kernelINS0_14default_configENS1_25partition_config_selectorILNS1_17partition_subalgoE9EllbEEZZNS1_14partition_implILS5_9ELb0ES3_jPlS8_PNS0_10empty_typeENS0_5tupleIJS8_S9_EEENSB_IJS8_SA_EEENS0_18inequality_wrapperIZN2at6native12_GLOBAL__N_124unique_dim_cuda_templateIbEESt5tupleIJNSF_6TensorESK_SK_EERKSK_lbbbEUlllE0_EEPmJS9_EEE10hipError_tPvRmT3_T4_T5_T6_T7_T9_mT8_P12ihipStream_tbDpT10_ENKUlT_T0_E_clISt17integral_constantIbLb0EES1A_EEDaS15_S16_EUlS15_E_NS1_11comp_targetILNS1_3genE9ELNS1_11target_archE1100ELNS1_3gpuE3ELNS1_3repE0EEENS1_30default_config_static_selectorELNS0_4arch9wavefront6targetE0EEEvT1_
; %bb.0:
	s_clause 0x3
	s_load_b128 s[4:7], s[0:1], 0x8
	s_load_b32 s8, s[0:1], 0x70
	s_load_b256 s[16:23], s[0:1], 0x40
	s_load_b64 s[24:25], s[0:1], 0x18
	s_mov_b32 s3, 0
	v_lshlrev_b32_e32 v55, 3, v0
	v_lshrrev_b32_e32 v33, 2, v0
	v_or_b32_e32 v38, 0x200, v0
	v_or_b32_e32 v36, 0x400, v0
	;; [unrolled: 1-line block ×7, first 2 shown]
	s_waitcnt lgkmcnt(0)
	s_lshl_b64 s[26:27], s[6:7], 3
	s_delay_alu instid0(SALU_CYCLE_1)
	s_add_u32 s9, s4, s26
	s_addc_u32 s10, s5, s27
	s_add_i32 s11, s8, -1
	s_load_b64 s[12:13], s[18:19], 0x0
	s_lshl_b32 s4, s11, 12
	s_lshl_b32 s5, s8, 12
	s_add_i32 s4, s6, s4
	s_lshl_b32 s2, s15, 12
	s_sub_i32 s28, s20, s4
	s_add_u32 s4, s6, s5
	s_addc_u32 s5, s7, 0
	s_cmp_eq_u32 s15, s11
	v_cmp_ge_u64_e64 s4, s[4:5], s[20:21]
	s_cselect_b32 s14, -1, 0
	s_lshl_b64 s[18:19], s[2:3], 3
	s_mov_b32 s3, -1
	s_delay_alu instid0(VALU_DEP_1) | instskip(NEXT) | instid1(SALU_CYCLE_1)
	s_and_b32 s21, s14, s4
	s_xor_b32 s20, s21, -1
	s_add_u32 s4, s9, s18
	s_addc_u32 s5, s10, s19
	s_and_b32 vcc_lo, exec_lo, s20
	s_cbranch_vccz .LBB1089_2
; %bb.1:
	v_add_co_u32 v9, s2, s4, v55
	s_delay_alu instid0(VALU_DEP_1)
	v_add_co_ci_u32_e64 v10, null, s5, 0, s2
	global_load_b64 v[1:2], v55, s[4:5]
	v_add_co_u32 v3, vcc_lo, v9, 0x2000
	v_add_co_ci_u32_e32 v4, vcc_lo, 0, v10, vcc_lo
	v_add_co_u32 v5, vcc_lo, v9, 0x4000
	v_add_co_ci_u32_e32 v6, vcc_lo, 0, v10, vcc_lo
	;; [unrolled: 2-line block ×4, first 2 shown]
	s_clause 0x6
	global_load_b64 v[11:12], v[3:4], off offset:-4096
	global_load_b64 v[3:4], v[3:4], off
	global_load_b64 v[13:14], v[5:6], off offset:-4096
	global_load_b64 v[5:6], v[5:6], off
	;; [unrolled: 2-line block ×3, first 2 shown]
	global_load_b64 v[9:10], v[9:10], off
	v_lshrrev_b32_e32 v18, 2, v38
	v_lshrrev_b32_e32 v19, 2, v36
	;; [unrolled: 1-line block ×4, first 2 shown]
	v_and_b32_e32 v17, 0x78, v33
	v_lshrrev_b32_e32 v22, 2, v37
	v_lshrrev_b32_e32 v23, 2, v34
	;; [unrolled: 1-line block ×3, first 2 shown]
	v_and_b32_e32 v18, 0xf8, v18
	v_and_b32_e32 v19, 0x178, v19
	;; [unrolled: 1-line block ×4, first 2 shown]
	v_add_nc_u32_e32 v17, v17, v55
	v_and_b32_e32 v22, 0x2f8, v22
	v_and_b32_e32 v23, 0x378, v23
	v_and_b32_e32 v24, 0x3f8, v24
	v_add_nc_u32_e32 v18, v18, v55
	v_add_nc_u32_e32 v19, v19, v55
	;; [unrolled: 1-line block ×4, first 2 shown]
	s_mov_b32 s3, 0
	v_add_nc_u32_e32 v22, v22, v55
	v_add_nc_u32_e32 v23, v23, v55
	;; [unrolled: 1-line block ×3, first 2 shown]
	s_waitcnt vmcnt(7)
	ds_store_b64 v17, v[1:2]
	s_waitcnt vmcnt(6)
	ds_store_b64 v18, v[11:12] offset:4096
	s_waitcnt vmcnt(5)
	ds_store_b64 v19, v[3:4] offset:8192
	;; [unrolled: 2-line block ×7, first 2 shown]
	s_waitcnt lgkmcnt(0)
	s_barrier
.LBB1089_2:
	s_load_b128 s[8:11], s[0:1], 0x60
	v_cmp_gt_u32_e64 s2, s28, v0
	s_and_not1_b32 vcc_lo, exec_lo, s3
	s_cbranch_vccnz .LBB1089_20
; %bb.3:
                                        ; implicit-def: $vgpr1_vgpr2_vgpr3_vgpr4_vgpr5_vgpr6_vgpr7_vgpr8_vgpr9_vgpr10_vgpr11_vgpr12_vgpr13_vgpr14_vgpr15_vgpr16
	s_delay_alu instid0(VALU_DEP_1)
	s_and_saveexec_b32 s3, s2
	s_cbranch_execz .LBB1089_11
; %bb.4:
	global_load_b64 v[1:2], v55, s[4:5]
	s_or_b32 exec_lo, exec_lo, s3
	s_delay_alu instid0(SALU_CYCLE_1)
	s_mov_b32 s2, exec_lo
	v_cmpx_gt_u32_e64 s28, v38
	s_cbranch_execnz .LBB1089_12
.LBB1089_5:
	s_or_b32 exec_lo, exec_lo, s2
	s_delay_alu instid0(SALU_CYCLE_1)
	s_mov_b32 s2, exec_lo
	v_cmpx_gt_u32_e64 s28, v36
	s_cbranch_execz .LBB1089_13
.LBB1089_6:
	v_lshlrev_b32_e32 v5, 3, v36
	global_load_b64 v[5:6], v5, s[4:5]
	s_or_b32 exec_lo, exec_lo, s2
	s_delay_alu instid0(SALU_CYCLE_1)
	s_mov_b32 s2, exec_lo
	v_cmpx_gt_u32_e64 s28, v40
	s_cbranch_execnz .LBB1089_14
.LBB1089_7:
	s_or_b32 exec_lo, exec_lo, s2
	s_delay_alu instid0(SALU_CYCLE_1)
	s_mov_b32 s2, exec_lo
	v_cmpx_gt_u32_e64 s28, v39
	s_cbranch_execz .LBB1089_15
.LBB1089_8:
	v_lshlrev_b32_e32 v9, 3, v39
	global_load_b64 v[9:10], v9, s[4:5]
	s_or_b32 exec_lo, exec_lo, s2
	s_delay_alu instid0(SALU_CYCLE_1)
	s_mov_b32 s2, exec_lo
	v_cmpx_gt_u32_e64 s28, v37
	s_cbranch_execnz .LBB1089_16
.LBB1089_9:
	s_or_b32 exec_lo, exec_lo, s2
	s_delay_alu instid0(SALU_CYCLE_1)
	s_mov_b32 s2, exec_lo
	v_cmpx_gt_u32_e64 s28, v34
	s_cbranch_execz .LBB1089_17
.LBB1089_10:
	v_lshlrev_b32_e32 v13, 3, v34
	global_load_b64 v[13:14], v13, s[4:5]
	s_or_b32 exec_lo, exec_lo, s2
	s_delay_alu instid0(SALU_CYCLE_1)
	s_mov_b32 s2, exec_lo
	v_cmpx_gt_u32_e64 s28, v35
	s_cbranch_execnz .LBB1089_18
	s_branch .LBB1089_19
.LBB1089_11:
	s_or_b32 exec_lo, exec_lo, s3
	s_delay_alu instid0(SALU_CYCLE_1)
	s_mov_b32 s2, exec_lo
	v_cmpx_gt_u32_e64 s28, v38
	s_cbranch_execz .LBB1089_5
.LBB1089_12:
	v_lshlrev_b32_e32 v3, 3, v38
	global_load_b64 v[3:4], v3, s[4:5]
	s_or_b32 exec_lo, exec_lo, s2
	s_delay_alu instid0(SALU_CYCLE_1)
	s_mov_b32 s2, exec_lo
	v_cmpx_gt_u32_e64 s28, v36
	s_cbranch_execnz .LBB1089_6
.LBB1089_13:
	s_or_b32 exec_lo, exec_lo, s2
	s_delay_alu instid0(SALU_CYCLE_1)
	s_mov_b32 s2, exec_lo
	v_cmpx_gt_u32_e64 s28, v40
	s_cbranch_execz .LBB1089_7
.LBB1089_14:
	v_lshlrev_b32_e32 v7, 3, v40
	global_load_b64 v[7:8], v7, s[4:5]
	s_or_b32 exec_lo, exec_lo, s2
	s_delay_alu instid0(SALU_CYCLE_1)
	s_mov_b32 s2, exec_lo
	v_cmpx_gt_u32_e64 s28, v39
	s_cbranch_execnz .LBB1089_8
.LBB1089_15:
	s_or_b32 exec_lo, exec_lo, s2
	s_delay_alu instid0(SALU_CYCLE_1)
	s_mov_b32 s2, exec_lo
	v_cmpx_gt_u32_e64 s28, v37
	s_cbranch_execz .LBB1089_9
.LBB1089_16:
	v_lshlrev_b32_e32 v11, 3, v37
	global_load_b64 v[11:12], v11, s[4:5]
	s_or_b32 exec_lo, exec_lo, s2
	s_delay_alu instid0(SALU_CYCLE_1)
	s_mov_b32 s2, exec_lo
	v_cmpx_gt_u32_e64 s28, v34
	s_cbranch_execnz .LBB1089_10
.LBB1089_17:
	s_or_b32 exec_lo, exec_lo, s2
	s_delay_alu instid0(SALU_CYCLE_1)
	s_mov_b32 s2, exec_lo
	v_cmpx_gt_u32_e64 s28, v35
	s_cbranch_execz .LBB1089_19
.LBB1089_18:
	v_lshlrev_b32_e32 v15, 3, v35
	global_load_b64 v[15:16], v15, s[4:5]
.LBB1089_19:
	s_or_b32 exec_lo, exec_lo, s2
	v_lshrrev_b32_e32 v17, 2, v38
	v_lshrrev_b32_e32 v18, 2, v36
	;; [unrolled: 1-line block ×4, first 2 shown]
	v_and_b32_e32 v19, 0x78, v33
	v_lshrrev_b32_e32 v22, 2, v37
	v_lshrrev_b32_e32 v23, 2, v34
	;; [unrolled: 1-line block ×3, first 2 shown]
	v_and_b32_e32 v17, 0xf8, v17
	v_and_b32_e32 v18, 0x1f8, v18
	;; [unrolled: 1-line block ×4, first 2 shown]
	v_add_nc_u32_e32 v19, v19, v55
	v_and_b32_e32 v22, 0x3f8, v22
	v_and_b32_e32 v23, 0x3f8, v23
	;; [unrolled: 1-line block ×3, first 2 shown]
	v_add_nc_u32_e32 v17, v17, v55
	v_add_nc_u32_e32 v18, v18, v55
	;; [unrolled: 1-line block ×7, first 2 shown]
	s_waitcnt vmcnt(0)
	ds_store_b64 v19, v[1:2]
	ds_store_b64 v17, v[3:4] offset:4096
	ds_store_b64 v18, v[5:6] offset:8192
	;; [unrolled: 1-line block ×7, first 2 shown]
	s_waitcnt lgkmcnt(0)
	s_barrier
.LBB1089_20:
	v_add_lshl_u32 v41, v33, v55, 3
	s_waitcnt lgkmcnt(0)
	buffer_gl0_inv
	s_add_u32 s2, s24, s26
	s_addc_u32 s3, s25, s27
	s_add_u32 s2, s2, s18
	ds_load_2addr_b64 v[29:32], v41 offset1:1
	ds_load_2addr_b64 v[25:28], v41 offset0:2 offset1:3
	ds_load_2addr_b64 v[21:24], v41 offset0:4 offset1:5
	;; [unrolled: 1-line block ×3, first 2 shown]
	s_addc_u32 s3, s3, s19
	s_and_b32 vcc_lo, exec_lo, s20
	s_mov_b32 s18, -1
	s_waitcnt lgkmcnt(0)
	s_barrier
	buffer_gl0_inv
	s_cbranch_vccz .LBB1089_22
; %bb.21:
	v_add_co_u32 v9, s18, s2, v55
	s_delay_alu instid0(VALU_DEP_1)
	v_add_co_ci_u32_e64 v10, null, s3, 0, s18
	global_load_b64 v[1:2], v55, s[2:3]
	v_add_co_u32 v3, vcc_lo, v9, 0x2000
	v_add_co_ci_u32_e32 v4, vcc_lo, 0, v10, vcc_lo
	v_add_co_u32 v5, vcc_lo, v9, 0x4000
	v_add_co_ci_u32_e32 v6, vcc_lo, 0, v10, vcc_lo
	;; [unrolled: 2-line block ×4, first 2 shown]
	s_clause 0x6
	global_load_b64 v[11:12], v[3:4], off offset:-4096
	global_load_b64 v[3:4], v[3:4], off
	global_load_b64 v[13:14], v[5:6], off offset:-4096
	global_load_b64 v[5:6], v[5:6], off
	;; [unrolled: 2-line block ×3, first 2 shown]
	global_load_b64 v[9:10], v[9:10], off
	v_lshrrev_b32_e32 v43, 2, v38
	v_lshrrev_b32_e32 v44, 2, v36
	;; [unrolled: 1-line block ×4, first 2 shown]
	v_and_b32_e32 v42, 0x78, v33
	v_lshrrev_b32_e32 v47, 2, v37
	v_lshrrev_b32_e32 v48, 2, v34
	;; [unrolled: 1-line block ×3, first 2 shown]
	v_and_b32_e32 v43, 0xf8, v43
	v_and_b32_e32 v44, 0x178, v44
	;; [unrolled: 1-line block ×4, first 2 shown]
	v_add_nc_u32_e32 v42, v42, v55
	v_and_b32_e32 v47, 0x2f8, v47
	v_and_b32_e32 v48, 0x378, v48
	;; [unrolled: 1-line block ×3, first 2 shown]
	v_add_nc_u32_e32 v43, v43, v55
	v_add_nc_u32_e32 v44, v44, v55
	;; [unrolled: 1-line block ×4, first 2 shown]
	s_mov_b32 s18, 0
	v_add_nc_u32_e32 v47, v47, v55
	v_add_nc_u32_e32 v48, v48, v55
	;; [unrolled: 1-line block ×3, first 2 shown]
	s_waitcnt vmcnt(7)
	ds_store_b64 v42, v[1:2]
	s_waitcnt vmcnt(6)
	ds_store_b64 v43, v[11:12] offset:4096
	s_waitcnt vmcnt(5)
	ds_store_b64 v44, v[3:4] offset:8192
	;; [unrolled: 2-line block ×7, first 2 shown]
	s_waitcnt lgkmcnt(0)
	s_barrier
.LBB1089_22:
	s_and_not1_b32 vcc_lo, exec_lo, s18
	s_cbranch_vccnz .LBB1089_40
; %bb.23:
	s_mov_b32 s18, exec_lo
                                        ; implicit-def: $vgpr1_vgpr2
	v_cmpx_gt_u32_e64 s28, v0
	s_cbranch_execz .LBB1089_25
; %bb.24:
	global_load_b64 v[1:2], v55, s[2:3]
.LBB1089_25:
	s_or_b32 exec_lo, exec_lo, s18
	s_delay_alu instid0(SALU_CYCLE_1)
	s_mov_b32 s18, exec_lo
                                        ; implicit-def: $vgpr3_vgpr4
	v_cmpx_gt_u32_e64 s28, v38
	s_cbranch_execz .LBB1089_27
; %bb.26:
	v_lshlrev_b32_e32 v3, 3, v38
	global_load_b64 v[3:4], v3, s[2:3]
.LBB1089_27:
	s_or_b32 exec_lo, exec_lo, s18
	s_delay_alu instid0(SALU_CYCLE_1)
	s_mov_b32 s18, exec_lo
                                        ; implicit-def: $vgpr5_vgpr6
	v_cmpx_gt_u32_e64 s28, v36
	s_cbranch_execz .LBB1089_29
; %bb.28:
	v_lshlrev_b32_e32 v5, 3, v36
	global_load_b64 v[5:6], v5, s[2:3]
.LBB1089_29:
	s_or_b32 exec_lo, exec_lo, s18
	s_delay_alu instid0(SALU_CYCLE_1)
	s_mov_b32 s18, exec_lo
                                        ; implicit-def: $vgpr7_vgpr8
	v_cmpx_gt_u32_e64 s28, v40
	s_cbranch_execz .LBB1089_31
; %bb.30:
	v_lshlrev_b32_e32 v7, 3, v40
	global_load_b64 v[7:8], v7, s[2:3]
.LBB1089_31:
	s_or_b32 exec_lo, exec_lo, s18
	s_delay_alu instid0(SALU_CYCLE_1)
	s_mov_b32 s18, exec_lo
                                        ; implicit-def: $vgpr9_vgpr10
	v_cmpx_gt_u32_e64 s28, v39
	s_cbranch_execz .LBB1089_33
; %bb.32:
	v_lshlrev_b32_e32 v9, 3, v39
	global_load_b64 v[9:10], v9, s[2:3]
.LBB1089_33:
	s_or_b32 exec_lo, exec_lo, s18
	s_delay_alu instid0(SALU_CYCLE_1)
	s_mov_b32 s18, exec_lo
                                        ; implicit-def: $vgpr11_vgpr12
	v_cmpx_gt_u32_e64 s28, v37
	s_cbranch_execz .LBB1089_35
; %bb.34:
	v_lshlrev_b32_e32 v11, 3, v37
	global_load_b64 v[11:12], v11, s[2:3]
.LBB1089_35:
	s_or_b32 exec_lo, exec_lo, s18
	s_delay_alu instid0(SALU_CYCLE_1)
	s_mov_b32 s18, exec_lo
                                        ; implicit-def: $vgpr13_vgpr14
	v_cmpx_gt_u32_e64 s28, v34
	s_cbranch_execz .LBB1089_37
; %bb.36:
	v_lshlrev_b32_e32 v13, 3, v34
	global_load_b64 v[13:14], v13, s[2:3]
.LBB1089_37:
	s_or_b32 exec_lo, exec_lo, s18
	s_delay_alu instid0(SALU_CYCLE_1)
	s_mov_b32 s18, exec_lo
                                        ; implicit-def: $vgpr15_vgpr16
	v_cmpx_gt_u32_e64 s28, v35
	s_cbranch_execz .LBB1089_39
; %bb.38:
	v_lshlrev_b32_e32 v15, 3, v35
	global_load_b64 v[15:16], v15, s[2:3]
.LBB1089_39:
	s_or_b32 exec_lo, exec_lo, s18
	v_lshrrev_b32_e32 v38, 2, v38
	v_lshrrev_b32_e32 v36, 2, v36
	;; [unrolled: 1-line block ×4, first 2 shown]
	v_and_b32_e32 v33, 0x78, v33
	v_lshrrev_b32_e32 v37, 2, v37
	v_lshrrev_b32_e32 v34, 2, v34
	;; [unrolled: 1-line block ×3, first 2 shown]
	v_and_b32_e32 v38, 0xf8, v38
	v_and_b32_e32 v36, 0x1f8, v36
	;; [unrolled: 1-line block ×4, first 2 shown]
	v_add_nc_u32_e32 v33, v33, v55
	v_and_b32_e32 v37, 0x3f8, v37
	v_and_b32_e32 v34, 0x3f8, v34
	;; [unrolled: 1-line block ×3, first 2 shown]
	v_add_nc_u32_e32 v38, v38, v55
	v_add_nc_u32_e32 v36, v36, v55
	;; [unrolled: 1-line block ×7, first 2 shown]
	s_waitcnt vmcnt(0)
	ds_store_b64 v33, v[1:2]
	ds_store_b64 v38, v[3:4] offset:4096
	ds_store_b64 v36, v[5:6] offset:8192
	;; [unrolled: 1-line block ×7, first 2 shown]
	s_waitcnt lgkmcnt(0)
	s_barrier
.LBB1089_40:
	buffer_gl0_inv
	ds_load_2addr_b64 v[13:16], v41 offset1:1
	ds_load_2addr_b64 v[9:12], v41 offset0:2 offset1:3
	ds_load_2addr_b64 v[5:8], v41 offset0:4 offset1:5
	;; [unrolled: 1-line block ×3, first 2 shown]
	s_cmp_lg_u32 s15, 0
	v_cmp_lt_i64_e64 s19, s[22:23], 1
	s_cselect_b32 s18, -1, 0
	s_cmp_lg_u64 s[6:7], 0
	s_mov_b32 s6, 0
	s_cselect_b32 s2, -1, 0
	s_waitcnt lgkmcnt(0)
	s_or_b32 s3, s18, s2
	v_cmp_gt_i64_e64 s2, s[22:23], 0
	s_and_b32 vcc_lo, exec_lo, s3
	s_barrier
	buffer_gl0_inv
	s_cbranch_vccz .LBB1089_49
; %bb.41:
	s_add_u32 s4, s4, -8
	s_addc_u32 s5, s5, -1
	s_and_b32 vcc_lo, exec_lo, s20
	s_load_b64 s[4:5], s[4:5], 0x0
	ds_store_b64 v55, v[19:20]
	s_cbranch_vccz .LBB1089_50
; %bb.42:
	v_cndmask_b32_e64 v42, 0, 1, s2
	s_and_not1_b32 vcc_lo, exec_lo, s2
	s_cbranch_vccnz .LBB1089_51
; %bb.43:
	v_mad_u64_u32 v[33:34], null, v17, s22, s[8:9]
	v_mul_lo_u32 v37, v17, s23
	v_mul_lo_u32 v38, v18, s22
	v_mad_u64_u32 v[35:36], null, v19, s22, s[8:9]
	v_mul_lo_u32 v39, v19, s23
	v_mul_lo_u32 v40, v20, s22
	s_mov_b32 s26, 0
	s_mov_b32 s24, -1
	s_delay_alu instid0(VALU_DEP_4) | instskip(NEXT) | instid1(VALU_DEP_2)
	v_add3_u32 v34, v38, v34, v37
	v_add3_u32 v36, v40, v36, v39
	s_clause 0x1
	global_load_u8 v37, v[33:34], off
	global_load_u8 v38, v[35:36], off
	s_waitcnt vmcnt(1)
	v_cmp_ne_u16_e32 vcc_lo, 0, v37
	s_waitcnt vmcnt(0)
	v_cmp_ne_u16_e64 s2, 0, v38
	s_delay_alu instid0(VALU_DEP_1) | instskip(NEXT) | instid1(SALU_CYCLE_1)
	s_xor_b32 s2, vcc_lo, s2
	s_xor_b32 s2, s2, -1
	s_delay_alu instid0(SALU_CYCLE_1)
	s_and_saveexec_b32 s25, s2
	s_cbranch_execz .LBB1089_53
; %bb.44:
	s_mov_b64 s[6:7], 1
                                        ; implicit-def: $sgpr24
	s_set_inst_prefetch_distance 0x1
	s_branch .LBB1089_47
	.p2align	6
.LBB1089_45:                            ;   in Loop: Header=BB1089_47 Depth=1
	v_add_co_u32 v37, s2, v33, s6
	s_delay_alu instid0(VALU_DEP_1) | instskip(SKIP_1) | instid1(VALU_DEP_1)
	v_add_co_ci_u32_e64 v38, s2, s7, v34, s2
	v_add_co_u32 v39, s2, v35, s6
	v_add_co_ci_u32_e64 v40, s2, s7, v36, s2
	s_clause 0x1
	global_load_u8 v37, v[37:38], off
	global_load_u8 v38, v[39:40], off
	s_waitcnt vmcnt(1)
	v_cmp_ne_u16_e64 s2, 0, v37
	s_waitcnt vmcnt(0)
	v_cmp_ne_u16_e64 s3, 0, v38
	s_delay_alu instid0(VALU_DEP_1) | instskip(SKIP_4) | instid1(SALU_CYCLE_1)
	s_xor_b32 s27, s2, s3
	s_add_u32 s2, s6, 1
	s_addc_u32 s3, s7, 0
	s_and_not1_b32 s24, s24, exec_lo
	s_and_b32 s27, s27, exec_lo
	s_or_b32 s24, s24, s27
.LBB1089_46:                            ;   in Loop: Header=BB1089_47 Depth=1
	v_dual_mov_b32 v38, s7 :: v_dual_mov_b32 v37, s6
	s_and_b32 s27, exec_lo, s24
	s_mov_b64 s[6:7], s[2:3]
	s_or_b32 s26, s27, s26
	s_delay_alu instid0(SALU_CYCLE_1)
	s_and_not1_b32 exec_lo, exec_lo, s26
	s_cbranch_execz .LBB1089_52
.LBB1089_47:                            ; =>This Inner Loop Header: Depth=1
	s_or_b32 s24, s24, exec_lo
	s_cmp_eq_u64 s[22:23], s[6:7]
	s_cbranch_scc0 .LBB1089_45
; %bb.48:                               ;   in Loop: Header=BB1089_47 Depth=1
	s_mov_b64 s[6:7], s[22:23]
                                        ; implicit-def: $sgpr2_sgpr3
	s_branch .LBB1089_46
.LBB1089_49:
                                        ; implicit-def: $sgpr2
                                        ; implicit-def: $vgpr34
	s_branch .LBB1089_194
.LBB1089_50:
                                        ; implicit-def: $sgpr2
                                        ; implicit-def: $vgpr34
	s_cbranch_execnz .LBB1089_118
	s_branch .LBB1089_193
.LBB1089_51:
	v_mov_b32_e32 v33, 0
	s_mov_b32 s2, 0
	s_branch .LBB1089_61
.LBB1089_52:
	s_set_inst_prefetch_distance 0x2
	s_or_b32 exec_lo, exec_lo, s26
	v_cmp_gt_i64_e64 s2, s[22:23], v[37:38]
	s_delay_alu instid0(VALU_DEP_1)
	s_or_not1_b32 s24, s2, exec_lo
.LBB1089_53:
	s_or_b32 exec_lo, exec_lo, s25
	v_mad_u64_u32 v[35:36], null, v23, s22, s[8:9]
	v_mul_lo_u32 v37, v23, s23
	v_mul_lo_u32 v38, v24, s22
	s_mov_b32 s26, 0
	s_delay_alu instid0(VALU_DEP_1) | instskip(SKIP_3) | instid1(VALU_DEP_1)
	v_add3_u32 v36, v38, v36, v37
	global_load_u8 v37, v[35:36], off
	s_waitcnt vmcnt(0)
	v_cmp_ne_u16_e64 s2, 0, v37
	s_xor_b32 s3, vcc_lo, s2
	s_mov_b32 s2, -1
	s_xor_b32 s3, s3, -1
	s_delay_alu instid0(SALU_CYCLE_1)
	s_and_saveexec_b32 s25, s3
	s_cbranch_execz .LBB1089_60
; %bb.54:
	s_mov_b64 s[6:7], 1
                                        ; implicit-def: $sgpr27
	s_set_inst_prefetch_distance 0x1
	s_branch .LBB1089_57
	.p2align	6
.LBB1089_55:                            ;   in Loop: Header=BB1089_57 Depth=1
	v_add_co_u32 v37, vcc_lo, v35, s6
	v_add_co_ci_u32_e32 v38, vcc_lo, s7, v36, vcc_lo
	v_add_co_u32 v39, vcc_lo, v33, s6
	v_add_co_ci_u32_e32 v40, vcc_lo, s7, v34, vcc_lo
	s_clause 0x1
	global_load_u8 v37, v[37:38], off
	global_load_u8 v38, v[39:40], off
	s_waitcnt vmcnt(1)
	v_cmp_ne_u16_e32 vcc_lo, 0, v37
	s_waitcnt vmcnt(0)
	v_cmp_ne_u16_e64 s2, 0, v38
	s_delay_alu instid0(VALU_DEP_1) | instskip(SKIP_4) | instid1(SALU_CYCLE_1)
	s_xor_b32 s29, vcc_lo, s2
	s_add_u32 s2, s6, 1
	s_addc_u32 s3, s7, 0
	s_and_not1_b32 s27, s27, exec_lo
	s_and_b32 s29, s29, exec_lo
	s_or_b32 s27, s27, s29
.LBB1089_56:                            ;   in Loop: Header=BB1089_57 Depth=1
	v_dual_mov_b32 v38, s7 :: v_dual_mov_b32 v37, s6
	s_and_b32 s29, exec_lo, s27
	s_mov_b64 s[6:7], s[2:3]
	s_or_b32 s26, s29, s26
	s_delay_alu instid0(SALU_CYCLE_1)
	s_and_not1_b32 exec_lo, exec_lo, s26
	s_cbranch_execz .LBB1089_59
.LBB1089_57:                            ; =>This Inner Loop Header: Depth=1
	s_or_b32 s27, s27, exec_lo
	s_cmp_eq_u64 s[22:23], s[6:7]
	s_cbranch_scc0 .LBB1089_55
; %bb.58:                               ;   in Loop: Header=BB1089_57 Depth=1
	s_mov_b64 s[6:7], s[22:23]
                                        ; implicit-def: $sgpr2_sgpr3
	s_branch .LBB1089_56
.LBB1089_59:
	s_set_inst_prefetch_distance 0x2
	s_or_b32 exec_lo, exec_lo, s26
	v_cmp_gt_i64_e32 vcc_lo, s[22:23], v[37:38]
	s_or_not1_b32 s2, vcc_lo, exec_lo
.LBB1089_60:
	s_or_b32 exec_lo, exec_lo, s25
	v_cndmask_b32_e64 v33, 0, 1, s24
.LBB1089_61:
	v_and_b32_e32 v34, 0xff, v0
	v_lshlrev_b16 v35, 8, v0
	v_and_b32_e32 v36, 0xff, v0
	v_lshlrev_b16 v37, 8, v0
	;; [unrolled: 2-line block ×3, first 2 shown]
	v_lshlrev_b16 v33, 8, v33
	v_cndmask_b32_e64 v40, 0, 1, s2
	v_or_b32_e32 v34, v34, v35
	v_or_b32_e32 v35, v36, v37
	;; [unrolled: 1-line block ×3, first 2 shown]
	v_cmp_ne_u32_e32 vcc_lo, 1, v42
	v_or_b32_e32 v33, v40, v33
	v_and_b32_e32 v34, 0xffff, v34
	v_lshlrev_b32_e32 v35, 16, v35
	v_and_b32_e32 v36, 0xffff, v36
	s_delay_alu instid0(VALU_DEP_4) | instskip(NEXT) | instid1(VALU_DEP_3)
	v_lshlrev_b32_e32 v33, 16, v33
	v_or_b32_e32 v43, v34, v35
	s_delay_alu instid0(VALU_DEP_2)
	v_or_b32_e32 v40, v36, v33
	s_cbranch_vccnz .LBB1089_68
; %bb.62:
	v_mad_u64_u32 v[33:34], null, v21, s22, s[8:9]
	v_mul_lo_u32 v37, v21, s23
	v_mul_lo_u32 v38, v22, s22
	v_mad_u64_u32 v[35:36], null, v23, s22, s[8:9]
	v_mul_lo_u32 v39, v23, s23
	v_mul_lo_u32 v41, v24, s22
	s_mov_b32 s25, 0
	s_delay_alu instid0(VALU_DEP_4) | instskip(NEXT) | instid1(VALU_DEP_2)
	v_add3_u32 v34, v38, v34, v37
	v_add3_u32 v36, v41, v36, v39
	s_clause 0x1
	global_load_u8 v37, v[33:34], off
	global_load_u8 v38, v[35:36], off
	s_waitcnt vmcnt(1)
	v_cmp_ne_u16_e32 vcc_lo, 0, v37
	s_waitcnt vmcnt(0)
	v_cmp_ne_u16_e64 s2, 0, v38
	s_delay_alu instid0(VALU_DEP_1) | instskip(SKIP_2) | instid1(SALU_CYCLE_1)
	s_xor_b32 s3, vcc_lo, s2
	s_mov_b32 s2, -1
	s_xor_b32 s3, s3, -1
	s_and_saveexec_b32 s24, s3
	s_cbranch_execz .LBB1089_70
; %bb.63:
	s_mov_b64 s[6:7], 1
                                        ; implicit-def: $sgpr26
	s_set_inst_prefetch_distance 0x1
	s_branch .LBB1089_66
	.p2align	6
.LBB1089_64:                            ;   in Loop: Header=BB1089_66 Depth=1
	v_add_co_u32 v37, s2, v33, s6
	s_delay_alu instid0(VALU_DEP_1) | instskip(SKIP_1) | instid1(VALU_DEP_1)
	v_add_co_ci_u32_e64 v38, s2, s7, v34, s2
	v_add_co_u32 v44, s2, v35, s6
	v_add_co_ci_u32_e64 v45, s2, s7, v36, s2
	s_clause 0x1
	global_load_u8 v37, v[37:38], off
	global_load_u8 v38, v[44:45], off
	s_waitcnt vmcnt(1)
	v_cmp_ne_u16_e64 s2, 0, v37
	s_waitcnt vmcnt(0)
	v_cmp_ne_u16_e64 s3, 0, v38
	s_delay_alu instid0(VALU_DEP_1) | instskip(SKIP_4) | instid1(SALU_CYCLE_1)
	s_xor_b32 s27, s2, s3
	s_add_u32 s2, s6, 1
	s_addc_u32 s3, s7, 0
	s_and_not1_b32 s26, s26, exec_lo
	s_and_b32 s27, s27, exec_lo
	s_or_b32 s26, s26, s27
.LBB1089_65:                            ;   in Loop: Header=BB1089_66 Depth=1
	v_dual_mov_b32 v38, s7 :: v_dual_mov_b32 v37, s6
	s_and_b32 s27, exec_lo, s26
	s_mov_b64 s[6:7], s[2:3]
	s_or_b32 s25, s27, s25
	s_delay_alu instid0(SALU_CYCLE_1)
	s_and_not1_b32 exec_lo, exec_lo, s25
	s_cbranch_execz .LBB1089_69
.LBB1089_66:                            ; =>This Inner Loop Header: Depth=1
	s_or_b32 s26, s26, exec_lo
	s_cmp_eq_u64 s[22:23], s[6:7]
	s_cbranch_scc0 .LBB1089_64
; %bb.67:                               ;   in Loop: Header=BB1089_66 Depth=1
	s_mov_b64 s[6:7], s[22:23]
                                        ; implicit-def: $sgpr2_sgpr3
	s_branch .LBB1089_65
.LBB1089_68:
                                        ; implicit-def: $sgpr2
                                        ; implicit-def: $vgpr34_vgpr35
	s_cbranch_execnz .LBB1089_78
	s_branch .LBB1089_79
.LBB1089_69:
	s_set_inst_prefetch_distance 0x2
	s_or_b32 exec_lo, exec_lo, s25
	v_cmp_gt_i64_e64 s2, s[22:23], v[37:38]
	s_delay_alu instid0(VALU_DEP_1)
	s_or_not1_b32 s2, s2, exec_lo
.LBB1089_70:
	s_or_b32 exec_lo, exec_lo, s24
	v_mad_u64_u32 v[36:37], null, v27, s22, s[8:9]
	v_mul_lo_u32 v35, v27, s23
	v_mul_lo_u32 v38, v28, s22
	v_and_b32_e32 v39, 0xff, v40
	s_mov_b32 s24, 0
	s_delay_alu instid0(VALU_DEP_2) | instskip(SKIP_3) | instid1(VALU_DEP_1)
	v_add3_u32 v37, v38, v37, v35
	v_cndmask_b32_e64 v38, 0, 1, s2
	global_load_u8 v35, v[36:37], off
	v_lshlrev_b16 v38, 8, v38
	v_or_b32_e32 v38, v39, v38
	s_delay_alu instid0(VALU_DEP_1) | instskip(SKIP_2) | instid1(VALU_DEP_2)
	v_and_b32_e32 v38, 0xffff, v38
	s_waitcnt vmcnt(0)
	v_cmp_ne_u16_e64 s2, 0, v35
	v_and_or_b32 v35, 0xffff0000, v40, v38
	s_delay_alu instid0(VALU_DEP_2) | instskip(SKIP_2) | instid1(SALU_CYCLE_1)
	s_xor_b32 s3, vcc_lo, s2
	s_mov_b32 s2, -1
	s_xor_b32 s3, s3, -1
	s_and_saveexec_b32 s25, s3
	s_cbranch_execz .LBB1089_77
; %bb.71:
	s_mov_b64 s[6:7], 1
	s_mov_b32 s26, 0
                                        ; implicit-def: $sgpr27
	s_set_inst_prefetch_distance 0x1
	s_branch .LBB1089_74
	.p2align	6
.LBB1089_72:                            ;   in Loop: Header=BB1089_74 Depth=1
	v_add_co_u32 v38, vcc_lo, v36, s6
	v_add_co_ci_u32_e32 v39, vcc_lo, s7, v37, vcc_lo
	v_add_co_u32 v44, vcc_lo, v33, s6
	v_add_co_ci_u32_e32 v45, vcc_lo, s7, v34, vcc_lo
	s_clause 0x1
	global_load_u8 v38, v[38:39], off
	global_load_u8 v39, v[44:45], off
	s_waitcnt vmcnt(1)
	v_cmp_ne_u16_e32 vcc_lo, 0, v38
	s_waitcnt vmcnt(0)
	v_cmp_ne_u16_e64 s2, 0, v39
	s_delay_alu instid0(VALU_DEP_1) | instskip(SKIP_4) | instid1(SALU_CYCLE_1)
	s_xor_b32 s29, vcc_lo, s2
	s_add_u32 s2, s6, 1
	s_addc_u32 s3, s7, 0
	s_and_not1_b32 s27, s27, exec_lo
	s_and_b32 s29, s29, exec_lo
	s_or_b32 s27, s27, s29
.LBB1089_73:                            ;   in Loop: Header=BB1089_74 Depth=1
	v_dual_mov_b32 v39, s7 :: v_dual_mov_b32 v38, s6
	s_and_b32 s29, exec_lo, s27
	s_mov_b64 s[6:7], s[2:3]
	s_or_b32 s26, s29, s26
	s_delay_alu instid0(SALU_CYCLE_1)
	s_and_not1_b32 exec_lo, exec_lo, s26
	s_cbranch_execz .LBB1089_76
.LBB1089_74:                            ; =>This Inner Loop Header: Depth=1
	s_or_b32 s27, s27, exec_lo
	s_cmp_eq_u64 s[22:23], s[6:7]
	s_cbranch_scc0 .LBB1089_72
; %bb.75:                               ;   in Loop: Header=BB1089_74 Depth=1
	s_mov_b64 s[6:7], s[22:23]
                                        ; implicit-def: $sgpr2_sgpr3
	s_branch .LBB1089_73
.LBB1089_76:
	s_set_inst_prefetch_distance 0x2
	s_or_b32 exec_lo, exec_lo, s26
	v_cmp_gt_i64_e32 vcc_lo, s[22:23], v[38:39]
	s_or_not1_b32 s2, vcc_lo, exec_lo
.LBB1089_77:
	s_or_b32 exec_lo, exec_lo, s25
	s_delay_alu instid0(SALU_CYCLE_1)
	s_and_b32 vcc_lo, exec_lo, s24
	s_cbranch_vccz .LBB1089_79
.LBB1089_78:
	s_delay_alu instid0(VALU_DEP_1)
	v_and_b32_e32 v35, 0xffff00ff, v40
	s_and_not1_b32 s2, s2, exec_lo
.LBB1089_79:
	s_delay_alu instid0(VALU_DEP_1) | instskip(SKIP_2) | instid1(VALU_DEP_2)
	v_and_b32_e32 v33, 0xffffff00, v35
	v_cndmask_b32_e64 v34, 0, 1, s2
	v_cmp_ne_u32_e32 vcc_lo, 1, v42
	v_or_b32_e32 v33, v34, v33
	s_delay_alu instid0(VALU_DEP_1) | instskip(NEXT) | instid1(VALU_DEP_1)
	v_and_b32_e32 v33, 0xffff, v33
	v_and_or_b32 v34, 0xffff0000, v35, v33
	s_cbranch_vccnz .LBB1089_86
; %bb.80:
	v_mad_u64_u32 v[36:37], null, v25, s22, s[8:9]
	v_mul_lo_u32 v33, v25, s23
	v_mul_lo_u32 v35, v26, s22
	v_mad_u64_u32 v[38:39], null, v27, s22, s[8:9]
	v_mul_lo_u32 v40, v27, s23
	v_mul_lo_u32 v41, v28, s22
	s_delay_alu instid0(VALU_DEP_4) | instskip(NEXT) | instid1(VALU_DEP_2)
	v_add3_u32 v37, v35, v37, v33
	v_add3_u32 v39, v41, v39, v40
	s_clause 0x1
	global_load_u8 v33, v[36:37], off
	global_load_u8 v35, v[38:39], off
	s_waitcnt vmcnt(1)
	v_cmp_ne_u16_e32 vcc_lo, 0, v33
	s_waitcnt vmcnt(0)
	v_cmp_ne_u16_e64 s2, 0, v35
	s_delay_alu instid0(VALU_DEP_1) | instskip(SKIP_2) | instid1(SALU_CYCLE_1)
	s_xor_b32 s3, vcc_lo, s2
	s_mov_b32 s2, -1
	s_xor_b32 s3, s3, -1
	s_and_saveexec_b32 s24, s3
	s_cbranch_execz .LBB1089_88
; %bb.81:
	s_mov_b64 s[6:7], 1
	s_mov_b32 s25, 0
                                        ; implicit-def: $sgpr26
	s_set_inst_prefetch_distance 0x1
	s_branch .LBB1089_84
	.p2align	6
.LBB1089_82:                            ;   in Loop: Header=BB1089_84 Depth=1
	v_add_co_u32 v40, s2, v36, s6
	s_delay_alu instid0(VALU_DEP_1) | instskip(SKIP_1) | instid1(VALU_DEP_1)
	v_add_co_ci_u32_e64 v41, s2, s7, v37, s2
	v_add_co_u32 v44, s2, v38, s6
	v_add_co_ci_u32_e64 v45, s2, s7, v39, s2
	s_clause 0x1
	global_load_u8 v33, v[40:41], off
	global_load_u8 v35, v[44:45], off
	s_waitcnt vmcnt(1)
	v_cmp_ne_u16_e64 s2, 0, v33
	s_waitcnt vmcnt(0)
	v_cmp_ne_u16_e64 s3, 0, v35
	s_delay_alu instid0(VALU_DEP_1) | instskip(SKIP_4) | instid1(SALU_CYCLE_1)
	s_xor_b32 s27, s2, s3
	s_add_u32 s2, s6, 1
	s_addc_u32 s3, s7, 0
	s_and_not1_b32 s26, s26, exec_lo
	s_and_b32 s27, s27, exec_lo
	s_or_b32 s26, s26, s27
.LBB1089_83:                            ;   in Loop: Header=BB1089_84 Depth=1
	v_dual_mov_b32 v41, s7 :: v_dual_mov_b32 v40, s6
	s_and_b32 s27, exec_lo, s26
	s_mov_b64 s[6:7], s[2:3]
	s_or_b32 s25, s27, s25
	s_delay_alu instid0(SALU_CYCLE_1)
	s_and_not1_b32 exec_lo, exec_lo, s25
	s_cbranch_execz .LBB1089_87
.LBB1089_84:                            ; =>This Inner Loop Header: Depth=1
	s_or_b32 s26, s26, exec_lo
	s_cmp_eq_u64 s[22:23], s[6:7]
	s_cbranch_scc0 .LBB1089_82
; %bb.85:                               ;   in Loop: Header=BB1089_84 Depth=1
	s_mov_b64 s[6:7], s[22:23]
                                        ; implicit-def: $sgpr2_sgpr3
	s_branch .LBB1089_83
.LBB1089_86:
                                        ; implicit-def: $sgpr24
                                        ; implicit-def: $vgpr35_vgpr36
	s_cbranch_execnz .LBB1089_96
	s_branch .LBB1089_97
.LBB1089_87:
	s_set_inst_prefetch_distance 0x2
	s_or_b32 exec_lo, exec_lo, s25
	v_cmp_gt_i64_e64 s2, s[22:23], v[40:41]
	s_delay_alu instid0(VALU_DEP_1)
	s_or_not1_b32 s2, s2, exec_lo
.LBB1089_88:
	s_or_b32 exec_lo, exec_lo, s24
	v_mad_u64_u32 v[38:39], null, v31, s22, s[8:9]
	v_mul_lo_u32 v33, v31, s23
	v_mul_lo_u32 v35, v32, s22
	v_cndmask_b32_e64 v40, 0, 1, s2
	s_mov_b32 s25, 0
	s_mov_b32 s24, -1
	s_delay_alu instid0(VALU_DEP_1) | instskip(NEXT) | instid1(VALU_DEP_3)
	v_lshlrev_b16 v40, 8, v40
	v_add3_u32 v39, v35, v39, v33
	v_lshrrev_b32_e32 v35, 16, v43
	global_load_u8 v33, v[38:39], off
	v_and_b32_e32 v35, 0xff, v35
	s_delay_alu instid0(VALU_DEP_1) | instskip(NEXT) | instid1(VALU_DEP_1)
	v_or_b32_e32 v35, v35, v40
	v_lshlrev_b32_e32 v35, 16, v35
	s_delay_alu instid0(VALU_DEP_1) | instskip(SKIP_2) | instid1(VALU_DEP_1)
	v_and_or_b32 v35, 0xffff, v43, v35
	s_waitcnt vmcnt(0)
	v_cmp_ne_u16_e64 s2, 0, v33
	s_xor_b32 s2, vcc_lo, s2
	s_delay_alu instid0(SALU_CYCLE_1) | instskip(NEXT) | instid1(SALU_CYCLE_1)
	s_xor_b32 s2, s2, -1
	s_and_saveexec_b32 s26, s2
	s_cbranch_execz .LBB1089_95
; %bb.89:
	s_mov_b64 s[6:7], 1
	s_mov_b32 s24, 0
                                        ; implicit-def: $sgpr27
	s_set_inst_prefetch_distance 0x1
	s_branch .LBB1089_92
	.p2align	6
.LBB1089_90:                            ;   in Loop: Header=BB1089_92 Depth=1
	v_add_co_u32 v40, vcc_lo, v38, s6
	v_add_co_ci_u32_e32 v41, vcc_lo, s7, v39, vcc_lo
	v_add_co_u32 v44, vcc_lo, v36, s6
	v_add_co_ci_u32_e32 v45, vcc_lo, s7, v37, vcc_lo
	s_clause 0x1
	global_load_u8 v33, v[40:41], off
	global_load_u8 v40, v[44:45], off
	s_waitcnt vmcnt(1)
	v_cmp_ne_u16_e32 vcc_lo, 0, v33
	s_waitcnt vmcnt(0)
	v_cmp_ne_u16_e64 s2, 0, v40
	s_delay_alu instid0(VALU_DEP_1) | instskip(SKIP_4) | instid1(SALU_CYCLE_1)
	s_xor_b32 s29, vcc_lo, s2
	s_add_u32 s2, s6, 1
	s_addc_u32 s3, s7, 0
	s_and_not1_b32 s27, s27, exec_lo
	s_and_b32 s29, s29, exec_lo
	s_or_b32 s27, s27, s29
.LBB1089_91:                            ;   in Loop: Header=BB1089_92 Depth=1
	v_dual_mov_b32 v41, s7 :: v_dual_mov_b32 v40, s6
	s_and_b32 s29, exec_lo, s27
	s_mov_b64 s[6:7], s[2:3]
	s_or_b32 s24, s29, s24
	s_delay_alu instid0(SALU_CYCLE_1)
	s_and_not1_b32 exec_lo, exec_lo, s24
	s_cbranch_execz .LBB1089_94
.LBB1089_92:                            ; =>This Inner Loop Header: Depth=1
	s_or_b32 s27, s27, exec_lo
	s_cmp_eq_u64 s[22:23], s[6:7]
	s_cbranch_scc0 .LBB1089_90
; %bb.93:                               ;   in Loop: Header=BB1089_92 Depth=1
	s_mov_b64 s[6:7], s[22:23]
                                        ; implicit-def: $sgpr2_sgpr3
	s_branch .LBB1089_91
.LBB1089_94:
	s_set_inst_prefetch_distance 0x2
	s_or_b32 exec_lo, exec_lo, s24
	v_cmp_gt_i64_e32 vcc_lo, s[22:23], v[40:41]
	s_or_not1_b32 s24, vcc_lo, exec_lo
.LBB1089_95:
	s_or_b32 exec_lo, exec_lo, s26
	s_delay_alu instid0(SALU_CYCLE_1)
	s_and_b32 vcc_lo, exec_lo, s25
	s_cbranch_vccz .LBB1089_97
.LBB1089_96:
	v_and_b32_e32 v35, 0xffffff, v43
	s_and_not1_b32 s24, s24, exec_lo
.LBB1089_97:
	v_cmp_ne_u32_e32 vcc_lo, 1, v42
	s_mov_b32 s2, 0
	s_cbranch_vccnz .LBB1089_106
; %bb.98:
	v_mad_u64_u32 v[36:37], null, v29, s22, s[8:9]
	v_mul_lo_u32 v33, v29, s23
	v_mul_lo_u32 v40, v30, s22
	v_mad_u64_u32 v[38:39], null, v31, s22, s[8:9]
	v_mul_lo_u32 v41, v31, s23
	v_mul_lo_u32 v43, v32, s22
	s_mov_b32 s26, 0
	s_delay_alu instid0(VALU_DEP_4) | instskip(NEXT) | instid1(VALU_DEP_2)
	v_add3_u32 v37, v40, v37, v33
	v_add3_u32 v39, v43, v39, v41
	s_clause 0x1
	global_load_u8 v33, v[36:37], off
	global_load_u8 v40, v[38:39], off
	s_waitcnt vmcnt(1)
	v_cmp_ne_u16_e32 vcc_lo, 0, v33
	s_waitcnt vmcnt(0)
	v_cmp_ne_u16_e64 s2, 0, v40
	s_delay_alu instid0(VALU_DEP_1) | instskip(SKIP_2) | instid1(SALU_CYCLE_1)
	s_xor_b32 s3, vcc_lo, s2
	s_mov_b32 s2, -1
	s_xor_b32 s3, s3, -1
	s_and_saveexec_b32 s25, s3
	s_cbranch_execz .LBB1089_105
; %bb.99:
	s_mov_b64 s[6:7], 1
                                        ; implicit-def: $sgpr27
	s_set_inst_prefetch_distance 0x1
	s_branch .LBB1089_102
	.p2align	6
.LBB1089_100:                           ;   in Loop: Header=BB1089_102 Depth=1
	v_add_co_u32 v40, vcc_lo, v36, s6
	v_add_co_ci_u32_e32 v41, vcc_lo, s7, v37, vcc_lo
	v_add_co_u32 v43, vcc_lo, v38, s6
	v_add_co_ci_u32_e32 v44, vcc_lo, s7, v39, vcc_lo
	s_clause 0x1
	global_load_u8 v33, v[40:41], off
	global_load_u8 v40, v[43:44], off
	s_waitcnt vmcnt(1)
	v_cmp_ne_u16_e32 vcc_lo, 0, v33
	s_waitcnt vmcnt(0)
	v_cmp_ne_u16_e64 s2, 0, v40
	s_delay_alu instid0(VALU_DEP_1) | instskip(SKIP_4) | instid1(SALU_CYCLE_1)
	s_xor_b32 s29, vcc_lo, s2
	s_add_u32 s2, s6, 1
	s_addc_u32 s3, s7, 0
	s_and_not1_b32 s27, s27, exec_lo
	s_and_b32 s29, s29, exec_lo
	s_or_b32 s27, s27, s29
.LBB1089_101:                           ;   in Loop: Header=BB1089_102 Depth=1
	v_dual_mov_b32 v41, s7 :: v_dual_mov_b32 v40, s6
	s_and_b32 s29, exec_lo, s27
	s_mov_b64 s[6:7], s[2:3]
	s_or_b32 s26, s29, s26
	s_delay_alu instid0(SALU_CYCLE_1)
	s_and_not1_b32 exec_lo, exec_lo, s26
	s_cbranch_execz .LBB1089_104
.LBB1089_102:                           ; =>This Inner Loop Header: Depth=1
	s_or_b32 s27, s27, exec_lo
	s_cmp_eq_u64 s[22:23], s[6:7]
	s_cbranch_scc0 .LBB1089_100
; %bb.103:                              ;   in Loop: Header=BB1089_102 Depth=1
	s_mov_b64 s[6:7], s[22:23]
                                        ; implicit-def: $sgpr2_sgpr3
	s_branch .LBB1089_101
.LBB1089_104:
	s_set_inst_prefetch_distance 0x2
	s_or_b32 exec_lo, exec_lo, s26
	v_cmp_gt_i64_e32 vcc_lo, s[22:23], v[40:41]
	s_or_not1_b32 s2, vcc_lo, exec_lo
.LBB1089_105:
	s_or_b32 exec_lo, exec_lo, s25
.LBB1089_106:
	s_waitcnt lgkmcnt(0)
	v_dual_mov_b32 v38, s5 :: v_dual_mov_b32 v37, s4
	s_mov_b32 s3, exec_lo
	s_barrier
	buffer_gl0_inv
	v_cmpx_ne_u32_e32 0, v0
	s_cbranch_execz .LBB1089_108
; %bb.107:
	v_add_nc_u32_e32 v33, -8, v55
	ds_load_b64 v[37:38], v33
.LBB1089_108:
	s_or_b32 exec_lo, exec_lo, s3
	v_cndmask_b32_e64 v33, 0, 1, s2
	v_lshrrev_b32_e32 v36, 24, v35
	v_cndmask_b32_e64 v39, 0, 1, s24
	v_and_b32_e32 v35, 0xff, v35
	v_cmp_ne_u32_e32 vcc_lo, 1, v42
	v_lshlrev_b16 v33, 8, v33
	v_lshlrev_b16 v36, 8, v36
	s_mov_b32 s24, 0
	s_mov_b32 s2, 0
	s_and_b32 vcc_lo, exec_lo, vcc_lo
	v_or_b32_e32 v33, v35, v33
	v_or_b32_e32 v35, v39, v36
	s_delay_alu instid0(VALU_DEP_2) | instskip(NEXT) | instid1(VALU_DEP_2)
	v_and_b32_e32 v33, 0xffff, v33
	v_lshlrev_b32_e32 v41, 16, v35
	s_cbranch_vccnz .LBB1089_117
; %bb.109:
	s_waitcnt lgkmcnt(0)
	v_mad_u64_u32 v[35:36], null, v37, s22, s[8:9]
	v_mul_lo_u32 v39, v37, s23
	v_mul_lo_u32 v40, v38, s22
	v_mad_u64_u32 v[37:38], null, v29, s22, s[8:9]
	v_mul_lo_u32 v42, v29, s23
	v_mul_lo_u32 v43, v30, s22
	s_mov_b32 s26, 0
	s_delay_alu instid0(VALU_DEP_4) | instskip(NEXT) | instid1(VALU_DEP_2)
	v_add3_u32 v36, v40, v36, v39
	v_add3_u32 v38, v43, v38, v42
	s_clause 0x1
	global_load_u8 v39, v[35:36], off
	global_load_u8 v40, v[37:38], off
	s_waitcnt vmcnt(1)
	v_cmp_ne_u16_e32 vcc_lo, 0, v39
	s_waitcnt vmcnt(0)
	v_cmp_ne_u16_e64 s2, 0, v40
	s_delay_alu instid0(VALU_DEP_1) | instskip(SKIP_2) | instid1(SALU_CYCLE_1)
	s_xor_b32 s3, vcc_lo, s2
	s_mov_b32 s2, -1
	s_xor_b32 s3, s3, -1
	s_and_saveexec_b32 s25, s3
	s_cbranch_execz .LBB1089_116
; %bb.110:
	s_mov_b64 s[6:7], 1
                                        ; implicit-def: $sgpr27
	s_set_inst_prefetch_distance 0x1
	s_branch .LBB1089_113
	.p2align	6
.LBB1089_111:                           ;   in Loop: Header=BB1089_113 Depth=1
	v_add_co_u32 v39, vcc_lo, v35, s6
	v_add_co_ci_u32_e32 v40, vcc_lo, s7, v36, vcc_lo
	v_add_co_u32 v42, vcc_lo, v37, s6
	v_add_co_ci_u32_e32 v43, vcc_lo, s7, v38, vcc_lo
	s_clause 0x1
	global_load_u8 v39, v[39:40], off
	global_load_u8 v40, v[42:43], off
	s_waitcnt vmcnt(1)
	v_cmp_ne_u16_e32 vcc_lo, 0, v39
	s_waitcnt vmcnt(0)
	v_cmp_ne_u16_e64 s2, 0, v40
	s_delay_alu instid0(VALU_DEP_1) | instskip(SKIP_4) | instid1(SALU_CYCLE_1)
	s_xor_b32 s29, vcc_lo, s2
	s_add_u32 s2, s6, 1
	s_addc_u32 s3, s7, 0
	s_and_not1_b32 s27, s27, exec_lo
	s_and_b32 s29, s29, exec_lo
	s_or_b32 s27, s27, s29
.LBB1089_112:                           ;   in Loop: Header=BB1089_113 Depth=1
	v_dual_mov_b32 v40, s7 :: v_dual_mov_b32 v39, s6
	s_and_b32 s29, exec_lo, s27
	s_mov_b64 s[6:7], s[2:3]
	s_or_b32 s26, s29, s26
	s_delay_alu instid0(SALU_CYCLE_1)
	s_and_not1_b32 exec_lo, exec_lo, s26
	s_cbranch_execz .LBB1089_115
.LBB1089_113:                           ; =>This Inner Loop Header: Depth=1
	s_or_b32 s27, s27, exec_lo
	s_cmp_eq_u64 s[22:23], s[6:7]
	s_cbranch_scc0 .LBB1089_111
; %bb.114:                              ;   in Loop: Header=BB1089_113 Depth=1
	s_mov_b64 s[6:7], s[22:23]
                                        ; implicit-def: $sgpr2_sgpr3
	s_branch .LBB1089_112
.LBB1089_115:
	s_set_inst_prefetch_distance 0x2
	s_or_b32 exec_lo, exec_lo, s26
	v_cmp_gt_i64_e32 vcc_lo, s[22:23], v[39:40]
	s_or_not1_b32 s2, vcc_lo, exec_lo
.LBB1089_116:
	s_or_b32 exec_lo, exec_lo, s25
.LBB1089_117:
	s_delay_alu instid0(VALU_DEP_1)
	v_or_b32_e32 v33, v33, v41
	s_and_b32 vcc_lo, exec_lo, s24
	s_cbranch_vccz .LBB1089_193
.LBB1089_118:
	v_or_b32_e32 v33, 7, v55
	s_xor_b32 s19, s19, -1
	s_mov_b32 s3, -1
	s_mov_b32 s24, 0
	s_mov_b32 s25, 0
	v_cmp_gt_u32_e32 vcc_lo, s28, v33
	s_and_b32 s2, vcc_lo, s19
	s_delay_alu instid0(SALU_CYCLE_1)
	s_and_saveexec_b32 s26, s2
	s_cbranch_execz .LBB1089_127
; %bb.119:
	v_mad_u64_u32 v[33:34], null, v17, s22, s[8:9]
	s_waitcnt lgkmcnt(0)
	v_mul_lo_u32 v37, v17, s23
	v_mul_lo_u32 v38, v18, s22
	v_mad_u64_u32 v[35:36], null, v19, s22, s[8:9]
	v_mul_lo_u32 v39, v19, s23
	v_mul_lo_u32 v40, v20, s22
	s_mov_b32 s27, 0
	s_delay_alu instid0(VALU_DEP_4) | instskip(NEXT) | instid1(VALU_DEP_2)
	v_add3_u32 v34, v38, v34, v37
	v_add3_u32 v36, v40, v36, v39
	s_clause 0x1
	global_load_u8 v37, v[33:34], off
	global_load_u8 v38, v[35:36], off
	s_waitcnt vmcnt(1)
	v_cmp_ne_u16_e32 vcc_lo, 0, v37
	s_waitcnt vmcnt(0)
	v_cmp_ne_u16_e64 s2, 0, v38
	s_delay_alu instid0(VALU_DEP_1) | instskip(NEXT) | instid1(SALU_CYCLE_1)
	s_xor_b32 s2, vcc_lo, s2
	s_xor_b32 s2, s2, -1
	s_delay_alu instid0(SALU_CYCLE_1)
	s_and_saveexec_b32 s25, s2
	s_cbranch_execz .LBB1089_126
; %bb.120:
	s_mov_b64 s[6:7], 1
                                        ; implicit-def: $sgpr29
	s_set_inst_prefetch_distance 0x1
	s_branch .LBB1089_123
	.p2align	6
.LBB1089_121:                           ;   in Loop: Header=BB1089_123 Depth=1
	v_add_co_u32 v37, vcc_lo, v33, s6
	v_add_co_ci_u32_e32 v38, vcc_lo, s7, v34, vcc_lo
	v_add_co_u32 v39, vcc_lo, v35, s6
	v_add_co_ci_u32_e32 v40, vcc_lo, s7, v36, vcc_lo
	s_clause 0x1
	global_load_u8 v37, v[37:38], off
	global_load_u8 v38, v[39:40], off
	s_waitcnt vmcnt(1)
	v_cmp_ne_u16_e32 vcc_lo, 0, v37
	s_waitcnt vmcnt(0)
	v_cmp_ne_u16_e64 s2, 0, v38
	s_delay_alu instid0(VALU_DEP_1) | instskip(SKIP_4) | instid1(SALU_CYCLE_1)
	s_xor_b32 s30, vcc_lo, s2
	s_add_u32 s2, s6, 1
	s_addc_u32 s3, s7, 0
	s_and_not1_b32 s29, s29, exec_lo
	s_and_b32 s30, s30, exec_lo
	s_or_b32 s29, s29, s30
.LBB1089_122:                           ;   in Loop: Header=BB1089_123 Depth=1
	v_dual_mov_b32 v38, s7 :: v_dual_mov_b32 v37, s6
	s_and_b32 s30, exec_lo, s29
	s_mov_b64 s[6:7], s[2:3]
	s_or_b32 s27, s30, s27
	s_delay_alu instid0(SALU_CYCLE_1)
	s_and_not1_b32 exec_lo, exec_lo, s27
	s_cbranch_execz .LBB1089_125
.LBB1089_123:                           ; =>This Inner Loop Header: Depth=1
	s_or_b32 s29, s29, exec_lo
	s_cmp_eq_u64 s[22:23], s[6:7]
	s_cbranch_scc0 .LBB1089_121
; %bb.124:                              ;   in Loop: Header=BB1089_123 Depth=1
	s_mov_b64 s[6:7], s[22:23]
                                        ; implicit-def: $sgpr2_sgpr3
	s_branch .LBB1089_122
.LBB1089_125:
	s_set_inst_prefetch_distance 0x2
	s_or_b32 exec_lo, exec_lo, s27
	v_cmp_gt_i64_e32 vcc_lo, s[22:23], v[37:38]
	s_or_not1_b32 s3, vcc_lo, exec_lo
.LBB1089_126:
	s_or_b32 exec_lo, exec_lo, s25
	s_delay_alu instid0(SALU_CYCLE_1)
	s_and_b32 s25, s3, exec_lo
.LBB1089_127:
	s_or_b32 exec_lo, exec_lo, s26
	v_or_b32_e32 v33, 6, v55
	s_delay_alu instid0(VALU_DEP_1) | instskip(SKIP_1) | instid1(SALU_CYCLE_1)
	v_cmp_gt_u32_e32 vcc_lo, s28, v33
	s_and_b32 s2, vcc_lo, s19
	s_and_saveexec_b32 s26, s2
	s_cbranch_execz .LBB1089_136
; %bb.128:
	v_mad_u64_u32 v[33:34], null, v23, s22, s[8:9]
	s_waitcnt lgkmcnt(0)
	v_mul_lo_u32 v37, v23, s23
	v_mul_lo_u32 v38, v24, s22
	v_mad_u64_u32 v[35:36], null, v17, s22, s[8:9]
	v_mul_lo_u32 v39, v17, s23
	v_mul_lo_u32 v40, v18, s22
	s_mov_b32 s27, 0
	s_delay_alu instid0(VALU_DEP_4) | instskip(NEXT) | instid1(VALU_DEP_2)
	v_add3_u32 v34, v38, v34, v37
	v_add3_u32 v36, v40, v36, v39
	s_clause 0x1
	global_load_u8 v37, v[33:34], off
	global_load_u8 v38, v[35:36], off
	s_waitcnt vmcnt(1)
	v_cmp_ne_u16_e32 vcc_lo, 0, v37
	s_waitcnt vmcnt(0)
	v_cmp_ne_u16_e64 s2, 0, v38
	s_delay_alu instid0(VALU_DEP_1) | instskip(SKIP_2) | instid1(SALU_CYCLE_1)
	s_xor_b32 s3, vcc_lo, s2
	s_mov_b32 s2, -1
	s_xor_b32 s3, s3, -1
	s_and_saveexec_b32 s24, s3
	s_cbranch_execz .LBB1089_135
; %bb.129:
	s_mov_b64 s[6:7], 1
                                        ; implicit-def: $sgpr29
	s_set_inst_prefetch_distance 0x1
	s_branch .LBB1089_132
	.p2align	6
.LBB1089_130:                           ;   in Loop: Header=BB1089_132 Depth=1
	v_add_co_u32 v37, vcc_lo, v33, s6
	v_add_co_ci_u32_e32 v38, vcc_lo, s7, v34, vcc_lo
	v_add_co_u32 v39, vcc_lo, v35, s6
	v_add_co_ci_u32_e32 v40, vcc_lo, s7, v36, vcc_lo
	s_clause 0x1
	global_load_u8 v37, v[37:38], off
	global_load_u8 v38, v[39:40], off
	s_waitcnt vmcnt(1)
	v_cmp_ne_u16_e32 vcc_lo, 0, v37
	s_waitcnt vmcnt(0)
	v_cmp_ne_u16_e64 s2, 0, v38
	s_delay_alu instid0(VALU_DEP_1) | instskip(SKIP_4) | instid1(SALU_CYCLE_1)
	s_xor_b32 s30, vcc_lo, s2
	s_add_u32 s2, s6, 1
	s_addc_u32 s3, s7, 0
	s_and_not1_b32 s29, s29, exec_lo
	s_and_b32 s30, s30, exec_lo
	s_or_b32 s29, s29, s30
.LBB1089_131:                           ;   in Loop: Header=BB1089_132 Depth=1
	v_dual_mov_b32 v38, s7 :: v_dual_mov_b32 v37, s6
	s_and_b32 s30, exec_lo, s29
	s_mov_b64 s[6:7], s[2:3]
	s_or_b32 s27, s30, s27
	s_delay_alu instid0(SALU_CYCLE_1)
	s_and_not1_b32 exec_lo, exec_lo, s27
	s_cbranch_execz .LBB1089_134
.LBB1089_132:                           ; =>This Inner Loop Header: Depth=1
	s_or_b32 s29, s29, exec_lo
	s_cmp_eq_u64 s[22:23], s[6:7]
	s_cbranch_scc0 .LBB1089_130
; %bb.133:                              ;   in Loop: Header=BB1089_132 Depth=1
	s_mov_b64 s[6:7], s[22:23]
                                        ; implicit-def: $sgpr2_sgpr3
	s_branch .LBB1089_131
.LBB1089_134:
	s_set_inst_prefetch_distance 0x2
	s_or_b32 exec_lo, exec_lo, s27
	v_cmp_gt_i64_e32 vcc_lo, s[22:23], v[37:38]
	s_or_not1_b32 s2, vcc_lo, exec_lo
.LBB1089_135:
	s_or_b32 exec_lo, exec_lo, s24
	s_delay_alu instid0(SALU_CYCLE_1)
	s_and_b32 s24, s2, exec_lo
.LBB1089_136:
	s_or_b32 exec_lo, exec_lo, s26
	v_or_b32_e32 v33, 5, v55
	s_mov_b32 s3, -1
	s_mov_b32 s27, 0
	s_mov_b32 s26, 0
	s_delay_alu instid0(VALU_DEP_1) | instskip(SKIP_1) | instid1(SALU_CYCLE_1)
	v_cmp_gt_u32_e32 vcc_lo, s28, v33
	s_and_b32 s2, vcc_lo, s19
	s_and_saveexec_b32 s29, s2
	s_cbranch_execz .LBB1089_145
; %bb.137:
	v_mad_u64_u32 v[33:34], null, v21, s22, s[8:9]
	s_waitcnt lgkmcnt(0)
	v_mul_lo_u32 v37, v21, s23
	v_mul_lo_u32 v38, v22, s22
	v_mad_u64_u32 v[35:36], null, v23, s22, s[8:9]
	v_mul_lo_u32 v39, v23, s23
	v_mul_lo_u32 v40, v24, s22
	s_mov_b32 s30, 0
	s_delay_alu instid0(VALU_DEP_4) | instskip(NEXT) | instid1(VALU_DEP_2)
	v_add3_u32 v34, v38, v34, v37
	v_add3_u32 v36, v40, v36, v39
	s_clause 0x1
	global_load_u8 v37, v[33:34], off
	global_load_u8 v38, v[35:36], off
	s_waitcnt vmcnt(1)
	v_cmp_ne_u16_e32 vcc_lo, 0, v37
	s_waitcnt vmcnt(0)
	v_cmp_ne_u16_e64 s2, 0, v38
	s_delay_alu instid0(VALU_DEP_1) | instskip(NEXT) | instid1(SALU_CYCLE_1)
	s_xor_b32 s2, vcc_lo, s2
	s_xor_b32 s2, s2, -1
	s_delay_alu instid0(SALU_CYCLE_1)
	s_and_saveexec_b32 s26, s2
	s_cbranch_execz .LBB1089_144
; %bb.138:
	s_mov_b64 s[6:7], 1
                                        ; implicit-def: $sgpr31
	s_set_inst_prefetch_distance 0x1
	s_branch .LBB1089_141
	.p2align	6
.LBB1089_139:                           ;   in Loop: Header=BB1089_141 Depth=1
	v_add_co_u32 v37, vcc_lo, v33, s6
	v_add_co_ci_u32_e32 v38, vcc_lo, s7, v34, vcc_lo
	v_add_co_u32 v39, vcc_lo, v35, s6
	v_add_co_ci_u32_e32 v40, vcc_lo, s7, v36, vcc_lo
	s_clause 0x1
	global_load_u8 v37, v[37:38], off
	global_load_u8 v38, v[39:40], off
	s_waitcnt vmcnt(1)
	v_cmp_ne_u16_e32 vcc_lo, 0, v37
	s_waitcnt vmcnt(0)
	v_cmp_ne_u16_e64 s2, 0, v38
	s_delay_alu instid0(VALU_DEP_1) | instskip(SKIP_4) | instid1(SALU_CYCLE_1)
	s_xor_b32 s33, vcc_lo, s2
	s_add_u32 s2, s6, 1
	s_addc_u32 s3, s7, 0
	s_and_not1_b32 s31, s31, exec_lo
	s_and_b32 s33, s33, exec_lo
	s_or_b32 s31, s31, s33
.LBB1089_140:                           ;   in Loop: Header=BB1089_141 Depth=1
	v_dual_mov_b32 v38, s7 :: v_dual_mov_b32 v37, s6
	s_and_b32 s33, exec_lo, s31
	s_mov_b64 s[6:7], s[2:3]
	s_or_b32 s30, s33, s30
	s_delay_alu instid0(SALU_CYCLE_1)
	s_and_not1_b32 exec_lo, exec_lo, s30
	s_cbranch_execz .LBB1089_143
.LBB1089_141:                           ; =>This Inner Loop Header: Depth=1
	s_or_b32 s31, s31, exec_lo
	s_cmp_eq_u64 s[22:23], s[6:7]
	s_cbranch_scc0 .LBB1089_139
; %bb.142:                              ;   in Loop: Header=BB1089_141 Depth=1
	s_mov_b64 s[6:7], s[22:23]
                                        ; implicit-def: $sgpr2_sgpr3
	s_branch .LBB1089_140
.LBB1089_143:
	s_set_inst_prefetch_distance 0x2
	s_or_b32 exec_lo, exec_lo, s30
	v_cmp_gt_i64_e32 vcc_lo, s[22:23], v[37:38]
	s_or_not1_b32 s3, vcc_lo, exec_lo
.LBB1089_144:
	s_or_b32 exec_lo, exec_lo, s26
	s_delay_alu instid0(SALU_CYCLE_1)
	s_and_b32 s26, s3, exec_lo
.LBB1089_145:
	s_or_b32 exec_lo, exec_lo, s29
	v_or_b32_e32 v33, 4, v55
	s_delay_alu instid0(VALU_DEP_1) | instskip(SKIP_1) | instid1(SALU_CYCLE_1)
	v_cmp_gt_u32_e32 vcc_lo, s28, v33
	s_and_b32 s2, vcc_lo, s19
	s_and_saveexec_b32 s29, s2
	s_cbranch_execz .LBB1089_154
; %bb.146:
	v_mad_u64_u32 v[33:34], null, v27, s22, s[8:9]
	s_waitcnt lgkmcnt(0)
	v_mul_lo_u32 v37, v27, s23
	v_mul_lo_u32 v38, v28, s22
	v_mad_u64_u32 v[35:36], null, v21, s22, s[8:9]
	v_mul_lo_u32 v39, v21, s23
	v_mul_lo_u32 v40, v22, s22
	s_mov_b32 s30, 0
	s_delay_alu instid0(VALU_DEP_4) | instskip(NEXT) | instid1(VALU_DEP_2)
	v_add3_u32 v34, v38, v34, v37
	v_add3_u32 v36, v40, v36, v39
	s_clause 0x1
	global_load_u8 v37, v[33:34], off
	global_load_u8 v38, v[35:36], off
	s_waitcnt vmcnt(1)
	v_cmp_ne_u16_e32 vcc_lo, 0, v37
	s_waitcnt vmcnt(0)
	v_cmp_ne_u16_e64 s2, 0, v38
	s_delay_alu instid0(VALU_DEP_1) | instskip(SKIP_2) | instid1(SALU_CYCLE_1)
	s_xor_b32 s3, vcc_lo, s2
	s_mov_b32 s2, -1
	s_xor_b32 s3, s3, -1
	s_and_saveexec_b32 s27, s3
	s_cbranch_execz .LBB1089_153
; %bb.147:
	s_mov_b64 s[6:7], 1
                                        ; implicit-def: $sgpr31
	s_set_inst_prefetch_distance 0x1
	s_branch .LBB1089_150
	.p2align	6
.LBB1089_148:                           ;   in Loop: Header=BB1089_150 Depth=1
	v_add_co_u32 v37, vcc_lo, v33, s6
	v_add_co_ci_u32_e32 v38, vcc_lo, s7, v34, vcc_lo
	v_add_co_u32 v39, vcc_lo, v35, s6
	v_add_co_ci_u32_e32 v40, vcc_lo, s7, v36, vcc_lo
	s_clause 0x1
	global_load_u8 v37, v[37:38], off
	global_load_u8 v38, v[39:40], off
	s_waitcnt vmcnt(1)
	v_cmp_ne_u16_e32 vcc_lo, 0, v37
	s_waitcnt vmcnt(0)
	v_cmp_ne_u16_e64 s2, 0, v38
	s_delay_alu instid0(VALU_DEP_1) | instskip(SKIP_4) | instid1(SALU_CYCLE_1)
	s_xor_b32 s33, vcc_lo, s2
	s_add_u32 s2, s6, 1
	s_addc_u32 s3, s7, 0
	s_and_not1_b32 s31, s31, exec_lo
	s_and_b32 s33, s33, exec_lo
	s_or_b32 s31, s31, s33
.LBB1089_149:                           ;   in Loop: Header=BB1089_150 Depth=1
	v_dual_mov_b32 v38, s7 :: v_dual_mov_b32 v37, s6
	s_and_b32 s33, exec_lo, s31
	s_mov_b64 s[6:7], s[2:3]
	s_or_b32 s30, s33, s30
	s_delay_alu instid0(SALU_CYCLE_1)
	s_and_not1_b32 exec_lo, exec_lo, s30
	s_cbranch_execz .LBB1089_152
.LBB1089_150:                           ; =>This Inner Loop Header: Depth=1
	s_or_b32 s31, s31, exec_lo
	s_cmp_eq_u64 s[22:23], s[6:7]
	s_cbranch_scc0 .LBB1089_148
; %bb.151:                              ;   in Loop: Header=BB1089_150 Depth=1
	s_mov_b64 s[6:7], s[22:23]
                                        ; implicit-def: $sgpr2_sgpr3
	s_branch .LBB1089_149
.LBB1089_152:
	s_set_inst_prefetch_distance 0x2
	s_or_b32 exec_lo, exec_lo, s30
	v_cmp_gt_i64_e32 vcc_lo, s[22:23], v[37:38]
	s_or_not1_b32 s2, vcc_lo, exec_lo
.LBB1089_153:
	s_or_b32 exec_lo, exec_lo, s27
	s_delay_alu instid0(SALU_CYCLE_1)
	s_and_b32 s27, s2, exec_lo
.LBB1089_154:
	s_or_b32 exec_lo, exec_lo, s29
	v_or_b32_e32 v33, 3, v55
	s_mov_b32 s3, -1
	s_mov_b32 s30, 0
	s_mov_b32 s29, 0
	s_delay_alu instid0(VALU_DEP_1) | instskip(SKIP_1) | instid1(SALU_CYCLE_1)
	v_cmp_gt_u32_e32 vcc_lo, s28, v33
	s_and_b32 s2, vcc_lo, s19
	s_and_saveexec_b32 s31, s2
	s_cbranch_execz .LBB1089_163
; %bb.155:
	v_mad_u64_u32 v[33:34], null, v25, s22, s[8:9]
	s_waitcnt lgkmcnt(0)
	v_mul_lo_u32 v37, v25, s23
	v_mul_lo_u32 v38, v26, s22
	v_mad_u64_u32 v[35:36], null, v27, s22, s[8:9]
	v_mul_lo_u32 v39, v27, s23
	v_mul_lo_u32 v40, v28, s22
	s_mov_b32 s33, 0
	s_delay_alu instid0(VALU_DEP_4) | instskip(NEXT) | instid1(VALU_DEP_2)
	v_add3_u32 v34, v38, v34, v37
	v_add3_u32 v36, v40, v36, v39
	s_clause 0x1
	global_load_u8 v37, v[33:34], off
	global_load_u8 v38, v[35:36], off
	s_waitcnt vmcnt(1)
	v_cmp_ne_u16_e32 vcc_lo, 0, v37
	s_waitcnt vmcnt(0)
	v_cmp_ne_u16_e64 s2, 0, v38
	s_delay_alu instid0(VALU_DEP_1) | instskip(NEXT) | instid1(SALU_CYCLE_1)
	s_xor_b32 s2, vcc_lo, s2
	s_xor_b32 s2, s2, -1
	s_delay_alu instid0(SALU_CYCLE_1)
	s_and_saveexec_b32 s29, s2
	s_cbranch_execz .LBB1089_162
; %bb.156:
	s_mov_b64 s[6:7], 1
                                        ; implicit-def: $sgpr34
	s_set_inst_prefetch_distance 0x1
	s_branch .LBB1089_159
	.p2align	6
.LBB1089_157:                           ;   in Loop: Header=BB1089_159 Depth=1
	v_add_co_u32 v37, vcc_lo, v33, s6
	v_add_co_ci_u32_e32 v38, vcc_lo, s7, v34, vcc_lo
	v_add_co_u32 v39, vcc_lo, v35, s6
	v_add_co_ci_u32_e32 v40, vcc_lo, s7, v36, vcc_lo
	s_clause 0x1
	global_load_u8 v37, v[37:38], off
	global_load_u8 v38, v[39:40], off
	s_waitcnt vmcnt(1)
	v_cmp_ne_u16_e32 vcc_lo, 0, v37
	s_waitcnt vmcnt(0)
	v_cmp_ne_u16_e64 s2, 0, v38
	s_delay_alu instid0(VALU_DEP_1) | instskip(SKIP_4) | instid1(SALU_CYCLE_1)
	s_xor_b32 s35, vcc_lo, s2
	s_add_u32 s2, s6, 1
	s_addc_u32 s3, s7, 0
	s_and_not1_b32 s34, s34, exec_lo
	s_and_b32 s35, s35, exec_lo
	s_or_b32 s34, s34, s35
.LBB1089_158:                           ;   in Loop: Header=BB1089_159 Depth=1
	v_dual_mov_b32 v38, s7 :: v_dual_mov_b32 v37, s6
	s_and_b32 s35, exec_lo, s34
	s_mov_b64 s[6:7], s[2:3]
	s_or_b32 s33, s35, s33
	s_delay_alu instid0(SALU_CYCLE_1)
	s_and_not1_b32 exec_lo, exec_lo, s33
	s_cbranch_execz .LBB1089_161
.LBB1089_159:                           ; =>This Inner Loop Header: Depth=1
	s_or_b32 s34, s34, exec_lo
	s_cmp_eq_u64 s[22:23], s[6:7]
	s_cbranch_scc0 .LBB1089_157
; %bb.160:                              ;   in Loop: Header=BB1089_159 Depth=1
	s_mov_b64 s[6:7], s[22:23]
                                        ; implicit-def: $sgpr2_sgpr3
	s_branch .LBB1089_158
.LBB1089_161:
	s_set_inst_prefetch_distance 0x2
	s_or_b32 exec_lo, exec_lo, s33
	v_cmp_gt_i64_e32 vcc_lo, s[22:23], v[37:38]
	s_or_not1_b32 s3, vcc_lo, exec_lo
.LBB1089_162:
	s_or_b32 exec_lo, exec_lo, s29
	s_delay_alu instid0(SALU_CYCLE_1)
	s_and_b32 s29, s3, exec_lo
.LBB1089_163:
	s_or_b32 exec_lo, exec_lo, s31
	v_or_b32_e32 v33, 2, v55
	s_delay_alu instid0(VALU_DEP_1) | instskip(SKIP_1) | instid1(SALU_CYCLE_1)
	v_cmp_gt_u32_e32 vcc_lo, s28, v33
	s_and_b32 s2, vcc_lo, s19
	s_and_saveexec_b32 s31, s2
	s_cbranch_execz .LBB1089_172
; %bb.164:
	v_mad_u64_u32 v[33:34], null, v31, s22, s[8:9]
	s_waitcnt lgkmcnt(0)
	v_mul_lo_u32 v37, v31, s23
	v_mul_lo_u32 v38, v32, s22
	v_mad_u64_u32 v[35:36], null, v25, s22, s[8:9]
	v_mul_lo_u32 v39, v25, s23
	v_mul_lo_u32 v40, v26, s22
	s_mov_b32 s33, 0
	s_delay_alu instid0(VALU_DEP_4) | instskip(NEXT) | instid1(VALU_DEP_2)
	v_add3_u32 v34, v38, v34, v37
	v_add3_u32 v36, v40, v36, v39
	s_clause 0x1
	global_load_u8 v37, v[33:34], off
	global_load_u8 v38, v[35:36], off
	s_waitcnt vmcnt(1)
	v_cmp_ne_u16_e32 vcc_lo, 0, v37
	s_waitcnt vmcnt(0)
	v_cmp_ne_u16_e64 s2, 0, v38
	s_delay_alu instid0(VALU_DEP_1) | instskip(SKIP_2) | instid1(SALU_CYCLE_1)
	s_xor_b32 s3, vcc_lo, s2
	s_mov_b32 s2, -1
	s_xor_b32 s3, s3, -1
	s_and_saveexec_b32 s30, s3
	s_cbranch_execz .LBB1089_171
; %bb.165:
	s_mov_b64 s[6:7], 1
                                        ; implicit-def: $sgpr34
	s_set_inst_prefetch_distance 0x1
	s_branch .LBB1089_168
	.p2align	6
.LBB1089_166:                           ;   in Loop: Header=BB1089_168 Depth=1
	v_add_co_u32 v37, vcc_lo, v33, s6
	v_add_co_ci_u32_e32 v38, vcc_lo, s7, v34, vcc_lo
	v_add_co_u32 v39, vcc_lo, v35, s6
	v_add_co_ci_u32_e32 v40, vcc_lo, s7, v36, vcc_lo
	s_clause 0x1
	global_load_u8 v37, v[37:38], off
	global_load_u8 v38, v[39:40], off
	s_waitcnt vmcnt(1)
	v_cmp_ne_u16_e32 vcc_lo, 0, v37
	s_waitcnt vmcnt(0)
	v_cmp_ne_u16_e64 s2, 0, v38
	s_delay_alu instid0(VALU_DEP_1) | instskip(SKIP_4) | instid1(SALU_CYCLE_1)
	s_xor_b32 s35, vcc_lo, s2
	s_add_u32 s2, s6, 1
	s_addc_u32 s3, s7, 0
	s_and_not1_b32 s34, s34, exec_lo
	s_and_b32 s35, s35, exec_lo
	s_or_b32 s34, s34, s35
.LBB1089_167:                           ;   in Loop: Header=BB1089_168 Depth=1
	v_dual_mov_b32 v38, s7 :: v_dual_mov_b32 v37, s6
	s_and_b32 s35, exec_lo, s34
	s_mov_b64 s[6:7], s[2:3]
	s_or_b32 s33, s35, s33
	s_delay_alu instid0(SALU_CYCLE_1)
	s_and_not1_b32 exec_lo, exec_lo, s33
	s_cbranch_execz .LBB1089_170
.LBB1089_168:                           ; =>This Inner Loop Header: Depth=1
	s_or_b32 s34, s34, exec_lo
	s_cmp_eq_u64 s[22:23], s[6:7]
	s_cbranch_scc0 .LBB1089_166
; %bb.169:                              ;   in Loop: Header=BB1089_168 Depth=1
	s_mov_b64 s[6:7], s[22:23]
                                        ; implicit-def: $sgpr2_sgpr3
	s_branch .LBB1089_167
.LBB1089_170:
	s_set_inst_prefetch_distance 0x2
	s_or_b32 exec_lo, exec_lo, s33
	v_cmp_gt_i64_e32 vcc_lo, s[22:23], v[37:38]
	s_or_not1_b32 s2, vcc_lo, exec_lo
.LBB1089_171:
	s_or_b32 exec_lo, exec_lo, s30
	s_delay_alu instid0(SALU_CYCLE_1)
	s_and_b32 s30, s2, exec_lo
.LBB1089_172:
	s_or_b32 exec_lo, exec_lo, s31
	v_or_b32_e32 v33, 1, v55
	s_mov_b32 s3, -1
	s_mov_b32 s2, 0
	s_delay_alu instid0(VALU_DEP_1) | instskip(SKIP_1) | instid1(SALU_CYCLE_1)
	v_cmp_gt_u32_e32 vcc_lo, s28, v33
	s_and_b32 s6, vcc_lo, s19
	s_and_saveexec_b32 s31, s6
	s_cbranch_execz .LBB1089_181
; %bb.173:
	v_mad_u64_u32 v[33:34], null, v29, s22, s[8:9]
	s_waitcnt lgkmcnt(0)
	v_mul_lo_u32 v37, v29, s23
	v_mul_lo_u32 v38, v30, s22
	v_mad_u64_u32 v[35:36], null, v31, s22, s[8:9]
	v_mul_lo_u32 v39, v31, s23
	v_mul_lo_u32 v40, v32, s22
	s_mov_b32 s34, 0
	s_delay_alu instid0(VALU_DEP_4) | instskip(NEXT) | instid1(VALU_DEP_2)
	v_add3_u32 v34, v38, v34, v37
	v_add3_u32 v36, v40, v36, v39
	s_clause 0x1
	global_load_u8 v37, v[33:34], off
	global_load_u8 v38, v[35:36], off
	s_waitcnt vmcnt(1)
	v_cmp_ne_u16_e32 vcc_lo, 0, v37
	s_waitcnt vmcnt(0)
	v_cmp_ne_u16_e64 s2, 0, v38
	s_delay_alu instid0(VALU_DEP_1) | instskip(NEXT) | instid1(SALU_CYCLE_1)
	s_xor_b32 s2, vcc_lo, s2
	s_xor_b32 s2, s2, -1
	s_delay_alu instid0(SALU_CYCLE_1)
	s_and_saveexec_b32 s33, s2
	s_cbranch_execz .LBB1089_180
; %bb.174:
	s_mov_b64 s[6:7], 1
                                        ; implicit-def: $sgpr35
	s_set_inst_prefetch_distance 0x1
	s_branch .LBB1089_177
	.p2align	6
.LBB1089_175:                           ;   in Loop: Header=BB1089_177 Depth=1
	v_add_co_u32 v37, vcc_lo, v33, s6
	v_add_co_ci_u32_e32 v38, vcc_lo, s7, v34, vcc_lo
	v_add_co_u32 v39, vcc_lo, v35, s6
	v_add_co_ci_u32_e32 v40, vcc_lo, s7, v36, vcc_lo
	s_clause 0x1
	global_load_u8 v37, v[37:38], off
	global_load_u8 v38, v[39:40], off
	s_waitcnt vmcnt(1)
	v_cmp_ne_u16_e32 vcc_lo, 0, v37
	s_waitcnt vmcnt(0)
	v_cmp_ne_u16_e64 s2, 0, v38
	s_delay_alu instid0(VALU_DEP_1) | instskip(SKIP_4) | instid1(SALU_CYCLE_1)
	s_xor_b32 s36, vcc_lo, s2
	s_add_u32 s2, s6, 1
	s_addc_u32 s3, s7, 0
	s_and_not1_b32 s35, s35, exec_lo
	s_and_b32 s36, s36, exec_lo
	s_or_b32 s35, s35, s36
.LBB1089_176:                           ;   in Loop: Header=BB1089_177 Depth=1
	v_dual_mov_b32 v38, s7 :: v_dual_mov_b32 v37, s6
	s_and_b32 s36, exec_lo, s35
	s_mov_b64 s[6:7], s[2:3]
	s_or_b32 s34, s36, s34
	s_delay_alu instid0(SALU_CYCLE_1)
	s_and_not1_b32 exec_lo, exec_lo, s34
	s_cbranch_execz .LBB1089_179
.LBB1089_177:                           ; =>This Inner Loop Header: Depth=1
	s_or_b32 s35, s35, exec_lo
	s_cmp_eq_u64 s[22:23], s[6:7]
	s_cbranch_scc0 .LBB1089_175
; %bb.178:                              ;   in Loop: Header=BB1089_177 Depth=1
	s_mov_b64 s[6:7], s[22:23]
                                        ; implicit-def: $sgpr2_sgpr3
	s_branch .LBB1089_176
.LBB1089_179:
	s_set_inst_prefetch_distance 0x2
	s_or_b32 exec_lo, exec_lo, s34
	v_cmp_gt_i64_e32 vcc_lo, s[22:23], v[37:38]
	s_or_not1_b32 s3, vcc_lo, exec_lo
.LBB1089_180:
	s_or_b32 exec_lo, exec_lo, s33
	s_delay_alu instid0(SALU_CYCLE_1)
	s_and_b32 s2, s3, exec_lo
.LBB1089_181:
	s_or_b32 exec_lo, exec_lo, s31
	s_waitcnt lgkmcnt(0)
	v_dual_mov_b32 v36, s5 :: v_dual_mov_b32 v35, s4
	s_mov_b32 s3, exec_lo
	s_barrier
	buffer_gl0_inv
	v_cmpx_ne_u32_e32 0, v0
	s_cbranch_execz .LBB1089_183
; %bb.182:
	v_add_nc_u32_e32 v33, -8, v55
	ds_load_b64 v[35:36], v33
.LBB1089_183:
	s_or_b32 exec_lo, exec_lo, s3
	v_cndmask_b32_e64 v34, 0, 1, s29
	v_cndmask_b32_e64 v38, 0, 1, s26
	;; [unrolled: 1-line block ×7, first 2 shown]
	v_lshlrev_b16 v34, 8, v34
	v_lshlrev_b16 v38, 8, v38
	;; [unrolled: 1-line block ×3, first 2 shown]
	v_cmp_gt_u32_e32 vcc_lo, s28, v55
	v_lshlrev_b16 v41, 8, v41
	v_or_b32_e32 v33, v33, v34
	v_or_b32_e32 v34, v37, v38
	;; [unrolled: 1-line block ×3, first 2 shown]
	s_mov_b32 s3, -1
	v_and_b32_e32 v39, 0xffff, v41
	v_lshlrev_b32_e32 v40, 16, v33
	v_and_b32_e32 v41, 0xffff, v34
	v_lshlrev_b32_e32 v42, 16, v37
	s_and_b32 s4, vcc_lo, s19
	s_mov_b32 s2, 0
	s_and_saveexec_b32 s6, s4
	s_cbranch_execz .LBB1089_192
; %bb.184:
	s_waitcnt lgkmcnt(0)
	v_mad_u64_u32 v[33:34], null, v35, s22, s[8:9]
	v_mul_lo_u32 v37, v35, s23
	v_mul_lo_u32 v38, v36, s22
	v_mad_u64_u32 v[35:36], null, v29, s22, s[8:9]
	v_mul_lo_u32 v43, v29, s23
	v_mul_lo_u32 v44, v30, s22
	s_mov_b32 s19, 0
	s_delay_alu instid0(VALU_DEP_4) | instskip(NEXT) | instid1(VALU_DEP_2)
	v_add3_u32 v34, v38, v34, v37
	v_add3_u32 v36, v44, v36, v43
	s_clause 0x1
	global_load_u8 v37, v[33:34], off
	global_load_u8 v38, v[35:36], off
	s_waitcnt vmcnt(1)
	v_cmp_ne_u16_e32 vcc_lo, 0, v37
	s_waitcnt vmcnt(0)
	v_cmp_ne_u16_e64 s2, 0, v38
	s_delay_alu instid0(VALU_DEP_1) | instskip(NEXT) | instid1(SALU_CYCLE_1)
	s_xor_b32 s2, vcc_lo, s2
	s_xor_b32 s2, s2, -1
	s_delay_alu instid0(SALU_CYCLE_1)
	s_and_saveexec_b32 s7, s2
	s_cbranch_execz .LBB1089_191
; %bb.185:
	s_mov_b64 s[4:5], 1
                                        ; implicit-def: $sgpr24
	s_set_inst_prefetch_distance 0x1
	s_branch .LBB1089_188
	.p2align	6
.LBB1089_186:                           ;   in Loop: Header=BB1089_188 Depth=1
	v_add_co_u32 v37, vcc_lo, v33, s4
	v_add_co_ci_u32_e32 v38, vcc_lo, s5, v34, vcc_lo
	v_add_co_u32 v43, vcc_lo, v35, s4
	v_add_co_ci_u32_e32 v44, vcc_lo, s5, v36, vcc_lo
	s_clause 0x1
	global_load_u8 v37, v[37:38], off
	global_load_u8 v38, v[43:44], off
	s_waitcnt vmcnt(1)
	v_cmp_ne_u16_e32 vcc_lo, 0, v37
	s_waitcnt vmcnt(0)
	v_cmp_ne_u16_e64 s2, 0, v38
	s_delay_alu instid0(VALU_DEP_1) | instskip(SKIP_4) | instid1(SALU_CYCLE_1)
	s_xor_b32 s25, vcc_lo, s2
	s_add_u32 s2, s4, 1
	s_addc_u32 s3, s5, 0
	s_and_not1_b32 s24, s24, exec_lo
	s_and_b32 s25, s25, exec_lo
	s_or_b32 s24, s24, s25
.LBB1089_187:                           ;   in Loop: Header=BB1089_188 Depth=1
	v_dual_mov_b32 v38, s5 :: v_dual_mov_b32 v37, s4
	s_and_b32 s25, exec_lo, s24
	s_mov_b64 s[4:5], s[2:3]
	s_or_b32 s19, s25, s19
	s_delay_alu instid0(SALU_CYCLE_1)
	s_and_not1_b32 exec_lo, exec_lo, s19
	s_cbranch_execz .LBB1089_190
.LBB1089_188:                           ; =>This Inner Loop Header: Depth=1
	s_or_b32 s24, s24, exec_lo
	s_cmp_eq_u64 s[22:23], s[4:5]
	s_cbranch_scc0 .LBB1089_186
; %bb.189:                              ;   in Loop: Header=BB1089_188 Depth=1
	s_mov_b64 s[4:5], s[22:23]
                                        ; implicit-def: $sgpr2_sgpr3
	s_branch .LBB1089_187
.LBB1089_190:
	s_set_inst_prefetch_distance 0x2
	s_or_b32 exec_lo, exec_lo, s19
	v_cmp_gt_i64_e32 vcc_lo, s[22:23], v[37:38]
	s_or_not1_b32 s3, vcc_lo, exec_lo
.LBB1089_191:
	s_or_b32 exec_lo, exec_lo, s7
	s_delay_alu instid0(SALU_CYCLE_1)
	s_and_b32 s2, s3, exec_lo
.LBB1089_192:
	s_or_b32 exec_lo, exec_lo, s6
	v_or_b32_e32 v33, v39, v40
	v_or_b32_e32 v34, v41, v42
.LBB1089_193:
	s_mov_b32 s6, -1
	s_cbranch_execnz .LBB1089_345
.LBB1089_194:
	v_cmp_lt_i64_e64 s7, s[22:23], 1
	v_cmp_gt_i64_e64 s2, s[22:23], 0
	s_and_b32 vcc_lo, exec_lo, s20
	ds_store_b64 v55, v[19:20]
	s_cbranch_vccz .LBB1089_202
; %bb.195:
	v_cndmask_b32_e64 v42, 0, 1, s2
	s_and_not1_b32 vcc_lo, exec_lo, s2
	s_cbranch_vccnz .LBB1089_203
; %bb.196:
	v_mad_u64_u32 v[33:34], null, v17, s22, s[8:9]
	s_waitcnt lgkmcnt(0)
	v_mul_lo_u32 v37, v17, s23
	v_mul_lo_u32 v38, v18, s22
	v_mad_u64_u32 v[35:36], null, v19, s22, s[8:9]
	v_mul_lo_u32 v39, v19, s23
	v_mul_lo_u32 v40, v20, s22
	s_mov_b32 s25, 0
	s_mov_b32 s19, -1
	s_delay_alu instid0(VALU_DEP_4) | instskip(NEXT) | instid1(VALU_DEP_2)
	v_add3_u32 v34, v38, v34, v37
	v_add3_u32 v36, v40, v36, v39
	s_clause 0x1
	global_load_u8 v37, v[33:34], off
	global_load_u8 v38, v[35:36], off
	s_waitcnt vmcnt(1)
	v_cmp_ne_u16_e32 vcc_lo, 0, v37
	s_waitcnt vmcnt(0)
	v_cmp_ne_u16_e64 s2, 0, v38
	s_delay_alu instid0(VALU_DEP_1) | instskip(NEXT) | instid1(SALU_CYCLE_1)
	s_xor_b32 s2, vcc_lo, s2
	s_xor_b32 s2, s2, -1
	s_delay_alu instid0(SALU_CYCLE_1)
	s_and_saveexec_b32 s24, s2
	s_cbranch_execz .LBB1089_205
; %bb.197:
	s_mov_b64 s[4:5], 1
                                        ; implicit-def: $sgpr19
	s_set_inst_prefetch_distance 0x1
	s_branch .LBB1089_200
	.p2align	6
.LBB1089_198:                           ;   in Loop: Header=BB1089_200 Depth=1
	v_add_co_u32 v37, s2, v33, s4
	s_delay_alu instid0(VALU_DEP_1) | instskip(SKIP_1) | instid1(VALU_DEP_1)
	v_add_co_ci_u32_e64 v38, s2, s5, v34, s2
	v_add_co_u32 v39, s2, v35, s4
	v_add_co_ci_u32_e64 v40, s2, s5, v36, s2
	s_clause 0x1
	global_load_u8 v37, v[37:38], off
	global_load_u8 v38, v[39:40], off
	s_waitcnt vmcnt(1)
	v_cmp_ne_u16_e64 s2, 0, v37
	s_waitcnt vmcnt(0)
	v_cmp_ne_u16_e64 s3, 0, v38
	s_delay_alu instid0(VALU_DEP_1) | instskip(SKIP_4) | instid1(SALU_CYCLE_1)
	s_xor_b32 s26, s2, s3
	s_add_u32 s2, s4, 1
	s_addc_u32 s3, s5, 0
	s_and_not1_b32 s19, s19, exec_lo
	s_and_b32 s26, s26, exec_lo
	s_or_b32 s19, s19, s26
.LBB1089_199:                           ;   in Loop: Header=BB1089_200 Depth=1
	v_dual_mov_b32 v38, s5 :: v_dual_mov_b32 v37, s4
	s_and_b32 s26, exec_lo, s19
	s_mov_b64 s[4:5], s[2:3]
	s_or_b32 s25, s26, s25
	s_delay_alu instid0(SALU_CYCLE_1)
	s_and_not1_b32 exec_lo, exec_lo, s25
	s_cbranch_execz .LBB1089_204
.LBB1089_200:                           ; =>This Inner Loop Header: Depth=1
	s_or_b32 s19, s19, exec_lo
	s_cmp_eq_u64 s[22:23], s[4:5]
	s_cbranch_scc0 .LBB1089_198
; %bb.201:                              ;   in Loop: Header=BB1089_200 Depth=1
	s_mov_b64 s[4:5], s[22:23]
                                        ; implicit-def: $sgpr2_sgpr3
	s_branch .LBB1089_199
.LBB1089_202:
                                        ; implicit-def: $sgpr2
                                        ; implicit-def: $vgpr34
	s_cbranch_execnz .LBB1089_270
	s_branch .LBB1089_345
.LBB1089_203:
	v_mov_b32_e32 v33, 0
	s_mov_b32 s2, 0
	s_branch .LBB1089_213
.LBB1089_204:
	s_set_inst_prefetch_distance 0x2
	s_or_b32 exec_lo, exec_lo, s25
	v_cmp_gt_i64_e64 s2, s[22:23], v[37:38]
	s_delay_alu instid0(VALU_DEP_1)
	s_or_not1_b32 s19, s2, exec_lo
.LBB1089_205:
	s_or_b32 exec_lo, exec_lo, s24
	v_mad_u64_u32 v[35:36], null, v23, s22, s[8:9]
	v_mul_lo_u32 v37, v23, s23
	v_mul_lo_u32 v38, v24, s22
	s_mov_b32 s25, 0
	s_delay_alu instid0(VALU_DEP_1) | instskip(SKIP_3) | instid1(VALU_DEP_1)
	v_add3_u32 v36, v38, v36, v37
	global_load_u8 v37, v[35:36], off
	s_waitcnt vmcnt(0)
	v_cmp_ne_u16_e64 s2, 0, v37
	s_xor_b32 s3, vcc_lo, s2
	s_mov_b32 s2, -1
	s_xor_b32 s3, s3, -1
	s_delay_alu instid0(SALU_CYCLE_1)
	s_and_saveexec_b32 s24, s3
	s_cbranch_execz .LBB1089_212
; %bb.206:
	s_mov_b64 s[4:5], 1
                                        ; implicit-def: $sgpr26
	s_set_inst_prefetch_distance 0x1
	s_branch .LBB1089_209
	.p2align	6
.LBB1089_207:                           ;   in Loop: Header=BB1089_209 Depth=1
	v_add_co_u32 v37, vcc_lo, v35, s4
	v_add_co_ci_u32_e32 v38, vcc_lo, s5, v36, vcc_lo
	v_add_co_u32 v39, vcc_lo, v33, s4
	v_add_co_ci_u32_e32 v40, vcc_lo, s5, v34, vcc_lo
	s_clause 0x1
	global_load_u8 v37, v[37:38], off
	global_load_u8 v38, v[39:40], off
	s_waitcnt vmcnt(1)
	v_cmp_ne_u16_e32 vcc_lo, 0, v37
	s_waitcnt vmcnt(0)
	v_cmp_ne_u16_e64 s2, 0, v38
	s_delay_alu instid0(VALU_DEP_1) | instskip(SKIP_4) | instid1(SALU_CYCLE_1)
	s_xor_b32 s27, vcc_lo, s2
	s_add_u32 s2, s4, 1
	s_addc_u32 s3, s5, 0
	s_and_not1_b32 s26, s26, exec_lo
	s_and_b32 s27, s27, exec_lo
	s_or_b32 s26, s26, s27
.LBB1089_208:                           ;   in Loop: Header=BB1089_209 Depth=1
	v_dual_mov_b32 v38, s5 :: v_dual_mov_b32 v37, s4
	s_and_b32 s27, exec_lo, s26
	s_mov_b64 s[4:5], s[2:3]
	s_or_b32 s25, s27, s25
	s_delay_alu instid0(SALU_CYCLE_1)
	s_and_not1_b32 exec_lo, exec_lo, s25
	s_cbranch_execz .LBB1089_211
.LBB1089_209:                           ; =>This Inner Loop Header: Depth=1
	s_or_b32 s26, s26, exec_lo
	s_cmp_eq_u64 s[22:23], s[4:5]
	s_cbranch_scc0 .LBB1089_207
; %bb.210:                              ;   in Loop: Header=BB1089_209 Depth=1
	s_mov_b64 s[4:5], s[22:23]
                                        ; implicit-def: $sgpr2_sgpr3
	s_branch .LBB1089_208
.LBB1089_211:
	s_set_inst_prefetch_distance 0x2
	s_or_b32 exec_lo, exec_lo, s25
	v_cmp_gt_i64_e32 vcc_lo, s[22:23], v[37:38]
	s_or_not1_b32 s2, vcc_lo, exec_lo
.LBB1089_212:
	s_or_b32 exec_lo, exec_lo, s24
	v_cndmask_b32_e64 v33, 0, 1, s19
.LBB1089_213:
	v_and_b32_e32 v34, 0xff, v0
	s_waitcnt lgkmcnt(0)
	v_lshlrev_b16 v35, 8, v0
	v_and_b32_e32 v36, 0xff, v0
	v_lshlrev_b16 v37, 8, v0
	v_and_b32_e32 v38, 0xff, v0
	v_lshlrev_b16 v39, 8, v0
	v_lshlrev_b16 v33, 8, v33
	v_cndmask_b32_e64 v40, 0, 1, s2
	v_or_b32_e32 v34, v34, v35
	v_or_b32_e32 v35, v36, v37
	;; [unrolled: 1-line block ×3, first 2 shown]
	v_cmp_ne_u32_e32 vcc_lo, 1, v42
	v_or_b32_e32 v33, v40, v33
	v_and_b32_e32 v34, 0xffff, v34
	v_lshlrev_b32_e32 v35, 16, v35
	v_and_b32_e32 v36, 0xffff, v36
	s_delay_alu instid0(VALU_DEP_4) | instskip(NEXT) | instid1(VALU_DEP_3)
	v_lshlrev_b32_e32 v33, 16, v33
	v_or_b32_e32 v43, v34, v35
	s_delay_alu instid0(VALU_DEP_2)
	v_or_b32_e32 v40, v36, v33
	s_cbranch_vccnz .LBB1089_220
; %bb.214:
	v_mad_u64_u32 v[33:34], null, v21, s22, s[8:9]
	v_mul_lo_u32 v37, v21, s23
	v_mul_lo_u32 v38, v22, s22
	v_mad_u64_u32 v[35:36], null, v23, s22, s[8:9]
	v_mul_lo_u32 v39, v23, s23
	v_mul_lo_u32 v41, v24, s22
	s_mov_b32 s24, 0
	s_delay_alu instid0(VALU_DEP_4) | instskip(NEXT) | instid1(VALU_DEP_2)
	v_add3_u32 v34, v38, v34, v37
	v_add3_u32 v36, v41, v36, v39
	s_clause 0x1
	global_load_u8 v37, v[33:34], off
	global_load_u8 v38, v[35:36], off
	s_waitcnt vmcnt(1)
	v_cmp_ne_u16_e32 vcc_lo, 0, v37
	s_waitcnt vmcnt(0)
	v_cmp_ne_u16_e64 s2, 0, v38
	s_delay_alu instid0(VALU_DEP_1) | instskip(SKIP_2) | instid1(SALU_CYCLE_1)
	s_xor_b32 s3, vcc_lo, s2
	s_mov_b32 s2, -1
	s_xor_b32 s3, s3, -1
	s_and_saveexec_b32 s19, s3
	s_cbranch_execz .LBB1089_222
; %bb.215:
	s_mov_b64 s[4:5], 1
                                        ; implicit-def: $sgpr25
	s_set_inst_prefetch_distance 0x1
	s_branch .LBB1089_218
	.p2align	6
.LBB1089_216:                           ;   in Loop: Header=BB1089_218 Depth=1
	v_add_co_u32 v37, s2, v33, s4
	s_delay_alu instid0(VALU_DEP_1) | instskip(SKIP_1) | instid1(VALU_DEP_1)
	v_add_co_ci_u32_e64 v38, s2, s5, v34, s2
	v_add_co_u32 v44, s2, v35, s4
	v_add_co_ci_u32_e64 v45, s2, s5, v36, s2
	s_clause 0x1
	global_load_u8 v37, v[37:38], off
	global_load_u8 v38, v[44:45], off
	s_waitcnt vmcnt(1)
	v_cmp_ne_u16_e64 s2, 0, v37
	s_waitcnt vmcnt(0)
	v_cmp_ne_u16_e64 s3, 0, v38
	s_delay_alu instid0(VALU_DEP_1) | instskip(SKIP_4) | instid1(SALU_CYCLE_1)
	s_xor_b32 s26, s2, s3
	s_add_u32 s2, s4, 1
	s_addc_u32 s3, s5, 0
	s_and_not1_b32 s25, s25, exec_lo
	s_and_b32 s26, s26, exec_lo
	s_or_b32 s25, s25, s26
.LBB1089_217:                           ;   in Loop: Header=BB1089_218 Depth=1
	v_dual_mov_b32 v38, s5 :: v_dual_mov_b32 v37, s4
	s_and_b32 s26, exec_lo, s25
	s_mov_b64 s[4:5], s[2:3]
	s_or_b32 s24, s26, s24
	s_delay_alu instid0(SALU_CYCLE_1)
	s_and_not1_b32 exec_lo, exec_lo, s24
	s_cbranch_execz .LBB1089_221
.LBB1089_218:                           ; =>This Inner Loop Header: Depth=1
	s_or_b32 s25, s25, exec_lo
	s_cmp_eq_u64 s[22:23], s[4:5]
	s_cbranch_scc0 .LBB1089_216
; %bb.219:                              ;   in Loop: Header=BB1089_218 Depth=1
	s_mov_b64 s[4:5], s[22:23]
                                        ; implicit-def: $sgpr2_sgpr3
	s_branch .LBB1089_217
.LBB1089_220:
                                        ; implicit-def: $sgpr2
                                        ; implicit-def: $vgpr34_vgpr35
	s_cbranch_execnz .LBB1089_230
	s_branch .LBB1089_231
.LBB1089_221:
	s_set_inst_prefetch_distance 0x2
	s_or_b32 exec_lo, exec_lo, s24
	v_cmp_gt_i64_e64 s2, s[22:23], v[37:38]
	s_delay_alu instid0(VALU_DEP_1)
	s_or_not1_b32 s2, s2, exec_lo
.LBB1089_222:
	s_or_b32 exec_lo, exec_lo, s19
	v_mad_u64_u32 v[36:37], null, v27, s22, s[8:9]
	v_mul_lo_u32 v35, v27, s23
	v_mul_lo_u32 v38, v28, s22
	v_and_b32_e32 v39, 0xff, v40
	s_mov_b32 s19, 0
	s_delay_alu instid0(VALU_DEP_2) | instskip(SKIP_3) | instid1(VALU_DEP_1)
	v_add3_u32 v37, v38, v37, v35
	v_cndmask_b32_e64 v38, 0, 1, s2
	global_load_u8 v35, v[36:37], off
	v_lshlrev_b16 v38, 8, v38
	v_or_b32_e32 v38, v39, v38
	s_delay_alu instid0(VALU_DEP_1) | instskip(SKIP_2) | instid1(VALU_DEP_2)
	v_and_b32_e32 v38, 0xffff, v38
	s_waitcnt vmcnt(0)
	v_cmp_ne_u16_e64 s2, 0, v35
	v_and_or_b32 v35, 0xffff0000, v40, v38
	s_delay_alu instid0(VALU_DEP_2) | instskip(SKIP_2) | instid1(SALU_CYCLE_1)
	s_xor_b32 s3, vcc_lo, s2
	s_mov_b32 s2, -1
	s_xor_b32 s3, s3, -1
	s_and_saveexec_b32 s24, s3
	s_cbranch_execz .LBB1089_229
; %bb.223:
	s_mov_b64 s[4:5], 1
	s_mov_b32 s25, 0
                                        ; implicit-def: $sgpr26
	s_set_inst_prefetch_distance 0x1
	s_branch .LBB1089_226
	.p2align	6
.LBB1089_224:                           ;   in Loop: Header=BB1089_226 Depth=1
	v_add_co_u32 v38, vcc_lo, v36, s4
	v_add_co_ci_u32_e32 v39, vcc_lo, s5, v37, vcc_lo
	v_add_co_u32 v44, vcc_lo, v33, s4
	v_add_co_ci_u32_e32 v45, vcc_lo, s5, v34, vcc_lo
	s_clause 0x1
	global_load_u8 v38, v[38:39], off
	global_load_u8 v39, v[44:45], off
	s_waitcnt vmcnt(1)
	v_cmp_ne_u16_e32 vcc_lo, 0, v38
	s_waitcnt vmcnt(0)
	v_cmp_ne_u16_e64 s2, 0, v39
	s_delay_alu instid0(VALU_DEP_1) | instskip(SKIP_4) | instid1(SALU_CYCLE_1)
	s_xor_b32 s27, vcc_lo, s2
	s_add_u32 s2, s4, 1
	s_addc_u32 s3, s5, 0
	s_and_not1_b32 s26, s26, exec_lo
	s_and_b32 s27, s27, exec_lo
	s_or_b32 s26, s26, s27
.LBB1089_225:                           ;   in Loop: Header=BB1089_226 Depth=1
	v_dual_mov_b32 v39, s5 :: v_dual_mov_b32 v38, s4
	s_and_b32 s27, exec_lo, s26
	s_mov_b64 s[4:5], s[2:3]
	s_or_b32 s25, s27, s25
	s_delay_alu instid0(SALU_CYCLE_1)
	s_and_not1_b32 exec_lo, exec_lo, s25
	s_cbranch_execz .LBB1089_228
.LBB1089_226:                           ; =>This Inner Loop Header: Depth=1
	s_or_b32 s26, s26, exec_lo
	s_cmp_eq_u64 s[22:23], s[4:5]
	s_cbranch_scc0 .LBB1089_224
; %bb.227:                              ;   in Loop: Header=BB1089_226 Depth=1
	s_mov_b64 s[4:5], s[22:23]
                                        ; implicit-def: $sgpr2_sgpr3
	s_branch .LBB1089_225
.LBB1089_228:
	s_set_inst_prefetch_distance 0x2
	s_or_b32 exec_lo, exec_lo, s25
	v_cmp_gt_i64_e32 vcc_lo, s[22:23], v[38:39]
	s_or_not1_b32 s2, vcc_lo, exec_lo
.LBB1089_229:
	s_or_b32 exec_lo, exec_lo, s24
	s_delay_alu instid0(SALU_CYCLE_1)
	s_and_b32 vcc_lo, exec_lo, s19
	s_cbranch_vccz .LBB1089_231
.LBB1089_230:
	s_delay_alu instid0(VALU_DEP_1)
	v_and_b32_e32 v35, 0xffff00ff, v40
	s_and_not1_b32 s2, s2, exec_lo
.LBB1089_231:
	s_delay_alu instid0(VALU_DEP_1) | instskip(SKIP_2) | instid1(VALU_DEP_2)
	v_and_b32_e32 v33, 0xffffff00, v35
	v_cndmask_b32_e64 v34, 0, 1, s2
	v_cmp_ne_u32_e32 vcc_lo, 1, v42
	v_or_b32_e32 v33, v34, v33
	s_delay_alu instid0(VALU_DEP_1) | instskip(NEXT) | instid1(VALU_DEP_1)
	v_and_b32_e32 v33, 0xffff, v33
	v_and_or_b32 v34, 0xffff0000, v35, v33
	s_cbranch_vccnz .LBB1089_238
; %bb.232:
	v_mad_u64_u32 v[36:37], null, v25, s22, s[8:9]
	v_mul_lo_u32 v33, v25, s23
	v_mul_lo_u32 v35, v26, s22
	v_mad_u64_u32 v[38:39], null, v27, s22, s[8:9]
	v_mul_lo_u32 v40, v27, s23
	v_mul_lo_u32 v41, v28, s22
	s_delay_alu instid0(VALU_DEP_4) | instskip(NEXT) | instid1(VALU_DEP_2)
	v_add3_u32 v37, v35, v37, v33
	v_add3_u32 v39, v41, v39, v40
	s_clause 0x1
	global_load_u8 v33, v[36:37], off
	global_load_u8 v35, v[38:39], off
	s_waitcnt vmcnt(1)
	v_cmp_ne_u16_e32 vcc_lo, 0, v33
	s_waitcnt vmcnt(0)
	v_cmp_ne_u16_e64 s2, 0, v35
	s_delay_alu instid0(VALU_DEP_1) | instskip(SKIP_2) | instid1(SALU_CYCLE_1)
	s_xor_b32 s3, vcc_lo, s2
	s_mov_b32 s2, -1
	s_xor_b32 s3, s3, -1
	s_and_saveexec_b32 s19, s3
	s_cbranch_execz .LBB1089_240
; %bb.233:
	s_mov_b64 s[4:5], 1
	s_mov_b32 s24, 0
                                        ; implicit-def: $sgpr25
	s_set_inst_prefetch_distance 0x1
	s_branch .LBB1089_236
	.p2align	6
.LBB1089_234:                           ;   in Loop: Header=BB1089_236 Depth=1
	v_add_co_u32 v40, s2, v36, s4
	s_delay_alu instid0(VALU_DEP_1) | instskip(SKIP_1) | instid1(VALU_DEP_1)
	v_add_co_ci_u32_e64 v41, s2, s5, v37, s2
	v_add_co_u32 v44, s2, v38, s4
	v_add_co_ci_u32_e64 v45, s2, s5, v39, s2
	s_clause 0x1
	global_load_u8 v33, v[40:41], off
	global_load_u8 v35, v[44:45], off
	s_waitcnt vmcnt(1)
	v_cmp_ne_u16_e64 s2, 0, v33
	s_waitcnt vmcnt(0)
	v_cmp_ne_u16_e64 s3, 0, v35
	s_delay_alu instid0(VALU_DEP_1) | instskip(SKIP_4) | instid1(SALU_CYCLE_1)
	s_xor_b32 s26, s2, s3
	s_add_u32 s2, s4, 1
	s_addc_u32 s3, s5, 0
	s_and_not1_b32 s25, s25, exec_lo
	s_and_b32 s26, s26, exec_lo
	s_or_b32 s25, s25, s26
.LBB1089_235:                           ;   in Loop: Header=BB1089_236 Depth=1
	v_dual_mov_b32 v41, s5 :: v_dual_mov_b32 v40, s4
	s_and_b32 s26, exec_lo, s25
	s_mov_b64 s[4:5], s[2:3]
	s_or_b32 s24, s26, s24
	s_delay_alu instid0(SALU_CYCLE_1)
	s_and_not1_b32 exec_lo, exec_lo, s24
	s_cbranch_execz .LBB1089_239
.LBB1089_236:                           ; =>This Inner Loop Header: Depth=1
	s_or_b32 s25, s25, exec_lo
	s_cmp_eq_u64 s[22:23], s[4:5]
	s_cbranch_scc0 .LBB1089_234
; %bb.237:                              ;   in Loop: Header=BB1089_236 Depth=1
	s_mov_b64 s[4:5], s[22:23]
                                        ; implicit-def: $sgpr2_sgpr3
	s_branch .LBB1089_235
.LBB1089_238:
                                        ; implicit-def: $sgpr19
                                        ; implicit-def: $vgpr35_vgpr36
	s_cbranch_execnz .LBB1089_248
	s_branch .LBB1089_249
.LBB1089_239:
	s_set_inst_prefetch_distance 0x2
	s_or_b32 exec_lo, exec_lo, s24
	v_cmp_gt_i64_e64 s2, s[22:23], v[40:41]
	s_delay_alu instid0(VALU_DEP_1)
	s_or_not1_b32 s2, s2, exec_lo
.LBB1089_240:
	s_or_b32 exec_lo, exec_lo, s19
	v_mad_u64_u32 v[38:39], null, v31, s22, s[8:9]
	v_mul_lo_u32 v33, v31, s23
	v_mul_lo_u32 v35, v32, s22
	v_cndmask_b32_e64 v40, 0, 1, s2
	s_mov_b32 s24, 0
	s_mov_b32 s19, -1
	s_delay_alu instid0(VALU_DEP_1) | instskip(NEXT) | instid1(VALU_DEP_3)
	v_lshlrev_b16 v40, 8, v40
	v_add3_u32 v39, v35, v39, v33
	v_lshrrev_b32_e32 v35, 16, v43
	global_load_u8 v33, v[38:39], off
	v_and_b32_e32 v35, 0xff, v35
	s_delay_alu instid0(VALU_DEP_1) | instskip(NEXT) | instid1(VALU_DEP_1)
	v_or_b32_e32 v35, v35, v40
	v_lshlrev_b32_e32 v35, 16, v35
	s_delay_alu instid0(VALU_DEP_1) | instskip(SKIP_2) | instid1(VALU_DEP_1)
	v_and_or_b32 v35, 0xffff, v43, v35
	s_waitcnt vmcnt(0)
	v_cmp_ne_u16_e64 s2, 0, v33
	s_xor_b32 s2, vcc_lo, s2
	s_delay_alu instid0(SALU_CYCLE_1) | instskip(NEXT) | instid1(SALU_CYCLE_1)
	s_xor_b32 s2, s2, -1
	s_and_saveexec_b32 s25, s2
	s_cbranch_execz .LBB1089_247
; %bb.241:
	s_mov_b64 s[4:5], 1
	s_mov_b32 s19, 0
                                        ; implicit-def: $sgpr26
	s_set_inst_prefetch_distance 0x1
	s_branch .LBB1089_244
	.p2align	6
.LBB1089_242:                           ;   in Loop: Header=BB1089_244 Depth=1
	v_add_co_u32 v40, vcc_lo, v38, s4
	v_add_co_ci_u32_e32 v41, vcc_lo, s5, v39, vcc_lo
	v_add_co_u32 v44, vcc_lo, v36, s4
	v_add_co_ci_u32_e32 v45, vcc_lo, s5, v37, vcc_lo
	s_clause 0x1
	global_load_u8 v33, v[40:41], off
	global_load_u8 v40, v[44:45], off
	s_waitcnt vmcnt(1)
	v_cmp_ne_u16_e32 vcc_lo, 0, v33
	s_waitcnt vmcnt(0)
	v_cmp_ne_u16_e64 s2, 0, v40
	s_delay_alu instid0(VALU_DEP_1) | instskip(SKIP_4) | instid1(SALU_CYCLE_1)
	s_xor_b32 s27, vcc_lo, s2
	s_add_u32 s2, s4, 1
	s_addc_u32 s3, s5, 0
	s_and_not1_b32 s26, s26, exec_lo
	s_and_b32 s27, s27, exec_lo
	s_or_b32 s26, s26, s27
.LBB1089_243:                           ;   in Loop: Header=BB1089_244 Depth=1
	v_dual_mov_b32 v41, s5 :: v_dual_mov_b32 v40, s4
	s_and_b32 s27, exec_lo, s26
	s_mov_b64 s[4:5], s[2:3]
	s_or_b32 s19, s27, s19
	s_delay_alu instid0(SALU_CYCLE_1)
	s_and_not1_b32 exec_lo, exec_lo, s19
	s_cbranch_execz .LBB1089_246
.LBB1089_244:                           ; =>This Inner Loop Header: Depth=1
	s_or_b32 s26, s26, exec_lo
	s_cmp_eq_u64 s[22:23], s[4:5]
	s_cbranch_scc0 .LBB1089_242
; %bb.245:                              ;   in Loop: Header=BB1089_244 Depth=1
	s_mov_b64 s[4:5], s[22:23]
                                        ; implicit-def: $sgpr2_sgpr3
	s_branch .LBB1089_243
.LBB1089_246:
	s_set_inst_prefetch_distance 0x2
	s_or_b32 exec_lo, exec_lo, s19
	v_cmp_gt_i64_e32 vcc_lo, s[22:23], v[40:41]
	s_or_not1_b32 s19, vcc_lo, exec_lo
.LBB1089_247:
	s_or_b32 exec_lo, exec_lo, s25
	s_delay_alu instid0(SALU_CYCLE_1)
	s_and_b32 vcc_lo, exec_lo, s24
	s_cbranch_vccz .LBB1089_249
.LBB1089_248:
	v_and_b32_e32 v35, 0xffffff, v43
	s_and_not1_b32 s19, s19, exec_lo
.LBB1089_249:
	v_cmp_ne_u32_e32 vcc_lo, 1, v42
	s_mov_b32 s2, 0
	s_cbranch_vccnz .LBB1089_258
; %bb.250:
	v_mad_u64_u32 v[36:37], null, v29, s22, s[8:9]
	v_mul_lo_u32 v33, v29, s23
	v_mul_lo_u32 v40, v30, s22
	v_mad_u64_u32 v[38:39], null, v31, s22, s[8:9]
	v_mul_lo_u32 v41, v31, s23
	v_mul_lo_u32 v43, v32, s22
	s_mov_b32 s25, 0
	s_delay_alu instid0(VALU_DEP_4) | instskip(NEXT) | instid1(VALU_DEP_2)
	v_add3_u32 v37, v40, v37, v33
	v_add3_u32 v39, v43, v39, v41
	s_clause 0x1
	global_load_u8 v33, v[36:37], off
	global_load_u8 v40, v[38:39], off
	s_waitcnt vmcnt(1)
	v_cmp_ne_u16_e32 vcc_lo, 0, v33
	s_waitcnt vmcnt(0)
	v_cmp_ne_u16_e64 s2, 0, v40
	s_delay_alu instid0(VALU_DEP_1) | instskip(SKIP_2) | instid1(SALU_CYCLE_1)
	s_xor_b32 s3, vcc_lo, s2
	s_mov_b32 s2, -1
	s_xor_b32 s3, s3, -1
	s_and_saveexec_b32 s24, s3
	s_cbranch_execz .LBB1089_257
; %bb.251:
	s_mov_b64 s[4:5], 1
                                        ; implicit-def: $sgpr26
	s_set_inst_prefetch_distance 0x1
	s_branch .LBB1089_254
	.p2align	6
.LBB1089_252:                           ;   in Loop: Header=BB1089_254 Depth=1
	v_add_co_u32 v40, vcc_lo, v36, s4
	v_add_co_ci_u32_e32 v41, vcc_lo, s5, v37, vcc_lo
	v_add_co_u32 v43, vcc_lo, v38, s4
	v_add_co_ci_u32_e32 v44, vcc_lo, s5, v39, vcc_lo
	s_clause 0x1
	global_load_u8 v33, v[40:41], off
	global_load_u8 v40, v[43:44], off
	s_waitcnt vmcnt(1)
	v_cmp_ne_u16_e32 vcc_lo, 0, v33
	s_waitcnt vmcnt(0)
	v_cmp_ne_u16_e64 s2, 0, v40
	s_delay_alu instid0(VALU_DEP_1) | instskip(SKIP_4) | instid1(SALU_CYCLE_1)
	s_xor_b32 s27, vcc_lo, s2
	s_add_u32 s2, s4, 1
	s_addc_u32 s3, s5, 0
	s_and_not1_b32 s26, s26, exec_lo
	s_and_b32 s27, s27, exec_lo
	s_or_b32 s26, s26, s27
.LBB1089_253:                           ;   in Loop: Header=BB1089_254 Depth=1
	v_dual_mov_b32 v41, s5 :: v_dual_mov_b32 v40, s4
	s_and_b32 s27, exec_lo, s26
	s_mov_b64 s[4:5], s[2:3]
	s_or_b32 s25, s27, s25
	s_delay_alu instid0(SALU_CYCLE_1)
	s_and_not1_b32 exec_lo, exec_lo, s25
	s_cbranch_execz .LBB1089_256
.LBB1089_254:                           ; =>This Inner Loop Header: Depth=1
	s_or_b32 s26, s26, exec_lo
	s_cmp_eq_u64 s[22:23], s[4:5]
	s_cbranch_scc0 .LBB1089_252
; %bb.255:                              ;   in Loop: Header=BB1089_254 Depth=1
	s_mov_b64 s[4:5], s[22:23]
                                        ; implicit-def: $sgpr2_sgpr3
	s_branch .LBB1089_253
.LBB1089_256:
	s_set_inst_prefetch_distance 0x2
	s_or_b32 exec_lo, exec_lo, s25
	v_cmp_gt_i64_e32 vcc_lo, s[22:23], v[40:41]
	s_or_not1_b32 s2, vcc_lo, exec_lo
.LBB1089_257:
	s_or_b32 exec_lo, exec_lo, s24
.LBB1089_258:
	v_cndmask_b32_e64 v33, 0, 1, s2
	v_lshrrev_b32_e32 v35, 16, v35
	v_cndmask_b32_e64 v36, 0, 1, s19
	s_barrier
	s_delay_alu instid0(VALU_DEP_3) | instskip(NEXT) | instid1(VALU_DEP_3)
	v_lshlrev_b16 v33, 8, v33
	v_and_b32_e32 v35, 0xffffff00, v35
	buffer_gl0_inv
                                        ; implicit-def: $sgpr2
	s_mov_b32 s3, exec_lo
	v_or_b32_e32 v33, 1, v33
	v_or_b32_e32 v35, v36, v35
	s_delay_alu instid0(VALU_DEP_2) | instskip(NEXT) | instid1(VALU_DEP_2)
	v_and_b32_e32 v33, 0xffff, v33
	v_lshlrev_b32_e32 v35, 16, v35
	s_delay_alu instid0(VALU_DEP_1)
	v_or_b32_e32 v33, v33, v35
	v_cmpx_ne_u32_e32 0, v0
	s_xor_b32 s19, exec_lo, s3
	s_cbranch_execz .LBB1089_269
; %bb.259:
	v_cmp_ne_u32_e32 vcc_lo, 1, v42
	s_mov_b32 s2, 0
	s_cbranch_vccnz .LBB1089_268
; %bb.260:
	v_add_nc_u32_e32 v35, -8, v55
	v_mul_lo_u32 v41, v29, s23
	s_mov_b32 s25, 0
	ds_load_b64 v[39:40], v35
	v_mad_u64_u32 v[35:36], null, v29, s22, s[8:9]
	s_waitcnt lgkmcnt(0)
	v_mul_lo_u32 v42, v39, s23
	v_mul_lo_u32 v40, v40, s22
	v_mad_u64_u32 v[37:38], null, v39, s22, s[8:9]
	v_mul_lo_u32 v39, v30, s22
	s_delay_alu instid0(VALU_DEP_2) | instskip(NEXT) | instid1(VALU_DEP_2)
	v_add3_u32 v38, v40, v38, v42
	v_add3_u32 v36, v39, v36, v41
	s_clause 0x1
	global_load_u8 v39, v[37:38], off
	global_load_u8 v40, v[35:36], off
	s_waitcnt vmcnt(1)
	v_cmp_ne_u16_e32 vcc_lo, 0, v39
	s_waitcnt vmcnt(0)
	v_cmp_ne_u16_e64 s2, 0, v40
	s_delay_alu instid0(VALU_DEP_1) | instskip(SKIP_2) | instid1(SALU_CYCLE_1)
	s_xor_b32 s3, vcc_lo, s2
	s_mov_b32 s2, -1
	s_xor_b32 s3, s3, -1
	s_and_saveexec_b32 s24, s3
	s_cbranch_execz .LBB1089_267
; %bb.261:
	s_mov_b64 s[4:5], 1
                                        ; implicit-def: $sgpr26
	s_set_inst_prefetch_distance 0x1
	s_branch .LBB1089_264
	.p2align	6
.LBB1089_262:                           ;   in Loop: Header=BB1089_264 Depth=1
	v_add_co_u32 v39, vcc_lo, v37, s4
	v_add_co_ci_u32_e32 v40, vcc_lo, s5, v38, vcc_lo
	v_add_co_u32 v41, vcc_lo, v35, s4
	v_add_co_ci_u32_e32 v42, vcc_lo, s5, v36, vcc_lo
	s_clause 0x1
	global_load_u8 v39, v[39:40], off
	global_load_u8 v40, v[41:42], off
	s_waitcnt vmcnt(1)
	v_cmp_ne_u16_e32 vcc_lo, 0, v39
	s_waitcnt vmcnt(0)
	v_cmp_ne_u16_e64 s2, 0, v40
	s_delay_alu instid0(VALU_DEP_1) | instskip(SKIP_4) | instid1(SALU_CYCLE_1)
	s_xor_b32 s27, vcc_lo, s2
	s_add_u32 s2, s4, 1
	s_addc_u32 s3, s5, 0
	s_and_not1_b32 s26, s26, exec_lo
	s_and_b32 s27, s27, exec_lo
	s_or_b32 s26, s26, s27
.LBB1089_263:                           ;   in Loop: Header=BB1089_264 Depth=1
	v_dual_mov_b32 v40, s5 :: v_dual_mov_b32 v39, s4
	s_and_b32 s27, exec_lo, s26
	s_mov_b64 s[4:5], s[2:3]
	s_or_b32 s25, s27, s25
	s_delay_alu instid0(SALU_CYCLE_1)
	s_and_not1_b32 exec_lo, exec_lo, s25
	s_cbranch_execz .LBB1089_266
.LBB1089_264:                           ; =>This Inner Loop Header: Depth=1
	s_or_b32 s26, s26, exec_lo
	s_cmp_eq_u64 s[22:23], s[4:5]
	s_cbranch_scc0 .LBB1089_262
; %bb.265:                              ;   in Loop: Header=BB1089_264 Depth=1
	s_mov_b64 s[4:5], s[22:23]
                                        ; implicit-def: $sgpr2_sgpr3
	s_branch .LBB1089_263
.LBB1089_266:
	s_set_inst_prefetch_distance 0x2
	s_or_b32 exec_lo, exec_lo, s25
	v_cmp_gt_i64_e32 vcc_lo, s[22:23], v[39:40]
	s_or_not1_b32 s2, vcc_lo, exec_lo
.LBB1089_267:
	s_or_b32 exec_lo, exec_lo, s24
.LBB1089_268:
	s_delay_alu instid0(SALU_CYCLE_1)
	s_and_b32 s2, s2, exec_lo
	s_or_b32 s6, s6, exec_lo
.LBB1089_269:
	s_or_b32 exec_lo, exec_lo, s19
	s_branch .LBB1089_345
.LBB1089_270:
	v_or_b32_e32 v33, 7, v55
	v_mul_lo_u32 v40, v17, s23
	v_mul_lo_u32 v42, v18, s22
	s_xor_b32 s7, s7, -1
	s_mov_b32 s3, -1
	v_cmp_gt_u32_e32 vcc_lo, s28, v33
	s_mov_b32 s19, 0
	s_mov_b32 s24, 0
	s_and_b32 s2, vcc_lo, s7
	s_delay_alu instid0(SALU_CYCLE_1)
	s_and_saveexec_b32 s25, s2
	s_cbranch_execz .LBB1089_279
; %bb.271:
	v_mad_u64_u32 v[33:34], null, v17, s22, s[8:9]
	s_waitcnt lgkmcnt(0)
	v_mad_u64_u32 v[35:36], null, v19, s22, s[8:9]
	v_mul_lo_u32 v37, v19, s23
	v_mul_lo_u32 v38, v20, s22
	s_mov_b32 s26, 0
	s_delay_alu instid0(VALU_DEP_4) | instskip(NEXT) | instid1(VALU_DEP_2)
	v_add3_u32 v34, v42, v34, v40
	v_add3_u32 v36, v38, v36, v37
	s_clause 0x1
	global_load_u8 v37, v[33:34], off
	global_load_u8 v38, v[35:36], off
	s_waitcnt vmcnt(1)
	v_cmp_ne_u16_e32 vcc_lo, 0, v37
	s_waitcnt vmcnt(0)
	v_cmp_ne_u16_e64 s2, 0, v38
	s_delay_alu instid0(VALU_DEP_1) | instskip(NEXT) | instid1(SALU_CYCLE_1)
	s_xor_b32 s2, vcc_lo, s2
	s_xor_b32 s2, s2, -1
	s_delay_alu instid0(SALU_CYCLE_1)
	s_and_saveexec_b32 s24, s2
	s_cbranch_execz .LBB1089_278
; %bb.272:
	s_mov_b64 s[4:5], 1
                                        ; implicit-def: $sgpr27
	s_set_inst_prefetch_distance 0x1
	s_branch .LBB1089_275
	.p2align	6
.LBB1089_273:                           ;   in Loop: Header=BB1089_275 Depth=1
	v_add_co_u32 v37, vcc_lo, v33, s4
	v_add_co_ci_u32_e32 v38, vcc_lo, s5, v34, vcc_lo
	v_add_co_u32 v43, vcc_lo, v35, s4
	v_add_co_ci_u32_e32 v44, vcc_lo, s5, v36, vcc_lo
	s_clause 0x1
	global_load_u8 v37, v[37:38], off
	global_load_u8 v38, v[43:44], off
	s_waitcnt vmcnt(1)
	v_cmp_ne_u16_e32 vcc_lo, 0, v37
	s_waitcnt vmcnt(0)
	v_cmp_ne_u16_e64 s2, 0, v38
	s_delay_alu instid0(VALU_DEP_1) | instskip(SKIP_4) | instid1(SALU_CYCLE_1)
	s_xor_b32 s29, vcc_lo, s2
	s_add_u32 s2, s4, 1
	s_addc_u32 s3, s5, 0
	s_and_not1_b32 s27, s27, exec_lo
	s_and_b32 s29, s29, exec_lo
	s_or_b32 s27, s27, s29
.LBB1089_274:                           ;   in Loop: Header=BB1089_275 Depth=1
	v_dual_mov_b32 v38, s5 :: v_dual_mov_b32 v37, s4
	s_and_b32 s29, exec_lo, s27
	s_mov_b64 s[4:5], s[2:3]
	s_or_b32 s26, s29, s26
	s_delay_alu instid0(SALU_CYCLE_1)
	s_and_not1_b32 exec_lo, exec_lo, s26
	s_cbranch_execz .LBB1089_277
.LBB1089_275:                           ; =>This Inner Loop Header: Depth=1
	s_or_b32 s27, s27, exec_lo
	s_cmp_eq_u64 s[22:23], s[4:5]
	s_cbranch_scc0 .LBB1089_273
; %bb.276:                              ;   in Loop: Header=BB1089_275 Depth=1
	s_mov_b64 s[4:5], s[22:23]
                                        ; implicit-def: $sgpr2_sgpr3
	s_branch .LBB1089_274
.LBB1089_277:
	s_set_inst_prefetch_distance 0x2
	s_or_b32 exec_lo, exec_lo, s26
	v_cmp_gt_i64_e32 vcc_lo, s[22:23], v[37:38]
	s_or_not1_b32 s3, vcc_lo, exec_lo
.LBB1089_278:
	s_or_b32 exec_lo, exec_lo, s24
	s_delay_alu instid0(SALU_CYCLE_1)
	s_and_b32 s24, s3, exec_lo
.LBB1089_279:
	s_or_b32 exec_lo, exec_lo, s25
	v_or_b32_e32 v33, 6, v55
	v_mul_lo_u32 v39, v23, s23
	v_mul_lo_u32 v41, v24, s22
	s_delay_alu instid0(VALU_DEP_3) | instskip(SKIP_1) | instid1(SALU_CYCLE_1)
	v_cmp_gt_u32_e32 vcc_lo, s28, v33
	s_and_b32 s2, vcc_lo, s7
	s_and_saveexec_b32 s25, s2
	s_cbranch_execz .LBB1089_288
; %bb.280:
	v_mad_u64_u32 v[33:34], null, v23, s22, s[8:9]
	s_waitcnt lgkmcnt(0)
	v_mad_u64_u32 v[35:36], null, v17, s22, s[8:9]
	s_mov_b32 s26, 0
	s_delay_alu instid0(VALU_DEP_2) | instskip(NEXT) | instid1(VALU_DEP_2)
	v_add3_u32 v34, v41, v34, v39
	v_add3_u32 v36, v42, v36, v40
	s_clause 0x1
	global_load_u8 v37, v[33:34], off
	global_load_u8 v38, v[35:36], off
	s_waitcnt vmcnt(1)
	v_cmp_ne_u16_e32 vcc_lo, 0, v37
	s_waitcnt vmcnt(0)
	v_cmp_ne_u16_e64 s2, 0, v38
	s_delay_alu instid0(VALU_DEP_1) | instskip(SKIP_2) | instid1(SALU_CYCLE_1)
	s_xor_b32 s3, vcc_lo, s2
	s_mov_b32 s2, -1
	s_xor_b32 s3, s3, -1
	s_and_saveexec_b32 s19, s3
	s_cbranch_execz .LBB1089_287
; %bb.281:
	s_mov_b64 s[4:5], 1
                                        ; implicit-def: $sgpr27
	s_set_inst_prefetch_distance 0x1
	s_branch .LBB1089_284
	.p2align	6
.LBB1089_282:                           ;   in Loop: Header=BB1089_284 Depth=1
	v_add_co_u32 v37, vcc_lo, v33, s4
	v_add_co_ci_u32_e32 v38, vcc_lo, s5, v34, vcc_lo
	v_add_co_u32 v42, vcc_lo, v35, s4
	v_add_co_ci_u32_e32 v43, vcc_lo, s5, v36, vcc_lo
	s_clause 0x1
	global_load_u8 v37, v[37:38], off
	global_load_u8 v38, v[42:43], off
	s_waitcnt vmcnt(1)
	v_cmp_ne_u16_e32 vcc_lo, 0, v37
	s_waitcnt vmcnt(0)
	v_cmp_ne_u16_e64 s2, 0, v38
	s_delay_alu instid0(VALU_DEP_1) | instskip(SKIP_4) | instid1(SALU_CYCLE_1)
	s_xor_b32 s29, vcc_lo, s2
	s_add_u32 s2, s4, 1
	s_addc_u32 s3, s5, 0
	s_and_not1_b32 s27, s27, exec_lo
	s_and_b32 s29, s29, exec_lo
	s_or_b32 s27, s27, s29
.LBB1089_283:                           ;   in Loop: Header=BB1089_284 Depth=1
	v_dual_mov_b32 v38, s5 :: v_dual_mov_b32 v37, s4
	s_and_b32 s29, exec_lo, s27
	s_mov_b64 s[4:5], s[2:3]
	s_or_b32 s26, s29, s26
	s_delay_alu instid0(SALU_CYCLE_1)
	s_and_not1_b32 exec_lo, exec_lo, s26
	s_cbranch_execz .LBB1089_286
.LBB1089_284:                           ; =>This Inner Loop Header: Depth=1
	s_or_b32 s27, s27, exec_lo
	s_cmp_eq_u64 s[22:23], s[4:5]
	s_cbranch_scc0 .LBB1089_282
; %bb.285:                              ;   in Loop: Header=BB1089_284 Depth=1
	s_mov_b64 s[4:5], s[22:23]
                                        ; implicit-def: $sgpr2_sgpr3
	s_branch .LBB1089_283
.LBB1089_286:
	s_set_inst_prefetch_distance 0x2
	s_or_b32 exec_lo, exec_lo, s26
	v_cmp_gt_i64_e32 vcc_lo, s[22:23], v[37:38]
	s_or_not1_b32 s2, vcc_lo, exec_lo
.LBB1089_287:
	s_or_b32 exec_lo, exec_lo, s19
	s_delay_alu instid0(SALU_CYCLE_1)
	s_and_b32 s19, s2, exec_lo
.LBB1089_288:
	s_or_b32 exec_lo, exec_lo, s25
	v_or_b32_e32 v33, 5, v55
	v_mul_lo_u32 v42, v21, s23
	v_mul_lo_u32 v43, v22, s22
	s_mov_b32 s3, -1
	s_mov_b32 s25, 0
	v_cmp_gt_u32_e32 vcc_lo, s28, v33
	s_mov_b32 s26, 0
	s_and_b32 s2, vcc_lo, s7
	s_delay_alu instid0(SALU_CYCLE_1)
	s_and_saveexec_b32 s27, s2
	s_cbranch_execz .LBB1089_297
; %bb.289:
	v_mad_u64_u32 v[33:34], null, v21, s22, s[8:9]
	s_waitcnt lgkmcnt(0)
	v_mad_u64_u32 v[35:36], null, v23, s22, s[8:9]
	s_mov_b32 s29, 0
	s_delay_alu instid0(VALU_DEP_2) | instskip(NEXT) | instid1(VALU_DEP_2)
	v_add3_u32 v34, v43, v34, v42
	v_add3_u32 v36, v41, v36, v39
	s_clause 0x1
	global_load_u8 v37, v[33:34], off
	global_load_u8 v38, v[35:36], off
	s_waitcnt vmcnt(1)
	v_cmp_ne_u16_e32 vcc_lo, 0, v37
	s_waitcnt vmcnt(0)
	v_cmp_ne_u16_e64 s2, 0, v38
	s_delay_alu instid0(VALU_DEP_1) | instskip(NEXT) | instid1(SALU_CYCLE_1)
	s_xor_b32 s2, vcc_lo, s2
	s_xor_b32 s2, s2, -1
	s_delay_alu instid0(SALU_CYCLE_1)
	s_and_saveexec_b32 s26, s2
	s_cbranch_execz .LBB1089_296
; %bb.290:
	s_mov_b64 s[4:5], 1
                                        ; implicit-def: $sgpr30
	s_set_inst_prefetch_distance 0x1
	s_branch .LBB1089_293
	.p2align	6
.LBB1089_291:                           ;   in Loop: Header=BB1089_293 Depth=1
	v_add_co_u32 v37, vcc_lo, v33, s4
	v_add_co_ci_u32_e32 v38, vcc_lo, s5, v34, vcc_lo
	v_add_co_u32 v39, vcc_lo, v35, s4
	v_add_co_ci_u32_e32 v40, vcc_lo, s5, v36, vcc_lo
	s_clause 0x1
	global_load_u8 v37, v[37:38], off
	global_load_u8 v38, v[39:40], off
	s_waitcnt vmcnt(1)
	v_cmp_ne_u16_e32 vcc_lo, 0, v37
	s_waitcnt vmcnt(0)
	v_cmp_ne_u16_e64 s2, 0, v38
	s_delay_alu instid0(VALU_DEP_1) | instskip(SKIP_4) | instid1(SALU_CYCLE_1)
	s_xor_b32 s31, vcc_lo, s2
	s_add_u32 s2, s4, 1
	s_addc_u32 s3, s5, 0
	s_and_not1_b32 s30, s30, exec_lo
	s_and_b32 s31, s31, exec_lo
	s_or_b32 s30, s30, s31
.LBB1089_292:                           ;   in Loop: Header=BB1089_293 Depth=1
	v_dual_mov_b32 v38, s5 :: v_dual_mov_b32 v37, s4
	s_and_b32 s31, exec_lo, s30
	s_mov_b64 s[4:5], s[2:3]
	s_or_b32 s29, s31, s29
	s_delay_alu instid0(SALU_CYCLE_1)
	s_and_not1_b32 exec_lo, exec_lo, s29
	s_cbranch_execz .LBB1089_295
.LBB1089_293:                           ; =>This Inner Loop Header: Depth=1
	s_or_b32 s30, s30, exec_lo
	s_cmp_eq_u64 s[22:23], s[4:5]
	s_cbranch_scc0 .LBB1089_291
; %bb.294:                              ;   in Loop: Header=BB1089_293 Depth=1
	s_mov_b64 s[4:5], s[22:23]
                                        ; implicit-def: $sgpr2_sgpr3
	s_branch .LBB1089_292
.LBB1089_295:
	s_set_inst_prefetch_distance 0x2
	s_or_b32 exec_lo, exec_lo, s29
	v_cmp_gt_i64_e32 vcc_lo, s[22:23], v[37:38]
	s_or_not1_b32 s3, vcc_lo, exec_lo
.LBB1089_296:
	s_or_b32 exec_lo, exec_lo, s26
	s_delay_alu instid0(SALU_CYCLE_1)
	s_and_b32 s26, s3, exec_lo
.LBB1089_297:
	s_or_b32 exec_lo, exec_lo, s27
	v_or_b32_e32 v33, 4, v55
	v_mul_lo_u32 v39, v27, s23
	v_mul_lo_u32 v40, v28, s22
	s_delay_alu instid0(VALU_DEP_3) | instskip(SKIP_1) | instid1(SALU_CYCLE_1)
	v_cmp_gt_u32_e32 vcc_lo, s28, v33
	s_and_b32 s2, vcc_lo, s7
	s_and_saveexec_b32 s27, s2
	s_cbranch_execz .LBB1089_306
; %bb.298:
	v_mad_u64_u32 v[33:34], null, v27, s22, s[8:9]
	s_waitcnt lgkmcnt(0)
	v_mad_u64_u32 v[35:36], null, v21, s22, s[8:9]
	s_mov_b32 s29, 0
	s_delay_alu instid0(VALU_DEP_2) | instskip(NEXT) | instid1(VALU_DEP_2)
	v_add3_u32 v34, v40, v34, v39
	v_add3_u32 v36, v43, v36, v42
	s_clause 0x1
	global_load_u8 v37, v[33:34], off
	global_load_u8 v38, v[35:36], off
	s_waitcnt vmcnt(1)
	v_cmp_ne_u16_e32 vcc_lo, 0, v37
	s_waitcnt vmcnt(0)
	v_cmp_ne_u16_e64 s2, 0, v38
	s_delay_alu instid0(VALU_DEP_1) | instskip(SKIP_2) | instid1(SALU_CYCLE_1)
	s_xor_b32 s3, vcc_lo, s2
	s_mov_b32 s2, -1
	s_xor_b32 s3, s3, -1
	s_and_saveexec_b32 s25, s3
	s_cbranch_execz .LBB1089_305
; %bb.299:
	s_mov_b64 s[4:5], 1
                                        ; implicit-def: $sgpr30
	s_set_inst_prefetch_distance 0x1
	s_branch .LBB1089_302
	.p2align	6
.LBB1089_300:                           ;   in Loop: Header=BB1089_302 Depth=1
	v_add_co_u32 v37, vcc_lo, v33, s4
	v_add_co_ci_u32_e32 v38, vcc_lo, s5, v34, vcc_lo
	v_add_co_u32 v41, vcc_lo, v35, s4
	v_add_co_ci_u32_e32 v42, vcc_lo, s5, v36, vcc_lo
	s_clause 0x1
	global_load_u8 v37, v[37:38], off
	global_load_u8 v38, v[41:42], off
	s_waitcnt vmcnt(1)
	v_cmp_ne_u16_e32 vcc_lo, 0, v37
	s_waitcnt vmcnt(0)
	v_cmp_ne_u16_e64 s2, 0, v38
	s_delay_alu instid0(VALU_DEP_1) | instskip(SKIP_4) | instid1(SALU_CYCLE_1)
	s_xor_b32 s31, vcc_lo, s2
	s_add_u32 s2, s4, 1
	s_addc_u32 s3, s5, 0
	s_and_not1_b32 s30, s30, exec_lo
	s_and_b32 s31, s31, exec_lo
	s_or_b32 s30, s30, s31
.LBB1089_301:                           ;   in Loop: Header=BB1089_302 Depth=1
	v_dual_mov_b32 v38, s5 :: v_dual_mov_b32 v37, s4
	s_and_b32 s31, exec_lo, s30
	s_mov_b64 s[4:5], s[2:3]
	s_or_b32 s29, s31, s29
	s_delay_alu instid0(SALU_CYCLE_1)
	s_and_not1_b32 exec_lo, exec_lo, s29
	s_cbranch_execz .LBB1089_304
.LBB1089_302:                           ; =>This Inner Loop Header: Depth=1
	s_or_b32 s30, s30, exec_lo
	s_cmp_eq_u64 s[22:23], s[4:5]
	s_cbranch_scc0 .LBB1089_300
; %bb.303:                              ;   in Loop: Header=BB1089_302 Depth=1
	s_mov_b64 s[4:5], s[22:23]
                                        ; implicit-def: $sgpr2_sgpr3
	s_branch .LBB1089_301
.LBB1089_304:
	s_set_inst_prefetch_distance 0x2
	s_or_b32 exec_lo, exec_lo, s29
	v_cmp_gt_i64_e32 vcc_lo, s[22:23], v[37:38]
	s_or_not1_b32 s2, vcc_lo, exec_lo
.LBB1089_305:
	s_or_b32 exec_lo, exec_lo, s25
	s_delay_alu instid0(SALU_CYCLE_1)
	s_and_b32 s25, s2, exec_lo
.LBB1089_306:
	s_or_b32 exec_lo, exec_lo, s27
	v_or_b32_e32 v33, 3, v55
	v_mul_lo_u32 v41, v25, s23
	v_mul_lo_u32 v42, v26, s22
	s_mov_b32 s3, -1
	s_mov_b32 s29, 0
	v_cmp_gt_u32_e32 vcc_lo, s28, v33
	s_mov_b32 s27, 0
	s_and_b32 s2, vcc_lo, s7
	s_delay_alu instid0(SALU_CYCLE_1)
	s_and_saveexec_b32 s30, s2
	s_cbranch_execz .LBB1089_315
; %bb.307:
	v_mad_u64_u32 v[33:34], null, v25, s22, s[8:9]
	s_waitcnt lgkmcnt(0)
	v_mad_u64_u32 v[35:36], null, v27, s22, s[8:9]
	s_mov_b32 s31, 0
	s_delay_alu instid0(VALU_DEP_2) | instskip(NEXT) | instid1(VALU_DEP_2)
	v_add3_u32 v34, v42, v34, v41
	v_add3_u32 v36, v40, v36, v39
	s_clause 0x1
	global_load_u8 v37, v[33:34], off
	global_load_u8 v38, v[35:36], off
	s_waitcnt vmcnt(1)
	v_cmp_ne_u16_e32 vcc_lo, 0, v37
	s_waitcnt vmcnt(0)
	v_cmp_ne_u16_e64 s2, 0, v38
	s_delay_alu instid0(VALU_DEP_1) | instskip(NEXT) | instid1(SALU_CYCLE_1)
	s_xor_b32 s2, vcc_lo, s2
	s_xor_b32 s2, s2, -1
	s_delay_alu instid0(SALU_CYCLE_1)
	s_and_saveexec_b32 s27, s2
	s_cbranch_execz .LBB1089_314
; %bb.308:
	s_mov_b64 s[4:5], 1
                                        ; implicit-def: $sgpr33
	s_set_inst_prefetch_distance 0x1
	s_branch .LBB1089_311
	.p2align	6
.LBB1089_309:                           ;   in Loop: Header=BB1089_311 Depth=1
	v_add_co_u32 v37, vcc_lo, v33, s4
	v_add_co_ci_u32_e32 v38, vcc_lo, s5, v34, vcc_lo
	v_add_co_u32 v39, vcc_lo, v35, s4
	v_add_co_ci_u32_e32 v40, vcc_lo, s5, v36, vcc_lo
	s_clause 0x1
	global_load_u8 v37, v[37:38], off
	global_load_u8 v38, v[39:40], off
	s_waitcnt vmcnt(1)
	v_cmp_ne_u16_e32 vcc_lo, 0, v37
	s_waitcnt vmcnt(0)
	v_cmp_ne_u16_e64 s2, 0, v38
	s_delay_alu instid0(VALU_DEP_1) | instskip(SKIP_4) | instid1(SALU_CYCLE_1)
	s_xor_b32 s34, vcc_lo, s2
	s_add_u32 s2, s4, 1
	s_addc_u32 s3, s5, 0
	s_and_not1_b32 s33, s33, exec_lo
	s_and_b32 s34, s34, exec_lo
	s_or_b32 s33, s33, s34
.LBB1089_310:                           ;   in Loop: Header=BB1089_311 Depth=1
	v_dual_mov_b32 v38, s5 :: v_dual_mov_b32 v37, s4
	s_and_b32 s34, exec_lo, s33
	s_mov_b64 s[4:5], s[2:3]
	s_or_b32 s31, s34, s31
	s_delay_alu instid0(SALU_CYCLE_1)
	s_and_not1_b32 exec_lo, exec_lo, s31
	s_cbranch_execz .LBB1089_313
.LBB1089_311:                           ; =>This Inner Loop Header: Depth=1
	s_or_b32 s33, s33, exec_lo
	s_cmp_eq_u64 s[22:23], s[4:5]
	s_cbranch_scc0 .LBB1089_309
; %bb.312:                              ;   in Loop: Header=BB1089_311 Depth=1
	s_mov_b64 s[4:5], s[22:23]
                                        ; implicit-def: $sgpr2_sgpr3
	s_branch .LBB1089_310
.LBB1089_313:
	s_set_inst_prefetch_distance 0x2
	s_or_b32 exec_lo, exec_lo, s31
	v_cmp_gt_i64_e32 vcc_lo, s[22:23], v[37:38]
	s_or_not1_b32 s3, vcc_lo, exec_lo
.LBB1089_314:
	s_or_b32 exec_lo, exec_lo, s27
	s_delay_alu instid0(SALU_CYCLE_1)
	s_and_b32 s27, s3, exec_lo
.LBB1089_315:
	s_or_b32 exec_lo, exec_lo, s30
	v_or_b32_e32 v33, 2, v55
	v_mul_lo_u32 v39, v31, s23
	v_mul_lo_u32 v40, v32, s22
	s_delay_alu instid0(VALU_DEP_3) | instskip(SKIP_1) | instid1(SALU_CYCLE_1)
	v_cmp_gt_u32_e32 vcc_lo, s28, v33
	s_and_b32 s2, vcc_lo, s7
	s_and_saveexec_b32 s30, s2
	s_cbranch_execz .LBB1089_324
; %bb.316:
	v_mad_u64_u32 v[33:34], null, v31, s22, s[8:9]
	s_waitcnt lgkmcnt(0)
	v_mad_u64_u32 v[35:36], null, v25, s22, s[8:9]
	s_mov_b32 s31, 0
	s_delay_alu instid0(VALU_DEP_2) | instskip(NEXT) | instid1(VALU_DEP_2)
	v_add3_u32 v34, v40, v34, v39
	v_add3_u32 v36, v42, v36, v41
	s_clause 0x1
	global_load_u8 v37, v[33:34], off
	global_load_u8 v38, v[35:36], off
	s_waitcnt vmcnt(1)
	v_cmp_ne_u16_e32 vcc_lo, 0, v37
	s_waitcnt vmcnt(0)
	v_cmp_ne_u16_e64 s2, 0, v38
	s_delay_alu instid0(VALU_DEP_1) | instskip(SKIP_2) | instid1(SALU_CYCLE_1)
	s_xor_b32 s3, vcc_lo, s2
	s_mov_b32 s2, -1
	s_xor_b32 s3, s3, -1
	s_and_saveexec_b32 s29, s3
	s_cbranch_execz .LBB1089_323
; %bb.317:
	s_mov_b64 s[4:5], 1
                                        ; implicit-def: $sgpr33
	s_set_inst_prefetch_distance 0x1
	s_branch .LBB1089_320
	.p2align	6
.LBB1089_318:                           ;   in Loop: Header=BB1089_320 Depth=1
	v_add_co_u32 v37, vcc_lo, v33, s4
	v_add_co_ci_u32_e32 v38, vcc_lo, s5, v34, vcc_lo
	v_add_co_u32 v41, vcc_lo, v35, s4
	v_add_co_ci_u32_e32 v42, vcc_lo, s5, v36, vcc_lo
	s_clause 0x1
	global_load_u8 v37, v[37:38], off
	global_load_u8 v38, v[41:42], off
	s_waitcnt vmcnt(1)
	v_cmp_ne_u16_e32 vcc_lo, 0, v37
	s_waitcnt vmcnt(0)
	v_cmp_ne_u16_e64 s2, 0, v38
	s_delay_alu instid0(VALU_DEP_1) | instskip(SKIP_4) | instid1(SALU_CYCLE_1)
	s_xor_b32 s34, vcc_lo, s2
	s_add_u32 s2, s4, 1
	s_addc_u32 s3, s5, 0
	s_and_not1_b32 s33, s33, exec_lo
	s_and_b32 s34, s34, exec_lo
	s_or_b32 s33, s33, s34
.LBB1089_319:                           ;   in Loop: Header=BB1089_320 Depth=1
	v_dual_mov_b32 v38, s5 :: v_dual_mov_b32 v37, s4
	s_and_b32 s34, exec_lo, s33
	s_mov_b64 s[4:5], s[2:3]
	s_or_b32 s31, s34, s31
	s_delay_alu instid0(SALU_CYCLE_1)
	s_and_not1_b32 exec_lo, exec_lo, s31
	s_cbranch_execz .LBB1089_322
.LBB1089_320:                           ; =>This Inner Loop Header: Depth=1
	s_or_b32 s33, s33, exec_lo
	s_cmp_eq_u64 s[22:23], s[4:5]
	s_cbranch_scc0 .LBB1089_318
; %bb.321:                              ;   in Loop: Header=BB1089_320 Depth=1
	s_mov_b64 s[4:5], s[22:23]
                                        ; implicit-def: $sgpr2_sgpr3
	s_branch .LBB1089_319
.LBB1089_322:
	s_set_inst_prefetch_distance 0x2
	s_or_b32 exec_lo, exec_lo, s31
	v_cmp_gt_i64_e32 vcc_lo, s[22:23], v[37:38]
	s_or_not1_b32 s2, vcc_lo, exec_lo
.LBB1089_323:
	s_or_b32 exec_lo, exec_lo, s29
	s_delay_alu instid0(SALU_CYCLE_1)
	s_and_b32 s29, s2, exec_lo
.LBB1089_324:
	s_or_b32 exec_lo, exec_lo, s30
	v_or_b32_e32 v33, 1, v55
	s_mov_b32 s3, -1
	s_mov_b32 s2, 0
	s_delay_alu instid0(VALU_DEP_1) | instskip(SKIP_2) | instid1(SALU_CYCLE_1)
	v_cmp_gt_u32_e32 vcc_lo, s28, v33
	s_waitcnt lgkmcnt(0)
	s_and_b32 s4, vcc_lo, s7
	s_and_saveexec_b32 s30, s4
	s_cbranch_execz .LBB1089_333
; %bb.325:
	v_mad_u64_u32 v[33:34], null, v29, s22, s[8:9]
	v_mul_lo_u32 v37, v29, s23
	v_mul_lo_u32 v38, v30, s22
	v_mad_u64_u32 v[35:36], null, v31, s22, s[8:9]
	s_mov_b32 s33, 0
	s_delay_alu instid0(VALU_DEP_2) | instskip(NEXT) | instid1(VALU_DEP_2)
	v_add3_u32 v34, v38, v34, v37
	v_add3_u32 v36, v40, v36, v39
	s_clause 0x1
	global_load_u8 v37, v[33:34], off
	global_load_u8 v38, v[35:36], off
	s_waitcnt vmcnt(1)
	v_cmp_ne_u16_e32 vcc_lo, 0, v37
	s_waitcnt vmcnt(0)
	v_cmp_ne_u16_e64 s2, 0, v38
	s_delay_alu instid0(VALU_DEP_1) | instskip(NEXT) | instid1(SALU_CYCLE_1)
	s_xor_b32 s2, vcc_lo, s2
	s_xor_b32 s2, s2, -1
	s_delay_alu instid0(SALU_CYCLE_1)
	s_and_saveexec_b32 s31, s2
	s_cbranch_execz .LBB1089_332
; %bb.326:
	s_mov_b64 s[4:5], 1
                                        ; implicit-def: $sgpr34
	s_set_inst_prefetch_distance 0x1
	s_branch .LBB1089_329
	.p2align	6
.LBB1089_327:                           ;   in Loop: Header=BB1089_329 Depth=1
	v_add_co_u32 v37, vcc_lo, v33, s4
	v_add_co_ci_u32_e32 v38, vcc_lo, s5, v34, vcc_lo
	v_add_co_u32 v39, vcc_lo, v35, s4
	v_add_co_ci_u32_e32 v40, vcc_lo, s5, v36, vcc_lo
	s_clause 0x1
	global_load_u8 v37, v[37:38], off
	global_load_u8 v38, v[39:40], off
	s_waitcnt vmcnt(1)
	v_cmp_ne_u16_e32 vcc_lo, 0, v37
	s_waitcnt vmcnt(0)
	v_cmp_ne_u16_e64 s2, 0, v38
	s_delay_alu instid0(VALU_DEP_1) | instskip(SKIP_4) | instid1(SALU_CYCLE_1)
	s_xor_b32 s35, vcc_lo, s2
	s_add_u32 s2, s4, 1
	s_addc_u32 s3, s5, 0
	s_and_not1_b32 s34, s34, exec_lo
	s_and_b32 s35, s35, exec_lo
	s_or_b32 s34, s34, s35
.LBB1089_328:                           ;   in Loop: Header=BB1089_329 Depth=1
	v_dual_mov_b32 v38, s5 :: v_dual_mov_b32 v37, s4
	s_and_b32 s35, exec_lo, s34
	s_mov_b64 s[4:5], s[2:3]
	s_or_b32 s33, s35, s33
	s_delay_alu instid0(SALU_CYCLE_1)
	s_and_not1_b32 exec_lo, exec_lo, s33
	s_cbranch_execz .LBB1089_331
.LBB1089_329:                           ; =>This Inner Loop Header: Depth=1
	s_or_b32 s34, s34, exec_lo
	s_cmp_eq_u64 s[22:23], s[4:5]
	s_cbranch_scc0 .LBB1089_327
; %bb.330:                              ;   in Loop: Header=BB1089_329 Depth=1
	s_mov_b64 s[4:5], s[22:23]
                                        ; implicit-def: $sgpr2_sgpr3
	s_branch .LBB1089_328
.LBB1089_331:
	s_set_inst_prefetch_distance 0x2
	s_or_b32 exec_lo, exec_lo, s33
	v_cmp_gt_i64_e32 vcc_lo, s[22:23], v[37:38]
	s_or_not1_b32 s3, vcc_lo, exec_lo
.LBB1089_332:
	s_or_b32 exec_lo, exec_lo, s31
	s_delay_alu instid0(SALU_CYCLE_1)
	s_and_b32 s2, s3, exec_lo
.LBB1089_333:
	s_or_b32 exec_lo, exec_lo, s30
	v_cndmask_b32_e64 v34, 0, 1, s27
	v_cndmask_b32_e64 v35, 0, 1, s26
	;; [unrolled: 1-line block ×7, first 2 shown]
	v_lshlrev_b16 v35, 8, v35
	v_lshlrev_b16 v36, 8, v36
	v_lshlrev_b16 v37, 8, v37
	v_lshlrev_b16 v34, 8, v34
	s_mov_b32 s19, exec_lo
	v_or_b32_e32 v35, v38, v35
	v_or_b32_e32 v36, v39, v36
	v_or_b32_e32 v37, 1, v37
	v_or_b32_e32 v33, v33, v34
	s_delay_alu instid0(VALU_DEP_4) | instskip(NEXT) | instid1(VALU_DEP_4)
	v_and_b32_e32 v34, 0xffff, v35
	v_lshlrev_b32_e32 v35, 16, v36
	s_delay_alu instid0(VALU_DEP_4) | instskip(NEXT) | instid1(VALU_DEP_4)
	v_and_b32_e32 v36, 0xffff, v37
	v_lshlrev_b32_e32 v33, 16, v33
	s_barrier
	buffer_gl0_inv
	v_or_b32_e32 v34, v34, v35
                                        ; implicit-def: $sgpr2
	v_or_b32_e32 v33, v36, v33
	v_cmpx_ne_u32_e32 0, v0
	s_cbranch_execz .LBB1089_344
; %bb.334:
	v_cmp_gt_u32_e32 vcc_lo, s28, v55
	s_mov_b32 s3, -1
	s_mov_b32 s2, 0
	s_and_b32 s4, vcc_lo, s7
	s_delay_alu instid0(SALU_CYCLE_1)
	s_and_saveexec_b32 s7, s4
	s_cbranch_execz .LBB1089_343
; %bb.335:
	v_add_nc_u32_e32 v35, -8, v55
	v_mul_lo_u32 v41, v29, s23
	ds_load_b64 v[39:40], v35
	v_mad_u64_u32 v[35:36], null, v29, s22, s[8:9]
	s_waitcnt lgkmcnt(0)
	v_mul_lo_u32 v42, v39, s23
	v_mul_lo_u32 v40, v40, s22
	v_mad_u64_u32 v[37:38], null, v39, s22, s[8:9]
	v_mul_lo_u32 v39, v30, s22
	s_mov_b32 s9, 0
	s_delay_alu instid0(VALU_DEP_2) | instskip(NEXT) | instid1(VALU_DEP_2)
	v_add3_u32 v38, v40, v38, v42
	v_add3_u32 v36, v39, v36, v41
	s_clause 0x1
	global_load_u8 v39, v[37:38], off
	global_load_u8 v40, v[35:36], off
	s_waitcnt vmcnt(1)
	v_cmp_ne_u16_e32 vcc_lo, 0, v39
	s_waitcnt vmcnt(0)
	v_cmp_ne_u16_e64 s2, 0, v40
	s_delay_alu instid0(VALU_DEP_1) | instskip(NEXT) | instid1(SALU_CYCLE_1)
	s_xor_b32 s2, vcc_lo, s2
	s_xor_b32 s2, s2, -1
	s_delay_alu instid0(SALU_CYCLE_1)
	s_and_saveexec_b32 s8, s2
	s_cbranch_execz .LBB1089_342
; %bb.336:
	s_mov_b64 s[4:5], 1
                                        ; implicit-def: $sgpr24
	s_set_inst_prefetch_distance 0x1
	s_branch .LBB1089_339
	.p2align	6
.LBB1089_337:                           ;   in Loop: Header=BB1089_339 Depth=1
	v_add_co_u32 v39, vcc_lo, v37, s4
	v_add_co_ci_u32_e32 v40, vcc_lo, s5, v38, vcc_lo
	v_add_co_u32 v41, vcc_lo, v35, s4
	v_add_co_ci_u32_e32 v42, vcc_lo, s5, v36, vcc_lo
	s_clause 0x1
	global_load_u8 v39, v[39:40], off
	global_load_u8 v40, v[41:42], off
	s_waitcnt vmcnt(1)
	v_cmp_ne_u16_e32 vcc_lo, 0, v39
	s_waitcnt vmcnt(0)
	v_cmp_ne_u16_e64 s2, 0, v40
	s_delay_alu instid0(VALU_DEP_1) | instskip(SKIP_4) | instid1(SALU_CYCLE_1)
	s_xor_b32 s25, vcc_lo, s2
	s_add_u32 s2, s4, 1
	s_addc_u32 s3, s5, 0
	s_and_not1_b32 s24, s24, exec_lo
	s_and_b32 s25, s25, exec_lo
	s_or_b32 s24, s24, s25
.LBB1089_338:                           ;   in Loop: Header=BB1089_339 Depth=1
	v_dual_mov_b32 v40, s5 :: v_dual_mov_b32 v39, s4
	s_and_b32 s25, exec_lo, s24
	s_mov_b64 s[4:5], s[2:3]
	s_or_b32 s9, s25, s9
	s_delay_alu instid0(SALU_CYCLE_1)
	s_and_not1_b32 exec_lo, exec_lo, s9
	s_cbranch_execz .LBB1089_341
.LBB1089_339:                           ; =>This Inner Loop Header: Depth=1
	s_or_b32 s24, s24, exec_lo
	s_cmp_eq_u64 s[22:23], s[4:5]
	s_cbranch_scc0 .LBB1089_337
; %bb.340:                              ;   in Loop: Header=BB1089_339 Depth=1
	s_mov_b64 s[4:5], s[22:23]
                                        ; implicit-def: $sgpr2_sgpr3
	s_branch .LBB1089_338
.LBB1089_341:
	s_set_inst_prefetch_distance 0x2
	s_or_b32 exec_lo, exec_lo, s9
	v_cmp_gt_i64_e32 vcc_lo, s[22:23], v[39:40]
	s_or_not1_b32 s3, vcc_lo, exec_lo
.LBB1089_342:
	s_or_b32 exec_lo, exec_lo, s8
	s_delay_alu instid0(SALU_CYCLE_1)
	s_and_b32 s2, s3, exec_lo
.LBB1089_343:
	s_or_b32 exec_lo, exec_lo, s7
	s_delay_alu instid0(SALU_CYCLE_1)
	s_and_b32 s2, s2, exec_lo
	s_or_b32 s6, s6, exec_lo
.LBB1089_344:
	s_or_b32 exec_lo, exec_lo, s19
.LBB1089_345:
	s_and_saveexec_b32 s3, s6
	s_cbranch_execz .LBB1089_347
; %bb.346:
	s_waitcnt lgkmcnt(0)
	v_and_b32_e32 v35, 0xffffff00, v33
	v_cndmask_b32_e64 v36, 0, 1, s2
	s_delay_alu instid0(VALU_DEP_1) | instskip(NEXT) | instid1(VALU_DEP_1)
	v_or_b32_e32 v35, v36, v35
	v_and_b32_e32 v35, 0xffff, v35
	s_delay_alu instid0(VALU_DEP_1)
	v_and_or_b32 v33, 0xffff0000, v33, v35
.LBB1089_347:
	s_or_b32 exec_lo, exec_lo, s3
	s_delay_alu instid0(SALU_CYCLE_1)
	s_and_not1_b32 vcc_lo, exec_lo, s21
	s_cbranch_vccnz .LBB1089_349
; %bb.348:
	v_cmp_gt_u32_e32 vcc_lo, s28, v55
	s_waitcnt lgkmcnt(0)
	v_or_b32_e32 v36, 1, v55
	v_and_b32_e32 v37, 0xffffff00, v34
	v_or_b32_e32 v38, 2, v55
	v_cndmask_b32_e32 v35, 0, v33, vcc_lo
	s_delay_alu instid0(VALU_DEP_4) | instskip(SKIP_1) | instid1(VALU_DEP_4)
	v_cmp_gt_u32_e32 vcc_lo, s28, v36
	v_or_b32_e32 v36, 4, v55
	v_cmp_gt_u32_e64 s2, s28, v38
	v_or_b32_e32 v38, 3, v55
	v_and_b32_e32 v35, 0xff, v35
	s_delay_alu instid0(VALU_DEP_2) | instskip(NEXT) | instid1(VALU_DEP_2)
	v_cmp_gt_u32_e64 s3, s28, v38
	v_cndmask_b32_e32 v35, v35, v33, vcc_lo
	v_cmp_gt_u32_e32 vcc_lo, s28, v36
	v_cndmask_b32_e32 v36, v37, v34, vcc_lo
	v_or_b32_e32 v37, 5, v55
	s_delay_alu instid0(VALU_DEP_2) | instskip(SKIP_1) | instid1(VALU_DEP_1)
	v_and_b32_e32 v36, 0xffff00ff, v36
	v_and_b32_e32 v35, 0xffff, v35
	v_cndmask_b32_e64 v35, v35, v33, s2
	s_delay_alu instid0(VALU_DEP_4) | instskip(SKIP_1) | instid1(VALU_DEP_3)
	v_cmp_gt_u32_e64 s2, s28, v37
	v_or_b32_e32 v37, 6, v55
	v_and_b32_e32 v35, 0xffffff, v35
	s_delay_alu instid0(VALU_DEP_3) | instskip(NEXT) | instid1(VALU_DEP_2)
	v_cndmask_b32_e64 v36, v36, v34, s2
	v_cndmask_b32_e64 v35, v35, v33, s3
	s_delay_alu instid0(VALU_DEP_1) | instskip(SKIP_2) | instid1(VALU_DEP_3)
	v_dual_cndmask_b32 v35, v35, v33 :: v_dual_and_b32 v36, 0xff00ffff, v36
	v_cmp_gt_u32_e32 vcc_lo, s28, v37
	v_or_b32_e32 v37, 7, v55
	v_cndmask_b32_e64 v35, v35, v33, s2
	s_delay_alu instid0(VALU_DEP_1) | instskip(NEXT) | instid1(VALU_DEP_1)
	v_dual_cndmask_b32 v36, v36, v34 :: v_dual_cndmask_b32 v35, v35, v33
	v_and_b32_e32 v36, 0xffffff, v36
	s_delay_alu instid0(VALU_DEP_4) | instskip(NEXT) | instid1(VALU_DEP_2)
	v_cmp_gt_u32_e32 vcc_lo, s28, v37
	v_dual_cndmask_b32 v34, v36, v34 :: v_dual_cndmask_b32 v33, v35, v33
.LBB1089_349:
	s_delay_alu instid0(VALU_DEP_1) | instskip(SKIP_1) | instid1(VALU_DEP_2)
	v_and_b32_e32 v42, 0xff, v33
	s_waitcnt lgkmcnt(0)
	v_alignbit_b32 v35, v34, v33, 24
	v_bfe_u32 v44, v33, 8, 8
	v_bfe_u32 v46, v33, 16, 8
	v_and_b32_e32 v50, 0xff, v34
	v_bfe_u32 v52, v34, 8, 8
	v_and_b32_e32 v48, 0xff, v35
	v_add_nc_u32_e32 v35, v44, v42
	v_mbcnt_lo_u32_b32 v57, -1, 0
	v_bfe_u32 v54, v34, 16, 8
	v_lshrrev_b32_e32 v56, 24, v34
	v_lshrrev_b32_e32 v58, 5, v0
	v_add3_u32 v35, v35, v46, v48
	v_and_b32_e32 v36, 15, v57
	v_and_b32_e32 v37, 16, v57
	s_and_b32 vcc_lo, exec_lo, s18
	s_mov_b32 s9, -1
	v_add3_u32 v35, v35, v50, v52
	v_cmp_eq_u32_e64 s4, 0, v36
	v_cmp_lt_u32_e64 s2, 1, v36
	v_cmp_lt_u32_e64 s5, 3, v36
	;; [unrolled: 1-line block ×3, first 2 shown]
	v_add3_u32 v59, v35, v54, v56
	v_or_b32_e32 v35, 31, v0
	v_cmp_eq_u32_e64 s7, 0, v37
	s_barrier
	buffer_gl0_inv
	v_cmp_eq_u32_e64 s6, v35, v0
	s_cbranch_vccz .LBB1089_375
; %bb.350:
	v_mov_b32_dpp v35, v59 row_shr:1 row_mask:0xf bank_mask:0xf
	s_delay_alu instid0(VALU_DEP_1) | instskip(NEXT) | instid1(VALU_DEP_1)
	v_cndmask_b32_e64 v35, v35, 0, s4
	v_add_nc_u32_e32 v35, v35, v59
	s_delay_alu instid0(VALU_DEP_1) | instskip(NEXT) | instid1(VALU_DEP_1)
	v_mov_b32_dpp v36, v35 row_shr:2 row_mask:0xf bank_mask:0xf
	v_cndmask_b32_e64 v36, 0, v36, s2
	s_delay_alu instid0(VALU_DEP_1) | instskip(NEXT) | instid1(VALU_DEP_1)
	v_add_nc_u32_e32 v35, v35, v36
	v_mov_b32_dpp v36, v35 row_shr:4 row_mask:0xf bank_mask:0xf
	s_delay_alu instid0(VALU_DEP_1) | instskip(NEXT) | instid1(VALU_DEP_1)
	v_cndmask_b32_e64 v36, 0, v36, s5
	v_add_nc_u32_e32 v35, v35, v36
	s_delay_alu instid0(VALU_DEP_1) | instskip(NEXT) | instid1(VALU_DEP_1)
	v_mov_b32_dpp v36, v35 row_shr:8 row_mask:0xf bank_mask:0xf
	v_cndmask_b32_e64 v36, 0, v36, s3
	s_delay_alu instid0(VALU_DEP_1) | instskip(SKIP_3) | instid1(VALU_DEP_1)
	v_add_nc_u32_e32 v35, v35, v36
	ds_swizzle_b32 v36, v35 offset:swizzle(BROADCAST,32,15)
	s_waitcnt lgkmcnt(0)
	v_cndmask_b32_e64 v36, v36, 0, s7
	v_add_nc_u32_e32 v35, v35, v36
	s_and_saveexec_b32 s8, s6
	s_cbranch_execz .LBB1089_352
; %bb.351:
	v_lshlrev_b32_e32 v36, 2, v58
	ds_store_b32 v36, v35
.LBB1089_352:
	s_or_b32 exec_lo, exec_lo, s8
	s_delay_alu instid0(SALU_CYCLE_1)
	s_mov_b32 s8, exec_lo
	s_waitcnt lgkmcnt(0)
	s_barrier
	buffer_gl0_inv
	v_cmpx_gt_u32_e32 16, v0
	s_cbranch_execz .LBB1089_354
; %bb.353:
	v_lshlrev_b32_e32 v36, 2, v0
	ds_load_b32 v37, v36
	s_waitcnt lgkmcnt(0)
	v_mov_b32_dpp v38, v37 row_shr:1 row_mask:0xf bank_mask:0xf
	s_delay_alu instid0(VALU_DEP_1) | instskip(NEXT) | instid1(VALU_DEP_1)
	v_cndmask_b32_e64 v38, v38, 0, s4
	v_add_nc_u32_e32 v37, v38, v37
	s_delay_alu instid0(VALU_DEP_1) | instskip(NEXT) | instid1(VALU_DEP_1)
	v_mov_b32_dpp v38, v37 row_shr:2 row_mask:0xf bank_mask:0xf
	v_cndmask_b32_e64 v38, 0, v38, s2
	s_delay_alu instid0(VALU_DEP_1) | instskip(NEXT) | instid1(VALU_DEP_1)
	v_add_nc_u32_e32 v37, v37, v38
	v_mov_b32_dpp v38, v37 row_shr:4 row_mask:0xf bank_mask:0xf
	s_delay_alu instid0(VALU_DEP_1) | instskip(NEXT) | instid1(VALU_DEP_1)
	v_cndmask_b32_e64 v38, 0, v38, s5
	v_add_nc_u32_e32 v37, v37, v38
	s_delay_alu instid0(VALU_DEP_1) | instskip(NEXT) | instid1(VALU_DEP_1)
	v_mov_b32_dpp v38, v37 row_shr:8 row_mask:0xf bank_mask:0xf
	v_cndmask_b32_e64 v38, 0, v38, s3
	s_delay_alu instid0(VALU_DEP_1)
	v_add_nc_u32_e32 v37, v37, v38
	ds_store_b32 v36, v37
.LBB1089_354:
	s_or_b32 exec_lo, exec_lo, s8
	v_cmp_gt_u32_e32 vcc_lo, 32, v0
	s_mov_b32 s9, exec_lo
	s_waitcnt lgkmcnt(0)
	s_barrier
	buffer_gl0_inv
                                        ; implicit-def: $vgpr43
	v_cmpx_lt_u32_e32 31, v0
	s_cbranch_execz .LBB1089_356
; %bb.355:
	v_lshl_add_u32 v36, v58, 2, -4
	ds_load_b32 v43, v36
	s_waitcnt lgkmcnt(0)
	v_add_nc_u32_e32 v35, v43, v35
.LBB1089_356:
	s_or_b32 exec_lo, exec_lo, s9
	v_add_nc_u32_e32 v36, -1, v57
	s_delay_alu instid0(VALU_DEP_1) | instskip(NEXT) | instid1(VALU_DEP_1)
	v_cmp_gt_i32_e64 s8, 0, v36
	v_cndmask_b32_e64 v36, v36, v57, s8
	v_cmp_eq_u32_e64 s8, 0, v57
	s_delay_alu instid0(VALU_DEP_2)
	v_lshlrev_b32_e32 v36, 2, v36
	ds_bpermute_b32 v45, v36, v35
	s_and_saveexec_b32 s9, vcc_lo
	s_cbranch_execz .LBB1089_374
; %bb.357:
	v_mov_b32_e32 v38, 0
	ds_load_b32 v35, v38 offset:60
	s_and_saveexec_b32 s18, s8
	s_cbranch_execz .LBB1089_359
; %bb.358:
	s_add_i32 s22, s15, 32
	s_mov_b32 s23, 0
	v_mov_b32_e32 v36, 1
	s_lshl_b64 s[22:23], s[22:23], 3
	s_delay_alu instid0(SALU_CYCLE_1)
	s_add_u32 s22, s10, s22
	s_addc_u32 s23, s11, s23
	s_waitcnt lgkmcnt(0)
	global_store_b64 v38, v[35:36], s[22:23]
.LBB1089_359:
	s_or_b32 exec_lo, exec_lo, s18
	v_xad_u32 v36, v57, -1, s15
	s_mov_b32 s19, 0
	s_mov_b32 s18, exec_lo
	s_delay_alu instid0(VALU_DEP_1) | instskip(NEXT) | instid1(VALU_DEP_1)
	v_add_nc_u32_e32 v37, 32, v36
	v_lshlrev_b64 v[37:38], 3, v[37:38]
	s_delay_alu instid0(VALU_DEP_1) | instskip(NEXT) | instid1(VALU_DEP_2)
	v_add_co_u32 v40, vcc_lo, s10, v37
	v_add_co_ci_u32_e32 v41, vcc_lo, s11, v38, vcc_lo
	global_load_b64 v[38:39], v[40:41], off glc
	s_waitcnt vmcnt(0)
	v_and_b32_e32 v37, 0xff, v39
	s_delay_alu instid0(VALU_DEP_1)
	v_cmpx_eq_u16_e32 0, v37
	s_cbranch_execz .LBB1089_362
.LBB1089_360:                           ; =>This Inner Loop Header: Depth=1
	global_load_b64 v[38:39], v[40:41], off glc
	s_waitcnt vmcnt(0)
	v_and_b32_e32 v37, 0xff, v39
	s_delay_alu instid0(VALU_DEP_1) | instskip(SKIP_1) | instid1(SALU_CYCLE_1)
	v_cmp_ne_u16_e32 vcc_lo, 0, v37
	s_or_b32 s19, vcc_lo, s19
	s_and_not1_b32 exec_lo, exec_lo, s19
	s_cbranch_execnz .LBB1089_360
; %bb.361:
	s_or_b32 exec_lo, exec_lo, s19
.LBB1089_362:
	s_delay_alu instid0(SALU_CYCLE_1)
	s_or_b32 exec_lo, exec_lo, s18
	v_cmp_ne_u32_e32 vcc_lo, 31, v57
	v_lshlrev_b32_e64 v49, v57, -1
	v_add_nc_u32_e32 v53, 2, v57
	v_add_nc_u32_e32 v62, 4, v57
	;; [unrolled: 1-line block ×3, first 2 shown]
	v_add_co_ci_u32_e32 v37, vcc_lo, 0, v57, vcc_lo
	v_add_nc_u32_e32 v66, 16, v57
	s_delay_alu instid0(VALU_DEP_2)
	v_lshlrev_b32_e32 v47, 2, v37
	v_and_b32_e32 v37, 0xff, v39
	ds_bpermute_b32 v40, v47, v38
	v_cmp_eq_u16_e32 vcc_lo, 2, v37
	v_and_or_b32 v37, vcc_lo, v49, 0x80000000
	v_cmp_gt_u32_e32 vcc_lo, 30, v57
	s_delay_alu instid0(VALU_DEP_2) | instskip(SKIP_1) | instid1(VALU_DEP_2)
	v_ctz_i32_b32_e32 v37, v37
	v_cndmask_b32_e64 v41, 0, 1, vcc_lo
	v_cmp_lt_u32_e32 vcc_lo, v57, v37
	s_waitcnt lgkmcnt(0)
	s_delay_alu instid0(VALU_DEP_2) | instskip(NEXT) | instid1(VALU_DEP_1)
	v_dual_cndmask_b32 v40, 0, v40 :: v_dual_lshlrev_b32 v41, 1, v41
	v_add_lshl_u32 v51, v41, v57, 2
	v_cmp_gt_u32_e32 vcc_lo, 28, v57
	s_delay_alu instid0(VALU_DEP_3) | instskip(SKIP_4) | instid1(VALU_DEP_1)
	v_add_nc_u32_e32 v38, v40, v38
	v_cndmask_b32_e64 v41, 0, 1, vcc_lo
	v_cmp_le_u32_e32 vcc_lo, v53, v37
	ds_bpermute_b32 v40, v51, v38
	v_lshlrev_b32_e32 v41, 2, v41
	v_add_lshl_u32 v60, v41, v57, 2
	s_waitcnt lgkmcnt(0)
	v_cndmask_b32_e32 v40, 0, v40, vcc_lo
	v_cmp_gt_u32_e32 vcc_lo, 24, v57
	s_delay_alu instid0(VALU_DEP_2) | instskip(SKIP_4) | instid1(VALU_DEP_1)
	v_add_nc_u32_e32 v38, v38, v40
	v_cndmask_b32_e64 v41, 0, 1, vcc_lo
	v_cmp_le_u32_e32 vcc_lo, v62, v37
	ds_bpermute_b32 v40, v60, v38
	v_lshlrev_b32_e32 v41, 3, v41
	v_add_lshl_u32 v63, v41, v57, 2
	s_waitcnt lgkmcnt(0)
	v_cndmask_b32_e32 v40, 0, v40, vcc_lo
	v_cmp_gt_u32_e32 vcc_lo, 16, v57
	s_delay_alu instid0(VALU_DEP_2) | instskip(SKIP_4) | instid1(VALU_DEP_1)
	v_add_nc_u32_e32 v38, v38, v40
	v_cndmask_b32_e64 v41, 0, 1, vcc_lo
	v_cmp_le_u32_e32 vcc_lo, v64, v37
	ds_bpermute_b32 v40, v63, v38
	v_lshlrev_b32_e32 v41, 4, v41
	v_add_lshl_u32 v65, v41, v57, 2
	s_waitcnt lgkmcnt(0)
	v_cndmask_b32_e32 v40, 0, v40, vcc_lo
	v_cmp_le_u32_e32 vcc_lo, v66, v37
	s_delay_alu instid0(VALU_DEP_2) | instskip(SKIP_3) | instid1(VALU_DEP_1)
	v_add_nc_u32_e32 v38, v38, v40
	ds_bpermute_b32 v40, v65, v38
	s_waitcnt lgkmcnt(0)
	v_cndmask_b32_e32 v37, 0, v40, vcc_lo
	v_dual_mov_b32 v37, 0 :: v_dual_add_nc_u32 v38, v38, v37
	s_branch .LBB1089_364
.LBB1089_363:                           ;   in Loop: Header=BB1089_364 Depth=1
	s_or_b32 exec_lo, exec_lo, s18
	ds_bpermute_b32 v41, v47, v38
	v_and_b32_e32 v40, 0xff, v39
	v_subrev_nc_u32_e32 v36, 32, v36
	s_delay_alu instid0(VALU_DEP_2) | instskip(SKIP_1) | instid1(VALU_DEP_1)
	v_cmp_eq_u16_e32 vcc_lo, 2, v40
	v_and_or_b32 v40, vcc_lo, v49, 0x80000000
	v_ctz_i32_b32_e32 v40, v40
	s_delay_alu instid0(VALU_DEP_1) | instskip(SKIP_3) | instid1(VALU_DEP_2)
	v_cmp_lt_u32_e32 vcc_lo, v57, v40
	s_waitcnt lgkmcnt(0)
	v_cndmask_b32_e32 v41, 0, v41, vcc_lo
	v_cmp_le_u32_e32 vcc_lo, v53, v40
	v_add_nc_u32_e32 v38, v41, v38
	ds_bpermute_b32 v41, v51, v38
	s_waitcnt lgkmcnt(0)
	v_cndmask_b32_e32 v41, 0, v41, vcc_lo
	v_cmp_le_u32_e32 vcc_lo, v62, v40
	s_delay_alu instid0(VALU_DEP_2) | instskip(SKIP_4) | instid1(VALU_DEP_2)
	v_add_nc_u32_e32 v38, v38, v41
	ds_bpermute_b32 v41, v60, v38
	s_waitcnt lgkmcnt(0)
	v_cndmask_b32_e32 v41, 0, v41, vcc_lo
	v_cmp_le_u32_e32 vcc_lo, v64, v40
	v_add_nc_u32_e32 v38, v38, v41
	ds_bpermute_b32 v41, v63, v38
	s_waitcnt lgkmcnt(0)
	v_cndmask_b32_e32 v41, 0, v41, vcc_lo
	v_cmp_le_u32_e32 vcc_lo, v66, v40
	s_delay_alu instid0(VALU_DEP_2) | instskip(SKIP_3) | instid1(VALU_DEP_1)
	v_add_nc_u32_e32 v38, v38, v41
	ds_bpermute_b32 v41, v65, v38
	s_waitcnt lgkmcnt(0)
	v_cndmask_b32_e32 v40, 0, v41, vcc_lo
	v_add3_u32 v38, v40, v61, v38
.LBB1089_364:                           ; =>This Loop Header: Depth=1
                                        ;     Child Loop BB1089_367 Depth 2
	v_and_b32_e32 v39, 0xff, v39
	s_delay_alu instid0(VALU_DEP_2) | instskip(NEXT) | instid1(VALU_DEP_2)
	v_mov_b32_e32 v61, v38
	v_cmp_ne_u16_e32 vcc_lo, 2, v39
	v_cndmask_b32_e64 v39, 0, 1, vcc_lo
	;;#ASMSTART
	;;#ASMEND
	s_delay_alu instid0(VALU_DEP_1)
	v_cmp_ne_u32_e32 vcc_lo, 0, v39
	s_cmp_lg_u32 vcc_lo, exec_lo
	s_cbranch_scc1 .LBB1089_369
; %bb.365:                              ;   in Loop: Header=BB1089_364 Depth=1
	v_lshlrev_b64 v[38:39], 3, v[36:37]
	s_mov_b32 s18, exec_lo
	s_delay_alu instid0(VALU_DEP_1) | instskip(NEXT) | instid1(VALU_DEP_2)
	v_add_co_u32 v40, vcc_lo, s10, v38
	v_add_co_ci_u32_e32 v41, vcc_lo, s11, v39, vcc_lo
	global_load_b64 v[38:39], v[40:41], off glc
	s_waitcnt vmcnt(0)
	v_and_b32_e32 v67, 0xff, v39
	s_delay_alu instid0(VALU_DEP_1)
	v_cmpx_eq_u16_e32 0, v67
	s_cbranch_execz .LBB1089_363
; %bb.366:                              ;   in Loop: Header=BB1089_364 Depth=1
	s_mov_b32 s19, 0
.LBB1089_367:                           ;   Parent Loop BB1089_364 Depth=1
                                        ; =>  This Inner Loop Header: Depth=2
	global_load_b64 v[38:39], v[40:41], off glc
	s_waitcnt vmcnt(0)
	v_and_b32_e32 v67, 0xff, v39
	s_delay_alu instid0(VALU_DEP_1) | instskip(SKIP_1) | instid1(SALU_CYCLE_1)
	v_cmp_ne_u16_e32 vcc_lo, 0, v67
	s_or_b32 s19, vcc_lo, s19
	s_and_not1_b32 exec_lo, exec_lo, s19
	s_cbranch_execnz .LBB1089_367
; %bb.368:                              ;   in Loop: Header=BB1089_364 Depth=1
	s_or_b32 exec_lo, exec_lo, s19
	s_branch .LBB1089_363
.LBB1089_369:                           ;   in Loop: Header=BB1089_364 Depth=1
                                        ; implicit-def: $vgpr38
                                        ; implicit-def: $vgpr39
	s_cbranch_execz .LBB1089_364
; %bb.370:
	s_and_saveexec_b32 s18, s8
	s_cbranch_execz .LBB1089_372
; %bb.371:
	s_add_i32 s22, s15, 32
	s_mov_b32 s23, 0
	v_dual_mov_b32 v37, 2 :: v_dual_add_nc_u32 v36, v61, v35
	s_lshl_b64 s[22:23], s[22:23], 3
	v_mov_b32_e32 v38, 0
	v_add_nc_u32_e64 v39, 0x8400, 0
	s_add_u32 s22, s10, s22
	s_addc_u32 s23, s11, s23
	global_store_b64 v38, v[36:37], s[22:23]
	ds_store_2addr_b32 v39, v35, v61 offset1:2
.LBB1089_372:
	s_or_b32 exec_lo, exec_lo, s18
	v_cmp_eq_u32_e32 vcc_lo, 0, v0
	s_and_b32 exec_lo, exec_lo, vcc_lo
	s_cbranch_execz .LBB1089_374
; %bb.373:
	v_mov_b32_e32 v35, 0
	ds_store_b32 v35, v61 offset:60
.LBB1089_374:
	s_or_b32 exec_lo, exec_lo, s9
	s_waitcnt lgkmcnt(0)
	v_cndmask_b32_e64 v36, v45, v43, s8
	v_cmp_ne_u32_e32 vcc_lo, 0, v0
	v_mov_b32_e32 v35, 0
	s_waitcnt_vscnt null, 0x0
	s_barrier
	buffer_gl0_inv
	v_cndmask_b32_e32 v36, 0, v36, vcc_lo
	ds_load_b32 v35, v35 offset:60
	s_waitcnt lgkmcnt(0)
	s_barrier
	buffer_gl0_inv
	v_add_nc_u32_e32 v53, v35, v36
	v_add_nc_u32_e64 v35, 0x8400, 0
	s_delay_alu instid0(VALU_DEP_2) | instskip(SKIP_2) | instid1(VALU_DEP_1)
	v_add_nc_u32_e32 v51, v53, v42
	ds_load_2addr_b32 v[35:36], v35 offset1:2
	v_add_nc_u32_e32 v49, v51, v44
	v_add_nc_u32_e32 v47, v49, v46
	s_delay_alu instid0(VALU_DEP_1) | instskip(NEXT) | instid1(VALU_DEP_1)
	v_add_nc_u32_e32 v45, v47, v48
	v_add_nc_u32_e32 v43, v45, v50
	s_waitcnt lgkmcnt(0)
	v_readfirstlane_b32 s8, v36
	s_delay_alu instid0(VALU_DEP_2) | instskip(NEXT) | instid1(VALU_DEP_1)
	v_add_nc_u32_e32 v41, v43, v52
	v_add_nc_u32_e32 v39, v41, v54
	v_lshrrev_b64 v[37:38], 24, v[33:34]
	s_branch .LBB1089_385
.LBB1089_375:
                                        ; implicit-def: $vgpr39
                                        ; implicit-def: $vgpr41
                                        ; implicit-def: $vgpr43
                                        ; implicit-def: $vgpr45
                                        ; implicit-def: $vgpr47
                                        ; implicit-def: $vgpr49
                                        ; implicit-def: $vgpr51
                                        ; implicit-def: $vgpr53
                                        ; implicit-def: $sgpr8
                                        ; implicit-def: $vgpr35
	v_lshrrev_b64 v[37:38], 24, v[33:34]
	s_and_b32 vcc_lo, exec_lo, s9
	s_cbranch_vccz .LBB1089_385
; %bb.376:
	v_mov_b32_dpp v35, v59 row_shr:1 row_mask:0xf bank_mask:0xf
	s_delay_alu instid0(VALU_DEP_1) | instskip(NEXT) | instid1(VALU_DEP_1)
	v_cndmask_b32_e64 v35, v35, 0, s4
	v_add_nc_u32_e32 v35, v35, v59
	s_delay_alu instid0(VALU_DEP_1) | instskip(NEXT) | instid1(VALU_DEP_1)
	v_mov_b32_dpp v36, v35 row_shr:2 row_mask:0xf bank_mask:0xf
	v_cndmask_b32_e64 v36, 0, v36, s2
	s_delay_alu instid0(VALU_DEP_1) | instskip(NEXT) | instid1(VALU_DEP_1)
	v_add_nc_u32_e32 v35, v35, v36
	v_mov_b32_dpp v36, v35 row_shr:4 row_mask:0xf bank_mask:0xf
	s_delay_alu instid0(VALU_DEP_1) | instskip(NEXT) | instid1(VALU_DEP_1)
	v_cndmask_b32_e64 v36, 0, v36, s5
	v_add_nc_u32_e32 v35, v35, v36
	s_delay_alu instid0(VALU_DEP_1) | instskip(NEXT) | instid1(VALU_DEP_1)
	v_mov_b32_dpp v36, v35 row_shr:8 row_mask:0xf bank_mask:0xf
	v_cndmask_b32_e64 v36, 0, v36, s3
	s_delay_alu instid0(VALU_DEP_1) | instskip(SKIP_3) | instid1(VALU_DEP_1)
	v_add_nc_u32_e32 v35, v35, v36
	ds_swizzle_b32 v36, v35 offset:swizzle(BROADCAST,32,15)
	s_waitcnt lgkmcnt(0)
	v_cndmask_b32_e64 v36, v36, 0, s7
	v_add_nc_u32_e32 v35, v35, v36
	s_and_saveexec_b32 s7, s6
	s_cbranch_execz .LBB1089_378
; %bb.377:
	v_lshlrev_b32_e32 v36, 2, v58
	ds_store_b32 v36, v35
.LBB1089_378:
	s_or_b32 exec_lo, exec_lo, s7
	s_delay_alu instid0(SALU_CYCLE_1)
	s_mov_b32 s6, exec_lo
	s_waitcnt lgkmcnt(0)
	s_barrier
	buffer_gl0_inv
	v_cmpx_gt_u32_e32 16, v0
	s_cbranch_execz .LBB1089_380
; %bb.379:
	v_lshlrev_b32_e32 v36, 2, v0
	ds_load_b32 v38, v36
	s_waitcnt lgkmcnt(0)
	v_mov_b32_dpp v39, v38 row_shr:1 row_mask:0xf bank_mask:0xf
	s_delay_alu instid0(VALU_DEP_1) | instskip(NEXT) | instid1(VALU_DEP_1)
	v_cndmask_b32_e64 v39, v39, 0, s4
	v_add_nc_u32_e32 v38, v39, v38
	s_delay_alu instid0(VALU_DEP_1) | instskip(NEXT) | instid1(VALU_DEP_1)
	v_mov_b32_dpp v39, v38 row_shr:2 row_mask:0xf bank_mask:0xf
	v_cndmask_b32_e64 v39, 0, v39, s2
	s_delay_alu instid0(VALU_DEP_1) | instskip(NEXT) | instid1(VALU_DEP_1)
	v_add_nc_u32_e32 v38, v38, v39
	v_mov_b32_dpp v39, v38 row_shr:4 row_mask:0xf bank_mask:0xf
	s_delay_alu instid0(VALU_DEP_1) | instskip(NEXT) | instid1(VALU_DEP_1)
	v_cndmask_b32_e64 v39, 0, v39, s5
	v_add_nc_u32_e32 v38, v38, v39
	s_delay_alu instid0(VALU_DEP_1) | instskip(NEXT) | instid1(VALU_DEP_1)
	v_mov_b32_dpp v39, v38 row_shr:8 row_mask:0xf bank_mask:0xf
	v_cndmask_b32_e64 v39, 0, v39, s3
	s_delay_alu instid0(VALU_DEP_1)
	v_add_nc_u32_e32 v38, v38, v39
	ds_store_b32 v36, v38
.LBB1089_380:
	s_or_b32 exec_lo, exec_lo, s6
	v_mov_b32_e32 v36, 0
	v_mov_b32_e32 v38, 0
	s_mov_b32 s2, exec_lo
	s_waitcnt lgkmcnt(0)
	s_barrier
	buffer_gl0_inv
	v_cmpx_lt_u32_e32 31, v0
	s_cbranch_execz .LBB1089_382
; %bb.381:
	v_lshl_add_u32 v38, v58, 2, -4
	ds_load_b32 v38, v38
.LBB1089_382:
	s_or_b32 exec_lo, exec_lo, s2
	v_add_nc_u32_e32 v39, -1, v57
	s_waitcnt lgkmcnt(0)
	v_add_nc_u32_e32 v35, v38, v35
	s_mov_b32 s8, 0
	s_delay_alu instid0(VALU_DEP_2) | instskip(SKIP_2) | instid1(VALU_DEP_2)
	v_cmp_gt_i32_e32 vcc_lo, 0, v39
	v_cndmask_b32_e32 v39, v39, v57, vcc_lo
	v_cmp_eq_u32_e32 vcc_lo, 0, v0
	v_lshlrev_b32_e32 v39, 2, v39
	ds_bpermute_b32 v39, v39, v35
	ds_load_b32 v35, v36 offset:60
	s_and_saveexec_b32 s2, vcc_lo
	s_cbranch_execz .LBB1089_384
; %bb.383:
	v_mov_b32_e32 v40, 0
	v_mov_b32_e32 v36, 2
	s_waitcnt lgkmcnt(0)
	global_store_b64 v40, v[35:36], s[10:11] offset:256
.LBB1089_384:
	s_or_b32 exec_lo, exec_lo, s2
	v_cmp_eq_u32_e64 s2, 0, v57
	s_waitcnt lgkmcnt(0)
	s_waitcnt_vscnt null, 0x0
	s_barrier
	buffer_gl0_inv
	v_cndmask_b32_e64 v36, v39, v38, s2
	s_delay_alu instid0(VALU_DEP_1) | instskip(NEXT) | instid1(VALU_DEP_1)
	v_cndmask_b32_e64 v53, v36, 0, vcc_lo
	v_add_nc_u32_e32 v51, v53, v42
	s_delay_alu instid0(VALU_DEP_1) | instskip(NEXT) | instid1(VALU_DEP_1)
	v_add_nc_u32_e32 v49, v51, v44
	v_add_nc_u32_e32 v47, v49, v46
	s_delay_alu instid0(VALU_DEP_1) | instskip(NEXT) | instid1(VALU_DEP_1)
	v_add_nc_u32_e32 v45, v47, v48
	v_add_nc_u32_e32 v43, v45, v50
	s_delay_alu instid0(VALU_DEP_1) | instskip(NEXT) | instid1(VALU_DEP_1)
	v_add_nc_u32_e32 v41, v43, v52
	v_add_nc_u32_e32 v39, v41, v54
.LBB1089_385:
	s_load_b128 s[4:7], s[0:1], 0x28
	v_add_nc_u32_e32 v59, s8, v35
	v_cmp_gt_u32_e64 s0, 0x201, v35
	v_lshrrev_b32_e32 v58, 8, v33
	v_lshrrev_b32_e32 v57, 16, v33
	;; [unrolled: 1-line block ×4, first 2 shown]
	v_cmp_lt_u32_e64 s1, v53, v59
	s_and_b32 vcc_lo, exec_lo, s0
	s_mov_b32 s2, -1
	s_cbranch_vccz .LBB1089_411
; %bb.386:
	s_delay_alu instid0(VALU_DEP_1) | instskip(NEXT) | instid1(SALU_CYCLE_1)
	s_or_b32 s2, s20, s1
	s_and_saveexec_b32 s1, s2
	s_cbranch_execz .LBB1089_389
; %bb.387:
	v_and_b32_e32 v40, 1, v33
	s_delay_alu instid0(VALU_DEP_1)
	v_cmp_eq_u32_e32 vcc_lo, 1, v40
	s_and_b32 exec_lo, exec_lo, vcc_lo
	s_cbranch_execz .LBB1089_389
; %bb.388:
	v_mov_b32_e32 v54, 0
	s_lshl_b64 s[2:3], s[12:13], 3
	s_waitcnt lgkmcnt(0)
	s_add_u32 s2, s4, s2
	s_addc_u32 s3, s5, s3
	v_lshlrev_b64 v[60:61], 3, v[53:54]
	s_delay_alu instid0(VALU_DEP_1) | instskip(NEXT) | instid1(VALU_DEP_2)
	v_add_co_u32 v60, vcc_lo, s2, v60
	v_add_co_ci_u32_e32 v61, vcc_lo, s3, v61, vcc_lo
	global_store_b64 v[60:61], v[29:30], off
.LBB1089_389:
	s_or_b32 exec_lo, exec_lo, s1
	v_cmp_lt_u32_e32 vcc_lo, v51, v59
	s_or_b32 s2, s20, vcc_lo
	s_delay_alu instid0(SALU_CYCLE_1)
	s_and_saveexec_b32 s1, s2
	s_cbranch_execz .LBB1089_392
; %bb.390:
	v_and_b32_e32 v40, 1, v58
	s_delay_alu instid0(VALU_DEP_1)
	v_cmp_eq_u32_e32 vcc_lo, 1, v40
	s_and_b32 exec_lo, exec_lo, vcc_lo
	s_cbranch_execz .LBB1089_392
; %bb.391:
	v_mov_b32_e32 v52, 0
	s_lshl_b64 s[2:3], s[12:13], 3
	s_waitcnt lgkmcnt(0)
	s_add_u32 s2, s4, s2
	s_addc_u32 s3, s5, s3
	v_lshlrev_b64 v[60:61], 3, v[51:52]
	s_delay_alu instid0(VALU_DEP_1) | instskip(NEXT) | instid1(VALU_DEP_2)
	v_add_co_u32 v60, vcc_lo, s2, v60
	v_add_co_ci_u32_e32 v61, vcc_lo, s3, v61, vcc_lo
	global_store_b64 v[60:61], v[31:32], off
.LBB1089_392:
	s_or_b32 exec_lo, exec_lo, s1
	v_cmp_lt_u32_e32 vcc_lo, v49, v59
	s_or_b32 s2, s20, vcc_lo
	s_delay_alu instid0(SALU_CYCLE_1)
	;; [unrolled: 24-line block ×7, first 2 shown]
	s_and_saveexec_b32 s1, s2
	s_cbranch_execz .LBB1089_410
; %bb.408:
	v_and_b32_e32 v40, 1, v56
	s_delay_alu instid0(VALU_DEP_1)
	v_cmp_eq_u32_e32 vcc_lo, 1, v40
	s_and_b32 exec_lo, exec_lo, vcc_lo
	s_cbranch_execz .LBB1089_410
; %bb.409:
	v_mov_b32_e32 v40, 0
	s_lshl_b64 s[2:3], s[12:13], 3
	s_waitcnt lgkmcnt(0)
	s_add_u32 s2, s4, s2
	s_addc_u32 s3, s5, s3
	v_lshlrev_b64 v[60:61], 3, v[39:40]
	s_delay_alu instid0(VALU_DEP_1) | instskip(NEXT) | instid1(VALU_DEP_2)
	v_add_co_u32 v60, vcc_lo, s2, v60
	v_add_co_ci_u32_e32 v61, vcc_lo, s3, v61, vcc_lo
	global_store_b64 v[60:61], v[19:20], off
.LBB1089_410:
	s_or_b32 exec_lo, exec_lo, s1
	s_mov_b32 s2, 0
.LBB1089_411:
	v_and_b32_e32 v33, 1, v33
	s_and_b32 vcc_lo, exec_lo, s2
	s_delay_alu instid0(VALU_DEP_1)
	v_cmp_eq_u32_e64 s1, 1, v33
	s_cbranch_vccz .LBB1089_432
; %bb.412:
	s_delay_alu instid0(VALU_DEP_1)
	s_and_saveexec_b32 s2, s1
	s_cbranch_execz .LBB1089_414
; %bb.413:
	v_subrev_nc_u32_e32 v40, s8, v53
	s_delay_alu instid0(VALU_DEP_1)
	v_lshlrev_b32_e32 v40, 3, v40
	ds_store_b64 v40, v[29:30]
.LBB1089_414:
	s_or_b32 exec_lo, exec_lo, s2
	v_and_b32_e32 v29, 1, v58
	s_mov_b32 s1, exec_lo
	s_delay_alu instid0(VALU_DEP_1)
	v_cmpx_eq_u32_e32 1, v29
	s_cbranch_execz .LBB1089_416
; %bb.415:
	v_subrev_nc_u32_e32 v29, s8, v51
	s_delay_alu instid0(VALU_DEP_1)
	v_lshlrev_b32_e32 v29, 3, v29
	ds_store_b64 v29, v[31:32]
.LBB1089_416:
	s_or_b32 exec_lo, exec_lo, s1
	v_and_b32_e32 v29, 1, v57
	s_mov_b32 s1, exec_lo
	s_delay_alu instid0(VALU_DEP_1)
	v_cmpx_eq_u32_e32 1, v29
	;; [unrolled: 12-line block ×7, first 2 shown]
	s_cbranch_execz .LBB1089_428
; %bb.427:
	v_subrev_nc_u32_e32 v17, s8, v39
	s_delay_alu instid0(VALU_DEP_1)
	v_lshlrev_b32_e32 v17, 3, v17
	ds_store_b64 v17, v[19:20]
.LBB1089_428:
	s_or_b32 exec_lo, exec_lo, s1
	s_delay_alu instid0(SALU_CYCLE_1)
	s_mov_b32 s2, exec_lo
	s_waitcnt lgkmcnt(0)
	s_waitcnt_vscnt null, 0x0
	s_barrier
	buffer_gl0_inv
	v_cmpx_lt_u32_e64 v0, v35
	s_cbranch_execz .LBB1089_431
; %bb.429:
	s_mov_b32 s9, 0
	s_lshl_b64 s[10:11], s[12:13], 3
	s_lshl_b64 s[18:19], s[8:9], 3
	v_dual_mov_b32 v19, v55 :: v_dual_mov_b32 v20, v0
	s_add_u32 s1, s10, s18
	s_addc_u32 s3, s11, s19
	s_add_u32 s1, s4, s1
	s_addc_u32 s3, s5, s3
	v_add_co_u32 v17, s1, s1, v55
	s_delay_alu instid0(VALU_DEP_1)
	v_add_co_ci_u32_e64 v18, null, s3, 0, s1
	.p2align	6
.LBB1089_430:                           ; =>This Inner Loop Header: Depth=1
	ds_load_b64 v[21:22], v19
	v_add_nc_u32_e32 v20, 0x200, v20
	v_add_nc_u32_e32 v19, 0x1000, v19
	s_delay_alu instid0(VALU_DEP_2) | instskip(SKIP_4) | instid1(VALU_DEP_1)
	v_cmp_ge_u32_e32 vcc_lo, v20, v35
	s_or_b32 s9, vcc_lo, s9
	s_waitcnt lgkmcnt(0)
	global_store_b64 v[17:18], v[21:22], off
	v_add_co_u32 v17, s1, 0x1000, v17
	v_add_co_ci_u32_e64 v18, s1, 0, v18, s1
	s_and_not1_b32 exec_lo, exec_lo, s9
	s_cbranch_execnz .LBB1089_430
.LBB1089_431:
	s_or_b32 exec_lo, exec_lo, s2
.LBB1089_432:
	s_delay_alu instid0(SALU_CYCLE_1)
	s_and_b32 vcc_lo, exec_lo, s0
	s_mov_b32 s0, -1
	s_waitcnt lgkmcnt(0)
	s_waitcnt_vscnt null, 0x0
	s_barrier
	buffer_gl0_inv
	s_cbranch_vccz .LBB1089_460
; %bb.433:
	v_cmp_lt_u32_e32 vcc_lo, v53, v59
	s_or_b32 s1, s20, vcc_lo
	s_delay_alu instid0(SALU_CYCLE_1)
	s_and_saveexec_b32 s0, s1
	s_cbranch_execz .LBB1089_436
; %bb.434:
	v_cmp_eq_u32_e32 vcc_lo, 1, v33
	s_and_b32 exec_lo, exec_lo, vcc_lo
	s_cbranch_execz .LBB1089_436
; %bb.435:
	v_mov_b32_e32 v54, 0
	s_lshl_b64 s[2:3], s[12:13], 3
	s_delay_alu instid0(SALU_CYCLE_1) | instskip(SKIP_1) | instid1(VALU_DEP_1)
	s_add_u32 s1, s6, s2
	s_addc_u32 s2, s7, s3
	v_lshlrev_b64 v[17:18], 3, v[53:54]
	s_delay_alu instid0(VALU_DEP_1) | instskip(NEXT) | instid1(VALU_DEP_2)
	v_add_co_u32 v17, vcc_lo, s1, v17
	v_add_co_ci_u32_e32 v18, vcc_lo, s2, v18, vcc_lo
	global_store_b64 v[17:18], v[13:14], off
.LBB1089_436:
	s_or_b32 exec_lo, exec_lo, s0
	v_cmp_lt_u32_e32 vcc_lo, v51, v59
	s_or_b32 s1, s20, vcc_lo
	s_delay_alu instid0(SALU_CYCLE_1)
	s_and_saveexec_b32 s0, s1
	s_cbranch_execz .LBB1089_439
; %bb.437:
	v_and_b32_e32 v17, 1, v58
	s_delay_alu instid0(VALU_DEP_1)
	v_cmp_eq_u32_e32 vcc_lo, 1, v17
	s_and_b32 exec_lo, exec_lo, vcc_lo
	s_cbranch_execz .LBB1089_439
; %bb.438:
	v_mov_b32_e32 v52, 0
	s_lshl_b64 s[2:3], s[12:13], 3
	s_delay_alu instid0(SALU_CYCLE_1) | instskip(SKIP_1) | instid1(VALU_DEP_1)
	s_add_u32 s1, s6, s2
	s_addc_u32 s2, s7, s3
	v_lshlrev_b64 v[17:18], 3, v[51:52]
	s_delay_alu instid0(VALU_DEP_1) | instskip(NEXT) | instid1(VALU_DEP_2)
	v_add_co_u32 v17, vcc_lo, s1, v17
	v_add_co_ci_u32_e32 v18, vcc_lo, s2, v18, vcc_lo
	global_store_b64 v[17:18], v[15:16], off
.LBB1089_439:
	s_or_b32 exec_lo, exec_lo, s0
	v_cmp_lt_u32_e32 vcc_lo, v49, v59
	s_or_b32 s1, s20, vcc_lo
	s_delay_alu instid0(SALU_CYCLE_1)
	s_and_saveexec_b32 s0, s1
	s_cbranch_execz .LBB1089_442
; %bb.440:
	v_and_b32_e32 v17, 1, v57
	s_delay_alu instid0(VALU_DEP_1)
	v_cmp_eq_u32_e32 vcc_lo, 1, v17
	s_and_b32 exec_lo, exec_lo, vcc_lo
	s_cbranch_execz .LBB1089_442
; %bb.441:
	v_mov_b32_e32 v50, 0
	s_lshl_b64 s[2:3], s[12:13], 3
	s_delay_alu instid0(SALU_CYCLE_1) | instskip(SKIP_1) | instid1(VALU_DEP_1)
	s_add_u32 s1, s6, s2
	s_addc_u32 s2, s7, s3
	v_lshlrev_b64 v[17:18], 3, v[49:50]
	s_delay_alu instid0(VALU_DEP_1) | instskip(NEXT) | instid1(VALU_DEP_2)
	v_add_co_u32 v17, vcc_lo, s1, v17
	v_add_co_ci_u32_e32 v18, vcc_lo, s2, v18, vcc_lo
	global_store_b64 v[17:18], v[9:10], off
.LBB1089_442:
	;; [unrolled: 24-line block ×7, first 2 shown]
	s_or_b32 exec_lo, exec_lo, s0
.LBB1089_458:
	v_cmp_eq_u32_e32 vcc_lo, 0, v0
	s_and_b32 s0, vcc_lo, s14
	s_delay_alu instid0(SALU_CYCLE_1)
	s_and_saveexec_b32 s1, s0
	s_cbranch_execz .LBB1089_481
.LBB1089_459:
	v_add_co_u32 v0, s0, s12, v35
	s_delay_alu instid0(VALU_DEP_1) | instskip(SKIP_1) | instid1(VALU_DEP_3)
	v_add_co_ci_u32_e64 v1, null, s13, 0, s0
	v_mov_b32_e32 v2, 0
	v_add_co_u32 v0, vcc_lo, v0, s8
	s_delay_alu instid0(VALU_DEP_3)
	v_add_co_ci_u32_e32 v1, vcc_lo, 0, v1, vcc_lo
	global_store_b64 v2, v[0:1], s[16:17]
	s_nop 0
	s_sendmsg sendmsg(MSG_DEALLOC_VGPRS)
	s_endpgm
.LBB1089_460:
	s_and_b32 vcc_lo, exec_lo, s0
	s_cbranch_vccz .LBB1089_458
; %bb.461:
	s_mov_b32 s0, exec_lo
	v_cmpx_eq_u32_e32 1, v33
	s_cbranch_execz .LBB1089_463
; %bb.462:
	v_subrev_nc_u32_e32 v17, s8, v53
	s_delay_alu instid0(VALU_DEP_1)
	v_lshlrev_b32_e32 v17, 3, v17
	ds_store_b64 v17, v[13:14]
.LBB1089_463:
	s_or_b32 exec_lo, exec_lo, s0
	v_and_b32_e32 v13, 1, v58
	s_mov_b32 s0, exec_lo
	s_delay_alu instid0(VALU_DEP_1)
	v_cmpx_eq_u32_e32 1, v13
	s_cbranch_execz .LBB1089_465
; %bb.464:
	v_subrev_nc_u32_e32 v13, s8, v51
	s_delay_alu instid0(VALU_DEP_1)
	v_lshlrev_b32_e32 v13, 3, v13
	ds_store_b64 v13, v[15:16]
.LBB1089_465:
	s_or_b32 exec_lo, exec_lo, s0
	v_and_b32_e32 v13, 1, v57
	s_mov_b32 s0, exec_lo
	s_delay_alu instid0(VALU_DEP_1)
	;; [unrolled: 12-line block ×7, first 2 shown]
	v_cmpx_eq_u32_e32 1, v1
	s_cbranch_execz .LBB1089_477
; %bb.476:
	v_subrev_nc_u32_e32 v1, s8, v39
	s_delay_alu instid0(VALU_DEP_1)
	v_lshlrev_b32_e32 v1, 3, v1
	ds_store_b64 v1, v[3:4]
.LBB1089_477:
	s_or_b32 exec_lo, exec_lo, s0
	s_delay_alu instid0(SALU_CYCLE_1)
	s_mov_b32 s1, exec_lo
	s_waitcnt lgkmcnt(0)
	s_waitcnt_vscnt null, 0x0
	s_barrier
	buffer_gl0_inv
	v_cmpx_lt_u32_e64 v0, v35
	s_cbranch_execz .LBB1089_480
; %bb.478:
	s_mov_b32 s9, 0
	s_lshl_b64 s[2:3], s[12:13], 3
	s_lshl_b64 s[4:5], s[8:9], 3
	v_mov_b32_e32 v3, v0
	s_add_u32 s0, s2, s4
	s_addc_u32 s2, s3, s5
	s_add_u32 s0, s6, s0
	s_addc_u32 s2, s7, s2
	v_add_co_u32 v1, s0, s0, v55
	s_delay_alu instid0(VALU_DEP_1)
	v_add_co_ci_u32_e64 v2, null, s2, 0, s0
	.p2align	6
.LBB1089_479:                           ; =>This Inner Loop Header: Depth=1
	ds_load_b64 v[4:5], v55
	v_add_nc_u32_e32 v3, 0x200, v3
	v_add_nc_u32_e32 v55, 0x1000, v55
	s_delay_alu instid0(VALU_DEP_2) | instskip(SKIP_4) | instid1(VALU_DEP_1)
	v_cmp_ge_u32_e32 vcc_lo, v3, v35
	s_or_b32 s9, vcc_lo, s9
	s_waitcnt lgkmcnt(0)
	global_store_b64 v[1:2], v[4:5], off
	v_add_co_u32 v1, s0, 0x1000, v1
	v_add_co_ci_u32_e64 v2, s0, 0, v2, s0
	s_and_not1_b32 exec_lo, exec_lo, s9
	s_cbranch_execnz .LBB1089_479
.LBB1089_480:
	s_or_b32 exec_lo, exec_lo, s1
	v_cmp_eq_u32_e32 vcc_lo, 0, v0
	s_and_b32 s0, vcc_lo, s14
	s_delay_alu instid0(SALU_CYCLE_1)
	s_and_saveexec_b32 s1, s0
	s_cbranch_execnz .LBB1089_459
.LBB1089_481:
	s_nop 0
	s_sendmsg sendmsg(MSG_DEALLOC_VGPRS)
	s_endpgm
	.section	.rodata,"a",@progbits
	.p2align	6, 0x0
	.amdhsa_kernel _ZN7rocprim17ROCPRIM_400000_NS6detail17trampoline_kernelINS0_14default_configENS1_25partition_config_selectorILNS1_17partition_subalgoE9EllbEEZZNS1_14partition_implILS5_9ELb0ES3_jPlS8_PNS0_10empty_typeENS0_5tupleIJS8_S9_EEENSB_IJS8_SA_EEENS0_18inequality_wrapperIZN2at6native12_GLOBAL__N_124unique_dim_cuda_templateIbEESt5tupleIJNSF_6TensorESK_SK_EERKSK_lbbbEUlllE0_EEPmJS9_EEE10hipError_tPvRmT3_T4_T5_T6_T7_T9_mT8_P12ihipStream_tbDpT10_ENKUlT_T0_E_clISt17integral_constantIbLb0EES1A_EEDaS15_S16_EUlS15_E_NS1_11comp_targetILNS1_3genE9ELNS1_11target_archE1100ELNS1_3gpuE3ELNS1_3repE0EEENS1_30default_config_static_selectorELNS0_4arch9wavefront6targetE0EEEvT1_
		.amdhsa_group_segment_fixed_size 33804
		.amdhsa_private_segment_fixed_size 0
		.amdhsa_kernarg_size 120
		.amdhsa_user_sgpr_count 15
		.amdhsa_user_sgpr_dispatch_ptr 0
		.amdhsa_user_sgpr_queue_ptr 0
		.amdhsa_user_sgpr_kernarg_segment_ptr 1
		.amdhsa_user_sgpr_dispatch_id 0
		.amdhsa_user_sgpr_private_segment_size 0
		.amdhsa_wavefront_size32 1
		.amdhsa_uses_dynamic_stack 0
		.amdhsa_enable_private_segment 0
		.amdhsa_system_sgpr_workgroup_id_x 1
		.amdhsa_system_sgpr_workgroup_id_y 0
		.amdhsa_system_sgpr_workgroup_id_z 0
		.amdhsa_system_sgpr_workgroup_info 0
		.amdhsa_system_vgpr_workitem_id 0
		.amdhsa_next_free_vgpr 68
		.amdhsa_next_free_sgpr 37
		.amdhsa_reserve_vcc 1
		.amdhsa_float_round_mode_32 0
		.amdhsa_float_round_mode_16_64 0
		.amdhsa_float_denorm_mode_32 3
		.amdhsa_float_denorm_mode_16_64 3
		.amdhsa_dx10_clamp 1
		.amdhsa_ieee_mode 1
		.amdhsa_fp16_overflow 0
		.amdhsa_workgroup_processor_mode 1
		.amdhsa_memory_ordered 1
		.amdhsa_forward_progress 0
		.amdhsa_shared_vgpr_count 0
		.amdhsa_exception_fp_ieee_invalid_op 0
		.amdhsa_exception_fp_denorm_src 0
		.amdhsa_exception_fp_ieee_div_zero 0
		.amdhsa_exception_fp_ieee_overflow 0
		.amdhsa_exception_fp_ieee_underflow 0
		.amdhsa_exception_fp_ieee_inexact 0
		.amdhsa_exception_int_div_zero 0
	.end_amdhsa_kernel
	.section	.text._ZN7rocprim17ROCPRIM_400000_NS6detail17trampoline_kernelINS0_14default_configENS1_25partition_config_selectorILNS1_17partition_subalgoE9EllbEEZZNS1_14partition_implILS5_9ELb0ES3_jPlS8_PNS0_10empty_typeENS0_5tupleIJS8_S9_EEENSB_IJS8_SA_EEENS0_18inequality_wrapperIZN2at6native12_GLOBAL__N_124unique_dim_cuda_templateIbEESt5tupleIJNSF_6TensorESK_SK_EERKSK_lbbbEUlllE0_EEPmJS9_EEE10hipError_tPvRmT3_T4_T5_T6_T7_T9_mT8_P12ihipStream_tbDpT10_ENKUlT_T0_E_clISt17integral_constantIbLb0EES1A_EEDaS15_S16_EUlS15_E_NS1_11comp_targetILNS1_3genE9ELNS1_11target_archE1100ELNS1_3gpuE3ELNS1_3repE0EEENS1_30default_config_static_selectorELNS0_4arch9wavefront6targetE0EEEvT1_,"axG",@progbits,_ZN7rocprim17ROCPRIM_400000_NS6detail17trampoline_kernelINS0_14default_configENS1_25partition_config_selectorILNS1_17partition_subalgoE9EllbEEZZNS1_14partition_implILS5_9ELb0ES3_jPlS8_PNS0_10empty_typeENS0_5tupleIJS8_S9_EEENSB_IJS8_SA_EEENS0_18inequality_wrapperIZN2at6native12_GLOBAL__N_124unique_dim_cuda_templateIbEESt5tupleIJNSF_6TensorESK_SK_EERKSK_lbbbEUlllE0_EEPmJS9_EEE10hipError_tPvRmT3_T4_T5_T6_T7_T9_mT8_P12ihipStream_tbDpT10_ENKUlT_T0_E_clISt17integral_constantIbLb0EES1A_EEDaS15_S16_EUlS15_E_NS1_11comp_targetILNS1_3genE9ELNS1_11target_archE1100ELNS1_3gpuE3ELNS1_3repE0EEENS1_30default_config_static_selectorELNS0_4arch9wavefront6targetE0EEEvT1_,comdat
.Lfunc_end1089:
	.size	_ZN7rocprim17ROCPRIM_400000_NS6detail17trampoline_kernelINS0_14default_configENS1_25partition_config_selectorILNS1_17partition_subalgoE9EllbEEZZNS1_14partition_implILS5_9ELb0ES3_jPlS8_PNS0_10empty_typeENS0_5tupleIJS8_S9_EEENSB_IJS8_SA_EEENS0_18inequality_wrapperIZN2at6native12_GLOBAL__N_124unique_dim_cuda_templateIbEESt5tupleIJNSF_6TensorESK_SK_EERKSK_lbbbEUlllE0_EEPmJS9_EEE10hipError_tPvRmT3_T4_T5_T6_T7_T9_mT8_P12ihipStream_tbDpT10_ENKUlT_T0_E_clISt17integral_constantIbLb0EES1A_EEDaS15_S16_EUlS15_E_NS1_11comp_targetILNS1_3genE9ELNS1_11target_archE1100ELNS1_3gpuE3ELNS1_3repE0EEENS1_30default_config_static_selectorELNS0_4arch9wavefront6targetE0EEEvT1_, .Lfunc_end1089-_ZN7rocprim17ROCPRIM_400000_NS6detail17trampoline_kernelINS0_14default_configENS1_25partition_config_selectorILNS1_17partition_subalgoE9EllbEEZZNS1_14partition_implILS5_9ELb0ES3_jPlS8_PNS0_10empty_typeENS0_5tupleIJS8_S9_EEENSB_IJS8_SA_EEENS0_18inequality_wrapperIZN2at6native12_GLOBAL__N_124unique_dim_cuda_templateIbEESt5tupleIJNSF_6TensorESK_SK_EERKSK_lbbbEUlllE0_EEPmJS9_EEE10hipError_tPvRmT3_T4_T5_T6_T7_T9_mT8_P12ihipStream_tbDpT10_ENKUlT_T0_E_clISt17integral_constantIbLb0EES1A_EEDaS15_S16_EUlS15_E_NS1_11comp_targetILNS1_3genE9ELNS1_11target_archE1100ELNS1_3gpuE3ELNS1_3repE0EEENS1_30default_config_static_selectorELNS0_4arch9wavefront6targetE0EEEvT1_
                                        ; -- End function
	.section	.AMDGPU.csdata,"",@progbits
; Kernel info:
; codeLenInByte = 19828
; NumSgprs: 39
; NumVgprs: 68
; ScratchSize: 0
; MemoryBound: 0
; FloatMode: 240
; IeeeMode: 1
; LDSByteSize: 33804 bytes/workgroup (compile time only)
; SGPRBlocks: 4
; VGPRBlocks: 8
; NumSGPRsForWavesPerEU: 39
; NumVGPRsForWavesPerEU: 68
; Occupancy: 12
; WaveLimiterHint : 1
; COMPUTE_PGM_RSRC2:SCRATCH_EN: 0
; COMPUTE_PGM_RSRC2:USER_SGPR: 15
; COMPUTE_PGM_RSRC2:TRAP_HANDLER: 0
; COMPUTE_PGM_RSRC2:TGID_X_EN: 1
; COMPUTE_PGM_RSRC2:TGID_Y_EN: 0
; COMPUTE_PGM_RSRC2:TGID_Z_EN: 0
; COMPUTE_PGM_RSRC2:TIDIG_COMP_CNT: 0
	.section	.text._ZN7rocprim17ROCPRIM_400000_NS6detail17trampoline_kernelINS0_14default_configENS1_25partition_config_selectorILNS1_17partition_subalgoE9EllbEEZZNS1_14partition_implILS5_9ELb0ES3_jPlS8_PNS0_10empty_typeENS0_5tupleIJS8_S9_EEENSB_IJS8_SA_EEENS0_18inequality_wrapperIZN2at6native12_GLOBAL__N_124unique_dim_cuda_templateIbEESt5tupleIJNSF_6TensorESK_SK_EERKSK_lbbbEUlllE0_EEPmJS9_EEE10hipError_tPvRmT3_T4_T5_T6_T7_T9_mT8_P12ihipStream_tbDpT10_ENKUlT_T0_E_clISt17integral_constantIbLb0EES1A_EEDaS15_S16_EUlS15_E_NS1_11comp_targetILNS1_3genE8ELNS1_11target_archE1030ELNS1_3gpuE2ELNS1_3repE0EEENS1_30default_config_static_selectorELNS0_4arch9wavefront6targetE0EEEvT1_,"axG",@progbits,_ZN7rocprim17ROCPRIM_400000_NS6detail17trampoline_kernelINS0_14default_configENS1_25partition_config_selectorILNS1_17partition_subalgoE9EllbEEZZNS1_14partition_implILS5_9ELb0ES3_jPlS8_PNS0_10empty_typeENS0_5tupleIJS8_S9_EEENSB_IJS8_SA_EEENS0_18inequality_wrapperIZN2at6native12_GLOBAL__N_124unique_dim_cuda_templateIbEESt5tupleIJNSF_6TensorESK_SK_EERKSK_lbbbEUlllE0_EEPmJS9_EEE10hipError_tPvRmT3_T4_T5_T6_T7_T9_mT8_P12ihipStream_tbDpT10_ENKUlT_T0_E_clISt17integral_constantIbLb0EES1A_EEDaS15_S16_EUlS15_E_NS1_11comp_targetILNS1_3genE8ELNS1_11target_archE1030ELNS1_3gpuE2ELNS1_3repE0EEENS1_30default_config_static_selectorELNS0_4arch9wavefront6targetE0EEEvT1_,comdat
	.globl	_ZN7rocprim17ROCPRIM_400000_NS6detail17trampoline_kernelINS0_14default_configENS1_25partition_config_selectorILNS1_17partition_subalgoE9EllbEEZZNS1_14partition_implILS5_9ELb0ES3_jPlS8_PNS0_10empty_typeENS0_5tupleIJS8_S9_EEENSB_IJS8_SA_EEENS0_18inequality_wrapperIZN2at6native12_GLOBAL__N_124unique_dim_cuda_templateIbEESt5tupleIJNSF_6TensorESK_SK_EERKSK_lbbbEUlllE0_EEPmJS9_EEE10hipError_tPvRmT3_T4_T5_T6_T7_T9_mT8_P12ihipStream_tbDpT10_ENKUlT_T0_E_clISt17integral_constantIbLb0EES1A_EEDaS15_S16_EUlS15_E_NS1_11comp_targetILNS1_3genE8ELNS1_11target_archE1030ELNS1_3gpuE2ELNS1_3repE0EEENS1_30default_config_static_selectorELNS0_4arch9wavefront6targetE0EEEvT1_ ; -- Begin function _ZN7rocprim17ROCPRIM_400000_NS6detail17trampoline_kernelINS0_14default_configENS1_25partition_config_selectorILNS1_17partition_subalgoE9EllbEEZZNS1_14partition_implILS5_9ELb0ES3_jPlS8_PNS0_10empty_typeENS0_5tupleIJS8_S9_EEENSB_IJS8_SA_EEENS0_18inequality_wrapperIZN2at6native12_GLOBAL__N_124unique_dim_cuda_templateIbEESt5tupleIJNSF_6TensorESK_SK_EERKSK_lbbbEUlllE0_EEPmJS9_EEE10hipError_tPvRmT3_T4_T5_T6_T7_T9_mT8_P12ihipStream_tbDpT10_ENKUlT_T0_E_clISt17integral_constantIbLb0EES1A_EEDaS15_S16_EUlS15_E_NS1_11comp_targetILNS1_3genE8ELNS1_11target_archE1030ELNS1_3gpuE2ELNS1_3repE0EEENS1_30default_config_static_selectorELNS0_4arch9wavefront6targetE0EEEvT1_
	.p2align	8
	.type	_ZN7rocprim17ROCPRIM_400000_NS6detail17trampoline_kernelINS0_14default_configENS1_25partition_config_selectorILNS1_17partition_subalgoE9EllbEEZZNS1_14partition_implILS5_9ELb0ES3_jPlS8_PNS0_10empty_typeENS0_5tupleIJS8_S9_EEENSB_IJS8_SA_EEENS0_18inequality_wrapperIZN2at6native12_GLOBAL__N_124unique_dim_cuda_templateIbEESt5tupleIJNSF_6TensorESK_SK_EERKSK_lbbbEUlllE0_EEPmJS9_EEE10hipError_tPvRmT3_T4_T5_T6_T7_T9_mT8_P12ihipStream_tbDpT10_ENKUlT_T0_E_clISt17integral_constantIbLb0EES1A_EEDaS15_S16_EUlS15_E_NS1_11comp_targetILNS1_3genE8ELNS1_11target_archE1030ELNS1_3gpuE2ELNS1_3repE0EEENS1_30default_config_static_selectorELNS0_4arch9wavefront6targetE0EEEvT1_,@function
_ZN7rocprim17ROCPRIM_400000_NS6detail17trampoline_kernelINS0_14default_configENS1_25partition_config_selectorILNS1_17partition_subalgoE9EllbEEZZNS1_14partition_implILS5_9ELb0ES3_jPlS8_PNS0_10empty_typeENS0_5tupleIJS8_S9_EEENSB_IJS8_SA_EEENS0_18inequality_wrapperIZN2at6native12_GLOBAL__N_124unique_dim_cuda_templateIbEESt5tupleIJNSF_6TensorESK_SK_EERKSK_lbbbEUlllE0_EEPmJS9_EEE10hipError_tPvRmT3_T4_T5_T6_T7_T9_mT8_P12ihipStream_tbDpT10_ENKUlT_T0_E_clISt17integral_constantIbLb0EES1A_EEDaS15_S16_EUlS15_E_NS1_11comp_targetILNS1_3genE8ELNS1_11target_archE1030ELNS1_3gpuE2ELNS1_3repE0EEENS1_30default_config_static_selectorELNS0_4arch9wavefront6targetE0EEEvT1_: ; @_ZN7rocprim17ROCPRIM_400000_NS6detail17trampoline_kernelINS0_14default_configENS1_25partition_config_selectorILNS1_17partition_subalgoE9EllbEEZZNS1_14partition_implILS5_9ELb0ES3_jPlS8_PNS0_10empty_typeENS0_5tupleIJS8_S9_EEENSB_IJS8_SA_EEENS0_18inequality_wrapperIZN2at6native12_GLOBAL__N_124unique_dim_cuda_templateIbEESt5tupleIJNSF_6TensorESK_SK_EERKSK_lbbbEUlllE0_EEPmJS9_EEE10hipError_tPvRmT3_T4_T5_T6_T7_T9_mT8_P12ihipStream_tbDpT10_ENKUlT_T0_E_clISt17integral_constantIbLb0EES1A_EEDaS15_S16_EUlS15_E_NS1_11comp_targetILNS1_3genE8ELNS1_11target_archE1030ELNS1_3gpuE2ELNS1_3repE0EEENS1_30default_config_static_selectorELNS0_4arch9wavefront6targetE0EEEvT1_
; %bb.0:
	.section	.rodata,"a",@progbits
	.p2align	6, 0x0
	.amdhsa_kernel _ZN7rocprim17ROCPRIM_400000_NS6detail17trampoline_kernelINS0_14default_configENS1_25partition_config_selectorILNS1_17partition_subalgoE9EllbEEZZNS1_14partition_implILS5_9ELb0ES3_jPlS8_PNS0_10empty_typeENS0_5tupleIJS8_S9_EEENSB_IJS8_SA_EEENS0_18inequality_wrapperIZN2at6native12_GLOBAL__N_124unique_dim_cuda_templateIbEESt5tupleIJNSF_6TensorESK_SK_EERKSK_lbbbEUlllE0_EEPmJS9_EEE10hipError_tPvRmT3_T4_T5_T6_T7_T9_mT8_P12ihipStream_tbDpT10_ENKUlT_T0_E_clISt17integral_constantIbLb0EES1A_EEDaS15_S16_EUlS15_E_NS1_11comp_targetILNS1_3genE8ELNS1_11target_archE1030ELNS1_3gpuE2ELNS1_3repE0EEENS1_30default_config_static_selectorELNS0_4arch9wavefront6targetE0EEEvT1_
		.amdhsa_group_segment_fixed_size 0
		.amdhsa_private_segment_fixed_size 0
		.amdhsa_kernarg_size 120
		.amdhsa_user_sgpr_count 15
		.amdhsa_user_sgpr_dispatch_ptr 0
		.amdhsa_user_sgpr_queue_ptr 0
		.amdhsa_user_sgpr_kernarg_segment_ptr 1
		.amdhsa_user_sgpr_dispatch_id 0
		.amdhsa_user_sgpr_private_segment_size 0
		.amdhsa_wavefront_size32 1
		.amdhsa_uses_dynamic_stack 0
		.amdhsa_enable_private_segment 0
		.amdhsa_system_sgpr_workgroup_id_x 1
		.amdhsa_system_sgpr_workgroup_id_y 0
		.amdhsa_system_sgpr_workgroup_id_z 0
		.amdhsa_system_sgpr_workgroup_info 0
		.amdhsa_system_vgpr_workitem_id 0
		.amdhsa_next_free_vgpr 1
		.amdhsa_next_free_sgpr 1
		.amdhsa_reserve_vcc 0
		.amdhsa_float_round_mode_32 0
		.amdhsa_float_round_mode_16_64 0
		.amdhsa_float_denorm_mode_32 3
		.amdhsa_float_denorm_mode_16_64 3
		.amdhsa_dx10_clamp 1
		.amdhsa_ieee_mode 1
		.amdhsa_fp16_overflow 0
		.amdhsa_workgroup_processor_mode 1
		.amdhsa_memory_ordered 1
		.amdhsa_forward_progress 0
		.amdhsa_shared_vgpr_count 0
		.amdhsa_exception_fp_ieee_invalid_op 0
		.amdhsa_exception_fp_denorm_src 0
		.amdhsa_exception_fp_ieee_div_zero 0
		.amdhsa_exception_fp_ieee_overflow 0
		.amdhsa_exception_fp_ieee_underflow 0
		.amdhsa_exception_fp_ieee_inexact 0
		.amdhsa_exception_int_div_zero 0
	.end_amdhsa_kernel
	.section	.text._ZN7rocprim17ROCPRIM_400000_NS6detail17trampoline_kernelINS0_14default_configENS1_25partition_config_selectorILNS1_17partition_subalgoE9EllbEEZZNS1_14partition_implILS5_9ELb0ES3_jPlS8_PNS0_10empty_typeENS0_5tupleIJS8_S9_EEENSB_IJS8_SA_EEENS0_18inequality_wrapperIZN2at6native12_GLOBAL__N_124unique_dim_cuda_templateIbEESt5tupleIJNSF_6TensorESK_SK_EERKSK_lbbbEUlllE0_EEPmJS9_EEE10hipError_tPvRmT3_T4_T5_T6_T7_T9_mT8_P12ihipStream_tbDpT10_ENKUlT_T0_E_clISt17integral_constantIbLb0EES1A_EEDaS15_S16_EUlS15_E_NS1_11comp_targetILNS1_3genE8ELNS1_11target_archE1030ELNS1_3gpuE2ELNS1_3repE0EEENS1_30default_config_static_selectorELNS0_4arch9wavefront6targetE0EEEvT1_,"axG",@progbits,_ZN7rocprim17ROCPRIM_400000_NS6detail17trampoline_kernelINS0_14default_configENS1_25partition_config_selectorILNS1_17partition_subalgoE9EllbEEZZNS1_14partition_implILS5_9ELb0ES3_jPlS8_PNS0_10empty_typeENS0_5tupleIJS8_S9_EEENSB_IJS8_SA_EEENS0_18inequality_wrapperIZN2at6native12_GLOBAL__N_124unique_dim_cuda_templateIbEESt5tupleIJNSF_6TensorESK_SK_EERKSK_lbbbEUlllE0_EEPmJS9_EEE10hipError_tPvRmT3_T4_T5_T6_T7_T9_mT8_P12ihipStream_tbDpT10_ENKUlT_T0_E_clISt17integral_constantIbLb0EES1A_EEDaS15_S16_EUlS15_E_NS1_11comp_targetILNS1_3genE8ELNS1_11target_archE1030ELNS1_3gpuE2ELNS1_3repE0EEENS1_30default_config_static_selectorELNS0_4arch9wavefront6targetE0EEEvT1_,comdat
.Lfunc_end1090:
	.size	_ZN7rocprim17ROCPRIM_400000_NS6detail17trampoline_kernelINS0_14default_configENS1_25partition_config_selectorILNS1_17partition_subalgoE9EllbEEZZNS1_14partition_implILS5_9ELb0ES3_jPlS8_PNS0_10empty_typeENS0_5tupleIJS8_S9_EEENSB_IJS8_SA_EEENS0_18inequality_wrapperIZN2at6native12_GLOBAL__N_124unique_dim_cuda_templateIbEESt5tupleIJNSF_6TensorESK_SK_EERKSK_lbbbEUlllE0_EEPmJS9_EEE10hipError_tPvRmT3_T4_T5_T6_T7_T9_mT8_P12ihipStream_tbDpT10_ENKUlT_T0_E_clISt17integral_constantIbLb0EES1A_EEDaS15_S16_EUlS15_E_NS1_11comp_targetILNS1_3genE8ELNS1_11target_archE1030ELNS1_3gpuE2ELNS1_3repE0EEENS1_30default_config_static_selectorELNS0_4arch9wavefront6targetE0EEEvT1_, .Lfunc_end1090-_ZN7rocprim17ROCPRIM_400000_NS6detail17trampoline_kernelINS0_14default_configENS1_25partition_config_selectorILNS1_17partition_subalgoE9EllbEEZZNS1_14partition_implILS5_9ELb0ES3_jPlS8_PNS0_10empty_typeENS0_5tupleIJS8_S9_EEENSB_IJS8_SA_EEENS0_18inequality_wrapperIZN2at6native12_GLOBAL__N_124unique_dim_cuda_templateIbEESt5tupleIJNSF_6TensorESK_SK_EERKSK_lbbbEUlllE0_EEPmJS9_EEE10hipError_tPvRmT3_T4_T5_T6_T7_T9_mT8_P12ihipStream_tbDpT10_ENKUlT_T0_E_clISt17integral_constantIbLb0EES1A_EEDaS15_S16_EUlS15_E_NS1_11comp_targetILNS1_3genE8ELNS1_11target_archE1030ELNS1_3gpuE2ELNS1_3repE0EEENS1_30default_config_static_selectorELNS0_4arch9wavefront6targetE0EEEvT1_
                                        ; -- End function
	.section	.AMDGPU.csdata,"",@progbits
; Kernel info:
; codeLenInByte = 0
; NumSgprs: 0
; NumVgprs: 0
; ScratchSize: 0
; MemoryBound: 0
; FloatMode: 240
; IeeeMode: 1
; LDSByteSize: 0 bytes/workgroup (compile time only)
; SGPRBlocks: 0
; VGPRBlocks: 0
; NumSGPRsForWavesPerEU: 1
; NumVGPRsForWavesPerEU: 1
; Occupancy: 16
; WaveLimiterHint : 0
; COMPUTE_PGM_RSRC2:SCRATCH_EN: 0
; COMPUTE_PGM_RSRC2:USER_SGPR: 15
; COMPUTE_PGM_RSRC2:TRAP_HANDLER: 0
; COMPUTE_PGM_RSRC2:TGID_X_EN: 1
; COMPUTE_PGM_RSRC2:TGID_Y_EN: 0
; COMPUTE_PGM_RSRC2:TGID_Z_EN: 0
; COMPUTE_PGM_RSRC2:TIDIG_COMP_CNT: 0
	.section	.text._ZN7rocprim17ROCPRIM_400000_NS6detail17trampoline_kernelINS0_14default_configENS1_25partition_config_selectorILNS1_17partition_subalgoE9EllbEEZZNS1_14partition_implILS5_9ELb0ES3_jPlS8_PNS0_10empty_typeENS0_5tupleIJS8_S9_EEENSB_IJS8_SA_EEENS0_18inequality_wrapperIZN2at6native12_GLOBAL__N_124unique_dim_cuda_templateIbEESt5tupleIJNSF_6TensorESK_SK_EERKSK_lbbbEUlllE0_EEPmJS9_EEE10hipError_tPvRmT3_T4_T5_T6_T7_T9_mT8_P12ihipStream_tbDpT10_ENKUlT_T0_E_clISt17integral_constantIbLb1EES1A_EEDaS15_S16_EUlS15_E_NS1_11comp_targetILNS1_3genE0ELNS1_11target_archE4294967295ELNS1_3gpuE0ELNS1_3repE0EEENS1_30default_config_static_selectorELNS0_4arch9wavefront6targetE0EEEvT1_,"axG",@progbits,_ZN7rocprim17ROCPRIM_400000_NS6detail17trampoline_kernelINS0_14default_configENS1_25partition_config_selectorILNS1_17partition_subalgoE9EllbEEZZNS1_14partition_implILS5_9ELb0ES3_jPlS8_PNS0_10empty_typeENS0_5tupleIJS8_S9_EEENSB_IJS8_SA_EEENS0_18inequality_wrapperIZN2at6native12_GLOBAL__N_124unique_dim_cuda_templateIbEESt5tupleIJNSF_6TensorESK_SK_EERKSK_lbbbEUlllE0_EEPmJS9_EEE10hipError_tPvRmT3_T4_T5_T6_T7_T9_mT8_P12ihipStream_tbDpT10_ENKUlT_T0_E_clISt17integral_constantIbLb1EES1A_EEDaS15_S16_EUlS15_E_NS1_11comp_targetILNS1_3genE0ELNS1_11target_archE4294967295ELNS1_3gpuE0ELNS1_3repE0EEENS1_30default_config_static_selectorELNS0_4arch9wavefront6targetE0EEEvT1_,comdat
	.globl	_ZN7rocprim17ROCPRIM_400000_NS6detail17trampoline_kernelINS0_14default_configENS1_25partition_config_selectorILNS1_17partition_subalgoE9EllbEEZZNS1_14partition_implILS5_9ELb0ES3_jPlS8_PNS0_10empty_typeENS0_5tupleIJS8_S9_EEENSB_IJS8_SA_EEENS0_18inequality_wrapperIZN2at6native12_GLOBAL__N_124unique_dim_cuda_templateIbEESt5tupleIJNSF_6TensorESK_SK_EERKSK_lbbbEUlllE0_EEPmJS9_EEE10hipError_tPvRmT3_T4_T5_T6_T7_T9_mT8_P12ihipStream_tbDpT10_ENKUlT_T0_E_clISt17integral_constantIbLb1EES1A_EEDaS15_S16_EUlS15_E_NS1_11comp_targetILNS1_3genE0ELNS1_11target_archE4294967295ELNS1_3gpuE0ELNS1_3repE0EEENS1_30default_config_static_selectorELNS0_4arch9wavefront6targetE0EEEvT1_ ; -- Begin function _ZN7rocprim17ROCPRIM_400000_NS6detail17trampoline_kernelINS0_14default_configENS1_25partition_config_selectorILNS1_17partition_subalgoE9EllbEEZZNS1_14partition_implILS5_9ELb0ES3_jPlS8_PNS0_10empty_typeENS0_5tupleIJS8_S9_EEENSB_IJS8_SA_EEENS0_18inequality_wrapperIZN2at6native12_GLOBAL__N_124unique_dim_cuda_templateIbEESt5tupleIJNSF_6TensorESK_SK_EERKSK_lbbbEUlllE0_EEPmJS9_EEE10hipError_tPvRmT3_T4_T5_T6_T7_T9_mT8_P12ihipStream_tbDpT10_ENKUlT_T0_E_clISt17integral_constantIbLb1EES1A_EEDaS15_S16_EUlS15_E_NS1_11comp_targetILNS1_3genE0ELNS1_11target_archE4294967295ELNS1_3gpuE0ELNS1_3repE0EEENS1_30default_config_static_selectorELNS0_4arch9wavefront6targetE0EEEvT1_
	.p2align	8
	.type	_ZN7rocprim17ROCPRIM_400000_NS6detail17trampoline_kernelINS0_14default_configENS1_25partition_config_selectorILNS1_17partition_subalgoE9EllbEEZZNS1_14partition_implILS5_9ELb0ES3_jPlS8_PNS0_10empty_typeENS0_5tupleIJS8_S9_EEENSB_IJS8_SA_EEENS0_18inequality_wrapperIZN2at6native12_GLOBAL__N_124unique_dim_cuda_templateIbEESt5tupleIJNSF_6TensorESK_SK_EERKSK_lbbbEUlllE0_EEPmJS9_EEE10hipError_tPvRmT3_T4_T5_T6_T7_T9_mT8_P12ihipStream_tbDpT10_ENKUlT_T0_E_clISt17integral_constantIbLb1EES1A_EEDaS15_S16_EUlS15_E_NS1_11comp_targetILNS1_3genE0ELNS1_11target_archE4294967295ELNS1_3gpuE0ELNS1_3repE0EEENS1_30default_config_static_selectorELNS0_4arch9wavefront6targetE0EEEvT1_,@function
_ZN7rocprim17ROCPRIM_400000_NS6detail17trampoline_kernelINS0_14default_configENS1_25partition_config_selectorILNS1_17partition_subalgoE9EllbEEZZNS1_14partition_implILS5_9ELb0ES3_jPlS8_PNS0_10empty_typeENS0_5tupleIJS8_S9_EEENSB_IJS8_SA_EEENS0_18inequality_wrapperIZN2at6native12_GLOBAL__N_124unique_dim_cuda_templateIbEESt5tupleIJNSF_6TensorESK_SK_EERKSK_lbbbEUlllE0_EEPmJS9_EEE10hipError_tPvRmT3_T4_T5_T6_T7_T9_mT8_P12ihipStream_tbDpT10_ENKUlT_T0_E_clISt17integral_constantIbLb1EES1A_EEDaS15_S16_EUlS15_E_NS1_11comp_targetILNS1_3genE0ELNS1_11target_archE4294967295ELNS1_3gpuE0ELNS1_3repE0EEENS1_30default_config_static_selectorELNS0_4arch9wavefront6targetE0EEEvT1_: ; @_ZN7rocprim17ROCPRIM_400000_NS6detail17trampoline_kernelINS0_14default_configENS1_25partition_config_selectorILNS1_17partition_subalgoE9EllbEEZZNS1_14partition_implILS5_9ELb0ES3_jPlS8_PNS0_10empty_typeENS0_5tupleIJS8_S9_EEENSB_IJS8_SA_EEENS0_18inequality_wrapperIZN2at6native12_GLOBAL__N_124unique_dim_cuda_templateIbEESt5tupleIJNSF_6TensorESK_SK_EERKSK_lbbbEUlllE0_EEPmJS9_EEE10hipError_tPvRmT3_T4_T5_T6_T7_T9_mT8_P12ihipStream_tbDpT10_ENKUlT_T0_E_clISt17integral_constantIbLb1EES1A_EEDaS15_S16_EUlS15_E_NS1_11comp_targetILNS1_3genE0ELNS1_11target_archE4294967295ELNS1_3gpuE0ELNS1_3repE0EEENS1_30default_config_static_selectorELNS0_4arch9wavefront6targetE0EEEvT1_
; %bb.0:
	.section	.rodata,"a",@progbits
	.p2align	6, 0x0
	.amdhsa_kernel _ZN7rocprim17ROCPRIM_400000_NS6detail17trampoline_kernelINS0_14default_configENS1_25partition_config_selectorILNS1_17partition_subalgoE9EllbEEZZNS1_14partition_implILS5_9ELb0ES3_jPlS8_PNS0_10empty_typeENS0_5tupleIJS8_S9_EEENSB_IJS8_SA_EEENS0_18inequality_wrapperIZN2at6native12_GLOBAL__N_124unique_dim_cuda_templateIbEESt5tupleIJNSF_6TensorESK_SK_EERKSK_lbbbEUlllE0_EEPmJS9_EEE10hipError_tPvRmT3_T4_T5_T6_T7_T9_mT8_P12ihipStream_tbDpT10_ENKUlT_T0_E_clISt17integral_constantIbLb1EES1A_EEDaS15_S16_EUlS15_E_NS1_11comp_targetILNS1_3genE0ELNS1_11target_archE4294967295ELNS1_3gpuE0ELNS1_3repE0EEENS1_30default_config_static_selectorELNS0_4arch9wavefront6targetE0EEEvT1_
		.amdhsa_group_segment_fixed_size 0
		.amdhsa_private_segment_fixed_size 0
		.amdhsa_kernarg_size 136
		.amdhsa_user_sgpr_count 15
		.amdhsa_user_sgpr_dispatch_ptr 0
		.amdhsa_user_sgpr_queue_ptr 0
		.amdhsa_user_sgpr_kernarg_segment_ptr 1
		.amdhsa_user_sgpr_dispatch_id 0
		.amdhsa_user_sgpr_private_segment_size 0
		.amdhsa_wavefront_size32 1
		.amdhsa_uses_dynamic_stack 0
		.amdhsa_enable_private_segment 0
		.amdhsa_system_sgpr_workgroup_id_x 1
		.amdhsa_system_sgpr_workgroup_id_y 0
		.amdhsa_system_sgpr_workgroup_id_z 0
		.amdhsa_system_sgpr_workgroup_info 0
		.amdhsa_system_vgpr_workitem_id 0
		.amdhsa_next_free_vgpr 1
		.amdhsa_next_free_sgpr 1
		.amdhsa_reserve_vcc 0
		.amdhsa_float_round_mode_32 0
		.amdhsa_float_round_mode_16_64 0
		.amdhsa_float_denorm_mode_32 3
		.amdhsa_float_denorm_mode_16_64 3
		.amdhsa_dx10_clamp 1
		.amdhsa_ieee_mode 1
		.amdhsa_fp16_overflow 0
		.amdhsa_workgroup_processor_mode 1
		.amdhsa_memory_ordered 1
		.amdhsa_forward_progress 0
		.amdhsa_shared_vgpr_count 0
		.amdhsa_exception_fp_ieee_invalid_op 0
		.amdhsa_exception_fp_denorm_src 0
		.amdhsa_exception_fp_ieee_div_zero 0
		.amdhsa_exception_fp_ieee_overflow 0
		.amdhsa_exception_fp_ieee_underflow 0
		.amdhsa_exception_fp_ieee_inexact 0
		.amdhsa_exception_int_div_zero 0
	.end_amdhsa_kernel
	.section	.text._ZN7rocprim17ROCPRIM_400000_NS6detail17trampoline_kernelINS0_14default_configENS1_25partition_config_selectorILNS1_17partition_subalgoE9EllbEEZZNS1_14partition_implILS5_9ELb0ES3_jPlS8_PNS0_10empty_typeENS0_5tupleIJS8_S9_EEENSB_IJS8_SA_EEENS0_18inequality_wrapperIZN2at6native12_GLOBAL__N_124unique_dim_cuda_templateIbEESt5tupleIJNSF_6TensorESK_SK_EERKSK_lbbbEUlllE0_EEPmJS9_EEE10hipError_tPvRmT3_T4_T5_T6_T7_T9_mT8_P12ihipStream_tbDpT10_ENKUlT_T0_E_clISt17integral_constantIbLb1EES1A_EEDaS15_S16_EUlS15_E_NS1_11comp_targetILNS1_3genE0ELNS1_11target_archE4294967295ELNS1_3gpuE0ELNS1_3repE0EEENS1_30default_config_static_selectorELNS0_4arch9wavefront6targetE0EEEvT1_,"axG",@progbits,_ZN7rocprim17ROCPRIM_400000_NS6detail17trampoline_kernelINS0_14default_configENS1_25partition_config_selectorILNS1_17partition_subalgoE9EllbEEZZNS1_14partition_implILS5_9ELb0ES3_jPlS8_PNS0_10empty_typeENS0_5tupleIJS8_S9_EEENSB_IJS8_SA_EEENS0_18inequality_wrapperIZN2at6native12_GLOBAL__N_124unique_dim_cuda_templateIbEESt5tupleIJNSF_6TensorESK_SK_EERKSK_lbbbEUlllE0_EEPmJS9_EEE10hipError_tPvRmT3_T4_T5_T6_T7_T9_mT8_P12ihipStream_tbDpT10_ENKUlT_T0_E_clISt17integral_constantIbLb1EES1A_EEDaS15_S16_EUlS15_E_NS1_11comp_targetILNS1_3genE0ELNS1_11target_archE4294967295ELNS1_3gpuE0ELNS1_3repE0EEENS1_30default_config_static_selectorELNS0_4arch9wavefront6targetE0EEEvT1_,comdat
.Lfunc_end1091:
	.size	_ZN7rocprim17ROCPRIM_400000_NS6detail17trampoline_kernelINS0_14default_configENS1_25partition_config_selectorILNS1_17partition_subalgoE9EllbEEZZNS1_14partition_implILS5_9ELb0ES3_jPlS8_PNS0_10empty_typeENS0_5tupleIJS8_S9_EEENSB_IJS8_SA_EEENS0_18inequality_wrapperIZN2at6native12_GLOBAL__N_124unique_dim_cuda_templateIbEESt5tupleIJNSF_6TensorESK_SK_EERKSK_lbbbEUlllE0_EEPmJS9_EEE10hipError_tPvRmT3_T4_T5_T6_T7_T9_mT8_P12ihipStream_tbDpT10_ENKUlT_T0_E_clISt17integral_constantIbLb1EES1A_EEDaS15_S16_EUlS15_E_NS1_11comp_targetILNS1_3genE0ELNS1_11target_archE4294967295ELNS1_3gpuE0ELNS1_3repE0EEENS1_30default_config_static_selectorELNS0_4arch9wavefront6targetE0EEEvT1_, .Lfunc_end1091-_ZN7rocprim17ROCPRIM_400000_NS6detail17trampoline_kernelINS0_14default_configENS1_25partition_config_selectorILNS1_17partition_subalgoE9EllbEEZZNS1_14partition_implILS5_9ELb0ES3_jPlS8_PNS0_10empty_typeENS0_5tupleIJS8_S9_EEENSB_IJS8_SA_EEENS0_18inequality_wrapperIZN2at6native12_GLOBAL__N_124unique_dim_cuda_templateIbEESt5tupleIJNSF_6TensorESK_SK_EERKSK_lbbbEUlllE0_EEPmJS9_EEE10hipError_tPvRmT3_T4_T5_T6_T7_T9_mT8_P12ihipStream_tbDpT10_ENKUlT_T0_E_clISt17integral_constantIbLb1EES1A_EEDaS15_S16_EUlS15_E_NS1_11comp_targetILNS1_3genE0ELNS1_11target_archE4294967295ELNS1_3gpuE0ELNS1_3repE0EEENS1_30default_config_static_selectorELNS0_4arch9wavefront6targetE0EEEvT1_
                                        ; -- End function
	.section	.AMDGPU.csdata,"",@progbits
; Kernel info:
; codeLenInByte = 0
; NumSgprs: 0
; NumVgprs: 0
; ScratchSize: 0
; MemoryBound: 0
; FloatMode: 240
; IeeeMode: 1
; LDSByteSize: 0 bytes/workgroup (compile time only)
; SGPRBlocks: 0
; VGPRBlocks: 0
; NumSGPRsForWavesPerEU: 1
; NumVGPRsForWavesPerEU: 1
; Occupancy: 16
; WaveLimiterHint : 0
; COMPUTE_PGM_RSRC2:SCRATCH_EN: 0
; COMPUTE_PGM_RSRC2:USER_SGPR: 15
; COMPUTE_PGM_RSRC2:TRAP_HANDLER: 0
; COMPUTE_PGM_RSRC2:TGID_X_EN: 1
; COMPUTE_PGM_RSRC2:TGID_Y_EN: 0
; COMPUTE_PGM_RSRC2:TGID_Z_EN: 0
; COMPUTE_PGM_RSRC2:TIDIG_COMP_CNT: 0
	.section	.text._ZN7rocprim17ROCPRIM_400000_NS6detail17trampoline_kernelINS0_14default_configENS1_25partition_config_selectorILNS1_17partition_subalgoE9EllbEEZZNS1_14partition_implILS5_9ELb0ES3_jPlS8_PNS0_10empty_typeENS0_5tupleIJS8_S9_EEENSB_IJS8_SA_EEENS0_18inequality_wrapperIZN2at6native12_GLOBAL__N_124unique_dim_cuda_templateIbEESt5tupleIJNSF_6TensorESK_SK_EERKSK_lbbbEUlllE0_EEPmJS9_EEE10hipError_tPvRmT3_T4_T5_T6_T7_T9_mT8_P12ihipStream_tbDpT10_ENKUlT_T0_E_clISt17integral_constantIbLb1EES1A_EEDaS15_S16_EUlS15_E_NS1_11comp_targetILNS1_3genE5ELNS1_11target_archE942ELNS1_3gpuE9ELNS1_3repE0EEENS1_30default_config_static_selectorELNS0_4arch9wavefront6targetE0EEEvT1_,"axG",@progbits,_ZN7rocprim17ROCPRIM_400000_NS6detail17trampoline_kernelINS0_14default_configENS1_25partition_config_selectorILNS1_17partition_subalgoE9EllbEEZZNS1_14partition_implILS5_9ELb0ES3_jPlS8_PNS0_10empty_typeENS0_5tupleIJS8_S9_EEENSB_IJS8_SA_EEENS0_18inequality_wrapperIZN2at6native12_GLOBAL__N_124unique_dim_cuda_templateIbEESt5tupleIJNSF_6TensorESK_SK_EERKSK_lbbbEUlllE0_EEPmJS9_EEE10hipError_tPvRmT3_T4_T5_T6_T7_T9_mT8_P12ihipStream_tbDpT10_ENKUlT_T0_E_clISt17integral_constantIbLb1EES1A_EEDaS15_S16_EUlS15_E_NS1_11comp_targetILNS1_3genE5ELNS1_11target_archE942ELNS1_3gpuE9ELNS1_3repE0EEENS1_30default_config_static_selectorELNS0_4arch9wavefront6targetE0EEEvT1_,comdat
	.globl	_ZN7rocprim17ROCPRIM_400000_NS6detail17trampoline_kernelINS0_14default_configENS1_25partition_config_selectorILNS1_17partition_subalgoE9EllbEEZZNS1_14partition_implILS5_9ELb0ES3_jPlS8_PNS0_10empty_typeENS0_5tupleIJS8_S9_EEENSB_IJS8_SA_EEENS0_18inequality_wrapperIZN2at6native12_GLOBAL__N_124unique_dim_cuda_templateIbEESt5tupleIJNSF_6TensorESK_SK_EERKSK_lbbbEUlllE0_EEPmJS9_EEE10hipError_tPvRmT3_T4_T5_T6_T7_T9_mT8_P12ihipStream_tbDpT10_ENKUlT_T0_E_clISt17integral_constantIbLb1EES1A_EEDaS15_S16_EUlS15_E_NS1_11comp_targetILNS1_3genE5ELNS1_11target_archE942ELNS1_3gpuE9ELNS1_3repE0EEENS1_30default_config_static_selectorELNS0_4arch9wavefront6targetE0EEEvT1_ ; -- Begin function _ZN7rocprim17ROCPRIM_400000_NS6detail17trampoline_kernelINS0_14default_configENS1_25partition_config_selectorILNS1_17partition_subalgoE9EllbEEZZNS1_14partition_implILS5_9ELb0ES3_jPlS8_PNS0_10empty_typeENS0_5tupleIJS8_S9_EEENSB_IJS8_SA_EEENS0_18inequality_wrapperIZN2at6native12_GLOBAL__N_124unique_dim_cuda_templateIbEESt5tupleIJNSF_6TensorESK_SK_EERKSK_lbbbEUlllE0_EEPmJS9_EEE10hipError_tPvRmT3_T4_T5_T6_T7_T9_mT8_P12ihipStream_tbDpT10_ENKUlT_T0_E_clISt17integral_constantIbLb1EES1A_EEDaS15_S16_EUlS15_E_NS1_11comp_targetILNS1_3genE5ELNS1_11target_archE942ELNS1_3gpuE9ELNS1_3repE0EEENS1_30default_config_static_selectorELNS0_4arch9wavefront6targetE0EEEvT1_
	.p2align	8
	.type	_ZN7rocprim17ROCPRIM_400000_NS6detail17trampoline_kernelINS0_14default_configENS1_25partition_config_selectorILNS1_17partition_subalgoE9EllbEEZZNS1_14partition_implILS5_9ELb0ES3_jPlS8_PNS0_10empty_typeENS0_5tupleIJS8_S9_EEENSB_IJS8_SA_EEENS0_18inequality_wrapperIZN2at6native12_GLOBAL__N_124unique_dim_cuda_templateIbEESt5tupleIJNSF_6TensorESK_SK_EERKSK_lbbbEUlllE0_EEPmJS9_EEE10hipError_tPvRmT3_T4_T5_T6_T7_T9_mT8_P12ihipStream_tbDpT10_ENKUlT_T0_E_clISt17integral_constantIbLb1EES1A_EEDaS15_S16_EUlS15_E_NS1_11comp_targetILNS1_3genE5ELNS1_11target_archE942ELNS1_3gpuE9ELNS1_3repE0EEENS1_30default_config_static_selectorELNS0_4arch9wavefront6targetE0EEEvT1_,@function
_ZN7rocprim17ROCPRIM_400000_NS6detail17trampoline_kernelINS0_14default_configENS1_25partition_config_selectorILNS1_17partition_subalgoE9EllbEEZZNS1_14partition_implILS5_9ELb0ES3_jPlS8_PNS0_10empty_typeENS0_5tupleIJS8_S9_EEENSB_IJS8_SA_EEENS0_18inequality_wrapperIZN2at6native12_GLOBAL__N_124unique_dim_cuda_templateIbEESt5tupleIJNSF_6TensorESK_SK_EERKSK_lbbbEUlllE0_EEPmJS9_EEE10hipError_tPvRmT3_T4_T5_T6_T7_T9_mT8_P12ihipStream_tbDpT10_ENKUlT_T0_E_clISt17integral_constantIbLb1EES1A_EEDaS15_S16_EUlS15_E_NS1_11comp_targetILNS1_3genE5ELNS1_11target_archE942ELNS1_3gpuE9ELNS1_3repE0EEENS1_30default_config_static_selectorELNS0_4arch9wavefront6targetE0EEEvT1_: ; @_ZN7rocprim17ROCPRIM_400000_NS6detail17trampoline_kernelINS0_14default_configENS1_25partition_config_selectorILNS1_17partition_subalgoE9EllbEEZZNS1_14partition_implILS5_9ELb0ES3_jPlS8_PNS0_10empty_typeENS0_5tupleIJS8_S9_EEENSB_IJS8_SA_EEENS0_18inequality_wrapperIZN2at6native12_GLOBAL__N_124unique_dim_cuda_templateIbEESt5tupleIJNSF_6TensorESK_SK_EERKSK_lbbbEUlllE0_EEPmJS9_EEE10hipError_tPvRmT3_T4_T5_T6_T7_T9_mT8_P12ihipStream_tbDpT10_ENKUlT_T0_E_clISt17integral_constantIbLb1EES1A_EEDaS15_S16_EUlS15_E_NS1_11comp_targetILNS1_3genE5ELNS1_11target_archE942ELNS1_3gpuE9ELNS1_3repE0EEENS1_30default_config_static_selectorELNS0_4arch9wavefront6targetE0EEEvT1_
; %bb.0:
	.section	.rodata,"a",@progbits
	.p2align	6, 0x0
	.amdhsa_kernel _ZN7rocprim17ROCPRIM_400000_NS6detail17trampoline_kernelINS0_14default_configENS1_25partition_config_selectorILNS1_17partition_subalgoE9EllbEEZZNS1_14partition_implILS5_9ELb0ES3_jPlS8_PNS0_10empty_typeENS0_5tupleIJS8_S9_EEENSB_IJS8_SA_EEENS0_18inequality_wrapperIZN2at6native12_GLOBAL__N_124unique_dim_cuda_templateIbEESt5tupleIJNSF_6TensorESK_SK_EERKSK_lbbbEUlllE0_EEPmJS9_EEE10hipError_tPvRmT3_T4_T5_T6_T7_T9_mT8_P12ihipStream_tbDpT10_ENKUlT_T0_E_clISt17integral_constantIbLb1EES1A_EEDaS15_S16_EUlS15_E_NS1_11comp_targetILNS1_3genE5ELNS1_11target_archE942ELNS1_3gpuE9ELNS1_3repE0EEENS1_30default_config_static_selectorELNS0_4arch9wavefront6targetE0EEEvT1_
		.amdhsa_group_segment_fixed_size 0
		.amdhsa_private_segment_fixed_size 0
		.amdhsa_kernarg_size 136
		.amdhsa_user_sgpr_count 15
		.amdhsa_user_sgpr_dispatch_ptr 0
		.amdhsa_user_sgpr_queue_ptr 0
		.amdhsa_user_sgpr_kernarg_segment_ptr 1
		.amdhsa_user_sgpr_dispatch_id 0
		.amdhsa_user_sgpr_private_segment_size 0
		.amdhsa_wavefront_size32 1
		.amdhsa_uses_dynamic_stack 0
		.amdhsa_enable_private_segment 0
		.amdhsa_system_sgpr_workgroup_id_x 1
		.amdhsa_system_sgpr_workgroup_id_y 0
		.amdhsa_system_sgpr_workgroup_id_z 0
		.amdhsa_system_sgpr_workgroup_info 0
		.amdhsa_system_vgpr_workitem_id 0
		.amdhsa_next_free_vgpr 1
		.amdhsa_next_free_sgpr 1
		.amdhsa_reserve_vcc 0
		.amdhsa_float_round_mode_32 0
		.amdhsa_float_round_mode_16_64 0
		.amdhsa_float_denorm_mode_32 3
		.amdhsa_float_denorm_mode_16_64 3
		.amdhsa_dx10_clamp 1
		.amdhsa_ieee_mode 1
		.amdhsa_fp16_overflow 0
		.amdhsa_workgroup_processor_mode 1
		.amdhsa_memory_ordered 1
		.amdhsa_forward_progress 0
		.amdhsa_shared_vgpr_count 0
		.amdhsa_exception_fp_ieee_invalid_op 0
		.amdhsa_exception_fp_denorm_src 0
		.amdhsa_exception_fp_ieee_div_zero 0
		.amdhsa_exception_fp_ieee_overflow 0
		.amdhsa_exception_fp_ieee_underflow 0
		.amdhsa_exception_fp_ieee_inexact 0
		.amdhsa_exception_int_div_zero 0
	.end_amdhsa_kernel
	.section	.text._ZN7rocprim17ROCPRIM_400000_NS6detail17trampoline_kernelINS0_14default_configENS1_25partition_config_selectorILNS1_17partition_subalgoE9EllbEEZZNS1_14partition_implILS5_9ELb0ES3_jPlS8_PNS0_10empty_typeENS0_5tupleIJS8_S9_EEENSB_IJS8_SA_EEENS0_18inequality_wrapperIZN2at6native12_GLOBAL__N_124unique_dim_cuda_templateIbEESt5tupleIJNSF_6TensorESK_SK_EERKSK_lbbbEUlllE0_EEPmJS9_EEE10hipError_tPvRmT3_T4_T5_T6_T7_T9_mT8_P12ihipStream_tbDpT10_ENKUlT_T0_E_clISt17integral_constantIbLb1EES1A_EEDaS15_S16_EUlS15_E_NS1_11comp_targetILNS1_3genE5ELNS1_11target_archE942ELNS1_3gpuE9ELNS1_3repE0EEENS1_30default_config_static_selectorELNS0_4arch9wavefront6targetE0EEEvT1_,"axG",@progbits,_ZN7rocprim17ROCPRIM_400000_NS6detail17trampoline_kernelINS0_14default_configENS1_25partition_config_selectorILNS1_17partition_subalgoE9EllbEEZZNS1_14partition_implILS5_9ELb0ES3_jPlS8_PNS0_10empty_typeENS0_5tupleIJS8_S9_EEENSB_IJS8_SA_EEENS0_18inequality_wrapperIZN2at6native12_GLOBAL__N_124unique_dim_cuda_templateIbEESt5tupleIJNSF_6TensorESK_SK_EERKSK_lbbbEUlllE0_EEPmJS9_EEE10hipError_tPvRmT3_T4_T5_T6_T7_T9_mT8_P12ihipStream_tbDpT10_ENKUlT_T0_E_clISt17integral_constantIbLb1EES1A_EEDaS15_S16_EUlS15_E_NS1_11comp_targetILNS1_3genE5ELNS1_11target_archE942ELNS1_3gpuE9ELNS1_3repE0EEENS1_30default_config_static_selectorELNS0_4arch9wavefront6targetE0EEEvT1_,comdat
.Lfunc_end1092:
	.size	_ZN7rocprim17ROCPRIM_400000_NS6detail17trampoline_kernelINS0_14default_configENS1_25partition_config_selectorILNS1_17partition_subalgoE9EllbEEZZNS1_14partition_implILS5_9ELb0ES3_jPlS8_PNS0_10empty_typeENS0_5tupleIJS8_S9_EEENSB_IJS8_SA_EEENS0_18inequality_wrapperIZN2at6native12_GLOBAL__N_124unique_dim_cuda_templateIbEESt5tupleIJNSF_6TensorESK_SK_EERKSK_lbbbEUlllE0_EEPmJS9_EEE10hipError_tPvRmT3_T4_T5_T6_T7_T9_mT8_P12ihipStream_tbDpT10_ENKUlT_T0_E_clISt17integral_constantIbLb1EES1A_EEDaS15_S16_EUlS15_E_NS1_11comp_targetILNS1_3genE5ELNS1_11target_archE942ELNS1_3gpuE9ELNS1_3repE0EEENS1_30default_config_static_selectorELNS0_4arch9wavefront6targetE0EEEvT1_, .Lfunc_end1092-_ZN7rocprim17ROCPRIM_400000_NS6detail17trampoline_kernelINS0_14default_configENS1_25partition_config_selectorILNS1_17partition_subalgoE9EllbEEZZNS1_14partition_implILS5_9ELb0ES3_jPlS8_PNS0_10empty_typeENS0_5tupleIJS8_S9_EEENSB_IJS8_SA_EEENS0_18inequality_wrapperIZN2at6native12_GLOBAL__N_124unique_dim_cuda_templateIbEESt5tupleIJNSF_6TensorESK_SK_EERKSK_lbbbEUlllE0_EEPmJS9_EEE10hipError_tPvRmT3_T4_T5_T6_T7_T9_mT8_P12ihipStream_tbDpT10_ENKUlT_T0_E_clISt17integral_constantIbLb1EES1A_EEDaS15_S16_EUlS15_E_NS1_11comp_targetILNS1_3genE5ELNS1_11target_archE942ELNS1_3gpuE9ELNS1_3repE0EEENS1_30default_config_static_selectorELNS0_4arch9wavefront6targetE0EEEvT1_
                                        ; -- End function
	.section	.AMDGPU.csdata,"",@progbits
; Kernel info:
; codeLenInByte = 0
; NumSgprs: 0
; NumVgprs: 0
; ScratchSize: 0
; MemoryBound: 0
; FloatMode: 240
; IeeeMode: 1
; LDSByteSize: 0 bytes/workgroup (compile time only)
; SGPRBlocks: 0
; VGPRBlocks: 0
; NumSGPRsForWavesPerEU: 1
; NumVGPRsForWavesPerEU: 1
; Occupancy: 16
; WaveLimiterHint : 0
; COMPUTE_PGM_RSRC2:SCRATCH_EN: 0
; COMPUTE_PGM_RSRC2:USER_SGPR: 15
; COMPUTE_PGM_RSRC2:TRAP_HANDLER: 0
; COMPUTE_PGM_RSRC2:TGID_X_EN: 1
; COMPUTE_PGM_RSRC2:TGID_Y_EN: 0
; COMPUTE_PGM_RSRC2:TGID_Z_EN: 0
; COMPUTE_PGM_RSRC2:TIDIG_COMP_CNT: 0
	.section	.text._ZN7rocprim17ROCPRIM_400000_NS6detail17trampoline_kernelINS0_14default_configENS1_25partition_config_selectorILNS1_17partition_subalgoE9EllbEEZZNS1_14partition_implILS5_9ELb0ES3_jPlS8_PNS0_10empty_typeENS0_5tupleIJS8_S9_EEENSB_IJS8_SA_EEENS0_18inequality_wrapperIZN2at6native12_GLOBAL__N_124unique_dim_cuda_templateIbEESt5tupleIJNSF_6TensorESK_SK_EERKSK_lbbbEUlllE0_EEPmJS9_EEE10hipError_tPvRmT3_T4_T5_T6_T7_T9_mT8_P12ihipStream_tbDpT10_ENKUlT_T0_E_clISt17integral_constantIbLb1EES1A_EEDaS15_S16_EUlS15_E_NS1_11comp_targetILNS1_3genE4ELNS1_11target_archE910ELNS1_3gpuE8ELNS1_3repE0EEENS1_30default_config_static_selectorELNS0_4arch9wavefront6targetE0EEEvT1_,"axG",@progbits,_ZN7rocprim17ROCPRIM_400000_NS6detail17trampoline_kernelINS0_14default_configENS1_25partition_config_selectorILNS1_17partition_subalgoE9EllbEEZZNS1_14partition_implILS5_9ELb0ES3_jPlS8_PNS0_10empty_typeENS0_5tupleIJS8_S9_EEENSB_IJS8_SA_EEENS0_18inequality_wrapperIZN2at6native12_GLOBAL__N_124unique_dim_cuda_templateIbEESt5tupleIJNSF_6TensorESK_SK_EERKSK_lbbbEUlllE0_EEPmJS9_EEE10hipError_tPvRmT3_T4_T5_T6_T7_T9_mT8_P12ihipStream_tbDpT10_ENKUlT_T0_E_clISt17integral_constantIbLb1EES1A_EEDaS15_S16_EUlS15_E_NS1_11comp_targetILNS1_3genE4ELNS1_11target_archE910ELNS1_3gpuE8ELNS1_3repE0EEENS1_30default_config_static_selectorELNS0_4arch9wavefront6targetE0EEEvT1_,comdat
	.globl	_ZN7rocprim17ROCPRIM_400000_NS6detail17trampoline_kernelINS0_14default_configENS1_25partition_config_selectorILNS1_17partition_subalgoE9EllbEEZZNS1_14partition_implILS5_9ELb0ES3_jPlS8_PNS0_10empty_typeENS0_5tupleIJS8_S9_EEENSB_IJS8_SA_EEENS0_18inequality_wrapperIZN2at6native12_GLOBAL__N_124unique_dim_cuda_templateIbEESt5tupleIJNSF_6TensorESK_SK_EERKSK_lbbbEUlllE0_EEPmJS9_EEE10hipError_tPvRmT3_T4_T5_T6_T7_T9_mT8_P12ihipStream_tbDpT10_ENKUlT_T0_E_clISt17integral_constantIbLb1EES1A_EEDaS15_S16_EUlS15_E_NS1_11comp_targetILNS1_3genE4ELNS1_11target_archE910ELNS1_3gpuE8ELNS1_3repE0EEENS1_30default_config_static_selectorELNS0_4arch9wavefront6targetE0EEEvT1_ ; -- Begin function _ZN7rocprim17ROCPRIM_400000_NS6detail17trampoline_kernelINS0_14default_configENS1_25partition_config_selectorILNS1_17partition_subalgoE9EllbEEZZNS1_14partition_implILS5_9ELb0ES3_jPlS8_PNS0_10empty_typeENS0_5tupleIJS8_S9_EEENSB_IJS8_SA_EEENS0_18inequality_wrapperIZN2at6native12_GLOBAL__N_124unique_dim_cuda_templateIbEESt5tupleIJNSF_6TensorESK_SK_EERKSK_lbbbEUlllE0_EEPmJS9_EEE10hipError_tPvRmT3_T4_T5_T6_T7_T9_mT8_P12ihipStream_tbDpT10_ENKUlT_T0_E_clISt17integral_constantIbLb1EES1A_EEDaS15_S16_EUlS15_E_NS1_11comp_targetILNS1_3genE4ELNS1_11target_archE910ELNS1_3gpuE8ELNS1_3repE0EEENS1_30default_config_static_selectorELNS0_4arch9wavefront6targetE0EEEvT1_
	.p2align	8
	.type	_ZN7rocprim17ROCPRIM_400000_NS6detail17trampoline_kernelINS0_14default_configENS1_25partition_config_selectorILNS1_17partition_subalgoE9EllbEEZZNS1_14partition_implILS5_9ELb0ES3_jPlS8_PNS0_10empty_typeENS0_5tupleIJS8_S9_EEENSB_IJS8_SA_EEENS0_18inequality_wrapperIZN2at6native12_GLOBAL__N_124unique_dim_cuda_templateIbEESt5tupleIJNSF_6TensorESK_SK_EERKSK_lbbbEUlllE0_EEPmJS9_EEE10hipError_tPvRmT3_T4_T5_T6_T7_T9_mT8_P12ihipStream_tbDpT10_ENKUlT_T0_E_clISt17integral_constantIbLb1EES1A_EEDaS15_S16_EUlS15_E_NS1_11comp_targetILNS1_3genE4ELNS1_11target_archE910ELNS1_3gpuE8ELNS1_3repE0EEENS1_30default_config_static_selectorELNS0_4arch9wavefront6targetE0EEEvT1_,@function
_ZN7rocprim17ROCPRIM_400000_NS6detail17trampoline_kernelINS0_14default_configENS1_25partition_config_selectorILNS1_17partition_subalgoE9EllbEEZZNS1_14partition_implILS5_9ELb0ES3_jPlS8_PNS0_10empty_typeENS0_5tupleIJS8_S9_EEENSB_IJS8_SA_EEENS0_18inequality_wrapperIZN2at6native12_GLOBAL__N_124unique_dim_cuda_templateIbEESt5tupleIJNSF_6TensorESK_SK_EERKSK_lbbbEUlllE0_EEPmJS9_EEE10hipError_tPvRmT3_T4_T5_T6_T7_T9_mT8_P12ihipStream_tbDpT10_ENKUlT_T0_E_clISt17integral_constantIbLb1EES1A_EEDaS15_S16_EUlS15_E_NS1_11comp_targetILNS1_3genE4ELNS1_11target_archE910ELNS1_3gpuE8ELNS1_3repE0EEENS1_30default_config_static_selectorELNS0_4arch9wavefront6targetE0EEEvT1_: ; @_ZN7rocprim17ROCPRIM_400000_NS6detail17trampoline_kernelINS0_14default_configENS1_25partition_config_selectorILNS1_17partition_subalgoE9EllbEEZZNS1_14partition_implILS5_9ELb0ES3_jPlS8_PNS0_10empty_typeENS0_5tupleIJS8_S9_EEENSB_IJS8_SA_EEENS0_18inequality_wrapperIZN2at6native12_GLOBAL__N_124unique_dim_cuda_templateIbEESt5tupleIJNSF_6TensorESK_SK_EERKSK_lbbbEUlllE0_EEPmJS9_EEE10hipError_tPvRmT3_T4_T5_T6_T7_T9_mT8_P12ihipStream_tbDpT10_ENKUlT_T0_E_clISt17integral_constantIbLb1EES1A_EEDaS15_S16_EUlS15_E_NS1_11comp_targetILNS1_3genE4ELNS1_11target_archE910ELNS1_3gpuE8ELNS1_3repE0EEENS1_30default_config_static_selectorELNS0_4arch9wavefront6targetE0EEEvT1_
; %bb.0:
	.section	.rodata,"a",@progbits
	.p2align	6, 0x0
	.amdhsa_kernel _ZN7rocprim17ROCPRIM_400000_NS6detail17trampoline_kernelINS0_14default_configENS1_25partition_config_selectorILNS1_17partition_subalgoE9EllbEEZZNS1_14partition_implILS5_9ELb0ES3_jPlS8_PNS0_10empty_typeENS0_5tupleIJS8_S9_EEENSB_IJS8_SA_EEENS0_18inequality_wrapperIZN2at6native12_GLOBAL__N_124unique_dim_cuda_templateIbEESt5tupleIJNSF_6TensorESK_SK_EERKSK_lbbbEUlllE0_EEPmJS9_EEE10hipError_tPvRmT3_T4_T5_T6_T7_T9_mT8_P12ihipStream_tbDpT10_ENKUlT_T0_E_clISt17integral_constantIbLb1EES1A_EEDaS15_S16_EUlS15_E_NS1_11comp_targetILNS1_3genE4ELNS1_11target_archE910ELNS1_3gpuE8ELNS1_3repE0EEENS1_30default_config_static_selectorELNS0_4arch9wavefront6targetE0EEEvT1_
		.amdhsa_group_segment_fixed_size 0
		.amdhsa_private_segment_fixed_size 0
		.amdhsa_kernarg_size 136
		.amdhsa_user_sgpr_count 15
		.amdhsa_user_sgpr_dispatch_ptr 0
		.amdhsa_user_sgpr_queue_ptr 0
		.amdhsa_user_sgpr_kernarg_segment_ptr 1
		.amdhsa_user_sgpr_dispatch_id 0
		.amdhsa_user_sgpr_private_segment_size 0
		.amdhsa_wavefront_size32 1
		.amdhsa_uses_dynamic_stack 0
		.amdhsa_enable_private_segment 0
		.amdhsa_system_sgpr_workgroup_id_x 1
		.amdhsa_system_sgpr_workgroup_id_y 0
		.amdhsa_system_sgpr_workgroup_id_z 0
		.amdhsa_system_sgpr_workgroup_info 0
		.amdhsa_system_vgpr_workitem_id 0
		.amdhsa_next_free_vgpr 1
		.amdhsa_next_free_sgpr 1
		.amdhsa_reserve_vcc 0
		.amdhsa_float_round_mode_32 0
		.amdhsa_float_round_mode_16_64 0
		.amdhsa_float_denorm_mode_32 3
		.amdhsa_float_denorm_mode_16_64 3
		.amdhsa_dx10_clamp 1
		.amdhsa_ieee_mode 1
		.amdhsa_fp16_overflow 0
		.amdhsa_workgroup_processor_mode 1
		.amdhsa_memory_ordered 1
		.amdhsa_forward_progress 0
		.amdhsa_shared_vgpr_count 0
		.amdhsa_exception_fp_ieee_invalid_op 0
		.amdhsa_exception_fp_denorm_src 0
		.amdhsa_exception_fp_ieee_div_zero 0
		.amdhsa_exception_fp_ieee_overflow 0
		.amdhsa_exception_fp_ieee_underflow 0
		.amdhsa_exception_fp_ieee_inexact 0
		.amdhsa_exception_int_div_zero 0
	.end_amdhsa_kernel
	.section	.text._ZN7rocprim17ROCPRIM_400000_NS6detail17trampoline_kernelINS0_14default_configENS1_25partition_config_selectorILNS1_17partition_subalgoE9EllbEEZZNS1_14partition_implILS5_9ELb0ES3_jPlS8_PNS0_10empty_typeENS0_5tupleIJS8_S9_EEENSB_IJS8_SA_EEENS0_18inequality_wrapperIZN2at6native12_GLOBAL__N_124unique_dim_cuda_templateIbEESt5tupleIJNSF_6TensorESK_SK_EERKSK_lbbbEUlllE0_EEPmJS9_EEE10hipError_tPvRmT3_T4_T5_T6_T7_T9_mT8_P12ihipStream_tbDpT10_ENKUlT_T0_E_clISt17integral_constantIbLb1EES1A_EEDaS15_S16_EUlS15_E_NS1_11comp_targetILNS1_3genE4ELNS1_11target_archE910ELNS1_3gpuE8ELNS1_3repE0EEENS1_30default_config_static_selectorELNS0_4arch9wavefront6targetE0EEEvT1_,"axG",@progbits,_ZN7rocprim17ROCPRIM_400000_NS6detail17trampoline_kernelINS0_14default_configENS1_25partition_config_selectorILNS1_17partition_subalgoE9EllbEEZZNS1_14partition_implILS5_9ELb0ES3_jPlS8_PNS0_10empty_typeENS0_5tupleIJS8_S9_EEENSB_IJS8_SA_EEENS0_18inequality_wrapperIZN2at6native12_GLOBAL__N_124unique_dim_cuda_templateIbEESt5tupleIJNSF_6TensorESK_SK_EERKSK_lbbbEUlllE0_EEPmJS9_EEE10hipError_tPvRmT3_T4_T5_T6_T7_T9_mT8_P12ihipStream_tbDpT10_ENKUlT_T0_E_clISt17integral_constantIbLb1EES1A_EEDaS15_S16_EUlS15_E_NS1_11comp_targetILNS1_3genE4ELNS1_11target_archE910ELNS1_3gpuE8ELNS1_3repE0EEENS1_30default_config_static_selectorELNS0_4arch9wavefront6targetE0EEEvT1_,comdat
.Lfunc_end1093:
	.size	_ZN7rocprim17ROCPRIM_400000_NS6detail17trampoline_kernelINS0_14default_configENS1_25partition_config_selectorILNS1_17partition_subalgoE9EllbEEZZNS1_14partition_implILS5_9ELb0ES3_jPlS8_PNS0_10empty_typeENS0_5tupleIJS8_S9_EEENSB_IJS8_SA_EEENS0_18inequality_wrapperIZN2at6native12_GLOBAL__N_124unique_dim_cuda_templateIbEESt5tupleIJNSF_6TensorESK_SK_EERKSK_lbbbEUlllE0_EEPmJS9_EEE10hipError_tPvRmT3_T4_T5_T6_T7_T9_mT8_P12ihipStream_tbDpT10_ENKUlT_T0_E_clISt17integral_constantIbLb1EES1A_EEDaS15_S16_EUlS15_E_NS1_11comp_targetILNS1_3genE4ELNS1_11target_archE910ELNS1_3gpuE8ELNS1_3repE0EEENS1_30default_config_static_selectorELNS0_4arch9wavefront6targetE0EEEvT1_, .Lfunc_end1093-_ZN7rocprim17ROCPRIM_400000_NS6detail17trampoline_kernelINS0_14default_configENS1_25partition_config_selectorILNS1_17partition_subalgoE9EllbEEZZNS1_14partition_implILS5_9ELb0ES3_jPlS8_PNS0_10empty_typeENS0_5tupleIJS8_S9_EEENSB_IJS8_SA_EEENS0_18inequality_wrapperIZN2at6native12_GLOBAL__N_124unique_dim_cuda_templateIbEESt5tupleIJNSF_6TensorESK_SK_EERKSK_lbbbEUlllE0_EEPmJS9_EEE10hipError_tPvRmT3_T4_T5_T6_T7_T9_mT8_P12ihipStream_tbDpT10_ENKUlT_T0_E_clISt17integral_constantIbLb1EES1A_EEDaS15_S16_EUlS15_E_NS1_11comp_targetILNS1_3genE4ELNS1_11target_archE910ELNS1_3gpuE8ELNS1_3repE0EEENS1_30default_config_static_selectorELNS0_4arch9wavefront6targetE0EEEvT1_
                                        ; -- End function
	.section	.AMDGPU.csdata,"",@progbits
; Kernel info:
; codeLenInByte = 0
; NumSgprs: 0
; NumVgprs: 0
; ScratchSize: 0
; MemoryBound: 0
; FloatMode: 240
; IeeeMode: 1
; LDSByteSize: 0 bytes/workgroup (compile time only)
; SGPRBlocks: 0
; VGPRBlocks: 0
; NumSGPRsForWavesPerEU: 1
; NumVGPRsForWavesPerEU: 1
; Occupancy: 16
; WaveLimiterHint : 0
; COMPUTE_PGM_RSRC2:SCRATCH_EN: 0
; COMPUTE_PGM_RSRC2:USER_SGPR: 15
; COMPUTE_PGM_RSRC2:TRAP_HANDLER: 0
; COMPUTE_PGM_RSRC2:TGID_X_EN: 1
; COMPUTE_PGM_RSRC2:TGID_Y_EN: 0
; COMPUTE_PGM_RSRC2:TGID_Z_EN: 0
; COMPUTE_PGM_RSRC2:TIDIG_COMP_CNT: 0
	.section	.text._ZN7rocprim17ROCPRIM_400000_NS6detail17trampoline_kernelINS0_14default_configENS1_25partition_config_selectorILNS1_17partition_subalgoE9EllbEEZZNS1_14partition_implILS5_9ELb0ES3_jPlS8_PNS0_10empty_typeENS0_5tupleIJS8_S9_EEENSB_IJS8_SA_EEENS0_18inequality_wrapperIZN2at6native12_GLOBAL__N_124unique_dim_cuda_templateIbEESt5tupleIJNSF_6TensorESK_SK_EERKSK_lbbbEUlllE0_EEPmJS9_EEE10hipError_tPvRmT3_T4_T5_T6_T7_T9_mT8_P12ihipStream_tbDpT10_ENKUlT_T0_E_clISt17integral_constantIbLb1EES1A_EEDaS15_S16_EUlS15_E_NS1_11comp_targetILNS1_3genE3ELNS1_11target_archE908ELNS1_3gpuE7ELNS1_3repE0EEENS1_30default_config_static_selectorELNS0_4arch9wavefront6targetE0EEEvT1_,"axG",@progbits,_ZN7rocprim17ROCPRIM_400000_NS6detail17trampoline_kernelINS0_14default_configENS1_25partition_config_selectorILNS1_17partition_subalgoE9EllbEEZZNS1_14partition_implILS5_9ELb0ES3_jPlS8_PNS0_10empty_typeENS0_5tupleIJS8_S9_EEENSB_IJS8_SA_EEENS0_18inequality_wrapperIZN2at6native12_GLOBAL__N_124unique_dim_cuda_templateIbEESt5tupleIJNSF_6TensorESK_SK_EERKSK_lbbbEUlllE0_EEPmJS9_EEE10hipError_tPvRmT3_T4_T5_T6_T7_T9_mT8_P12ihipStream_tbDpT10_ENKUlT_T0_E_clISt17integral_constantIbLb1EES1A_EEDaS15_S16_EUlS15_E_NS1_11comp_targetILNS1_3genE3ELNS1_11target_archE908ELNS1_3gpuE7ELNS1_3repE0EEENS1_30default_config_static_selectorELNS0_4arch9wavefront6targetE0EEEvT1_,comdat
	.globl	_ZN7rocprim17ROCPRIM_400000_NS6detail17trampoline_kernelINS0_14default_configENS1_25partition_config_selectorILNS1_17partition_subalgoE9EllbEEZZNS1_14partition_implILS5_9ELb0ES3_jPlS8_PNS0_10empty_typeENS0_5tupleIJS8_S9_EEENSB_IJS8_SA_EEENS0_18inequality_wrapperIZN2at6native12_GLOBAL__N_124unique_dim_cuda_templateIbEESt5tupleIJNSF_6TensorESK_SK_EERKSK_lbbbEUlllE0_EEPmJS9_EEE10hipError_tPvRmT3_T4_T5_T6_T7_T9_mT8_P12ihipStream_tbDpT10_ENKUlT_T0_E_clISt17integral_constantIbLb1EES1A_EEDaS15_S16_EUlS15_E_NS1_11comp_targetILNS1_3genE3ELNS1_11target_archE908ELNS1_3gpuE7ELNS1_3repE0EEENS1_30default_config_static_selectorELNS0_4arch9wavefront6targetE0EEEvT1_ ; -- Begin function _ZN7rocprim17ROCPRIM_400000_NS6detail17trampoline_kernelINS0_14default_configENS1_25partition_config_selectorILNS1_17partition_subalgoE9EllbEEZZNS1_14partition_implILS5_9ELb0ES3_jPlS8_PNS0_10empty_typeENS0_5tupleIJS8_S9_EEENSB_IJS8_SA_EEENS0_18inequality_wrapperIZN2at6native12_GLOBAL__N_124unique_dim_cuda_templateIbEESt5tupleIJNSF_6TensorESK_SK_EERKSK_lbbbEUlllE0_EEPmJS9_EEE10hipError_tPvRmT3_T4_T5_T6_T7_T9_mT8_P12ihipStream_tbDpT10_ENKUlT_T0_E_clISt17integral_constantIbLb1EES1A_EEDaS15_S16_EUlS15_E_NS1_11comp_targetILNS1_3genE3ELNS1_11target_archE908ELNS1_3gpuE7ELNS1_3repE0EEENS1_30default_config_static_selectorELNS0_4arch9wavefront6targetE0EEEvT1_
	.p2align	8
	.type	_ZN7rocprim17ROCPRIM_400000_NS6detail17trampoline_kernelINS0_14default_configENS1_25partition_config_selectorILNS1_17partition_subalgoE9EllbEEZZNS1_14partition_implILS5_9ELb0ES3_jPlS8_PNS0_10empty_typeENS0_5tupleIJS8_S9_EEENSB_IJS8_SA_EEENS0_18inequality_wrapperIZN2at6native12_GLOBAL__N_124unique_dim_cuda_templateIbEESt5tupleIJNSF_6TensorESK_SK_EERKSK_lbbbEUlllE0_EEPmJS9_EEE10hipError_tPvRmT3_T4_T5_T6_T7_T9_mT8_P12ihipStream_tbDpT10_ENKUlT_T0_E_clISt17integral_constantIbLb1EES1A_EEDaS15_S16_EUlS15_E_NS1_11comp_targetILNS1_3genE3ELNS1_11target_archE908ELNS1_3gpuE7ELNS1_3repE0EEENS1_30default_config_static_selectorELNS0_4arch9wavefront6targetE0EEEvT1_,@function
_ZN7rocprim17ROCPRIM_400000_NS6detail17trampoline_kernelINS0_14default_configENS1_25partition_config_selectorILNS1_17partition_subalgoE9EllbEEZZNS1_14partition_implILS5_9ELb0ES3_jPlS8_PNS0_10empty_typeENS0_5tupleIJS8_S9_EEENSB_IJS8_SA_EEENS0_18inequality_wrapperIZN2at6native12_GLOBAL__N_124unique_dim_cuda_templateIbEESt5tupleIJNSF_6TensorESK_SK_EERKSK_lbbbEUlllE0_EEPmJS9_EEE10hipError_tPvRmT3_T4_T5_T6_T7_T9_mT8_P12ihipStream_tbDpT10_ENKUlT_T0_E_clISt17integral_constantIbLb1EES1A_EEDaS15_S16_EUlS15_E_NS1_11comp_targetILNS1_3genE3ELNS1_11target_archE908ELNS1_3gpuE7ELNS1_3repE0EEENS1_30default_config_static_selectorELNS0_4arch9wavefront6targetE0EEEvT1_: ; @_ZN7rocprim17ROCPRIM_400000_NS6detail17trampoline_kernelINS0_14default_configENS1_25partition_config_selectorILNS1_17partition_subalgoE9EllbEEZZNS1_14partition_implILS5_9ELb0ES3_jPlS8_PNS0_10empty_typeENS0_5tupleIJS8_S9_EEENSB_IJS8_SA_EEENS0_18inequality_wrapperIZN2at6native12_GLOBAL__N_124unique_dim_cuda_templateIbEESt5tupleIJNSF_6TensorESK_SK_EERKSK_lbbbEUlllE0_EEPmJS9_EEE10hipError_tPvRmT3_T4_T5_T6_T7_T9_mT8_P12ihipStream_tbDpT10_ENKUlT_T0_E_clISt17integral_constantIbLb1EES1A_EEDaS15_S16_EUlS15_E_NS1_11comp_targetILNS1_3genE3ELNS1_11target_archE908ELNS1_3gpuE7ELNS1_3repE0EEENS1_30default_config_static_selectorELNS0_4arch9wavefront6targetE0EEEvT1_
; %bb.0:
	.section	.rodata,"a",@progbits
	.p2align	6, 0x0
	.amdhsa_kernel _ZN7rocprim17ROCPRIM_400000_NS6detail17trampoline_kernelINS0_14default_configENS1_25partition_config_selectorILNS1_17partition_subalgoE9EllbEEZZNS1_14partition_implILS5_9ELb0ES3_jPlS8_PNS0_10empty_typeENS0_5tupleIJS8_S9_EEENSB_IJS8_SA_EEENS0_18inequality_wrapperIZN2at6native12_GLOBAL__N_124unique_dim_cuda_templateIbEESt5tupleIJNSF_6TensorESK_SK_EERKSK_lbbbEUlllE0_EEPmJS9_EEE10hipError_tPvRmT3_T4_T5_T6_T7_T9_mT8_P12ihipStream_tbDpT10_ENKUlT_T0_E_clISt17integral_constantIbLb1EES1A_EEDaS15_S16_EUlS15_E_NS1_11comp_targetILNS1_3genE3ELNS1_11target_archE908ELNS1_3gpuE7ELNS1_3repE0EEENS1_30default_config_static_selectorELNS0_4arch9wavefront6targetE0EEEvT1_
		.amdhsa_group_segment_fixed_size 0
		.amdhsa_private_segment_fixed_size 0
		.amdhsa_kernarg_size 136
		.amdhsa_user_sgpr_count 15
		.amdhsa_user_sgpr_dispatch_ptr 0
		.amdhsa_user_sgpr_queue_ptr 0
		.amdhsa_user_sgpr_kernarg_segment_ptr 1
		.amdhsa_user_sgpr_dispatch_id 0
		.amdhsa_user_sgpr_private_segment_size 0
		.amdhsa_wavefront_size32 1
		.amdhsa_uses_dynamic_stack 0
		.amdhsa_enable_private_segment 0
		.amdhsa_system_sgpr_workgroup_id_x 1
		.amdhsa_system_sgpr_workgroup_id_y 0
		.amdhsa_system_sgpr_workgroup_id_z 0
		.amdhsa_system_sgpr_workgroup_info 0
		.amdhsa_system_vgpr_workitem_id 0
		.amdhsa_next_free_vgpr 1
		.amdhsa_next_free_sgpr 1
		.amdhsa_reserve_vcc 0
		.amdhsa_float_round_mode_32 0
		.amdhsa_float_round_mode_16_64 0
		.amdhsa_float_denorm_mode_32 3
		.amdhsa_float_denorm_mode_16_64 3
		.amdhsa_dx10_clamp 1
		.amdhsa_ieee_mode 1
		.amdhsa_fp16_overflow 0
		.amdhsa_workgroup_processor_mode 1
		.amdhsa_memory_ordered 1
		.amdhsa_forward_progress 0
		.amdhsa_shared_vgpr_count 0
		.amdhsa_exception_fp_ieee_invalid_op 0
		.amdhsa_exception_fp_denorm_src 0
		.amdhsa_exception_fp_ieee_div_zero 0
		.amdhsa_exception_fp_ieee_overflow 0
		.amdhsa_exception_fp_ieee_underflow 0
		.amdhsa_exception_fp_ieee_inexact 0
		.amdhsa_exception_int_div_zero 0
	.end_amdhsa_kernel
	.section	.text._ZN7rocprim17ROCPRIM_400000_NS6detail17trampoline_kernelINS0_14default_configENS1_25partition_config_selectorILNS1_17partition_subalgoE9EllbEEZZNS1_14partition_implILS5_9ELb0ES3_jPlS8_PNS0_10empty_typeENS0_5tupleIJS8_S9_EEENSB_IJS8_SA_EEENS0_18inequality_wrapperIZN2at6native12_GLOBAL__N_124unique_dim_cuda_templateIbEESt5tupleIJNSF_6TensorESK_SK_EERKSK_lbbbEUlllE0_EEPmJS9_EEE10hipError_tPvRmT3_T4_T5_T6_T7_T9_mT8_P12ihipStream_tbDpT10_ENKUlT_T0_E_clISt17integral_constantIbLb1EES1A_EEDaS15_S16_EUlS15_E_NS1_11comp_targetILNS1_3genE3ELNS1_11target_archE908ELNS1_3gpuE7ELNS1_3repE0EEENS1_30default_config_static_selectorELNS0_4arch9wavefront6targetE0EEEvT1_,"axG",@progbits,_ZN7rocprim17ROCPRIM_400000_NS6detail17trampoline_kernelINS0_14default_configENS1_25partition_config_selectorILNS1_17partition_subalgoE9EllbEEZZNS1_14partition_implILS5_9ELb0ES3_jPlS8_PNS0_10empty_typeENS0_5tupleIJS8_S9_EEENSB_IJS8_SA_EEENS0_18inequality_wrapperIZN2at6native12_GLOBAL__N_124unique_dim_cuda_templateIbEESt5tupleIJNSF_6TensorESK_SK_EERKSK_lbbbEUlllE0_EEPmJS9_EEE10hipError_tPvRmT3_T4_T5_T6_T7_T9_mT8_P12ihipStream_tbDpT10_ENKUlT_T0_E_clISt17integral_constantIbLb1EES1A_EEDaS15_S16_EUlS15_E_NS1_11comp_targetILNS1_3genE3ELNS1_11target_archE908ELNS1_3gpuE7ELNS1_3repE0EEENS1_30default_config_static_selectorELNS0_4arch9wavefront6targetE0EEEvT1_,comdat
.Lfunc_end1094:
	.size	_ZN7rocprim17ROCPRIM_400000_NS6detail17trampoline_kernelINS0_14default_configENS1_25partition_config_selectorILNS1_17partition_subalgoE9EllbEEZZNS1_14partition_implILS5_9ELb0ES3_jPlS8_PNS0_10empty_typeENS0_5tupleIJS8_S9_EEENSB_IJS8_SA_EEENS0_18inequality_wrapperIZN2at6native12_GLOBAL__N_124unique_dim_cuda_templateIbEESt5tupleIJNSF_6TensorESK_SK_EERKSK_lbbbEUlllE0_EEPmJS9_EEE10hipError_tPvRmT3_T4_T5_T6_T7_T9_mT8_P12ihipStream_tbDpT10_ENKUlT_T0_E_clISt17integral_constantIbLb1EES1A_EEDaS15_S16_EUlS15_E_NS1_11comp_targetILNS1_3genE3ELNS1_11target_archE908ELNS1_3gpuE7ELNS1_3repE0EEENS1_30default_config_static_selectorELNS0_4arch9wavefront6targetE0EEEvT1_, .Lfunc_end1094-_ZN7rocprim17ROCPRIM_400000_NS6detail17trampoline_kernelINS0_14default_configENS1_25partition_config_selectorILNS1_17partition_subalgoE9EllbEEZZNS1_14partition_implILS5_9ELb0ES3_jPlS8_PNS0_10empty_typeENS0_5tupleIJS8_S9_EEENSB_IJS8_SA_EEENS0_18inequality_wrapperIZN2at6native12_GLOBAL__N_124unique_dim_cuda_templateIbEESt5tupleIJNSF_6TensorESK_SK_EERKSK_lbbbEUlllE0_EEPmJS9_EEE10hipError_tPvRmT3_T4_T5_T6_T7_T9_mT8_P12ihipStream_tbDpT10_ENKUlT_T0_E_clISt17integral_constantIbLb1EES1A_EEDaS15_S16_EUlS15_E_NS1_11comp_targetILNS1_3genE3ELNS1_11target_archE908ELNS1_3gpuE7ELNS1_3repE0EEENS1_30default_config_static_selectorELNS0_4arch9wavefront6targetE0EEEvT1_
                                        ; -- End function
	.section	.AMDGPU.csdata,"",@progbits
; Kernel info:
; codeLenInByte = 0
; NumSgprs: 0
; NumVgprs: 0
; ScratchSize: 0
; MemoryBound: 0
; FloatMode: 240
; IeeeMode: 1
; LDSByteSize: 0 bytes/workgroup (compile time only)
; SGPRBlocks: 0
; VGPRBlocks: 0
; NumSGPRsForWavesPerEU: 1
; NumVGPRsForWavesPerEU: 1
; Occupancy: 16
; WaveLimiterHint : 0
; COMPUTE_PGM_RSRC2:SCRATCH_EN: 0
; COMPUTE_PGM_RSRC2:USER_SGPR: 15
; COMPUTE_PGM_RSRC2:TRAP_HANDLER: 0
; COMPUTE_PGM_RSRC2:TGID_X_EN: 1
; COMPUTE_PGM_RSRC2:TGID_Y_EN: 0
; COMPUTE_PGM_RSRC2:TGID_Z_EN: 0
; COMPUTE_PGM_RSRC2:TIDIG_COMP_CNT: 0
	.section	.text._ZN7rocprim17ROCPRIM_400000_NS6detail17trampoline_kernelINS0_14default_configENS1_25partition_config_selectorILNS1_17partition_subalgoE9EllbEEZZNS1_14partition_implILS5_9ELb0ES3_jPlS8_PNS0_10empty_typeENS0_5tupleIJS8_S9_EEENSB_IJS8_SA_EEENS0_18inequality_wrapperIZN2at6native12_GLOBAL__N_124unique_dim_cuda_templateIbEESt5tupleIJNSF_6TensorESK_SK_EERKSK_lbbbEUlllE0_EEPmJS9_EEE10hipError_tPvRmT3_T4_T5_T6_T7_T9_mT8_P12ihipStream_tbDpT10_ENKUlT_T0_E_clISt17integral_constantIbLb1EES1A_EEDaS15_S16_EUlS15_E_NS1_11comp_targetILNS1_3genE2ELNS1_11target_archE906ELNS1_3gpuE6ELNS1_3repE0EEENS1_30default_config_static_selectorELNS0_4arch9wavefront6targetE0EEEvT1_,"axG",@progbits,_ZN7rocprim17ROCPRIM_400000_NS6detail17trampoline_kernelINS0_14default_configENS1_25partition_config_selectorILNS1_17partition_subalgoE9EllbEEZZNS1_14partition_implILS5_9ELb0ES3_jPlS8_PNS0_10empty_typeENS0_5tupleIJS8_S9_EEENSB_IJS8_SA_EEENS0_18inequality_wrapperIZN2at6native12_GLOBAL__N_124unique_dim_cuda_templateIbEESt5tupleIJNSF_6TensorESK_SK_EERKSK_lbbbEUlllE0_EEPmJS9_EEE10hipError_tPvRmT3_T4_T5_T6_T7_T9_mT8_P12ihipStream_tbDpT10_ENKUlT_T0_E_clISt17integral_constantIbLb1EES1A_EEDaS15_S16_EUlS15_E_NS1_11comp_targetILNS1_3genE2ELNS1_11target_archE906ELNS1_3gpuE6ELNS1_3repE0EEENS1_30default_config_static_selectorELNS0_4arch9wavefront6targetE0EEEvT1_,comdat
	.globl	_ZN7rocprim17ROCPRIM_400000_NS6detail17trampoline_kernelINS0_14default_configENS1_25partition_config_selectorILNS1_17partition_subalgoE9EllbEEZZNS1_14partition_implILS5_9ELb0ES3_jPlS8_PNS0_10empty_typeENS0_5tupleIJS8_S9_EEENSB_IJS8_SA_EEENS0_18inequality_wrapperIZN2at6native12_GLOBAL__N_124unique_dim_cuda_templateIbEESt5tupleIJNSF_6TensorESK_SK_EERKSK_lbbbEUlllE0_EEPmJS9_EEE10hipError_tPvRmT3_T4_T5_T6_T7_T9_mT8_P12ihipStream_tbDpT10_ENKUlT_T0_E_clISt17integral_constantIbLb1EES1A_EEDaS15_S16_EUlS15_E_NS1_11comp_targetILNS1_3genE2ELNS1_11target_archE906ELNS1_3gpuE6ELNS1_3repE0EEENS1_30default_config_static_selectorELNS0_4arch9wavefront6targetE0EEEvT1_ ; -- Begin function _ZN7rocprim17ROCPRIM_400000_NS6detail17trampoline_kernelINS0_14default_configENS1_25partition_config_selectorILNS1_17partition_subalgoE9EllbEEZZNS1_14partition_implILS5_9ELb0ES3_jPlS8_PNS0_10empty_typeENS0_5tupleIJS8_S9_EEENSB_IJS8_SA_EEENS0_18inequality_wrapperIZN2at6native12_GLOBAL__N_124unique_dim_cuda_templateIbEESt5tupleIJNSF_6TensorESK_SK_EERKSK_lbbbEUlllE0_EEPmJS9_EEE10hipError_tPvRmT3_T4_T5_T6_T7_T9_mT8_P12ihipStream_tbDpT10_ENKUlT_T0_E_clISt17integral_constantIbLb1EES1A_EEDaS15_S16_EUlS15_E_NS1_11comp_targetILNS1_3genE2ELNS1_11target_archE906ELNS1_3gpuE6ELNS1_3repE0EEENS1_30default_config_static_selectorELNS0_4arch9wavefront6targetE0EEEvT1_
	.p2align	8
	.type	_ZN7rocprim17ROCPRIM_400000_NS6detail17trampoline_kernelINS0_14default_configENS1_25partition_config_selectorILNS1_17partition_subalgoE9EllbEEZZNS1_14partition_implILS5_9ELb0ES3_jPlS8_PNS0_10empty_typeENS0_5tupleIJS8_S9_EEENSB_IJS8_SA_EEENS0_18inequality_wrapperIZN2at6native12_GLOBAL__N_124unique_dim_cuda_templateIbEESt5tupleIJNSF_6TensorESK_SK_EERKSK_lbbbEUlllE0_EEPmJS9_EEE10hipError_tPvRmT3_T4_T5_T6_T7_T9_mT8_P12ihipStream_tbDpT10_ENKUlT_T0_E_clISt17integral_constantIbLb1EES1A_EEDaS15_S16_EUlS15_E_NS1_11comp_targetILNS1_3genE2ELNS1_11target_archE906ELNS1_3gpuE6ELNS1_3repE0EEENS1_30default_config_static_selectorELNS0_4arch9wavefront6targetE0EEEvT1_,@function
_ZN7rocprim17ROCPRIM_400000_NS6detail17trampoline_kernelINS0_14default_configENS1_25partition_config_selectorILNS1_17partition_subalgoE9EllbEEZZNS1_14partition_implILS5_9ELb0ES3_jPlS8_PNS0_10empty_typeENS0_5tupleIJS8_S9_EEENSB_IJS8_SA_EEENS0_18inequality_wrapperIZN2at6native12_GLOBAL__N_124unique_dim_cuda_templateIbEESt5tupleIJNSF_6TensorESK_SK_EERKSK_lbbbEUlllE0_EEPmJS9_EEE10hipError_tPvRmT3_T4_T5_T6_T7_T9_mT8_P12ihipStream_tbDpT10_ENKUlT_T0_E_clISt17integral_constantIbLb1EES1A_EEDaS15_S16_EUlS15_E_NS1_11comp_targetILNS1_3genE2ELNS1_11target_archE906ELNS1_3gpuE6ELNS1_3repE0EEENS1_30default_config_static_selectorELNS0_4arch9wavefront6targetE0EEEvT1_: ; @_ZN7rocprim17ROCPRIM_400000_NS6detail17trampoline_kernelINS0_14default_configENS1_25partition_config_selectorILNS1_17partition_subalgoE9EllbEEZZNS1_14partition_implILS5_9ELb0ES3_jPlS8_PNS0_10empty_typeENS0_5tupleIJS8_S9_EEENSB_IJS8_SA_EEENS0_18inequality_wrapperIZN2at6native12_GLOBAL__N_124unique_dim_cuda_templateIbEESt5tupleIJNSF_6TensorESK_SK_EERKSK_lbbbEUlllE0_EEPmJS9_EEE10hipError_tPvRmT3_T4_T5_T6_T7_T9_mT8_P12ihipStream_tbDpT10_ENKUlT_T0_E_clISt17integral_constantIbLb1EES1A_EEDaS15_S16_EUlS15_E_NS1_11comp_targetILNS1_3genE2ELNS1_11target_archE906ELNS1_3gpuE6ELNS1_3repE0EEENS1_30default_config_static_selectorELNS0_4arch9wavefront6targetE0EEEvT1_
; %bb.0:
	.section	.rodata,"a",@progbits
	.p2align	6, 0x0
	.amdhsa_kernel _ZN7rocprim17ROCPRIM_400000_NS6detail17trampoline_kernelINS0_14default_configENS1_25partition_config_selectorILNS1_17partition_subalgoE9EllbEEZZNS1_14partition_implILS5_9ELb0ES3_jPlS8_PNS0_10empty_typeENS0_5tupleIJS8_S9_EEENSB_IJS8_SA_EEENS0_18inequality_wrapperIZN2at6native12_GLOBAL__N_124unique_dim_cuda_templateIbEESt5tupleIJNSF_6TensorESK_SK_EERKSK_lbbbEUlllE0_EEPmJS9_EEE10hipError_tPvRmT3_T4_T5_T6_T7_T9_mT8_P12ihipStream_tbDpT10_ENKUlT_T0_E_clISt17integral_constantIbLb1EES1A_EEDaS15_S16_EUlS15_E_NS1_11comp_targetILNS1_3genE2ELNS1_11target_archE906ELNS1_3gpuE6ELNS1_3repE0EEENS1_30default_config_static_selectorELNS0_4arch9wavefront6targetE0EEEvT1_
		.amdhsa_group_segment_fixed_size 0
		.amdhsa_private_segment_fixed_size 0
		.amdhsa_kernarg_size 136
		.amdhsa_user_sgpr_count 15
		.amdhsa_user_sgpr_dispatch_ptr 0
		.amdhsa_user_sgpr_queue_ptr 0
		.amdhsa_user_sgpr_kernarg_segment_ptr 1
		.amdhsa_user_sgpr_dispatch_id 0
		.amdhsa_user_sgpr_private_segment_size 0
		.amdhsa_wavefront_size32 1
		.amdhsa_uses_dynamic_stack 0
		.amdhsa_enable_private_segment 0
		.amdhsa_system_sgpr_workgroup_id_x 1
		.amdhsa_system_sgpr_workgroup_id_y 0
		.amdhsa_system_sgpr_workgroup_id_z 0
		.amdhsa_system_sgpr_workgroup_info 0
		.amdhsa_system_vgpr_workitem_id 0
		.amdhsa_next_free_vgpr 1
		.amdhsa_next_free_sgpr 1
		.amdhsa_reserve_vcc 0
		.amdhsa_float_round_mode_32 0
		.amdhsa_float_round_mode_16_64 0
		.amdhsa_float_denorm_mode_32 3
		.amdhsa_float_denorm_mode_16_64 3
		.amdhsa_dx10_clamp 1
		.amdhsa_ieee_mode 1
		.amdhsa_fp16_overflow 0
		.amdhsa_workgroup_processor_mode 1
		.amdhsa_memory_ordered 1
		.amdhsa_forward_progress 0
		.amdhsa_shared_vgpr_count 0
		.amdhsa_exception_fp_ieee_invalid_op 0
		.amdhsa_exception_fp_denorm_src 0
		.amdhsa_exception_fp_ieee_div_zero 0
		.amdhsa_exception_fp_ieee_overflow 0
		.amdhsa_exception_fp_ieee_underflow 0
		.amdhsa_exception_fp_ieee_inexact 0
		.amdhsa_exception_int_div_zero 0
	.end_amdhsa_kernel
	.section	.text._ZN7rocprim17ROCPRIM_400000_NS6detail17trampoline_kernelINS0_14default_configENS1_25partition_config_selectorILNS1_17partition_subalgoE9EllbEEZZNS1_14partition_implILS5_9ELb0ES3_jPlS8_PNS0_10empty_typeENS0_5tupleIJS8_S9_EEENSB_IJS8_SA_EEENS0_18inequality_wrapperIZN2at6native12_GLOBAL__N_124unique_dim_cuda_templateIbEESt5tupleIJNSF_6TensorESK_SK_EERKSK_lbbbEUlllE0_EEPmJS9_EEE10hipError_tPvRmT3_T4_T5_T6_T7_T9_mT8_P12ihipStream_tbDpT10_ENKUlT_T0_E_clISt17integral_constantIbLb1EES1A_EEDaS15_S16_EUlS15_E_NS1_11comp_targetILNS1_3genE2ELNS1_11target_archE906ELNS1_3gpuE6ELNS1_3repE0EEENS1_30default_config_static_selectorELNS0_4arch9wavefront6targetE0EEEvT1_,"axG",@progbits,_ZN7rocprim17ROCPRIM_400000_NS6detail17trampoline_kernelINS0_14default_configENS1_25partition_config_selectorILNS1_17partition_subalgoE9EllbEEZZNS1_14partition_implILS5_9ELb0ES3_jPlS8_PNS0_10empty_typeENS0_5tupleIJS8_S9_EEENSB_IJS8_SA_EEENS0_18inequality_wrapperIZN2at6native12_GLOBAL__N_124unique_dim_cuda_templateIbEESt5tupleIJNSF_6TensorESK_SK_EERKSK_lbbbEUlllE0_EEPmJS9_EEE10hipError_tPvRmT3_T4_T5_T6_T7_T9_mT8_P12ihipStream_tbDpT10_ENKUlT_T0_E_clISt17integral_constantIbLb1EES1A_EEDaS15_S16_EUlS15_E_NS1_11comp_targetILNS1_3genE2ELNS1_11target_archE906ELNS1_3gpuE6ELNS1_3repE0EEENS1_30default_config_static_selectorELNS0_4arch9wavefront6targetE0EEEvT1_,comdat
.Lfunc_end1095:
	.size	_ZN7rocprim17ROCPRIM_400000_NS6detail17trampoline_kernelINS0_14default_configENS1_25partition_config_selectorILNS1_17partition_subalgoE9EllbEEZZNS1_14partition_implILS5_9ELb0ES3_jPlS8_PNS0_10empty_typeENS0_5tupleIJS8_S9_EEENSB_IJS8_SA_EEENS0_18inequality_wrapperIZN2at6native12_GLOBAL__N_124unique_dim_cuda_templateIbEESt5tupleIJNSF_6TensorESK_SK_EERKSK_lbbbEUlllE0_EEPmJS9_EEE10hipError_tPvRmT3_T4_T5_T6_T7_T9_mT8_P12ihipStream_tbDpT10_ENKUlT_T0_E_clISt17integral_constantIbLb1EES1A_EEDaS15_S16_EUlS15_E_NS1_11comp_targetILNS1_3genE2ELNS1_11target_archE906ELNS1_3gpuE6ELNS1_3repE0EEENS1_30default_config_static_selectorELNS0_4arch9wavefront6targetE0EEEvT1_, .Lfunc_end1095-_ZN7rocprim17ROCPRIM_400000_NS6detail17trampoline_kernelINS0_14default_configENS1_25partition_config_selectorILNS1_17partition_subalgoE9EllbEEZZNS1_14partition_implILS5_9ELb0ES3_jPlS8_PNS0_10empty_typeENS0_5tupleIJS8_S9_EEENSB_IJS8_SA_EEENS0_18inequality_wrapperIZN2at6native12_GLOBAL__N_124unique_dim_cuda_templateIbEESt5tupleIJNSF_6TensorESK_SK_EERKSK_lbbbEUlllE0_EEPmJS9_EEE10hipError_tPvRmT3_T4_T5_T6_T7_T9_mT8_P12ihipStream_tbDpT10_ENKUlT_T0_E_clISt17integral_constantIbLb1EES1A_EEDaS15_S16_EUlS15_E_NS1_11comp_targetILNS1_3genE2ELNS1_11target_archE906ELNS1_3gpuE6ELNS1_3repE0EEENS1_30default_config_static_selectorELNS0_4arch9wavefront6targetE0EEEvT1_
                                        ; -- End function
	.section	.AMDGPU.csdata,"",@progbits
; Kernel info:
; codeLenInByte = 0
; NumSgprs: 0
; NumVgprs: 0
; ScratchSize: 0
; MemoryBound: 0
; FloatMode: 240
; IeeeMode: 1
; LDSByteSize: 0 bytes/workgroup (compile time only)
; SGPRBlocks: 0
; VGPRBlocks: 0
; NumSGPRsForWavesPerEU: 1
; NumVGPRsForWavesPerEU: 1
; Occupancy: 15
; WaveLimiterHint : 0
; COMPUTE_PGM_RSRC2:SCRATCH_EN: 0
; COMPUTE_PGM_RSRC2:USER_SGPR: 15
; COMPUTE_PGM_RSRC2:TRAP_HANDLER: 0
; COMPUTE_PGM_RSRC2:TGID_X_EN: 1
; COMPUTE_PGM_RSRC2:TGID_Y_EN: 0
; COMPUTE_PGM_RSRC2:TGID_Z_EN: 0
; COMPUTE_PGM_RSRC2:TIDIG_COMP_CNT: 0
	.section	.text._ZN7rocprim17ROCPRIM_400000_NS6detail17trampoline_kernelINS0_14default_configENS1_25partition_config_selectorILNS1_17partition_subalgoE9EllbEEZZNS1_14partition_implILS5_9ELb0ES3_jPlS8_PNS0_10empty_typeENS0_5tupleIJS8_S9_EEENSB_IJS8_SA_EEENS0_18inequality_wrapperIZN2at6native12_GLOBAL__N_124unique_dim_cuda_templateIbEESt5tupleIJNSF_6TensorESK_SK_EERKSK_lbbbEUlllE0_EEPmJS9_EEE10hipError_tPvRmT3_T4_T5_T6_T7_T9_mT8_P12ihipStream_tbDpT10_ENKUlT_T0_E_clISt17integral_constantIbLb1EES1A_EEDaS15_S16_EUlS15_E_NS1_11comp_targetILNS1_3genE10ELNS1_11target_archE1200ELNS1_3gpuE4ELNS1_3repE0EEENS1_30default_config_static_selectorELNS0_4arch9wavefront6targetE0EEEvT1_,"axG",@progbits,_ZN7rocprim17ROCPRIM_400000_NS6detail17trampoline_kernelINS0_14default_configENS1_25partition_config_selectorILNS1_17partition_subalgoE9EllbEEZZNS1_14partition_implILS5_9ELb0ES3_jPlS8_PNS0_10empty_typeENS0_5tupleIJS8_S9_EEENSB_IJS8_SA_EEENS0_18inequality_wrapperIZN2at6native12_GLOBAL__N_124unique_dim_cuda_templateIbEESt5tupleIJNSF_6TensorESK_SK_EERKSK_lbbbEUlllE0_EEPmJS9_EEE10hipError_tPvRmT3_T4_T5_T6_T7_T9_mT8_P12ihipStream_tbDpT10_ENKUlT_T0_E_clISt17integral_constantIbLb1EES1A_EEDaS15_S16_EUlS15_E_NS1_11comp_targetILNS1_3genE10ELNS1_11target_archE1200ELNS1_3gpuE4ELNS1_3repE0EEENS1_30default_config_static_selectorELNS0_4arch9wavefront6targetE0EEEvT1_,comdat
	.globl	_ZN7rocprim17ROCPRIM_400000_NS6detail17trampoline_kernelINS0_14default_configENS1_25partition_config_selectorILNS1_17partition_subalgoE9EllbEEZZNS1_14partition_implILS5_9ELb0ES3_jPlS8_PNS0_10empty_typeENS0_5tupleIJS8_S9_EEENSB_IJS8_SA_EEENS0_18inequality_wrapperIZN2at6native12_GLOBAL__N_124unique_dim_cuda_templateIbEESt5tupleIJNSF_6TensorESK_SK_EERKSK_lbbbEUlllE0_EEPmJS9_EEE10hipError_tPvRmT3_T4_T5_T6_T7_T9_mT8_P12ihipStream_tbDpT10_ENKUlT_T0_E_clISt17integral_constantIbLb1EES1A_EEDaS15_S16_EUlS15_E_NS1_11comp_targetILNS1_3genE10ELNS1_11target_archE1200ELNS1_3gpuE4ELNS1_3repE0EEENS1_30default_config_static_selectorELNS0_4arch9wavefront6targetE0EEEvT1_ ; -- Begin function _ZN7rocprim17ROCPRIM_400000_NS6detail17trampoline_kernelINS0_14default_configENS1_25partition_config_selectorILNS1_17partition_subalgoE9EllbEEZZNS1_14partition_implILS5_9ELb0ES3_jPlS8_PNS0_10empty_typeENS0_5tupleIJS8_S9_EEENSB_IJS8_SA_EEENS0_18inequality_wrapperIZN2at6native12_GLOBAL__N_124unique_dim_cuda_templateIbEESt5tupleIJNSF_6TensorESK_SK_EERKSK_lbbbEUlllE0_EEPmJS9_EEE10hipError_tPvRmT3_T4_T5_T6_T7_T9_mT8_P12ihipStream_tbDpT10_ENKUlT_T0_E_clISt17integral_constantIbLb1EES1A_EEDaS15_S16_EUlS15_E_NS1_11comp_targetILNS1_3genE10ELNS1_11target_archE1200ELNS1_3gpuE4ELNS1_3repE0EEENS1_30default_config_static_selectorELNS0_4arch9wavefront6targetE0EEEvT1_
	.p2align	8
	.type	_ZN7rocprim17ROCPRIM_400000_NS6detail17trampoline_kernelINS0_14default_configENS1_25partition_config_selectorILNS1_17partition_subalgoE9EllbEEZZNS1_14partition_implILS5_9ELb0ES3_jPlS8_PNS0_10empty_typeENS0_5tupleIJS8_S9_EEENSB_IJS8_SA_EEENS0_18inequality_wrapperIZN2at6native12_GLOBAL__N_124unique_dim_cuda_templateIbEESt5tupleIJNSF_6TensorESK_SK_EERKSK_lbbbEUlllE0_EEPmJS9_EEE10hipError_tPvRmT3_T4_T5_T6_T7_T9_mT8_P12ihipStream_tbDpT10_ENKUlT_T0_E_clISt17integral_constantIbLb1EES1A_EEDaS15_S16_EUlS15_E_NS1_11comp_targetILNS1_3genE10ELNS1_11target_archE1200ELNS1_3gpuE4ELNS1_3repE0EEENS1_30default_config_static_selectorELNS0_4arch9wavefront6targetE0EEEvT1_,@function
_ZN7rocprim17ROCPRIM_400000_NS6detail17trampoline_kernelINS0_14default_configENS1_25partition_config_selectorILNS1_17partition_subalgoE9EllbEEZZNS1_14partition_implILS5_9ELb0ES3_jPlS8_PNS0_10empty_typeENS0_5tupleIJS8_S9_EEENSB_IJS8_SA_EEENS0_18inequality_wrapperIZN2at6native12_GLOBAL__N_124unique_dim_cuda_templateIbEESt5tupleIJNSF_6TensorESK_SK_EERKSK_lbbbEUlllE0_EEPmJS9_EEE10hipError_tPvRmT3_T4_T5_T6_T7_T9_mT8_P12ihipStream_tbDpT10_ENKUlT_T0_E_clISt17integral_constantIbLb1EES1A_EEDaS15_S16_EUlS15_E_NS1_11comp_targetILNS1_3genE10ELNS1_11target_archE1200ELNS1_3gpuE4ELNS1_3repE0EEENS1_30default_config_static_selectorELNS0_4arch9wavefront6targetE0EEEvT1_: ; @_ZN7rocprim17ROCPRIM_400000_NS6detail17trampoline_kernelINS0_14default_configENS1_25partition_config_selectorILNS1_17partition_subalgoE9EllbEEZZNS1_14partition_implILS5_9ELb0ES3_jPlS8_PNS0_10empty_typeENS0_5tupleIJS8_S9_EEENSB_IJS8_SA_EEENS0_18inequality_wrapperIZN2at6native12_GLOBAL__N_124unique_dim_cuda_templateIbEESt5tupleIJNSF_6TensorESK_SK_EERKSK_lbbbEUlllE0_EEPmJS9_EEE10hipError_tPvRmT3_T4_T5_T6_T7_T9_mT8_P12ihipStream_tbDpT10_ENKUlT_T0_E_clISt17integral_constantIbLb1EES1A_EEDaS15_S16_EUlS15_E_NS1_11comp_targetILNS1_3genE10ELNS1_11target_archE1200ELNS1_3gpuE4ELNS1_3repE0EEENS1_30default_config_static_selectorELNS0_4arch9wavefront6targetE0EEEvT1_
; %bb.0:
	.section	.rodata,"a",@progbits
	.p2align	6, 0x0
	.amdhsa_kernel _ZN7rocprim17ROCPRIM_400000_NS6detail17trampoline_kernelINS0_14default_configENS1_25partition_config_selectorILNS1_17partition_subalgoE9EllbEEZZNS1_14partition_implILS5_9ELb0ES3_jPlS8_PNS0_10empty_typeENS0_5tupleIJS8_S9_EEENSB_IJS8_SA_EEENS0_18inequality_wrapperIZN2at6native12_GLOBAL__N_124unique_dim_cuda_templateIbEESt5tupleIJNSF_6TensorESK_SK_EERKSK_lbbbEUlllE0_EEPmJS9_EEE10hipError_tPvRmT3_T4_T5_T6_T7_T9_mT8_P12ihipStream_tbDpT10_ENKUlT_T0_E_clISt17integral_constantIbLb1EES1A_EEDaS15_S16_EUlS15_E_NS1_11comp_targetILNS1_3genE10ELNS1_11target_archE1200ELNS1_3gpuE4ELNS1_3repE0EEENS1_30default_config_static_selectorELNS0_4arch9wavefront6targetE0EEEvT1_
		.amdhsa_group_segment_fixed_size 0
		.amdhsa_private_segment_fixed_size 0
		.amdhsa_kernarg_size 136
		.amdhsa_user_sgpr_count 15
		.amdhsa_user_sgpr_dispatch_ptr 0
		.amdhsa_user_sgpr_queue_ptr 0
		.amdhsa_user_sgpr_kernarg_segment_ptr 1
		.amdhsa_user_sgpr_dispatch_id 0
		.amdhsa_user_sgpr_private_segment_size 0
		.amdhsa_wavefront_size32 1
		.amdhsa_uses_dynamic_stack 0
		.amdhsa_enable_private_segment 0
		.amdhsa_system_sgpr_workgroup_id_x 1
		.amdhsa_system_sgpr_workgroup_id_y 0
		.amdhsa_system_sgpr_workgroup_id_z 0
		.amdhsa_system_sgpr_workgroup_info 0
		.amdhsa_system_vgpr_workitem_id 0
		.amdhsa_next_free_vgpr 1
		.amdhsa_next_free_sgpr 1
		.amdhsa_reserve_vcc 0
		.amdhsa_float_round_mode_32 0
		.amdhsa_float_round_mode_16_64 0
		.amdhsa_float_denorm_mode_32 3
		.amdhsa_float_denorm_mode_16_64 3
		.amdhsa_dx10_clamp 1
		.amdhsa_ieee_mode 1
		.amdhsa_fp16_overflow 0
		.amdhsa_workgroup_processor_mode 1
		.amdhsa_memory_ordered 1
		.amdhsa_forward_progress 0
		.amdhsa_shared_vgpr_count 0
		.amdhsa_exception_fp_ieee_invalid_op 0
		.amdhsa_exception_fp_denorm_src 0
		.amdhsa_exception_fp_ieee_div_zero 0
		.amdhsa_exception_fp_ieee_overflow 0
		.amdhsa_exception_fp_ieee_underflow 0
		.amdhsa_exception_fp_ieee_inexact 0
		.amdhsa_exception_int_div_zero 0
	.end_amdhsa_kernel
	.section	.text._ZN7rocprim17ROCPRIM_400000_NS6detail17trampoline_kernelINS0_14default_configENS1_25partition_config_selectorILNS1_17partition_subalgoE9EllbEEZZNS1_14partition_implILS5_9ELb0ES3_jPlS8_PNS0_10empty_typeENS0_5tupleIJS8_S9_EEENSB_IJS8_SA_EEENS0_18inequality_wrapperIZN2at6native12_GLOBAL__N_124unique_dim_cuda_templateIbEESt5tupleIJNSF_6TensorESK_SK_EERKSK_lbbbEUlllE0_EEPmJS9_EEE10hipError_tPvRmT3_T4_T5_T6_T7_T9_mT8_P12ihipStream_tbDpT10_ENKUlT_T0_E_clISt17integral_constantIbLb1EES1A_EEDaS15_S16_EUlS15_E_NS1_11comp_targetILNS1_3genE10ELNS1_11target_archE1200ELNS1_3gpuE4ELNS1_3repE0EEENS1_30default_config_static_selectorELNS0_4arch9wavefront6targetE0EEEvT1_,"axG",@progbits,_ZN7rocprim17ROCPRIM_400000_NS6detail17trampoline_kernelINS0_14default_configENS1_25partition_config_selectorILNS1_17partition_subalgoE9EllbEEZZNS1_14partition_implILS5_9ELb0ES3_jPlS8_PNS0_10empty_typeENS0_5tupleIJS8_S9_EEENSB_IJS8_SA_EEENS0_18inequality_wrapperIZN2at6native12_GLOBAL__N_124unique_dim_cuda_templateIbEESt5tupleIJNSF_6TensorESK_SK_EERKSK_lbbbEUlllE0_EEPmJS9_EEE10hipError_tPvRmT3_T4_T5_T6_T7_T9_mT8_P12ihipStream_tbDpT10_ENKUlT_T0_E_clISt17integral_constantIbLb1EES1A_EEDaS15_S16_EUlS15_E_NS1_11comp_targetILNS1_3genE10ELNS1_11target_archE1200ELNS1_3gpuE4ELNS1_3repE0EEENS1_30default_config_static_selectorELNS0_4arch9wavefront6targetE0EEEvT1_,comdat
.Lfunc_end1096:
	.size	_ZN7rocprim17ROCPRIM_400000_NS6detail17trampoline_kernelINS0_14default_configENS1_25partition_config_selectorILNS1_17partition_subalgoE9EllbEEZZNS1_14partition_implILS5_9ELb0ES3_jPlS8_PNS0_10empty_typeENS0_5tupleIJS8_S9_EEENSB_IJS8_SA_EEENS0_18inequality_wrapperIZN2at6native12_GLOBAL__N_124unique_dim_cuda_templateIbEESt5tupleIJNSF_6TensorESK_SK_EERKSK_lbbbEUlllE0_EEPmJS9_EEE10hipError_tPvRmT3_T4_T5_T6_T7_T9_mT8_P12ihipStream_tbDpT10_ENKUlT_T0_E_clISt17integral_constantIbLb1EES1A_EEDaS15_S16_EUlS15_E_NS1_11comp_targetILNS1_3genE10ELNS1_11target_archE1200ELNS1_3gpuE4ELNS1_3repE0EEENS1_30default_config_static_selectorELNS0_4arch9wavefront6targetE0EEEvT1_, .Lfunc_end1096-_ZN7rocprim17ROCPRIM_400000_NS6detail17trampoline_kernelINS0_14default_configENS1_25partition_config_selectorILNS1_17partition_subalgoE9EllbEEZZNS1_14partition_implILS5_9ELb0ES3_jPlS8_PNS0_10empty_typeENS0_5tupleIJS8_S9_EEENSB_IJS8_SA_EEENS0_18inequality_wrapperIZN2at6native12_GLOBAL__N_124unique_dim_cuda_templateIbEESt5tupleIJNSF_6TensorESK_SK_EERKSK_lbbbEUlllE0_EEPmJS9_EEE10hipError_tPvRmT3_T4_T5_T6_T7_T9_mT8_P12ihipStream_tbDpT10_ENKUlT_T0_E_clISt17integral_constantIbLb1EES1A_EEDaS15_S16_EUlS15_E_NS1_11comp_targetILNS1_3genE10ELNS1_11target_archE1200ELNS1_3gpuE4ELNS1_3repE0EEENS1_30default_config_static_selectorELNS0_4arch9wavefront6targetE0EEEvT1_
                                        ; -- End function
	.section	.AMDGPU.csdata,"",@progbits
; Kernel info:
; codeLenInByte = 0
; NumSgprs: 0
; NumVgprs: 0
; ScratchSize: 0
; MemoryBound: 0
; FloatMode: 240
; IeeeMode: 1
; LDSByteSize: 0 bytes/workgroup (compile time only)
; SGPRBlocks: 0
; VGPRBlocks: 0
; NumSGPRsForWavesPerEU: 1
; NumVGPRsForWavesPerEU: 1
; Occupancy: 15
; WaveLimiterHint : 0
; COMPUTE_PGM_RSRC2:SCRATCH_EN: 0
; COMPUTE_PGM_RSRC2:USER_SGPR: 15
; COMPUTE_PGM_RSRC2:TRAP_HANDLER: 0
; COMPUTE_PGM_RSRC2:TGID_X_EN: 1
; COMPUTE_PGM_RSRC2:TGID_Y_EN: 0
; COMPUTE_PGM_RSRC2:TGID_Z_EN: 0
; COMPUTE_PGM_RSRC2:TIDIG_COMP_CNT: 0
	.section	.text._ZN7rocprim17ROCPRIM_400000_NS6detail17trampoline_kernelINS0_14default_configENS1_25partition_config_selectorILNS1_17partition_subalgoE9EllbEEZZNS1_14partition_implILS5_9ELb0ES3_jPlS8_PNS0_10empty_typeENS0_5tupleIJS8_S9_EEENSB_IJS8_SA_EEENS0_18inequality_wrapperIZN2at6native12_GLOBAL__N_124unique_dim_cuda_templateIbEESt5tupleIJNSF_6TensorESK_SK_EERKSK_lbbbEUlllE0_EEPmJS9_EEE10hipError_tPvRmT3_T4_T5_T6_T7_T9_mT8_P12ihipStream_tbDpT10_ENKUlT_T0_E_clISt17integral_constantIbLb1EES1A_EEDaS15_S16_EUlS15_E_NS1_11comp_targetILNS1_3genE9ELNS1_11target_archE1100ELNS1_3gpuE3ELNS1_3repE0EEENS1_30default_config_static_selectorELNS0_4arch9wavefront6targetE0EEEvT1_,"axG",@progbits,_ZN7rocprim17ROCPRIM_400000_NS6detail17trampoline_kernelINS0_14default_configENS1_25partition_config_selectorILNS1_17partition_subalgoE9EllbEEZZNS1_14partition_implILS5_9ELb0ES3_jPlS8_PNS0_10empty_typeENS0_5tupleIJS8_S9_EEENSB_IJS8_SA_EEENS0_18inequality_wrapperIZN2at6native12_GLOBAL__N_124unique_dim_cuda_templateIbEESt5tupleIJNSF_6TensorESK_SK_EERKSK_lbbbEUlllE0_EEPmJS9_EEE10hipError_tPvRmT3_T4_T5_T6_T7_T9_mT8_P12ihipStream_tbDpT10_ENKUlT_T0_E_clISt17integral_constantIbLb1EES1A_EEDaS15_S16_EUlS15_E_NS1_11comp_targetILNS1_3genE9ELNS1_11target_archE1100ELNS1_3gpuE3ELNS1_3repE0EEENS1_30default_config_static_selectorELNS0_4arch9wavefront6targetE0EEEvT1_,comdat
	.globl	_ZN7rocprim17ROCPRIM_400000_NS6detail17trampoline_kernelINS0_14default_configENS1_25partition_config_selectorILNS1_17partition_subalgoE9EllbEEZZNS1_14partition_implILS5_9ELb0ES3_jPlS8_PNS0_10empty_typeENS0_5tupleIJS8_S9_EEENSB_IJS8_SA_EEENS0_18inequality_wrapperIZN2at6native12_GLOBAL__N_124unique_dim_cuda_templateIbEESt5tupleIJNSF_6TensorESK_SK_EERKSK_lbbbEUlllE0_EEPmJS9_EEE10hipError_tPvRmT3_T4_T5_T6_T7_T9_mT8_P12ihipStream_tbDpT10_ENKUlT_T0_E_clISt17integral_constantIbLb1EES1A_EEDaS15_S16_EUlS15_E_NS1_11comp_targetILNS1_3genE9ELNS1_11target_archE1100ELNS1_3gpuE3ELNS1_3repE0EEENS1_30default_config_static_selectorELNS0_4arch9wavefront6targetE0EEEvT1_ ; -- Begin function _ZN7rocprim17ROCPRIM_400000_NS6detail17trampoline_kernelINS0_14default_configENS1_25partition_config_selectorILNS1_17partition_subalgoE9EllbEEZZNS1_14partition_implILS5_9ELb0ES3_jPlS8_PNS0_10empty_typeENS0_5tupleIJS8_S9_EEENSB_IJS8_SA_EEENS0_18inequality_wrapperIZN2at6native12_GLOBAL__N_124unique_dim_cuda_templateIbEESt5tupleIJNSF_6TensorESK_SK_EERKSK_lbbbEUlllE0_EEPmJS9_EEE10hipError_tPvRmT3_T4_T5_T6_T7_T9_mT8_P12ihipStream_tbDpT10_ENKUlT_T0_E_clISt17integral_constantIbLb1EES1A_EEDaS15_S16_EUlS15_E_NS1_11comp_targetILNS1_3genE9ELNS1_11target_archE1100ELNS1_3gpuE3ELNS1_3repE0EEENS1_30default_config_static_selectorELNS0_4arch9wavefront6targetE0EEEvT1_
	.p2align	8
	.type	_ZN7rocprim17ROCPRIM_400000_NS6detail17trampoline_kernelINS0_14default_configENS1_25partition_config_selectorILNS1_17partition_subalgoE9EllbEEZZNS1_14partition_implILS5_9ELb0ES3_jPlS8_PNS0_10empty_typeENS0_5tupleIJS8_S9_EEENSB_IJS8_SA_EEENS0_18inequality_wrapperIZN2at6native12_GLOBAL__N_124unique_dim_cuda_templateIbEESt5tupleIJNSF_6TensorESK_SK_EERKSK_lbbbEUlllE0_EEPmJS9_EEE10hipError_tPvRmT3_T4_T5_T6_T7_T9_mT8_P12ihipStream_tbDpT10_ENKUlT_T0_E_clISt17integral_constantIbLb1EES1A_EEDaS15_S16_EUlS15_E_NS1_11comp_targetILNS1_3genE9ELNS1_11target_archE1100ELNS1_3gpuE3ELNS1_3repE0EEENS1_30default_config_static_selectorELNS0_4arch9wavefront6targetE0EEEvT1_,@function
_ZN7rocprim17ROCPRIM_400000_NS6detail17trampoline_kernelINS0_14default_configENS1_25partition_config_selectorILNS1_17partition_subalgoE9EllbEEZZNS1_14partition_implILS5_9ELb0ES3_jPlS8_PNS0_10empty_typeENS0_5tupleIJS8_S9_EEENSB_IJS8_SA_EEENS0_18inequality_wrapperIZN2at6native12_GLOBAL__N_124unique_dim_cuda_templateIbEESt5tupleIJNSF_6TensorESK_SK_EERKSK_lbbbEUlllE0_EEPmJS9_EEE10hipError_tPvRmT3_T4_T5_T6_T7_T9_mT8_P12ihipStream_tbDpT10_ENKUlT_T0_E_clISt17integral_constantIbLb1EES1A_EEDaS15_S16_EUlS15_E_NS1_11comp_targetILNS1_3genE9ELNS1_11target_archE1100ELNS1_3gpuE3ELNS1_3repE0EEENS1_30default_config_static_selectorELNS0_4arch9wavefront6targetE0EEEvT1_: ; @_ZN7rocprim17ROCPRIM_400000_NS6detail17trampoline_kernelINS0_14default_configENS1_25partition_config_selectorILNS1_17partition_subalgoE9EllbEEZZNS1_14partition_implILS5_9ELb0ES3_jPlS8_PNS0_10empty_typeENS0_5tupleIJS8_S9_EEENSB_IJS8_SA_EEENS0_18inequality_wrapperIZN2at6native12_GLOBAL__N_124unique_dim_cuda_templateIbEESt5tupleIJNSF_6TensorESK_SK_EERKSK_lbbbEUlllE0_EEPmJS9_EEE10hipError_tPvRmT3_T4_T5_T6_T7_T9_mT8_P12ihipStream_tbDpT10_ENKUlT_T0_E_clISt17integral_constantIbLb1EES1A_EEDaS15_S16_EUlS15_E_NS1_11comp_targetILNS1_3genE9ELNS1_11target_archE1100ELNS1_3gpuE3ELNS1_3repE0EEENS1_30default_config_static_selectorELNS0_4arch9wavefront6targetE0EEEvT1_
; %bb.0:
	s_clause 0x3
	s_load_b128 s[4:7], s[0:1], 0x8
	s_load_b64 s[24:25], s[0:1], 0x18
	s_load_b256 s[8:15], s[0:1], 0x40
	s_load_b128 s[20:23], s[0:1], 0x60
	v_cmp_ne_u32_e64 s3, 0, v0
	v_cmp_eq_u32_e64 s2, 0, v0
	s_delay_alu instid0(VALU_DEP_1)
	s_and_saveexec_b32 s16, s2
	s_cbranch_execz .LBB1097_4
; %bb.1:
	s_mov_b32 s18, exec_lo
	s_mov_b32 s17, exec_lo
	v_mbcnt_lo_u32_b32 v1, s18, 0
                                        ; implicit-def: $vgpr2
	s_delay_alu instid0(VALU_DEP_1)
	v_cmpx_eq_u32_e32 0, v1
	s_cbranch_execz .LBB1097_3
; %bb.2:
	s_load_b64 s[26:27], s[0:1], 0x78
	s_bcnt1_i32_b32 s18, s18
	s_delay_alu instid0(SALU_CYCLE_1)
	v_dual_mov_b32 v2, 0 :: v_dual_mov_b32 v3, s18
	s_waitcnt lgkmcnt(0)
	global_atomic_add_u32 v2, v2, v3, s[26:27] glc
.LBB1097_3:
	s_or_b32 exec_lo, exec_lo, s17
	s_waitcnt vmcnt(0)
	v_readfirstlane_b32 s17, v2
	s_delay_alu instid0(VALU_DEP_1)
	v_dual_mov_b32 v2, 0 :: v_dual_add_nc_u32 v1, s17, v1
	ds_store_b32 v2, v1
.LBB1097_4:
	s_or_b32 exec_lo, exec_lo, s16
	v_mov_b32_e32 v1, 0
	s_clause 0x1
	s_load_b128 s[16:19], s[0:1], 0x28
	s_load_b32 s0, s[0:1], 0x70
	s_waitcnt lgkmcnt(0)
	s_barrier
	buffer_gl0_inv
	ds_load_b32 v3, v1
	s_waitcnt lgkmcnt(0)
	s_barrier
	buffer_gl0_inv
	global_load_b64 v[1:2], v1, s[10:11]
	s_lshl_b64 s[26:27], s[6:7], 3
	s_mov_b32 s1, 0
	s_add_u32 s10, s4, s26
	s_addc_u32 s11, s5, s27
	v_lshlrev_b32_e32 v55, 3, v0
	v_lshrrev_b32_e32 v34, 2, v0
	v_or_b32_e32 v39, 0x200, v0
	v_or_b32_e32 v38, 0x400, v0
	;; [unrolled: 1-line block ×5, first 2 shown]
	s_add_i32 s28, s0, -1
	s_lshl_b32 s5, s0, 12
	s_lshl_b32 s4, s28, 12
	v_or_b32_e32 v33, 0xc00, v0
	v_readfirstlane_b32 s30, v3
	s_add_i32 s4, s6, s4
	v_or_b32_e32 v36, 0xe00, v0
	s_sub_i32 s31, s12, s4
	s_delay_alu instid0(VALU_DEP_2)
	s_lshl_b32 s0, s30, 12
	s_add_u32 s4, s6, s5
	s_addc_u32 s5, s7, 0
	s_cmp_eq_u32 s30, s28
	v_cmp_ge_u64_e64 s4, s[4:5], s[12:13]
	s_cselect_b32 s28, -1, 0
	s_lshl_b64 s[12:13], s[0:1], 3
	s_mov_b32 s1, -1
	s_delay_alu instid0(VALU_DEP_1) | instskip(NEXT) | instid1(SALU_CYCLE_1)
	s_and_b32 s33, s4, s28
	s_xor_b32 s29, s33, -1
	s_add_u32 s4, s10, s12
	s_addc_u32 s5, s11, s13
	s_and_b32 vcc_lo, exec_lo, s29
	s_waitcnt vmcnt(0)
	v_readfirstlane_b32 s10, v1
	v_readfirstlane_b32 s11, v2
	s_cbranch_vccz .LBB1097_6
; %bb.5:
	v_add_co_u32 v9, s0, s4, v55
	s_delay_alu instid0(VALU_DEP_1)
	v_add_co_ci_u32_e64 v10, null, s5, 0, s0
	global_load_b64 v[1:2], v55, s[4:5]
	v_add_co_u32 v3, vcc_lo, v9, 0x2000
	v_add_co_ci_u32_e32 v4, vcc_lo, 0, v10, vcc_lo
	v_add_co_u32 v5, vcc_lo, v9, 0x4000
	v_add_co_ci_u32_e32 v6, vcc_lo, 0, v10, vcc_lo
	;; [unrolled: 2-line block ×4, first 2 shown]
	s_clause 0x6
	global_load_b64 v[11:12], v[3:4], off offset:-4096
	global_load_b64 v[3:4], v[3:4], off
	global_load_b64 v[13:14], v[5:6], off offset:-4096
	global_load_b64 v[5:6], v[5:6], off
	;; [unrolled: 2-line block ×3, first 2 shown]
	global_load_b64 v[9:10], v[9:10], off
	v_lshrrev_b32_e32 v18, 2, v39
	v_lshrrev_b32_e32 v19, 2, v38
	v_lshrrev_b32_e32 v20, 2, v40
	v_lshrrev_b32_e32 v21, 2, v37
	v_and_b32_e32 v17, 0x78, v34
	v_lshrrev_b32_e32 v22, 2, v35
	v_lshrrev_b32_e32 v23, 2, v33
	;; [unrolled: 1-line block ×3, first 2 shown]
	v_and_b32_e32 v18, 0xf8, v18
	v_and_b32_e32 v19, 0x178, v19
	;; [unrolled: 1-line block ×4, first 2 shown]
	v_add_nc_u32_e32 v17, v17, v55
	v_and_b32_e32 v22, 0x2f8, v22
	v_and_b32_e32 v23, 0x378, v23
	;; [unrolled: 1-line block ×3, first 2 shown]
	v_add_nc_u32_e32 v18, v18, v55
	v_add_nc_u32_e32 v19, v19, v55
	;; [unrolled: 1-line block ×4, first 2 shown]
	s_mov_b32 s1, 0
	v_add_nc_u32_e32 v22, v22, v55
	v_add_nc_u32_e32 v23, v23, v55
	;; [unrolled: 1-line block ×3, first 2 shown]
	s_waitcnt vmcnt(7)
	ds_store_b64 v17, v[1:2]
	s_waitcnt vmcnt(6)
	ds_store_b64 v18, v[11:12] offset:4096
	s_waitcnt vmcnt(5)
	ds_store_b64 v19, v[3:4] offset:8192
	;; [unrolled: 2-line block ×7, first 2 shown]
	s_waitcnt lgkmcnt(0)
	s_barrier
.LBB1097_6:
	v_cmp_gt_u32_e64 s0, s31, v0
	s_and_not1_b32 vcc_lo, exec_lo, s1
	s_cbranch_vccnz .LBB1097_24
; %bb.7:
                                        ; implicit-def: $vgpr1_vgpr2_vgpr3_vgpr4_vgpr5_vgpr6_vgpr7_vgpr8_vgpr9_vgpr10_vgpr11_vgpr12_vgpr13_vgpr14_vgpr15_vgpr16
	s_delay_alu instid0(VALU_DEP_1)
	s_and_saveexec_b32 s1, s0
	s_cbranch_execz .LBB1097_15
; %bb.8:
	global_load_b64 v[1:2], v55, s[4:5]
	s_or_b32 exec_lo, exec_lo, s1
	s_delay_alu instid0(SALU_CYCLE_1)
	s_mov_b32 s0, exec_lo
	v_cmpx_gt_u32_e64 s31, v39
	s_cbranch_execnz .LBB1097_16
.LBB1097_9:
	s_or_b32 exec_lo, exec_lo, s0
	s_delay_alu instid0(SALU_CYCLE_1)
	s_mov_b32 s0, exec_lo
	v_cmpx_gt_u32_e64 s31, v38
	s_cbranch_execz .LBB1097_17
.LBB1097_10:
	v_lshlrev_b32_e32 v5, 3, v38
	global_load_b64 v[5:6], v5, s[4:5]
	s_or_b32 exec_lo, exec_lo, s0
	s_delay_alu instid0(SALU_CYCLE_1)
	s_mov_b32 s0, exec_lo
	v_cmpx_gt_u32_e64 s31, v40
	s_cbranch_execnz .LBB1097_18
.LBB1097_11:
	s_or_b32 exec_lo, exec_lo, s0
	s_delay_alu instid0(SALU_CYCLE_1)
	s_mov_b32 s0, exec_lo
	v_cmpx_gt_u32_e64 s31, v37
	s_cbranch_execz .LBB1097_19
.LBB1097_12:
	v_lshlrev_b32_e32 v9, 3, v37
	global_load_b64 v[9:10], v9, s[4:5]
	s_or_b32 exec_lo, exec_lo, s0
	s_delay_alu instid0(SALU_CYCLE_1)
	s_mov_b32 s0, exec_lo
	v_cmpx_gt_u32_e64 s31, v35
	s_cbranch_execnz .LBB1097_20
.LBB1097_13:
	s_or_b32 exec_lo, exec_lo, s0
	s_delay_alu instid0(SALU_CYCLE_1)
	s_mov_b32 s0, exec_lo
	v_cmpx_gt_u32_e64 s31, v33
	s_cbranch_execz .LBB1097_21
.LBB1097_14:
	v_lshlrev_b32_e32 v13, 3, v33
	global_load_b64 v[13:14], v13, s[4:5]
	s_or_b32 exec_lo, exec_lo, s0
	s_delay_alu instid0(SALU_CYCLE_1)
	s_mov_b32 s0, exec_lo
	v_cmpx_gt_u32_e64 s31, v36
	s_cbranch_execnz .LBB1097_22
	s_branch .LBB1097_23
.LBB1097_15:
	s_or_b32 exec_lo, exec_lo, s1
	s_delay_alu instid0(SALU_CYCLE_1)
	s_mov_b32 s0, exec_lo
	v_cmpx_gt_u32_e64 s31, v39
	s_cbranch_execz .LBB1097_9
.LBB1097_16:
	v_lshlrev_b32_e32 v3, 3, v39
	global_load_b64 v[3:4], v3, s[4:5]
	s_or_b32 exec_lo, exec_lo, s0
	s_delay_alu instid0(SALU_CYCLE_1)
	s_mov_b32 s0, exec_lo
	v_cmpx_gt_u32_e64 s31, v38
	s_cbranch_execnz .LBB1097_10
.LBB1097_17:
	s_or_b32 exec_lo, exec_lo, s0
	s_delay_alu instid0(SALU_CYCLE_1)
	s_mov_b32 s0, exec_lo
	v_cmpx_gt_u32_e64 s31, v40
	s_cbranch_execz .LBB1097_11
.LBB1097_18:
	v_lshlrev_b32_e32 v7, 3, v40
	global_load_b64 v[7:8], v7, s[4:5]
	s_or_b32 exec_lo, exec_lo, s0
	s_delay_alu instid0(SALU_CYCLE_1)
	s_mov_b32 s0, exec_lo
	v_cmpx_gt_u32_e64 s31, v37
	s_cbranch_execnz .LBB1097_12
.LBB1097_19:
	s_or_b32 exec_lo, exec_lo, s0
	s_delay_alu instid0(SALU_CYCLE_1)
	s_mov_b32 s0, exec_lo
	v_cmpx_gt_u32_e64 s31, v35
	s_cbranch_execz .LBB1097_13
.LBB1097_20:
	v_lshlrev_b32_e32 v11, 3, v35
	global_load_b64 v[11:12], v11, s[4:5]
	s_or_b32 exec_lo, exec_lo, s0
	s_delay_alu instid0(SALU_CYCLE_1)
	s_mov_b32 s0, exec_lo
	v_cmpx_gt_u32_e64 s31, v33
	s_cbranch_execnz .LBB1097_14
.LBB1097_21:
	s_or_b32 exec_lo, exec_lo, s0
	s_delay_alu instid0(SALU_CYCLE_1)
	s_mov_b32 s0, exec_lo
	v_cmpx_gt_u32_e64 s31, v36
	s_cbranch_execz .LBB1097_23
.LBB1097_22:
	v_lshlrev_b32_e32 v15, 3, v36
	global_load_b64 v[15:16], v15, s[4:5]
.LBB1097_23:
	s_or_b32 exec_lo, exec_lo, s0
	v_lshrrev_b32_e32 v17, 2, v39
	v_lshrrev_b32_e32 v18, 2, v38
	;; [unrolled: 1-line block ×4, first 2 shown]
	v_and_b32_e32 v19, 0x78, v34
	v_lshrrev_b32_e32 v22, 2, v35
	v_lshrrev_b32_e32 v23, 2, v33
	;; [unrolled: 1-line block ×3, first 2 shown]
	v_and_b32_e32 v17, 0xf8, v17
	v_and_b32_e32 v18, 0x1f8, v18
	;; [unrolled: 1-line block ×4, first 2 shown]
	v_add_nc_u32_e32 v19, v19, v55
	v_and_b32_e32 v22, 0x3f8, v22
	v_and_b32_e32 v23, 0x3f8, v23
	;; [unrolled: 1-line block ×3, first 2 shown]
	v_add_nc_u32_e32 v17, v17, v55
	v_add_nc_u32_e32 v18, v18, v55
	v_add_nc_u32_e32 v20, v20, v55
	v_add_nc_u32_e32 v21, v21, v55
	v_add_nc_u32_e32 v22, v22, v55
	v_add_nc_u32_e32 v23, v23, v55
	v_add_nc_u32_e32 v24, v24, v55
	s_waitcnt vmcnt(0)
	ds_store_b64 v19, v[1:2]
	ds_store_b64 v17, v[3:4] offset:4096
	ds_store_b64 v18, v[5:6] offset:8192
	;; [unrolled: 1-line block ×7, first 2 shown]
	s_waitcnt lgkmcnt(0)
	s_barrier
.LBB1097_24:
	v_add_lshl_u32 v41, v34, v55, 3
	buffer_gl0_inv
	s_add_u32 s0, s24, s26
	s_addc_u32 s1, s25, s27
	s_add_u32 s0, s0, s12
	ds_load_2addr_b64 v[29:32], v41 offset1:1
	ds_load_2addr_b64 v[25:28], v41 offset0:2 offset1:3
	ds_load_2addr_b64 v[21:24], v41 offset0:4 offset1:5
	;; [unrolled: 1-line block ×3, first 2 shown]
	s_addc_u32 s1, s1, s13
	s_and_b32 vcc_lo, exec_lo, s29
	s_mov_b32 s12, -1
	s_waitcnt lgkmcnt(0)
	s_barrier
	buffer_gl0_inv
	s_cbranch_vccz .LBB1097_26
; %bb.25:
	v_add_co_u32 v9, s12, s0, v55
	s_delay_alu instid0(VALU_DEP_1)
	v_add_co_ci_u32_e64 v10, null, s1, 0, s12
	global_load_b64 v[1:2], v55, s[0:1]
	v_add_co_u32 v3, vcc_lo, v9, 0x2000
	v_add_co_ci_u32_e32 v4, vcc_lo, 0, v10, vcc_lo
	v_add_co_u32 v5, vcc_lo, v9, 0x4000
	v_add_co_ci_u32_e32 v6, vcc_lo, 0, v10, vcc_lo
	;; [unrolled: 2-line block ×4, first 2 shown]
	s_clause 0x6
	global_load_b64 v[11:12], v[3:4], off offset:-4096
	global_load_b64 v[3:4], v[3:4], off
	global_load_b64 v[13:14], v[5:6], off offset:-4096
	global_load_b64 v[5:6], v[5:6], off
	global_load_b64 v[15:16], v[7:8], off offset:-4096
	global_load_b64 v[7:8], v[7:8], off
	global_load_b64 v[9:10], v[9:10], off
	v_lshrrev_b32_e32 v43, 2, v39
	v_lshrrev_b32_e32 v44, 2, v38
	;; [unrolled: 1-line block ×4, first 2 shown]
	v_and_b32_e32 v42, 0x78, v34
	v_lshrrev_b32_e32 v47, 2, v35
	v_lshrrev_b32_e32 v48, 2, v33
	;; [unrolled: 1-line block ×3, first 2 shown]
	v_and_b32_e32 v43, 0xf8, v43
	v_and_b32_e32 v44, 0x178, v44
	;; [unrolled: 1-line block ×4, first 2 shown]
	v_add_nc_u32_e32 v42, v42, v55
	v_and_b32_e32 v47, 0x2f8, v47
	v_and_b32_e32 v48, 0x378, v48
	;; [unrolled: 1-line block ×3, first 2 shown]
	v_add_nc_u32_e32 v43, v43, v55
	v_add_nc_u32_e32 v44, v44, v55
	;; [unrolled: 1-line block ×4, first 2 shown]
	s_mov_b32 s12, 0
	v_add_nc_u32_e32 v47, v47, v55
	v_add_nc_u32_e32 v48, v48, v55
	;; [unrolled: 1-line block ×3, first 2 shown]
	s_waitcnt vmcnt(7)
	ds_store_b64 v42, v[1:2]
	s_waitcnt vmcnt(6)
	ds_store_b64 v43, v[11:12] offset:4096
	s_waitcnt vmcnt(5)
	ds_store_b64 v44, v[3:4] offset:8192
	;; [unrolled: 2-line block ×7, first 2 shown]
	s_waitcnt lgkmcnt(0)
	s_barrier
.LBB1097_26:
	s_and_not1_b32 vcc_lo, exec_lo, s12
	s_cbranch_vccnz .LBB1097_44
; %bb.27:
	s_mov_b32 s12, exec_lo
                                        ; implicit-def: $vgpr1_vgpr2
	v_cmpx_gt_u32_e64 s31, v0
	s_cbranch_execz .LBB1097_29
; %bb.28:
	global_load_b64 v[1:2], v55, s[0:1]
.LBB1097_29:
	s_or_b32 exec_lo, exec_lo, s12
	s_delay_alu instid0(SALU_CYCLE_1)
	s_mov_b32 s12, exec_lo
                                        ; implicit-def: $vgpr3_vgpr4
	v_cmpx_gt_u32_e64 s31, v39
	s_cbranch_execz .LBB1097_31
; %bb.30:
	v_lshlrev_b32_e32 v3, 3, v39
	global_load_b64 v[3:4], v3, s[0:1]
.LBB1097_31:
	s_or_b32 exec_lo, exec_lo, s12
	s_delay_alu instid0(SALU_CYCLE_1)
	s_mov_b32 s12, exec_lo
                                        ; implicit-def: $vgpr5_vgpr6
	v_cmpx_gt_u32_e64 s31, v38
	s_cbranch_execz .LBB1097_33
; %bb.32:
	v_lshlrev_b32_e32 v5, 3, v38
	global_load_b64 v[5:6], v5, s[0:1]
.LBB1097_33:
	s_or_b32 exec_lo, exec_lo, s12
	s_delay_alu instid0(SALU_CYCLE_1)
	s_mov_b32 s12, exec_lo
                                        ; implicit-def: $vgpr7_vgpr8
	v_cmpx_gt_u32_e64 s31, v40
	s_cbranch_execz .LBB1097_35
; %bb.34:
	v_lshlrev_b32_e32 v7, 3, v40
	global_load_b64 v[7:8], v7, s[0:1]
.LBB1097_35:
	s_or_b32 exec_lo, exec_lo, s12
	s_delay_alu instid0(SALU_CYCLE_1)
	s_mov_b32 s12, exec_lo
                                        ; implicit-def: $vgpr9_vgpr10
	v_cmpx_gt_u32_e64 s31, v37
	s_cbranch_execz .LBB1097_37
; %bb.36:
	v_lshlrev_b32_e32 v9, 3, v37
	global_load_b64 v[9:10], v9, s[0:1]
.LBB1097_37:
	s_or_b32 exec_lo, exec_lo, s12
	s_delay_alu instid0(SALU_CYCLE_1)
	s_mov_b32 s12, exec_lo
                                        ; implicit-def: $vgpr11_vgpr12
	v_cmpx_gt_u32_e64 s31, v35
	s_cbranch_execz .LBB1097_39
; %bb.38:
	v_lshlrev_b32_e32 v11, 3, v35
	global_load_b64 v[11:12], v11, s[0:1]
.LBB1097_39:
	s_or_b32 exec_lo, exec_lo, s12
	s_delay_alu instid0(SALU_CYCLE_1)
	s_mov_b32 s12, exec_lo
                                        ; implicit-def: $vgpr13_vgpr14
	v_cmpx_gt_u32_e64 s31, v33
	s_cbranch_execz .LBB1097_41
; %bb.40:
	v_lshlrev_b32_e32 v13, 3, v33
	global_load_b64 v[13:14], v13, s[0:1]
.LBB1097_41:
	s_or_b32 exec_lo, exec_lo, s12
	s_delay_alu instid0(SALU_CYCLE_1)
	s_mov_b32 s12, exec_lo
                                        ; implicit-def: $vgpr15_vgpr16
	v_cmpx_gt_u32_e64 s31, v36
	s_cbranch_execz .LBB1097_43
; %bb.42:
	v_lshlrev_b32_e32 v15, 3, v36
	global_load_b64 v[15:16], v15, s[0:1]
.LBB1097_43:
	s_or_b32 exec_lo, exec_lo, s12
	v_lshrrev_b32_e32 v39, 2, v39
	v_lshrrev_b32_e32 v38, 2, v38
	;; [unrolled: 1-line block ×4, first 2 shown]
	v_and_b32_e32 v34, 0x78, v34
	v_lshrrev_b32_e32 v35, 2, v35
	v_lshrrev_b32_e32 v33, 2, v33
	;; [unrolled: 1-line block ×3, first 2 shown]
	v_and_b32_e32 v39, 0xf8, v39
	v_and_b32_e32 v38, 0x1f8, v38
	;; [unrolled: 1-line block ×4, first 2 shown]
	v_add_nc_u32_e32 v34, v34, v55
	v_and_b32_e32 v35, 0x3f8, v35
	v_and_b32_e32 v33, 0x3f8, v33
	;; [unrolled: 1-line block ×3, first 2 shown]
	v_add_nc_u32_e32 v39, v39, v55
	v_add_nc_u32_e32 v38, v38, v55
	;; [unrolled: 1-line block ×7, first 2 shown]
	s_waitcnt vmcnt(0)
	ds_store_b64 v34, v[1:2]
	ds_store_b64 v39, v[3:4] offset:4096
	ds_store_b64 v38, v[5:6] offset:8192
	;; [unrolled: 1-line block ×7, first 2 shown]
	s_waitcnt lgkmcnt(0)
	s_barrier
.LBB1097_44:
	buffer_gl0_inv
	ds_load_2addr_b64 v[13:16], v41 offset1:1
	ds_load_2addr_b64 v[9:12], v41 offset0:2 offset1:3
	ds_load_2addr_b64 v[5:8], v41 offset0:4 offset1:5
	;; [unrolled: 1-line block ×3, first 2 shown]
	s_cmp_lg_u32 s30, 0
	s_waitcnt lgkmcnt(0)
	s_cselect_b32 s12, -1, 0
	s_cmp_lg_u64 s[6:7], 0
	v_cmp_lt_i64_e64 s7, s[14:15], 1
	s_cselect_b32 s0, -1, 0
	s_mov_b32 s6, 0
	s_or_b32 s1, s0, s12
	v_cmp_gt_i64_e64 s0, s[14:15], 0
	s_and_b32 vcc_lo, exec_lo, s1
	s_barrier
	buffer_gl0_inv
	s_cbranch_vccz .LBB1097_53
; %bb.45:
	v_mov_b32_e32 v33, 0
	s_and_b32 vcc_lo, exec_lo, s29
	ds_store_b64 v55, v[19:20]
	global_load_b64 v[35:36], v33, s[4:5] offset:-8
	s_cbranch_vccz .LBB1097_54
; %bb.46:
	v_cndmask_b32_e64 v44, 0, 1, s0
	s_and_not1_b32 vcc_lo, exec_lo, s0
	s_cbranch_vccnz .LBB1097_55
; %bb.47:
	v_mad_u64_u32 v[33:34], null, v17, s14, s[20:21]
	v_mul_lo_u32 v39, v17, s15
	v_mul_lo_u32 v40, v18, s14
	v_mad_u64_u32 v[37:38], null, v19, s14, s[20:21]
	v_mul_lo_u32 v41, v19, s15
	v_mul_lo_u32 v42, v20, s14
	s_mov_b32 s24, 0
	s_mov_b32 s6, -1
	s_delay_alu instid0(VALU_DEP_4) | instskip(NEXT) | instid1(VALU_DEP_2)
	v_add3_u32 v34, v40, v34, v39
	v_add3_u32 v38, v42, v38, v41
	s_clause 0x1
	global_load_u8 v39, v[33:34], off
	global_load_u8 v40, v[37:38], off
	s_waitcnt vmcnt(1)
	v_cmp_ne_u16_e32 vcc_lo, 0, v39
	s_waitcnt vmcnt(0)
	v_cmp_ne_u16_e64 s0, 0, v40
	s_delay_alu instid0(VALU_DEP_1) | instskip(NEXT) | instid1(SALU_CYCLE_1)
	s_xor_b32 s0, vcc_lo, s0
	s_xor_b32 s0, s0, -1
	s_delay_alu instid0(SALU_CYCLE_1)
	s_and_saveexec_b32 s13, s0
	s_cbranch_execz .LBB1097_57
; %bb.48:
	s_mov_b64 s[4:5], 1
                                        ; implicit-def: $sgpr6
	s_set_inst_prefetch_distance 0x1
	s_branch .LBB1097_51
	.p2align	6
.LBB1097_49:                            ;   in Loop: Header=BB1097_51 Depth=1
	v_add_co_u32 v39, s0, v33, s4
	s_delay_alu instid0(VALU_DEP_1) | instskip(SKIP_1) | instid1(VALU_DEP_1)
	v_add_co_ci_u32_e64 v40, s0, s5, v34, s0
	v_add_co_u32 v41, s0, v37, s4
	v_add_co_ci_u32_e64 v42, s0, s5, v38, s0
	s_clause 0x1
	global_load_u8 v39, v[39:40], off
	global_load_u8 v40, v[41:42], off
	s_waitcnt vmcnt(1)
	v_cmp_ne_u16_e64 s0, 0, v39
	s_waitcnt vmcnt(0)
	v_cmp_ne_u16_e64 s1, 0, v40
	s_delay_alu instid0(VALU_DEP_1) | instskip(SKIP_4) | instid1(SALU_CYCLE_1)
	s_xor_b32 s25, s0, s1
	s_add_u32 s0, s4, 1
	s_addc_u32 s1, s5, 0
	s_and_not1_b32 s6, s6, exec_lo
	s_and_b32 s25, s25, exec_lo
	s_or_b32 s6, s6, s25
.LBB1097_50:                            ;   in Loop: Header=BB1097_51 Depth=1
	v_dual_mov_b32 v40, s5 :: v_dual_mov_b32 v39, s4
	s_and_b32 s25, exec_lo, s6
	s_mov_b64 s[4:5], s[0:1]
	s_or_b32 s24, s25, s24
	s_delay_alu instid0(SALU_CYCLE_1)
	s_and_not1_b32 exec_lo, exec_lo, s24
	s_cbranch_execz .LBB1097_56
.LBB1097_51:                            ; =>This Inner Loop Header: Depth=1
	s_or_b32 s6, s6, exec_lo
	s_cmp_eq_u64 s[14:15], s[4:5]
	s_cbranch_scc0 .LBB1097_49
; %bb.52:                               ;   in Loop: Header=BB1097_51 Depth=1
	s_mov_b64 s[4:5], s[14:15]
                                        ; implicit-def: $sgpr0_sgpr1
	s_branch .LBB1097_50
.LBB1097_53:
                                        ; implicit-def: $sgpr0
                                        ; implicit-def: $vgpr34
	s_branch .LBB1097_198
.LBB1097_54:
                                        ; implicit-def: $sgpr0
                                        ; implicit-def: $vgpr34
	s_cbranch_execnz .LBB1097_122
	s_branch .LBB1097_197
.LBB1097_55:
	s_mov_b32 s0, 0
	s_branch .LBB1097_65
.LBB1097_56:
	s_set_inst_prefetch_distance 0x2
	s_or_b32 exec_lo, exec_lo, s24
	v_cmp_gt_i64_e64 s0, s[14:15], v[39:40]
	s_delay_alu instid0(VALU_DEP_1)
	s_or_not1_b32 s6, s0, exec_lo
.LBB1097_57:
	s_or_b32 exec_lo, exec_lo, s13
	v_mad_u64_u32 v[37:38], null, v23, s14, s[20:21]
	v_mul_lo_u32 v39, v23, s15
	v_mul_lo_u32 v40, v24, s14
	s_mov_b32 s24, 0
	s_delay_alu instid0(VALU_DEP_1) | instskip(SKIP_3) | instid1(VALU_DEP_1)
	v_add3_u32 v38, v40, v38, v39
	global_load_u8 v39, v[37:38], off
	s_waitcnt vmcnt(0)
	v_cmp_ne_u16_e64 s0, 0, v39
	s_xor_b32 s1, vcc_lo, s0
	s_mov_b32 s0, -1
	s_xor_b32 s1, s1, -1
	s_delay_alu instid0(SALU_CYCLE_1)
	s_and_saveexec_b32 s13, s1
	s_cbranch_execz .LBB1097_64
; %bb.58:
	s_mov_b64 s[4:5], 1
                                        ; implicit-def: $sgpr25
	s_set_inst_prefetch_distance 0x1
	s_branch .LBB1097_61
	.p2align	6
.LBB1097_59:                            ;   in Loop: Header=BB1097_61 Depth=1
	v_add_co_u32 v39, vcc_lo, v37, s4
	v_add_co_ci_u32_e32 v40, vcc_lo, s5, v38, vcc_lo
	v_add_co_u32 v41, vcc_lo, v33, s4
	v_add_co_ci_u32_e32 v42, vcc_lo, s5, v34, vcc_lo
	s_clause 0x1
	global_load_u8 v39, v[39:40], off
	global_load_u8 v40, v[41:42], off
	s_waitcnt vmcnt(1)
	v_cmp_ne_u16_e32 vcc_lo, 0, v39
	s_waitcnt vmcnt(0)
	v_cmp_ne_u16_e64 s0, 0, v40
	s_delay_alu instid0(VALU_DEP_1) | instskip(SKIP_4) | instid1(SALU_CYCLE_1)
	s_xor_b32 s26, vcc_lo, s0
	s_add_u32 s0, s4, 1
	s_addc_u32 s1, s5, 0
	s_and_not1_b32 s25, s25, exec_lo
	s_and_b32 s26, s26, exec_lo
	s_or_b32 s25, s25, s26
.LBB1097_60:                            ;   in Loop: Header=BB1097_61 Depth=1
	v_dual_mov_b32 v40, s5 :: v_dual_mov_b32 v39, s4
	s_and_b32 s26, exec_lo, s25
	s_mov_b64 s[4:5], s[0:1]
	s_or_b32 s24, s26, s24
	s_delay_alu instid0(SALU_CYCLE_1)
	s_and_not1_b32 exec_lo, exec_lo, s24
	s_cbranch_execz .LBB1097_63
.LBB1097_61:                            ; =>This Inner Loop Header: Depth=1
	s_or_b32 s25, s25, exec_lo
	s_cmp_eq_u64 s[14:15], s[4:5]
	s_cbranch_scc0 .LBB1097_59
; %bb.62:                               ;   in Loop: Header=BB1097_61 Depth=1
	s_mov_b64 s[4:5], s[14:15]
                                        ; implicit-def: $sgpr0_sgpr1
	s_branch .LBB1097_60
.LBB1097_63:
	s_set_inst_prefetch_distance 0x2
	s_or_b32 exec_lo, exec_lo, s24
	v_cmp_gt_i64_e32 vcc_lo, s[14:15], v[39:40]
	s_or_not1_b32 s0, vcc_lo, exec_lo
.LBB1097_64:
	s_or_b32 exec_lo, exec_lo, s13
	v_cndmask_b32_e64 v33, 0, 1, s6
.LBB1097_65:
	v_and_b32_e32 v34, 0xff, v0
	v_lshlrev_b16 v37, 8, v0
	v_and_b32_e32 v38, 0xff, v0
	v_lshlrev_b16 v39, 8, v0
	;; [unrolled: 2-line block ×3, first 2 shown]
	v_lshlrev_b16 v33, 8, v33
	v_cndmask_b32_e64 v42, 0, 1, s0
	v_or_b32_e32 v34, v34, v37
	v_or_b32_e32 v37, v38, v39
	;; [unrolled: 1-line block ×3, first 2 shown]
	v_cmp_ne_u32_e32 vcc_lo, 1, v44
	v_or_b32_e32 v33, v42, v33
	v_and_b32_e32 v34, 0xffff, v34
	v_lshlrev_b32_e32 v37, 16, v37
	v_and_b32_e32 v38, 0xffff, v38
	s_delay_alu instid0(VALU_DEP_4) | instskip(NEXT) | instid1(VALU_DEP_3)
	v_lshlrev_b32_e32 v33, 16, v33
	v_or_b32_e32 v45, v34, v37
	s_delay_alu instid0(VALU_DEP_2)
	v_or_b32_e32 v43, v38, v33
	s_cbranch_vccnz .LBB1097_72
; %bb.66:
	v_mad_u64_u32 v[33:34], null, v21, s14, s[20:21]
	v_mul_lo_u32 v39, v21, s15
	v_mul_lo_u32 v40, v22, s14
	v_mad_u64_u32 v[37:38], null, v23, s14, s[20:21]
	v_mul_lo_u32 v41, v23, s15
	v_mul_lo_u32 v42, v24, s14
	s_mov_b32 s13, 0
	s_delay_alu instid0(VALU_DEP_4) | instskip(NEXT) | instid1(VALU_DEP_2)
	v_add3_u32 v34, v40, v34, v39
	v_add3_u32 v38, v42, v38, v41
	s_clause 0x1
	global_load_u8 v39, v[33:34], off
	global_load_u8 v40, v[37:38], off
	s_waitcnt vmcnt(1)
	v_cmp_ne_u16_e32 vcc_lo, 0, v39
	s_waitcnt vmcnt(0)
	v_cmp_ne_u16_e64 s0, 0, v40
	s_delay_alu instid0(VALU_DEP_1) | instskip(SKIP_2) | instid1(SALU_CYCLE_1)
	s_xor_b32 s1, vcc_lo, s0
	s_mov_b32 s0, -1
	s_xor_b32 s1, s1, -1
	s_and_saveexec_b32 s6, s1
	s_cbranch_execz .LBB1097_74
; %bb.67:
	s_mov_b64 s[4:5], 1
                                        ; implicit-def: $sgpr24
	s_set_inst_prefetch_distance 0x1
	s_branch .LBB1097_70
	.p2align	6
.LBB1097_68:                            ;   in Loop: Header=BB1097_70 Depth=1
	v_add_co_u32 v39, s0, v33, s4
	s_delay_alu instid0(VALU_DEP_1) | instskip(SKIP_1) | instid1(VALU_DEP_1)
	v_add_co_ci_u32_e64 v40, s0, s5, v34, s0
	v_add_co_u32 v41, s0, v37, s4
	v_add_co_ci_u32_e64 v42, s0, s5, v38, s0
	s_clause 0x1
	global_load_u8 v39, v[39:40], off
	global_load_u8 v40, v[41:42], off
	s_waitcnt vmcnt(1)
	v_cmp_ne_u16_e64 s0, 0, v39
	s_waitcnt vmcnt(0)
	v_cmp_ne_u16_e64 s1, 0, v40
	s_delay_alu instid0(VALU_DEP_1) | instskip(SKIP_4) | instid1(SALU_CYCLE_1)
	s_xor_b32 s25, s0, s1
	s_add_u32 s0, s4, 1
	s_addc_u32 s1, s5, 0
	s_and_not1_b32 s24, s24, exec_lo
	s_and_b32 s25, s25, exec_lo
	s_or_b32 s24, s24, s25
.LBB1097_69:                            ;   in Loop: Header=BB1097_70 Depth=1
	v_dual_mov_b32 v40, s5 :: v_dual_mov_b32 v39, s4
	s_and_b32 s25, exec_lo, s24
	s_mov_b64 s[4:5], s[0:1]
	s_or_b32 s13, s25, s13
	s_delay_alu instid0(SALU_CYCLE_1)
	s_and_not1_b32 exec_lo, exec_lo, s13
	s_cbranch_execz .LBB1097_73
.LBB1097_70:                            ; =>This Inner Loop Header: Depth=1
	s_or_b32 s24, s24, exec_lo
	s_cmp_eq_u64 s[14:15], s[4:5]
	s_cbranch_scc0 .LBB1097_68
; %bb.71:                               ;   in Loop: Header=BB1097_70 Depth=1
	s_mov_b64 s[4:5], s[14:15]
                                        ; implicit-def: $sgpr0_sgpr1
	s_branch .LBB1097_69
.LBB1097_72:
                                        ; implicit-def: $sgpr0
                                        ; implicit-def: $vgpr37_vgpr38
	s_cbranch_execnz .LBB1097_82
	s_branch .LBB1097_83
.LBB1097_73:
	s_set_inst_prefetch_distance 0x2
	s_or_b32 exec_lo, exec_lo, s13
	v_cmp_gt_i64_e64 s0, s[14:15], v[39:40]
	s_delay_alu instid0(VALU_DEP_1)
	s_or_not1_b32 s0, s0, exec_lo
.LBB1097_74:
	s_or_b32 exec_lo, exec_lo, s6
	v_mad_u64_u32 v[39:40], null, v27, s14, s[20:21]
	v_mul_lo_u32 v37, v27, s15
	v_mul_lo_u32 v38, v28, s14
	v_and_b32_e32 v41, 0xff, v43
	s_mov_b32 s6, 0
	s_delay_alu instid0(VALU_DEP_2) | instskip(SKIP_3) | instid1(VALU_DEP_1)
	v_add3_u32 v40, v38, v40, v37
	v_cndmask_b32_e64 v38, 0, 1, s0
	global_load_u8 v37, v[39:40], off
	v_lshlrev_b16 v38, 8, v38
	v_or_b32_e32 v38, v41, v38
	s_delay_alu instid0(VALU_DEP_1) | instskip(NEXT) | instid1(VALU_DEP_1)
	v_and_b32_e32 v38, 0xffff, v38
	v_and_or_b32 v38, 0xffff0000, v43, v38
	s_waitcnt vmcnt(0)
	v_cmp_ne_u16_e64 s0, 0, v37
	s_delay_alu instid0(VALU_DEP_1) | instskip(SKIP_2) | instid1(SALU_CYCLE_1)
	s_xor_b32 s1, vcc_lo, s0
	s_mov_b32 s0, -1
	s_xor_b32 s1, s1, -1
	s_and_saveexec_b32 s13, s1
	s_cbranch_execz .LBB1097_81
; %bb.75:
	s_mov_b64 s[4:5], 1
	s_mov_b32 s24, 0
                                        ; implicit-def: $sgpr25
	s_set_inst_prefetch_distance 0x1
	s_branch .LBB1097_78
	.p2align	6
.LBB1097_76:                            ;   in Loop: Header=BB1097_78 Depth=1
	v_add_co_u32 v41, vcc_lo, v39, s4
	v_add_co_ci_u32_e32 v42, vcc_lo, s5, v40, vcc_lo
	v_add_co_u32 v46, vcc_lo, v33, s4
	v_add_co_ci_u32_e32 v47, vcc_lo, s5, v34, vcc_lo
	s_clause 0x1
	global_load_u8 v37, v[41:42], off
	global_load_u8 v41, v[46:47], off
	s_waitcnt vmcnt(1)
	v_cmp_ne_u16_e32 vcc_lo, 0, v37
	s_waitcnt vmcnt(0)
	v_cmp_ne_u16_e64 s0, 0, v41
	s_delay_alu instid0(VALU_DEP_1) | instskip(SKIP_4) | instid1(SALU_CYCLE_1)
	s_xor_b32 s26, vcc_lo, s0
	s_add_u32 s0, s4, 1
	s_addc_u32 s1, s5, 0
	s_and_not1_b32 s25, s25, exec_lo
	s_and_b32 s26, s26, exec_lo
	s_or_b32 s25, s25, s26
.LBB1097_77:                            ;   in Loop: Header=BB1097_78 Depth=1
	v_dual_mov_b32 v42, s5 :: v_dual_mov_b32 v41, s4
	s_and_b32 s26, exec_lo, s25
	s_mov_b64 s[4:5], s[0:1]
	s_or_b32 s24, s26, s24
	s_delay_alu instid0(SALU_CYCLE_1)
	s_and_not1_b32 exec_lo, exec_lo, s24
	s_cbranch_execz .LBB1097_80
.LBB1097_78:                            ; =>This Inner Loop Header: Depth=1
	s_or_b32 s25, s25, exec_lo
	s_cmp_eq_u64 s[14:15], s[4:5]
	s_cbranch_scc0 .LBB1097_76
; %bb.79:                               ;   in Loop: Header=BB1097_78 Depth=1
	s_mov_b64 s[4:5], s[14:15]
                                        ; implicit-def: $sgpr0_sgpr1
	s_branch .LBB1097_77
.LBB1097_80:
	s_set_inst_prefetch_distance 0x2
	s_or_b32 exec_lo, exec_lo, s24
	v_cmp_gt_i64_e32 vcc_lo, s[14:15], v[41:42]
	s_or_not1_b32 s0, vcc_lo, exec_lo
.LBB1097_81:
	s_or_b32 exec_lo, exec_lo, s13
	s_delay_alu instid0(SALU_CYCLE_1)
	s_and_b32 vcc_lo, exec_lo, s6
	s_cbranch_vccz .LBB1097_83
.LBB1097_82:
	s_delay_alu instid0(VALU_DEP_1)
	v_and_b32_e32 v38, 0xffff00ff, v43
	s_and_not1_b32 s0, s0, exec_lo
.LBB1097_83:
	s_delay_alu instid0(VALU_DEP_1) | instskip(SKIP_2) | instid1(VALU_DEP_2)
	v_and_b32_e32 v33, 0xffffff00, v38
	v_cndmask_b32_e64 v34, 0, 1, s0
	v_cmp_ne_u32_e32 vcc_lo, 1, v44
	v_or_b32_e32 v33, v34, v33
	s_delay_alu instid0(VALU_DEP_1) | instskip(NEXT) | instid1(VALU_DEP_1)
	v_and_b32_e32 v33, 0xffff, v33
	v_and_or_b32 v34, 0xffff0000, v38, v33
	s_cbranch_vccnz .LBB1097_90
; %bb.84:
	v_mad_u64_u32 v[38:39], null, v25, s14, s[20:21]
	v_mul_lo_u32 v33, v25, s15
	v_mul_lo_u32 v37, v26, s14
	v_mad_u64_u32 v[40:41], null, v27, s14, s[20:21]
	v_mul_lo_u32 v42, v27, s15
	v_mul_lo_u32 v43, v28, s14
	s_delay_alu instid0(VALU_DEP_4) | instskip(NEXT) | instid1(VALU_DEP_2)
	v_add3_u32 v39, v37, v39, v33
	v_add3_u32 v41, v43, v41, v42
	s_clause 0x1
	global_load_u8 v33, v[38:39], off
	global_load_u8 v37, v[40:41], off
	s_waitcnt vmcnt(1)
	v_cmp_ne_u16_e32 vcc_lo, 0, v33
	s_waitcnt vmcnt(0)
	v_cmp_ne_u16_e64 s0, 0, v37
	s_delay_alu instid0(VALU_DEP_1) | instskip(SKIP_2) | instid1(SALU_CYCLE_1)
	s_xor_b32 s1, vcc_lo, s0
	s_mov_b32 s0, -1
	s_xor_b32 s1, s1, -1
	s_and_saveexec_b32 s6, s1
	s_cbranch_execz .LBB1097_92
; %bb.85:
	s_mov_b64 s[4:5], 1
	s_mov_b32 s13, 0
                                        ; implicit-def: $sgpr24
	s_set_inst_prefetch_distance 0x1
	s_branch .LBB1097_88
	.p2align	6
.LBB1097_86:                            ;   in Loop: Header=BB1097_88 Depth=1
	v_add_co_u32 v42, s0, v38, s4
	s_delay_alu instid0(VALU_DEP_1) | instskip(SKIP_1) | instid1(VALU_DEP_1)
	v_add_co_ci_u32_e64 v43, s0, s5, v39, s0
	v_add_co_u32 v46, s0, v40, s4
	v_add_co_ci_u32_e64 v47, s0, s5, v41, s0
	s_clause 0x1
	global_load_u8 v33, v[42:43], off
	global_load_u8 v37, v[46:47], off
	s_waitcnt vmcnt(1)
	v_cmp_ne_u16_e64 s0, 0, v33
	s_waitcnt vmcnt(0)
	v_cmp_ne_u16_e64 s1, 0, v37
	s_delay_alu instid0(VALU_DEP_1) | instskip(SKIP_4) | instid1(SALU_CYCLE_1)
	s_xor_b32 s25, s0, s1
	s_add_u32 s0, s4, 1
	s_addc_u32 s1, s5, 0
	s_and_not1_b32 s24, s24, exec_lo
	s_and_b32 s25, s25, exec_lo
	s_or_b32 s24, s24, s25
.LBB1097_87:                            ;   in Loop: Header=BB1097_88 Depth=1
	v_dual_mov_b32 v43, s5 :: v_dual_mov_b32 v42, s4
	s_and_b32 s25, exec_lo, s24
	s_mov_b64 s[4:5], s[0:1]
	s_or_b32 s13, s25, s13
	s_delay_alu instid0(SALU_CYCLE_1)
	s_and_not1_b32 exec_lo, exec_lo, s13
	s_cbranch_execz .LBB1097_91
.LBB1097_88:                            ; =>This Inner Loop Header: Depth=1
	s_or_b32 s24, s24, exec_lo
	s_cmp_eq_u64 s[14:15], s[4:5]
	s_cbranch_scc0 .LBB1097_86
; %bb.89:                               ;   in Loop: Header=BB1097_88 Depth=1
	s_mov_b64 s[4:5], s[14:15]
                                        ; implicit-def: $sgpr0_sgpr1
	s_branch .LBB1097_87
.LBB1097_90:
                                        ; implicit-def: $sgpr6
                                        ; implicit-def: $vgpr37_vgpr38
	s_cbranch_execnz .LBB1097_100
	s_branch .LBB1097_101
.LBB1097_91:
	s_set_inst_prefetch_distance 0x2
	s_or_b32 exec_lo, exec_lo, s13
	v_cmp_gt_i64_e64 s0, s[14:15], v[42:43]
	s_delay_alu instid0(VALU_DEP_1)
	s_or_not1_b32 s0, s0, exec_lo
.LBB1097_92:
	s_or_b32 exec_lo, exec_lo, s6
	v_mad_u64_u32 v[40:41], null, v31, s14, s[20:21]
	v_mul_lo_u32 v33, v31, s15
	v_mul_lo_u32 v37, v32, s14
	v_cndmask_b32_e64 v42, 0, 1, s0
	s_mov_b32 s13, 0
	s_mov_b32 s6, -1
	s_delay_alu instid0(VALU_DEP_1) | instskip(NEXT) | instid1(VALU_DEP_3)
	v_lshlrev_b16 v42, 8, v42
	v_add3_u32 v41, v37, v41, v33
	v_lshrrev_b32_e32 v37, 16, v45
	global_load_u8 v33, v[40:41], off
	v_and_b32_e32 v37, 0xff, v37
	s_delay_alu instid0(VALU_DEP_1) | instskip(NEXT) | instid1(VALU_DEP_1)
	v_or_b32_e32 v37, v37, v42
	v_lshlrev_b32_e32 v37, 16, v37
	s_delay_alu instid0(VALU_DEP_1) | instskip(SKIP_2) | instid1(VALU_DEP_1)
	v_and_or_b32 v37, 0xffff, v45, v37
	s_waitcnt vmcnt(0)
	v_cmp_ne_u16_e64 s0, 0, v33
	s_xor_b32 s0, vcc_lo, s0
	s_delay_alu instid0(SALU_CYCLE_1) | instskip(NEXT) | instid1(SALU_CYCLE_1)
	s_xor_b32 s0, s0, -1
	s_and_saveexec_b32 s24, s0
	s_cbranch_execz .LBB1097_99
; %bb.93:
	s_mov_b64 s[4:5], 1
	s_mov_b32 s6, 0
                                        ; implicit-def: $sgpr25
	s_set_inst_prefetch_distance 0x1
	s_branch .LBB1097_96
	.p2align	6
.LBB1097_94:                            ;   in Loop: Header=BB1097_96 Depth=1
	v_add_co_u32 v42, vcc_lo, v40, s4
	v_add_co_ci_u32_e32 v43, vcc_lo, s5, v41, vcc_lo
	v_add_co_u32 v46, vcc_lo, v38, s4
	v_add_co_ci_u32_e32 v47, vcc_lo, s5, v39, vcc_lo
	s_clause 0x1
	global_load_u8 v33, v[42:43], off
	global_load_u8 v42, v[46:47], off
	s_waitcnt vmcnt(1)
	v_cmp_ne_u16_e32 vcc_lo, 0, v33
	s_waitcnt vmcnt(0)
	v_cmp_ne_u16_e64 s0, 0, v42
	s_delay_alu instid0(VALU_DEP_1) | instskip(SKIP_4) | instid1(SALU_CYCLE_1)
	s_xor_b32 s26, vcc_lo, s0
	s_add_u32 s0, s4, 1
	s_addc_u32 s1, s5, 0
	s_and_not1_b32 s25, s25, exec_lo
	s_and_b32 s26, s26, exec_lo
	s_or_b32 s25, s25, s26
.LBB1097_95:                            ;   in Loop: Header=BB1097_96 Depth=1
	v_dual_mov_b32 v43, s5 :: v_dual_mov_b32 v42, s4
	s_and_b32 s26, exec_lo, s25
	s_mov_b64 s[4:5], s[0:1]
	s_or_b32 s6, s26, s6
	s_delay_alu instid0(SALU_CYCLE_1)
	s_and_not1_b32 exec_lo, exec_lo, s6
	s_cbranch_execz .LBB1097_98
.LBB1097_96:                            ; =>This Inner Loop Header: Depth=1
	s_or_b32 s25, s25, exec_lo
	s_cmp_eq_u64 s[14:15], s[4:5]
	s_cbranch_scc0 .LBB1097_94
; %bb.97:                               ;   in Loop: Header=BB1097_96 Depth=1
	s_mov_b64 s[4:5], s[14:15]
                                        ; implicit-def: $sgpr0_sgpr1
	s_branch .LBB1097_95
.LBB1097_98:
	s_set_inst_prefetch_distance 0x2
	s_or_b32 exec_lo, exec_lo, s6
	v_cmp_gt_i64_e32 vcc_lo, s[14:15], v[42:43]
	s_or_not1_b32 s6, vcc_lo, exec_lo
.LBB1097_99:
	s_or_b32 exec_lo, exec_lo, s24
	s_delay_alu instid0(SALU_CYCLE_1)
	s_and_b32 vcc_lo, exec_lo, s13
	s_cbranch_vccz .LBB1097_101
.LBB1097_100:
	v_and_b32_e32 v37, 0xffffff, v45
	s_and_not1_b32 s6, s6, exec_lo
.LBB1097_101:
	v_cmp_ne_u32_e32 vcc_lo, 1, v44
	s_mov_b32 s0, 0
	s_cbranch_vccnz .LBB1097_110
; %bb.102:
	v_mad_u64_u32 v[38:39], null, v29, s14, s[20:21]
	v_mul_lo_u32 v33, v29, s15
	v_mul_lo_u32 v42, v30, s14
	v_mad_u64_u32 v[40:41], null, v31, s14, s[20:21]
	v_mul_lo_u32 v43, v31, s15
	v_mul_lo_u32 v45, v32, s14
	s_mov_b32 s24, 0
	s_delay_alu instid0(VALU_DEP_4) | instskip(NEXT) | instid1(VALU_DEP_2)
	v_add3_u32 v39, v42, v39, v33
	v_add3_u32 v41, v45, v41, v43
	s_clause 0x1
	global_load_u8 v33, v[38:39], off
	global_load_u8 v42, v[40:41], off
	s_waitcnt vmcnt(1)
	v_cmp_ne_u16_e32 vcc_lo, 0, v33
	s_waitcnt vmcnt(0)
	v_cmp_ne_u16_e64 s0, 0, v42
	s_delay_alu instid0(VALU_DEP_1) | instskip(SKIP_2) | instid1(SALU_CYCLE_1)
	s_xor_b32 s1, vcc_lo, s0
	s_mov_b32 s0, -1
	s_xor_b32 s1, s1, -1
	s_and_saveexec_b32 s13, s1
	s_cbranch_execz .LBB1097_109
; %bb.103:
	s_mov_b64 s[4:5], 1
                                        ; implicit-def: $sgpr25
	s_set_inst_prefetch_distance 0x1
	s_branch .LBB1097_106
	.p2align	6
.LBB1097_104:                           ;   in Loop: Header=BB1097_106 Depth=1
	v_add_co_u32 v42, vcc_lo, v38, s4
	v_add_co_ci_u32_e32 v43, vcc_lo, s5, v39, vcc_lo
	v_add_co_u32 v45, vcc_lo, v40, s4
	v_add_co_ci_u32_e32 v46, vcc_lo, s5, v41, vcc_lo
	s_clause 0x1
	global_load_u8 v33, v[42:43], off
	global_load_u8 v42, v[45:46], off
	s_waitcnt vmcnt(1)
	v_cmp_ne_u16_e32 vcc_lo, 0, v33
	s_waitcnt vmcnt(0)
	v_cmp_ne_u16_e64 s0, 0, v42
	s_delay_alu instid0(VALU_DEP_1) | instskip(SKIP_4) | instid1(SALU_CYCLE_1)
	s_xor_b32 s26, vcc_lo, s0
	s_add_u32 s0, s4, 1
	s_addc_u32 s1, s5, 0
	s_and_not1_b32 s25, s25, exec_lo
	s_and_b32 s26, s26, exec_lo
	s_or_b32 s25, s25, s26
.LBB1097_105:                           ;   in Loop: Header=BB1097_106 Depth=1
	v_dual_mov_b32 v43, s5 :: v_dual_mov_b32 v42, s4
	s_and_b32 s26, exec_lo, s25
	s_mov_b64 s[4:5], s[0:1]
	s_or_b32 s24, s26, s24
	s_delay_alu instid0(SALU_CYCLE_1)
	s_and_not1_b32 exec_lo, exec_lo, s24
	s_cbranch_execz .LBB1097_108
.LBB1097_106:                           ; =>This Inner Loop Header: Depth=1
	s_or_b32 s25, s25, exec_lo
	s_cmp_eq_u64 s[14:15], s[4:5]
	s_cbranch_scc0 .LBB1097_104
; %bb.107:                              ;   in Loop: Header=BB1097_106 Depth=1
	s_mov_b64 s[4:5], s[14:15]
                                        ; implicit-def: $sgpr0_sgpr1
	s_branch .LBB1097_105
.LBB1097_108:
	s_set_inst_prefetch_distance 0x2
	s_or_b32 exec_lo, exec_lo, s24
	v_cmp_gt_i64_e32 vcc_lo, s[14:15], v[42:43]
	s_or_not1_b32 s0, vcc_lo, exec_lo
.LBB1097_109:
	s_or_b32 exec_lo, exec_lo, s13
.LBB1097_110:
	s_waitcnt vmcnt(0)
	v_dual_mov_b32 v40, v36 :: v_dual_mov_b32 v39, v35
	s_waitcnt lgkmcnt(0)
	s_barrier
	buffer_gl0_inv
	s_and_saveexec_b32 s1, s3
	s_cbranch_execz .LBB1097_112
; %bb.111:
	v_add_nc_u32_e32 v33, -8, v55
	ds_load_b64 v[39:40], v33
.LBB1097_112:
	s_or_b32 exec_lo, exec_lo, s1
	v_cndmask_b32_e64 v33, 0, 1, s0
	v_lshrrev_b32_e32 v38, 24, v37
	v_cndmask_b32_e64 v41, 0, 1, s6
	v_and_b32_e32 v37, 0xff, v37
	v_cmp_ne_u32_e32 vcc_lo, 1, v44
	v_lshlrev_b16 v33, 8, v33
	v_lshlrev_b16 v38, 8, v38
	s_mov_b32 s6, 0
	s_mov_b32 s0, 0
	s_and_b32 vcc_lo, exec_lo, vcc_lo
	v_or_b32_e32 v33, v37, v33
	v_or_b32_e32 v37, v41, v38
	s_delay_alu instid0(VALU_DEP_2) | instskip(NEXT) | instid1(VALU_DEP_2)
	v_and_b32_e32 v33, 0xffff, v33
	v_lshlrev_b32_e32 v43, 16, v37
	s_cbranch_vccnz .LBB1097_121
; %bb.113:
	s_waitcnt lgkmcnt(0)
	v_mad_u64_u32 v[37:38], null, v39, s14, s[20:21]
	v_mul_lo_u32 v41, v39, s15
	v_mul_lo_u32 v42, v40, s14
	v_mad_u64_u32 v[39:40], null, v29, s14, s[20:21]
	v_mul_lo_u32 v44, v29, s15
	v_mul_lo_u32 v45, v30, s14
	s_mov_b32 s24, 0
	s_delay_alu instid0(VALU_DEP_4) | instskip(NEXT) | instid1(VALU_DEP_2)
	v_add3_u32 v38, v42, v38, v41
	v_add3_u32 v40, v45, v40, v44
	s_clause 0x1
	global_load_u8 v41, v[37:38], off
	global_load_u8 v42, v[39:40], off
	s_waitcnt vmcnt(1)
	v_cmp_ne_u16_e32 vcc_lo, 0, v41
	s_waitcnt vmcnt(0)
	v_cmp_ne_u16_e64 s0, 0, v42
	s_delay_alu instid0(VALU_DEP_1) | instskip(SKIP_2) | instid1(SALU_CYCLE_1)
	s_xor_b32 s1, vcc_lo, s0
	s_mov_b32 s0, -1
	s_xor_b32 s1, s1, -1
	s_and_saveexec_b32 s13, s1
	s_cbranch_execz .LBB1097_120
; %bb.114:
	s_mov_b64 s[4:5], 1
                                        ; implicit-def: $sgpr25
	s_set_inst_prefetch_distance 0x1
	s_branch .LBB1097_117
	.p2align	6
.LBB1097_115:                           ;   in Loop: Header=BB1097_117 Depth=1
	v_add_co_u32 v41, vcc_lo, v37, s4
	v_add_co_ci_u32_e32 v42, vcc_lo, s5, v38, vcc_lo
	v_add_co_u32 v44, vcc_lo, v39, s4
	v_add_co_ci_u32_e32 v45, vcc_lo, s5, v40, vcc_lo
	s_clause 0x1
	global_load_u8 v41, v[41:42], off
	global_load_u8 v42, v[44:45], off
	s_waitcnt vmcnt(1)
	v_cmp_ne_u16_e32 vcc_lo, 0, v41
	s_waitcnt vmcnt(0)
	v_cmp_ne_u16_e64 s0, 0, v42
	s_delay_alu instid0(VALU_DEP_1) | instskip(SKIP_4) | instid1(SALU_CYCLE_1)
	s_xor_b32 s26, vcc_lo, s0
	s_add_u32 s0, s4, 1
	s_addc_u32 s1, s5, 0
	s_and_not1_b32 s25, s25, exec_lo
	s_and_b32 s26, s26, exec_lo
	s_or_b32 s25, s25, s26
.LBB1097_116:                           ;   in Loop: Header=BB1097_117 Depth=1
	v_dual_mov_b32 v42, s5 :: v_dual_mov_b32 v41, s4
	s_and_b32 s26, exec_lo, s25
	s_mov_b64 s[4:5], s[0:1]
	s_or_b32 s24, s26, s24
	s_delay_alu instid0(SALU_CYCLE_1)
	s_and_not1_b32 exec_lo, exec_lo, s24
	s_cbranch_execz .LBB1097_119
.LBB1097_117:                           ; =>This Inner Loop Header: Depth=1
	s_or_b32 s25, s25, exec_lo
	s_cmp_eq_u64 s[14:15], s[4:5]
	s_cbranch_scc0 .LBB1097_115
; %bb.118:                              ;   in Loop: Header=BB1097_117 Depth=1
	s_mov_b64 s[4:5], s[14:15]
                                        ; implicit-def: $sgpr0_sgpr1
	s_branch .LBB1097_116
.LBB1097_119:
	s_set_inst_prefetch_distance 0x2
	s_or_b32 exec_lo, exec_lo, s24
	v_cmp_gt_i64_e32 vcc_lo, s[14:15], v[41:42]
	s_or_not1_b32 s0, vcc_lo, exec_lo
.LBB1097_120:
	s_or_b32 exec_lo, exec_lo, s13
.LBB1097_121:
	s_delay_alu instid0(VALU_DEP_1)
	v_or_b32_e32 v33, v33, v43
	s_and_b32 vcc_lo, exec_lo, s6
	s_cbranch_vccz .LBB1097_197
.LBB1097_122:
	v_or_b32_e32 v33, 7, v55
	s_xor_b32 s6, s7, -1
	s_mov_b32 s1, -1
	s_mov_b32 s7, 0
	s_mov_b32 s13, 0
	v_cmp_gt_u32_e32 vcc_lo, s31, v33
	s_and_b32 s0, vcc_lo, s6
	s_delay_alu instid0(SALU_CYCLE_1)
	s_and_saveexec_b32 s24, s0
	s_cbranch_execz .LBB1097_131
; %bb.123:
	v_mad_u64_u32 v[33:34], null, v17, s14, s[20:21]
	s_waitcnt lgkmcnt(0)
	v_mul_lo_u32 v39, v17, s15
	v_mul_lo_u32 v40, v18, s14
	v_mad_u64_u32 v[37:38], null, v19, s14, s[20:21]
	v_mul_lo_u32 v41, v19, s15
	v_mul_lo_u32 v42, v20, s14
	s_mov_b32 s25, 0
	s_delay_alu instid0(VALU_DEP_4) | instskip(NEXT) | instid1(VALU_DEP_2)
	v_add3_u32 v34, v40, v34, v39
	v_add3_u32 v38, v42, v38, v41
	s_clause 0x1
	global_load_u8 v39, v[33:34], off
	global_load_u8 v40, v[37:38], off
	s_waitcnt vmcnt(1)
	v_cmp_ne_u16_e32 vcc_lo, 0, v39
	s_waitcnt vmcnt(0)
	v_cmp_ne_u16_e64 s0, 0, v40
	s_delay_alu instid0(VALU_DEP_1) | instskip(NEXT) | instid1(SALU_CYCLE_1)
	s_xor_b32 s0, vcc_lo, s0
	s_xor_b32 s0, s0, -1
	s_delay_alu instid0(SALU_CYCLE_1)
	s_and_saveexec_b32 s13, s0
	s_cbranch_execz .LBB1097_130
; %bb.124:
	s_mov_b64 s[4:5], 1
                                        ; implicit-def: $sgpr26
	s_set_inst_prefetch_distance 0x1
	s_branch .LBB1097_127
	.p2align	6
.LBB1097_125:                           ;   in Loop: Header=BB1097_127 Depth=1
	v_add_co_u32 v39, vcc_lo, v33, s4
	v_add_co_ci_u32_e32 v40, vcc_lo, s5, v34, vcc_lo
	v_add_co_u32 v41, vcc_lo, v37, s4
	v_add_co_ci_u32_e32 v42, vcc_lo, s5, v38, vcc_lo
	s_clause 0x1
	global_load_u8 v39, v[39:40], off
	global_load_u8 v40, v[41:42], off
	s_waitcnt vmcnt(1)
	v_cmp_ne_u16_e32 vcc_lo, 0, v39
	s_waitcnt vmcnt(0)
	v_cmp_ne_u16_e64 s0, 0, v40
	s_delay_alu instid0(VALU_DEP_1) | instskip(SKIP_4) | instid1(SALU_CYCLE_1)
	s_xor_b32 s27, vcc_lo, s0
	s_add_u32 s0, s4, 1
	s_addc_u32 s1, s5, 0
	s_and_not1_b32 s26, s26, exec_lo
	s_and_b32 s27, s27, exec_lo
	s_or_b32 s26, s26, s27
.LBB1097_126:                           ;   in Loop: Header=BB1097_127 Depth=1
	v_dual_mov_b32 v40, s5 :: v_dual_mov_b32 v39, s4
	s_and_b32 s27, exec_lo, s26
	s_mov_b64 s[4:5], s[0:1]
	s_or_b32 s25, s27, s25
	s_delay_alu instid0(SALU_CYCLE_1)
	s_and_not1_b32 exec_lo, exec_lo, s25
	s_cbranch_execz .LBB1097_129
.LBB1097_127:                           ; =>This Inner Loop Header: Depth=1
	s_or_b32 s26, s26, exec_lo
	s_cmp_eq_u64 s[14:15], s[4:5]
	s_cbranch_scc0 .LBB1097_125
; %bb.128:                              ;   in Loop: Header=BB1097_127 Depth=1
	s_mov_b64 s[4:5], s[14:15]
                                        ; implicit-def: $sgpr0_sgpr1
	s_branch .LBB1097_126
.LBB1097_129:
	s_set_inst_prefetch_distance 0x2
	s_or_b32 exec_lo, exec_lo, s25
	v_cmp_gt_i64_e32 vcc_lo, s[14:15], v[39:40]
	s_or_not1_b32 s1, vcc_lo, exec_lo
.LBB1097_130:
	s_or_b32 exec_lo, exec_lo, s13
	s_delay_alu instid0(SALU_CYCLE_1)
	s_and_b32 s13, s1, exec_lo
.LBB1097_131:
	s_or_b32 exec_lo, exec_lo, s24
	v_or_b32_e32 v33, 6, v55
	s_delay_alu instid0(VALU_DEP_1) | instskip(SKIP_1) | instid1(SALU_CYCLE_1)
	v_cmp_gt_u32_e32 vcc_lo, s31, v33
	s_and_b32 s0, vcc_lo, s6
	s_and_saveexec_b32 s24, s0
	s_cbranch_execz .LBB1097_140
; %bb.132:
	v_mad_u64_u32 v[33:34], null, v23, s14, s[20:21]
	s_waitcnt lgkmcnt(0)
	v_mul_lo_u32 v39, v23, s15
	v_mul_lo_u32 v40, v24, s14
	v_mad_u64_u32 v[37:38], null, v17, s14, s[20:21]
	v_mul_lo_u32 v41, v17, s15
	v_mul_lo_u32 v42, v18, s14
	s_mov_b32 s25, 0
	s_delay_alu instid0(VALU_DEP_4) | instskip(NEXT) | instid1(VALU_DEP_2)
	v_add3_u32 v34, v40, v34, v39
	v_add3_u32 v38, v42, v38, v41
	s_clause 0x1
	global_load_u8 v39, v[33:34], off
	global_load_u8 v40, v[37:38], off
	s_waitcnt vmcnt(1)
	v_cmp_ne_u16_e32 vcc_lo, 0, v39
	s_waitcnt vmcnt(0)
	v_cmp_ne_u16_e64 s0, 0, v40
	s_delay_alu instid0(VALU_DEP_1) | instskip(SKIP_2) | instid1(SALU_CYCLE_1)
	s_xor_b32 s1, vcc_lo, s0
	s_mov_b32 s0, -1
	s_xor_b32 s1, s1, -1
	s_and_saveexec_b32 s7, s1
	s_cbranch_execz .LBB1097_139
; %bb.133:
	s_mov_b64 s[4:5], 1
                                        ; implicit-def: $sgpr26
	s_set_inst_prefetch_distance 0x1
	s_branch .LBB1097_136
	.p2align	6
.LBB1097_134:                           ;   in Loop: Header=BB1097_136 Depth=1
	v_add_co_u32 v39, vcc_lo, v33, s4
	v_add_co_ci_u32_e32 v40, vcc_lo, s5, v34, vcc_lo
	v_add_co_u32 v41, vcc_lo, v37, s4
	v_add_co_ci_u32_e32 v42, vcc_lo, s5, v38, vcc_lo
	s_clause 0x1
	global_load_u8 v39, v[39:40], off
	global_load_u8 v40, v[41:42], off
	s_waitcnt vmcnt(1)
	v_cmp_ne_u16_e32 vcc_lo, 0, v39
	s_waitcnt vmcnt(0)
	v_cmp_ne_u16_e64 s0, 0, v40
	s_delay_alu instid0(VALU_DEP_1) | instskip(SKIP_4) | instid1(SALU_CYCLE_1)
	s_xor_b32 s27, vcc_lo, s0
	s_add_u32 s0, s4, 1
	s_addc_u32 s1, s5, 0
	s_and_not1_b32 s26, s26, exec_lo
	s_and_b32 s27, s27, exec_lo
	s_or_b32 s26, s26, s27
.LBB1097_135:                           ;   in Loop: Header=BB1097_136 Depth=1
	v_dual_mov_b32 v40, s5 :: v_dual_mov_b32 v39, s4
	s_and_b32 s27, exec_lo, s26
	s_mov_b64 s[4:5], s[0:1]
	s_or_b32 s25, s27, s25
	s_delay_alu instid0(SALU_CYCLE_1)
	s_and_not1_b32 exec_lo, exec_lo, s25
	s_cbranch_execz .LBB1097_138
.LBB1097_136:                           ; =>This Inner Loop Header: Depth=1
	s_or_b32 s26, s26, exec_lo
	s_cmp_eq_u64 s[14:15], s[4:5]
	s_cbranch_scc0 .LBB1097_134
; %bb.137:                              ;   in Loop: Header=BB1097_136 Depth=1
	s_mov_b64 s[4:5], s[14:15]
                                        ; implicit-def: $sgpr0_sgpr1
	s_branch .LBB1097_135
.LBB1097_138:
	s_set_inst_prefetch_distance 0x2
	s_or_b32 exec_lo, exec_lo, s25
	v_cmp_gt_i64_e32 vcc_lo, s[14:15], v[39:40]
	s_or_not1_b32 s0, vcc_lo, exec_lo
.LBB1097_139:
	s_or_b32 exec_lo, exec_lo, s7
	s_delay_alu instid0(SALU_CYCLE_1)
	s_and_b32 s7, s0, exec_lo
.LBB1097_140:
	s_or_b32 exec_lo, exec_lo, s24
	v_or_b32_e32 v33, 5, v55
	s_mov_b32 s1, -1
	s_mov_b32 s25, 0
	s_mov_b32 s24, 0
	s_delay_alu instid0(VALU_DEP_1) | instskip(SKIP_1) | instid1(SALU_CYCLE_1)
	v_cmp_gt_u32_e32 vcc_lo, s31, v33
	s_and_b32 s0, vcc_lo, s6
	s_and_saveexec_b32 s26, s0
	s_cbranch_execz .LBB1097_149
; %bb.141:
	v_mad_u64_u32 v[33:34], null, v21, s14, s[20:21]
	s_waitcnt lgkmcnt(0)
	v_mul_lo_u32 v39, v21, s15
	v_mul_lo_u32 v40, v22, s14
	v_mad_u64_u32 v[37:38], null, v23, s14, s[20:21]
	v_mul_lo_u32 v41, v23, s15
	v_mul_lo_u32 v42, v24, s14
	s_mov_b32 s27, 0
	s_delay_alu instid0(VALU_DEP_4) | instskip(NEXT) | instid1(VALU_DEP_2)
	v_add3_u32 v34, v40, v34, v39
	v_add3_u32 v38, v42, v38, v41
	s_clause 0x1
	global_load_u8 v39, v[33:34], off
	global_load_u8 v40, v[37:38], off
	s_waitcnt vmcnt(1)
	v_cmp_ne_u16_e32 vcc_lo, 0, v39
	s_waitcnt vmcnt(0)
	v_cmp_ne_u16_e64 s0, 0, v40
	s_delay_alu instid0(VALU_DEP_1) | instskip(NEXT) | instid1(SALU_CYCLE_1)
	s_xor_b32 s0, vcc_lo, s0
	s_xor_b32 s0, s0, -1
	s_delay_alu instid0(SALU_CYCLE_1)
	s_and_saveexec_b32 s24, s0
	s_cbranch_execz .LBB1097_148
; %bb.142:
	s_mov_b64 s[4:5], 1
                                        ; implicit-def: $sgpr34
	s_set_inst_prefetch_distance 0x1
	s_branch .LBB1097_145
	.p2align	6
.LBB1097_143:                           ;   in Loop: Header=BB1097_145 Depth=1
	v_add_co_u32 v39, vcc_lo, v33, s4
	v_add_co_ci_u32_e32 v40, vcc_lo, s5, v34, vcc_lo
	v_add_co_u32 v41, vcc_lo, v37, s4
	v_add_co_ci_u32_e32 v42, vcc_lo, s5, v38, vcc_lo
	s_clause 0x1
	global_load_u8 v39, v[39:40], off
	global_load_u8 v40, v[41:42], off
	s_waitcnt vmcnt(1)
	v_cmp_ne_u16_e32 vcc_lo, 0, v39
	s_waitcnt vmcnt(0)
	v_cmp_ne_u16_e64 s0, 0, v40
	s_delay_alu instid0(VALU_DEP_1) | instskip(SKIP_4) | instid1(SALU_CYCLE_1)
	s_xor_b32 s35, vcc_lo, s0
	s_add_u32 s0, s4, 1
	s_addc_u32 s1, s5, 0
	s_and_not1_b32 s34, s34, exec_lo
	s_and_b32 s35, s35, exec_lo
	s_or_b32 s34, s34, s35
.LBB1097_144:                           ;   in Loop: Header=BB1097_145 Depth=1
	v_dual_mov_b32 v40, s5 :: v_dual_mov_b32 v39, s4
	s_and_b32 s35, exec_lo, s34
	s_mov_b64 s[4:5], s[0:1]
	s_or_b32 s27, s35, s27
	s_delay_alu instid0(SALU_CYCLE_1)
	s_and_not1_b32 exec_lo, exec_lo, s27
	s_cbranch_execz .LBB1097_147
.LBB1097_145:                           ; =>This Inner Loop Header: Depth=1
	s_or_b32 s34, s34, exec_lo
	s_cmp_eq_u64 s[14:15], s[4:5]
	s_cbranch_scc0 .LBB1097_143
; %bb.146:                              ;   in Loop: Header=BB1097_145 Depth=1
	s_mov_b64 s[4:5], s[14:15]
                                        ; implicit-def: $sgpr0_sgpr1
	s_branch .LBB1097_144
.LBB1097_147:
	s_set_inst_prefetch_distance 0x2
	s_or_b32 exec_lo, exec_lo, s27
	v_cmp_gt_i64_e32 vcc_lo, s[14:15], v[39:40]
	s_or_not1_b32 s1, vcc_lo, exec_lo
.LBB1097_148:
	s_or_b32 exec_lo, exec_lo, s24
	s_delay_alu instid0(SALU_CYCLE_1)
	s_and_b32 s24, s1, exec_lo
.LBB1097_149:
	s_or_b32 exec_lo, exec_lo, s26
	v_or_b32_e32 v33, 4, v55
	s_delay_alu instid0(VALU_DEP_1) | instskip(SKIP_1) | instid1(SALU_CYCLE_1)
	v_cmp_gt_u32_e32 vcc_lo, s31, v33
	s_and_b32 s0, vcc_lo, s6
	s_and_saveexec_b32 s26, s0
	s_cbranch_execz .LBB1097_158
; %bb.150:
	v_mad_u64_u32 v[33:34], null, v27, s14, s[20:21]
	s_waitcnt lgkmcnt(0)
	v_mul_lo_u32 v39, v27, s15
	v_mul_lo_u32 v40, v28, s14
	v_mad_u64_u32 v[37:38], null, v21, s14, s[20:21]
	v_mul_lo_u32 v41, v21, s15
	v_mul_lo_u32 v42, v22, s14
	s_mov_b32 s27, 0
	s_delay_alu instid0(VALU_DEP_4) | instskip(NEXT) | instid1(VALU_DEP_2)
	v_add3_u32 v34, v40, v34, v39
	v_add3_u32 v38, v42, v38, v41
	s_clause 0x1
	global_load_u8 v39, v[33:34], off
	global_load_u8 v40, v[37:38], off
	s_waitcnt vmcnt(1)
	v_cmp_ne_u16_e32 vcc_lo, 0, v39
	s_waitcnt vmcnt(0)
	v_cmp_ne_u16_e64 s0, 0, v40
	s_delay_alu instid0(VALU_DEP_1) | instskip(SKIP_2) | instid1(SALU_CYCLE_1)
	s_xor_b32 s1, vcc_lo, s0
	s_mov_b32 s0, -1
	s_xor_b32 s1, s1, -1
	s_and_saveexec_b32 s25, s1
	s_cbranch_execz .LBB1097_157
; %bb.151:
	s_mov_b64 s[4:5], 1
                                        ; implicit-def: $sgpr34
	s_set_inst_prefetch_distance 0x1
	s_branch .LBB1097_154
	.p2align	6
.LBB1097_152:                           ;   in Loop: Header=BB1097_154 Depth=1
	v_add_co_u32 v39, vcc_lo, v33, s4
	v_add_co_ci_u32_e32 v40, vcc_lo, s5, v34, vcc_lo
	v_add_co_u32 v41, vcc_lo, v37, s4
	v_add_co_ci_u32_e32 v42, vcc_lo, s5, v38, vcc_lo
	s_clause 0x1
	global_load_u8 v39, v[39:40], off
	global_load_u8 v40, v[41:42], off
	s_waitcnt vmcnt(1)
	v_cmp_ne_u16_e32 vcc_lo, 0, v39
	s_waitcnt vmcnt(0)
	v_cmp_ne_u16_e64 s0, 0, v40
	s_delay_alu instid0(VALU_DEP_1) | instskip(SKIP_4) | instid1(SALU_CYCLE_1)
	s_xor_b32 s35, vcc_lo, s0
	s_add_u32 s0, s4, 1
	s_addc_u32 s1, s5, 0
	s_and_not1_b32 s34, s34, exec_lo
	s_and_b32 s35, s35, exec_lo
	s_or_b32 s34, s34, s35
.LBB1097_153:                           ;   in Loop: Header=BB1097_154 Depth=1
	v_dual_mov_b32 v40, s5 :: v_dual_mov_b32 v39, s4
	s_and_b32 s35, exec_lo, s34
	s_mov_b64 s[4:5], s[0:1]
	s_or_b32 s27, s35, s27
	s_delay_alu instid0(SALU_CYCLE_1)
	s_and_not1_b32 exec_lo, exec_lo, s27
	s_cbranch_execz .LBB1097_156
.LBB1097_154:                           ; =>This Inner Loop Header: Depth=1
	s_or_b32 s34, s34, exec_lo
	s_cmp_eq_u64 s[14:15], s[4:5]
	s_cbranch_scc0 .LBB1097_152
; %bb.155:                              ;   in Loop: Header=BB1097_154 Depth=1
	s_mov_b64 s[4:5], s[14:15]
                                        ; implicit-def: $sgpr0_sgpr1
	s_branch .LBB1097_153
.LBB1097_156:
	s_set_inst_prefetch_distance 0x2
	s_or_b32 exec_lo, exec_lo, s27
	v_cmp_gt_i64_e32 vcc_lo, s[14:15], v[39:40]
	s_or_not1_b32 s0, vcc_lo, exec_lo
.LBB1097_157:
	s_or_b32 exec_lo, exec_lo, s25
	s_delay_alu instid0(SALU_CYCLE_1)
	s_and_b32 s25, s0, exec_lo
.LBB1097_158:
	s_or_b32 exec_lo, exec_lo, s26
	v_or_b32_e32 v33, 3, v55
	s_mov_b32 s1, -1
	s_mov_b32 s27, 0
	s_mov_b32 s26, 0
	s_delay_alu instid0(VALU_DEP_1) | instskip(SKIP_1) | instid1(SALU_CYCLE_1)
	v_cmp_gt_u32_e32 vcc_lo, s31, v33
	s_and_b32 s0, vcc_lo, s6
	s_and_saveexec_b32 s34, s0
	s_cbranch_execz .LBB1097_167
; %bb.159:
	v_mad_u64_u32 v[33:34], null, v25, s14, s[20:21]
	s_waitcnt lgkmcnt(0)
	v_mul_lo_u32 v39, v25, s15
	v_mul_lo_u32 v40, v26, s14
	v_mad_u64_u32 v[37:38], null, v27, s14, s[20:21]
	v_mul_lo_u32 v41, v27, s15
	v_mul_lo_u32 v42, v28, s14
	s_mov_b32 s35, 0
	s_delay_alu instid0(VALU_DEP_4) | instskip(NEXT) | instid1(VALU_DEP_2)
	v_add3_u32 v34, v40, v34, v39
	v_add3_u32 v38, v42, v38, v41
	s_clause 0x1
	global_load_u8 v39, v[33:34], off
	global_load_u8 v40, v[37:38], off
	s_waitcnt vmcnt(1)
	v_cmp_ne_u16_e32 vcc_lo, 0, v39
	s_waitcnt vmcnt(0)
	v_cmp_ne_u16_e64 s0, 0, v40
	s_delay_alu instid0(VALU_DEP_1) | instskip(NEXT) | instid1(SALU_CYCLE_1)
	s_xor_b32 s0, vcc_lo, s0
	s_xor_b32 s0, s0, -1
	s_delay_alu instid0(SALU_CYCLE_1)
	s_and_saveexec_b32 s26, s0
	s_cbranch_execz .LBB1097_166
; %bb.160:
	s_mov_b64 s[4:5], 1
                                        ; implicit-def: $sgpr36
	s_set_inst_prefetch_distance 0x1
	s_branch .LBB1097_163
	.p2align	6
.LBB1097_161:                           ;   in Loop: Header=BB1097_163 Depth=1
	v_add_co_u32 v39, vcc_lo, v33, s4
	v_add_co_ci_u32_e32 v40, vcc_lo, s5, v34, vcc_lo
	v_add_co_u32 v41, vcc_lo, v37, s4
	v_add_co_ci_u32_e32 v42, vcc_lo, s5, v38, vcc_lo
	s_clause 0x1
	global_load_u8 v39, v[39:40], off
	global_load_u8 v40, v[41:42], off
	s_waitcnt vmcnt(1)
	v_cmp_ne_u16_e32 vcc_lo, 0, v39
	s_waitcnt vmcnt(0)
	v_cmp_ne_u16_e64 s0, 0, v40
	s_delay_alu instid0(VALU_DEP_1) | instskip(SKIP_4) | instid1(SALU_CYCLE_1)
	s_xor_b32 s37, vcc_lo, s0
	s_add_u32 s0, s4, 1
	s_addc_u32 s1, s5, 0
	s_and_not1_b32 s36, s36, exec_lo
	s_and_b32 s37, s37, exec_lo
	s_or_b32 s36, s36, s37
.LBB1097_162:                           ;   in Loop: Header=BB1097_163 Depth=1
	v_dual_mov_b32 v40, s5 :: v_dual_mov_b32 v39, s4
	s_and_b32 s37, exec_lo, s36
	s_mov_b64 s[4:5], s[0:1]
	s_or_b32 s35, s37, s35
	s_delay_alu instid0(SALU_CYCLE_1)
	s_and_not1_b32 exec_lo, exec_lo, s35
	s_cbranch_execz .LBB1097_165
.LBB1097_163:                           ; =>This Inner Loop Header: Depth=1
	s_or_b32 s36, s36, exec_lo
	s_cmp_eq_u64 s[14:15], s[4:5]
	s_cbranch_scc0 .LBB1097_161
; %bb.164:                              ;   in Loop: Header=BB1097_163 Depth=1
	s_mov_b64 s[4:5], s[14:15]
                                        ; implicit-def: $sgpr0_sgpr1
	s_branch .LBB1097_162
.LBB1097_165:
	s_set_inst_prefetch_distance 0x2
	s_or_b32 exec_lo, exec_lo, s35
	v_cmp_gt_i64_e32 vcc_lo, s[14:15], v[39:40]
	s_or_not1_b32 s1, vcc_lo, exec_lo
.LBB1097_166:
	s_or_b32 exec_lo, exec_lo, s26
	s_delay_alu instid0(SALU_CYCLE_1)
	s_and_b32 s26, s1, exec_lo
.LBB1097_167:
	s_or_b32 exec_lo, exec_lo, s34
	v_or_b32_e32 v33, 2, v55
	s_delay_alu instid0(VALU_DEP_1) | instskip(SKIP_1) | instid1(SALU_CYCLE_1)
	v_cmp_gt_u32_e32 vcc_lo, s31, v33
	s_and_b32 s0, vcc_lo, s6
	s_and_saveexec_b32 s34, s0
	s_cbranch_execz .LBB1097_176
; %bb.168:
	v_mad_u64_u32 v[33:34], null, v31, s14, s[20:21]
	s_waitcnt lgkmcnt(0)
	v_mul_lo_u32 v39, v31, s15
	v_mul_lo_u32 v40, v32, s14
	v_mad_u64_u32 v[37:38], null, v25, s14, s[20:21]
	v_mul_lo_u32 v41, v25, s15
	v_mul_lo_u32 v42, v26, s14
	s_mov_b32 s35, 0
	s_delay_alu instid0(VALU_DEP_4) | instskip(NEXT) | instid1(VALU_DEP_2)
	v_add3_u32 v34, v40, v34, v39
	v_add3_u32 v38, v42, v38, v41
	s_clause 0x1
	global_load_u8 v39, v[33:34], off
	global_load_u8 v40, v[37:38], off
	s_waitcnt vmcnt(1)
	v_cmp_ne_u16_e32 vcc_lo, 0, v39
	s_waitcnt vmcnt(0)
	v_cmp_ne_u16_e64 s0, 0, v40
	s_delay_alu instid0(VALU_DEP_1) | instskip(SKIP_2) | instid1(SALU_CYCLE_1)
	s_xor_b32 s1, vcc_lo, s0
	s_mov_b32 s0, -1
	s_xor_b32 s1, s1, -1
	s_and_saveexec_b32 s27, s1
	s_cbranch_execz .LBB1097_175
; %bb.169:
	s_mov_b64 s[4:5], 1
                                        ; implicit-def: $sgpr36
	s_set_inst_prefetch_distance 0x1
	s_branch .LBB1097_172
	.p2align	6
.LBB1097_170:                           ;   in Loop: Header=BB1097_172 Depth=1
	v_add_co_u32 v39, vcc_lo, v33, s4
	v_add_co_ci_u32_e32 v40, vcc_lo, s5, v34, vcc_lo
	v_add_co_u32 v41, vcc_lo, v37, s4
	v_add_co_ci_u32_e32 v42, vcc_lo, s5, v38, vcc_lo
	s_clause 0x1
	global_load_u8 v39, v[39:40], off
	global_load_u8 v40, v[41:42], off
	s_waitcnt vmcnt(1)
	v_cmp_ne_u16_e32 vcc_lo, 0, v39
	s_waitcnt vmcnt(0)
	v_cmp_ne_u16_e64 s0, 0, v40
	s_delay_alu instid0(VALU_DEP_1) | instskip(SKIP_4) | instid1(SALU_CYCLE_1)
	s_xor_b32 s37, vcc_lo, s0
	s_add_u32 s0, s4, 1
	s_addc_u32 s1, s5, 0
	s_and_not1_b32 s36, s36, exec_lo
	s_and_b32 s37, s37, exec_lo
	s_or_b32 s36, s36, s37
.LBB1097_171:                           ;   in Loop: Header=BB1097_172 Depth=1
	v_dual_mov_b32 v40, s5 :: v_dual_mov_b32 v39, s4
	s_and_b32 s37, exec_lo, s36
	s_mov_b64 s[4:5], s[0:1]
	s_or_b32 s35, s37, s35
	s_delay_alu instid0(SALU_CYCLE_1)
	s_and_not1_b32 exec_lo, exec_lo, s35
	s_cbranch_execz .LBB1097_174
.LBB1097_172:                           ; =>This Inner Loop Header: Depth=1
	s_or_b32 s36, s36, exec_lo
	s_cmp_eq_u64 s[14:15], s[4:5]
	s_cbranch_scc0 .LBB1097_170
; %bb.173:                              ;   in Loop: Header=BB1097_172 Depth=1
	s_mov_b64 s[4:5], s[14:15]
                                        ; implicit-def: $sgpr0_sgpr1
	s_branch .LBB1097_171
.LBB1097_174:
	s_set_inst_prefetch_distance 0x2
	s_or_b32 exec_lo, exec_lo, s35
	v_cmp_gt_i64_e32 vcc_lo, s[14:15], v[39:40]
	s_or_not1_b32 s0, vcc_lo, exec_lo
.LBB1097_175:
	s_or_b32 exec_lo, exec_lo, s27
	s_delay_alu instid0(SALU_CYCLE_1)
	s_and_b32 s27, s0, exec_lo
.LBB1097_176:
	s_or_b32 exec_lo, exec_lo, s34
	v_or_b32_e32 v33, 1, v55
	s_mov_b32 s1, -1
	s_mov_b32 s0, 0
	s_delay_alu instid0(VALU_DEP_1) | instskip(SKIP_1) | instid1(SALU_CYCLE_1)
	v_cmp_gt_u32_e32 vcc_lo, s31, v33
	s_and_b32 s4, vcc_lo, s6
	s_and_saveexec_b32 s34, s4
	s_cbranch_execz .LBB1097_185
; %bb.177:
	v_mad_u64_u32 v[33:34], null, v29, s14, s[20:21]
	s_waitcnt lgkmcnt(0)
	v_mul_lo_u32 v39, v29, s15
	v_mul_lo_u32 v40, v30, s14
	v_mad_u64_u32 v[37:38], null, v31, s14, s[20:21]
	v_mul_lo_u32 v41, v31, s15
	v_mul_lo_u32 v42, v32, s14
	s_mov_b32 s36, 0
	s_delay_alu instid0(VALU_DEP_4) | instskip(NEXT) | instid1(VALU_DEP_2)
	v_add3_u32 v34, v40, v34, v39
	v_add3_u32 v38, v42, v38, v41
	s_clause 0x1
	global_load_u8 v39, v[33:34], off
	global_load_u8 v40, v[37:38], off
	s_waitcnt vmcnt(1)
	v_cmp_ne_u16_e32 vcc_lo, 0, v39
	s_waitcnt vmcnt(0)
	v_cmp_ne_u16_e64 s0, 0, v40
	s_delay_alu instid0(VALU_DEP_1) | instskip(NEXT) | instid1(SALU_CYCLE_1)
	s_xor_b32 s0, vcc_lo, s0
	s_xor_b32 s0, s0, -1
	s_delay_alu instid0(SALU_CYCLE_1)
	s_and_saveexec_b32 s35, s0
	s_cbranch_execz .LBB1097_184
; %bb.178:
	s_mov_b64 s[4:5], 1
                                        ; implicit-def: $sgpr37
	s_set_inst_prefetch_distance 0x1
	s_branch .LBB1097_181
	.p2align	6
.LBB1097_179:                           ;   in Loop: Header=BB1097_181 Depth=1
	v_add_co_u32 v39, vcc_lo, v33, s4
	v_add_co_ci_u32_e32 v40, vcc_lo, s5, v34, vcc_lo
	v_add_co_u32 v41, vcc_lo, v37, s4
	v_add_co_ci_u32_e32 v42, vcc_lo, s5, v38, vcc_lo
	s_clause 0x1
	global_load_u8 v39, v[39:40], off
	global_load_u8 v40, v[41:42], off
	s_waitcnt vmcnt(1)
	v_cmp_ne_u16_e32 vcc_lo, 0, v39
	s_waitcnt vmcnt(0)
	v_cmp_ne_u16_e64 s0, 0, v40
	s_delay_alu instid0(VALU_DEP_1) | instskip(SKIP_4) | instid1(SALU_CYCLE_1)
	s_xor_b32 s38, vcc_lo, s0
	s_add_u32 s0, s4, 1
	s_addc_u32 s1, s5, 0
	s_and_not1_b32 s37, s37, exec_lo
	s_and_b32 s38, s38, exec_lo
	s_or_b32 s37, s37, s38
.LBB1097_180:                           ;   in Loop: Header=BB1097_181 Depth=1
	v_dual_mov_b32 v40, s5 :: v_dual_mov_b32 v39, s4
	s_and_b32 s38, exec_lo, s37
	s_mov_b64 s[4:5], s[0:1]
	s_or_b32 s36, s38, s36
	s_delay_alu instid0(SALU_CYCLE_1)
	s_and_not1_b32 exec_lo, exec_lo, s36
	s_cbranch_execz .LBB1097_183
.LBB1097_181:                           ; =>This Inner Loop Header: Depth=1
	s_or_b32 s37, s37, exec_lo
	s_cmp_eq_u64 s[14:15], s[4:5]
	s_cbranch_scc0 .LBB1097_179
; %bb.182:                              ;   in Loop: Header=BB1097_181 Depth=1
	s_mov_b64 s[4:5], s[14:15]
                                        ; implicit-def: $sgpr0_sgpr1
	s_branch .LBB1097_180
.LBB1097_183:
	s_set_inst_prefetch_distance 0x2
	s_or_b32 exec_lo, exec_lo, s36
	v_cmp_gt_i64_e32 vcc_lo, s[14:15], v[39:40]
	s_or_not1_b32 s1, vcc_lo, exec_lo
.LBB1097_184:
	s_or_b32 exec_lo, exec_lo, s35
	s_delay_alu instid0(SALU_CYCLE_1)
	s_and_b32 s0, s1, exec_lo
.LBB1097_185:
	s_or_b32 exec_lo, exec_lo, s34
	s_waitcnt vmcnt(0) lgkmcnt(0)
	s_barrier
	buffer_gl0_inv
	s_and_saveexec_b32 s1, s3
	s_cbranch_execz .LBB1097_187
; %bb.186:
	v_add_nc_u32_e32 v33, -8, v55
	ds_load_b64 v[35:36], v33
.LBB1097_187:
	s_or_b32 exec_lo, exec_lo, s1
	v_cndmask_b32_e64 v34, 0, 1, s26
	v_cndmask_b32_e64 v38, 0, 1, s24
	;; [unrolled: 1-line block ×7, first 2 shown]
	v_lshlrev_b16 v34, 8, v34
	v_lshlrev_b16 v38, 8, v38
	;; [unrolled: 1-line block ×3, first 2 shown]
	v_cmp_gt_u32_e32 vcc_lo, s31, v55
	v_lshlrev_b16 v41, 8, v41
	v_or_b32_e32 v33, v33, v34
	v_or_b32_e32 v34, v37, v38
	;; [unrolled: 1-line block ×3, first 2 shown]
	s_mov_b32 s1, -1
	v_and_b32_e32 v39, 0xffff, v41
	v_lshlrev_b32_e32 v40, 16, v33
	v_and_b32_e32 v41, 0xffff, v34
	v_lshlrev_b32_e32 v42, 16, v37
	s_and_b32 s4, vcc_lo, s6
	s_mov_b32 s0, 0
	s_and_saveexec_b32 s6, s4
	s_cbranch_execz .LBB1097_196
; %bb.188:
	s_waitcnt lgkmcnt(0)
	v_mad_u64_u32 v[33:34], null, v35, s14, s[20:21]
	v_mul_lo_u32 v37, v35, s15
	v_mul_lo_u32 v38, v36, s14
	v_mad_u64_u32 v[35:36], null, v29, s14, s[20:21]
	v_mul_lo_u32 v43, v29, s15
	v_mul_lo_u32 v44, v30, s14
	s_mov_b32 s13, 0
	s_delay_alu instid0(VALU_DEP_4) | instskip(NEXT) | instid1(VALU_DEP_2)
	v_add3_u32 v34, v38, v34, v37
	v_add3_u32 v36, v44, v36, v43
	s_clause 0x1
	global_load_u8 v37, v[33:34], off
	global_load_u8 v38, v[35:36], off
	s_waitcnt vmcnt(1)
	v_cmp_ne_u16_e32 vcc_lo, 0, v37
	s_waitcnt vmcnt(0)
	v_cmp_ne_u16_e64 s0, 0, v38
	s_delay_alu instid0(VALU_DEP_1) | instskip(NEXT) | instid1(SALU_CYCLE_1)
	s_xor_b32 s0, vcc_lo, s0
	s_xor_b32 s0, s0, -1
	s_delay_alu instid0(SALU_CYCLE_1)
	s_and_saveexec_b32 s7, s0
	s_cbranch_execz .LBB1097_195
; %bb.189:
	s_mov_b64 s[4:5], 1
                                        ; implicit-def: $sgpr24
	s_set_inst_prefetch_distance 0x1
	s_branch .LBB1097_192
	.p2align	6
.LBB1097_190:                           ;   in Loop: Header=BB1097_192 Depth=1
	v_add_co_u32 v37, vcc_lo, v33, s4
	v_add_co_ci_u32_e32 v38, vcc_lo, s5, v34, vcc_lo
	v_add_co_u32 v43, vcc_lo, v35, s4
	v_add_co_ci_u32_e32 v44, vcc_lo, s5, v36, vcc_lo
	s_clause 0x1
	global_load_u8 v37, v[37:38], off
	global_load_u8 v38, v[43:44], off
	s_waitcnt vmcnt(1)
	v_cmp_ne_u16_e32 vcc_lo, 0, v37
	s_waitcnt vmcnt(0)
	v_cmp_ne_u16_e64 s0, 0, v38
	s_delay_alu instid0(VALU_DEP_1) | instskip(SKIP_4) | instid1(SALU_CYCLE_1)
	s_xor_b32 s25, vcc_lo, s0
	s_add_u32 s0, s4, 1
	s_addc_u32 s1, s5, 0
	s_and_not1_b32 s24, s24, exec_lo
	s_and_b32 s25, s25, exec_lo
	s_or_b32 s24, s24, s25
.LBB1097_191:                           ;   in Loop: Header=BB1097_192 Depth=1
	v_dual_mov_b32 v38, s5 :: v_dual_mov_b32 v37, s4
	s_and_b32 s25, exec_lo, s24
	s_mov_b64 s[4:5], s[0:1]
	s_or_b32 s13, s25, s13
	s_delay_alu instid0(SALU_CYCLE_1)
	s_and_not1_b32 exec_lo, exec_lo, s13
	s_cbranch_execz .LBB1097_194
.LBB1097_192:                           ; =>This Inner Loop Header: Depth=1
	s_or_b32 s24, s24, exec_lo
	s_cmp_eq_u64 s[14:15], s[4:5]
	s_cbranch_scc0 .LBB1097_190
; %bb.193:                              ;   in Loop: Header=BB1097_192 Depth=1
	s_mov_b64 s[4:5], s[14:15]
                                        ; implicit-def: $sgpr0_sgpr1
	s_branch .LBB1097_191
.LBB1097_194:
	s_set_inst_prefetch_distance 0x2
	s_or_b32 exec_lo, exec_lo, s13
	v_cmp_gt_i64_e32 vcc_lo, s[14:15], v[37:38]
	s_or_not1_b32 s1, vcc_lo, exec_lo
.LBB1097_195:
	s_or_b32 exec_lo, exec_lo, s7
	s_delay_alu instid0(SALU_CYCLE_1)
	s_and_b32 s0, s1, exec_lo
.LBB1097_196:
	s_or_b32 exec_lo, exec_lo, s6
	v_or_b32_e32 v33, v39, v40
	v_or_b32_e32 v34, v41, v42
.LBB1097_197:
	s_mov_b32 s6, -1
	s_cbranch_execnz .LBB1097_349
.LBB1097_198:
	v_cmp_lt_i64_e64 s7, s[14:15], 1
	v_cmp_gt_i64_e64 s0, s[14:15], 0
	s_and_b32 vcc_lo, exec_lo, s29
	ds_store_b64 v55, v[19:20]
	s_cbranch_vccz .LBB1097_206
; %bb.199:
	v_cndmask_b32_e64 v42, 0, 1, s0
	s_and_not1_b32 vcc_lo, exec_lo, s0
	s_cbranch_vccnz .LBB1097_207
; %bb.200:
	v_mad_u64_u32 v[33:34], null, v17, s14, s[20:21]
	v_mul_lo_u32 v37, v17, s15
	v_mul_lo_u32 v38, v18, s14
	s_waitcnt vmcnt(0) lgkmcnt(1)
	v_mad_u64_u32 v[35:36], null, v19, s14, s[20:21]
	v_mul_lo_u32 v39, v19, s15
	v_mul_lo_u32 v40, v20, s14
	s_mov_b32 s25, 0
	s_mov_b32 s13, -1
	s_delay_alu instid0(VALU_DEP_4) | instskip(NEXT) | instid1(VALU_DEP_2)
	v_add3_u32 v34, v38, v34, v37
	v_add3_u32 v36, v40, v36, v39
	s_clause 0x1
	global_load_u8 v37, v[33:34], off
	global_load_u8 v38, v[35:36], off
	s_waitcnt vmcnt(1)
	v_cmp_ne_u16_e32 vcc_lo, 0, v37
	s_waitcnt vmcnt(0)
	v_cmp_ne_u16_e64 s0, 0, v38
	s_delay_alu instid0(VALU_DEP_1) | instskip(NEXT) | instid1(SALU_CYCLE_1)
	s_xor_b32 s0, vcc_lo, s0
	s_xor_b32 s0, s0, -1
	s_delay_alu instid0(SALU_CYCLE_1)
	s_and_saveexec_b32 s24, s0
	s_cbranch_execz .LBB1097_209
; %bb.201:
	s_mov_b64 s[4:5], 1
                                        ; implicit-def: $sgpr13
	s_set_inst_prefetch_distance 0x1
	s_branch .LBB1097_204
	.p2align	6
.LBB1097_202:                           ;   in Loop: Header=BB1097_204 Depth=1
	v_add_co_u32 v37, s0, v33, s4
	s_delay_alu instid0(VALU_DEP_1) | instskip(SKIP_1) | instid1(VALU_DEP_1)
	v_add_co_ci_u32_e64 v38, s0, s5, v34, s0
	v_add_co_u32 v39, s0, v35, s4
	v_add_co_ci_u32_e64 v40, s0, s5, v36, s0
	s_clause 0x1
	global_load_u8 v37, v[37:38], off
	global_load_u8 v38, v[39:40], off
	s_waitcnt vmcnt(1)
	v_cmp_ne_u16_e64 s0, 0, v37
	s_waitcnt vmcnt(0)
	v_cmp_ne_u16_e64 s1, 0, v38
	s_delay_alu instid0(VALU_DEP_1) | instskip(SKIP_4) | instid1(SALU_CYCLE_1)
	s_xor_b32 s26, s0, s1
	s_add_u32 s0, s4, 1
	s_addc_u32 s1, s5, 0
	s_and_not1_b32 s13, s13, exec_lo
	s_and_b32 s26, s26, exec_lo
	s_or_b32 s13, s13, s26
.LBB1097_203:                           ;   in Loop: Header=BB1097_204 Depth=1
	v_dual_mov_b32 v38, s5 :: v_dual_mov_b32 v37, s4
	s_and_b32 s26, exec_lo, s13
	s_mov_b64 s[4:5], s[0:1]
	s_or_b32 s25, s26, s25
	s_delay_alu instid0(SALU_CYCLE_1)
	s_and_not1_b32 exec_lo, exec_lo, s25
	s_cbranch_execz .LBB1097_208
.LBB1097_204:                           ; =>This Inner Loop Header: Depth=1
	s_or_b32 s13, s13, exec_lo
	s_cmp_eq_u64 s[14:15], s[4:5]
	s_cbranch_scc0 .LBB1097_202
; %bb.205:                              ;   in Loop: Header=BB1097_204 Depth=1
	s_mov_b64 s[4:5], s[14:15]
                                        ; implicit-def: $sgpr0_sgpr1
	s_branch .LBB1097_203
.LBB1097_206:
                                        ; implicit-def: $sgpr0
                                        ; implicit-def: $vgpr34
	s_cbranch_execnz .LBB1097_274
	s_branch .LBB1097_349
.LBB1097_207:
	v_mov_b32_e32 v33, 0
	s_mov_b32 s0, 0
	s_branch .LBB1097_217
.LBB1097_208:
	s_set_inst_prefetch_distance 0x2
	s_or_b32 exec_lo, exec_lo, s25
	v_cmp_gt_i64_e64 s0, s[14:15], v[37:38]
	s_delay_alu instid0(VALU_DEP_1)
	s_or_not1_b32 s13, s0, exec_lo
.LBB1097_209:
	s_or_b32 exec_lo, exec_lo, s24
	v_mad_u64_u32 v[35:36], null, v23, s14, s[20:21]
	v_mul_lo_u32 v37, v23, s15
	v_mul_lo_u32 v38, v24, s14
	s_mov_b32 s25, 0
	s_delay_alu instid0(VALU_DEP_1) | instskip(SKIP_3) | instid1(VALU_DEP_1)
	v_add3_u32 v36, v38, v36, v37
	global_load_u8 v37, v[35:36], off
	s_waitcnt vmcnt(0)
	v_cmp_ne_u16_e64 s0, 0, v37
	s_xor_b32 s1, vcc_lo, s0
	s_mov_b32 s0, -1
	s_xor_b32 s1, s1, -1
	s_delay_alu instid0(SALU_CYCLE_1)
	s_and_saveexec_b32 s24, s1
	s_cbranch_execz .LBB1097_216
; %bb.210:
	s_mov_b64 s[4:5], 1
                                        ; implicit-def: $sgpr26
	s_set_inst_prefetch_distance 0x1
	s_branch .LBB1097_213
	.p2align	6
.LBB1097_211:                           ;   in Loop: Header=BB1097_213 Depth=1
	v_add_co_u32 v37, vcc_lo, v35, s4
	v_add_co_ci_u32_e32 v38, vcc_lo, s5, v36, vcc_lo
	v_add_co_u32 v39, vcc_lo, v33, s4
	v_add_co_ci_u32_e32 v40, vcc_lo, s5, v34, vcc_lo
	s_clause 0x1
	global_load_u8 v37, v[37:38], off
	global_load_u8 v38, v[39:40], off
	s_waitcnt vmcnt(1)
	v_cmp_ne_u16_e32 vcc_lo, 0, v37
	s_waitcnt vmcnt(0)
	v_cmp_ne_u16_e64 s0, 0, v38
	s_delay_alu instid0(VALU_DEP_1) | instskip(SKIP_4) | instid1(SALU_CYCLE_1)
	s_xor_b32 s27, vcc_lo, s0
	s_add_u32 s0, s4, 1
	s_addc_u32 s1, s5, 0
	s_and_not1_b32 s26, s26, exec_lo
	s_and_b32 s27, s27, exec_lo
	s_or_b32 s26, s26, s27
.LBB1097_212:                           ;   in Loop: Header=BB1097_213 Depth=1
	v_dual_mov_b32 v38, s5 :: v_dual_mov_b32 v37, s4
	s_and_b32 s27, exec_lo, s26
	s_mov_b64 s[4:5], s[0:1]
	s_or_b32 s25, s27, s25
	s_delay_alu instid0(SALU_CYCLE_1)
	s_and_not1_b32 exec_lo, exec_lo, s25
	s_cbranch_execz .LBB1097_215
.LBB1097_213:                           ; =>This Inner Loop Header: Depth=1
	s_or_b32 s26, s26, exec_lo
	s_cmp_eq_u64 s[14:15], s[4:5]
	s_cbranch_scc0 .LBB1097_211
; %bb.214:                              ;   in Loop: Header=BB1097_213 Depth=1
	s_mov_b64 s[4:5], s[14:15]
                                        ; implicit-def: $sgpr0_sgpr1
	s_branch .LBB1097_212
.LBB1097_215:
	s_set_inst_prefetch_distance 0x2
	s_or_b32 exec_lo, exec_lo, s25
	v_cmp_gt_i64_e32 vcc_lo, s[14:15], v[37:38]
	s_or_not1_b32 s0, vcc_lo, exec_lo
.LBB1097_216:
	s_or_b32 exec_lo, exec_lo, s24
	v_cndmask_b32_e64 v33, 0, 1, s13
.LBB1097_217:
	v_and_b32_e32 v34, 0xff, v0
	s_waitcnt vmcnt(0) lgkmcnt(1)
	v_lshlrev_b16 v35, 8, v0
	v_and_b32_e32 v36, 0xff, v0
	v_lshlrev_b16 v37, 8, v0
	v_and_b32_e32 v38, 0xff, v0
	v_lshlrev_b16 v39, 8, v0
	v_lshlrev_b16 v33, 8, v33
	v_cndmask_b32_e64 v40, 0, 1, s0
	v_or_b32_e32 v34, v34, v35
	v_or_b32_e32 v35, v36, v37
	;; [unrolled: 1-line block ×3, first 2 shown]
	v_cmp_ne_u32_e32 vcc_lo, 1, v42
	v_or_b32_e32 v33, v40, v33
	v_and_b32_e32 v34, 0xffff, v34
	v_lshlrev_b32_e32 v35, 16, v35
	v_and_b32_e32 v36, 0xffff, v36
	s_delay_alu instid0(VALU_DEP_4) | instskip(NEXT) | instid1(VALU_DEP_3)
	v_lshlrev_b32_e32 v33, 16, v33
	v_or_b32_e32 v43, v34, v35
	s_delay_alu instid0(VALU_DEP_2)
	v_or_b32_e32 v40, v36, v33
	s_cbranch_vccnz .LBB1097_224
; %bb.218:
	v_mad_u64_u32 v[33:34], null, v21, s14, s[20:21]
	v_mul_lo_u32 v37, v21, s15
	v_mul_lo_u32 v38, v22, s14
	v_mad_u64_u32 v[35:36], null, v23, s14, s[20:21]
	v_mul_lo_u32 v39, v23, s15
	v_mul_lo_u32 v41, v24, s14
	s_mov_b32 s24, 0
	s_delay_alu instid0(VALU_DEP_4) | instskip(NEXT) | instid1(VALU_DEP_2)
	v_add3_u32 v34, v38, v34, v37
	v_add3_u32 v36, v41, v36, v39
	s_clause 0x1
	global_load_u8 v37, v[33:34], off
	global_load_u8 v38, v[35:36], off
	s_waitcnt vmcnt(1)
	v_cmp_ne_u16_e32 vcc_lo, 0, v37
	s_waitcnt vmcnt(0)
	v_cmp_ne_u16_e64 s0, 0, v38
	s_delay_alu instid0(VALU_DEP_1) | instskip(SKIP_2) | instid1(SALU_CYCLE_1)
	s_xor_b32 s1, vcc_lo, s0
	s_mov_b32 s0, -1
	s_xor_b32 s1, s1, -1
	s_and_saveexec_b32 s13, s1
	s_cbranch_execz .LBB1097_226
; %bb.219:
	s_mov_b64 s[4:5], 1
                                        ; implicit-def: $sgpr25
	s_set_inst_prefetch_distance 0x1
	s_branch .LBB1097_222
	.p2align	6
.LBB1097_220:                           ;   in Loop: Header=BB1097_222 Depth=1
	v_add_co_u32 v37, s0, v33, s4
	s_delay_alu instid0(VALU_DEP_1) | instskip(SKIP_1) | instid1(VALU_DEP_1)
	v_add_co_ci_u32_e64 v38, s0, s5, v34, s0
	v_add_co_u32 v44, s0, v35, s4
	v_add_co_ci_u32_e64 v45, s0, s5, v36, s0
	s_clause 0x1
	global_load_u8 v37, v[37:38], off
	global_load_u8 v38, v[44:45], off
	s_waitcnt vmcnt(1)
	v_cmp_ne_u16_e64 s0, 0, v37
	s_waitcnt vmcnt(0)
	v_cmp_ne_u16_e64 s1, 0, v38
	s_delay_alu instid0(VALU_DEP_1) | instskip(SKIP_4) | instid1(SALU_CYCLE_1)
	s_xor_b32 s26, s0, s1
	s_add_u32 s0, s4, 1
	s_addc_u32 s1, s5, 0
	s_and_not1_b32 s25, s25, exec_lo
	s_and_b32 s26, s26, exec_lo
	s_or_b32 s25, s25, s26
.LBB1097_221:                           ;   in Loop: Header=BB1097_222 Depth=1
	v_dual_mov_b32 v38, s5 :: v_dual_mov_b32 v37, s4
	s_and_b32 s26, exec_lo, s25
	s_mov_b64 s[4:5], s[0:1]
	s_or_b32 s24, s26, s24
	s_delay_alu instid0(SALU_CYCLE_1)
	s_and_not1_b32 exec_lo, exec_lo, s24
	s_cbranch_execz .LBB1097_225
.LBB1097_222:                           ; =>This Inner Loop Header: Depth=1
	s_or_b32 s25, s25, exec_lo
	s_cmp_eq_u64 s[14:15], s[4:5]
	s_cbranch_scc0 .LBB1097_220
; %bb.223:                              ;   in Loop: Header=BB1097_222 Depth=1
	s_mov_b64 s[4:5], s[14:15]
                                        ; implicit-def: $sgpr0_sgpr1
	s_branch .LBB1097_221
.LBB1097_224:
                                        ; implicit-def: $sgpr0
                                        ; implicit-def: $vgpr34_vgpr35
	s_cbranch_execnz .LBB1097_234
	s_branch .LBB1097_235
.LBB1097_225:
	s_set_inst_prefetch_distance 0x2
	s_or_b32 exec_lo, exec_lo, s24
	v_cmp_gt_i64_e64 s0, s[14:15], v[37:38]
	s_delay_alu instid0(VALU_DEP_1)
	s_or_not1_b32 s0, s0, exec_lo
.LBB1097_226:
	s_or_b32 exec_lo, exec_lo, s13
	v_mad_u64_u32 v[36:37], null, v27, s14, s[20:21]
	v_mul_lo_u32 v35, v27, s15
	v_mul_lo_u32 v38, v28, s14
	v_and_b32_e32 v39, 0xff, v40
	s_mov_b32 s13, 0
	s_delay_alu instid0(VALU_DEP_2) | instskip(SKIP_3) | instid1(VALU_DEP_1)
	v_add3_u32 v37, v38, v37, v35
	v_cndmask_b32_e64 v38, 0, 1, s0
	global_load_u8 v35, v[36:37], off
	v_lshlrev_b16 v38, 8, v38
	v_or_b32_e32 v38, v39, v38
	s_delay_alu instid0(VALU_DEP_1) | instskip(SKIP_2) | instid1(VALU_DEP_2)
	v_and_b32_e32 v38, 0xffff, v38
	s_waitcnt vmcnt(0)
	v_cmp_ne_u16_e64 s0, 0, v35
	v_and_or_b32 v35, 0xffff0000, v40, v38
	s_delay_alu instid0(VALU_DEP_2) | instskip(SKIP_2) | instid1(SALU_CYCLE_1)
	s_xor_b32 s1, vcc_lo, s0
	s_mov_b32 s0, -1
	s_xor_b32 s1, s1, -1
	s_and_saveexec_b32 s24, s1
	s_cbranch_execz .LBB1097_233
; %bb.227:
	s_mov_b64 s[4:5], 1
	s_mov_b32 s25, 0
                                        ; implicit-def: $sgpr26
	s_set_inst_prefetch_distance 0x1
	s_branch .LBB1097_230
	.p2align	6
.LBB1097_228:                           ;   in Loop: Header=BB1097_230 Depth=1
	v_add_co_u32 v38, vcc_lo, v36, s4
	v_add_co_ci_u32_e32 v39, vcc_lo, s5, v37, vcc_lo
	v_add_co_u32 v44, vcc_lo, v33, s4
	v_add_co_ci_u32_e32 v45, vcc_lo, s5, v34, vcc_lo
	s_clause 0x1
	global_load_u8 v38, v[38:39], off
	global_load_u8 v39, v[44:45], off
	s_waitcnt vmcnt(1)
	v_cmp_ne_u16_e32 vcc_lo, 0, v38
	s_waitcnt vmcnt(0)
	v_cmp_ne_u16_e64 s0, 0, v39
	s_delay_alu instid0(VALU_DEP_1) | instskip(SKIP_4) | instid1(SALU_CYCLE_1)
	s_xor_b32 s27, vcc_lo, s0
	s_add_u32 s0, s4, 1
	s_addc_u32 s1, s5, 0
	s_and_not1_b32 s26, s26, exec_lo
	s_and_b32 s27, s27, exec_lo
	s_or_b32 s26, s26, s27
.LBB1097_229:                           ;   in Loop: Header=BB1097_230 Depth=1
	v_dual_mov_b32 v39, s5 :: v_dual_mov_b32 v38, s4
	s_and_b32 s27, exec_lo, s26
	s_mov_b64 s[4:5], s[0:1]
	s_or_b32 s25, s27, s25
	s_delay_alu instid0(SALU_CYCLE_1)
	s_and_not1_b32 exec_lo, exec_lo, s25
	s_cbranch_execz .LBB1097_232
.LBB1097_230:                           ; =>This Inner Loop Header: Depth=1
	s_or_b32 s26, s26, exec_lo
	s_cmp_eq_u64 s[14:15], s[4:5]
	s_cbranch_scc0 .LBB1097_228
; %bb.231:                              ;   in Loop: Header=BB1097_230 Depth=1
	s_mov_b64 s[4:5], s[14:15]
                                        ; implicit-def: $sgpr0_sgpr1
	s_branch .LBB1097_229
.LBB1097_232:
	s_set_inst_prefetch_distance 0x2
	s_or_b32 exec_lo, exec_lo, s25
	v_cmp_gt_i64_e32 vcc_lo, s[14:15], v[38:39]
	s_or_not1_b32 s0, vcc_lo, exec_lo
.LBB1097_233:
	s_or_b32 exec_lo, exec_lo, s24
	s_delay_alu instid0(SALU_CYCLE_1)
	s_and_b32 vcc_lo, exec_lo, s13
	s_cbranch_vccz .LBB1097_235
.LBB1097_234:
	s_delay_alu instid0(VALU_DEP_1)
	v_and_b32_e32 v35, 0xffff00ff, v40
	s_and_not1_b32 s0, s0, exec_lo
.LBB1097_235:
	s_delay_alu instid0(VALU_DEP_1) | instskip(SKIP_2) | instid1(VALU_DEP_2)
	v_and_b32_e32 v33, 0xffffff00, v35
	v_cndmask_b32_e64 v34, 0, 1, s0
	v_cmp_ne_u32_e32 vcc_lo, 1, v42
	v_or_b32_e32 v33, v34, v33
	s_delay_alu instid0(VALU_DEP_1) | instskip(NEXT) | instid1(VALU_DEP_1)
	v_and_b32_e32 v33, 0xffff, v33
	v_and_or_b32 v34, 0xffff0000, v35, v33
	s_cbranch_vccnz .LBB1097_242
; %bb.236:
	v_mad_u64_u32 v[36:37], null, v25, s14, s[20:21]
	v_mul_lo_u32 v33, v25, s15
	v_mul_lo_u32 v35, v26, s14
	v_mad_u64_u32 v[38:39], null, v27, s14, s[20:21]
	v_mul_lo_u32 v40, v27, s15
	v_mul_lo_u32 v41, v28, s14
	s_delay_alu instid0(VALU_DEP_4) | instskip(NEXT) | instid1(VALU_DEP_2)
	v_add3_u32 v37, v35, v37, v33
	v_add3_u32 v39, v41, v39, v40
	s_clause 0x1
	global_load_u8 v33, v[36:37], off
	global_load_u8 v35, v[38:39], off
	s_waitcnt vmcnt(1)
	v_cmp_ne_u16_e32 vcc_lo, 0, v33
	s_waitcnt vmcnt(0)
	v_cmp_ne_u16_e64 s0, 0, v35
	s_delay_alu instid0(VALU_DEP_1) | instskip(SKIP_2) | instid1(SALU_CYCLE_1)
	s_xor_b32 s1, vcc_lo, s0
	s_mov_b32 s0, -1
	s_xor_b32 s1, s1, -1
	s_and_saveexec_b32 s13, s1
	s_cbranch_execz .LBB1097_244
; %bb.237:
	s_mov_b64 s[4:5], 1
	s_mov_b32 s24, 0
                                        ; implicit-def: $sgpr25
	s_set_inst_prefetch_distance 0x1
	s_branch .LBB1097_240
	.p2align	6
.LBB1097_238:                           ;   in Loop: Header=BB1097_240 Depth=1
	v_add_co_u32 v40, s0, v36, s4
	s_delay_alu instid0(VALU_DEP_1) | instskip(SKIP_1) | instid1(VALU_DEP_1)
	v_add_co_ci_u32_e64 v41, s0, s5, v37, s0
	v_add_co_u32 v44, s0, v38, s4
	v_add_co_ci_u32_e64 v45, s0, s5, v39, s0
	s_clause 0x1
	global_load_u8 v33, v[40:41], off
	global_load_u8 v35, v[44:45], off
	s_waitcnt vmcnt(1)
	v_cmp_ne_u16_e64 s0, 0, v33
	s_waitcnt vmcnt(0)
	v_cmp_ne_u16_e64 s1, 0, v35
	s_delay_alu instid0(VALU_DEP_1) | instskip(SKIP_4) | instid1(SALU_CYCLE_1)
	s_xor_b32 s26, s0, s1
	s_add_u32 s0, s4, 1
	s_addc_u32 s1, s5, 0
	s_and_not1_b32 s25, s25, exec_lo
	s_and_b32 s26, s26, exec_lo
	s_or_b32 s25, s25, s26
.LBB1097_239:                           ;   in Loop: Header=BB1097_240 Depth=1
	v_dual_mov_b32 v41, s5 :: v_dual_mov_b32 v40, s4
	s_and_b32 s26, exec_lo, s25
	s_mov_b64 s[4:5], s[0:1]
	s_or_b32 s24, s26, s24
	s_delay_alu instid0(SALU_CYCLE_1)
	s_and_not1_b32 exec_lo, exec_lo, s24
	s_cbranch_execz .LBB1097_243
.LBB1097_240:                           ; =>This Inner Loop Header: Depth=1
	s_or_b32 s25, s25, exec_lo
	s_cmp_eq_u64 s[14:15], s[4:5]
	s_cbranch_scc0 .LBB1097_238
; %bb.241:                              ;   in Loop: Header=BB1097_240 Depth=1
	s_mov_b64 s[4:5], s[14:15]
                                        ; implicit-def: $sgpr0_sgpr1
	s_branch .LBB1097_239
.LBB1097_242:
                                        ; implicit-def: $sgpr13
                                        ; implicit-def: $vgpr35_vgpr36
	s_cbranch_execnz .LBB1097_252
	s_branch .LBB1097_253
.LBB1097_243:
	s_set_inst_prefetch_distance 0x2
	s_or_b32 exec_lo, exec_lo, s24
	v_cmp_gt_i64_e64 s0, s[14:15], v[40:41]
	s_delay_alu instid0(VALU_DEP_1)
	s_or_not1_b32 s0, s0, exec_lo
.LBB1097_244:
	s_or_b32 exec_lo, exec_lo, s13
	v_mad_u64_u32 v[38:39], null, v31, s14, s[20:21]
	v_mul_lo_u32 v33, v31, s15
	v_mul_lo_u32 v35, v32, s14
	v_cndmask_b32_e64 v40, 0, 1, s0
	s_mov_b32 s24, 0
	s_mov_b32 s13, -1
	s_delay_alu instid0(VALU_DEP_1) | instskip(NEXT) | instid1(VALU_DEP_3)
	v_lshlrev_b16 v40, 8, v40
	v_add3_u32 v39, v35, v39, v33
	v_lshrrev_b32_e32 v35, 16, v43
	global_load_u8 v33, v[38:39], off
	v_and_b32_e32 v35, 0xff, v35
	s_delay_alu instid0(VALU_DEP_1) | instskip(NEXT) | instid1(VALU_DEP_1)
	v_or_b32_e32 v35, v35, v40
	v_lshlrev_b32_e32 v35, 16, v35
	s_delay_alu instid0(VALU_DEP_1) | instskip(SKIP_2) | instid1(VALU_DEP_1)
	v_and_or_b32 v35, 0xffff, v43, v35
	s_waitcnt vmcnt(0)
	v_cmp_ne_u16_e64 s0, 0, v33
	s_xor_b32 s0, vcc_lo, s0
	s_delay_alu instid0(SALU_CYCLE_1) | instskip(NEXT) | instid1(SALU_CYCLE_1)
	s_xor_b32 s0, s0, -1
	s_and_saveexec_b32 s25, s0
	s_cbranch_execz .LBB1097_251
; %bb.245:
	s_mov_b64 s[4:5], 1
	s_mov_b32 s13, 0
                                        ; implicit-def: $sgpr26
	s_set_inst_prefetch_distance 0x1
	s_branch .LBB1097_248
	.p2align	6
.LBB1097_246:                           ;   in Loop: Header=BB1097_248 Depth=1
	v_add_co_u32 v40, vcc_lo, v38, s4
	v_add_co_ci_u32_e32 v41, vcc_lo, s5, v39, vcc_lo
	v_add_co_u32 v44, vcc_lo, v36, s4
	v_add_co_ci_u32_e32 v45, vcc_lo, s5, v37, vcc_lo
	s_clause 0x1
	global_load_u8 v33, v[40:41], off
	global_load_u8 v40, v[44:45], off
	s_waitcnt vmcnt(1)
	v_cmp_ne_u16_e32 vcc_lo, 0, v33
	s_waitcnt vmcnt(0)
	v_cmp_ne_u16_e64 s0, 0, v40
	s_delay_alu instid0(VALU_DEP_1) | instskip(SKIP_4) | instid1(SALU_CYCLE_1)
	s_xor_b32 s27, vcc_lo, s0
	s_add_u32 s0, s4, 1
	s_addc_u32 s1, s5, 0
	s_and_not1_b32 s26, s26, exec_lo
	s_and_b32 s27, s27, exec_lo
	s_or_b32 s26, s26, s27
.LBB1097_247:                           ;   in Loop: Header=BB1097_248 Depth=1
	v_dual_mov_b32 v41, s5 :: v_dual_mov_b32 v40, s4
	s_and_b32 s27, exec_lo, s26
	s_mov_b64 s[4:5], s[0:1]
	s_or_b32 s13, s27, s13
	s_delay_alu instid0(SALU_CYCLE_1)
	s_and_not1_b32 exec_lo, exec_lo, s13
	s_cbranch_execz .LBB1097_250
.LBB1097_248:                           ; =>This Inner Loop Header: Depth=1
	s_or_b32 s26, s26, exec_lo
	s_cmp_eq_u64 s[14:15], s[4:5]
	s_cbranch_scc0 .LBB1097_246
; %bb.249:                              ;   in Loop: Header=BB1097_248 Depth=1
	s_mov_b64 s[4:5], s[14:15]
                                        ; implicit-def: $sgpr0_sgpr1
	s_branch .LBB1097_247
.LBB1097_250:
	s_set_inst_prefetch_distance 0x2
	s_or_b32 exec_lo, exec_lo, s13
	v_cmp_gt_i64_e32 vcc_lo, s[14:15], v[40:41]
	s_or_not1_b32 s13, vcc_lo, exec_lo
.LBB1097_251:
	s_or_b32 exec_lo, exec_lo, s25
	s_delay_alu instid0(SALU_CYCLE_1)
	s_and_b32 vcc_lo, exec_lo, s24
	s_cbranch_vccz .LBB1097_253
.LBB1097_252:
	v_and_b32_e32 v35, 0xffffff, v43
	s_and_not1_b32 s13, s13, exec_lo
.LBB1097_253:
	v_cmp_ne_u32_e32 vcc_lo, 1, v42
	s_mov_b32 s0, 0
	s_cbranch_vccnz .LBB1097_262
; %bb.254:
	v_mad_u64_u32 v[36:37], null, v29, s14, s[20:21]
	v_mul_lo_u32 v33, v29, s15
	v_mul_lo_u32 v40, v30, s14
	v_mad_u64_u32 v[38:39], null, v31, s14, s[20:21]
	v_mul_lo_u32 v41, v31, s15
	v_mul_lo_u32 v43, v32, s14
	s_mov_b32 s25, 0
	s_delay_alu instid0(VALU_DEP_4) | instskip(NEXT) | instid1(VALU_DEP_2)
	v_add3_u32 v37, v40, v37, v33
	v_add3_u32 v39, v43, v39, v41
	s_clause 0x1
	global_load_u8 v33, v[36:37], off
	global_load_u8 v40, v[38:39], off
	s_waitcnt vmcnt(1)
	v_cmp_ne_u16_e32 vcc_lo, 0, v33
	s_waitcnt vmcnt(0)
	v_cmp_ne_u16_e64 s0, 0, v40
	s_delay_alu instid0(VALU_DEP_1) | instskip(SKIP_2) | instid1(SALU_CYCLE_1)
	s_xor_b32 s1, vcc_lo, s0
	s_mov_b32 s0, -1
	s_xor_b32 s1, s1, -1
	s_and_saveexec_b32 s24, s1
	s_cbranch_execz .LBB1097_261
; %bb.255:
	s_mov_b64 s[4:5], 1
                                        ; implicit-def: $sgpr26
	s_set_inst_prefetch_distance 0x1
	s_branch .LBB1097_258
	.p2align	6
.LBB1097_256:                           ;   in Loop: Header=BB1097_258 Depth=1
	v_add_co_u32 v40, vcc_lo, v36, s4
	v_add_co_ci_u32_e32 v41, vcc_lo, s5, v37, vcc_lo
	v_add_co_u32 v43, vcc_lo, v38, s4
	v_add_co_ci_u32_e32 v44, vcc_lo, s5, v39, vcc_lo
	s_clause 0x1
	global_load_u8 v33, v[40:41], off
	global_load_u8 v40, v[43:44], off
	s_waitcnt vmcnt(1)
	v_cmp_ne_u16_e32 vcc_lo, 0, v33
	s_waitcnt vmcnt(0)
	v_cmp_ne_u16_e64 s0, 0, v40
	s_delay_alu instid0(VALU_DEP_1) | instskip(SKIP_4) | instid1(SALU_CYCLE_1)
	s_xor_b32 s27, vcc_lo, s0
	s_add_u32 s0, s4, 1
	s_addc_u32 s1, s5, 0
	s_and_not1_b32 s26, s26, exec_lo
	s_and_b32 s27, s27, exec_lo
	s_or_b32 s26, s26, s27
.LBB1097_257:                           ;   in Loop: Header=BB1097_258 Depth=1
	v_dual_mov_b32 v41, s5 :: v_dual_mov_b32 v40, s4
	s_and_b32 s27, exec_lo, s26
	s_mov_b64 s[4:5], s[0:1]
	s_or_b32 s25, s27, s25
	s_delay_alu instid0(SALU_CYCLE_1)
	s_and_not1_b32 exec_lo, exec_lo, s25
	s_cbranch_execz .LBB1097_260
.LBB1097_258:                           ; =>This Inner Loop Header: Depth=1
	s_or_b32 s26, s26, exec_lo
	s_cmp_eq_u64 s[14:15], s[4:5]
	s_cbranch_scc0 .LBB1097_256
; %bb.259:                              ;   in Loop: Header=BB1097_258 Depth=1
	s_mov_b64 s[4:5], s[14:15]
                                        ; implicit-def: $sgpr0_sgpr1
	s_branch .LBB1097_257
.LBB1097_260:
	s_set_inst_prefetch_distance 0x2
	s_or_b32 exec_lo, exec_lo, s25
	v_cmp_gt_i64_e32 vcc_lo, s[14:15], v[40:41]
	s_or_not1_b32 s0, vcc_lo, exec_lo
.LBB1097_261:
	s_or_b32 exec_lo, exec_lo, s24
.LBB1097_262:
	v_cndmask_b32_e64 v33, 0, 1, s0
	v_lshrrev_b32_e32 v35, 16, v35
	v_cndmask_b32_e64 v36, 0, 1, s13
	s_waitcnt lgkmcnt(0)
	s_barrier
	v_lshlrev_b16 v33, 8, v33
	v_and_b32_e32 v35, 0xffffff00, v35
	buffer_gl0_inv
                                        ; implicit-def: $sgpr0
	v_or_b32_e32 v33, 1, v33
	v_or_b32_e32 v35, v36, v35
	s_delay_alu instid0(VALU_DEP_2) | instskip(NEXT) | instid1(VALU_DEP_2)
	v_and_b32_e32 v33, 0xffff, v33
	v_lshlrev_b32_e32 v35, 16, v35
	s_delay_alu instid0(VALU_DEP_1) | instskip(SKIP_1) | instid1(SALU_CYCLE_1)
	v_or_b32_e32 v33, v33, v35
	s_and_saveexec_b32 s1, s3
	s_xor_b32 s13, exec_lo, s1
	s_cbranch_execz .LBB1097_273
; %bb.263:
	v_cmp_ne_u32_e32 vcc_lo, 1, v42
	s_mov_b32 s0, 0
	s_cbranch_vccnz .LBB1097_272
; %bb.264:
	v_add_nc_u32_e32 v35, -8, v55
	v_mul_lo_u32 v41, v29, s15
	s_mov_b32 s25, 0
	ds_load_b64 v[39:40], v35
	v_mad_u64_u32 v[35:36], null, v29, s14, s[20:21]
	s_waitcnt lgkmcnt(0)
	v_mul_lo_u32 v42, v39, s15
	v_mul_lo_u32 v40, v40, s14
	v_mad_u64_u32 v[37:38], null, v39, s14, s[20:21]
	v_mul_lo_u32 v39, v30, s14
	s_delay_alu instid0(VALU_DEP_2) | instskip(NEXT) | instid1(VALU_DEP_2)
	v_add3_u32 v38, v40, v38, v42
	v_add3_u32 v36, v39, v36, v41
	s_clause 0x1
	global_load_u8 v39, v[37:38], off
	global_load_u8 v40, v[35:36], off
	s_waitcnt vmcnt(1)
	v_cmp_ne_u16_e32 vcc_lo, 0, v39
	s_waitcnt vmcnt(0)
	v_cmp_ne_u16_e64 s0, 0, v40
	s_delay_alu instid0(VALU_DEP_1) | instskip(SKIP_2) | instid1(SALU_CYCLE_1)
	s_xor_b32 s1, vcc_lo, s0
	s_mov_b32 s0, -1
	s_xor_b32 s1, s1, -1
	s_and_saveexec_b32 s24, s1
	s_cbranch_execz .LBB1097_271
; %bb.265:
	s_mov_b64 s[4:5], 1
                                        ; implicit-def: $sgpr26
	s_set_inst_prefetch_distance 0x1
	s_branch .LBB1097_268
	.p2align	6
.LBB1097_266:                           ;   in Loop: Header=BB1097_268 Depth=1
	v_add_co_u32 v39, vcc_lo, v37, s4
	v_add_co_ci_u32_e32 v40, vcc_lo, s5, v38, vcc_lo
	v_add_co_u32 v41, vcc_lo, v35, s4
	v_add_co_ci_u32_e32 v42, vcc_lo, s5, v36, vcc_lo
	s_clause 0x1
	global_load_u8 v39, v[39:40], off
	global_load_u8 v40, v[41:42], off
	s_waitcnt vmcnt(1)
	v_cmp_ne_u16_e32 vcc_lo, 0, v39
	s_waitcnt vmcnt(0)
	v_cmp_ne_u16_e64 s0, 0, v40
	s_delay_alu instid0(VALU_DEP_1) | instskip(SKIP_4) | instid1(SALU_CYCLE_1)
	s_xor_b32 s27, vcc_lo, s0
	s_add_u32 s0, s4, 1
	s_addc_u32 s1, s5, 0
	s_and_not1_b32 s26, s26, exec_lo
	s_and_b32 s27, s27, exec_lo
	s_or_b32 s26, s26, s27
.LBB1097_267:                           ;   in Loop: Header=BB1097_268 Depth=1
	v_dual_mov_b32 v40, s5 :: v_dual_mov_b32 v39, s4
	s_and_b32 s27, exec_lo, s26
	s_mov_b64 s[4:5], s[0:1]
	s_or_b32 s25, s27, s25
	s_delay_alu instid0(SALU_CYCLE_1)
	s_and_not1_b32 exec_lo, exec_lo, s25
	s_cbranch_execz .LBB1097_270
.LBB1097_268:                           ; =>This Inner Loop Header: Depth=1
	s_or_b32 s26, s26, exec_lo
	s_cmp_eq_u64 s[14:15], s[4:5]
	s_cbranch_scc0 .LBB1097_266
; %bb.269:                              ;   in Loop: Header=BB1097_268 Depth=1
	s_mov_b64 s[4:5], s[14:15]
                                        ; implicit-def: $sgpr0_sgpr1
	s_branch .LBB1097_267
.LBB1097_270:
	s_set_inst_prefetch_distance 0x2
	s_or_b32 exec_lo, exec_lo, s25
	v_cmp_gt_i64_e32 vcc_lo, s[14:15], v[39:40]
	s_or_not1_b32 s0, vcc_lo, exec_lo
.LBB1097_271:
	s_or_b32 exec_lo, exec_lo, s24
.LBB1097_272:
	s_delay_alu instid0(SALU_CYCLE_1)
	s_and_b32 s0, s0, exec_lo
	s_or_b32 s6, s6, exec_lo
.LBB1097_273:
	s_or_b32 exec_lo, exec_lo, s13
	s_branch .LBB1097_349
.LBB1097_274:
	v_or_b32_e32 v33, 7, v55
	s_waitcnt lgkmcnt(1)
	v_mul_lo_u32 v40, v17, s15
	v_mul_lo_u32 v42, v18, s14
	s_xor_b32 s7, s7, -1
	s_mov_b32 s1, -1
	v_cmp_gt_u32_e32 vcc_lo, s31, v33
	s_mov_b32 s13, 0
	s_mov_b32 s24, 0
	s_and_b32 s0, vcc_lo, s7
	s_delay_alu instid0(SALU_CYCLE_1)
	s_and_saveexec_b32 s25, s0
	s_cbranch_execz .LBB1097_283
; %bb.275:
	v_mad_u64_u32 v[33:34], null, v17, s14, s[20:21]
	s_waitcnt vmcnt(0)
	v_mad_u64_u32 v[35:36], null, v19, s14, s[20:21]
	v_mul_lo_u32 v37, v19, s15
	v_mul_lo_u32 v38, v20, s14
	s_mov_b32 s26, 0
	s_delay_alu instid0(VALU_DEP_4) | instskip(NEXT) | instid1(VALU_DEP_2)
	v_add3_u32 v34, v42, v34, v40
	v_add3_u32 v36, v38, v36, v37
	s_clause 0x1
	global_load_u8 v37, v[33:34], off
	global_load_u8 v38, v[35:36], off
	s_waitcnt vmcnt(1)
	v_cmp_ne_u16_e32 vcc_lo, 0, v37
	s_waitcnt vmcnt(0)
	v_cmp_ne_u16_e64 s0, 0, v38
	s_delay_alu instid0(VALU_DEP_1) | instskip(NEXT) | instid1(SALU_CYCLE_1)
	s_xor_b32 s0, vcc_lo, s0
	s_xor_b32 s0, s0, -1
	s_delay_alu instid0(SALU_CYCLE_1)
	s_and_saveexec_b32 s24, s0
	s_cbranch_execz .LBB1097_282
; %bb.276:
	s_mov_b64 s[4:5], 1
                                        ; implicit-def: $sgpr27
	s_set_inst_prefetch_distance 0x1
	s_branch .LBB1097_279
	.p2align	6
.LBB1097_277:                           ;   in Loop: Header=BB1097_279 Depth=1
	v_add_co_u32 v37, vcc_lo, v33, s4
	v_add_co_ci_u32_e32 v38, vcc_lo, s5, v34, vcc_lo
	v_add_co_u32 v43, vcc_lo, v35, s4
	v_add_co_ci_u32_e32 v44, vcc_lo, s5, v36, vcc_lo
	s_clause 0x1
	global_load_u8 v37, v[37:38], off
	global_load_u8 v38, v[43:44], off
	s_waitcnt vmcnt(1)
	v_cmp_ne_u16_e32 vcc_lo, 0, v37
	s_waitcnt vmcnt(0)
	v_cmp_ne_u16_e64 s0, 0, v38
	s_delay_alu instid0(VALU_DEP_1) | instskip(SKIP_4) | instid1(SALU_CYCLE_1)
	s_xor_b32 s34, vcc_lo, s0
	s_add_u32 s0, s4, 1
	s_addc_u32 s1, s5, 0
	s_and_not1_b32 s27, s27, exec_lo
	s_and_b32 s34, s34, exec_lo
	s_or_b32 s27, s27, s34
.LBB1097_278:                           ;   in Loop: Header=BB1097_279 Depth=1
	v_dual_mov_b32 v38, s5 :: v_dual_mov_b32 v37, s4
	s_and_b32 s34, exec_lo, s27
	s_mov_b64 s[4:5], s[0:1]
	s_or_b32 s26, s34, s26
	s_delay_alu instid0(SALU_CYCLE_1)
	s_and_not1_b32 exec_lo, exec_lo, s26
	s_cbranch_execz .LBB1097_281
.LBB1097_279:                           ; =>This Inner Loop Header: Depth=1
	s_or_b32 s27, s27, exec_lo
	s_cmp_eq_u64 s[14:15], s[4:5]
	s_cbranch_scc0 .LBB1097_277
; %bb.280:                              ;   in Loop: Header=BB1097_279 Depth=1
	s_mov_b64 s[4:5], s[14:15]
                                        ; implicit-def: $sgpr0_sgpr1
	s_branch .LBB1097_278
.LBB1097_281:
	s_set_inst_prefetch_distance 0x2
	s_or_b32 exec_lo, exec_lo, s26
	v_cmp_gt_i64_e32 vcc_lo, s[14:15], v[37:38]
	s_or_not1_b32 s1, vcc_lo, exec_lo
.LBB1097_282:
	s_or_b32 exec_lo, exec_lo, s24
	s_delay_alu instid0(SALU_CYCLE_1)
	s_and_b32 s24, s1, exec_lo
.LBB1097_283:
	s_or_b32 exec_lo, exec_lo, s25
	v_or_b32_e32 v33, 6, v55
	v_mul_lo_u32 v39, v23, s15
	v_mul_lo_u32 v41, v24, s14
	s_delay_alu instid0(VALU_DEP_3) | instskip(SKIP_1) | instid1(SALU_CYCLE_1)
	v_cmp_gt_u32_e32 vcc_lo, s31, v33
	s_and_b32 s0, vcc_lo, s7
	s_and_saveexec_b32 s25, s0
	s_cbranch_execz .LBB1097_292
; %bb.284:
	v_mad_u64_u32 v[33:34], null, v23, s14, s[20:21]
	s_waitcnt vmcnt(0)
	v_mad_u64_u32 v[35:36], null, v17, s14, s[20:21]
	s_mov_b32 s26, 0
	s_delay_alu instid0(VALU_DEP_2) | instskip(NEXT) | instid1(VALU_DEP_2)
	v_add3_u32 v34, v41, v34, v39
	v_add3_u32 v36, v42, v36, v40
	s_clause 0x1
	global_load_u8 v37, v[33:34], off
	global_load_u8 v38, v[35:36], off
	s_waitcnt vmcnt(1)
	v_cmp_ne_u16_e32 vcc_lo, 0, v37
	s_waitcnt vmcnt(0)
	v_cmp_ne_u16_e64 s0, 0, v38
	s_delay_alu instid0(VALU_DEP_1) | instskip(SKIP_2) | instid1(SALU_CYCLE_1)
	s_xor_b32 s1, vcc_lo, s0
	s_mov_b32 s0, -1
	s_xor_b32 s1, s1, -1
	s_and_saveexec_b32 s13, s1
	s_cbranch_execz .LBB1097_291
; %bb.285:
	s_mov_b64 s[4:5], 1
                                        ; implicit-def: $sgpr27
	s_set_inst_prefetch_distance 0x1
	s_branch .LBB1097_288
	.p2align	6
.LBB1097_286:                           ;   in Loop: Header=BB1097_288 Depth=1
	v_add_co_u32 v37, vcc_lo, v33, s4
	v_add_co_ci_u32_e32 v38, vcc_lo, s5, v34, vcc_lo
	v_add_co_u32 v42, vcc_lo, v35, s4
	v_add_co_ci_u32_e32 v43, vcc_lo, s5, v36, vcc_lo
	s_clause 0x1
	global_load_u8 v37, v[37:38], off
	global_load_u8 v38, v[42:43], off
	s_waitcnt vmcnt(1)
	v_cmp_ne_u16_e32 vcc_lo, 0, v37
	s_waitcnt vmcnt(0)
	v_cmp_ne_u16_e64 s0, 0, v38
	s_delay_alu instid0(VALU_DEP_1) | instskip(SKIP_4) | instid1(SALU_CYCLE_1)
	s_xor_b32 s34, vcc_lo, s0
	s_add_u32 s0, s4, 1
	s_addc_u32 s1, s5, 0
	s_and_not1_b32 s27, s27, exec_lo
	s_and_b32 s34, s34, exec_lo
	s_or_b32 s27, s27, s34
.LBB1097_287:                           ;   in Loop: Header=BB1097_288 Depth=1
	v_dual_mov_b32 v38, s5 :: v_dual_mov_b32 v37, s4
	s_and_b32 s34, exec_lo, s27
	s_mov_b64 s[4:5], s[0:1]
	s_or_b32 s26, s34, s26
	s_delay_alu instid0(SALU_CYCLE_1)
	s_and_not1_b32 exec_lo, exec_lo, s26
	s_cbranch_execz .LBB1097_290
.LBB1097_288:                           ; =>This Inner Loop Header: Depth=1
	s_or_b32 s27, s27, exec_lo
	s_cmp_eq_u64 s[14:15], s[4:5]
	s_cbranch_scc0 .LBB1097_286
; %bb.289:                              ;   in Loop: Header=BB1097_288 Depth=1
	s_mov_b64 s[4:5], s[14:15]
                                        ; implicit-def: $sgpr0_sgpr1
	s_branch .LBB1097_287
.LBB1097_290:
	s_set_inst_prefetch_distance 0x2
	s_or_b32 exec_lo, exec_lo, s26
	v_cmp_gt_i64_e32 vcc_lo, s[14:15], v[37:38]
	s_or_not1_b32 s0, vcc_lo, exec_lo
.LBB1097_291:
	s_or_b32 exec_lo, exec_lo, s13
	s_delay_alu instid0(SALU_CYCLE_1)
	s_and_b32 s13, s0, exec_lo
.LBB1097_292:
	s_or_b32 exec_lo, exec_lo, s25
	v_or_b32_e32 v33, 5, v55
	v_mul_lo_u32 v42, v21, s15
	v_mul_lo_u32 v43, v22, s14
	s_mov_b32 s1, -1
	s_mov_b32 s25, 0
	v_cmp_gt_u32_e32 vcc_lo, s31, v33
	s_mov_b32 s26, 0
	s_and_b32 s0, vcc_lo, s7
	s_delay_alu instid0(SALU_CYCLE_1)
	s_and_saveexec_b32 s27, s0
	s_cbranch_execz .LBB1097_301
; %bb.293:
	v_mad_u64_u32 v[33:34], null, v21, s14, s[20:21]
	s_waitcnt vmcnt(0)
	v_mad_u64_u32 v[35:36], null, v23, s14, s[20:21]
	s_mov_b32 s34, 0
	s_delay_alu instid0(VALU_DEP_2) | instskip(NEXT) | instid1(VALU_DEP_2)
	v_add3_u32 v34, v43, v34, v42
	v_add3_u32 v36, v41, v36, v39
	s_clause 0x1
	global_load_u8 v37, v[33:34], off
	global_load_u8 v38, v[35:36], off
	s_waitcnt vmcnt(1)
	v_cmp_ne_u16_e32 vcc_lo, 0, v37
	s_waitcnt vmcnt(0)
	v_cmp_ne_u16_e64 s0, 0, v38
	s_delay_alu instid0(VALU_DEP_1) | instskip(NEXT) | instid1(SALU_CYCLE_1)
	s_xor_b32 s0, vcc_lo, s0
	s_xor_b32 s0, s0, -1
	s_delay_alu instid0(SALU_CYCLE_1)
	s_and_saveexec_b32 s26, s0
	s_cbranch_execz .LBB1097_300
; %bb.294:
	s_mov_b64 s[4:5], 1
                                        ; implicit-def: $sgpr35
	s_set_inst_prefetch_distance 0x1
	s_branch .LBB1097_297
	.p2align	6
.LBB1097_295:                           ;   in Loop: Header=BB1097_297 Depth=1
	v_add_co_u32 v37, vcc_lo, v33, s4
	v_add_co_ci_u32_e32 v38, vcc_lo, s5, v34, vcc_lo
	v_add_co_u32 v39, vcc_lo, v35, s4
	v_add_co_ci_u32_e32 v40, vcc_lo, s5, v36, vcc_lo
	s_clause 0x1
	global_load_u8 v37, v[37:38], off
	global_load_u8 v38, v[39:40], off
	s_waitcnt vmcnt(1)
	v_cmp_ne_u16_e32 vcc_lo, 0, v37
	s_waitcnt vmcnt(0)
	v_cmp_ne_u16_e64 s0, 0, v38
	s_delay_alu instid0(VALU_DEP_1) | instskip(SKIP_4) | instid1(SALU_CYCLE_1)
	s_xor_b32 s36, vcc_lo, s0
	s_add_u32 s0, s4, 1
	s_addc_u32 s1, s5, 0
	s_and_not1_b32 s35, s35, exec_lo
	s_and_b32 s36, s36, exec_lo
	s_or_b32 s35, s35, s36
.LBB1097_296:                           ;   in Loop: Header=BB1097_297 Depth=1
	v_dual_mov_b32 v38, s5 :: v_dual_mov_b32 v37, s4
	s_and_b32 s36, exec_lo, s35
	s_mov_b64 s[4:5], s[0:1]
	s_or_b32 s34, s36, s34
	s_delay_alu instid0(SALU_CYCLE_1)
	s_and_not1_b32 exec_lo, exec_lo, s34
	s_cbranch_execz .LBB1097_299
.LBB1097_297:                           ; =>This Inner Loop Header: Depth=1
	s_or_b32 s35, s35, exec_lo
	s_cmp_eq_u64 s[14:15], s[4:5]
	s_cbranch_scc0 .LBB1097_295
; %bb.298:                              ;   in Loop: Header=BB1097_297 Depth=1
	s_mov_b64 s[4:5], s[14:15]
                                        ; implicit-def: $sgpr0_sgpr1
	s_branch .LBB1097_296
.LBB1097_299:
	s_set_inst_prefetch_distance 0x2
	s_or_b32 exec_lo, exec_lo, s34
	v_cmp_gt_i64_e32 vcc_lo, s[14:15], v[37:38]
	s_or_not1_b32 s1, vcc_lo, exec_lo
.LBB1097_300:
	s_or_b32 exec_lo, exec_lo, s26
	s_delay_alu instid0(SALU_CYCLE_1)
	s_and_b32 s26, s1, exec_lo
.LBB1097_301:
	s_or_b32 exec_lo, exec_lo, s27
	v_or_b32_e32 v33, 4, v55
	v_mul_lo_u32 v39, v27, s15
	v_mul_lo_u32 v40, v28, s14
	s_delay_alu instid0(VALU_DEP_3) | instskip(SKIP_1) | instid1(SALU_CYCLE_1)
	v_cmp_gt_u32_e32 vcc_lo, s31, v33
	s_and_b32 s0, vcc_lo, s7
	s_and_saveexec_b32 s27, s0
	s_cbranch_execz .LBB1097_310
; %bb.302:
	v_mad_u64_u32 v[33:34], null, v27, s14, s[20:21]
	s_waitcnt vmcnt(0)
	v_mad_u64_u32 v[35:36], null, v21, s14, s[20:21]
	s_mov_b32 s34, 0
	s_delay_alu instid0(VALU_DEP_2) | instskip(NEXT) | instid1(VALU_DEP_2)
	v_add3_u32 v34, v40, v34, v39
	v_add3_u32 v36, v43, v36, v42
	s_clause 0x1
	global_load_u8 v37, v[33:34], off
	global_load_u8 v38, v[35:36], off
	s_waitcnt vmcnt(1)
	v_cmp_ne_u16_e32 vcc_lo, 0, v37
	s_waitcnt vmcnt(0)
	v_cmp_ne_u16_e64 s0, 0, v38
	s_delay_alu instid0(VALU_DEP_1) | instskip(SKIP_2) | instid1(SALU_CYCLE_1)
	s_xor_b32 s1, vcc_lo, s0
	s_mov_b32 s0, -1
	s_xor_b32 s1, s1, -1
	s_and_saveexec_b32 s25, s1
	s_cbranch_execz .LBB1097_309
; %bb.303:
	s_mov_b64 s[4:5], 1
                                        ; implicit-def: $sgpr35
	s_set_inst_prefetch_distance 0x1
	s_branch .LBB1097_306
	.p2align	6
.LBB1097_304:                           ;   in Loop: Header=BB1097_306 Depth=1
	v_add_co_u32 v37, vcc_lo, v33, s4
	v_add_co_ci_u32_e32 v38, vcc_lo, s5, v34, vcc_lo
	v_add_co_u32 v41, vcc_lo, v35, s4
	v_add_co_ci_u32_e32 v42, vcc_lo, s5, v36, vcc_lo
	s_clause 0x1
	global_load_u8 v37, v[37:38], off
	global_load_u8 v38, v[41:42], off
	s_waitcnt vmcnt(1)
	v_cmp_ne_u16_e32 vcc_lo, 0, v37
	s_waitcnt vmcnt(0)
	v_cmp_ne_u16_e64 s0, 0, v38
	s_delay_alu instid0(VALU_DEP_1) | instskip(SKIP_4) | instid1(SALU_CYCLE_1)
	s_xor_b32 s36, vcc_lo, s0
	s_add_u32 s0, s4, 1
	s_addc_u32 s1, s5, 0
	s_and_not1_b32 s35, s35, exec_lo
	s_and_b32 s36, s36, exec_lo
	s_or_b32 s35, s35, s36
.LBB1097_305:                           ;   in Loop: Header=BB1097_306 Depth=1
	v_dual_mov_b32 v38, s5 :: v_dual_mov_b32 v37, s4
	s_and_b32 s36, exec_lo, s35
	s_mov_b64 s[4:5], s[0:1]
	s_or_b32 s34, s36, s34
	s_delay_alu instid0(SALU_CYCLE_1)
	s_and_not1_b32 exec_lo, exec_lo, s34
	s_cbranch_execz .LBB1097_308
.LBB1097_306:                           ; =>This Inner Loop Header: Depth=1
	s_or_b32 s35, s35, exec_lo
	s_cmp_eq_u64 s[14:15], s[4:5]
	s_cbranch_scc0 .LBB1097_304
; %bb.307:                              ;   in Loop: Header=BB1097_306 Depth=1
	s_mov_b64 s[4:5], s[14:15]
                                        ; implicit-def: $sgpr0_sgpr1
	s_branch .LBB1097_305
.LBB1097_308:
	s_set_inst_prefetch_distance 0x2
	s_or_b32 exec_lo, exec_lo, s34
	v_cmp_gt_i64_e32 vcc_lo, s[14:15], v[37:38]
	s_or_not1_b32 s0, vcc_lo, exec_lo
.LBB1097_309:
	s_or_b32 exec_lo, exec_lo, s25
	s_delay_alu instid0(SALU_CYCLE_1)
	s_and_b32 s25, s0, exec_lo
.LBB1097_310:
	s_or_b32 exec_lo, exec_lo, s27
	v_or_b32_e32 v33, 3, v55
	v_mul_lo_u32 v41, v25, s15
	v_mul_lo_u32 v42, v26, s14
	s_mov_b32 s1, -1
	s_mov_b32 s34, 0
	v_cmp_gt_u32_e32 vcc_lo, s31, v33
	s_mov_b32 s27, 0
	s_and_b32 s0, vcc_lo, s7
	s_delay_alu instid0(SALU_CYCLE_1)
	s_and_saveexec_b32 s35, s0
	s_cbranch_execz .LBB1097_319
; %bb.311:
	v_mad_u64_u32 v[33:34], null, v25, s14, s[20:21]
	s_waitcnt vmcnt(0)
	v_mad_u64_u32 v[35:36], null, v27, s14, s[20:21]
	s_mov_b32 s36, 0
	s_delay_alu instid0(VALU_DEP_2) | instskip(NEXT) | instid1(VALU_DEP_2)
	v_add3_u32 v34, v42, v34, v41
	v_add3_u32 v36, v40, v36, v39
	s_clause 0x1
	global_load_u8 v37, v[33:34], off
	global_load_u8 v38, v[35:36], off
	s_waitcnt vmcnt(1)
	v_cmp_ne_u16_e32 vcc_lo, 0, v37
	s_waitcnt vmcnt(0)
	v_cmp_ne_u16_e64 s0, 0, v38
	s_delay_alu instid0(VALU_DEP_1) | instskip(NEXT) | instid1(SALU_CYCLE_1)
	s_xor_b32 s0, vcc_lo, s0
	s_xor_b32 s0, s0, -1
	s_delay_alu instid0(SALU_CYCLE_1)
	s_and_saveexec_b32 s27, s0
	s_cbranch_execz .LBB1097_318
; %bb.312:
	s_mov_b64 s[4:5], 1
                                        ; implicit-def: $sgpr37
	s_set_inst_prefetch_distance 0x1
	s_branch .LBB1097_315
	.p2align	6
.LBB1097_313:                           ;   in Loop: Header=BB1097_315 Depth=1
	v_add_co_u32 v37, vcc_lo, v33, s4
	v_add_co_ci_u32_e32 v38, vcc_lo, s5, v34, vcc_lo
	v_add_co_u32 v39, vcc_lo, v35, s4
	v_add_co_ci_u32_e32 v40, vcc_lo, s5, v36, vcc_lo
	s_clause 0x1
	global_load_u8 v37, v[37:38], off
	global_load_u8 v38, v[39:40], off
	s_waitcnt vmcnt(1)
	v_cmp_ne_u16_e32 vcc_lo, 0, v37
	s_waitcnt vmcnt(0)
	v_cmp_ne_u16_e64 s0, 0, v38
	s_delay_alu instid0(VALU_DEP_1) | instskip(SKIP_4) | instid1(SALU_CYCLE_1)
	s_xor_b32 s38, vcc_lo, s0
	s_add_u32 s0, s4, 1
	s_addc_u32 s1, s5, 0
	s_and_not1_b32 s37, s37, exec_lo
	s_and_b32 s38, s38, exec_lo
	s_or_b32 s37, s37, s38
.LBB1097_314:                           ;   in Loop: Header=BB1097_315 Depth=1
	v_dual_mov_b32 v38, s5 :: v_dual_mov_b32 v37, s4
	s_and_b32 s38, exec_lo, s37
	s_mov_b64 s[4:5], s[0:1]
	s_or_b32 s36, s38, s36
	s_delay_alu instid0(SALU_CYCLE_1)
	s_and_not1_b32 exec_lo, exec_lo, s36
	s_cbranch_execz .LBB1097_317
.LBB1097_315:                           ; =>This Inner Loop Header: Depth=1
	s_or_b32 s37, s37, exec_lo
	s_cmp_eq_u64 s[14:15], s[4:5]
	s_cbranch_scc0 .LBB1097_313
; %bb.316:                              ;   in Loop: Header=BB1097_315 Depth=1
	s_mov_b64 s[4:5], s[14:15]
                                        ; implicit-def: $sgpr0_sgpr1
	s_branch .LBB1097_314
.LBB1097_317:
	s_set_inst_prefetch_distance 0x2
	s_or_b32 exec_lo, exec_lo, s36
	v_cmp_gt_i64_e32 vcc_lo, s[14:15], v[37:38]
	s_or_not1_b32 s1, vcc_lo, exec_lo
.LBB1097_318:
	s_or_b32 exec_lo, exec_lo, s27
	s_delay_alu instid0(SALU_CYCLE_1)
	s_and_b32 s27, s1, exec_lo
.LBB1097_319:
	s_or_b32 exec_lo, exec_lo, s35
	v_or_b32_e32 v33, 2, v55
	v_mul_lo_u32 v39, v31, s15
	v_mul_lo_u32 v40, v32, s14
	s_delay_alu instid0(VALU_DEP_3) | instskip(SKIP_1) | instid1(SALU_CYCLE_1)
	v_cmp_gt_u32_e32 vcc_lo, s31, v33
	s_and_b32 s0, vcc_lo, s7
	s_and_saveexec_b32 s35, s0
	s_cbranch_execz .LBB1097_328
; %bb.320:
	v_mad_u64_u32 v[33:34], null, v31, s14, s[20:21]
	s_waitcnt vmcnt(0)
	v_mad_u64_u32 v[35:36], null, v25, s14, s[20:21]
	s_mov_b32 s36, 0
	s_delay_alu instid0(VALU_DEP_2) | instskip(NEXT) | instid1(VALU_DEP_2)
	v_add3_u32 v34, v40, v34, v39
	v_add3_u32 v36, v42, v36, v41
	s_clause 0x1
	global_load_u8 v37, v[33:34], off
	global_load_u8 v38, v[35:36], off
	s_waitcnt vmcnt(1)
	v_cmp_ne_u16_e32 vcc_lo, 0, v37
	s_waitcnt vmcnt(0)
	v_cmp_ne_u16_e64 s0, 0, v38
	s_delay_alu instid0(VALU_DEP_1) | instskip(SKIP_2) | instid1(SALU_CYCLE_1)
	s_xor_b32 s1, vcc_lo, s0
	s_mov_b32 s0, -1
	s_xor_b32 s1, s1, -1
	s_and_saveexec_b32 s34, s1
	s_cbranch_execz .LBB1097_327
; %bb.321:
	s_mov_b64 s[4:5], 1
                                        ; implicit-def: $sgpr37
	s_set_inst_prefetch_distance 0x1
	s_branch .LBB1097_324
	.p2align	6
.LBB1097_322:                           ;   in Loop: Header=BB1097_324 Depth=1
	v_add_co_u32 v37, vcc_lo, v33, s4
	v_add_co_ci_u32_e32 v38, vcc_lo, s5, v34, vcc_lo
	v_add_co_u32 v41, vcc_lo, v35, s4
	v_add_co_ci_u32_e32 v42, vcc_lo, s5, v36, vcc_lo
	s_clause 0x1
	global_load_u8 v37, v[37:38], off
	global_load_u8 v38, v[41:42], off
	s_waitcnt vmcnt(1)
	v_cmp_ne_u16_e32 vcc_lo, 0, v37
	s_waitcnt vmcnt(0)
	v_cmp_ne_u16_e64 s0, 0, v38
	s_delay_alu instid0(VALU_DEP_1) | instskip(SKIP_4) | instid1(SALU_CYCLE_1)
	s_xor_b32 s38, vcc_lo, s0
	s_add_u32 s0, s4, 1
	s_addc_u32 s1, s5, 0
	s_and_not1_b32 s37, s37, exec_lo
	s_and_b32 s38, s38, exec_lo
	s_or_b32 s37, s37, s38
.LBB1097_323:                           ;   in Loop: Header=BB1097_324 Depth=1
	v_dual_mov_b32 v38, s5 :: v_dual_mov_b32 v37, s4
	s_and_b32 s38, exec_lo, s37
	s_mov_b64 s[4:5], s[0:1]
	s_or_b32 s36, s38, s36
	s_delay_alu instid0(SALU_CYCLE_1)
	s_and_not1_b32 exec_lo, exec_lo, s36
	s_cbranch_execz .LBB1097_326
.LBB1097_324:                           ; =>This Inner Loop Header: Depth=1
	s_or_b32 s37, s37, exec_lo
	s_cmp_eq_u64 s[14:15], s[4:5]
	s_cbranch_scc0 .LBB1097_322
; %bb.325:                              ;   in Loop: Header=BB1097_324 Depth=1
	s_mov_b64 s[4:5], s[14:15]
                                        ; implicit-def: $sgpr0_sgpr1
	s_branch .LBB1097_323
.LBB1097_326:
	s_set_inst_prefetch_distance 0x2
	s_or_b32 exec_lo, exec_lo, s36
	v_cmp_gt_i64_e32 vcc_lo, s[14:15], v[37:38]
	s_or_not1_b32 s0, vcc_lo, exec_lo
.LBB1097_327:
	s_or_b32 exec_lo, exec_lo, s34
	s_delay_alu instid0(SALU_CYCLE_1)
	s_and_b32 s34, s0, exec_lo
.LBB1097_328:
	s_or_b32 exec_lo, exec_lo, s35
	v_or_b32_e32 v33, 1, v55
	s_mov_b32 s1, -1
	s_mov_b32 s0, 0
	s_delay_alu instid0(VALU_DEP_1) | instskip(SKIP_1) | instid1(SALU_CYCLE_1)
	v_cmp_gt_u32_e32 vcc_lo, s31, v33
	s_and_b32 s4, vcc_lo, s7
	s_and_saveexec_b32 s35, s4
	s_cbranch_execz .LBB1097_337
; %bb.329:
	v_mad_u64_u32 v[33:34], null, v29, s14, s[20:21]
	v_mul_lo_u32 v37, v29, s15
	v_mul_lo_u32 v38, v30, s14
	s_waitcnt vmcnt(0)
	v_mad_u64_u32 v[35:36], null, v31, s14, s[20:21]
	s_mov_b32 s37, 0
	s_delay_alu instid0(VALU_DEP_2) | instskip(NEXT) | instid1(VALU_DEP_2)
	v_add3_u32 v34, v38, v34, v37
	v_add3_u32 v36, v40, v36, v39
	s_clause 0x1
	global_load_u8 v37, v[33:34], off
	global_load_u8 v38, v[35:36], off
	s_waitcnt vmcnt(1)
	v_cmp_ne_u16_e32 vcc_lo, 0, v37
	s_waitcnt vmcnt(0)
	v_cmp_ne_u16_e64 s0, 0, v38
	s_delay_alu instid0(VALU_DEP_1) | instskip(NEXT) | instid1(SALU_CYCLE_1)
	s_xor_b32 s0, vcc_lo, s0
	s_xor_b32 s0, s0, -1
	s_delay_alu instid0(SALU_CYCLE_1)
	s_and_saveexec_b32 s36, s0
	s_cbranch_execz .LBB1097_336
; %bb.330:
	s_mov_b64 s[4:5], 1
                                        ; implicit-def: $sgpr38
	s_set_inst_prefetch_distance 0x1
	s_branch .LBB1097_333
	.p2align	6
.LBB1097_331:                           ;   in Loop: Header=BB1097_333 Depth=1
	v_add_co_u32 v37, vcc_lo, v33, s4
	v_add_co_ci_u32_e32 v38, vcc_lo, s5, v34, vcc_lo
	v_add_co_u32 v39, vcc_lo, v35, s4
	v_add_co_ci_u32_e32 v40, vcc_lo, s5, v36, vcc_lo
	s_clause 0x1
	global_load_u8 v37, v[37:38], off
	global_load_u8 v38, v[39:40], off
	s_waitcnt vmcnt(1)
	v_cmp_ne_u16_e32 vcc_lo, 0, v37
	s_waitcnt vmcnt(0)
	v_cmp_ne_u16_e64 s0, 0, v38
	s_delay_alu instid0(VALU_DEP_1) | instskip(SKIP_4) | instid1(SALU_CYCLE_1)
	s_xor_b32 s39, vcc_lo, s0
	s_add_u32 s0, s4, 1
	s_addc_u32 s1, s5, 0
	s_and_not1_b32 s38, s38, exec_lo
	s_and_b32 s39, s39, exec_lo
	s_or_b32 s38, s38, s39
.LBB1097_332:                           ;   in Loop: Header=BB1097_333 Depth=1
	v_dual_mov_b32 v38, s5 :: v_dual_mov_b32 v37, s4
	s_and_b32 s39, exec_lo, s38
	s_mov_b64 s[4:5], s[0:1]
	s_or_b32 s37, s39, s37
	s_delay_alu instid0(SALU_CYCLE_1)
	s_and_not1_b32 exec_lo, exec_lo, s37
	s_cbranch_execz .LBB1097_335
.LBB1097_333:                           ; =>This Inner Loop Header: Depth=1
	s_or_b32 s38, s38, exec_lo
	s_cmp_eq_u64 s[14:15], s[4:5]
	s_cbranch_scc0 .LBB1097_331
; %bb.334:                              ;   in Loop: Header=BB1097_333 Depth=1
	s_mov_b64 s[4:5], s[14:15]
                                        ; implicit-def: $sgpr0_sgpr1
	s_branch .LBB1097_332
.LBB1097_335:
	s_set_inst_prefetch_distance 0x2
	s_or_b32 exec_lo, exec_lo, s37
	v_cmp_gt_i64_e32 vcc_lo, s[14:15], v[37:38]
	s_or_not1_b32 s1, vcc_lo, exec_lo
.LBB1097_336:
	s_or_b32 exec_lo, exec_lo, s36
	s_delay_alu instid0(SALU_CYCLE_1)
	s_and_b32 s0, s1, exec_lo
.LBB1097_337:
	s_or_b32 exec_lo, exec_lo, s35
	v_cndmask_b32_e64 v34, 0, 1, s27
	s_waitcnt vmcnt(0)
	v_cndmask_b32_e64 v35, 0, 1, s26
	v_cndmask_b32_e64 v36, 0, 1, s24
	;; [unrolled: 1-line block ×6, first 2 shown]
	v_lshlrev_b16 v35, 8, v35
	v_lshlrev_b16 v36, 8, v36
	;; [unrolled: 1-line block ×4, first 2 shown]
	s_waitcnt lgkmcnt(0)
	v_or_b32_e32 v35, v38, v35
	v_or_b32_e32 v36, v39, v36
	;; [unrolled: 1-line block ×4, first 2 shown]
	s_barrier
	v_and_b32_e32 v34, 0xffff, v35
	v_lshlrev_b32_e32 v35, 16, v36
	v_and_b32_e32 v36, 0xffff, v37
	v_lshlrev_b32_e32 v33, 16, v33
	buffer_gl0_inv
                                        ; implicit-def: $sgpr0
	v_or_b32_e32 v34, v34, v35
	v_or_b32_e32 v33, v36, v33
	s_and_saveexec_b32 s13, s3
	s_cbranch_execz .LBB1097_348
; %bb.338:
	v_cmp_gt_u32_e32 vcc_lo, s31, v55
	s_mov_b32 s1, -1
	s_mov_b32 s0, 0
	s_and_b32 s4, vcc_lo, s7
	s_delay_alu instid0(SALU_CYCLE_1)
	s_and_saveexec_b32 s3, s4
	s_cbranch_execz .LBB1097_347
; %bb.339:
	v_add_nc_u32_e32 v35, -8, v55
	v_mul_lo_u32 v41, v29, s15
	ds_load_b64 v[39:40], v35
	v_mad_u64_u32 v[35:36], null, v29, s14, s[20:21]
	s_waitcnt lgkmcnt(0)
	v_mul_lo_u32 v42, v39, s15
	v_mul_lo_u32 v40, v40, s14
	v_mad_u64_u32 v[37:38], null, v39, s14, s[20:21]
	v_mul_lo_u32 v39, v30, s14
	s_mov_b32 s20, 0
	s_delay_alu instid0(VALU_DEP_2) | instskip(NEXT) | instid1(VALU_DEP_2)
	v_add3_u32 v38, v40, v38, v42
	v_add3_u32 v36, v39, v36, v41
	s_clause 0x1
	global_load_u8 v39, v[37:38], off
	global_load_u8 v40, v[35:36], off
	s_waitcnt vmcnt(1)
	v_cmp_ne_u16_e32 vcc_lo, 0, v39
	s_waitcnt vmcnt(0)
	v_cmp_ne_u16_e64 s0, 0, v40
	s_delay_alu instid0(VALU_DEP_1) | instskip(NEXT) | instid1(SALU_CYCLE_1)
	s_xor_b32 s0, vcc_lo, s0
	s_xor_b32 s0, s0, -1
	s_delay_alu instid0(SALU_CYCLE_1)
	s_and_saveexec_b32 s7, s0
	s_cbranch_execz .LBB1097_346
; %bb.340:
	s_mov_b64 s[4:5], 1
                                        ; implicit-def: $sgpr21
	s_set_inst_prefetch_distance 0x1
	s_branch .LBB1097_343
	.p2align	6
.LBB1097_341:                           ;   in Loop: Header=BB1097_343 Depth=1
	v_add_co_u32 v39, vcc_lo, v37, s4
	v_add_co_ci_u32_e32 v40, vcc_lo, s5, v38, vcc_lo
	v_add_co_u32 v41, vcc_lo, v35, s4
	v_add_co_ci_u32_e32 v42, vcc_lo, s5, v36, vcc_lo
	s_clause 0x1
	global_load_u8 v39, v[39:40], off
	global_load_u8 v40, v[41:42], off
	s_waitcnt vmcnt(1)
	v_cmp_ne_u16_e32 vcc_lo, 0, v39
	s_waitcnt vmcnt(0)
	v_cmp_ne_u16_e64 s0, 0, v40
	s_delay_alu instid0(VALU_DEP_1) | instskip(SKIP_4) | instid1(SALU_CYCLE_1)
	s_xor_b32 s24, vcc_lo, s0
	s_add_u32 s0, s4, 1
	s_addc_u32 s1, s5, 0
	s_and_not1_b32 s21, s21, exec_lo
	s_and_b32 s24, s24, exec_lo
	s_or_b32 s21, s21, s24
.LBB1097_342:                           ;   in Loop: Header=BB1097_343 Depth=1
	v_dual_mov_b32 v40, s5 :: v_dual_mov_b32 v39, s4
	s_and_b32 s24, exec_lo, s21
	s_mov_b64 s[4:5], s[0:1]
	s_or_b32 s20, s24, s20
	s_delay_alu instid0(SALU_CYCLE_1)
	s_and_not1_b32 exec_lo, exec_lo, s20
	s_cbranch_execz .LBB1097_345
.LBB1097_343:                           ; =>This Inner Loop Header: Depth=1
	s_or_b32 s21, s21, exec_lo
	s_cmp_eq_u64 s[14:15], s[4:5]
	s_cbranch_scc0 .LBB1097_341
; %bb.344:                              ;   in Loop: Header=BB1097_343 Depth=1
	s_mov_b64 s[4:5], s[14:15]
                                        ; implicit-def: $sgpr0_sgpr1
	s_branch .LBB1097_342
.LBB1097_345:
	s_set_inst_prefetch_distance 0x2
	s_or_b32 exec_lo, exec_lo, s20
	v_cmp_gt_i64_e32 vcc_lo, s[14:15], v[39:40]
	s_or_not1_b32 s1, vcc_lo, exec_lo
.LBB1097_346:
	s_or_b32 exec_lo, exec_lo, s7
	s_delay_alu instid0(SALU_CYCLE_1)
	s_and_b32 s0, s1, exec_lo
.LBB1097_347:
	s_or_b32 exec_lo, exec_lo, s3
	s_delay_alu instid0(SALU_CYCLE_1)
	s_and_b32 s0, s0, exec_lo
	s_or_b32 s6, s6, exec_lo
.LBB1097_348:
	s_or_b32 exec_lo, exec_lo, s13
.LBB1097_349:
	s_and_saveexec_b32 s1, s6
	s_cbranch_execz .LBB1097_351
; %bb.350:
	s_waitcnt vmcnt(0) lgkmcnt(0)
	v_and_b32_e32 v35, 0xffffff00, v33
	v_cndmask_b32_e64 v36, 0, 1, s0
	s_delay_alu instid0(VALU_DEP_1) | instskip(NEXT) | instid1(VALU_DEP_1)
	v_or_b32_e32 v35, v36, v35
	v_and_b32_e32 v35, 0xffff, v35
	s_delay_alu instid0(VALU_DEP_1)
	v_and_or_b32 v33, 0xffff0000, v33, v35
.LBB1097_351:
	s_or_b32 exec_lo, exec_lo, s1
	s_delay_alu instid0(SALU_CYCLE_1)
	s_and_not1_b32 vcc_lo, exec_lo, s33
	s_cbranch_vccnz .LBB1097_353
; %bb.352:
	v_cmp_gt_u32_e32 vcc_lo, s31, v55
	s_waitcnt vmcnt(0) lgkmcnt(0)
	v_or_b32_e32 v36, 1, v55
	v_and_b32_e32 v37, 0xffffff00, v34
	v_or_b32_e32 v38, 2, v55
	v_cndmask_b32_e32 v35, 0, v33, vcc_lo
	s_delay_alu instid0(VALU_DEP_4) | instskip(SKIP_1) | instid1(VALU_DEP_4)
	v_cmp_gt_u32_e32 vcc_lo, s31, v36
	v_or_b32_e32 v36, 4, v55
	v_cmp_gt_u32_e64 s0, s31, v38
	v_or_b32_e32 v38, 3, v55
	v_and_b32_e32 v35, 0xff, v35
	s_delay_alu instid0(VALU_DEP_2) | instskip(NEXT) | instid1(VALU_DEP_2)
	v_cmp_gt_u32_e64 s1, s31, v38
	v_cndmask_b32_e32 v35, v35, v33, vcc_lo
	v_cmp_gt_u32_e32 vcc_lo, s31, v36
	v_cndmask_b32_e32 v36, v37, v34, vcc_lo
	v_or_b32_e32 v37, 5, v55
	s_delay_alu instid0(VALU_DEP_2) | instskip(SKIP_1) | instid1(VALU_DEP_1)
	v_and_b32_e32 v36, 0xffff00ff, v36
	v_and_b32_e32 v35, 0xffff, v35
	v_cndmask_b32_e64 v35, v35, v33, s0
	s_delay_alu instid0(VALU_DEP_4) | instskip(SKIP_1) | instid1(VALU_DEP_3)
	v_cmp_gt_u32_e64 s0, s31, v37
	v_or_b32_e32 v37, 6, v55
	v_and_b32_e32 v35, 0xffffff, v35
	s_delay_alu instid0(VALU_DEP_3) | instskip(NEXT) | instid1(VALU_DEP_2)
	v_cndmask_b32_e64 v36, v36, v34, s0
	v_cndmask_b32_e64 v35, v35, v33, s1
	s_delay_alu instid0(VALU_DEP_1) | instskip(SKIP_2) | instid1(VALU_DEP_3)
	v_dual_cndmask_b32 v35, v35, v33 :: v_dual_and_b32 v36, 0xff00ffff, v36
	v_cmp_gt_u32_e32 vcc_lo, s31, v37
	v_or_b32_e32 v37, 7, v55
	v_cndmask_b32_e64 v35, v35, v33, s0
	s_delay_alu instid0(VALU_DEP_1) | instskip(NEXT) | instid1(VALU_DEP_1)
	v_dual_cndmask_b32 v36, v36, v34 :: v_dual_cndmask_b32 v35, v35, v33
	v_and_b32_e32 v36, 0xffffff, v36
	s_delay_alu instid0(VALU_DEP_4) | instskip(NEXT) | instid1(VALU_DEP_2)
	v_cmp_gt_u32_e32 vcc_lo, s31, v37
	v_dual_cndmask_b32 v34, v36, v34 :: v_dual_cndmask_b32 v33, v35, v33
.LBB1097_353:
	s_delay_alu instid0(VALU_DEP_1) | instskip(SKIP_1) | instid1(VALU_DEP_2)
	v_and_b32_e32 v42, 0xff, v33
	s_waitcnt vmcnt(0) lgkmcnt(0)
	v_alignbit_b32 v35, v34, v33, 24
	v_bfe_u32 v44, v33, 8, 8
	v_bfe_u32 v46, v33, 16, 8
	v_and_b32_e32 v50, 0xff, v34
	v_bfe_u32 v52, v34, 8, 8
	v_and_b32_e32 v48, 0xff, v35
	v_add_nc_u32_e32 v35, v44, v42
	v_mbcnt_lo_u32_b32 v57, -1, 0
	v_bfe_u32 v54, v34, 16, 8
	v_lshrrev_b32_e32 v56, 24, v34
	v_lshrrev_b32_e32 v58, 5, v0
	v_add3_u32 v35, v35, v46, v48
	v_and_b32_e32 v36, 15, v57
	v_and_b32_e32 v37, 16, v57
	s_and_b32 vcc_lo, exec_lo, s12
	s_mov_b32 s7, -1
	v_add3_u32 v35, v35, v50, v52
	v_cmp_eq_u32_e64 s3, 0, v36
	v_cmp_lt_u32_e64 s0, 1, v36
	v_cmp_lt_u32_e64 s4, 3, v36
	;; [unrolled: 1-line block ×3, first 2 shown]
	v_add3_u32 v59, v35, v54, v56
	v_or_b32_e32 v35, 31, v0
	v_cmp_eq_u32_e64 s6, 0, v37
	s_barrier
	buffer_gl0_inv
	v_cmp_eq_u32_e64 s5, v35, v0
	s_cbranch_vccz .LBB1097_384
; %bb.354:
	v_mov_b32_dpp v35, v59 row_shr:1 row_mask:0xf bank_mask:0xf
	s_delay_alu instid0(VALU_DEP_1) | instskip(NEXT) | instid1(VALU_DEP_1)
	v_cndmask_b32_e64 v35, v35, 0, s3
	v_add_nc_u32_e32 v35, v35, v59
	s_delay_alu instid0(VALU_DEP_1) | instskip(NEXT) | instid1(VALU_DEP_1)
	v_mov_b32_dpp v36, v35 row_shr:2 row_mask:0xf bank_mask:0xf
	v_cndmask_b32_e64 v36, 0, v36, s0
	s_delay_alu instid0(VALU_DEP_1) | instskip(NEXT) | instid1(VALU_DEP_1)
	v_add_nc_u32_e32 v35, v35, v36
	v_mov_b32_dpp v36, v35 row_shr:4 row_mask:0xf bank_mask:0xf
	s_delay_alu instid0(VALU_DEP_1) | instskip(NEXT) | instid1(VALU_DEP_1)
	v_cndmask_b32_e64 v36, 0, v36, s4
	v_add_nc_u32_e32 v35, v35, v36
	s_delay_alu instid0(VALU_DEP_1) | instskip(NEXT) | instid1(VALU_DEP_1)
	v_mov_b32_dpp v36, v35 row_shr:8 row_mask:0xf bank_mask:0xf
	v_cndmask_b32_e64 v36, 0, v36, s1
	s_delay_alu instid0(VALU_DEP_1) | instskip(SKIP_3) | instid1(VALU_DEP_1)
	v_add_nc_u32_e32 v35, v35, v36
	ds_swizzle_b32 v36, v35 offset:swizzle(BROADCAST,32,15)
	s_waitcnt lgkmcnt(0)
	v_cndmask_b32_e64 v36, v36, 0, s6
	v_add_nc_u32_e32 v35, v35, v36
	s_and_saveexec_b32 s7, s5
	s_cbranch_execz .LBB1097_356
; %bb.355:
	v_lshlrev_b32_e32 v36, 2, v58
	ds_store_b32 v36, v35
.LBB1097_356:
	s_or_b32 exec_lo, exec_lo, s7
	s_delay_alu instid0(SALU_CYCLE_1)
	s_mov_b32 s7, exec_lo
	s_waitcnt lgkmcnt(0)
	s_barrier
	buffer_gl0_inv
	v_cmpx_gt_u32_e32 16, v0
	s_cbranch_execz .LBB1097_358
; %bb.357:
	v_lshlrev_b32_e32 v36, 2, v0
	ds_load_b32 v37, v36
	s_waitcnt lgkmcnt(0)
	v_mov_b32_dpp v38, v37 row_shr:1 row_mask:0xf bank_mask:0xf
	s_delay_alu instid0(VALU_DEP_1) | instskip(NEXT) | instid1(VALU_DEP_1)
	v_cndmask_b32_e64 v38, v38, 0, s3
	v_add_nc_u32_e32 v37, v38, v37
	s_delay_alu instid0(VALU_DEP_1) | instskip(NEXT) | instid1(VALU_DEP_1)
	v_mov_b32_dpp v38, v37 row_shr:2 row_mask:0xf bank_mask:0xf
	v_cndmask_b32_e64 v38, 0, v38, s0
	s_delay_alu instid0(VALU_DEP_1) | instskip(NEXT) | instid1(VALU_DEP_1)
	v_add_nc_u32_e32 v37, v37, v38
	v_mov_b32_dpp v38, v37 row_shr:4 row_mask:0xf bank_mask:0xf
	s_delay_alu instid0(VALU_DEP_1) | instskip(NEXT) | instid1(VALU_DEP_1)
	v_cndmask_b32_e64 v38, 0, v38, s4
	v_add_nc_u32_e32 v37, v37, v38
	s_delay_alu instid0(VALU_DEP_1) | instskip(NEXT) | instid1(VALU_DEP_1)
	v_mov_b32_dpp v38, v37 row_shr:8 row_mask:0xf bank_mask:0xf
	v_cndmask_b32_e64 v38, 0, v38, s1
	s_delay_alu instid0(VALU_DEP_1)
	v_add_nc_u32_e32 v37, v37, v38
	ds_store_b32 v36, v37
.LBB1097_358:
	s_or_b32 exec_lo, exec_lo, s7
	v_cmp_gt_u32_e32 vcc_lo, 32, v0
	s_mov_b32 s12, exec_lo
	s_waitcnt lgkmcnt(0)
	s_barrier
	buffer_gl0_inv
                                        ; implicit-def: $vgpr43
	v_cmpx_lt_u32_e32 31, v0
	s_cbranch_execz .LBB1097_360
; %bb.359:
	v_lshl_add_u32 v36, v58, 2, -4
	ds_load_b32 v43, v36
	s_waitcnt lgkmcnt(0)
	v_add_nc_u32_e32 v35, v43, v35
.LBB1097_360:
	s_or_b32 exec_lo, exec_lo, s12
	v_add_nc_u32_e32 v36, -1, v57
	s_delay_alu instid0(VALU_DEP_1) | instskip(NEXT) | instid1(VALU_DEP_1)
	v_cmp_gt_i32_e64 s7, 0, v36
	v_cndmask_b32_e64 v36, v36, v57, s7
	v_cmp_eq_u32_e64 s7, 0, v57
	s_delay_alu instid0(VALU_DEP_2)
	v_lshlrev_b32_e32 v36, 2, v36
	ds_bpermute_b32 v45, v36, v35
	s_and_saveexec_b32 s12, vcc_lo
	s_cbranch_execz .LBB1097_383
; %bb.361:
	v_mov_b32_e32 v38, 0
	ds_load_b32 v35, v38 offset:60
	s_and_saveexec_b32 s13, s7
	s_cbranch_execz .LBB1097_363
; %bb.362:
	s_add_i32 s14, s30, 32
	s_mov_b32 s15, 0
	v_mov_b32_e32 v36, 1
	s_lshl_b64 s[14:15], s[14:15], 3
	s_delay_alu instid0(SALU_CYCLE_1)
	s_add_u32 s14, s22, s14
	s_addc_u32 s15, s23, s15
	s_waitcnt lgkmcnt(0)
	global_store_b64 v38, v[35:36], s[14:15]
.LBB1097_363:
	s_or_b32 exec_lo, exec_lo, s13
	v_xad_u32 v36, v57, -1, s30
	s_mov_b32 s14, 0
	s_mov_b32 s13, exec_lo
	s_delay_alu instid0(VALU_DEP_1) | instskip(NEXT) | instid1(VALU_DEP_1)
	v_add_nc_u32_e32 v37, 32, v36
	v_lshlrev_b64 v[37:38], 3, v[37:38]
	s_delay_alu instid0(VALU_DEP_1) | instskip(NEXT) | instid1(VALU_DEP_2)
	v_add_co_u32 v40, vcc_lo, s22, v37
	v_add_co_ci_u32_e32 v41, vcc_lo, s23, v38, vcc_lo
	global_load_b64 v[38:39], v[40:41], off glc
	s_waitcnt vmcnt(0)
	v_and_b32_e32 v37, 0xff, v39
	s_delay_alu instid0(VALU_DEP_1)
	v_cmpx_eq_u16_e32 0, v37
	s_cbranch_execz .LBB1097_369
; %bb.364:
	s_mov_b32 s15, 1
	.p2align	6
.LBB1097_365:                           ; =>This Loop Header: Depth=1
                                        ;     Child Loop BB1097_366 Depth 2
	s_delay_alu instid0(SALU_CYCLE_1)
	s_max_u32 s20, s15, 1
.LBB1097_366:                           ;   Parent Loop BB1097_365 Depth=1
                                        ; =>  This Inner Loop Header: Depth=2
	s_delay_alu instid0(SALU_CYCLE_1)
	s_add_i32 s20, s20, -1
	s_sleep 1
	s_cmp_eq_u32 s20, 0
	s_cbranch_scc0 .LBB1097_366
; %bb.367:                              ;   in Loop: Header=BB1097_365 Depth=1
	global_load_b64 v[38:39], v[40:41], off glc
	s_cmp_lt_u32 s15, 32
	s_cselect_b32 s20, -1, 0
	s_delay_alu instid0(SALU_CYCLE_1) | instskip(SKIP_3) | instid1(VALU_DEP_1)
	s_cmp_lg_u32 s20, 0
	s_addc_u32 s15, s15, 0
	s_waitcnt vmcnt(0)
	v_and_b32_e32 v37, 0xff, v39
	v_cmp_ne_u16_e32 vcc_lo, 0, v37
	s_or_b32 s14, vcc_lo, s14
	s_delay_alu instid0(SALU_CYCLE_1)
	s_and_not1_b32 exec_lo, exec_lo, s14
	s_cbranch_execnz .LBB1097_365
; %bb.368:
	s_or_b32 exec_lo, exec_lo, s14
.LBB1097_369:
	s_delay_alu instid0(SALU_CYCLE_1)
	s_or_b32 exec_lo, exec_lo, s13
	v_cmp_ne_u32_e32 vcc_lo, 31, v57
	v_lshlrev_b32_e64 v49, v57, -1
	v_add_nc_u32_e32 v53, 2, v57
	v_add_nc_u32_e32 v61, 4, v57
	;; [unrolled: 1-line block ×3, first 2 shown]
	v_add_co_ci_u32_e32 v37, vcc_lo, 0, v57, vcc_lo
	v_add_nc_u32_e32 v66, 16, v57
	s_delay_alu instid0(VALU_DEP_2)
	v_lshlrev_b32_e32 v47, 2, v37
	v_and_b32_e32 v37, 0xff, v39
	ds_bpermute_b32 v40, v47, v38
	v_cmp_eq_u16_e32 vcc_lo, 2, v37
	v_and_or_b32 v37, vcc_lo, v49, 0x80000000
	v_cmp_gt_u32_e32 vcc_lo, 30, v57
	s_delay_alu instid0(VALU_DEP_2) | instskip(SKIP_1) | instid1(VALU_DEP_2)
	v_ctz_i32_b32_e32 v37, v37
	v_cndmask_b32_e64 v41, 0, 1, vcc_lo
	v_cmp_lt_u32_e32 vcc_lo, v57, v37
	s_waitcnt lgkmcnt(0)
	s_delay_alu instid0(VALU_DEP_2) | instskip(NEXT) | instid1(VALU_DEP_1)
	v_dual_cndmask_b32 v40, 0, v40 :: v_dual_lshlrev_b32 v41, 1, v41
	v_add_lshl_u32 v51, v41, v57, 2
	v_cmp_gt_u32_e32 vcc_lo, 28, v57
	s_delay_alu instid0(VALU_DEP_3) | instskip(SKIP_4) | instid1(VALU_DEP_1)
	v_add_nc_u32_e32 v38, v40, v38
	v_cndmask_b32_e64 v41, 0, 1, vcc_lo
	v_cmp_le_u32_e32 vcc_lo, v53, v37
	ds_bpermute_b32 v40, v51, v38
	v_lshlrev_b32_e32 v41, 2, v41
	v_add_lshl_u32 v60, v41, v57, 2
	s_waitcnt lgkmcnt(0)
	v_cndmask_b32_e32 v40, 0, v40, vcc_lo
	v_cmp_gt_u32_e32 vcc_lo, 24, v57
	s_delay_alu instid0(VALU_DEP_2) | instskip(SKIP_4) | instid1(VALU_DEP_1)
	v_add_nc_u32_e32 v38, v38, v40
	v_cndmask_b32_e64 v41, 0, 1, vcc_lo
	v_cmp_le_u32_e32 vcc_lo, v61, v37
	ds_bpermute_b32 v40, v60, v38
	v_lshlrev_b32_e32 v41, 3, v41
	v_add_lshl_u32 v63, v41, v57, 2
	s_waitcnt lgkmcnt(0)
	v_cndmask_b32_e32 v40, 0, v40, vcc_lo
	v_cmp_gt_u32_e32 vcc_lo, 16, v57
	s_delay_alu instid0(VALU_DEP_2) | instskip(SKIP_4) | instid1(VALU_DEP_1)
	v_add_nc_u32_e32 v38, v38, v40
	v_cndmask_b32_e64 v41, 0, 1, vcc_lo
	v_cmp_le_u32_e32 vcc_lo, v64, v37
	ds_bpermute_b32 v40, v63, v38
	v_lshlrev_b32_e32 v41, 4, v41
	v_add_lshl_u32 v65, v41, v57, 2
	s_waitcnt lgkmcnt(0)
	v_cndmask_b32_e32 v40, 0, v40, vcc_lo
	v_cmp_le_u32_e32 vcc_lo, v66, v37
	s_delay_alu instid0(VALU_DEP_2) | instskip(SKIP_3) | instid1(VALU_DEP_1)
	v_add_nc_u32_e32 v38, v38, v40
	ds_bpermute_b32 v40, v65, v38
	s_waitcnt lgkmcnt(0)
	v_cndmask_b32_e32 v37, 0, v40, vcc_lo
	v_dual_mov_b32 v37, 0 :: v_dual_add_nc_u32 v38, v38, v37
	s_branch .LBB1097_371
.LBB1097_370:                           ;   in Loop: Header=BB1097_371 Depth=1
	s_or_b32 exec_lo, exec_lo, s13
	ds_bpermute_b32 v41, v47, v38
	v_and_b32_e32 v40, 0xff, v39
	v_subrev_nc_u32_e32 v36, 32, v36
	s_delay_alu instid0(VALU_DEP_2) | instskip(SKIP_1) | instid1(VALU_DEP_1)
	v_cmp_eq_u16_e32 vcc_lo, 2, v40
	v_and_or_b32 v40, vcc_lo, v49, 0x80000000
	v_ctz_i32_b32_e32 v40, v40
	s_delay_alu instid0(VALU_DEP_1) | instskip(SKIP_3) | instid1(VALU_DEP_2)
	v_cmp_lt_u32_e32 vcc_lo, v57, v40
	s_waitcnt lgkmcnt(0)
	v_cndmask_b32_e32 v41, 0, v41, vcc_lo
	v_cmp_le_u32_e32 vcc_lo, v53, v40
	v_add_nc_u32_e32 v38, v41, v38
	ds_bpermute_b32 v41, v51, v38
	s_waitcnt lgkmcnt(0)
	v_cndmask_b32_e32 v41, 0, v41, vcc_lo
	v_cmp_le_u32_e32 vcc_lo, v61, v40
	s_delay_alu instid0(VALU_DEP_2) | instskip(SKIP_4) | instid1(VALU_DEP_2)
	v_add_nc_u32_e32 v38, v38, v41
	ds_bpermute_b32 v41, v60, v38
	s_waitcnt lgkmcnt(0)
	v_cndmask_b32_e32 v41, 0, v41, vcc_lo
	v_cmp_le_u32_e32 vcc_lo, v64, v40
	v_add_nc_u32_e32 v38, v38, v41
	ds_bpermute_b32 v41, v63, v38
	s_waitcnt lgkmcnt(0)
	v_cndmask_b32_e32 v41, 0, v41, vcc_lo
	v_cmp_le_u32_e32 vcc_lo, v66, v40
	s_delay_alu instid0(VALU_DEP_2) | instskip(SKIP_3) | instid1(VALU_DEP_1)
	v_add_nc_u32_e32 v38, v38, v41
	ds_bpermute_b32 v41, v65, v38
	s_waitcnt lgkmcnt(0)
	v_cndmask_b32_e32 v40, 0, v41, vcc_lo
	v_add3_u32 v38, v40, v62, v38
.LBB1097_371:                           ; =>This Loop Header: Depth=1
                                        ;     Child Loop BB1097_374 Depth 2
                                        ;       Child Loop BB1097_375 Depth 3
	s_delay_alu instid0(VALU_DEP_1) | instskip(NEXT) | instid1(VALU_DEP_1)
	v_dual_mov_b32 v62, v38 :: v_dual_and_b32 v39, 0xff, v39
	v_cmp_ne_u16_e32 vcc_lo, 2, v39
	v_cndmask_b32_e64 v39, 0, 1, vcc_lo
	;;#ASMSTART
	;;#ASMEND
	s_delay_alu instid0(VALU_DEP_1)
	v_cmp_ne_u32_e32 vcc_lo, 0, v39
	s_cmp_lg_u32 vcc_lo, exec_lo
	s_cbranch_scc1 .LBB1097_378
; %bb.372:                              ;   in Loop: Header=BB1097_371 Depth=1
	v_lshlrev_b64 v[38:39], 3, v[36:37]
	s_mov_b32 s13, exec_lo
	s_delay_alu instid0(VALU_DEP_1) | instskip(NEXT) | instid1(VALU_DEP_2)
	v_add_co_u32 v40, vcc_lo, s22, v38
	v_add_co_ci_u32_e32 v41, vcc_lo, s23, v39, vcc_lo
	global_load_b64 v[38:39], v[40:41], off glc
	s_waitcnt vmcnt(0)
	v_and_b32_e32 v67, 0xff, v39
	s_delay_alu instid0(VALU_DEP_1)
	v_cmpx_eq_u16_e32 0, v67
	s_cbranch_execz .LBB1097_370
; %bb.373:                              ;   in Loop: Header=BB1097_371 Depth=1
	s_mov_b32 s15, 1
	s_mov_b32 s14, 0
	.p2align	6
.LBB1097_374:                           ;   Parent Loop BB1097_371 Depth=1
                                        ; =>  This Loop Header: Depth=2
                                        ;       Child Loop BB1097_375 Depth 3
	s_max_u32 s20, s15, 1
.LBB1097_375:                           ;   Parent Loop BB1097_371 Depth=1
                                        ;     Parent Loop BB1097_374 Depth=2
                                        ; =>    This Inner Loop Header: Depth=3
	s_delay_alu instid0(SALU_CYCLE_1)
	s_add_i32 s20, s20, -1
	s_sleep 1
	s_cmp_eq_u32 s20, 0
	s_cbranch_scc0 .LBB1097_375
; %bb.376:                              ;   in Loop: Header=BB1097_374 Depth=2
	global_load_b64 v[38:39], v[40:41], off glc
	s_cmp_lt_u32 s15, 32
	s_cselect_b32 s20, -1, 0
	s_delay_alu instid0(SALU_CYCLE_1) | instskip(SKIP_3) | instid1(VALU_DEP_1)
	s_cmp_lg_u32 s20, 0
	s_addc_u32 s15, s15, 0
	s_waitcnt vmcnt(0)
	v_and_b32_e32 v67, 0xff, v39
	v_cmp_ne_u16_e32 vcc_lo, 0, v67
	s_or_b32 s14, vcc_lo, s14
	s_delay_alu instid0(SALU_CYCLE_1)
	s_and_not1_b32 exec_lo, exec_lo, s14
	s_cbranch_execnz .LBB1097_374
; %bb.377:                              ;   in Loop: Header=BB1097_371 Depth=1
	s_or_b32 exec_lo, exec_lo, s14
	s_branch .LBB1097_370
.LBB1097_378:                           ;   in Loop: Header=BB1097_371 Depth=1
                                        ; implicit-def: $vgpr38
                                        ; implicit-def: $vgpr39
	s_cbranch_execz .LBB1097_371
; %bb.379:
	s_and_saveexec_b32 s13, s7
	s_cbranch_execz .LBB1097_381
; %bb.380:
	s_add_i32 s14, s30, 32
	s_mov_b32 s15, 0
	v_dual_mov_b32 v37, 2 :: v_dual_add_nc_u32 v36, v62, v35
	s_lshl_b64 s[14:15], s[14:15], 3
	v_mov_b32_e32 v38, 0
	v_add_nc_u32_e64 v39, 0x8400, 0
	s_add_u32 s14, s22, s14
	s_addc_u32 s15, s23, s15
	global_store_b64 v38, v[36:37], s[14:15]
	ds_store_2addr_b32 v39, v35, v62 offset1:2
.LBB1097_381:
	s_or_b32 exec_lo, exec_lo, s13
	s_delay_alu instid0(SALU_CYCLE_1)
	s_and_b32 exec_lo, exec_lo, s2
	s_cbranch_execz .LBB1097_383
; %bb.382:
	v_mov_b32_e32 v35, 0
	ds_store_b32 v35, v62 offset:60
.LBB1097_383:
	s_or_b32 exec_lo, exec_lo, s12
	v_mov_b32_e32 v35, 0
	s_waitcnt lgkmcnt(0)
	s_waitcnt_vscnt null, 0x0
	s_barrier
	buffer_gl0_inv
	v_cndmask_b32_e64 v36, v45, v43, s7
	ds_load_b32 v35, v35 offset:60
	s_waitcnt lgkmcnt(0)
	s_barrier
	buffer_gl0_inv
	v_cndmask_b32_e64 v36, v36, 0, s2
	s_delay_alu instid0(VALU_DEP_1) | instskip(SKIP_1) | instid1(VALU_DEP_2)
	v_add_nc_u32_e32 v53, v35, v36
	v_add_nc_u32_e64 v35, 0x8400, 0
	v_add_nc_u32_e32 v51, v53, v42
	ds_load_2addr_b32 v[35:36], v35 offset1:2
	v_add_nc_u32_e32 v49, v51, v44
	s_delay_alu instid0(VALU_DEP_1) | instskip(NEXT) | instid1(VALU_DEP_1)
	v_add_nc_u32_e32 v47, v49, v46
	v_add_nc_u32_e32 v45, v47, v48
	s_delay_alu instid0(VALU_DEP_1) | instskip(SKIP_2) | instid1(VALU_DEP_2)
	v_add_nc_u32_e32 v43, v45, v50
	s_waitcnt lgkmcnt(0)
	v_readfirstlane_b32 s12, v36
	v_add_nc_u32_e32 v41, v43, v52
	s_delay_alu instid0(VALU_DEP_1)
	v_add_nc_u32_e32 v39, v41, v54
	v_lshrrev_b64 v[37:38], 24, v[33:34]
	s_branch .LBB1097_394
.LBB1097_384:
                                        ; implicit-def: $vgpr39
                                        ; implicit-def: $vgpr41
                                        ; implicit-def: $vgpr43
                                        ; implicit-def: $vgpr45
                                        ; implicit-def: $vgpr47
                                        ; implicit-def: $vgpr49
                                        ; implicit-def: $vgpr51
                                        ; implicit-def: $vgpr53
                                        ; implicit-def: $sgpr12
                                        ; implicit-def: $vgpr35
	v_lshrrev_b64 v[37:38], 24, v[33:34]
	s_and_b32 vcc_lo, exec_lo, s7
	s_cbranch_vccz .LBB1097_394
; %bb.385:
	v_mov_b32_dpp v35, v59 row_shr:1 row_mask:0xf bank_mask:0xf
	s_delay_alu instid0(VALU_DEP_1) | instskip(NEXT) | instid1(VALU_DEP_1)
	v_cndmask_b32_e64 v35, v35, 0, s3
	v_add_nc_u32_e32 v35, v35, v59
	s_delay_alu instid0(VALU_DEP_1) | instskip(NEXT) | instid1(VALU_DEP_1)
	v_mov_b32_dpp v36, v35 row_shr:2 row_mask:0xf bank_mask:0xf
	v_cndmask_b32_e64 v36, 0, v36, s0
	s_delay_alu instid0(VALU_DEP_1) | instskip(NEXT) | instid1(VALU_DEP_1)
	v_add_nc_u32_e32 v35, v35, v36
	v_mov_b32_dpp v36, v35 row_shr:4 row_mask:0xf bank_mask:0xf
	s_delay_alu instid0(VALU_DEP_1) | instskip(NEXT) | instid1(VALU_DEP_1)
	v_cndmask_b32_e64 v36, 0, v36, s4
	v_add_nc_u32_e32 v35, v35, v36
	s_delay_alu instid0(VALU_DEP_1) | instskip(NEXT) | instid1(VALU_DEP_1)
	v_mov_b32_dpp v36, v35 row_shr:8 row_mask:0xf bank_mask:0xf
	v_cndmask_b32_e64 v36, 0, v36, s1
	s_delay_alu instid0(VALU_DEP_1) | instskip(SKIP_3) | instid1(VALU_DEP_1)
	v_add_nc_u32_e32 v35, v35, v36
	ds_swizzle_b32 v36, v35 offset:swizzle(BROADCAST,32,15)
	s_waitcnt lgkmcnt(0)
	v_cndmask_b32_e64 v36, v36, 0, s6
	v_add_nc_u32_e32 v35, v35, v36
	s_and_saveexec_b32 s6, s5
	s_cbranch_execz .LBB1097_387
; %bb.386:
	v_lshlrev_b32_e32 v36, 2, v58
	ds_store_b32 v36, v35
.LBB1097_387:
	s_or_b32 exec_lo, exec_lo, s6
	s_delay_alu instid0(SALU_CYCLE_1)
	s_mov_b32 s5, exec_lo
	s_waitcnt lgkmcnt(0)
	s_barrier
	buffer_gl0_inv
	v_cmpx_gt_u32_e32 16, v0
	s_cbranch_execz .LBB1097_389
; %bb.388:
	v_lshlrev_b32_e32 v36, 2, v0
	ds_load_b32 v38, v36
	s_waitcnt lgkmcnt(0)
	v_mov_b32_dpp v39, v38 row_shr:1 row_mask:0xf bank_mask:0xf
	s_delay_alu instid0(VALU_DEP_1) | instskip(NEXT) | instid1(VALU_DEP_1)
	v_cndmask_b32_e64 v39, v39, 0, s3
	v_add_nc_u32_e32 v38, v39, v38
	s_delay_alu instid0(VALU_DEP_1) | instskip(NEXT) | instid1(VALU_DEP_1)
	v_mov_b32_dpp v39, v38 row_shr:2 row_mask:0xf bank_mask:0xf
	v_cndmask_b32_e64 v39, 0, v39, s0
	s_delay_alu instid0(VALU_DEP_1) | instskip(NEXT) | instid1(VALU_DEP_1)
	v_add_nc_u32_e32 v38, v38, v39
	v_mov_b32_dpp v39, v38 row_shr:4 row_mask:0xf bank_mask:0xf
	s_delay_alu instid0(VALU_DEP_1) | instskip(NEXT) | instid1(VALU_DEP_1)
	v_cndmask_b32_e64 v39, 0, v39, s4
	v_add_nc_u32_e32 v38, v38, v39
	s_delay_alu instid0(VALU_DEP_1) | instskip(NEXT) | instid1(VALU_DEP_1)
	v_mov_b32_dpp v39, v38 row_shr:8 row_mask:0xf bank_mask:0xf
	v_cndmask_b32_e64 v39, 0, v39, s1
	s_delay_alu instid0(VALU_DEP_1)
	v_add_nc_u32_e32 v38, v38, v39
	ds_store_b32 v36, v38
.LBB1097_389:
	s_or_b32 exec_lo, exec_lo, s5
	v_mov_b32_e32 v36, 0
	v_mov_b32_e32 v38, 0
	s_mov_b32 s0, exec_lo
	s_waitcnt lgkmcnt(0)
	s_barrier
	buffer_gl0_inv
	v_cmpx_lt_u32_e32 31, v0
	s_cbranch_execz .LBB1097_391
; %bb.390:
	v_lshl_add_u32 v38, v58, 2, -4
	ds_load_b32 v38, v38
.LBB1097_391:
	s_or_b32 exec_lo, exec_lo, s0
	v_add_nc_u32_e32 v39, -1, v57
	s_waitcnt lgkmcnt(0)
	v_add_nc_u32_e32 v35, v38, v35
	s_mov_b32 s12, 0
	s_delay_alu instid0(VALU_DEP_2) | instskip(SKIP_1) | instid1(VALU_DEP_1)
	v_cmp_gt_i32_e32 vcc_lo, 0, v39
	v_cndmask_b32_e32 v39, v39, v57, vcc_lo
	v_lshlrev_b32_e32 v39, 2, v39
	ds_bpermute_b32 v39, v39, v35
	ds_load_b32 v35, v36 offset:60
	s_and_saveexec_b32 s0, s2
	s_cbranch_execz .LBB1097_393
; %bb.392:
	v_mov_b32_e32 v40, 0
	v_mov_b32_e32 v36, 2
	s_waitcnt lgkmcnt(0)
	global_store_b64 v40, v[35:36], s[22:23] offset:256
.LBB1097_393:
	s_or_b32 exec_lo, exec_lo, s0
	v_cmp_eq_u32_e32 vcc_lo, 0, v57
	s_waitcnt lgkmcnt(0)
	s_waitcnt_vscnt null, 0x0
	s_barrier
	buffer_gl0_inv
	v_cndmask_b32_e32 v36, v39, v38, vcc_lo
	s_delay_alu instid0(VALU_DEP_1) | instskip(NEXT) | instid1(VALU_DEP_1)
	v_cndmask_b32_e64 v53, v36, 0, s2
	v_add_nc_u32_e32 v51, v53, v42
	s_delay_alu instid0(VALU_DEP_1) | instskip(NEXT) | instid1(VALU_DEP_1)
	v_add_nc_u32_e32 v49, v51, v44
	v_add_nc_u32_e32 v47, v49, v46
	s_delay_alu instid0(VALU_DEP_1) | instskip(NEXT) | instid1(VALU_DEP_1)
	v_add_nc_u32_e32 v45, v47, v48
	;; [unrolled: 3-line block ×3, first 2 shown]
	v_add_nc_u32_e32 v39, v41, v54
.LBB1097_394:
	v_add_nc_u32_e32 v59, s12, v35
	v_cmp_gt_u32_e64 s0, 0x201, v35
	v_lshrrev_b32_e32 v58, 8, v33
	v_lshrrev_b32_e32 v57, 16, v33
	;; [unrolled: 1-line block ×4, first 2 shown]
	v_cmp_lt_u32_e64 s1, v53, v59
	s_and_b32 vcc_lo, exec_lo, s0
	s_mov_b32 s3, -1
	s_cbranch_vccz .LBB1097_420
; %bb.395:
	s_delay_alu instid0(VALU_DEP_1) | instskip(NEXT) | instid1(SALU_CYCLE_1)
	s_or_b32 s3, s29, s1
	s_and_saveexec_b32 s1, s3
	s_cbranch_execz .LBB1097_398
; %bb.396:
	v_and_b32_e32 v40, 1, v33
	s_delay_alu instid0(VALU_DEP_1)
	v_cmp_eq_u32_e32 vcc_lo, 1, v40
	s_and_b32 exec_lo, exec_lo, vcc_lo
	s_cbranch_execz .LBB1097_398
; %bb.397:
	v_mov_b32_e32 v54, 0
	s_lshl_b64 s[4:5], s[10:11], 3
	s_delay_alu instid0(SALU_CYCLE_1) | instskip(SKIP_1) | instid1(VALU_DEP_1)
	s_add_u32 s3, s16, s4
	s_addc_u32 s4, s17, s5
	v_lshlrev_b64 v[60:61], 3, v[53:54]
	s_delay_alu instid0(VALU_DEP_1) | instskip(NEXT) | instid1(VALU_DEP_2)
	v_add_co_u32 v60, vcc_lo, s3, v60
	v_add_co_ci_u32_e32 v61, vcc_lo, s4, v61, vcc_lo
	global_store_b64 v[60:61], v[29:30], off
.LBB1097_398:
	s_or_b32 exec_lo, exec_lo, s1
	v_cmp_lt_u32_e32 vcc_lo, v51, v59
	s_or_b32 s3, s29, vcc_lo
	s_delay_alu instid0(SALU_CYCLE_1)
	s_and_saveexec_b32 s1, s3
	s_cbranch_execz .LBB1097_401
; %bb.399:
	v_and_b32_e32 v40, 1, v58
	s_delay_alu instid0(VALU_DEP_1)
	v_cmp_eq_u32_e32 vcc_lo, 1, v40
	s_and_b32 exec_lo, exec_lo, vcc_lo
	s_cbranch_execz .LBB1097_401
; %bb.400:
	v_mov_b32_e32 v52, 0
	s_lshl_b64 s[4:5], s[10:11], 3
	s_delay_alu instid0(SALU_CYCLE_1) | instskip(SKIP_1) | instid1(VALU_DEP_1)
	s_add_u32 s3, s16, s4
	s_addc_u32 s4, s17, s5
	v_lshlrev_b64 v[60:61], 3, v[51:52]
	s_delay_alu instid0(VALU_DEP_1) | instskip(NEXT) | instid1(VALU_DEP_2)
	v_add_co_u32 v60, vcc_lo, s3, v60
	v_add_co_ci_u32_e32 v61, vcc_lo, s4, v61, vcc_lo
	global_store_b64 v[60:61], v[31:32], off
.LBB1097_401:
	s_or_b32 exec_lo, exec_lo, s1
	v_cmp_lt_u32_e32 vcc_lo, v49, v59
	s_or_b32 s3, s29, vcc_lo
	s_delay_alu instid0(SALU_CYCLE_1)
	;; [unrolled: 24-line block ×7, first 2 shown]
	s_and_saveexec_b32 s1, s3
	s_cbranch_execz .LBB1097_419
; %bb.417:
	v_and_b32_e32 v40, 1, v56
	s_delay_alu instid0(VALU_DEP_1)
	v_cmp_eq_u32_e32 vcc_lo, 1, v40
	s_and_b32 exec_lo, exec_lo, vcc_lo
	s_cbranch_execz .LBB1097_419
; %bb.418:
	v_mov_b32_e32 v40, 0
	s_lshl_b64 s[4:5], s[10:11], 3
	s_delay_alu instid0(SALU_CYCLE_1) | instskip(SKIP_1) | instid1(VALU_DEP_1)
	s_add_u32 s3, s16, s4
	s_addc_u32 s4, s17, s5
	v_lshlrev_b64 v[60:61], 3, v[39:40]
	s_delay_alu instid0(VALU_DEP_1) | instskip(NEXT) | instid1(VALU_DEP_2)
	v_add_co_u32 v60, vcc_lo, s3, v60
	v_add_co_ci_u32_e32 v61, vcc_lo, s4, v61, vcc_lo
	global_store_b64 v[60:61], v[19:20], off
.LBB1097_419:
	s_or_b32 exec_lo, exec_lo, s1
	s_mov_b32 s3, 0
.LBB1097_420:
	v_and_b32_e32 v33, 1, v33
	s_and_b32 vcc_lo, exec_lo, s3
	s_delay_alu instid0(VALU_DEP_1)
	v_cmp_eq_u32_e64 s1, 1, v33
	s_cbranch_vccz .LBB1097_441
; %bb.421:
	s_delay_alu instid0(VALU_DEP_1)
	s_and_saveexec_b32 s3, s1
	s_cbranch_execz .LBB1097_423
; %bb.422:
	v_subrev_nc_u32_e32 v40, s12, v53
	s_delay_alu instid0(VALU_DEP_1)
	v_lshlrev_b32_e32 v40, 3, v40
	ds_store_b64 v40, v[29:30]
.LBB1097_423:
	s_or_b32 exec_lo, exec_lo, s3
	v_and_b32_e32 v29, 1, v58
	s_mov_b32 s1, exec_lo
	s_delay_alu instid0(VALU_DEP_1)
	v_cmpx_eq_u32_e32 1, v29
	s_cbranch_execz .LBB1097_425
; %bb.424:
	v_subrev_nc_u32_e32 v29, s12, v51
	s_delay_alu instid0(VALU_DEP_1)
	v_lshlrev_b32_e32 v29, 3, v29
	ds_store_b64 v29, v[31:32]
.LBB1097_425:
	s_or_b32 exec_lo, exec_lo, s1
	v_and_b32_e32 v29, 1, v57
	s_mov_b32 s1, exec_lo
	s_delay_alu instid0(VALU_DEP_1)
	v_cmpx_eq_u32_e32 1, v29
	;; [unrolled: 12-line block ×7, first 2 shown]
	s_cbranch_execz .LBB1097_437
; %bb.436:
	v_subrev_nc_u32_e32 v17, s12, v39
	s_delay_alu instid0(VALU_DEP_1)
	v_lshlrev_b32_e32 v17, 3, v17
	ds_store_b64 v17, v[19:20]
.LBB1097_437:
	s_or_b32 exec_lo, exec_lo, s1
	s_delay_alu instid0(SALU_CYCLE_1)
	s_mov_b32 s3, exec_lo
	s_waitcnt lgkmcnt(0)
	s_waitcnt_vscnt null, 0x0
	s_barrier
	buffer_gl0_inv
	v_cmpx_lt_u32_e64 v0, v35
	s_cbranch_execz .LBB1097_440
; %bb.438:
	s_mov_b32 s13, 0
	s_lshl_b64 s[4:5], s[10:11], 3
	s_lshl_b64 s[6:7], s[12:13], 3
	v_dual_mov_b32 v19, v55 :: v_dual_mov_b32 v20, v0
	s_add_u32 s1, s4, s6
	s_addc_u32 s4, s5, s7
	s_add_u32 s1, s16, s1
	s_addc_u32 s4, s17, s4
	v_add_co_u32 v17, s1, s1, v55
	s_delay_alu instid0(VALU_DEP_1)
	v_add_co_ci_u32_e64 v18, null, s4, 0, s1
	.p2align	6
.LBB1097_439:                           ; =>This Inner Loop Header: Depth=1
	ds_load_b64 v[21:22], v19
	v_add_nc_u32_e32 v20, 0x200, v20
	v_add_nc_u32_e32 v19, 0x1000, v19
	s_delay_alu instid0(VALU_DEP_2) | instskip(SKIP_4) | instid1(VALU_DEP_1)
	v_cmp_ge_u32_e32 vcc_lo, v20, v35
	s_or_b32 s13, vcc_lo, s13
	s_waitcnt lgkmcnt(0)
	global_store_b64 v[17:18], v[21:22], off
	v_add_co_u32 v17, s1, 0x1000, v17
	v_add_co_ci_u32_e64 v18, s1, 0, v18, s1
	s_and_not1_b32 exec_lo, exec_lo, s13
	s_cbranch_execnz .LBB1097_439
.LBB1097_440:
	s_or_b32 exec_lo, exec_lo, s3
.LBB1097_441:
	s_delay_alu instid0(SALU_CYCLE_1)
	s_and_b32 vcc_lo, exec_lo, s0
	s_mov_b32 s0, -1
	s_waitcnt_vscnt null, 0x0
	s_barrier
	buffer_gl0_inv
	s_cbranch_vccz .LBB1097_469
; %bb.442:
	v_cmp_lt_u32_e32 vcc_lo, v53, v59
	s_or_b32 s1, s29, vcc_lo
	s_delay_alu instid0(SALU_CYCLE_1)
	s_and_saveexec_b32 s0, s1
	s_cbranch_execz .LBB1097_445
; %bb.443:
	v_cmp_eq_u32_e32 vcc_lo, 1, v33
	s_and_b32 exec_lo, exec_lo, vcc_lo
	s_cbranch_execz .LBB1097_445
; %bb.444:
	v_mov_b32_e32 v54, 0
	s_lshl_b64 s[4:5], s[10:11], 3
	s_delay_alu instid0(SALU_CYCLE_1) | instskip(SKIP_1) | instid1(VALU_DEP_1)
	s_add_u32 s1, s18, s4
	s_addc_u32 s3, s19, s5
	v_lshlrev_b64 v[17:18], 3, v[53:54]
	s_delay_alu instid0(VALU_DEP_1) | instskip(NEXT) | instid1(VALU_DEP_2)
	v_add_co_u32 v17, vcc_lo, s1, v17
	v_add_co_ci_u32_e32 v18, vcc_lo, s3, v18, vcc_lo
	global_store_b64 v[17:18], v[13:14], off
.LBB1097_445:
	s_or_b32 exec_lo, exec_lo, s0
	v_cmp_lt_u32_e32 vcc_lo, v51, v59
	s_or_b32 s1, s29, vcc_lo
	s_delay_alu instid0(SALU_CYCLE_1)
	s_and_saveexec_b32 s0, s1
	s_cbranch_execz .LBB1097_448
; %bb.446:
	v_and_b32_e32 v17, 1, v58
	s_delay_alu instid0(VALU_DEP_1)
	v_cmp_eq_u32_e32 vcc_lo, 1, v17
	s_and_b32 exec_lo, exec_lo, vcc_lo
	s_cbranch_execz .LBB1097_448
; %bb.447:
	v_mov_b32_e32 v52, 0
	s_lshl_b64 s[4:5], s[10:11], 3
	s_delay_alu instid0(SALU_CYCLE_1) | instskip(SKIP_1) | instid1(VALU_DEP_1)
	s_add_u32 s1, s18, s4
	s_addc_u32 s3, s19, s5
	v_lshlrev_b64 v[17:18], 3, v[51:52]
	s_delay_alu instid0(VALU_DEP_1) | instskip(NEXT) | instid1(VALU_DEP_2)
	v_add_co_u32 v17, vcc_lo, s1, v17
	v_add_co_ci_u32_e32 v18, vcc_lo, s3, v18, vcc_lo
	global_store_b64 v[17:18], v[15:16], off
.LBB1097_448:
	s_or_b32 exec_lo, exec_lo, s0
	v_cmp_lt_u32_e32 vcc_lo, v49, v59
	s_or_b32 s1, s29, vcc_lo
	s_delay_alu instid0(SALU_CYCLE_1)
	s_and_saveexec_b32 s0, s1
	s_cbranch_execz .LBB1097_451
; %bb.449:
	v_and_b32_e32 v17, 1, v57
	s_delay_alu instid0(VALU_DEP_1)
	v_cmp_eq_u32_e32 vcc_lo, 1, v17
	s_and_b32 exec_lo, exec_lo, vcc_lo
	s_cbranch_execz .LBB1097_451
; %bb.450:
	v_mov_b32_e32 v50, 0
	s_lshl_b64 s[4:5], s[10:11], 3
	s_delay_alu instid0(SALU_CYCLE_1) | instskip(SKIP_1) | instid1(VALU_DEP_1)
	s_add_u32 s1, s18, s4
	s_addc_u32 s3, s19, s5
	v_lshlrev_b64 v[17:18], 3, v[49:50]
	s_delay_alu instid0(VALU_DEP_1) | instskip(NEXT) | instid1(VALU_DEP_2)
	v_add_co_u32 v17, vcc_lo, s1, v17
	v_add_co_ci_u32_e32 v18, vcc_lo, s3, v18, vcc_lo
	global_store_b64 v[17:18], v[9:10], off
.LBB1097_451:
	;; [unrolled: 24-line block ×7, first 2 shown]
	s_or_b32 exec_lo, exec_lo, s0
.LBB1097_467:
	s_and_b32 s0, s2, s28
	s_delay_alu instid0(SALU_CYCLE_1)
	s_and_saveexec_b32 s1, s0
	s_cbranch_execz .LBB1097_490
.LBB1097_468:
	v_add_co_u32 v0, s0, s10, v35
	s_delay_alu instid0(VALU_DEP_1) | instskip(SKIP_1) | instid1(VALU_DEP_3)
	v_add_co_ci_u32_e64 v1, null, s11, 0, s0
	v_mov_b32_e32 v2, 0
	v_add_co_u32 v0, vcc_lo, v0, s12
	s_delay_alu instid0(VALU_DEP_3)
	v_add_co_ci_u32_e32 v1, vcc_lo, 0, v1, vcc_lo
	global_store_b64 v2, v[0:1], s[8:9]
	s_nop 0
	s_sendmsg sendmsg(MSG_DEALLOC_VGPRS)
	s_endpgm
.LBB1097_469:
	s_and_b32 vcc_lo, exec_lo, s0
	s_cbranch_vccz .LBB1097_467
; %bb.470:
	s_mov_b32 s0, exec_lo
	v_cmpx_eq_u32_e32 1, v33
	s_cbranch_execz .LBB1097_472
; %bb.471:
	v_subrev_nc_u32_e32 v17, s12, v53
	s_delay_alu instid0(VALU_DEP_1)
	v_lshlrev_b32_e32 v17, 3, v17
	ds_store_b64 v17, v[13:14]
.LBB1097_472:
	s_or_b32 exec_lo, exec_lo, s0
	v_and_b32_e32 v13, 1, v58
	s_mov_b32 s0, exec_lo
	s_delay_alu instid0(VALU_DEP_1)
	v_cmpx_eq_u32_e32 1, v13
	s_cbranch_execz .LBB1097_474
; %bb.473:
	v_subrev_nc_u32_e32 v13, s12, v51
	s_delay_alu instid0(VALU_DEP_1)
	v_lshlrev_b32_e32 v13, 3, v13
	ds_store_b64 v13, v[15:16]
.LBB1097_474:
	s_or_b32 exec_lo, exec_lo, s0
	v_and_b32_e32 v13, 1, v57
	s_mov_b32 s0, exec_lo
	s_delay_alu instid0(VALU_DEP_1)
	;; [unrolled: 12-line block ×7, first 2 shown]
	v_cmpx_eq_u32_e32 1, v1
	s_cbranch_execz .LBB1097_486
; %bb.485:
	v_subrev_nc_u32_e32 v1, s12, v39
	s_delay_alu instid0(VALU_DEP_1)
	v_lshlrev_b32_e32 v1, 3, v1
	ds_store_b64 v1, v[3:4]
.LBB1097_486:
	s_or_b32 exec_lo, exec_lo, s0
	s_delay_alu instid0(SALU_CYCLE_1)
	s_mov_b32 s1, exec_lo
	s_waitcnt lgkmcnt(0)
	s_waitcnt_vscnt null, 0x0
	s_barrier
	buffer_gl0_inv
	v_cmpx_lt_u32_e64 v0, v35
	s_cbranch_execz .LBB1097_489
; %bb.487:
	s_mov_b32 s13, 0
	s_lshl_b64 s[4:5], s[10:11], 3
	s_lshl_b64 s[6:7], s[12:13], 3
	s_delay_alu instid0(SALU_CYCLE_1) | instskip(SKIP_4) | instid1(VALU_DEP_1)
	s_add_u32 s0, s4, s6
	s_addc_u32 s3, s5, s7
	s_add_u32 s0, s18, s0
	s_addc_u32 s3, s19, s3
	v_add_co_u32 v1, s0, s0, v55
	v_add_co_ci_u32_e64 v2, null, s3, 0, s0
	.p2align	6
.LBB1097_488:                           ; =>This Inner Loop Header: Depth=1
	ds_load_b64 v[3:4], v55
	v_add_nc_u32_e32 v0, 0x200, v0
	v_add_nc_u32_e32 v55, 0x1000, v55
	s_delay_alu instid0(VALU_DEP_2) | instskip(SKIP_4) | instid1(VALU_DEP_1)
	v_cmp_ge_u32_e32 vcc_lo, v0, v35
	s_or_b32 s13, vcc_lo, s13
	s_waitcnt lgkmcnt(0)
	global_store_b64 v[1:2], v[3:4], off
	v_add_co_u32 v1, s0, 0x1000, v1
	v_add_co_ci_u32_e64 v2, s0, 0, v2, s0
	s_and_not1_b32 exec_lo, exec_lo, s13
	s_cbranch_execnz .LBB1097_488
.LBB1097_489:
	s_or_b32 exec_lo, exec_lo, s1
	s_and_b32 s0, s2, s28
	s_delay_alu instid0(SALU_CYCLE_1)
	s_and_saveexec_b32 s1, s0
	s_cbranch_execnz .LBB1097_468
.LBB1097_490:
	s_nop 0
	s_sendmsg sendmsg(MSG_DEALLOC_VGPRS)
	s_endpgm
	.section	.rodata,"a",@progbits
	.p2align	6, 0x0
	.amdhsa_kernel _ZN7rocprim17ROCPRIM_400000_NS6detail17trampoline_kernelINS0_14default_configENS1_25partition_config_selectorILNS1_17partition_subalgoE9EllbEEZZNS1_14partition_implILS5_9ELb0ES3_jPlS8_PNS0_10empty_typeENS0_5tupleIJS8_S9_EEENSB_IJS8_SA_EEENS0_18inequality_wrapperIZN2at6native12_GLOBAL__N_124unique_dim_cuda_templateIbEESt5tupleIJNSF_6TensorESK_SK_EERKSK_lbbbEUlllE0_EEPmJS9_EEE10hipError_tPvRmT3_T4_T5_T6_T7_T9_mT8_P12ihipStream_tbDpT10_ENKUlT_T0_E_clISt17integral_constantIbLb1EES1A_EEDaS15_S16_EUlS15_E_NS1_11comp_targetILNS1_3genE9ELNS1_11target_archE1100ELNS1_3gpuE3ELNS1_3repE0EEENS1_30default_config_static_selectorELNS0_4arch9wavefront6targetE0EEEvT1_
		.amdhsa_group_segment_fixed_size 33804
		.amdhsa_private_segment_fixed_size 0
		.amdhsa_kernarg_size 136
		.amdhsa_user_sgpr_count 15
		.amdhsa_user_sgpr_dispatch_ptr 0
		.amdhsa_user_sgpr_queue_ptr 0
		.amdhsa_user_sgpr_kernarg_segment_ptr 1
		.amdhsa_user_sgpr_dispatch_id 0
		.amdhsa_user_sgpr_private_segment_size 0
		.amdhsa_wavefront_size32 1
		.amdhsa_uses_dynamic_stack 0
		.amdhsa_enable_private_segment 0
		.amdhsa_system_sgpr_workgroup_id_x 1
		.amdhsa_system_sgpr_workgroup_id_y 0
		.amdhsa_system_sgpr_workgroup_id_z 0
		.amdhsa_system_sgpr_workgroup_info 0
		.amdhsa_system_vgpr_workitem_id 0
		.amdhsa_next_free_vgpr 68
		.amdhsa_next_free_sgpr 40
		.amdhsa_reserve_vcc 1
		.amdhsa_float_round_mode_32 0
		.amdhsa_float_round_mode_16_64 0
		.amdhsa_float_denorm_mode_32 3
		.amdhsa_float_denorm_mode_16_64 3
		.amdhsa_dx10_clamp 1
		.amdhsa_ieee_mode 1
		.amdhsa_fp16_overflow 0
		.amdhsa_workgroup_processor_mode 1
		.amdhsa_memory_ordered 1
		.amdhsa_forward_progress 0
		.amdhsa_shared_vgpr_count 0
		.amdhsa_exception_fp_ieee_invalid_op 0
		.amdhsa_exception_fp_denorm_src 0
		.amdhsa_exception_fp_ieee_div_zero 0
		.amdhsa_exception_fp_ieee_overflow 0
		.amdhsa_exception_fp_ieee_underflow 0
		.amdhsa_exception_fp_ieee_inexact 0
		.amdhsa_exception_int_div_zero 0
	.end_amdhsa_kernel
	.section	.text._ZN7rocprim17ROCPRIM_400000_NS6detail17trampoline_kernelINS0_14default_configENS1_25partition_config_selectorILNS1_17partition_subalgoE9EllbEEZZNS1_14partition_implILS5_9ELb0ES3_jPlS8_PNS0_10empty_typeENS0_5tupleIJS8_S9_EEENSB_IJS8_SA_EEENS0_18inequality_wrapperIZN2at6native12_GLOBAL__N_124unique_dim_cuda_templateIbEESt5tupleIJNSF_6TensorESK_SK_EERKSK_lbbbEUlllE0_EEPmJS9_EEE10hipError_tPvRmT3_T4_T5_T6_T7_T9_mT8_P12ihipStream_tbDpT10_ENKUlT_T0_E_clISt17integral_constantIbLb1EES1A_EEDaS15_S16_EUlS15_E_NS1_11comp_targetILNS1_3genE9ELNS1_11target_archE1100ELNS1_3gpuE3ELNS1_3repE0EEENS1_30default_config_static_selectorELNS0_4arch9wavefront6targetE0EEEvT1_,"axG",@progbits,_ZN7rocprim17ROCPRIM_400000_NS6detail17trampoline_kernelINS0_14default_configENS1_25partition_config_selectorILNS1_17partition_subalgoE9EllbEEZZNS1_14partition_implILS5_9ELb0ES3_jPlS8_PNS0_10empty_typeENS0_5tupleIJS8_S9_EEENSB_IJS8_SA_EEENS0_18inequality_wrapperIZN2at6native12_GLOBAL__N_124unique_dim_cuda_templateIbEESt5tupleIJNSF_6TensorESK_SK_EERKSK_lbbbEUlllE0_EEPmJS9_EEE10hipError_tPvRmT3_T4_T5_T6_T7_T9_mT8_P12ihipStream_tbDpT10_ENKUlT_T0_E_clISt17integral_constantIbLb1EES1A_EEDaS15_S16_EUlS15_E_NS1_11comp_targetILNS1_3genE9ELNS1_11target_archE1100ELNS1_3gpuE3ELNS1_3repE0EEENS1_30default_config_static_selectorELNS0_4arch9wavefront6targetE0EEEvT1_,comdat
.Lfunc_end1097:
	.size	_ZN7rocprim17ROCPRIM_400000_NS6detail17trampoline_kernelINS0_14default_configENS1_25partition_config_selectorILNS1_17partition_subalgoE9EllbEEZZNS1_14partition_implILS5_9ELb0ES3_jPlS8_PNS0_10empty_typeENS0_5tupleIJS8_S9_EEENSB_IJS8_SA_EEENS0_18inequality_wrapperIZN2at6native12_GLOBAL__N_124unique_dim_cuda_templateIbEESt5tupleIJNSF_6TensorESK_SK_EERKSK_lbbbEUlllE0_EEPmJS9_EEE10hipError_tPvRmT3_T4_T5_T6_T7_T9_mT8_P12ihipStream_tbDpT10_ENKUlT_T0_E_clISt17integral_constantIbLb1EES1A_EEDaS15_S16_EUlS15_E_NS1_11comp_targetILNS1_3genE9ELNS1_11target_archE1100ELNS1_3gpuE3ELNS1_3repE0EEENS1_30default_config_static_selectorELNS0_4arch9wavefront6targetE0EEEvT1_, .Lfunc_end1097-_ZN7rocprim17ROCPRIM_400000_NS6detail17trampoline_kernelINS0_14default_configENS1_25partition_config_selectorILNS1_17partition_subalgoE9EllbEEZZNS1_14partition_implILS5_9ELb0ES3_jPlS8_PNS0_10empty_typeENS0_5tupleIJS8_S9_EEENSB_IJS8_SA_EEENS0_18inequality_wrapperIZN2at6native12_GLOBAL__N_124unique_dim_cuda_templateIbEESt5tupleIJNSF_6TensorESK_SK_EERKSK_lbbbEUlllE0_EEPmJS9_EEE10hipError_tPvRmT3_T4_T5_T6_T7_T9_mT8_P12ihipStream_tbDpT10_ENKUlT_T0_E_clISt17integral_constantIbLb1EES1A_EEDaS15_S16_EUlS15_E_NS1_11comp_targetILNS1_3genE9ELNS1_11target_archE1100ELNS1_3gpuE3ELNS1_3repE0EEENS1_30default_config_static_selectorELNS0_4arch9wavefront6targetE0EEEvT1_
                                        ; -- End function
	.section	.AMDGPU.csdata,"",@progbits
; Kernel info:
; codeLenInByte = 20064
; NumSgprs: 42
; NumVgprs: 68
; ScratchSize: 0
; MemoryBound: 0
; FloatMode: 240
; IeeeMode: 1
; LDSByteSize: 33804 bytes/workgroup (compile time only)
; SGPRBlocks: 5
; VGPRBlocks: 8
; NumSGPRsForWavesPerEU: 42
; NumVGPRsForWavesPerEU: 68
; Occupancy: 12
; WaveLimiterHint : 1
; COMPUTE_PGM_RSRC2:SCRATCH_EN: 0
; COMPUTE_PGM_RSRC2:USER_SGPR: 15
; COMPUTE_PGM_RSRC2:TRAP_HANDLER: 0
; COMPUTE_PGM_RSRC2:TGID_X_EN: 1
; COMPUTE_PGM_RSRC2:TGID_Y_EN: 0
; COMPUTE_PGM_RSRC2:TGID_Z_EN: 0
; COMPUTE_PGM_RSRC2:TIDIG_COMP_CNT: 0
	.section	.text._ZN7rocprim17ROCPRIM_400000_NS6detail17trampoline_kernelINS0_14default_configENS1_25partition_config_selectorILNS1_17partition_subalgoE9EllbEEZZNS1_14partition_implILS5_9ELb0ES3_jPlS8_PNS0_10empty_typeENS0_5tupleIJS8_S9_EEENSB_IJS8_SA_EEENS0_18inequality_wrapperIZN2at6native12_GLOBAL__N_124unique_dim_cuda_templateIbEESt5tupleIJNSF_6TensorESK_SK_EERKSK_lbbbEUlllE0_EEPmJS9_EEE10hipError_tPvRmT3_T4_T5_T6_T7_T9_mT8_P12ihipStream_tbDpT10_ENKUlT_T0_E_clISt17integral_constantIbLb1EES1A_EEDaS15_S16_EUlS15_E_NS1_11comp_targetILNS1_3genE8ELNS1_11target_archE1030ELNS1_3gpuE2ELNS1_3repE0EEENS1_30default_config_static_selectorELNS0_4arch9wavefront6targetE0EEEvT1_,"axG",@progbits,_ZN7rocprim17ROCPRIM_400000_NS6detail17trampoline_kernelINS0_14default_configENS1_25partition_config_selectorILNS1_17partition_subalgoE9EllbEEZZNS1_14partition_implILS5_9ELb0ES3_jPlS8_PNS0_10empty_typeENS0_5tupleIJS8_S9_EEENSB_IJS8_SA_EEENS0_18inequality_wrapperIZN2at6native12_GLOBAL__N_124unique_dim_cuda_templateIbEESt5tupleIJNSF_6TensorESK_SK_EERKSK_lbbbEUlllE0_EEPmJS9_EEE10hipError_tPvRmT3_T4_T5_T6_T7_T9_mT8_P12ihipStream_tbDpT10_ENKUlT_T0_E_clISt17integral_constantIbLb1EES1A_EEDaS15_S16_EUlS15_E_NS1_11comp_targetILNS1_3genE8ELNS1_11target_archE1030ELNS1_3gpuE2ELNS1_3repE0EEENS1_30default_config_static_selectorELNS0_4arch9wavefront6targetE0EEEvT1_,comdat
	.globl	_ZN7rocprim17ROCPRIM_400000_NS6detail17trampoline_kernelINS0_14default_configENS1_25partition_config_selectorILNS1_17partition_subalgoE9EllbEEZZNS1_14partition_implILS5_9ELb0ES3_jPlS8_PNS0_10empty_typeENS0_5tupleIJS8_S9_EEENSB_IJS8_SA_EEENS0_18inequality_wrapperIZN2at6native12_GLOBAL__N_124unique_dim_cuda_templateIbEESt5tupleIJNSF_6TensorESK_SK_EERKSK_lbbbEUlllE0_EEPmJS9_EEE10hipError_tPvRmT3_T4_T5_T6_T7_T9_mT8_P12ihipStream_tbDpT10_ENKUlT_T0_E_clISt17integral_constantIbLb1EES1A_EEDaS15_S16_EUlS15_E_NS1_11comp_targetILNS1_3genE8ELNS1_11target_archE1030ELNS1_3gpuE2ELNS1_3repE0EEENS1_30default_config_static_selectorELNS0_4arch9wavefront6targetE0EEEvT1_ ; -- Begin function _ZN7rocprim17ROCPRIM_400000_NS6detail17trampoline_kernelINS0_14default_configENS1_25partition_config_selectorILNS1_17partition_subalgoE9EllbEEZZNS1_14partition_implILS5_9ELb0ES3_jPlS8_PNS0_10empty_typeENS0_5tupleIJS8_S9_EEENSB_IJS8_SA_EEENS0_18inequality_wrapperIZN2at6native12_GLOBAL__N_124unique_dim_cuda_templateIbEESt5tupleIJNSF_6TensorESK_SK_EERKSK_lbbbEUlllE0_EEPmJS9_EEE10hipError_tPvRmT3_T4_T5_T6_T7_T9_mT8_P12ihipStream_tbDpT10_ENKUlT_T0_E_clISt17integral_constantIbLb1EES1A_EEDaS15_S16_EUlS15_E_NS1_11comp_targetILNS1_3genE8ELNS1_11target_archE1030ELNS1_3gpuE2ELNS1_3repE0EEENS1_30default_config_static_selectorELNS0_4arch9wavefront6targetE0EEEvT1_
	.p2align	8
	.type	_ZN7rocprim17ROCPRIM_400000_NS6detail17trampoline_kernelINS0_14default_configENS1_25partition_config_selectorILNS1_17partition_subalgoE9EllbEEZZNS1_14partition_implILS5_9ELb0ES3_jPlS8_PNS0_10empty_typeENS0_5tupleIJS8_S9_EEENSB_IJS8_SA_EEENS0_18inequality_wrapperIZN2at6native12_GLOBAL__N_124unique_dim_cuda_templateIbEESt5tupleIJNSF_6TensorESK_SK_EERKSK_lbbbEUlllE0_EEPmJS9_EEE10hipError_tPvRmT3_T4_T5_T6_T7_T9_mT8_P12ihipStream_tbDpT10_ENKUlT_T0_E_clISt17integral_constantIbLb1EES1A_EEDaS15_S16_EUlS15_E_NS1_11comp_targetILNS1_3genE8ELNS1_11target_archE1030ELNS1_3gpuE2ELNS1_3repE0EEENS1_30default_config_static_selectorELNS0_4arch9wavefront6targetE0EEEvT1_,@function
_ZN7rocprim17ROCPRIM_400000_NS6detail17trampoline_kernelINS0_14default_configENS1_25partition_config_selectorILNS1_17partition_subalgoE9EllbEEZZNS1_14partition_implILS5_9ELb0ES3_jPlS8_PNS0_10empty_typeENS0_5tupleIJS8_S9_EEENSB_IJS8_SA_EEENS0_18inequality_wrapperIZN2at6native12_GLOBAL__N_124unique_dim_cuda_templateIbEESt5tupleIJNSF_6TensorESK_SK_EERKSK_lbbbEUlllE0_EEPmJS9_EEE10hipError_tPvRmT3_T4_T5_T6_T7_T9_mT8_P12ihipStream_tbDpT10_ENKUlT_T0_E_clISt17integral_constantIbLb1EES1A_EEDaS15_S16_EUlS15_E_NS1_11comp_targetILNS1_3genE8ELNS1_11target_archE1030ELNS1_3gpuE2ELNS1_3repE0EEENS1_30default_config_static_selectorELNS0_4arch9wavefront6targetE0EEEvT1_: ; @_ZN7rocprim17ROCPRIM_400000_NS6detail17trampoline_kernelINS0_14default_configENS1_25partition_config_selectorILNS1_17partition_subalgoE9EllbEEZZNS1_14partition_implILS5_9ELb0ES3_jPlS8_PNS0_10empty_typeENS0_5tupleIJS8_S9_EEENSB_IJS8_SA_EEENS0_18inequality_wrapperIZN2at6native12_GLOBAL__N_124unique_dim_cuda_templateIbEESt5tupleIJNSF_6TensorESK_SK_EERKSK_lbbbEUlllE0_EEPmJS9_EEE10hipError_tPvRmT3_T4_T5_T6_T7_T9_mT8_P12ihipStream_tbDpT10_ENKUlT_T0_E_clISt17integral_constantIbLb1EES1A_EEDaS15_S16_EUlS15_E_NS1_11comp_targetILNS1_3genE8ELNS1_11target_archE1030ELNS1_3gpuE2ELNS1_3repE0EEENS1_30default_config_static_selectorELNS0_4arch9wavefront6targetE0EEEvT1_
; %bb.0:
	.section	.rodata,"a",@progbits
	.p2align	6, 0x0
	.amdhsa_kernel _ZN7rocprim17ROCPRIM_400000_NS6detail17trampoline_kernelINS0_14default_configENS1_25partition_config_selectorILNS1_17partition_subalgoE9EllbEEZZNS1_14partition_implILS5_9ELb0ES3_jPlS8_PNS0_10empty_typeENS0_5tupleIJS8_S9_EEENSB_IJS8_SA_EEENS0_18inequality_wrapperIZN2at6native12_GLOBAL__N_124unique_dim_cuda_templateIbEESt5tupleIJNSF_6TensorESK_SK_EERKSK_lbbbEUlllE0_EEPmJS9_EEE10hipError_tPvRmT3_T4_T5_T6_T7_T9_mT8_P12ihipStream_tbDpT10_ENKUlT_T0_E_clISt17integral_constantIbLb1EES1A_EEDaS15_S16_EUlS15_E_NS1_11comp_targetILNS1_3genE8ELNS1_11target_archE1030ELNS1_3gpuE2ELNS1_3repE0EEENS1_30default_config_static_selectorELNS0_4arch9wavefront6targetE0EEEvT1_
		.amdhsa_group_segment_fixed_size 0
		.amdhsa_private_segment_fixed_size 0
		.amdhsa_kernarg_size 136
		.amdhsa_user_sgpr_count 15
		.amdhsa_user_sgpr_dispatch_ptr 0
		.amdhsa_user_sgpr_queue_ptr 0
		.amdhsa_user_sgpr_kernarg_segment_ptr 1
		.amdhsa_user_sgpr_dispatch_id 0
		.amdhsa_user_sgpr_private_segment_size 0
		.amdhsa_wavefront_size32 1
		.amdhsa_uses_dynamic_stack 0
		.amdhsa_enable_private_segment 0
		.amdhsa_system_sgpr_workgroup_id_x 1
		.amdhsa_system_sgpr_workgroup_id_y 0
		.amdhsa_system_sgpr_workgroup_id_z 0
		.amdhsa_system_sgpr_workgroup_info 0
		.amdhsa_system_vgpr_workitem_id 0
		.amdhsa_next_free_vgpr 1
		.amdhsa_next_free_sgpr 1
		.amdhsa_reserve_vcc 0
		.amdhsa_float_round_mode_32 0
		.amdhsa_float_round_mode_16_64 0
		.amdhsa_float_denorm_mode_32 3
		.amdhsa_float_denorm_mode_16_64 3
		.amdhsa_dx10_clamp 1
		.amdhsa_ieee_mode 1
		.amdhsa_fp16_overflow 0
		.amdhsa_workgroup_processor_mode 1
		.amdhsa_memory_ordered 1
		.amdhsa_forward_progress 0
		.amdhsa_shared_vgpr_count 0
		.amdhsa_exception_fp_ieee_invalid_op 0
		.amdhsa_exception_fp_denorm_src 0
		.amdhsa_exception_fp_ieee_div_zero 0
		.amdhsa_exception_fp_ieee_overflow 0
		.amdhsa_exception_fp_ieee_underflow 0
		.amdhsa_exception_fp_ieee_inexact 0
		.amdhsa_exception_int_div_zero 0
	.end_amdhsa_kernel
	.section	.text._ZN7rocprim17ROCPRIM_400000_NS6detail17trampoline_kernelINS0_14default_configENS1_25partition_config_selectorILNS1_17partition_subalgoE9EllbEEZZNS1_14partition_implILS5_9ELb0ES3_jPlS8_PNS0_10empty_typeENS0_5tupleIJS8_S9_EEENSB_IJS8_SA_EEENS0_18inequality_wrapperIZN2at6native12_GLOBAL__N_124unique_dim_cuda_templateIbEESt5tupleIJNSF_6TensorESK_SK_EERKSK_lbbbEUlllE0_EEPmJS9_EEE10hipError_tPvRmT3_T4_T5_T6_T7_T9_mT8_P12ihipStream_tbDpT10_ENKUlT_T0_E_clISt17integral_constantIbLb1EES1A_EEDaS15_S16_EUlS15_E_NS1_11comp_targetILNS1_3genE8ELNS1_11target_archE1030ELNS1_3gpuE2ELNS1_3repE0EEENS1_30default_config_static_selectorELNS0_4arch9wavefront6targetE0EEEvT1_,"axG",@progbits,_ZN7rocprim17ROCPRIM_400000_NS6detail17trampoline_kernelINS0_14default_configENS1_25partition_config_selectorILNS1_17partition_subalgoE9EllbEEZZNS1_14partition_implILS5_9ELb0ES3_jPlS8_PNS0_10empty_typeENS0_5tupleIJS8_S9_EEENSB_IJS8_SA_EEENS0_18inequality_wrapperIZN2at6native12_GLOBAL__N_124unique_dim_cuda_templateIbEESt5tupleIJNSF_6TensorESK_SK_EERKSK_lbbbEUlllE0_EEPmJS9_EEE10hipError_tPvRmT3_T4_T5_T6_T7_T9_mT8_P12ihipStream_tbDpT10_ENKUlT_T0_E_clISt17integral_constantIbLb1EES1A_EEDaS15_S16_EUlS15_E_NS1_11comp_targetILNS1_3genE8ELNS1_11target_archE1030ELNS1_3gpuE2ELNS1_3repE0EEENS1_30default_config_static_selectorELNS0_4arch9wavefront6targetE0EEEvT1_,comdat
.Lfunc_end1098:
	.size	_ZN7rocprim17ROCPRIM_400000_NS6detail17trampoline_kernelINS0_14default_configENS1_25partition_config_selectorILNS1_17partition_subalgoE9EllbEEZZNS1_14partition_implILS5_9ELb0ES3_jPlS8_PNS0_10empty_typeENS0_5tupleIJS8_S9_EEENSB_IJS8_SA_EEENS0_18inequality_wrapperIZN2at6native12_GLOBAL__N_124unique_dim_cuda_templateIbEESt5tupleIJNSF_6TensorESK_SK_EERKSK_lbbbEUlllE0_EEPmJS9_EEE10hipError_tPvRmT3_T4_T5_T6_T7_T9_mT8_P12ihipStream_tbDpT10_ENKUlT_T0_E_clISt17integral_constantIbLb1EES1A_EEDaS15_S16_EUlS15_E_NS1_11comp_targetILNS1_3genE8ELNS1_11target_archE1030ELNS1_3gpuE2ELNS1_3repE0EEENS1_30default_config_static_selectorELNS0_4arch9wavefront6targetE0EEEvT1_, .Lfunc_end1098-_ZN7rocprim17ROCPRIM_400000_NS6detail17trampoline_kernelINS0_14default_configENS1_25partition_config_selectorILNS1_17partition_subalgoE9EllbEEZZNS1_14partition_implILS5_9ELb0ES3_jPlS8_PNS0_10empty_typeENS0_5tupleIJS8_S9_EEENSB_IJS8_SA_EEENS0_18inequality_wrapperIZN2at6native12_GLOBAL__N_124unique_dim_cuda_templateIbEESt5tupleIJNSF_6TensorESK_SK_EERKSK_lbbbEUlllE0_EEPmJS9_EEE10hipError_tPvRmT3_T4_T5_T6_T7_T9_mT8_P12ihipStream_tbDpT10_ENKUlT_T0_E_clISt17integral_constantIbLb1EES1A_EEDaS15_S16_EUlS15_E_NS1_11comp_targetILNS1_3genE8ELNS1_11target_archE1030ELNS1_3gpuE2ELNS1_3repE0EEENS1_30default_config_static_selectorELNS0_4arch9wavefront6targetE0EEEvT1_
                                        ; -- End function
	.section	.AMDGPU.csdata,"",@progbits
; Kernel info:
; codeLenInByte = 0
; NumSgprs: 0
; NumVgprs: 0
; ScratchSize: 0
; MemoryBound: 0
; FloatMode: 240
; IeeeMode: 1
; LDSByteSize: 0 bytes/workgroup (compile time only)
; SGPRBlocks: 0
; VGPRBlocks: 0
; NumSGPRsForWavesPerEU: 1
; NumVGPRsForWavesPerEU: 1
; Occupancy: 16
; WaveLimiterHint : 0
; COMPUTE_PGM_RSRC2:SCRATCH_EN: 0
; COMPUTE_PGM_RSRC2:USER_SGPR: 15
; COMPUTE_PGM_RSRC2:TRAP_HANDLER: 0
; COMPUTE_PGM_RSRC2:TGID_X_EN: 1
; COMPUTE_PGM_RSRC2:TGID_Y_EN: 0
; COMPUTE_PGM_RSRC2:TGID_Z_EN: 0
; COMPUTE_PGM_RSRC2:TIDIG_COMP_CNT: 0
	.section	.text._ZN7rocprim17ROCPRIM_400000_NS6detail17trampoline_kernelINS0_14default_configENS1_25partition_config_selectorILNS1_17partition_subalgoE9EllbEEZZNS1_14partition_implILS5_9ELb0ES3_jPlS8_PNS0_10empty_typeENS0_5tupleIJS8_S9_EEENSB_IJS8_SA_EEENS0_18inequality_wrapperIZN2at6native12_GLOBAL__N_124unique_dim_cuda_templateIbEESt5tupleIJNSF_6TensorESK_SK_EERKSK_lbbbEUlllE0_EEPmJS9_EEE10hipError_tPvRmT3_T4_T5_T6_T7_T9_mT8_P12ihipStream_tbDpT10_ENKUlT_T0_E_clISt17integral_constantIbLb1EES19_IbLb0EEEEDaS15_S16_EUlS15_E_NS1_11comp_targetILNS1_3genE0ELNS1_11target_archE4294967295ELNS1_3gpuE0ELNS1_3repE0EEENS1_30default_config_static_selectorELNS0_4arch9wavefront6targetE0EEEvT1_,"axG",@progbits,_ZN7rocprim17ROCPRIM_400000_NS6detail17trampoline_kernelINS0_14default_configENS1_25partition_config_selectorILNS1_17partition_subalgoE9EllbEEZZNS1_14partition_implILS5_9ELb0ES3_jPlS8_PNS0_10empty_typeENS0_5tupleIJS8_S9_EEENSB_IJS8_SA_EEENS0_18inequality_wrapperIZN2at6native12_GLOBAL__N_124unique_dim_cuda_templateIbEESt5tupleIJNSF_6TensorESK_SK_EERKSK_lbbbEUlllE0_EEPmJS9_EEE10hipError_tPvRmT3_T4_T5_T6_T7_T9_mT8_P12ihipStream_tbDpT10_ENKUlT_T0_E_clISt17integral_constantIbLb1EES19_IbLb0EEEEDaS15_S16_EUlS15_E_NS1_11comp_targetILNS1_3genE0ELNS1_11target_archE4294967295ELNS1_3gpuE0ELNS1_3repE0EEENS1_30default_config_static_selectorELNS0_4arch9wavefront6targetE0EEEvT1_,comdat
	.globl	_ZN7rocprim17ROCPRIM_400000_NS6detail17trampoline_kernelINS0_14default_configENS1_25partition_config_selectorILNS1_17partition_subalgoE9EllbEEZZNS1_14partition_implILS5_9ELb0ES3_jPlS8_PNS0_10empty_typeENS0_5tupleIJS8_S9_EEENSB_IJS8_SA_EEENS0_18inequality_wrapperIZN2at6native12_GLOBAL__N_124unique_dim_cuda_templateIbEESt5tupleIJNSF_6TensorESK_SK_EERKSK_lbbbEUlllE0_EEPmJS9_EEE10hipError_tPvRmT3_T4_T5_T6_T7_T9_mT8_P12ihipStream_tbDpT10_ENKUlT_T0_E_clISt17integral_constantIbLb1EES19_IbLb0EEEEDaS15_S16_EUlS15_E_NS1_11comp_targetILNS1_3genE0ELNS1_11target_archE4294967295ELNS1_3gpuE0ELNS1_3repE0EEENS1_30default_config_static_selectorELNS0_4arch9wavefront6targetE0EEEvT1_ ; -- Begin function _ZN7rocprim17ROCPRIM_400000_NS6detail17trampoline_kernelINS0_14default_configENS1_25partition_config_selectorILNS1_17partition_subalgoE9EllbEEZZNS1_14partition_implILS5_9ELb0ES3_jPlS8_PNS0_10empty_typeENS0_5tupleIJS8_S9_EEENSB_IJS8_SA_EEENS0_18inequality_wrapperIZN2at6native12_GLOBAL__N_124unique_dim_cuda_templateIbEESt5tupleIJNSF_6TensorESK_SK_EERKSK_lbbbEUlllE0_EEPmJS9_EEE10hipError_tPvRmT3_T4_T5_T6_T7_T9_mT8_P12ihipStream_tbDpT10_ENKUlT_T0_E_clISt17integral_constantIbLb1EES19_IbLb0EEEEDaS15_S16_EUlS15_E_NS1_11comp_targetILNS1_3genE0ELNS1_11target_archE4294967295ELNS1_3gpuE0ELNS1_3repE0EEENS1_30default_config_static_selectorELNS0_4arch9wavefront6targetE0EEEvT1_
	.p2align	8
	.type	_ZN7rocprim17ROCPRIM_400000_NS6detail17trampoline_kernelINS0_14default_configENS1_25partition_config_selectorILNS1_17partition_subalgoE9EllbEEZZNS1_14partition_implILS5_9ELb0ES3_jPlS8_PNS0_10empty_typeENS0_5tupleIJS8_S9_EEENSB_IJS8_SA_EEENS0_18inequality_wrapperIZN2at6native12_GLOBAL__N_124unique_dim_cuda_templateIbEESt5tupleIJNSF_6TensorESK_SK_EERKSK_lbbbEUlllE0_EEPmJS9_EEE10hipError_tPvRmT3_T4_T5_T6_T7_T9_mT8_P12ihipStream_tbDpT10_ENKUlT_T0_E_clISt17integral_constantIbLb1EES19_IbLb0EEEEDaS15_S16_EUlS15_E_NS1_11comp_targetILNS1_3genE0ELNS1_11target_archE4294967295ELNS1_3gpuE0ELNS1_3repE0EEENS1_30default_config_static_selectorELNS0_4arch9wavefront6targetE0EEEvT1_,@function
_ZN7rocprim17ROCPRIM_400000_NS6detail17trampoline_kernelINS0_14default_configENS1_25partition_config_selectorILNS1_17partition_subalgoE9EllbEEZZNS1_14partition_implILS5_9ELb0ES3_jPlS8_PNS0_10empty_typeENS0_5tupleIJS8_S9_EEENSB_IJS8_SA_EEENS0_18inequality_wrapperIZN2at6native12_GLOBAL__N_124unique_dim_cuda_templateIbEESt5tupleIJNSF_6TensorESK_SK_EERKSK_lbbbEUlllE0_EEPmJS9_EEE10hipError_tPvRmT3_T4_T5_T6_T7_T9_mT8_P12ihipStream_tbDpT10_ENKUlT_T0_E_clISt17integral_constantIbLb1EES19_IbLb0EEEEDaS15_S16_EUlS15_E_NS1_11comp_targetILNS1_3genE0ELNS1_11target_archE4294967295ELNS1_3gpuE0ELNS1_3repE0EEENS1_30default_config_static_selectorELNS0_4arch9wavefront6targetE0EEEvT1_: ; @_ZN7rocprim17ROCPRIM_400000_NS6detail17trampoline_kernelINS0_14default_configENS1_25partition_config_selectorILNS1_17partition_subalgoE9EllbEEZZNS1_14partition_implILS5_9ELb0ES3_jPlS8_PNS0_10empty_typeENS0_5tupleIJS8_S9_EEENSB_IJS8_SA_EEENS0_18inequality_wrapperIZN2at6native12_GLOBAL__N_124unique_dim_cuda_templateIbEESt5tupleIJNSF_6TensorESK_SK_EERKSK_lbbbEUlllE0_EEPmJS9_EEE10hipError_tPvRmT3_T4_T5_T6_T7_T9_mT8_P12ihipStream_tbDpT10_ENKUlT_T0_E_clISt17integral_constantIbLb1EES19_IbLb0EEEEDaS15_S16_EUlS15_E_NS1_11comp_targetILNS1_3genE0ELNS1_11target_archE4294967295ELNS1_3gpuE0ELNS1_3repE0EEENS1_30default_config_static_selectorELNS0_4arch9wavefront6targetE0EEEvT1_
; %bb.0:
	.section	.rodata,"a",@progbits
	.p2align	6, 0x0
	.amdhsa_kernel _ZN7rocprim17ROCPRIM_400000_NS6detail17trampoline_kernelINS0_14default_configENS1_25partition_config_selectorILNS1_17partition_subalgoE9EllbEEZZNS1_14partition_implILS5_9ELb0ES3_jPlS8_PNS0_10empty_typeENS0_5tupleIJS8_S9_EEENSB_IJS8_SA_EEENS0_18inequality_wrapperIZN2at6native12_GLOBAL__N_124unique_dim_cuda_templateIbEESt5tupleIJNSF_6TensorESK_SK_EERKSK_lbbbEUlllE0_EEPmJS9_EEE10hipError_tPvRmT3_T4_T5_T6_T7_T9_mT8_P12ihipStream_tbDpT10_ENKUlT_T0_E_clISt17integral_constantIbLb1EES19_IbLb0EEEEDaS15_S16_EUlS15_E_NS1_11comp_targetILNS1_3genE0ELNS1_11target_archE4294967295ELNS1_3gpuE0ELNS1_3repE0EEENS1_30default_config_static_selectorELNS0_4arch9wavefront6targetE0EEEvT1_
		.amdhsa_group_segment_fixed_size 0
		.amdhsa_private_segment_fixed_size 0
		.amdhsa_kernarg_size 120
		.amdhsa_user_sgpr_count 15
		.amdhsa_user_sgpr_dispatch_ptr 0
		.amdhsa_user_sgpr_queue_ptr 0
		.amdhsa_user_sgpr_kernarg_segment_ptr 1
		.amdhsa_user_sgpr_dispatch_id 0
		.amdhsa_user_sgpr_private_segment_size 0
		.amdhsa_wavefront_size32 1
		.amdhsa_uses_dynamic_stack 0
		.amdhsa_enable_private_segment 0
		.amdhsa_system_sgpr_workgroup_id_x 1
		.amdhsa_system_sgpr_workgroup_id_y 0
		.amdhsa_system_sgpr_workgroup_id_z 0
		.amdhsa_system_sgpr_workgroup_info 0
		.amdhsa_system_vgpr_workitem_id 0
		.amdhsa_next_free_vgpr 1
		.amdhsa_next_free_sgpr 1
		.amdhsa_reserve_vcc 0
		.amdhsa_float_round_mode_32 0
		.amdhsa_float_round_mode_16_64 0
		.amdhsa_float_denorm_mode_32 3
		.amdhsa_float_denorm_mode_16_64 3
		.amdhsa_dx10_clamp 1
		.amdhsa_ieee_mode 1
		.amdhsa_fp16_overflow 0
		.amdhsa_workgroup_processor_mode 1
		.amdhsa_memory_ordered 1
		.amdhsa_forward_progress 0
		.amdhsa_shared_vgpr_count 0
		.amdhsa_exception_fp_ieee_invalid_op 0
		.amdhsa_exception_fp_denorm_src 0
		.amdhsa_exception_fp_ieee_div_zero 0
		.amdhsa_exception_fp_ieee_overflow 0
		.amdhsa_exception_fp_ieee_underflow 0
		.amdhsa_exception_fp_ieee_inexact 0
		.amdhsa_exception_int_div_zero 0
	.end_amdhsa_kernel
	.section	.text._ZN7rocprim17ROCPRIM_400000_NS6detail17trampoline_kernelINS0_14default_configENS1_25partition_config_selectorILNS1_17partition_subalgoE9EllbEEZZNS1_14partition_implILS5_9ELb0ES3_jPlS8_PNS0_10empty_typeENS0_5tupleIJS8_S9_EEENSB_IJS8_SA_EEENS0_18inequality_wrapperIZN2at6native12_GLOBAL__N_124unique_dim_cuda_templateIbEESt5tupleIJNSF_6TensorESK_SK_EERKSK_lbbbEUlllE0_EEPmJS9_EEE10hipError_tPvRmT3_T4_T5_T6_T7_T9_mT8_P12ihipStream_tbDpT10_ENKUlT_T0_E_clISt17integral_constantIbLb1EES19_IbLb0EEEEDaS15_S16_EUlS15_E_NS1_11comp_targetILNS1_3genE0ELNS1_11target_archE4294967295ELNS1_3gpuE0ELNS1_3repE0EEENS1_30default_config_static_selectorELNS0_4arch9wavefront6targetE0EEEvT1_,"axG",@progbits,_ZN7rocprim17ROCPRIM_400000_NS6detail17trampoline_kernelINS0_14default_configENS1_25partition_config_selectorILNS1_17partition_subalgoE9EllbEEZZNS1_14partition_implILS5_9ELb0ES3_jPlS8_PNS0_10empty_typeENS0_5tupleIJS8_S9_EEENSB_IJS8_SA_EEENS0_18inequality_wrapperIZN2at6native12_GLOBAL__N_124unique_dim_cuda_templateIbEESt5tupleIJNSF_6TensorESK_SK_EERKSK_lbbbEUlllE0_EEPmJS9_EEE10hipError_tPvRmT3_T4_T5_T6_T7_T9_mT8_P12ihipStream_tbDpT10_ENKUlT_T0_E_clISt17integral_constantIbLb1EES19_IbLb0EEEEDaS15_S16_EUlS15_E_NS1_11comp_targetILNS1_3genE0ELNS1_11target_archE4294967295ELNS1_3gpuE0ELNS1_3repE0EEENS1_30default_config_static_selectorELNS0_4arch9wavefront6targetE0EEEvT1_,comdat
.Lfunc_end1099:
	.size	_ZN7rocprim17ROCPRIM_400000_NS6detail17trampoline_kernelINS0_14default_configENS1_25partition_config_selectorILNS1_17partition_subalgoE9EllbEEZZNS1_14partition_implILS5_9ELb0ES3_jPlS8_PNS0_10empty_typeENS0_5tupleIJS8_S9_EEENSB_IJS8_SA_EEENS0_18inequality_wrapperIZN2at6native12_GLOBAL__N_124unique_dim_cuda_templateIbEESt5tupleIJNSF_6TensorESK_SK_EERKSK_lbbbEUlllE0_EEPmJS9_EEE10hipError_tPvRmT3_T4_T5_T6_T7_T9_mT8_P12ihipStream_tbDpT10_ENKUlT_T0_E_clISt17integral_constantIbLb1EES19_IbLb0EEEEDaS15_S16_EUlS15_E_NS1_11comp_targetILNS1_3genE0ELNS1_11target_archE4294967295ELNS1_3gpuE0ELNS1_3repE0EEENS1_30default_config_static_selectorELNS0_4arch9wavefront6targetE0EEEvT1_, .Lfunc_end1099-_ZN7rocprim17ROCPRIM_400000_NS6detail17trampoline_kernelINS0_14default_configENS1_25partition_config_selectorILNS1_17partition_subalgoE9EllbEEZZNS1_14partition_implILS5_9ELb0ES3_jPlS8_PNS0_10empty_typeENS0_5tupleIJS8_S9_EEENSB_IJS8_SA_EEENS0_18inequality_wrapperIZN2at6native12_GLOBAL__N_124unique_dim_cuda_templateIbEESt5tupleIJNSF_6TensorESK_SK_EERKSK_lbbbEUlllE0_EEPmJS9_EEE10hipError_tPvRmT3_T4_T5_T6_T7_T9_mT8_P12ihipStream_tbDpT10_ENKUlT_T0_E_clISt17integral_constantIbLb1EES19_IbLb0EEEEDaS15_S16_EUlS15_E_NS1_11comp_targetILNS1_3genE0ELNS1_11target_archE4294967295ELNS1_3gpuE0ELNS1_3repE0EEENS1_30default_config_static_selectorELNS0_4arch9wavefront6targetE0EEEvT1_
                                        ; -- End function
	.section	.AMDGPU.csdata,"",@progbits
; Kernel info:
; codeLenInByte = 0
; NumSgprs: 0
; NumVgprs: 0
; ScratchSize: 0
; MemoryBound: 0
; FloatMode: 240
; IeeeMode: 1
; LDSByteSize: 0 bytes/workgroup (compile time only)
; SGPRBlocks: 0
; VGPRBlocks: 0
; NumSGPRsForWavesPerEU: 1
; NumVGPRsForWavesPerEU: 1
; Occupancy: 16
; WaveLimiterHint : 0
; COMPUTE_PGM_RSRC2:SCRATCH_EN: 0
; COMPUTE_PGM_RSRC2:USER_SGPR: 15
; COMPUTE_PGM_RSRC2:TRAP_HANDLER: 0
; COMPUTE_PGM_RSRC2:TGID_X_EN: 1
; COMPUTE_PGM_RSRC2:TGID_Y_EN: 0
; COMPUTE_PGM_RSRC2:TGID_Z_EN: 0
; COMPUTE_PGM_RSRC2:TIDIG_COMP_CNT: 0
	.section	.text._ZN7rocprim17ROCPRIM_400000_NS6detail17trampoline_kernelINS0_14default_configENS1_25partition_config_selectorILNS1_17partition_subalgoE9EllbEEZZNS1_14partition_implILS5_9ELb0ES3_jPlS8_PNS0_10empty_typeENS0_5tupleIJS8_S9_EEENSB_IJS8_SA_EEENS0_18inequality_wrapperIZN2at6native12_GLOBAL__N_124unique_dim_cuda_templateIbEESt5tupleIJNSF_6TensorESK_SK_EERKSK_lbbbEUlllE0_EEPmJS9_EEE10hipError_tPvRmT3_T4_T5_T6_T7_T9_mT8_P12ihipStream_tbDpT10_ENKUlT_T0_E_clISt17integral_constantIbLb1EES19_IbLb0EEEEDaS15_S16_EUlS15_E_NS1_11comp_targetILNS1_3genE5ELNS1_11target_archE942ELNS1_3gpuE9ELNS1_3repE0EEENS1_30default_config_static_selectorELNS0_4arch9wavefront6targetE0EEEvT1_,"axG",@progbits,_ZN7rocprim17ROCPRIM_400000_NS6detail17trampoline_kernelINS0_14default_configENS1_25partition_config_selectorILNS1_17partition_subalgoE9EllbEEZZNS1_14partition_implILS5_9ELb0ES3_jPlS8_PNS0_10empty_typeENS0_5tupleIJS8_S9_EEENSB_IJS8_SA_EEENS0_18inequality_wrapperIZN2at6native12_GLOBAL__N_124unique_dim_cuda_templateIbEESt5tupleIJNSF_6TensorESK_SK_EERKSK_lbbbEUlllE0_EEPmJS9_EEE10hipError_tPvRmT3_T4_T5_T6_T7_T9_mT8_P12ihipStream_tbDpT10_ENKUlT_T0_E_clISt17integral_constantIbLb1EES19_IbLb0EEEEDaS15_S16_EUlS15_E_NS1_11comp_targetILNS1_3genE5ELNS1_11target_archE942ELNS1_3gpuE9ELNS1_3repE0EEENS1_30default_config_static_selectorELNS0_4arch9wavefront6targetE0EEEvT1_,comdat
	.globl	_ZN7rocprim17ROCPRIM_400000_NS6detail17trampoline_kernelINS0_14default_configENS1_25partition_config_selectorILNS1_17partition_subalgoE9EllbEEZZNS1_14partition_implILS5_9ELb0ES3_jPlS8_PNS0_10empty_typeENS0_5tupleIJS8_S9_EEENSB_IJS8_SA_EEENS0_18inequality_wrapperIZN2at6native12_GLOBAL__N_124unique_dim_cuda_templateIbEESt5tupleIJNSF_6TensorESK_SK_EERKSK_lbbbEUlllE0_EEPmJS9_EEE10hipError_tPvRmT3_T4_T5_T6_T7_T9_mT8_P12ihipStream_tbDpT10_ENKUlT_T0_E_clISt17integral_constantIbLb1EES19_IbLb0EEEEDaS15_S16_EUlS15_E_NS1_11comp_targetILNS1_3genE5ELNS1_11target_archE942ELNS1_3gpuE9ELNS1_3repE0EEENS1_30default_config_static_selectorELNS0_4arch9wavefront6targetE0EEEvT1_ ; -- Begin function _ZN7rocprim17ROCPRIM_400000_NS6detail17trampoline_kernelINS0_14default_configENS1_25partition_config_selectorILNS1_17partition_subalgoE9EllbEEZZNS1_14partition_implILS5_9ELb0ES3_jPlS8_PNS0_10empty_typeENS0_5tupleIJS8_S9_EEENSB_IJS8_SA_EEENS0_18inequality_wrapperIZN2at6native12_GLOBAL__N_124unique_dim_cuda_templateIbEESt5tupleIJNSF_6TensorESK_SK_EERKSK_lbbbEUlllE0_EEPmJS9_EEE10hipError_tPvRmT3_T4_T5_T6_T7_T9_mT8_P12ihipStream_tbDpT10_ENKUlT_T0_E_clISt17integral_constantIbLb1EES19_IbLb0EEEEDaS15_S16_EUlS15_E_NS1_11comp_targetILNS1_3genE5ELNS1_11target_archE942ELNS1_3gpuE9ELNS1_3repE0EEENS1_30default_config_static_selectorELNS0_4arch9wavefront6targetE0EEEvT1_
	.p2align	8
	.type	_ZN7rocprim17ROCPRIM_400000_NS6detail17trampoline_kernelINS0_14default_configENS1_25partition_config_selectorILNS1_17partition_subalgoE9EllbEEZZNS1_14partition_implILS5_9ELb0ES3_jPlS8_PNS0_10empty_typeENS0_5tupleIJS8_S9_EEENSB_IJS8_SA_EEENS0_18inequality_wrapperIZN2at6native12_GLOBAL__N_124unique_dim_cuda_templateIbEESt5tupleIJNSF_6TensorESK_SK_EERKSK_lbbbEUlllE0_EEPmJS9_EEE10hipError_tPvRmT3_T4_T5_T6_T7_T9_mT8_P12ihipStream_tbDpT10_ENKUlT_T0_E_clISt17integral_constantIbLb1EES19_IbLb0EEEEDaS15_S16_EUlS15_E_NS1_11comp_targetILNS1_3genE5ELNS1_11target_archE942ELNS1_3gpuE9ELNS1_3repE0EEENS1_30default_config_static_selectorELNS0_4arch9wavefront6targetE0EEEvT1_,@function
_ZN7rocprim17ROCPRIM_400000_NS6detail17trampoline_kernelINS0_14default_configENS1_25partition_config_selectorILNS1_17partition_subalgoE9EllbEEZZNS1_14partition_implILS5_9ELb0ES3_jPlS8_PNS0_10empty_typeENS0_5tupleIJS8_S9_EEENSB_IJS8_SA_EEENS0_18inequality_wrapperIZN2at6native12_GLOBAL__N_124unique_dim_cuda_templateIbEESt5tupleIJNSF_6TensorESK_SK_EERKSK_lbbbEUlllE0_EEPmJS9_EEE10hipError_tPvRmT3_T4_T5_T6_T7_T9_mT8_P12ihipStream_tbDpT10_ENKUlT_T0_E_clISt17integral_constantIbLb1EES19_IbLb0EEEEDaS15_S16_EUlS15_E_NS1_11comp_targetILNS1_3genE5ELNS1_11target_archE942ELNS1_3gpuE9ELNS1_3repE0EEENS1_30default_config_static_selectorELNS0_4arch9wavefront6targetE0EEEvT1_: ; @_ZN7rocprim17ROCPRIM_400000_NS6detail17trampoline_kernelINS0_14default_configENS1_25partition_config_selectorILNS1_17partition_subalgoE9EllbEEZZNS1_14partition_implILS5_9ELb0ES3_jPlS8_PNS0_10empty_typeENS0_5tupleIJS8_S9_EEENSB_IJS8_SA_EEENS0_18inequality_wrapperIZN2at6native12_GLOBAL__N_124unique_dim_cuda_templateIbEESt5tupleIJNSF_6TensorESK_SK_EERKSK_lbbbEUlllE0_EEPmJS9_EEE10hipError_tPvRmT3_T4_T5_T6_T7_T9_mT8_P12ihipStream_tbDpT10_ENKUlT_T0_E_clISt17integral_constantIbLb1EES19_IbLb0EEEEDaS15_S16_EUlS15_E_NS1_11comp_targetILNS1_3genE5ELNS1_11target_archE942ELNS1_3gpuE9ELNS1_3repE0EEENS1_30default_config_static_selectorELNS0_4arch9wavefront6targetE0EEEvT1_
; %bb.0:
	.section	.rodata,"a",@progbits
	.p2align	6, 0x0
	.amdhsa_kernel _ZN7rocprim17ROCPRIM_400000_NS6detail17trampoline_kernelINS0_14default_configENS1_25partition_config_selectorILNS1_17partition_subalgoE9EllbEEZZNS1_14partition_implILS5_9ELb0ES3_jPlS8_PNS0_10empty_typeENS0_5tupleIJS8_S9_EEENSB_IJS8_SA_EEENS0_18inequality_wrapperIZN2at6native12_GLOBAL__N_124unique_dim_cuda_templateIbEESt5tupleIJNSF_6TensorESK_SK_EERKSK_lbbbEUlllE0_EEPmJS9_EEE10hipError_tPvRmT3_T4_T5_T6_T7_T9_mT8_P12ihipStream_tbDpT10_ENKUlT_T0_E_clISt17integral_constantIbLb1EES19_IbLb0EEEEDaS15_S16_EUlS15_E_NS1_11comp_targetILNS1_3genE5ELNS1_11target_archE942ELNS1_3gpuE9ELNS1_3repE0EEENS1_30default_config_static_selectorELNS0_4arch9wavefront6targetE0EEEvT1_
		.amdhsa_group_segment_fixed_size 0
		.amdhsa_private_segment_fixed_size 0
		.amdhsa_kernarg_size 120
		.amdhsa_user_sgpr_count 15
		.amdhsa_user_sgpr_dispatch_ptr 0
		.amdhsa_user_sgpr_queue_ptr 0
		.amdhsa_user_sgpr_kernarg_segment_ptr 1
		.amdhsa_user_sgpr_dispatch_id 0
		.amdhsa_user_sgpr_private_segment_size 0
		.amdhsa_wavefront_size32 1
		.amdhsa_uses_dynamic_stack 0
		.amdhsa_enable_private_segment 0
		.amdhsa_system_sgpr_workgroup_id_x 1
		.amdhsa_system_sgpr_workgroup_id_y 0
		.amdhsa_system_sgpr_workgroup_id_z 0
		.amdhsa_system_sgpr_workgroup_info 0
		.amdhsa_system_vgpr_workitem_id 0
		.amdhsa_next_free_vgpr 1
		.amdhsa_next_free_sgpr 1
		.amdhsa_reserve_vcc 0
		.amdhsa_float_round_mode_32 0
		.amdhsa_float_round_mode_16_64 0
		.amdhsa_float_denorm_mode_32 3
		.amdhsa_float_denorm_mode_16_64 3
		.amdhsa_dx10_clamp 1
		.amdhsa_ieee_mode 1
		.amdhsa_fp16_overflow 0
		.amdhsa_workgroup_processor_mode 1
		.amdhsa_memory_ordered 1
		.amdhsa_forward_progress 0
		.amdhsa_shared_vgpr_count 0
		.amdhsa_exception_fp_ieee_invalid_op 0
		.amdhsa_exception_fp_denorm_src 0
		.amdhsa_exception_fp_ieee_div_zero 0
		.amdhsa_exception_fp_ieee_overflow 0
		.amdhsa_exception_fp_ieee_underflow 0
		.amdhsa_exception_fp_ieee_inexact 0
		.amdhsa_exception_int_div_zero 0
	.end_amdhsa_kernel
	.section	.text._ZN7rocprim17ROCPRIM_400000_NS6detail17trampoline_kernelINS0_14default_configENS1_25partition_config_selectorILNS1_17partition_subalgoE9EllbEEZZNS1_14partition_implILS5_9ELb0ES3_jPlS8_PNS0_10empty_typeENS0_5tupleIJS8_S9_EEENSB_IJS8_SA_EEENS0_18inequality_wrapperIZN2at6native12_GLOBAL__N_124unique_dim_cuda_templateIbEESt5tupleIJNSF_6TensorESK_SK_EERKSK_lbbbEUlllE0_EEPmJS9_EEE10hipError_tPvRmT3_T4_T5_T6_T7_T9_mT8_P12ihipStream_tbDpT10_ENKUlT_T0_E_clISt17integral_constantIbLb1EES19_IbLb0EEEEDaS15_S16_EUlS15_E_NS1_11comp_targetILNS1_3genE5ELNS1_11target_archE942ELNS1_3gpuE9ELNS1_3repE0EEENS1_30default_config_static_selectorELNS0_4arch9wavefront6targetE0EEEvT1_,"axG",@progbits,_ZN7rocprim17ROCPRIM_400000_NS6detail17trampoline_kernelINS0_14default_configENS1_25partition_config_selectorILNS1_17partition_subalgoE9EllbEEZZNS1_14partition_implILS5_9ELb0ES3_jPlS8_PNS0_10empty_typeENS0_5tupleIJS8_S9_EEENSB_IJS8_SA_EEENS0_18inequality_wrapperIZN2at6native12_GLOBAL__N_124unique_dim_cuda_templateIbEESt5tupleIJNSF_6TensorESK_SK_EERKSK_lbbbEUlllE0_EEPmJS9_EEE10hipError_tPvRmT3_T4_T5_T6_T7_T9_mT8_P12ihipStream_tbDpT10_ENKUlT_T0_E_clISt17integral_constantIbLb1EES19_IbLb0EEEEDaS15_S16_EUlS15_E_NS1_11comp_targetILNS1_3genE5ELNS1_11target_archE942ELNS1_3gpuE9ELNS1_3repE0EEENS1_30default_config_static_selectorELNS0_4arch9wavefront6targetE0EEEvT1_,comdat
.Lfunc_end1100:
	.size	_ZN7rocprim17ROCPRIM_400000_NS6detail17trampoline_kernelINS0_14default_configENS1_25partition_config_selectorILNS1_17partition_subalgoE9EllbEEZZNS1_14partition_implILS5_9ELb0ES3_jPlS8_PNS0_10empty_typeENS0_5tupleIJS8_S9_EEENSB_IJS8_SA_EEENS0_18inequality_wrapperIZN2at6native12_GLOBAL__N_124unique_dim_cuda_templateIbEESt5tupleIJNSF_6TensorESK_SK_EERKSK_lbbbEUlllE0_EEPmJS9_EEE10hipError_tPvRmT3_T4_T5_T6_T7_T9_mT8_P12ihipStream_tbDpT10_ENKUlT_T0_E_clISt17integral_constantIbLb1EES19_IbLb0EEEEDaS15_S16_EUlS15_E_NS1_11comp_targetILNS1_3genE5ELNS1_11target_archE942ELNS1_3gpuE9ELNS1_3repE0EEENS1_30default_config_static_selectorELNS0_4arch9wavefront6targetE0EEEvT1_, .Lfunc_end1100-_ZN7rocprim17ROCPRIM_400000_NS6detail17trampoline_kernelINS0_14default_configENS1_25partition_config_selectorILNS1_17partition_subalgoE9EllbEEZZNS1_14partition_implILS5_9ELb0ES3_jPlS8_PNS0_10empty_typeENS0_5tupleIJS8_S9_EEENSB_IJS8_SA_EEENS0_18inequality_wrapperIZN2at6native12_GLOBAL__N_124unique_dim_cuda_templateIbEESt5tupleIJNSF_6TensorESK_SK_EERKSK_lbbbEUlllE0_EEPmJS9_EEE10hipError_tPvRmT3_T4_T5_T6_T7_T9_mT8_P12ihipStream_tbDpT10_ENKUlT_T0_E_clISt17integral_constantIbLb1EES19_IbLb0EEEEDaS15_S16_EUlS15_E_NS1_11comp_targetILNS1_3genE5ELNS1_11target_archE942ELNS1_3gpuE9ELNS1_3repE0EEENS1_30default_config_static_selectorELNS0_4arch9wavefront6targetE0EEEvT1_
                                        ; -- End function
	.section	.AMDGPU.csdata,"",@progbits
; Kernel info:
; codeLenInByte = 0
; NumSgprs: 0
; NumVgprs: 0
; ScratchSize: 0
; MemoryBound: 0
; FloatMode: 240
; IeeeMode: 1
; LDSByteSize: 0 bytes/workgroup (compile time only)
; SGPRBlocks: 0
; VGPRBlocks: 0
; NumSGPRsForWavesPerEU: 1
; NumVGPRsForWavesPerEU: 1
; Occupancy: 16
; WaveLimiterHint : 0
; COMPUTE_PGM_RSRC2:SCRATCH_EN: 0
; COMPUTE_PGM_RSRC2:USER_SGPR: 15
; COMPUTE_PGM_RSRC2:TRAP_HANDLER: 0
; COMPUTE_PGM_RSRC2:TGID_X_EN: 1
; COMPUTE_PGM_RSRC2:TGID_Y_EN: 0
; COMPUTE_PGM_RSRC2:TGID_Z_EN: 0
; COMPUTE_PGM_RSRC2:TIDIG_COMP_CNT: 0
	.section	.text._ZN7rocprim17ROCPRIM_400000_NS6detail17trampoline_kernelINS0_14default_configENS1_25partition_config_selectorILNS1_17partition_subalgoE9EllbEEZZNS1_14partition_implILS5_9ELb0ES3_jPlS8_PNS0_10empty_typeENS0_5tupleIJS8_S9_EEENSB_IJS8_SA_EEENS0_18inequality_wrapperIZN2at6native12_GLOBAL__N_124unique_dim_cuda_templateIbEESt5tupleIJNSF_6TensorESK_SK_EERKSK_lbbbEUlllE0_EEPmJS9_EEE10hipError_tPvRmT3_T4_T5_T6_T7_T9_mT8_P12ihipStream_tbDpT10_ENKUlT_T0_E_clISt17integral_constantIbLb1EES19_IbLb0EEEEDaS15_S16_EUlS15_E_NS1_11comp_targetILNS1_3genE4ELNS1_11target_archE910ELNS1_3gpuE8ELNS1_3repE0EEENS1_30default_config_static_selectorELNS0_4arch9wavefront6targetE0EEEvT1_,"axG",@progbits,_ZN7rocprim17ROCPRIM_400000_NS6detail17trampoline_kernelINS0_14default_configENS1_25partition_config_selectorILNS1_17partition_subalgoE9EllbEEZZNS1_14partition_implILS5_9ELb0ES3_jPlS8_PNS0_10empty_typeENS0_5tupleIJS8_S9_EEENSB_IJS8_SA_EEENS0_18inequality_wrapperIZN2at6native12_GLOBAL__N_124unique_dim_cuda_templateIbEESt5tupleIJNSF_6TensorESK_SK_EERKSK_lbbbEUlllE0_EEPmJS9_EEE10hipError_tPvRmT3_T4_T5_T6_T7_T9_mT8_P12ihipStream_tbDpT10_ENKUlT_T0_E_clISt17integral_constantIbLb1EES19_IbLb0EEEEDaS15_S16_EUlS15_E_NS1_11comp_targetILNS1_3genE4ELNS1_11target_archE910ELNS1_3gpuE8ELNS1_3repE0EEENS1_30default_config_static_selectorELNS0_4arch9wavefront6targetE0EEEvT1_,comdat
	.globl	_ZN7rocprim17ROCPRIM_400000_NS6detail17trampoline_kernelINS0_14default_configENS1_25partition_config_selectorILNS1_17partition_subalgoE9EllbEEZZNS1_14partition_implILS5_9ELb0ES3_jPlS8_PNS0_10empty_typeENS0_5tupleIJS8_S9_EEENSB_IJS8_SA_EEENS0_18inequality_wrapperIZN2at6native12_GLOBAL__N_124unique_dim_cuda_templateIbEESt5tupleIJNSF_6TensorESK_SK_EERKSK_lbbbEUlllE0_EEPmJS9_EEE10hipError_tPvRmT3_T4_T5_T6_T7_T9_mT8_P12ihipStream_tbDpT10_ENKUlT_T0_E_clISt17integral_constantIbLb1EES19_IbLb0EEEEDaS15_S16_EUlS15_E_NS1_11comp_targetILNS1_3genE4ELNS1_11target_archE910ELNS1_3gpuE8ELNS1_3repE0EEENS1_30default_config_static_selectorELNS0_4arch9wavefront6targetE0EEEvT1_ ; -- Begin function _ZN7rocprim17ROCPRIM_400000_NS6detail17trampoline_kernelINS0_14default_configENS1_25partition_config_selectorILNS1_17partition_subalgoE9EllbEEZZNS1_14partition_implILS5_9ELb0ES3_jPlS8_PNS0_10empty_typeENS0_5tupleIJS8_S9_EEENSB_IJS8_SA_EEENS0_18inequality_wrapperIZN2at6native12_GLOBAL__N_124unique_dim_cuda_templateIbEESt5tupleIJNSF_6TensorESK_SK_EERKSK_lbbbEUlllE0_EEPmJS9_EEE10hipError_tPvRmT3_T4_T5_T6_T7_T9_mT8_P12ihipStream_tbDpT10_ENKUlT_T0_E_clISt17integral_constantIbLb1EES19_IbLb0EEEEDaS15_S16_EUlS15_E_NS1_11comp_targetILNS1_3genE4ELNS1_11target_archE910ELNS1_3gpuE8ELNS1_3repE0EEENS1_30default_config_static_selectorELNS0_4arch9wavefront6targetE0EEEvT1_
	.p2align	8
	.type	_ZN7rocprim17ROCPRIM_400000_NS6detail17trampoline_kernelINS0_14default_configENS1_25partition_config_selectorILNS1_17partition_subalgoE9EllbEEZZNS1_14partition_implILS5_9ELb0ES3_jPlS8_PNS0_10empty_typeENS0_5tupleIJS8_S9_EEENSB_IJS8_SA_EEENS0_18inequality_wrapperIZN2at6native12_GLOBAL__N_124unique_dim_cuda_templateIbEESt5tupleIJNSF_6TensorESK_SK_EERKSK_lbbbEUlllE0_EEPmJS9_EEE10hipError_tPvRmT3_T4_T5_T6_T7_T9_mT8_P12ihipStream_tbDpT10_ENKUlT_T0_E_clISt17integral_constantIbLb1EES19_IbLb0EEEEDaS15_S16_EUlS15_E_NS1_11comp_targetILNS1_3genE4ELNS1_11target_archE910ELNS1_3gpuE8ELNS1_3repE0EEENS1_30default_config_static_selectorELNS0_4arch9wavefront6targetE0EEEvT1_,@function
_ZN7rocprim17ROCPRIM_400000_NS6detail17trampoline_kernelINS0_14default_configENS1_25partition_config_selectorILNS1_17partition_subalgoE9EllbEEZZNS1_14partition_implILS5_9ELb0ES3_jPlS8_PNS0_10empty_typeENS0_5tupleIJS8_S9_EEENSB_IJS8_SA_EEENS0_18inequality_wrapperIZN2at6native12_GLOBAL__N_124unique_dim_cuda_templateIbEESt5tupleIJNSF_6TensorESK_SK_EERKSK_lbbbEUlllE0_EEPmJS9_EEE10hipError_tPvRmT3_T4_T5_T6_T7_T9_mT8_P12ihipStream_tbDpT10_ENKUlT_T0_E_clISt17integral_constantIbLb1EES19_IbLb0EEEEDaS15_S16_EUlS15_E_NS1_11comp_targetILNS1_3genE4ELNS1_11target_archE910ELNS1_3gpuE8ELNS1_3repE0EEENS1_30default_config_static_selectorELNS0_4arch9wavefront6targetE0EEEvT1_: ; @_ZN7rocprim17ROCPRIM_400000_NS6detail17trampoline_kernelINS0_14default_configENS1_25partition_config_selectorILNS1_17partition_subalgoE9EllbEEZZNS1_14partition_implILS5_9ELb0ES3_jPlS8_PNS0_10empty_typeENS0_5tupleIJS8_S9_EEENSB_IJS8_SA_EEENS0_18inequality_wrapperIZN2at6native12_GLOBAL__N_124unique_dim_cuda_templateIbEESt5tupleIJNSF_6TensorESK_SK_EERKSK_lbbbEUlllE0_EEPmJS9_EEE10hipError_tPvRmT3_T4_T5_T6_T7_T9_mT8_P12ihipStream_tbDpT10_ENKUlT_T0_E_clISt17integral_constantIbLb1EES19_IbLb0EEEEDaS15_S16_EUlS15_E_NS1_11comp_targetILNS1_3genE4ELNS1_11target_archE910ELNS1_3gpuE8ELNS1_3repE0EEENS1_30default_config_static_selectorELNS0_4arch9wavefront6targetE0EEEvT1_
; %bb.0:
	.section	.rodata,"a",@progbits
	.p2align	6, 0x0
	.amdhsa_kernel _ZN7rocprim17ROCPRIM_400000_NS6detail17trampoline_kernelINS0_14default_configENS1_25partition_config_selectorILNS1_17partition_subalgoE9EllbEEZZNS1_14partition_implILS5_9ELb0ES3_jPlS8_PNS0_10empty_typeENS0_5tupleIJS8_S9_EEENSB_IJS8_SA_EEENS0_18inequality_wrapperIZN2at6native12_GLOBAL__N_124unique_dim_cuda_templateIbEESt5tupleIJNSF_6TensorESK_SK_EERKSK_lbbbEUlllE0_EEPmJS9_EEE10hipError_tPvRmT3_T4_T5_T6_T7_T9_mT8_P12ihipStream_tbDpT10_ENKUlT_T0_E_clISt17integral_constantIbLb1EES19_IbLb0EEEEDaS15_S16_EUlS15_E_NS1_11comp_targetILNS1_3genE4ELNS1_11target_archE910ELNS1_3gpuE8ELNS1_3repE0EEENS1_30default_config_static_selectorELNS0_4arch9wavefront6targetE0EEEvT1_
		.amdhsa_group_segment_fixed_size 0
		.amdhsa_private_segment_fixed_size 0
		.amdhsa_kernarg_size 120
		.amdhsa_user_sgpr_count 15
		.amdhsa_user_sgpr_dispatch_ptr 0
		.amdhsa_user_sgpr_queue_ptr 0
		.amdhsa_user_sgpr_kernarg_segment_ptr 1
		.amdhsa_user_sgpr_dispatch_id 0
		.amdhsa_user_sgpr_private_segment_size 0
		.amdhsa_wavefront_size32 1
		.amdhsa_uses_dynamic_stack 0
		.amdhsa_enable_private_segment 0
		.amdhsa_system_sgpr_workgroup_id_x 1
		.amdhsa_system_sgpr_workgroup_id_y 0
		.amdhsa_system_sgpr_workgroup_id_z 0
		.amdhsa_system_sgpr_workgroup_info 0
		.amdhsa_system_vgpr_workitem_id 0
		.amdhsa_next_free_vgpr 1
		.amdhsa_next_free_sgpr 1
		.amdhsa_reserve_vcc 0
		.amdhsa_float_round_mode_32 0
		.amdhsa_float_round_mode_16_64 0
		.amdhsa_float_denorm_mode_32 3
		.amdhsa_float_denorm_mode_16_64 3
		.amdhsa_dx10_clamp 1
		.amdhsa_ieee_mode 1
		.amdhsa_fp16_overflow 0
		.amdhsa_workgroup_processor_mode 1
		.amdhsa_memory_ordered 1
		.amdhsa_forward_progress 0
		.amdhsa_shared_vgpr_count 0
		.amdhsa_exception_fp_ieee_invalid_op 0
		.amdhsa_exception_fp_denorm_src 0
		.amdhsa_exception_fp_ieee_div_zero 0
		.amdhsa_exception_fp_ieee_overflow 0
		.amdhsa_exception_fp_ieee_underflow 0
		.amdhsa_exception_fp_ieee_inexact 0
		.amdhsa_exception_int_div_zero 0
	.end_amdhsa_kernel
	.section	.text._ZN7rocprim17ROCPRIM_400000_NS6detail17trampoline_kernelINS0_14default_configENS1_25partition_config_selectorILNS1_17partition_subalgoE9EllbEEZZNS1_14partition_implILS5_9ELb0ES3_jPlS8_PNS0_10empty_typeENS0_5tupleIJS8_S9_EEENSB_IJS8_SA_EEENS0_18inequality_wrapperIZN2at6native12_GLOBAL__N_124unique_dim_cuda_templateIbEESt5tupleIJNSF_6TensorESK_SK_EERKSK_lbbbEUlllE0_EEPmJS9_EEE10hipError_tPvRmT3_T4_T5_T6_T7_T9_mT8_P12ihipStream_tbDpT10_ENKUlT_T0_E_clISt17integral_constantIbLb1EES19_IbLb0EEEEDaS15_S16_EUlS15_E_NS1_11comp_targetILNS1_3genE4ELNS1_11target_archE910ELNS1_3gpuE8ELNS1_3repE0EEENS1_30default_config_static_selectorELNS0_4arch9wavefront6targetE0EEEvT1_,"axG",@progbits,_ZN7rocprim17ROCPRIM_400000_NS6detail17trampoline_kernelINS0_14default_configENS1_25partition_config_selectorILNS1_17partition_subalgoE9EllbEEZZNS1_14partition_implILS5_9ELb0ES3_jPlS8_PNS0_10empty_typeENS0_5tupleIJS8_S9_EEENSB_IJS8_SA_EEENS0_18inequality_wrapperIZN2at6native12_GLOBAL__N_124unique_dim_cuda_templateIbEESt5tupleIJNSF_6TensorESK_SK_EERKSK_lbbbEUlllE0_EEPmJS9_EEE10hipError_tPvRmT3_T4_T5_T6_T7_T9_mT8_P12ihipStream_tbDpT10_ENKUlT_T0_E_clISt17integral_constantIbLb1EES19_IbLb0EEEEDaS15_S16_EUlS15_E_NS1_11comp_targetILNS1_3genE4ELNS1_11target_archE910ELNS1_3gpuE8ELNS1_3repE0EEENS1_30default_config_static_selectorELNS0_4arch9wavefront6targetE0EEEvT1_,comdat
.Lfunc_end1101:
	.size	_ZN7rocprim17ROCPRIM_400000_NS6detail17trampoline_kernelINS0_14default_configENS1_25partition_config_selectorILNS1_17partition_subalgoE9EllbEEZZNS1_14partition_implILS5_9ELb0ES3_jPlS8_PNS0_10empty_typeENS0_5tupleIJS8_S9_EEENSB_IJS8_SA_EEENS0_18inequality_wrapperIZN2at6native12_GLOBAL__N_124unique_dim_cuda_templateIbEESt5tupleIJNSF_6TensorESK_SK_EERKSK_lbbbEUlllE0_EEPmJS9_EEE10hipError_tPvRmT3_T4_T5_T6_T7_T9_mT8_P12ihipStream_tbDpT10_ENKUlT_T0_E_clISt17integral_constantIbLb1EES19_IbLb0EEEEDaS15_S16_EUlS15_E_NS1_11comp_targetILNS1_3genE4ELNS1_11target_archE910ELNS1_3gpuE8ELNS1_3repE0EEENS1_30default_config_static_selectorELNS0_4arch9wavefront6targetE0EEEvT1_, .Lfunc_end1101-_ZN7rocprim17ROCPRIM_400000_NS6detail17trampoline_kernelINS0_14default_configENS1_25partition_config_selectorILNS1_17partition_subalgoE9EllbEEZZNS1_14partition_implILS5_9ELb0ES3_jPlS8_PNS0_10empty_typeENS0_5tupleIJS8_S9_EEENSB_IJS8_SA_EEENS0_18inequality_wrapperIZN2at6native12_GLOBAL__N_124unique_dim_cuda_templateIbEESt5tupleIJNSF_6TensorESK_SK_EERKSK_lbbbEUlllE0_EEPmJS9_EEE10hipError_tPvRmT3_T4_T5_T6_T7_T9_mT8_P12ihipStream_tbDpT10_ENKUlT_T0_E_clISt17integral_constantIbLb1EES19_IbLb0EEEEDaS15_S16_EUlS15_E_NS1_11comp_targetILNS1_3genE4ELNS1_11target_archE910ELNS1_3gpuE8ELNS1_3repE0EEENS1_30default_config_static_selectorELNS0_4arch9wavefront6targetE0EEEvT1_
                                        ; -- End function
	.section	.AMDGPU.csdata,"",@progbits
; Kernel info:
; codeLenInByte = 0
; NumSgprs: 0
; NumVgprs: 0
; ScratchSize: 0
; MemoryBound: 0
; FloatMode: 240
; IeeeMode: 1
; LDSByteSize: 0 bytes/workgroup (compile time only)
; SGPRBlocks: 0
; VGPRBlocks: 0
; NumSGPRsForWavesPerEU: 1
; NumVGPRsForWavesPerEU: 1
; Occupancy: 16
; WaveLimiterHint : 0
; COMPUTE_PGM_RSRC2:SCRATCH_EN: 0
; COMPUTE_PGM_RSRC2:USER_SGPR: 15
; COMPUTE_PGM_RSRC2:TRAP_HANDLER: 0
; COMPUTE_PGM_RSRC2:TGID_X_EN: 1
; COMPUTE_PGM_RSRC2:TGID_Y_EN: 0
; COMPUTE_PGM_RSRC2:TGID_Z_EN: 0
; COMPUTE_PGM_RSRC2:TIDIG_COMP_CNT: 0
	.section	.text._ZN7rocprim17ROCPRIM_400000_NS6detail17trampoline_kernelINS0_14default_configENS1_25partition_config_selectorILNS1_17partition_subalgoE9EllbEEZZNS1_14partition_implILS5_9ELb0ES3_jPlS8_PNS0_10empty_typeENS0_5tupleIJS8_S9_EEENSB_IJS8_SA_EEENS0_18inequality_wrapperIZN2at6native12_GLOBAL__N_124unique_dim_cuda_templateIbEESt5tupleIJNSF_6TensorESK_SK_EERKSK_lbbbEUlllE0_EEPmJS9_EEE10hipError_tPvRmT3_T4_T5_T6_T7_T9_mT8_P12ihipStream_tbDpT10_ENKUlT_T0_E_clISt17integral_constantIbLb1EES19_IbLb0EEEEDaS15_S16_EUlS15_E_NS1_11comp_targetILNS1_3genE3ELNS1_11target_archE908ELNS1_3gpuE7ELNS1_3repE0EEENS1_30default_config_static_selectorELNS0_4arch9wavefront6targetE0EEEvT1_,"axG",@progbits,_ZN7rocprim17ROCPRIM_400000_NS6detail17trampoline_kernelINS0_14default_configENS1_25partition_config_selectorILNS1_17partition_subalgoE9EllbEEZZNS1_14partition_implILS5_9ELb0ES3_jPlS8_PNS0_10empty_typeENS0_5tupleIJS8_S9_EEENSB_IJS8_SA_EEENS0_18inequality_wrapperIZN2at6native12_GLOBAL__N_124unique_dim_cuda_templateIbEESt5tupleIJNSF_6TensorESK_SK_EERKSK_lbbbEUlllE0_EEPmJS9_EEE10hipError_tPvRmT3_T4_T5_T6_T7_T9_mT8_P12ihipStream_tbDpT10_ENKUlT_T0_E_clISt17integral_constantIbLb1EES19_IbLb0EEEEDaS15_S16_EUlS15_E_NS1_11comp_targetILNS1_3genE3ELNS1_11target_archE908ELNS1_3gpuE7ELNS1_3repE0EEENS1_30default_config_static_selectorELNS0_4arch9wavefront6targetE0EEEvT1_,comdat
	.globl	_ZN7rocprim17ROCPRIM_400000_NS6detail17trampoline_kernelINS0_14default_configENS1_25partition_config_selectorILNS1_17partition_subalgoE9EllbEEZZNS1_14partition_implILS5_9ELb0ES3_jPlS8_PNS0_10empty_typeENS0_5tupleIJS8_S9_EEENSB_IJS8_SA_EEENS0_18inequality_wrapperIZN2at6native12_GLOBAL__N_124unique_dim_cuda_templateIbEESt5tupleIJNSF_6TensorESK_SK_EERKSK_lbbbEUlllE0_EEPmJS9_EEE10hipError_tPvRmT3_T4_T5_T6_T7_T9_mT8_P12ihipStream_tbDpT10_ENKUlT_T0_E_clISt17integral_constantIbLb1EES19_IbLb0EEEEDaS15_S16_EUlS15_E_NS1_11comp_targetILNS1_3genE3ELNS1_11target_archE908ELNS1_3gpuE7ELNS1_3repE0EEENS1_30default_config_static_selectorELNS0_4arch9wavefront6targetE0EEEvT1_ ; -- Begin function _ZN7rocprim17ROCPRIM_400000_NS6detail17trampoline_kernelINS0_14default_configENS1_25partition_config_selectorILNS1_17partition_subalgoE9EllbEEZZNS1_14partition_implILS5_9ELb0ES3_jPlS8_PNS0_10empty_typeENS0_5tupleIJS8_S9_EEENSB_IJS8_SA_EEENS0_18inequality_wrapperIZN2at6native12_GLOBAL__N_124unique_dim_cuda_templateIbEESt5tupleIJNSF_6TensorESK_SK_EERKSK_lbbbEUlllE0_EEPmJS9_EEE10hipError_tPvRmT3_T4_T5_T6_T7_T9_mT8_P12ihipStream_tbDpT10_ENKUlT_T0_E_clISt17integral_constantIbLb1EES19_IbLb0EEEEDaS15_S16_EUlS15_E_NS1_11comp_targetILNS1_3genE3ELNS1_11target_archE908ELNS1_3gpuE7ELNS1_3repE0EEENS1_30default_config_static_selectorELNS0_4arch9wavefront6targetE0EEEvT1_
	.p2align	8
	.type	_ZN7rocprim17ROCPRIM_400000_NS6detail17trampoline_kernelINS0_14default_configENS1_25partition_config_selectorILNS1_17partition_subalgoE9EllbEEZZNS1_14partition_implILS5_9ELb0ES3_jPlS8_PNS0_10empty_typeENS0_5tupleIJS8_S9_EEENSB_IJS8_SA_EEENS0_18inequality_wrapperIZN2at6native12_GLOBAL__N_124unique_dim_cuda_templateIbEESt5tupleIJNSF_6TensorESK_SK_EERKSK_lbbbEUlllE0_EEPmJS9_EEE10hipError_tPvRmT3_T4_T5_T6_T7_T9_mT8_P12ihipStream_tbDpT10_ENKUlT_T0_E_clISt17integral_constantIbLb1EES19_IbLb0EEEEDaS15_S16_EUlS15_E_NS1_11comp_targetILNS1_3genE3ELNS1_11target_archE908ELNS1_3gpuE7ELNS1_3repE0EEENS1_30default_config_static_selectorELNS0_4arch9wavefront6targetE0EEEvT1_,@function
_ZN7rocprim17ROCPRIM_400000_NS6detail17trampoline_kernelINS0_14default_configENS1_25partition_config_selectorILNS1_17partition_subalgoE9EllbEEZZNS1_14partition_implILS5_9ELb0ES3_jPlS8_PNS0_10empty_typeENS0_5tupleIJS8_S9_EEENSB_IJS8_SA_EEENS0_18inequality_wrapperIZN2at6native12_GLOBAL__N_124unique_dim_cuda_templateIbEESt5tupleIJNSF_6TensorESK_SK_EERKSK_lbbbEUlllE0_EEPmJS9_EEE10hipError_tPvRmT3_T4_T5_T6_T7_T9_mT8_P12ihipStream_tbDpT10_ENKUlT_T0_E_clISt17integral_constantIbLb1EES19_IbLb0EEEEDaS15_S16_EUlS15_E_NS1_11comp_targetILNS1_3genE3ELNS1_11target_archE908ELNS1_3gpuE7ELNS1_3repE0EEENS1_30default_config_static_selectorELNS0_4arch9wavefront6targetE0EEEvT1_: ; @_ZN7rocprim17ROCPRIM_400000_NS6detail17trampoline_kernelINS0_14default_configENS1_25partition_config_selectorILNS1_17partition_subalgoE9EllbEEZZNS1_14partition_implILS5_9ELb0ES3_jPlS8_PNS0_10empty_typeENS0_5tupleIJS8_S9_EEENSB_IJS8_SA_EEENS0_18inequality_wrapperIZN2at6native12_GLOBAL__N_124unique_dim_cuda_templateIbEESt5tupleIJNSF_6TensorESK_SK_EERKSK_lbbbEUlllE0_EEPmJS9_EEE10hipError_tPvRmT3_T4_T5_T6_T7_T9_mT8_P12ihipStream_tbDpT10_ENKUlT_T0_E_clISt17integral_constantIbLb1EES19_IbLb0EEEEDaS15_S16_EUlS15_E_NS1_11comp_targetILNS1_3genE3ELNS1_11target_archE908ELNS1_3gpuE7ELNS1_3repE0EEENS1_30default_config_static_selectorELNS0_4arch9wavefront6targetE0EEEvT1_
; %bb.0:
	.section	.rodata,"a",@progbits
	.p2align	6, 0x0
	.amdhsa_kernel _ZN7rocprim17ROCPRIM_400000_NS6detail17trampoline_kernelINS0_14default_configENS1_25partition_config_selectorILNS1_17partition_subalgoE9EllbEEZZNS1_14partition_implILS5_9ELb0ES3_jPlS8_PNS0_10empty_typeENS0_5tupleIJS8_S9_EEENSB_IJS8_SA_EEENS0_18inequality_wrapperIZN2at6native12_GLOBAL__N_124unique_dim_cuda_templateIbEESt5tupleIJNSF_6TensorESK_SK_EERKSK_lbbbEUlllE0_EEPmJS9_EEE10hipError_tPvRmT3_T4_T5_T6_T7_T9_mT8_P12ihipStream_tbDpT10_ENKUlT_T0_E_clISt17integral_constantIbLb1EES19_IbLb0EEEEDaS15_S16_EUlS15_E_NS1_11comp_targetILNS1_3genE3ELNS1_11target_archE908ELNS1_3gpuE7ELNS1_3repE0EEENS1_30default_config_static_selectorELNS0_4arch9wavefront6targetE0EEEvT1_
		.amdhsa_group_segment_fixed_size 0
		.amdhsa_private_segment_fixed_size 0
		.amdhsa_kernarg_size 120
		.amdhsa_user_sgpr_count 15
		.amdhsa_user_sgpr_dispatch_ptr 0
		.amdhsa_user_sgpr_queue_ptr 0
		.amdhsa_user_sgpr_kernarg_segment_ptr 1
		.amdhsa_user_sgpr_dispatch_id 0
		.amdhsa_user_sgpr_private_segment_size 0
		.amdhsa_wavefront_size32 1
		.amdhsa_uses_dynamic_stack 0
		.amdhsa_enable_private_segment 0
		.amdhsa_system_sgpr_workgroup_id_x 1
		.amdhsa_system_sgpr_workgroup_id_y 0
		.amdhsa_system_sgpr_workgroup_id_z 0
		.amdhsa_system_sgpr_workgroup_info 0
		.amdhsa_system_vgpr_workitem_id 0
		.amdhsa_next_free_vgpr 1
		.amdhsa_next_free_sgpr 1
		.amdhsa_reserve_vcc 0
		.amdhsa_float_round_mode_32 0
		.amdhsa_float_round_mode_16_64 0
		.amdhsa_float_denorm_mode_32 3
		.amdhsa_float_denorm_mode_16_64 3
		.amdhsa_dx10_clamp 1
		.amdhsa_ieee_mode 1
		.amdhsa_fp16_overflow 0
		.amdhsa_workgroup_processor_mode 1
		.amdhsa_memory_ordered 1
		.amdhsa_forward_progress 0
		.amdhsa_shared_vgpr_count 0
		.amdhsa_exception_fp_ieee_invalid_op 0
		.amdhsa_exception_fp_denorm_src 0
		.amdhsa_exception_fp_ieee_div_zero 0
		.amdhsa_exception_fp_ieee_overflow 0
		.amdhsa_exception_fp_ieee_underflow 0
		.amdhsa_exception_fp_ieee_inexact 0
		.amdhsa_exception_int_div_zero 0
	.end_amdhsa_kernel
	.section	.text._ZN7rocprim17ROCPRIM_400000_NS6detail17trampoline_kernelINS0_14default_configENS1_25partition_config_selectorILNS1_17partition_subalgoE9EllbEEZZNS1_14partition_implILS5_9ELb0ES3_jPlS8_PNS0_10empty_typeENS0_5tupleIJS8_S9_EEENSB_IJS8_SA_EEENS0_18inequality_wrapperIZN2at6native12_GLOBAL__N_124unique_dim_cuda_templateIbEESt5tupleIJNSF_6TensorESK_SK_EERKSK_lbbbEUlllE0_EEPmJS9_EEE10hipError_tPvRmT3_T4_T5_T6_T7_T9_mT8_P12ihipStream_tbDpT10_ENKUlT_T0_E_clISt17integral_constantIbLb1EES19_IbLb0EEEEDaS15_S16_EUlS15_E_NS1_11comp_targetILNS1_3genE3ELNS1_11target_archE908ELNS1_3gpuE7ELNS1_3repE0EEENS1_30default_config_static_selectorELNS0_4arch9wavefront6targetE0EEEvT1_,"axG",@progbits,_ZN7rocprim17ROCPRIM_400000_NS6detail17trampoline_kernelINS0_14default_configENS1_25partition_config_selectorILNS1_17partition_subalgoE9EllbEEZZNS1_14partition_implILS5_9ELb0ES3_jPlS8_PNS0_10empty_typeENS0_5tupleIJS8_S9_EEENSB_IJS8_SA_EEENS0_18inequality_wrapperIZN2at6native12_GLOBAL__N_124unique_dim_cuda_templateIbEESt5tupleIJNSF_6TensorESK_SK_EERKSK_lbbbEUlllE0_EEPmJS9_EEE10hipError_tPvRmT3_T4_T5_T6_T7_T9_mT8_P12ihipStream_tbDpT10_ENKUlT_T0_E_clISt17integral_constantIbLb1EES19_IbLb0EEEEDaS15_S16_EUlS15_E_NS1_11comp_targetILNS1_3genE3ELNS1_11target_archE908ELNS1_3gpuE7ELNS1_3repE0EEENS1_30default_config_static_selectorELNS0_4arch9wavefront6targetE0EEEvT1_,comdat
.Lfunc_end1102:
	.size	_ZN7rocprim17ROCPRIM_400000_NS6detail17trampoline_kernelINS0_14default_configENS1_25partition_config_selectorILNS1_17partition_subalgoE9EllbEEZZNS1_14partition_implILS5_9ELb0ES3_jPlS8_PNS0_10empty_typeENS0_5tupleIJS8_S9_EEENSB_IJS8_SA_EEENS0_18inequality_wrapperIZN2at6native12_GLOBAL__N_124unique_dim_cuda_templateIbEESt5tupleIJNSF_6TensorESK_SK_EERKSK_lbbbEUlllE0_EEPmJS9_EEE10hipError_tPvRmT3_T4_T5_T6_T7_T9_mT8_P12ihipStream_tbDpT10_ENKUlT_T0_E_clISt17integral_constantIbLb1EES19_IbLb0EEEEDaS15_S16_EUlS15_E_NS1_11comp_targetILNS1_3genE3ELNS1_11target_archE908ELNS1_3gpuE7ELNS1_3repE0EEENS1_30default_config_static_selectorELNS0_4arch9wavefront6targetE0EEEvT1_, .Lfunc_end1102-_ZN7rocprim17ROCPRIM_400000_NS6detail17trampoline_kernelINS0_14default_configENS1_25partition_config_selectorILNS1_17partition_subalgoE9EllbEEZZNS1_14partition_implILS5_9ELb0ES3_jPlS8_PNS0_10empty_typeENS0_5tupleIJS8_S9_EEENSB_IJS8_SA_EEENS0_18inequality_wrapperIZN2at6native12_GLOBAL__N_124unique_dim_cuda_templateIbEESt5tupleIJNSF_6TensorESK_SK_EERKSK_lbbbEUlllE0_EEPmJS9_EEE10hipError_tPvRmT3_T4_T5_T6_T7_T9_mT8_P12ihipStream_tbDpT10_ENKUlT_T0_E_clISt17integral_constantIbLb1EES19_IbLb0EEEEDaS15_S16_EUlS15_E_NS1_11comp_targetILNS1_3genE3ELNS1_11target_archE908ELNS1_3gpuE7ELNS1_3repE0EEENS1_30default_config_static_selectorELNS0_4arch9wavefront6targetE0EEEvT1_
                                        ; -- End function
	.section	.AMDGPU.csdata,"",@progbits
; Kernel info:
; codeLenInByte = 0
; NumSgprs: 0
; NumVgprs: 0
; ScratchSize: 0
; MemoryBound: 0
; FloatMode: 240
; IeeeMode: 1
; LDSByteSize: 0 bytes/workgroup (compile time only)
; SGPRBlocks: 0
; VGPRBlocks: 0
; NumSGPRsForWavesPerEU: 1
; NumVGPRsForWavesPerEU: 1
; Occupancy: 16
; WaveLimiterHint : 0
; COMPUTE_PGM_RSRC2:SCRATCH_EN: 0
; COMPUTE_PGM_RSRC2:USER_SGPR: 15
; COMPUTE_PGM_RSRC2:TRAP_HANDLER: 0
; COMPUTE_PGM_RSRC2:TGID_X_EN: 1
; COMPUTE_PGM_RSRC2:TGID_Y_EN: 0
; COMPUTE_PGM_RSRC2:TGID_Z_EN: 0
; COMPUTE_PGM_RSRC2:TIDIG_COMP_CNT: 0
	.section	.text._ZN7rocprim17ROCPRIM_400000_NS6detail17trampoline_kernelINS0_14default_configENS1_25partition_config_selectorILNS1_17partition_subalgoE9EllbEEZZNS1_14partition_implILS5_9ELb0ES3_jPlS8_PNS0_10empty_typeENS0_5tupleIJS8_S9_EEENSB_IJS8_SA_EEENS0_18inequality_wrapperIZN2at6native12_GLOBAL__N_124unique_dim_cuda_templateIbEESt5tupleIJNSF_6TensorESK_SK_EERKSK_lbbbEUlllE0_EEPmJS9_EEE10hipError_tPvRmT3_T4_T5_T6_T7_T9_mT8_P12ihipStream_tbDpT10_ENKUlT_T0_E_clISt17integral_constantIbLb1EES19_IbLb0EEEEDaS15_S16_EUlS15_E_NS1_11comp_targetILNS1_3genE2ELNS1_11target_archE906ELNS1_3gpuE6ELNS1_3repE0EEENS1_30default_config_static_selectorELNS0_4arch9wavefront6targetE0EEEvT1_,"axG",@progbits,_ZN7rocprim17ROCPRIM_400000_NS6detail17trampoline_kernelINS0_14default_configENS1_25partition_config_selectorILNS1_17partition_subalgoE9EllbEEZZNS1_14partition_implILS5_9ELb0ES3_jPlS8_PNS0_10empty_typeENS0_5tupleIJS8_S9_EEENSB_IJS8_SA_EEENS0_18inequality_wrapperIZN2at6native12_GLOBAL__N_124unique_dim_cuda_templateIbEESt5tupleIJNSF_6TensorESK_SK_EERKSK_lbbbEUlllE0_EEPmJS9_EEE10hipError_tPvRmT3_T4_T5_T6_T7_T9_mT8_P12ihipStream_tbDpT10_ENKUlT_T0_E_clISt17integral_constantIbLb1EES19_IbLb0EEEEDaS15_S16_EUlS15_E_NS1_11comp_targetILNS1_3genE2ELNS1_11target_archE906ELNS1_3gpuE6ELNS1_3repE0EEENS1_30default_config_static_selectorELNS0_4arch9wavefront6targetE0EEEvT1_,comdat
	.globl	_ZN7rocprim17ROCPRIM_400000_NS6detail17trampoline_kernelINS0_14default_configENS1_25partition_config_selectorILNS1_17partition_subalgoE9EllbEEZZNS1_14partition_implILS5_9ELb0ES3_jPlS8_PNS0_10empty_typeENS0_5tupleIJS8_S9_EEENSB_IJS8_SA_EEENS0_18inequality_wrapperIZN2at6native12_GLOBAL__N_124unique_dim_cuda_templateIbEESt5tupleIJNSF_6TensorESK_SK_EERKSK_lbbbEUlllE0_EEPmJS9_EEE10hipError_tPvRmT3_T4_T5_T6_T7_T9_mT8_P12ihipStream_tbDpT10_ENKUlT_T0_E_clISt17integral_constantIbLb1EES19_IbLb0EEEEDaS15_S16_EUlS15_E_NS1_11comp_targetILNS1_3genE2ELNS1_11target_archE906ELNS1_3gpuE6ELNS1_3repE0EEENS1_30default_config_static_selectorELNS0_4arch9wavefront6targetE0EEEvT1_ ; -- Begin function _ZN7rocprim17ROCPRIM_400000_NS6detail17trampoline_kernelINS0_14default_configENS1_25partition_config_selectorILNS1_17partition_subalgoE9EllbEEZZNS1_14partition_implILS5_9ELb0ES3_jPlS8_PNS0_10empty_typeENS0_5tupleIJS8_S9_EEENSB_IJS8_SA_EEENS0_18inequality_wrapperIZN2at6native12_GLOBAL__N_124unique_dim_cuda_templateIbEESt5tupleIJNSF_6TensorESK_SK_EERKSK_lbbbEUlllE0_EEPmJS9_EEE10hipError_tPvRmT3_T4_T5_T6_T7_T9_mT8_P12ihipStream_tbDpT10_ENKUlT_T0_E_clISt17integral_constantIbLb1EES19_IbLb0EEEEDaS15_S16_EUlS15_E_NS1_11comp_targetILNS1_3genE2ELNS1_11target_archE906ELNS1_3gpuE6ELNS1_3repE0EEENS1_30default_config_static_selectorELNS0_4arch9wavefront6targetE0EEEvT1_
	.p2align	8
	.type	_ZN7rocprim17ROCPRIM_400000_NS6detail17trampoline_kernelINS0_14default_configENS1_25partition_config_selectorILNS1_17partition_subalgoE9EllbEEZZNS1_14partition_implILS5_9ELb0ES3_jPlS8_PNS0_10empty_typeENS0_5tupleIJS8_S9_EEENSB_IJS8_SA_EEENS0_18inequality_wrapperIZN2at6native12_GLOBAL__N_124unique_dim_cuda_templateIbEESt5tupleIJNSF_6TensorESK_SK_EERKSK_lbbbEUlllE0_EEPmJS9_EEE10hipError_tPvRmT3_T4_T5_T6_T7_T9_mT8_P12ihipStream_tbDpT10_ENKUlT_T0_E_clISt17integral_constantIbLb1EES19_IbLb0EEEEDaS15_S16_EUlS15_E_NS1_11comp_targetILNS1_3genE2ELNS1_11target_archE906ELNS1_3gpuE6ELNS1_3repE0EEENS1_30default_config_static_selectorELNS0_4arch9wavefront6targetE0EEEvT1_,@function
_ZN7rocprim17ROCPRIM_400000_NS6detail17trampoline_kernelINS0_14default_configENS1_25partition_config_selectorILNS1_17partition_subalgoE9EllbEEZZNS1_14partition_implILS5_9ELb0ES3_jPlS8_PNS0_10empty_typeENS0_5tupleIJS8_S9_EEENSB_IJS8_SA_EEENS0_18inequality_wrapperIZN2at6native12_GLOBAL__N_124unique_dim_cuda_templateIbEESt5tupleIJNSF_6TensorESK_SK_EERKSK_lbbbEUlllE0_EEPmJS9_EEE10hipError_tPvRmT3_T4_T5_T6_T7_T9_mT8_P12ihipStream_tbDpT10_ENKUlT_T0_E_clISt17integral_constantIbLb1EES19_IbLb0EEEEDaS15_S16_EUlS15_E_NS1_11comp_targetILNS1_3genE2ELNS1_11target_archE906ELNS1_3gpuE6ELNS1_3repE0EEENS1_30default_config_static_selectorELNS0_4arch9wavefront6targetE0EEEvT1_: ; @_ZN7rocprim17ROCPRIM_400000_NS6detail17trampoline_kernelINS0_14default_configENS1_25partition_config_selectorILNS1_17partition_subalgoE9EllbEEZZNS1_14partition_implILS5_9ELb0ES3_jPlS8_PNS0_10empty_typeENS0_5tupleIJS8_S9_EEENSB_IJS8_SA_EEENS0_18inequality_wrapperIZN2at6native12_GLOBAL__N_124unique_dim_cuda_templateIbEESt5tupleIJNSF_6TensorESK_SK_EERKSK_lbbbEUlllE0_EEPmJS9_EEE10hipError_tPvRmT3_T4_T5_T6_T7_T9_mT8_P12ihipStream_tbDpT10_ENKUlT_T0_E_clISt17integral_constantIbLb1EES19_IbLb0EEEEDaS15_S16_EUlS15_E_NS1_11comp_targetILNS1_3genE2ELNS1_11target_archE906ELNS1_3gpuE6ELNS1_3repE0EEENS1_30default_config_static_selectorELNS0_4arch9wavefront6targetE0EEEvT1_
; %bb.0:
	.section	.rodata,"a",@progbits
	.p2align	6, 0x0
	.amdhsa_kernel _ZN7rocprim17ROCPRIM_400000_NS6detail17trampoline_kernelINS0_14default_configENS1_25partition_config_selectorILNS1_17partition_subalgoE9EllbEEZZNS1_14partition_implILS5_9ELb0ES3_jPlS8_PNS0_10empty_typeENS0_5tupleIJS8_S9_EEENSB_IJS8_SA_EEENS0_18inequality_wrapperIZN2at6native12_GLOBAL__N_124unique_dim_cuda_templateIbEESt5tupleIJNSF_6TensorESK_SK_EERKSK_lbbbEUlllE0_EEPmJS9_EEE10hipError_tPvRmT3_T4_T5_T6_T7_T9_mT8_P12ihipStream_tbDpT10_ENKUlT_T0_E_clISt17integral_constantIbLb1EES19_IbLb0EEEEDaS15_S16_EUlS15_E_NS1_11comp_targetILNS1_3genE2ELNS1_11target_archE906ELNS1_3gpuE6ELNS1_3repE0EEENS1_30default_config_static_selectorELNS0_4arch9wavefront6targetE0EEEvT1_
		.amdhsa_group_segment_fixed_size 0
		.amdhsa_private_segment_fixed_size 0
		.amdhsa_kernarg_size 120
		.amdhsa_user_sgpr_count 15
		.amdhsa_user_sgpr_dispatch_ptr 0
		.amdhsa_user_sgpr_queue_ptr 0
		.amdhsa_user_sgpr_kernarg_segment_ptr 1
		.amdhsa_user_sgpr_dispatch_id 0
		.amdhsa_user_sgpr_private_segment_size 0
		.amdhsa_wavefront_size32 1
		.amdhsa_uses_dynamic_stack 0
		.amdhsa_enable_private_segment 0
		.amdhsa_system_sgpr_workgroup_id_x 1
		.amdhsa_system_sgpr_workgroup_id_y 0
		.amdhsa_system_sgpr_workgroup_id_z 0
		.amdhsa_system_sgpr_workgroup_info 0
		.amdhsa_system_vgpr_workitem_id 0
		.amdhsa_next_free_vgpr 1
		.amdhsa_next_free_sgpr 1
		.amdhsa_reserve_vcc 0
		.amdhsa_float_round_mode_32 0
		.amdhsa_float_round_mode_16_64 0
		.amdhsa_float_denorm_mode_32 3
		.amdhsa_float_denorm_mode_16_64 3
		.amdhsa_dx10_clamp 1
		.amdhsa_ieee_mode 1
		.amdhsa_fp16_overflow 0
		.amdhsa_workgroup_processor_mode 1
		.amdhsa_memory_ordered 1
		.amdhsa_forward_progress 0
		.amdhsa_shared_vgpr_count 0
		.amdhsa_exception_fp_ieee_invalid_op 0
		.amdhsa_exception_fp_denorm_src 0
		.amdhsa_exception_fp_ieee_div_zero 0
		.amdhsa_exception_fp_ieee_overflow 0
		.amdhsa_exception_fp_ieee_underflow 0
		.amdhsa_exception_fp_ieee_inexact 0
		.amdhsa_exception_int_div_zero 0
	.end_amdhsa_kernel
	.section	.text._ZN7rocprim17ROCPRIM_400000_NS6detail17trampoline_kernelINS0_14default_configENS1_25partition_config_selectorILNS1_17partition_subalgoE9EllbEEZZNS1_14partition_implILS5_9ELb0ES3_jPlS8_PNS0_10empty_typeENS0_5tupleIJS8_S9_EEENSB_IJS8_SA_EEENS0_18inequality_wrapperIZN2at6native12_GLOBAL__N_124unique_dim_cuda_templateIbEESt5tupleIJNSF_6TensorESK_SK_EERKSK_lbbbEUlllE0_EEPmJS9_EEE10hipError_tPvRmT3_T4_T5_T6_T7_T9_mT8_P12ihipStream_tbDpT10_ENKUlT_T0_E_clISt17integral_constantIbLb1EES19_IbLb0EEEEDaS15_S16_EUlS15_E_NS1_11comp_targetILNS1_3genE2ELNS1_11target_archE906ELNS1_3gpuE6ELNS1_3repE0EEENS1_30default_config_static_selectorELNS0_4arch9wavefront6targetE0EEEvT1_,"axG",@progbits,_ZN7rocprim17ROCPRIM_400000_NS6detail17trampoline_kernelINS0_14default_configENS1_25partition_config_selectorILNS1_17partition_subalgoE9EllbEEZZNS1_14partition_implILS5_9ELb0ES3_jPlS8_PNS0_10empty_typeENS0_5tupleIJS8_S9_EEENSB_IJS8_SA_EEENS0_18inequality_wrapperIZN2at6native12_GLOBAL__N_124unique_dim_cuda_templateIbEESt5tupleIJNSF_6TensorESK_SK_EERKSK_lbbbEUlllE0_EEPmJS9_EEE10hipError_tPvRmT3_T4_T5_T6_T7_T9_mT8_P12ihipStream_tbDpT10_ENKUlT_T0_E_clISt17integral_constantIbLb1EES19_IbLb0EEEEDaS15_S16_EUlS15_E_NS1_11comp_targetILNS1_3genE2ELNS1_11target_archE906ELNS1_3gpuE6ELNS1_3repE0EEENS1_30default_config_static_selectorELNS0_4arch9wavefront6targetE0EEEvT1_,comdat
.Lfunc_end1103:
	.size	_ZN7rocprim17ROCPRIM_400000_NS6detail17trampoline_kernelINS0_14default_configENS1_25partition_config_selectorILNS1_17partition_subalgoE9EllbEEZZNS1_14partition_implILS5_9ELb0ES3_jPlS8_PNS0_10empty_typeENS0_5tupleIJS8_S9_EEENSB_IJS8_SA_EEENS0_18inequality_wrapperIZN2at6native12_GLOBAL__N_124unique_dim_cuda_templateIbEESt5tupleIJNSF_6TensorESK_SK_EERKSK_lbbbEUlllE0_EEPmJS9_EEE10hipError_tPvRmT3_T4_T5_T6_T7_T9_mT8_P12ihipStream_tbDpT10_ENKUlT_T0_E_clISt17integral_constantIbLb1EES19_IbLb0EEEEDaS15_S16_EUlS15_E_NS1_11comp_targetILNS1_3genE2ELNS1_11target_archE906ELNS1_3gpuE6ELNS1_3repE0EEENS1_30default_config_static_selectorELNS0_4arch9wavefront6targetE0EEEvT1_, .Lfunc_end1103-_ZN7rocprim17ROCPRIM_400000_NS6detail17trampoline_kernelINS0_14default_configENS1_25partition_config_selectorILNS1_17partition_subalgoE9EllbEEZZNS1_14partition_implILS5_9ELb0ES3_jPlS8_PNS0_10empty_typeENS0_5tupleIJS8_S9_EEENSB_IJS8_SA_EEENS0_18inequality_wrapperIZN2at6native12_GLOBAL__N_124unique_dim_cuda_templateIbEESt5tupleIJNSF_6TensorESK_SK_EERKSK_lbbbEUlllE0_EEPmJS9_EEE10hipError_tPvRmT3_T4_T5_T6_T7_T9_mT8_P12ihipStream_tbDpT10_ENKUlT_T0_E_clISt17integral_constantIbLb1EES19_IbLb0EEEEDaS15_S16_EUlS15_E_NS1_11comp_targetILNS1_3genE2ELNS1_11target_archE906ELNS1_3gpuE6ELNS1_3repE0EEENS1_30default_config_static_selectorELNS0_4arch9wavefront6targetE0EEEvT1_
                                        ; -- End function
	.section	.AMDGPU.csdata,"",@progbits
; Kernel info:
; codeLenInByte = 0
; NumSgprs: 0
; NumVgprs: 0
; ScratchSize: 0
; MemoryBound: 0
; FloatMode: 240
; IeeeMode: 1
; LDSByteSize: 0 bytes/workgroup (compile time only)
; SGPRBlocks: 0
; VGPRBlocks: 0
; NumSGPRsForWavesPerEU: 1
; NumVGPRsForWavesPerEU: 1
; Occupancy: 15
; WaveLimiterHint : 0
; COMPUTE_PGM_RSRC2:SCRATCH_EN: 0
; COMPUTE_PGM_RSRC2:USER_SGPR: 15
; COMPUTE_PGM_RSRC2:TRAP_HANDLER: 0
; COMPUTE_PGM_RSRC2:TGID_X_EN: 1
; COMPUTE_PGM_RSRC2:TGID_Y_EN: 0
; COMPUTE_PGM_RSRC2:TGID_Z_EN: 0
; COMPUTE_PGM_RSRC2:TIDIG_COMP_CNT: 0
	.section	.text._ZN7rocprim17ROCPRIM_400000_NS6detail17trampoline_kernelINS0_14default_configENS1_25partition_config_selectorILNS1_17partition_subalgoE9EllbEEZZNS1_14partition_implILS5_9ELb0ES3_jPlS8_PNS0_10empty_typeENS0_5tupleIJS8_S9_EEENSB_IJS8_SA_EEENS0_18inequality_wrapperIZN2at6native12_GLOBAL__N_124unique_dim_cuda_templateIbEESt5tupleIJNSF_6TensorESK_SK_EERKSK_lbbbEUlllE0_EEPmJS9_EEE10hipError_tPvRmT3_T4_T5_T6_T7_T9_mT8_P12ihipStream_tbDpT10_ENKUlT_T0_E_clISt17integral_constantIbLb1EES19_IbLb0EEEEDaS15_S16_EUlS15_E_NS1_11comp_targetILNS1_3genE10ELNS1_11target_archE1200ELNS1_3gpuE4ELNS1_3repE0EEENS1_30default_config_static_selectorELNS0_4arch9wavefront6targetE0EEEvT1_,"axG",@progbits,_ZN7rocprim17ROCPRIM_400000_NS6detail17trampoline_kernelINS0_14default_configENS1_25partition_config_selectorILNS1_17partition_subalgoE9EllbEEZZNS1_14partition_implILS5_9ELb0ES3_jPlS8_PNS0_10empty_typeENS0_5tupleIJS8_S9_EEENSB_IJS8_SA_EEENS0_18inequality_wrapperIZN2at6native12_GLOBAL__N_124unique_dim_cuda_templateIbEESt5tupleIJNSF_6TensorESK_SK_EERKSK_lbbbEUlllE0_EEPmJS9_EEE10hipError_tPvRmT3_T4_T5_T6_T7_T9_mT8_P12ihipStream_tbDpT10_ENKUlT_T0_E_clISt17integral_constantIbLb1EES19_IbLb0EEEEDaS15_S16_EUlS15_E_NS1_11comp_targetILNS1_3genE10ELNS1_11target_archE1200ELNS1_3gpuE4ELNS1_3repE0EEENS1_30default_config_static_selectorELNS0_4arch9wavefront6targetE0EEEvT1_,comdat
	.globl	_ZN7rocprim17ROCPRIM_400000_NS6detail17trampoline_kernelINS0_14default_configENS1_25partition_config_selectorILNS1_17partition_subalgoE9EllbEEZZNS1_14partition_implILS5_9ELb0ES3_jPlS8_PNS0_10empty_typeENS0_5tupleIJS8_S9_EEENSB_IJS8_SA_EEENS0_18inequality_wrapperIZN2at6native12_GLOBAL__N_124unique_dim_cuda_templateIbEESt5tupleIJNSF_6TensorESK_SK_EERKSK_lbbbEUlllE0_EEPmJS9_EEE10hipError_tPvRmT3_T4_T5_T6_T7_T9_mT8_P12ihipStream_tbDpT10_ENKUlT_T0_E_clISt17integral_constantIbLb1EES19_IbLb0EEEEDaS15_S16_EUlS15_E_NS1_11comp_targetILNS1_3genE10ELNS1_11target_archE1200ELNS1_3gpuE4ELNS1_3repE0EEENS1_30default_config_static_selectorELNS0_4arch9wavefront6targetE0EEEvT1_ ; -- Begin function _ZN7rocprim17ROCPRIM_400000_NS6detail17trampoline_kernelINS0_14default_configENS1_25partition_config_selectorILNS1_17partition_subalgoE9EllbEEZZNS1_14partition_implILS5_9ELb0ES3_jPlS8_PNS0_10empty_typeENS0_5tupleIJS8_S9_EEENSB_IJS8_SA_EEENS0_18inequality_wrapperIZN2at6native12_GLOBAL__N_124unique_dim_cuda_templateIbEESt5tupleIJNSF_6TensorESK_SK_EERKSK_lbbbEUlllE0_EEPmJS9_EEE10hipError_tPvRmT3_T4_T5_T6_T7_T9_mT8_P12ihipStream_tbDpT10_ENKUlT_T0_E_clISt17integral_constantIbLb1EES19_IbLb0EEEEDaS15_S16_EUlS15_E_NS1_11comp_targetILNS1_3genE10ELNS1_11target_archE1200ELNS1_3gpuE4ELNS1_3repE0EEENS1_30default_config_static_selectorELNS0_4arch9wavefront6targetE0EEEvT1_
	.p2align	8
	.type	_ZN7rocprim17ROCPRIM_400000_NS6detail17trampoline_kernelINS0_14default_configENS1_25partition_config_selectorILNS1_17partition_subalgoE9EllbEEZZNS1_14partition_implILS5_9ELb0ES3_jPlS8_PNS0_10empty_typeENS0_5tupleIJS8_S9_EEENSB_IJS8_SA_EEENS0_18inequality_wrapperIZN2at6native12_GLOBAL__N_124unique_dim_cuda_templateIbEESt5tupleIJNSF_6TensorESK_SK_EERKSK_lbbbEUlllE0_EEPmJS9_EEE10hipError_tPvRmT3_T4_T5_T6_T7_T9_mT8_P12ihipStream_tbDpT10_ENKUlT_T0_E_clISt17integral_constantIbLb1EES19_IbLb0EEEEDaS15_S16_EUlS15_E_NS1_11comp_targetILNS1_3genE10ELNS1_11target_archE1200ELNS1_3gpuE4ELNS1_3repE0EEENS1_30default_config_static_selectorELNS0_4arch9wavefront6targetE0EEEvT1_,@function
_ZN7rocprim17ROCPRIM_400000_NS6detail17trampoline_kernelINS0_14default_configENS1_25partition_config_selectorILNS1_17partition_subalgoE9EllbEEZZNS1_14partition_implILS5_9ELb0ES3_jPlS8_PNS0_10empty_typeENS0_5tupleIJS8_S9_EEENSB_IJS8_SA_EEENS0_18inequality_wrapperIZN2at6native12_GLOBAL__N_124unique_dim_cuda_templateIbEESt5tupleIJNSF_6TensorESK_SK_EERKSK_lbbbEUlllE0_EEPmJS9_EEE10hipError_tPvRmT3_T4_T5_T6_T7_T9_mT8_P12ihipStream_tbDpT10_ENKUlT_T0_E_clISt17integral_constantIbLb1EES19_IbLb0EEEEDaS15_S16_EUlS15_E_NS1_11comp_targetILNS1_3genE10ELNS1_11target_archE1200ELNS1_3gpuE4ELNS1_3repE0EEENS1_30default_config_static_selectorELNS0_4arch9wavefront6targetE0EEEvT1_: ; @_ZN7rocprim17ROCPRIM_400000_NS6detail17trampoline_kernelINS0_14default_configENS1_25partition_config_selectorILNS1_17partition_subalgoE9EllbEEZZNS1_14partition_implILS5_9ELb0ES3_jPlS8_PNS0_10empty_typeENS0_5tupleIJS8_S9_EEENSB_IJS8_SA_EEENS0_18inequality_wrapperIZN2at6native12_GLOBAL__N_124unique_dim_cuda_templateIbEESt5tupleIJNSF_6TensorESK_SK_EERKSK_lbbbEUlllE0_EEPmJS9_EEE10hipError_tPvRmT3_T4_T5_T6_T7_T9_mT8_P12ihipStream_tbDpT10_ENKUlT_T0_E_clISt17integral_constantIbLb1EES19_IbLb0EEEEDaS15_S16_EUlS15_E_NS1_11comp_targetILNS1_3genE10ELNS1_11target_archE1200ELNS1_3gpuE4ELNS1_3repE0EEENS1_30default_config_static_selectorELNS0_4arch9wavefront6targetE0EEEvT1_
; %bb.0:
	.section	.rodata,"a",@progbits
	.p2align	6, 0x0
	.amdhsa_kernel _ZN7rocprim17ROCPRIM_400000_NS6detail17trampoline_kernelINS0_14default_configENS1_25partition_config_selectorILNS1_17partition_subalgoE9EllbEEZZNS1_14partition_implILS5_9ELb0ES3_jPlS8_PNS0_10empty_typeENS0_5tupleIJS8_S9_EEENSB_IJS8_SA_EEENS0_18inequality_wrapperIZN2at6native12_GLOBAL__N_124unique_dim_cuda_templateIbEESt5tupleIJNSF_6TensorESK_SK_EERKSK_lbbbEUlllE0_EEPmJS9_EEE10hipError_tPvRmT3_T4_T5_T6_T7_T9_mT8_P12ihipStream_tbDpT10_ENKUlT_T0_E_clISt17integral_constantIbLb1EES19_IbLb0EEEEDaS15_S16_EUlS15_E_NS1_11comp_targetILNS1_3genE10ELNS1_11target_archE1200ELNS1_3gpuE4ELNS1_3repE0EEENS1_30default_config_static_selectorELNS0_4arch9wavefront6targetE0EEEvT1_
		.amdhsa_group_segment_fixed_size 0
		.amdhsa_private_segment_fixed_size 0
		.amdhsa_kernarg_size 120
		.amdhsa_user_sgpr_count 15
		.amdhsa_user_sgpr_dispatch_ptr 0
		.amdhsa_user_sgpr_queue_ptr 0
		.amdhsa_user_sgpr_kernarg_segment_ptr 1
		.amdhsa_user_sgpr_dispatch_id 0
		.amdhsa_user_sgpr_private_segment_size 0
		.amdhsa_wavefront_size32 1
		.amdhsa_uses_dynamic_stack 0
		.amdhsa_enable_private_segment 0
		.amdhsa_system_sgpr_workgroup_id_x 1
		.amdhsa_system_sgpr_workgroup_id_y 0
		.amdhsa_system_sgpr_workgroup_id_z 0
		.amdhsa_system_sgpr_workgroup_info 0
		.amdhsa_system_vgpr_workitem_id 0
		.amdhsa_next_free_vgpr 1
		.amdhsa_next_free_sgpr 1
		.amdhsa_reserve_vcc 0
		.amdhsa_float_round_mode_32 0
		.amdhsa_float_round_mode_16_64 0
		.amdhsa_float_denorm_mode_32 3
		.amdhsa_float_denorm_mode_16_64 3
		.amdhsa_dx10_clamp 1
		.amdhsa_ieee_mode 1
		.amdhsa_fp16_overflow 0
		.amdhsa_workgroup_processor_mode 1
		.amdhsa_memory_ordered 1
		.amdhsa_forward_progress 0
		.amdhsa_shared_vgpr_count 0
		.amdhsa_exception_fp_ieee_invalid_op 0
		.amdhsa_exception_fp_denorm_src 0
		.amdhsa_exception_fp_ieee_div_zero 0
		.amdhsa_exception_fp_ieee_overflow 0
		.amdhsa_exception_fp_ieee_underflow 0
		.amdhsa_exception_fp_ieee_inexact 0
		.amdhsa_exception_int_div_zero 0
	.end_amdhsa_kernel
	.section	.text._ZN7rocprim17ROCPRIM_400000_NS6detail17trampoline_kernelINS0_14default_configENS1_25partition_config_selectorILNS1_17partition_subalgoE9EllbEEZZNS1_14partition_implILS5_9ELb0ES3_jPlS8_PNS0_10empty_typeENS0_5tupleIJS8_S9_EEENSB_IJS8_SA_EEENS0_18inequality_wrapperIZN2at6native12_GLOBAL__N_124unique_dim_cuda_templateIbEESt5tupleIJNSF_6TensorESK_SK_EERKSK_lbbbEUlllE0_EEPmJS9_EEE10hipError_tPvRmT3_T4_T5_T6_T7_T9_mT8_P12ihipStream_tbDpT10_ENKUlT_T0_E_clISt17integral_constantIbLb1EES19_IbLb0EEEEDaS15_S16_EUlS15_E_NS1_11comp_targetILNS1_3genE10ELNS1_11target_archE1200ELNS1_3gpuE4ELNS1_3repE0EEENS1_30default_config_static_selectorELNS0_4arch9wavefront6targetE0EEEvT1_,"axG",@progbits,_ZN7rocprim17ROCPRIM_400000_NS6detail17trampoline_kernelINS0_14default_configENS1_25partition_config_selectorILNS1_17partition_subalgoE9EllbEEZZNS1_14partition_implILS5_9ELb0ES3_jPlS8_PNS0_10empty_typeENS0_5tupleIJS8_S9_EEENSB_IJS8_SA_EEENS0_18inequality_wrapperIZN2at6native12_GLOBAL__N_124unique_dim_cuda_templateIbEESt5tupleIJNSF_6TensorESK_SK_EERKSK_lbbbEUlllE0_EEPmJS9_EEE10hipError_tPvRmT3_T4_T5_T6_T7_T9_mT8_P12ihipStream_tbDpT10_ENKUlT_T0_E_clISt17integral_constantIbLb1EES19_IbLb0EEEEDaS15_S16_EUlS15_E_NS1_11comp_targetILNS1_3genE10ELNS1_11target_archE1200ELNS1_3gpuE4ELNS1_3repE0EEENS1_30default_config_static_selectorELNS0_4arch9wavefront6targetE0EEEvT1_,comdat
.Lfunc_end1104:
	.size	_ZN7rocprim17ROCPRIM_400000_NS6detail17trampoline_kernelINS0_14default_configENS1_25partition_config_selectorILNS1_17partition_subalgoE9EllbEEZZNS1_14partition_implILS5_9ELb0ES3_jPlS8_PNS0_10empty_typeENS0_5tupleIJS8_S9_EEENSB_IJS8_SA_EEENS0_18inequality_wrapperIZN2at6native12_GLOBAL__N_124unique_dim_cuda_templateIbEESt5tupleIJNSF_6TensorESK_SK_EERKSK_lbbbEUlllE0_EEPmJS9_EEE10hipError_tPvRmT3_T4_T5_T6_T7_T9_mT8_P12ihipStream_tbDpT10_ENKUlT_T0_E_clISt17integral_constantIbLb1EES19_IbLb0EEEEDaS15_S16_EUlS15_E_NS1_11comp_targetILNS1_3genE10ELNS1_11target_archE1200ELNS1_3gpuE4ELNS1_3repE0EEENS1_30default_config_static_selectorELNS0_4arch9wavefront6targetE0EEEvT1_, .Lfunc_end1104-_ZN7rocprim17ROCPRIM_400000_NS6detail17trampoline_kernelINS0_14default_configENS1_25partition_config_selectorILNS1_17partition_subalgoE9EllbEEZZNS1_14partition_implILS5_9ELb0ES3_jPlS8_PNS0_10empty_typeENS0_5tupleIJS8_S9_EEENSB_IJS8_SA_EEENS0_18inequality_wrapperIZN2at6native12_GLOBAL__N_124unique_dim_cuda_templateIbEESt5tupleIJNSF_6TensorESK_SK_EERKSK_lbbbEUlllE0_EEPmJS9_EEE10hipError_tPvRmT3_T4_T5_T6_T7_T9_mT8_P12ihipStream_tbDpT10_ENKUlT_T0_E_clISt17integral_constantIbLb1EES19_IbLb0EEEEDaS15_S16_EUlS15_E_NS1_11comp_targetILNS1_3genE10ELNS1_11target_archE1200ELNS1_3gpuE4ELNS1_3repE0EEENS1_30default_config_static_selectorELNS0_4arch9wavefront6targetE0EEEvT1_
                                        ; -- End function
	.section	.AMDGPU.csdata,"",@progbits
; Kernel info:
; codeLenInByte = 0
; NumSgprs: 0
; NumVgprs: 0
; ScratchSize: 0
; MemoryBound: 0
; FloatMode: 240
; IeeeMode: 1
; LDSByteSize: 0 bytes/workgroup (compile time only)
; SGPRBlocks: 0
; VGPRBlocks: 0
; NumSGPRsForWavesPerEU: 1
; NumVGPRsForWavesPerEU: 1
; Occupancy: 15
; WaveLimiterHint : 0
; COMPUTE_PGM_RSRC2:SCRATCH_EN: 0
; COMPUTE_PGM_RSRC2:USER_SGPR: 15
; COMPUTE_PGM_RSRC2:TRAP_HANDLER: 0
; COMPUTE_PGM_RSRC2:TGID_X_EN: 1
; COMPUTE_PGM_RSRC2:TGID_Y_EN: 0
; COMPUTE_PGM_RSRC2:TGID_Z_EN: 0
; COMPUTE_PGM_RSRC2:TIDIG_COMP_CNT: 0
	.section	.text._ZN7rocprim17ROCPRIM_400000_NS6detail17trampoline_kernelINS0_14default_configENS1_25partition_config_selectorILNS1_17partition_subalgoE9EllbEEZZNS1_14partition_implILS5_9ELb0ES3_jPlS8_PNS0_10empty_typeENS0_5tupleIJS8_S9_EEENSB_IJS8_SA_EEENS0_18inequality_wrapperIZN2at6native12_GLOBAL__N_124unique_dim_cuda_templateIbEESt5tupleIJNSF_6TensorESK_SK_EERKSK_lbbbEUlllE0_EEPmJS9_EEE10hipError_tPvRmT3_T4_T5_T6_T7_T9_mT8_P12ihipStream_tbDpT10_ENKUlT_T0_E_clISt17integral_constantIbLb1EES19_IbLb0EEEEDaS15_S16_EUlS15_E_NS1_11comp_targetILNS1_3genE9ELNS1_11target_archE1100ELNS1_3gpuE3ELNS1_3repE0EEENS1_30default_config_static_selectorELNS0_4arch9wavefront6targetE0EEEvT1_,"axG",@progbits,_ZN7rocprim17ROCPRIM_400000_NS6detail17trampoline_kernelINS0_14default_configENS1_25partition_config_selectorILNS1_17partition_subalgoE9EllbEEZZNS1_14partition_implILS5_9ELb0ES3_jPlS8_PNS0_10empty_typeENS0_5tupleIJS8_S9_EEENSB_IJS8_SA_EEENS0_18inequality_wrapperIZN2at6native12_GLOBAL__N_124unique_dim_cuda_templateIbEESt5tupleIJNSF_6TensorESK_SK_EERKSK_lbbbEUlllE0_EEPmJS9_EEE10hipError_tPvRmT3_T4_T5_T6_T7_T9_mT8_P12ihipStream_tbDpT10_ENKUlT_T0_E_clISt17integral_constantIbLb1EES19_IbLb0EEEEDaS15_S16_EUlS15_E_NS1_11comp_targetILNS1_3genE9ELNS1_11target_archE1100ELNS1_3gpuE3ELNS1_3repE0EEENS1_30default_config_static_selectorELNS0_4arch9wavefront6targetE0EEEvT1_,comdat
	.globl	_ZN7rocprim17ROCPRIM_400000_NS6detail17trampoline_kernelINS0_14default_configENS1_25partition_config_selectorILNS1_17partition_subalgoE9EllbEEZZNS1_14partition_implILS5_9ELb0ES3_jPlS8_PNS0_10empty_typeENS0_5tupleIJS8_S9_EEENSB_IJS8_SA_EEENS0_18inequality_wrapperIZN2at6native12_GLOBAL__N_124unique_dim_cuda_templateIbEESt5tupleIJNSF_6TensorESK_SK_EERKSK_lbbbEUlllE0_EEPmJS9_EEE10hipError_tPvRmT3_T4_T5_T6_T7_T9_mT8_P12ihipStream_tbDpT10_ENKUlT_T0_E_clISt17integral_constantIbLb1EES19_IbLb0EEEEDaS15_S16_EUlS15_E_NS1_11comp_targetILNS1_3genE9ELNS1_11target_archE1100ELNS1_3gpuE3ELNS1_3repE0EEENS1_30default_config_static_selectorELNS0_4arch9wavefront6targetE0EEEvT1_ ; -- Begin function _ZN7rocprim17ROCPRIM_400000_NS6detail17trampoline_kernelINS0_14default_configENS1_25partition_config_selectorILNS1_17partition_subalgoE9EllbEEZZNS1_14partition_implILS5_9ELb0ES3_jPlS8_PNS0_10empty_typeENS0_5tupleIJS8_S9_EEENSB_IJS8_SA_EEENS0_18inequality_wrapperIZN2at6native12_GLOBAL__N_124unique_dim_cuda_templateIbEESt5tupleIJNSF_6TensorESK_SK_EERKSK_lbbbEUlllE0_EEPmJS9_EEE10hipError_tPvRmT3_T4_T5_T6_T7_T9_mT8_P12ihipStream_tbDpT10_ENKUlT_T0_E_clISt17integral_constantIbLb1EES19_IbLb0EEEEDaS15_S16_EUlS15_E_NS1_11comp_targetILNS1_3genE9ELNS1_11target_archE1100ELNS1_3gpuE3ELNS1_3repE0EEENS1_30default_config_static_selectorELNS0_4arch9wavefront6targetE0EEEvT1_
	.p2align	8
	.type	_ZN7rocprim17ROCPRIM_400000_NS6detail17trampoline_kernelINS0_14default_configENS1_25partition_config_selectorILNS1_17partition_subalgoE9EllbEEZZNS1_14partition_implILS5_9ELb0ES3_jPlS8_PNS0_10empty_typeENS0_5tupleIJS8_S9_EEENSB_IJS8_SA_EEENS0_18inequality_wrapperIZN2at6native12_GLOBAL__N_124unique_dim_cuda_templateIbEESt5tupleIJNSF_6TensorESK_SK_EERKSK_lbbbEUlllE0_EEPmJS9_EEE10hipError_tPvRmT3_T4_T5_T6_T7_T9_mT8_P12ihipStream_tbDpT10_ENKUlT_T0_E_clISt17integral_constantIbLb1EES19_IbLb0EEEEDaS15_S16_EUlS15_E_NS1_11comp_targetILNS1_3genE9ELNS1_11target_archE1100ELNS1_3gpuE3ELNS1_3repE0EEENS1_30default_config_static_selectorELNS0_4arch9wavefront6targetE0EEEvT1_,@function
_ZN7rocprim17ROCPRIM_400000_NS6detail17trampoline_kernelINS0_14default_configENS1_25partition_config_selectorILNS1_17partition_subalgoE9EllbEEZZNS1_14partition_implILS5_9ELb0ES3_jPlS8_PNS0_10empty_typeENS0_5tupleIJS8_S9_EEENSB_IJS8_SA_EEENS0_18inequality_wrapperIZN2at6native12_GLOBAL__N_124unique_dim_cuda_templateIbEESt5tupleIJNSF_6TensorESK_SK_EERKSK_lbbbEUlllE0_EEPmJS9_EEE10hipError_tPvRmT3_T4_T5_T6_T7_T9_mT8_P12ihipStream_tbDpT10_ENKUlT_T0_E_clISt17integral_constantIbLb1EES19_IbLb0EEEEDaS15_S16_EUlS15_E_NS1_11comp_targetILNS1_3genE9ELNS1_11target_archE1100ELNS1_3gpuE3ELNS1_3repE0EEENS1_30default_config_static_selectorELNS0_4arch9wavefront6targetE0EEEvT1_: ; @_ZN7rocprim17ROCPRIM_400000_NS6detail17trampoline_kernelINS0_14default_configENS1_25partition_config_selectorILNS1_17partition_subalgoE9EllbEEZZNS1_14partition_implILS5_9ELb0ES3_jPlS8_PNS0_10empty_typeENS0_5tupleIJS8_S9_EEENSB_IJS8_SA_EEENS0_18inequality_wrapperIZN2at6native12_GLOBAL__N_124unique_dim_cuda_templateIbEESt5tupleIJNSF_6TensorESK_SK_EERKSK_lbbbEUlllE0_EEPmJS9_EEE10hipError_tPvRmT3_T4_T5_T6_T7_T9_mT8_P12ihipStream_tbDpT10_ENKUlT_T0_E_clISt17integral_constantIbLb1EES19_IbLb0EEEEDaS15_S16_EUlS15_E_NS1_11comp_targetILNS1_3genE9ELNS1_11target_archE1100ELNS1_3gpuE3ELNS1_3repE0EEENS1_30default_config_static_selectorELNS0_4arch9wavefront6targetE0EEEvT1_
; %bb.0:
	s_clause 0x3
	s_load_b128 s[4:7], s[0:1], 0x8
	s_load_b32 s8, s[0:1], 0x70
	s_load_b256 s[16:23], s[0:1], 0x40
	s_load_b64 s[24:25], s[0:1], 0x18
	s_mov_b32 s3, 0
	v_lshlrev_b32_e32 v55, 3, v0
	v_lshrrev_b32_e32 v33, 2, v0
	v_or_b32_e32 v38, 0x200, v0
	v_or_b32_e32 v36, 0x400, v0
	;; [unrolled: 1-line block ×7, first 2 shown]
	s_waitcnt lgkmcnt(0)
	s_lshl_b64 s[26:27], s[6:7], 3
	s_delay_alu instid0(SALU_CYCLE_1)
	s_add_u32 s9, s4, s26
	s_addc_u32 s10, s5, s27
	s_add_i32 s11, s8, -1
	s_load_b64 s[12:13], s[18:19], 0x0
	s_lshl_b32 s4, s11, 12
	s_lshl_b32 s5, s8, 12
	s_add_i32 s4, s6, s4
	s_lshl_b32 s2, s15, 12
	s_sub_i32 s28, s20, s4
	s_add_u32 s4, s6, s5
	s_addc_u32 s5, s7, 0
	s_cmp_eq_u32 s15, s11
	v_cmp_ge_u64_e64 s4, s[4:5], s[20:21]
	s_cselect_b32 s14, -1, 0
	s_lshl_b64 s[18:19], s[2:3], 3
	s_mov_b32 s3, -1
	s_delay_alu instid0(VALU_DEP_1) | instskip(NEXT) | instid1(SALU_CYCLE_1)
	s_and_b32 s21, s14, s4
	s_xor_b32 s20, s21, -1
	s_add_u32 s4, s9, s18
	s_addc_u32 s5, s10, s19
	s_and_b32 vcc_lo, exec_lo, s20
	s_cbranch_vccz .LBB1105_2
; %bb.1:
	v_add_co_u32 v9, s2, s4, v55
	s_delay_alu instid0(VALU_DEP_1)
	v_add_co_ci_u32_e64 v10, null, s5, 0, s2
	global_load_b64 v[1:2], v55, s[4:5]
	v_add_co_u32 v3, vcc_lo, v9, 0x2000
	v_add_co_ci_u32_e32 v4, vcc_lo, 0, v10, vcc_lo
	v_add_co_u32 v5, vcc_lo, v9, 0x4000
	v_add_co_ci_u32_e32 v6, vcc_lo, 0, v10, vcc_lo
	;; [unrolled: 2-line block ×4, first 2 shown]
	s_clause 0x6
	global_load_b64 v[11:12], v[3:4], off offset:-4096
	global_load_b64 v[3:4], v[3:4], off
	global_load_b64 v[13:14], v[5:6], off offset:-4096
	global_load_b64 v[5:6], v[5:6], off
	;; [unrolled: 2-line block ×3, first 2 shown]
	global_load_b64 v[9:10], v[9:10], off
	v_lshrrev_b32_e32 v18, 2, v38
	v_lshrrev_b32_e32 v19, 2, v36
	;; [unrolled: 1-line block ×4, first 2 shown]
	v_and_b32_e32 v17, 0x78, v33
	v_lshrrev_b32_e32 v22, 2, v37
	v_lshrrev_b32_e32 v23, 2, v34
	;; [unrolled: 1-line block ×3, first 2 shown]
	v_and_b32_e32 v18, 0xf8, v18
	v_and_b32_e32 v19, 0x178, v19
	;; [unrolled: 1-line block ×4, first 2 shown]
	v_add_nc_u32_e32 v17, v17, v55
	v_and_b32_e32 v22, 0x2f8, v22
	v_and_b32_e32 v23, 0x378, v23
	;; [unrolled: 1-line block ×3, first 2 shown]
	v_add_nc_u32_e32 v18, v18, v55
	v_add_nc_u32_e32 v19, v19, v55
	;; [unrolled: 1-line block ×4, first 2 shown]
	s_mov_b32 s3, 0
	v_add_nc_u32_e32 v22, v22, v55
	v_add_nc_u32_e32 v23, v23, v55
	;; [unrolled: 1-line block ×3, first 2 shown]
	s_waitcnt vmcnt(7)
	ds_store_b64 v17, v[1:2]
	s_waitcnt vmcnt(6)
	ds_store_b64 v18, v[11:12] offset:4096
	s_waitcnt vmcnt(5)
	ds_store_b64 v19, v[3:4] offset:8192
	;; [unrolled: 2-line block ×7, first 2 shown]
	s_waitcnt lgkmcnt(0)
	s_barrier
.LBB1105_2:
	s_load_b128 s[8:11], s[0:1], 0x60
	v_cmp_gt_u32_e64 s2, s28, v0
	s_and_not1_b32 vcc_lo, exec_lo, s3
	s_cbranch_vccnz .LBB1105_20
; %bb.3:
                                        ; implicit-def: $vgpr1_vgpr2_vgpr3_vgpr4_vgpr5_vgpr6_vgpr7_vgpr8_vgpr9_vgpr10_vgpr11_vgpr12_vgpr13_vgpr14_vgpr15_vgpr16
	s_delay_alu instid0(VALU_DEP_1)
	s_and_saveexec_b32 s3, s2
	s_cbranch_execz .LBB1105_11
; %bb.4:
	global_load_b64 v[1:2], v55, s[4:5]
	s_or_b32 exec_lo, exec_lo, s3
	s_delay_alu instid0(SALU_CYCLE_1)
	s_mov_b32 s2, exec_lo
	v_cmpx_gt_u32_e64 s28, v38
	s_cbranch_execnz .LBB1105_12
.LBB1105_5:
	s_or_b32 exec_lo, exec_lo, s2
	s_delay_alu instid0(SALU_CYCLE_1)
	s_mov_b32 s2, exec_lo
	v_cmpx_gt_u32_e64 s28, v36
	s_cbranch_execz .LBB1105_13
.LBB1105_6:
	v_lshlrev_b32_e32 v5, 3, v36
	global_load_b64 v[5:6], v5, s[4:5]
	s_or_b32 exec_lo, exec_lo, s2
	s_delay_alu instid0(SALU_CYCLE_1)
	s_mov_b32 s2, exec_lo
	v_cmpx_gt_u32_e64 s28, v40
	s_cbranch_execnz .LBB1105_14
.LBB1105_7:
	s_or_b32 exec_lo, exec_lo, s2
	s_delay_alu instid0(SALU_CYCLE_1)
	s_mov_b32 s2, exec_lo
	v_cmpx_gt_u32_e64 s28, v39
	s_cbranch_execz .LBB1105_15
.LBB1105_8:
	v_lshlrev_b32_e32 v9, 3, v39
	global_load_b64 v[9:10], v9, s[4:5]
	s_or_b32 exec_lo, exec_lo, s2
	s_delay_alu instid0(SALU_CYCLE_1)
	s_mov_b32 s2, exec_lo
	v_cmpx_gt_u32_e64 s28, v37
	s_cbranch_execnz .LBB1105_16
.LBB1105_9:
	s_or_b32 exec_lo, exec_lo, s2
	s_delay_alu instid0(SALU_CYCLE_1)
	s_mov_b32 s2, exec_lo
	v_cmpx_gt_u32_e64 s28, v34
	s_cbranch_execz .LBB1105_17
.LBB1105_10:
	v_lshlrev_b32_e32 v13, 3, v34
	global_load_b64 v[13:14], v13, s[4:5]
	s_or_b32 exec_lo, exec_lo, s2
	s_delay_alu instid0(SALU_CYCLE_1)
	s_mov_b32 s2, exec_lo
	v_cmpx_gt_u32_e64 s28, v35
	s_cbranch_execnz .LBB1105_18
	s_branch .LBB1105_19
.LBB1105_11:
	s_or_b32 exec_lo, exec_lo, s3
	s_delay_alu instid0(SALU_CYCLE_1)
	s_mov_b32 s2, exec_lo
	v_cmpx_gt_u32_e64 s28, v38
	s_cbranch_execz .LBB1105_5
.LBB1105_12:
	v_lshlrev_b32_e32 v3, 3, v38
	global_load_b64 v[3:4], v3, s[4:5]
	s_or_b32 exec_lo, exec_lo, s2
	s_delay_alu instid0(SALU_CYCLE_1)
	s_mov_b32 s2, exec_lo
	v_cmpx_gt_u32_e64 s28, v36
	s_cbranch_execnz .LBB1105_6
.LBB1105_13:
	s_or_b32 exec_lo, exec_lo, s2
	s_delay_alu instid0(SALU_CYCLE_1)
	s_mov_b32 s2, exec_lo
	v_cmpx_gt_u32_e64 s28, v40
	s_cbranch_execz .LBB1105_7
.LBB1105_14:
	v_lshlrev_b32_e32 v7, 3, v40
	global_load_b64 v[7:8], v7, s[4:5]
	s_or_b32 exec_lo, exec_lo, s2
	s_delay_alu instid0(SALU_CYCLE_1)
	s_mov_b32 s2, exec_lo
	v_cmpx_gt_u32_e64 s28, v39
	s_cbranch_execnz .LBB1105_8
.LBB1105_15:
	s_or_b32 exec_lo, exec_lo, s2
	s_delay_alu instid0(SALU_CYCLE_1)
	s_mov_b32 s2, exec_lo
	v_cmpx_gt_u32_e64 s28, v37
	s_cbranch_execz .LBB1105_9
.LBB1105_16:
	v_lshlrev_b32_e32 v11, 3, v37
	global_load_b64 v[11:12], v11, s[4:5]
	s_or_b32 exec_lo, exec_lo, s2
	s_delay_alu instid0(SALU_CYCLE_1)
	s_mov_b32 s2, exec_lo
	v_cmpx_gt_u32_e64 s28, v34
	s_cbranch_execnz .LBB1105_10
.LBB1105_17:
	s_or_b32 exec_lo, exec_lo, s2
	s_delay_alu instid0(SALU_CYCLE_1)
	s_mov_b32 s2, exec_lo
	v_cmpx_gt_u32_e64 s28, v35
	s_cbranch_execz .LBB1105_19
.LBB1105_18:
	v_lshlrev_b32_e32 v15, 3, v35
	global_load_b64 v[15:16], v15, s[4:5]
.LBB1105_19:
	s_or_b32 exec_lo, exec_lo, s2
	v_lshrrev_b32_e32 v17, 2, v38
	v_lshrrev_b32_e32 v18, 2, v36
	;; [unrolled: 1-line block ×4, first 2 shown]
	v_and_b32_e32 v19, 0x78, v33
	v_lshrrev_b32_e32 v22, 2, v37
	v_lshrrev_b32_e32 v23, 2, v34
	;; [unrolled: 1-line block ×3, first 2 shown]
	v_and_b32_e32 v17, 0xf8, v17
	v_and_b32_e32 v18, 0x1f8, v18
	;; [unrolled: 1-line block ×4, first 2 shown]
	v_add_nc_u32_e32 v19, v19, v55
	v_and_b32_e32 v22, 0x3f8, v22
	v_and_b32_e32 v23, 0x3f8, v23
	;; [unrolled: 1-line block ×3, first 2 shown]
	v_add_nc_u32_e32 v17, v17, v55
	v_add_nc_u32_e32 v18, v18, v55
	;; [unrolled: 1-line block ×7, first 2 shown]
	s_waitcnt vmcnt(0)
	ds_store_b64 v19, v[1:2]
	ds_store_b64 v17, v[3:4] offset:4096
	ds_store_b64 v18, v[5:6] offset:8192
	;; [unrolled: 1-line block ×7, first 2 shown]
	s_waitcnt lgkmcnt(0)
	s_barrier
.LBB1105_20:
	v_add_lshl_u32 v41, v33, v55, 3
	s_waitcnt lgkmcnt(0)
	buffer_gl0_inv
	s_add_u32 s2, s24, s26
	s_addc_u32 s3, s25, s27
	s_add_u32 s2, s2, s18
	ds_load_2addr_b64 v[29:32], v41 offset1:1
	ds_load_2addr_b64 v[25:28], v41 offset0:2 offset1:3
	ds_load_2addr_b64 v[21:24], v41 offset0:4 offset1:5
	;; [unrolled: 1-line block ×3, first 2 shown]
	s_addc_u32 s3, s3, s19
	s_and_b32 vcc_lo, exec_lo, s20
	s_mov_b32 s18, -1
	s_waitcnt lgkmcnt(0)
	s_barrier
	buffer_gl0_inv
	s_cbranch_vccz .LBB1105_22
; %bb.21:
	v_add_co_u32 v9, s18, s2, v55
	s_delay_alu instid0(VALU_DEP_1)
	v_add_co_ci_u32_e64 v10, null, s3, 0, s18
	global_load_b64 v[1:2], v55, s[2:3]
	v_add_co_u32 v3, vcc_lo, v9, 0x2000
	v_add_co_ci_u32_e32 v4, vcc_lo, 0, v10, vcc_lo
	v_add_co_u32 v5, vcc_lo, v9, 0x4000
	v_add_co_ci_u32_e32 v6, vcc_lo, 0, v10, vcc_lo
	;; [unrolled: 2-line block ×4, first 2 shown]
	s_clause 0x6
	global_load_b64 v[11:12], v[3:4], off offset:-4096
	global_load_b64 v[3:4], v[3:4], off
	global_load_b64 v[13:14], v[5:6], off offset:-4096
	global_load_b64 v[5:6], v[5:6], off
	;; [unrolled: 2-line block ×3, first 2 shown]
	global_load_b64 v[9:10], v[9:10], off
	v_lshrrev_b32_e32 v43, 2, v38
	v_lshrrev_b32_e32 v44, 2, v36
	;; [unrolled: 1-line block ×4, first 2 shown]
	v_and_b32_e32 v42, 0x78, v33
	v_lshrrev_b32_e32 v47, 2, v37
	v_lshrrev_b32_e32 v48, 2, v34
	;; [unrolled: 1-line block ×3, first 2 shown]
	v_and_b32_e32 v43, 0xf8, v43
	v_and_b32_e32 v44, 0x178, v44
	;; [unrolled: 1-line block ×4, first 2 shown]
	v_add_nc_u32_e32 v42, v42, v55
	v_and_b32_e32 v47, 0x2f8, v47
	v_and_b32_e32 v48, 0x378, v48
	v_and_b32_e32 v49, 0x3f8, v49
	v_add_nc_u32_e32 v43, v43, v55
	v_add_nc_u32_e32 v44, v44, v55
	;; [unrolled: 1-line block ×4, first 2 shown]
	s_mov_b32 s18, 0
	v_add_nc_u32_e32 v47, v47, v55
	v_add_nc_u32_e32 v48, v48, v55
	;; [unrolled: 1-line block ×3, first 2 shown]
	s_waitcnt vmcnt(7)
	ds_store_b64 v42, v[1:2]
	s_waitcnt vmcnt(6)
	ds_store_b64 v43, v[11:12] offset:4096
	s_waitcnt vmcnt(5)
	ds_store_b64 v44, v[3:4] offset:8192
	;; [unrolled: 2-line block ×7, first 2 shown]
	s_waitcnt lgkmcnt(0)
	s_barrier
.LBB1105_22:
	s_and_not1_b32 vcc_lo, exec_lo, s18
	s_cbranch_vccnz .LBB1105_40
; %bb.23:
	s_mov_b32 s18, exec_lo
                                        ; implicit-def: $vgpr1_vgpr2
	v_cmpx_gt_u32_e64 s28, v0
	s_cbranch_execz .LBB1105_25
; %bb.24:
	global_load_b64 v[1:2], v55, s[2:3]
.LBB1105_25:
	s_or_b32 exec_lo, exec_lo, s18
	s_delay_alu instid0(SALU_CYCLE_1)
	s_mov_b32 s18, exec_lo
                                        ; implicit-def: $vgpr3_vgpr4
	v_cmpx_gt_u32_e64 s28, v38
	s_cbranch_execz .LBB1105_27
; %bb.26:
	v_lshlrev_b32_e32 v3, 3, v38
	global_load_b64 v[3:4], v3, s[2:3]
.LBB1105_27:
	s_or_b32 exec_lo, exec_lo, s18
	s_delay_alu instid0(SALU_CYCLE_1)
	s_mov_b32 s18, exec_lo
                                        ; implicit-def: $vgpr5_vgpr6
	v_cmpx_gt_u32_e64 s28, v36
	s_cbranch_execz .LBB1105_29
; %bb.28:
	v_lshlrev_b32_e32 v5, 3, v36
	global_load_b64 v[5:6], v5, s[2:3]
.LBB1105_29:
	s_or_b32 exec_lo, exec_lo, s18
	s_delay_alu instid0(SALU_CYCLE_1)
	s_mov_b32 s18, exec_lo
                                        ; implicit-def: $vgpr7_vgpr8
	v_cmpx_gt_u32_e64 s28, v40
	s_cbranch_execz .LBB1105_31
; %bb.30:
	v_lshlrev_b32_e32 v7, 3, v40
	global_load_b64 v[7:8], v7, s[2:3]
.LBB1105_31:
	s_or_b32 exec_lo, exec_lo, s18
	s_delay_alu instid0(SALU_CYCLE_1)
	s_mov_b32 s18, exec_lo
                                        ; implicit-def: $vgpr9_vgpr10
	v_cmpx_gt_u32_e64 s28, v39
	s_cbranch_execz .LBB1105_33
; %bb.32:
	v_lshlrev_b32_e32 v9, 3, v39
	global_load_b64 v[9:10], v9, s[2:3]
.LBB1105_33:
	s_or_b32 exec_lo, exec_lo, s18
	s_delay_alu instid0(SALU_CYCLE_1)
	s_mov_b32 s18, exec_lo
                                        ; implicit-def: $vgpr11_vgpr12
	v_cmpx_gt_u32_e64 s28, v37
	s_cbranch_execz .LBB1105_35
; %bb.34:
	v_lshlrev_b32_e32 v11, 3, v37
	global_load_b64 v[11:12], v11, s[2:3]
.LBB1105_35:
	s_or_b32 exec_lo, exec_lo, s18
	s_delay_alu instid0(SALU_CYCLE_1)
	s_mov_b32 s18, exec_lo
                                        ; implicit-def: $vgpr13_vgpr14
	v_cmpx_gt_u32_e64 s28, v34
	s_cbranch_execz .LBB1105_37
; %bb.36:
	v_lshlrev_b32_e32 v13, 3, v34
	global_load_b64 v[13:14], v13, s[2:3]
.LBB1105_37:
	s_or_b32 exec_lo, exec_lo, s18
	s_delay_alu instid0(SALU_CYCLE_1)
	s_mov_b32 s18, exec_lo
                                        ; implicit-def: $vgpr15_vgpr16
	v_cmpx_gt_u32_e64 s28, v35
	s_cbranch_execz .LBB1105_39
; %bb.38:
	v_lshlrev_b32_e32 v15, 3, v35
	global_load_b64 v[15:16], v15, s[2:3]
.LBB1105_39:
	s_or_b32 exec_lo, exec_lo, s18
	v_lshrrev_b32_e32 v38, 2, v38
	v_lshrrev_b32_e32 v36, 2, v36
	v_lshrrev_b32_e32 v40, 2, v40
	v_lshrrev_b32_e32 v39, 2, v39
	v_and_b32_e32 v33, 0x78, v33
	v_lshrrev_b32_e32 v37, 2, v37
	v_lshrrev_b32_e32 v34, 2, v34
	;; [unrolled: 1-line block ×3, first 2 shown]
	v_and_b32_e32 v38, 0xf8, v38
	v_and_b32_e32 v36, 0x1f8, v36
	;; [unrolled: 1-line block ×4, first 2 shown]
	v_add_nc_u32_e32 v33, v33, v55
	v_and_b32_e32 v37, 0x3f8, v37
	v_and_b32_e32 v34, 0x3f8, v34
	;; [unrolled: 1-line block ×3, first 2 shown]
	v_add_nc_u32_e32 v38, v38, v55
	v_add_nc_u32_e32 v36, v36, v55
	;; [unrolled: 1-line block ×7, first 2 shown]
	s_waitcnt vmcnt(0)
	ds_store_b64 v33, v[1:2]
	ds_store_b64 v38, v[3:4] offset:4096
	ds_store_b64 v36, v[5:6] offset:8192
	;; [unrolled: 1-line block ×7, first 2 shown]
	s_waitcnt lgkmcnt(0)
	s_barrier
.LBB1105_40:
	buffer_gl0_inv
	ds_load_2addr_b64 v[13:16], v41 offset1:1
	ds_load_2addr_b64 v[9:12], v41 offset0:2 offset1:3
	ds_load_2addr_b64 v[5:8], v41 offset0:4 offset1:5
	;; [unrolled: 1-line block ×3, first 2 shown]
	s_cmp_lg_u32 s15, 0
	v_cmp_lt_i64_e64 s19, s[22:23], 1
	s_cselect_b32 s18, -1, 0
	s_cmp_lg_u64 s[6:7], 0
	s_mov_b32 s6, 0
	s_cselect_b32 s2, -1, 0
	s_waitcnt lgkmcnt(0)
	s_or_b32 s3, s18, s2
	v_cmp_gt_i64_e64 s2, s[22:23], 0
	s_and_b32 vcc_lo, exec_lo, s3
	s_barrier
	buffer_gl0_inv
	s_cbranch_vccz .LBB1105_49
; %bb.41:
	s_add_u32 s4, s4, -8
	s_addc_u32 s5, s5, -1
	s_and_b32 vcc_lo, exec_lo, s20
	s_load_b64 s[4:5], s[4:5], 0x0
	ds_store_b64 v55, v[19:20]
	s_cbranch_vccz .LBB1105_50
; %bb.42:
	v_cndmask_b32_e64 v42, 0, 1, s2
	s_and_not1_b32 vcc_lo, exec_lo, s2
	s_cbranch_vccnz .LBB1105_51
; %bb.43:
	v_mad_u64_u32 v[33:34], null, v17, s22, s[8:9]
	v_mul_lo_u32 v37, v17, s23
	v_mul_lo_u32 v38, v18, s22
	v_mad_u64_u32 v[35:36], null, v19, s22, s[8:9]
	v_mul_lo_u32 v39, v19, s23
	v_mul_lo_u32 v40, v20, s22
	s_mov_b32 s26, 0
	s_mov_b32 s24, -1
	s_delay_alu instid0(VALU_DEP_4) | instskip(NEXT) | instid1(VALU_DEP_2)
	v_add3_u32 v34, v38, v34, v37
	v_add3_u32 v36, v40, v36, v39
	s_clause 0x1
	global_load_u8 v37, v[33:34], off
	global_load_u8 v38, v[35:36], off
	s_waitcnt vmcnt(1)
	v_cmp_ne_u16_e32 vcc_lo, 0, v37
	s_waitcnt vmcnt(0)
	v_cmp_ne_u16_e64 s2, 0, v38
	s_delay_alu instid0(VALU_DEP_1) | instskip(NEXT) | instid1(SALU_CYCLE_1)
	s_xor_b32 s2, vcc_lo, s2
	s_xor_b32 s2, s2, -1
	s_delay_alu instid0(SALU_CYCLE_1)
	s_and_saveexec_b32 s25, s2
	s_cbranch_execz .LBB1105_53
; %bb.44:
	s_mov_b64 s[6:7], 1
                                        ; implicit-def: $sgpr24
	s_set_inst_prefetch_distance 0x1
	s_branch .LBB1105_47
	.p2align	6
.LBB1105_45:                            ;   in Loop: Header=BB1105_47 Depth=1
	v_add_co_u32 v37, s2, v33, s6
	s_delay_alu instid0(VALU_DEP_1) | instskip(SKIP_1) | instid1(VALU_DEP_1)
	v_add_co_ci_u32_e64 v38, s2, s7, v34, s2
	v_add_co_u32 v39, s2, v35, s6
	v_add_co_ci_u32_e64 v40, s2, s7, v36, s2
	s_clause 0x1
	global_load_u8 v37, v[37:38], off
	global_load_u8 v38, v[39:40], off
	s_waitcnt vmcnt(1)
	v_cmp_ne_u16_e64 s2, 0, v37
	s_waitcnt vmcnt(0)
	v_cmp_ne_u16_e64 s3, 0, v38
	s_delay_alu instid0(VALU_DEP_1) | instskip(SKIP_4) | instid1(SALU_CYCLE_1)
	s_xor_b32 s27, s2, s3
	s_add_u32 s2, s6, 1
	s_addc_u32 s3, s7, 0
	s_and_not1_b32 s24, s24, exec_lo
	s_and_b32 s27, s27, exec_lo
	s_or_b32 s24, s24, s27
.LBB1105_46:                            ;   in Loop: Header=BB1105_47 Depth=1
	v_dual_mov_b32 v38, s7 :: v_dual_mov_b32 v37, s6
	s_and_b32 s27, exec_lo, s24
	s_mov_b64 s[6:7], s[2:3]
	s_or_b32 s26, s27, s26
	s_delay_alu instid0(SALU_CYCLE_1)
	s_and_not1_b32 exec_lo, exec_lo, s26
	s_cbranch_execz .LBB1105_52
.LBB1105_47:                            ; =>This Inner Loop Header: Depth=1
	s_or_b32 s24, s24, exec_lo
	s_cmp_eq_u64 s[22:23], s[6:7]
	s_cbranch_scc0 .LBB1105_45
; %bb.48:                               ;   in Loop: Header=BB1105_47 Depth=1
	s_mov_b64 s[6:7], s[22:23]
                                        ; implicit-def: $sgpr2_sgpr3
	s_branch .LBB1105_46
.LBB1105_49:
                                        ; implicit-def: $sgpr2
                                        ; implicit-def: $vgpr34
	s_branch .LBB1105_194
.LBB1105_50:
                                        ; implicit-def: $sgpr2
                                        ; implicit-def: $vgpr34
	s_cbranch_execnz .LBB1105_118
	s_branch .LBB1105_193
.LBB1105_51:
	v_mov_b32_e32 v33, 0
	s_mov_b32 s2, 0
	s_branch .LBB1105_61
.LBB1105_52:
	s_set_inst_prefetch_distance 0x2
	s_or_b32 exec_lo, exec_lo, s26
	v_cmp_gt_i64_e64 s2, s[22:23], v[37:38]
	s_delay_alu instid0(VALU_DEP_1)
	s_or_not1_b32 s24, s2, exec_lo
.LBB1105_53:
	s_or_b32 exec_lo, exec_lo, s25
	v_mad_u64_u32 v[35:36], null, v23, s22, s[8:9]
	v_mul_lo_u32 v37, v23, s23
	v_mul_lo_u32 v38, v24, s22
	s_mov_b32 s26, 0
	s_delay_alu instid0(VALU_DEP_1) | instskip(SKIP_3) | instid1(VALU_DEP_1)
	v_add3_u32 v36, v38, v36, v37
	global_load_u8 v37, v[35:36], off
	s_waitcnt vmcnt(0)
	v_cmp_ne_u16_e64 s2, 0, v37
	s_xor_b32 s3, vcc_lo, s2
	s_mov_b32 s2, -1
	s_xor_b32 s3, s3, -1
	s_delay_alu instid0(SALU_CYCLE_1)
	s_and_saveexec_b32 s25, s3
	s_cbranch_execz .LBB1105_60
; %bb.54:
	s_mov_b64 s[6:7], 1
                                        ; implicit-def: $sgpr27
	s_set_inst_prefetch_distance 0x1
	s_branch .LBB1105_57
	.p2align	6
.LBB1105_55:                            ;   in Loop: Header=BB1105_57 Depth=1
	v_add_co_u32 v37, vcc_lo, v35, s6
	v_add_co_ci_u32_e32 v38, vcc_lo, s7, v36, vcc_lo
	v_add_co_u32 v39, vcc_lo, v33, s6
	v_add_co_ci_u32_e32 v40, vcc_lo, s7, v34, vcc_lo
	s_clause 0x1
	global_load_u8 v37, v[37:38], off
	global_load_u8 v38, v[39:40], off
	s_waitcnt vmcnt(1)
	v_cmp_ne_u16_e32 vcc_lo, 0, v37
	s_waitcnt vmcnt(0)
	v_cmp_ne_u16_e64 s2, 0, v38
	s_delay_alu instid0(VALU_DEP_1) | instskip(SKIP_4) | instid1(SALU_CYCLE_1)
	s_xor_b32 s29, vcc_lo, s2
	s_add_u32 s2, s6, 1
	s_addc_u32 s3, s7, 0
	s_and_not1_b32 s27, s27, exec_lo
	s_and_b32 s29, s29, exec_lo
	s_or_b32 s27, s27, s29
.LBB1105_56:                            ;   in Loop: Header=BB1105_57 Depth=1
	v_dual_mov_b32 v38, s7 :: v_dual_mov_b32 v37, s6
	s_and_b32 s29, exec_lo, s27
	s_mov_b64 s[6:7], s[2:3]
	s_or_b32 s26, s29, s26
	s_delay_alu instid0(SALU_CYCLE_1)
	s_and_not1_b32 exec_lo, exec_lo, s26
	s_cbranch_execz .LBB1105_59
.LBB1105_57:                            ; =>This Inner Loop Header: Depth=1
	s_or_b32 s27, s27, exec_lo
	s_cmp_eq_u64 s[22:23], s[6:7]
	s_cbranch_scc0 .LBB1105_55
; %bb.58:                               ;   in Loop: Header=BB1105_57 Depth=1
	s_mov_b64 s[6:7], s[22:23]
                                        ; implicit-def: $sgpr2_sgpr3
	s_branch .LBB1105_56
.LBB1105_59:
	s_set_inst_prefetch_distance 0x2
	s_or_b32 exec_lo, exec_lo, s26
	v_cmp_gt_i64_e32 vcc_lo, s[22:23], v[37:38]
	s_or_not1_b32 s2, vcc_lo, exec_lo
.LBB1105_60:
	s_or_b32 exec_lo, exec_lo, s25
	v_cndmask_b32_e64 v33, 0, 1, s24
.LBB1105_61:
	v_and_b32_e32 v34, 0xff, v0
	v_lshlrev_b16 v35, 8, v0
	v_and_b32_e32 v36, 0xff, v0
	v_lshlrev_b16 v37, 8, v0
	;; [unrolled: 2-line block ×3, first 2 shown]
	v_lshlrev_b16 v33, 8, v33
	v_cndmask_b32_e64 v40, 0, 1, s2
	v_or_b32_e32 v34, v34, v35
	v_or_b32_e32 v35, v36, v37
	;; [unrolled: 1-line block ×3, first 2 shown]
	v_cmp_ne_u32_e32 vcc_lo, 1, v42
	v_or_b32_e32 v33, v40, v33
	v_and_b32_e32 v34, 0xffff, v34
	v_lshlrev_b32_e32 v35, 16, v35
	v_and_b32_e32 v36, 0xffff, v36
	s_delay_alu instid0(VALU_DEP_4) | instskip(NEXT) | instid1(VALU_DEP_3)
	v_lshlrev_b32_e32 v33, 16, v33
	v_or_b32_e32 v43, v34, v35
	s_delay_alu instid0(VALU_DEP_2)
	v_or_b32_e32 v40, v36, v33
	s_cbranch_vccnz .LBB1105_68
; %bb.62:
	v_mad_u64_u32 v[33:34], null, v21, s22, s[8:9]
	v_mul_lo_u32 v37, v21, s23
	v_mul_lo_u32 v38, v22, s22
	v_mad_u64_u32 v[35:36], null, v23, s22, s[8:9]
	v_mul_lo_u32 v39, v23, s23
	v_mul_lo_u32 v41, v24, s22
	s_mov_b32 s25, 0
	s_delay_alu instid0(VALU_DEP_4) | instskip(NEXT) | instid1(VALU_DEP_2)
	v_add3_u32 v34, v38, v34, v37
	v_add3_u32 v36, v41, v36, v39
	s_clause 0x1
	global_load_u8 v37, v[33:34], off
	global_load_u8 v38, v[35:36], off
	s_waitcnt vmcnt(1)
	v_cmp_ne_u16_e32 vcc_lo, 0, v37
	s_waitcnt vmcnt(0)
	v_cmp_ne_u16_e64 s2, 0, v38
	s_delay_alu instid0(VALU_DEP_1) | instskip(SKIP_2) | instid1(SALU_CYCLE_1)
	s_xor_b32 s3, vcc_lo, s2
	s_mov_b32 s2, -1
	s_xor_b32 s3, s3, -1
	s_and_saveexec_b32 s24, s3
	s_cbranch_execz .LBB1105_70
; %bb.63:
	s_mov_b64 s[6:7], 1
                                        ; implicit-def: $sgpr26
	s_set_inst_prefetch_distance 0x1
	s_branch .LBB1105_66
	.p2align	6
.LBB1105_64:                            ;   in Loop: Header=BB1105_66 Depth=1
	v_add_co_u32 v37, s2, v33, s6
	s_delay_alu instid0(VALU_DEP_1) | instskip(SKIP_1) | instid1(VALU_DEP_1)
	v_add_co_ci_u32_e64 v38, s2, s7, v34, s2
	v_add_co_u32 v44, s2, v35, s6
	v_add_co_ci_u32_e64 v45, s2, s7, v36, s2
	s_clause 0x1
	global_load_u8 v37, v[37:38], off
	global_load_u8 v38, v[44:45], off
	s_waitcnt vmcnt(1)
	v_cmp_ne_u16_e64 s2, 0, v37
	s_waitcnt vmcnt(0)
	v_cmp_ne_u16_e64 s3, 0, v38
	s_delay_alu instid0(VALU_DEP_1) | instskip(SKIP_4) | instid1(SALU_CYCLE_1)
	s_xor_b32 s27, s2, s3
	s_add_u32 s2, s6, 1
	s_addc_u32 s3, s7, 0
	s_and_not1_b32 s26, s26, exec_lo
	s_and_b32 s27, s27, exec_lo
	s_or_b32 s26, s26, s27
.LBB1105_65:                            ;   in Loop: Header=BB1105_66 Depth=1
	v_dual_mov_b32 v38, s7 :: v_dual_mov_b32 v37, s6
	s_and_b32 s27, exec_lo, s26
	s_mov_b64 s[6:7], s[2:3]
	s_or_b32 s25, s27, s25
	s_delay_alu instid0(SALU_CYCLE_1)
	s_and_not1_b32 exec_lo, exec_lo, s25
	s_cbranch_execz .LBB1105_69
.LBB1105_66:                            ; =>This Inner Loop Header: Depth=1
	s_or_b32 s26, s26, exec_lo
	s_cmp_eq_u64 s[22:23], s[6:7]
	s_cbranch_scc0 .LBB1105_64
; %bb.67:                               ;   in Loop: Header=BB1105_66 Depth=1
	s_mov_b64 s[6:7], s[22:23]
                                        ; implicit-def: $sgpr2_sgpr3
	s_branch .LBB1105_65
.LBB1105_68:
                                        ; implicit-def: $sgpr2
                                        ; implicit-def: $vgpr34_vgpr35
	s_cbranch_execnz .LBB1105_78
	s_branch .LBB1105_79
.LBB1105_69:
	s_set_inst_prefetch_distance 0x2
	s_or_b32 exec_lo, exec_lo, s25
	v_cmp_gt_i64_e64 s2, s[22:23], v[37:38]
	s_delay_alu instid0(VALU_DEP_1)
	s_or_not1_b32 s2, s2, exec_lo
.LBB1105_70:
	s_or_b32 exec_lo, exec_lo, s24
	v_mad_u64_u32 v[36:37], null, v27, s22, s[8:9]
	v_mul_lo_u32 v35, v27, s23
	v_mul_lo_u32 v38, v28, s22
	v_and_b32_e32 v39, 0xff, v40
	s_mov_b32 s24, 0
	s_delay_alu instid0(VALU_DEP_2) | instskip(SKIP_3) | instid1(VALU_DEP_1)
	v_add3_u32 v37, v38, v37, v35
	v_cndmask_b32_e64 v38, 0, 1, s2
	global_load_u8 v35, v[36:37], off
	v_lshlrev_b16 v38, 8, v38
	v_or_b32_e32 v38, v39, v38
	s_delay_alu instid0(VALU_DEP_1) | instskip(SKIP_2) | instid1(VALU_DEP_2)
	v_and_b32_e32 v38, 0xffff, v38
	s_waitcnt vmcnt(0)
	v_cmp_ne_u16_e64 s2, 0, v35
	v_and_or_b32 v35, 0xffff0000, v40, v38
	s_delay_alu instid0(VALU_DEP_2) | instskip(SKIP_2) | instid1(SALU_CYCLE_1)
	s_xor_b32 s3, vcc_lo, s2
	s_mov_b32 s2, -1
	s_xor_b32 s3, s3, -1
	s_and_saveexec_b32 s25, s3
	s_cbranch_execz .LBB1105_77
; %bb.71:
	s_mov_b64 s[6:7], 1
	s_mov_b32 s26, 0
                                        ; implicit-def: $sgpr27
	s_set_inst_prefetch_distance 0x1
	s_branch .LBB1105_74
	.p2align	6
.LBB1105_72:                            ;   in Loop: Header=BB1105_74 Depth=1
	v_add_co_u32 v38, vcc_lo, v36, s6
	v_add_co_ci_u32_e32 v39, vcc_lo, s7, v37, vcc_lo
	v_add_co_u32 v44, vcc_lo, v33, s6
	v_add_co_ci_u32_e32 v45, vcc_lo, s7, v34, vcc_lo
	s_clause 0x1
	global_load_u8 v38, v[38:39], off
	global_load_u8 v39, v[44:45], off
	s_waitcnt vmcnt(1)
	v_cmp_ne_u16_e32 vcc_lo, 0, v38
	s_waitcnt vmcnt(0)
	v_cmp_ne_u16_e64 s2, 0, v39
	s_delay_alu instid0(VALU_DEP_1) | instskip(SKIP_4) | instid1(SALU_CYCLE_1)
	s_xor_b32 s29, vcc_lo, s2
	s_add_u32 s2, s6, 1
	s_addc_u32 s3, s7, 0
	s_and_not1_b32 s27, s27, exec_lo
	s_and_b32 s29, s29, exec_lo
	s_or_b32 s27, s27, s29
.LBB1105_73:                            ;   in Loop: Header=BB1105_74 Depth=1
	v_dual_mov_b32 v39, s7 :: v_dual_mov_b32 v38, s6
	s_and_b32 s29, exec_lo, s27
	s_mov_b64 s[6:7], s[2:3]
	s_or_b32 s26, s29, s26
	s_delay_alu instid0(SALU_CYCLE_1)
	s_and_not1_b32 exec_lo, exec_lo, s26
	s_cbranch_execz .LBB1105_76
.LBB1105_74:                            ; =>This Inner Loop Header: Depth=1
	s_or_b32 s27, s27, exec_lo
	s_cmp_eq_u64 s[22:23], s[6:7]
	s_cbranch_scc0 .LBB1105_72
; %bb.75:                               ;   in Loop: Header=BB1105_74 Depth=1
	s_mov_b64 s[6:7], s[22:23]
                                        ; implicit-def: $sgpr2_sgpr3
	s_branch .LBB1105_73
.LBB1105_76:
	s_set_inst_prefetch_distance 0x2
	s_or_b32 exec_lo, exec_lo, s26
	v_cmp_gt_i64_e32 vcc_lo, s[22:23], v[38:39]
	s_or_not1_b32 s2, vcc_lo, exec_lo
.LBB1105_77:
	s_or_b32 exec_lo, exec_lo, s25
	s_delay_alu instid0(SALU_CYCLE_1)
	s_and_b32 vcc_lo, exec_lo, s24
	s_cbranch_vccz .LBB1105_79
.LBB1105_78:
	s_delay_alu instid0(VALU_DEP_1)
	v_and_b32_e32 v35, 0xffff00ff, v40
	s_and_not1_b32 s2, s2, exec_lo
.LBB1105_79:
	s_delay_alu instid0(VALU_DEP_1) | instskip(SKIP_2) | instid1(VALU_DEP_2)
	v_and_b32_e32 v33, 0xffffff00, v35
	v_cndmask_b32_e64 v34, 0, 1, s2
	v_cmp_ne_u32_e32 vcc_lo, 1, v42
	v_or_b32_e32 v33, v34, v33
	s_delay_alu instid0(VALU_DEP_1) | instskip(NEXT) | instid1(VALU_DEP_1)
	v_and_b32_e32 v33, 0xffff, v33
	v_and_or_b32 v34, 0xffff0000, v35, v33
	s_cbranch_vccnz .LBB1105_86
; %bb.80:
	v_mad_u64_u32 v[36:37], null, v25, s22, s[8:9]
	v_mul_lo_u32 v33, v25, s23
	v_mul_lo_u32 v35, v26, s22
	v_mad_u64_u32 v[38:39], null, v27, s22, s[8:9]
	v_mul_lo_u32 v40, v27, s23
	v_mul_lo_u32 v41, v28, s22
	s_delay_alu instid0(VALU_DEP_4) | instskip(NEXT) | instid1(VALU_DEP_2)
	v_add3_u32 v37, v35, v37, v33
	v_add3_u32 v39, v41, v39, v40
	s_clause 0x1
	global_load_u8 v33, v[36:37], off
	global_load_u8 v35, v[38:39], off
	s_waitcnt vmcnt(1)
	v_cmp_ne_u16_e32 vcc_lo, 0, v33
	s_waitcnt vmcnt(0)
	v_cmp_ne_u16_e64 s2, 0, v35
	s_delay_alu instid0(VALU_DEP_1) | instskip(SKIP_2) | instid1(SALU_CYCLE_1)
	s_xor_b32 s3, vcc_lo, s2
	s_mov_b32 s2, -1
	s_xor_b32 s3, s3, -1
	s_and_saveexec_b32 s24, s3
	s_cbranch_execz .LBB1105_88
; %bb.81:
	s_mov_b64 s[6:7], 1
	s_mov_b32 s25, 0
                                        ; implicit-def: $sgpr26
	s_set_inst_prefetch_distance 0x1
	s_branch .LBB1105_84
	.p2align	6
.LBB1105_82:                            ;   in Loop: Header=BB1105_84 Depth=1
	v_add_co_u32 v40, s2, v36, s6
	s_delay_alu instid0(VALU_DEP_1) | instskip(SKIP_1) | instid1(VALU_DEP_1)
	v_add_co_ci_u32_e64 v41, s2, s7, v37, s2
	v_add_co_u32 v44, s2, v38, s6
	v_add_co_ci_u32_e64 v45, s2, s7, v39, s2
	s_clause 0x1
	global_load_u8 v33, v[40:41], off
	global_load_u8 v35, v[44:45], off
	s_waitcnt vmcnt(1)
	v_cmp_ne_u16_e64 s2, 0, v33
	s_waitcnt vmcnt(0)
	v_cmp_ne_u16_e64 s3, 0, v35
	s_delay_alu instid0(VALU_DEP_1) | instskip(SKIP_4) | instid1(SALU_CYCLE_1)
	s_xor_b32 s27, s2, s3
	s_add_u32 s2, s6, 1
	s_addc_u32 s3, s7, 0
	s_and_not1_b32 s26, s26, exec_lo
	s_and_b32 s27, s27, exec_lo
	s_or_b32 s26, s26, s27
.LBB1105_83:                            ;   in Loop: Header=BB1105_84 Depth=1
	v_dual_mov_b32 v41, s7 :: v_dual_mov_b32 v40, s6
	s_and_b32 s27, exec_lo, s26
	s_mov_b64 s[6:7], s[2:3]
	s_or_b32 s25, s27, s25
	s_delay_alu instid0(SALU_CYCLE_1)
	s_and_not1_b32 exec_lo, exec_lo, s25
	s_cbranch_execz .LBB1105_87
.LBB1105_84:                            ; =>This Inner Loop Header: Depth=1
	s_or_b32 s26, s26, exec_lo
	s_cmp_eq_u64 s[22:23], s[6:7]
	s_cbranch_scc0 .LBB1105_82
; %bb.85:                               ;   in Loop: Header=BB1105_84 Depth=1
	s_mov_b64 s[6:7], s[22:23]
                                        ; implicit-def: $sgpr2_sgpr3
	s_branch .LBB1105_83
.LBB1105_86:
                                        ; implicit-def: $sgpr24
                                        ; implicit-def: $vgpr35_vgpr36
	s_cbranch_execnz .LBB1105_96
	s_branch .LBB1105_97
.LBB1105_87:
	s_set_inst_prefetch_distance 0x2
	s_or_b32 exec_lo, exec_lo, s25
	v_cmp_gt_i64_e64 s2, s[22:23], v[40:41]
	s_delay_alu instid0(VALU_DEP_1)
	s_or_not1_b32 s2, s2, exec_lo
.LBB1105_88:
	s_or_b32 exec_lo, exec_lo, s24
	v_mad_u64_u32 v[38:39], null, v31, s22, s[8:9]
	v_mul_lo_u32 v33, v31, s23
	v_mul_lo_u32 v35, v32, s22
	v_cndmask_b32_e64 v40, 0, 1, s2
	s_mov_b32 s25, 0
	s_mov_b32 s24, -1
	s_delay_alu instid0(VALU_DEP_1) | instskip(NEXT) | instid1(VALU_DEP_3)
	v_lshlrev_b16 v40, 8, v40
	v_add3_u32 v39, v35, v39, v33
	v_lshrrev_b32_e32 v35, 16, v43
	global_load_u8 v33, v[38:39], off
	v_and_b32_e32 v35, 0xff, v35
	s_delay_alu instid0(VALU_DEP_1) | instskip(NEXT) | instid1(VALU_DEP_1)
	v_or_b32_e32 v35, v35, v40
	v_lshlrev_b32_e32 v35, 16, v35
	s_delay_alu instid0(VALU_DEP_1) | instskip(SKIP_2) | instid1(VALU_DEP_1)
	v_and_or_b32 v35, 0xffff, v43, v35
	s_waitcnt vmcnt(0)
	v_cmp_ne_u16_e64 s2, 0, v33
	s_xor_b32 s2, vcc_lo, s2
	s_delay_alu instid0(SALU_CYCLE_1) | instskip(NEXT) | instid1(SALU_CYCLE_1)
	s_xor_b32 s2, s2, -1
	s_and_saveexec_b32 s26, s2
	s_cbranch_execz .LBB1105_95
; %bb.89:
	s_mov_b64 s[6:7], 1
	s_mov_b32 s24, 0
                                        ; implicit-def: $sgpr27
	s_set_inst_prefetch_distance 0x1
	s_branch .LBB1105_92
	.p2align	6
.LBB1105_90:                            ;   in Loop: Header=BB1105_92 Depth=1
	v_add_co_u32 v40, vcc_lo, v38, s6
	v_add_co_ci_u32_e32 v41, vcc_lo, s7, v39, vcc_lo
	v_add_co_u32 v44, vcc_lo, v36, s6
	v_add_co_ci_u32_e32 v45, vcc_lo, s7, v37, vcc_lo
	s_clause 0x1
	global_load_u8 v33, v[40:41], off
	global_load_u8 v40, v[44:45], off
	s_waitcnt vmcnt(1)
	v_cmp_ne_u16_e32 vcc_lo, 0, v33
	s_waitcnt vmcnt(0)
	v_cmp_ne_u16_e64 s2, 0, v40
	s_delay_alu instid0(VALU_DEP_1) | instskip(SKIP_4) | instid1(SALU_CYCLE_1)
	s_xor_b32 s29, vcc_lo, s2
	s_add_u32 s2, s6, 1
	s_addc_u32 s3, s7, 0
	s_and_not1_b32 s27, s27, exec_lo
	s_and_b32 s29, s29, exec_lo
	s_or_b32 s27, s27, s29
.LBB1105_91:                            ;   in Loop: Header=BB1105_92 Depth=1
	v_dual_mov_b32 v41, s7 :: v_dual_mov_b32 v40, s6
	s_and_b32 s29, exec_lo, s27
	s_mov_b64 s[6:7], s[2:3]
	s_or_b32 s24, s29, s24
	s_delay_alu instid0(SALU_CYCLE_1)
	s_and_not1_b32 exec_lo, exec_lo, s24
	s_cbranch_execz .LBB1105_94
.LBB1105_92:                            ; =>This Inner Loop Header: Depth=1
	s_or_b32 s27, s27, exec_lo
	s_cmp_eq_u64 s[22:23], s[6:7]
	s_cbranch_scc0 .LBB1105_90
; %bb.93:                               ;   in Loop: Header=BB1105_92 Depth=1
	s_mov_b64 s[6:7], s[22:23]
                                        ; implicit-def: $sgpr2_sgpr3
	s_branch .LBB1105_91
.LBB1105_94:
	s_set_inst_prefetch_distance 0x2
	s_or_b32 exec_lo, exec_lo, s24
	v_cmp_gt_i64_e32 vcc_lo, s[22:23], v[40:41]
	s_or_not1_b32 s24, vcc_lo, exec_lo
.LBB1105_95:
	s_or_b32 exec_lo, exec_lo, s26
	s_delay_alu instid0(SALU_CYCLE_1)
	s_and_b32 vcc_lo, exec_lo, s25
	s_cbranch_vccz .LBB1105_97
.LBB1105_96:
	v_and_b32_e32 v35, 0xffffff, v43
	s_and_not1_b32 s24, s24, exec_lo
.LBB1105_97:
	v_cmp_ne_u32_e32 vcc_lo, 1, v42
	s_mov_b32 s2, 0
	s_cbranch_vccnz .LBB1105_106
; %bb.98:
	v_mad_u64_u32 v[36:37], null, v29, s22, s[8:9]
	v_mul_lo_u32 v33, v29, s23
	v_mul_lo_u32 v40, v30, s22
	v_mad_u64_u32 v[38:39], null, v31, s22, s[8:9]
	v_mul_lo_u32 v41, v31, s23
	v_mul_lo_u32 v43, v32, s22
	s_mov_b32 s26, 0
	s_delay_alu instid0(VALU_DEP_4) | instskip(NEXT) | instid1(VALU_DEP_2)
	v_add3_u32 v37, v40, v37, v33
	v_add3_u32 v39, v43, v39, v41
	s_clause 0x1
	global_load_u8 v33, v[36:37], off
	global_load_u8 v40, v[38:39], off
	s_waitcnt vmcnt(1)
	v_cmp_ne_u16_e32 vcc_lo, 0, v33
	s_waitcnt vmcnt(0)
	v_cmp_ne_u16_e64 s2, 0, v40
	s_delay_alu instid0(VALU_DEP_1) | instskip(SKIP_2) | instid1(SALU_CYCLE_1)
	s_xor_b32 s3, vcc_lo, s2
	s_mov_b32 s2, -1
	s_xor_b32 s3, s3, -1
	s_and_saveexec_b32 s25, s3
	s_cbranch_execz .LBB1105_105
; %bb.99:
	s_mov_b64 s[6:7], 1
                                        ; implicit-def: $sgpr27
	s_set_inst_prefetch_distance 0x1
	s_branch .LBB1105_102
	.p2align	6
.LBB1105_100:                           ;   in Loop: Header=BB1105_102 Depth=1
	v_add_co_u32 v40, vcc_lo, v36, s6
	v_add_co_ci_u32_e32 v41, vcc_lo, s7, v37, vcc_lo
	v_add_co_u32 v43, vcc_lo, v38, s6
	v_add_co_ci_u32_e32 v44, vcc_lo, s7, v39, vcc_lo
	s_clause 0x1
	global_load_u8 v33, v[40:41], off
	global_load_u8 v40, v[43:44], off
	s_waitcnt vmcnt(1)
	v_cmp_ne_u16_e32 vcc_lo, 0, v33
	s_waitcnt vmcnt(0)
	v_cmp_ne_u16_e64 s2, 0, v40
	s_delay_alu instid0(VALU_DEP_1) | instskip(SKIP_4) | instid1(SALU_CYCLE_1)
	s_xor_b32 s29, vcc_lo, s2
	s_add_u32 s2, s6, 1
	s_addc_u32 s3, s7, 0
	s_and_not1_b32 s27, s27, exec_lo
	s_and_b32 s29, s29, exec_lo
	s_or_b32 s27, s27, s29
.LBB1105_101:                           ;   in Loop: Header=BB1105_102 Depth=1
	v_dual_mov_b32 v41, s7 :: v_dual_mov_b32 v40, s6
	s_and_b32 s29, exec_lo, s27
	s_mov_b64 s[6:7], s[2:3]
	s_or_b32 s26, s29, s26
	s_delay_alu instid0(SALU_CYCLE_1)
	s_and_not1_b32 exec_lo, exec_lo, s26
	s_cbranch_execz .LBB1105_104
.LBB1105_102:                           ; =>This Inner Loop Header: Depth=1
	s_or_b32 s27, s27, exec_lo
	s_cmp_eq_u64 s[22:23], s[6:7]
	s_cbranch_scc0 .LBB1105_100
; %bb.103:                              ;   in Loop: Header=BB1105_102 Depth=1
	s_mov_b64 s[6:7], s[22:23]
                                        ; implicit-def: $sgpr2_sgpr3
	s_branch .LBB1105_101
.LBB1105_104:
	s_set_inst_prefetch_distance 0x2
	s_or_b32 exec_lo, exec_lo, s26
	v_cmp_gt_i64_e32 vcc_lo, s[22:23], v[40:41]
	s_or_not1_b32 s2, vcc_lo, exec_lo
.LBB1105_105:
	s_or_b32 exec_lo, exec_lo, s25
.LBB1105_106:
	s_waitcnt lgkmcnt(0)
	v_dual_mov_b32 v38, s5 :: v_dual_mov_b32 v37, s4
	s_mov_b32 s3, exec_lo
	s_barrier
	buffer_gl0_inv
	v_cmpx_ne_u32_e32 0, v0
	s_cbranch_execz .LBB1105_108
; %bb.107:
	v_add_nc_u32_e32 v33, -8, v55
	ds_load_b64 v[37:38], v33
.LBB1105_108:
	s_or_b32 exec_lo, exec_lo, s3
	v_cndmask_b32_e64 v33, 0, 1, s2
	v_lshrrev_b32_e32 v36, 24, v35
	v_cndmask_b32_e64 v39, 0, 1, s24
	v_and_b32_e32 v35, 0xff, v35
	v_cmp_ne_u32_e32 vcc_lo, 1, v42
	v_lshlrev_b16 v33, 8, v33
	v_lshlrev_b16 v36, 8, v36
	s_mov_b32 s24, 0
	s_mov_b32 s2, 0
	s_and_b32 vcc_lo, exec_lo, vcc_lo
	v_or_b32_e32 v33, v35, v33
	v_or_b32_e32 v35, v39, v36
	s_delay_alu instid0(VALU_DEP_2) | instskip(NEXT) | instid1(VALU_DEP_2)
	v_and_b32_e32 v33, 0xffff, v33
	v_lshlrev_b32_e32 v41, 16, v35
	s_cbranch_vccnz .LBB1105_117
; %bb.109:
	s_waitcnt lgkmcnt(0)
	v_mad_u64_u32 v[35:36], null, v37, s22, s[8:9]
	v_mul_lo_u32 v39, v37, s23
	v_mul_lo_u32 v40, v38, s22
	v_mad_u64_u32 v[37:38], null, v29, s22, s[8:9]
	v_mul_lo_u32 v42, v29, s23
	v_mul_lo_u32 v43, v30, s22
	s_mov_b32 s26, 0
	s_delay_alu instid0(VALU_DEP_4) | instskip(NEXT) | instid1(VALU_DEP_2)
	v_add3_u32 v36, v40, v36, v39
	v_add3_u32 v38, v43, v38, v42
	s_clause 0x1
	global_load_u8 v39, v[35:36], off
	global_load_u8 v40, v[37:38], off
	s_waitcnt vmcnt(1)
	v_cmp_ne_u16_e32 vcc_lo, 0, v39
	s_waitcnt vmcnt(0)
	v_cmp_ne_u16_e64 s2, 0, v40
	s_delay_alu instid0(VALU_DEP_1) | instskip(SKIP_2) | instid1(SALU_CYCLE_1)
	s_xor_b32 s3, vcc_lo, s2
	s_mov_b32 s2, -1
	s_xor_b32 s3, s3, -1
	s_and_saveexec_b32 s25, s3
	s_cbranch_execz .LBB1105_116
; %bb.110:
	s_mov_b64 s[6:7], 1
                                        ; implicit-def: $sgpr27
	s_set_inst_prefetch_distance 0x1
	s_branch .LBB1105_113
	.p2align	6
.LBB1105_111:                           ;   in Loop: Header=BB1105_113 Depth=1
	v_add_co_u32 v39, vcc_lo, v35, s6
	v_add_co_ci_u32_e32 v40, vcc_lo, s7, v36, vcc_lo
	v_add_co_u32 v42, vcc_lo, v37, s6
	v_add_co_ci_u32_e32 v43, vcc_lo, s7, v38, vcc_lo
	s_clause 0x1
	global_load_u8 v39, v[39:40], off
	global_load_u8 v40, v[42:43], off
	s_waitcnt vmcnt(1)
	v_cmp_ne_u16_e32 vcc_lo, 0, v39
	s_waitcnt vmcnt(0)
	v_cmp_ne_u16_e64 s2, 0, v40
	s_delay_alu instid0(VALU_DEP_1) | instskip(SKIP_4) | instid1(SALU_CYCLE_1)
	s_xor_b32 s29, vcc_lo, s2
	s_add_u32 s2, s6, 1
	s_addc_u32 s3, s7, 0
	s_and_not1_b32 s27, s27, exec_lo
	s_and_b32 s29, s29, exec_lo
	s_or_b32 s27, s27, s29
.LBB1105_112:                           ;   in Loop: Header=BB1105_113 Depth=1
	v_dual_mov_b32 v40, s7 :: v_dual_mov_b32 v39, s6
	s_and_b32 s29, exec_lo, s27
	s_mov_b64 s[6:7], s[2:3]
	s_or_b32 s26, s29, s26
	s_delay_alu instid0(SALU_CYCLE_1)
	s_and_not1_b32 exec_lo, exec_lo, s26
	s_cbranch_execz .LBB1105_115
.LBB1105_113:                           ; =>This Inner Loop Header: Depth=1
	s_or_b32 s27, s27, exec_lo
	s_cmp_eq_u64 s[22:23], s[6:7]
	s_cbranch_scc0 .LBB1105_111
; %bb.114:                              ;   in Loop: Header=BB1105_113 Depth=1
	s_mov_b64 s[6:7], s[22:23]
                                        ; implicit-def: $sgpr2_sgpr3
	s_branch .LBB1105_112
.LBB1105_115:
	s_set_inst_prefetch_distance 0x2
	s_or_b32 exec_lo, exec_lo, s26
	v_cmp_gt_i64_e32 vcc_lo, s[22:23], v[39:40]
	s_or_not1_b32 s2, vcc_lo, exec_lo
.LBB1105_116:
	s_or_b32 exec_lo, exec_lo, s25
.LBB1105_117:
	s_delay_alu instid0(VALU_DEP_1)
	v_or_b32_e32 v33, v33, v41
	s_and_b32 vcc_lo, exec_lo, s24
	s_cbranch_vccz .LBB1105_193
.LBB1105_118:
	v_or_b32_e32 v33, 7, v55
	s_xor_b32 s19, s19, -1
	s_mov_b32 s3, -1
	s_mov_b32 s24, 0
	s_mov_b32 s25, 0
	v_cmp_gt_u32_e32 vcc_lo, s28, v33
	s_and_b32 s2, vcc_lo, s19
	s_delay_alu instid0(SALU_CYCLE_1)
	s_and_saveexec_b32 s26, s2
	s_cbranch_execz .LBB1105_127
; %bb.119:
	v_mad_u64_u32 v[33:34], null, v17, s22, s[8:9]
	s_waitcnt lgkmcnt(0)
	v_mul_lo_u32 v37, v17, s23
	v_mul_lo_u32 v38, v18, s22
	v_mad_u64_u32 v[35:36], null, v19, s22, s[8:9]
	v_mul_lo_u32 v39, v19, s23
	v_mul_lo_u32 v40, v20, s22
	s_mov_b32 s27, 0
	s_delay_alu instid0(VALU_DEP_4) | instskip(NEXT) | instid1(VALU_DEP_2)
	v_add3_u32 v34, v38, v34, v37
	v_add3_u32 v36, v40, v36, v39
	s_clause 0x1
	global_load_u8 v37, v[33:34], off
	global_load_u8 v38, v[35:36], off
	s_waitcnt vmcnt(1)
	v_cmp_ne_u16_e32 vcc_lo, 0, v37
	s_waitcnt vmcnt(0)
	v_cmp_ne_u16_e64 s2, 0, v38
	s_delay_alu instid0(VALU_DEP_1) | instskip(NEXT) | instid1(SALU_CYCLE_1)
	s_xor_b32 s2, vcc_lo, s2
	s_xor_b32 s2, s2, -1
	s_delay_alu instid0(SALU_CYCLE_1)
	s_and_saveexec_b32 s25, s2
	s_cbranch_execz .LBB1105_126
; %bb.120:
	s_mov_b64 s[6:7], 1
                                        ; implicit-def: $sgpr29
	s_set_inst_prefetch_distance 0x1
	s_branch .LBB1105_123
	.p2align	6
.LBB1105_121:                           ;   in Loop: Header=BB1105_123 Depth=1
	v_add_co_u32 v37, vcc_lo, v33, s6
	v_add_co_ci_u32_e32 v38, vcc_lo, s7, v34, vcc_lo
	v_add_co_u32 v39, vcc_lo, v35, s6
	v_add_co_ci_u32_e32 v40, vcc_lo, s7, v36, vcc_lo
	s_clause 0x1
	global_load_u8 v37, v[37:38], off
	global_load_u8 v38, v[39:40], off
	s_waitcnt vmcnt(1)
	v_cmp_ne_u16_e32 vcc_lo, 0, v37
	s_waitcnt vmcnt(0)
	v_cmp_ne_u16_e64 s2, 0, v38
	s_delay_alu instid0(VALU_DEP_1) | instskip(SKIP_4) | instid1(SALU_CYCLE_1)
	s_xor_b32 s30, vcc_lo, s2
	s_add_u32 s2, s6, 1
	s_addc_u32 s3, s7, 0
	s_and_not1_b32 s29, s29, exec_lo
	s_and_b32 s30, s30, exec_lo
	s_or_b32 s29, s29, s30
.LBB1105_122:                           ;   in Loop: Header=BB1105_123 Depth=1
	v_dual_mov_b32 v38, s7 :: v_dual_mov_b32 v37, s6
	s_and_b32 s30, exec_lo, s29
	s_mov_b64 s[6:7], s[2:3]
	s_or_b32 s27, s30, s27
	s_delay_alu instid0(SALU_CYCLE_1)
	s_and_not1_b32 exec_lo, exec_lo, s27
	s_cbranch_execz .LBB1105_125
.LBB1105_123:                           ; =>This Inner Loop Header: Depth=1
	s_or_b32 s29, s29, exec_lo
	s_cmp_eq_u64 s[22:23], s[6:7]
	s_cbranch_scc0 .LBB1105_121
; %bb.124:                              ;   in Loop: Header=BB1105_123 Depth=1
	s_mov_b64 s[6:7], s[22:23]
                                        ; implicit-def: $sgpr2_sgpr3
	s_branch .LBB1105_122
.LBB1105_125:
	s_set_inst_prefetch_distance 0x2
	s_or_b32 exec_lo, exec_lo, s27
	v_cmp_gt_i64_e32 vcc_lo, s[22:23], v[37:38]
	s_or_not1_b32 s3, vcc_lo, exec_lo
.LBB1105_126:
	s_or_b32 exec_lo, exec_lo, s25
	s_delay_alu instid0(SALU_CYCLE_1)
	s_and_b32 s25, s3, exec_lo
.LBB1105_127:
	s_or_b32 exec_lo, exec_lo, s26
	v_or_b32_e32 v33, 6, v55
	s_delay_alu instid0(VALU_DEP_1) | instskip(SKIP_1) | instid1(SALU_CYCLE_1)
	v_cmp_gt_u32_e32 vcc_lo, s28, v33
	s_and_b32 s2, vcc_lo, s19
	s_and_saveexec_b32 s26, s2
	s_cbranch_execz .LBB1105_136
; %bb.128:
	v_mad_u64_u32 v[33:34], null, v23, s22, s[8:9]
	s_waitcnt lgkmcnt(0)
	v_mul_lo_u32 v37, v23, s23
	v_mul_lo_u32 v38, v24, s22
	v_mad_u64_u32 v[35:36], null, v17, s22, s[8:9]
	v_mul_lo_u32 v39, v17, s23
	v_mul_lo_u32 v40, v18, s22
	s_mov_b32 s27, 0
	s_delay_alu instid0(VALU_DEP_4) | instskip(NEXT) | instid1(VALU_DEP_2)
	v_add3_u32 v34, v38, v34, v37
	v_add3_u32 v36, v40, v36, v39
	s_clause 0x1
	global_load_u8 v37, v[33:34], off
	global_load_u8 v38, v[35:36], off
	s_waitcnt vmcnt(1)
	v_cmp_ne_u16_e32 vcc_lo, 0, v37
	s_waitcnt vmcnt(0)
	v_cmp_ne_u16_e64 s2, 0, v38
	s_delay_alu instid0(VALU_DEP_1) | instskip(SKIP_2) | instid1(SALU_CYCLE_1)
	s_xor_b32 s3, vcc_lo, s2
	s_mov_b32 s2, -1
	s_xor_b32 s3, s3, -1
	s_and_saveexec_b32 s24, s3
	s_cbranch_execz .LBB1105_135
; %bb.129:
	s_mov_b64 s[6:7], 1
                                        ; implicit-def: $sgpr29
	s_set_inst_prefetch_distance 0x1
	s_branch .LBB1105_132
	.p2align	6
.LBB1105_130:                           ;   in Loop: Header=BB1105_132 Depth=1
	v_add_co_u32 v37, vcc_lo, v33, s6
	v_add_co_ci_u32_e32 v38, vcc_lo, s7, v34, vcc_lo
	v_add_co_u32 v39, vcc_lo, v35, s6
	v_add_co_ci_u32_e32 v40, vcc_lo, s7, v36, vcc_lo
	s_clause 0x1
	global_load_u8 v37, v[37:38], off
	global_load_u8 v38, v[39:40], off
	s_waitcnt vmcnt(1)
	v_cmp_ne_u16_e32 vcc_lo, 0, v37
	s_waitcnt vmcnt(0)
	v_cmp_ne_u16_e64 s2, 0, v38
	s_delay_alu instid0(VALU_DEP_1) | instskip(SKIP_4) | instid1(SALU_CYCLE_1)
	s_xor_b32 s30, vcc_lo, s2
	s_add_u32 s2, s6, 1
	s_addc_u32 s3, s7, 0
	s_and_not1_b32 s29, s29, exec_lo
	s_and_b32 s30, s30, exec_lo
	s_or_b32 s29, s29, s30
.LBB1105_131:                           ;   in Loop: Header=BB1105_132 Depth=1
	v_dual_mov_b32 v38, s7 :: v_dual_mov_b32 v37, s6
	s_and_b32 s30, exec_lo, s29
	s_mov_b64 s[6:7], s[2:3]
	s_or_b32 s27, s30, s27
	s_delay_alu instid0(SALU_CYCLE_1)
	s_and_not1_b32 exec_lo, exec_lo, s27
	s_cbranch_execz .LBB1105_134
.LBB1105_132:                           ; =>This Inner Loop Header: Depth=1
	s_or_b32 s29, s29, exec_lo
	s_cmp_eq_u64 s[22:23], s[6:7]
	s_cbranch_scc0 .LBB1105_130
; %bb.133:                              ;   in Loop: Header=BB1105_132 Depth=1
	s_mov_b64 s[6:7], s[22:23]
                                        ; implicit-def: $sgpr2_sgpr3
	s_branch .LBB1105_131
.LBB1105_134:
	s_set_inst_prefetch_distance 0x2
	s_or_b32 exec_lo, exec_lo, s27
	v_cmp_gt_i64_e32 vcc_lo, s[22:23], v[37:38]
	s_or_not1_b32 s2, vcc_lo, exec_lo
.LBB1105_135:
	s_or_b32 exec_lo, exec_lo, s24
	s_delay_alu instid0(SALU_CYCLE_1)
	s_and_b32 s24, s2, exec_lo
.LBB1105_136:
	s_or_b32 exec_lo, exec_lo, s26
	v_or_b32_e32 v33, 5, v55
	s_mov_b32 s3, -1
	s_mov_b32 s27, 0
	s_mov_b32 s26, 0
	s_delay_alu instid0(VALU_DEP_1) | instskip(SKIP_1) | instid1(SALU_CYCLE_1)
	v_cmp_gt_u32_e32 vcc_lo, s28, v33
	s_and_b32 s2, vcc_lo, s19
	s_and_saveexec_b32 s29, s2
	s_cbranch_execz .LBB1105_145
; %bb.137:
	v_mad_u64_u32 v[33:34], null, v21, s22, s[8:9]
	s_waitcnt lgkmcnt(0)
	v_mul_lo_u32 v37, v21, s23
	v_mul_lo_u32 v38, v22, s22
	v_mad_u64_u32 v[35:36], null, v23, s22, s[8:9]
	v_mul_lo_u32 v39, v23, s23
	v_mul_lo_u32 v40, v24, s22
	s_mov_b32 s30, 0
	s_delay_alu instid0(VALU_DEP_4) | instskip(NEXT) | instid1(VALU_DEP_2)
	v_add3_u32 v34, v38, v34, v37
	v_add3_u32 v36, v40, v36, v39
	s_clause 0x1
	global_load_u8 v37, v[33:34], off
	global_load_u8 v38, v[35:36], off
	s_waitcnt vmcnt(1)
	v_cmp_ne_u16_e32 vcc_lo, 0, v37
	s_waitcnt vmcnt(0)
	v_cmp_ne_u16_e64 s2, 0, v38
	s_delay_alu instid0(VALU_DEP_1) | instskip(NEXT) | instid1(SALU_CYCLE_1)
	s_xor_b32 s2, vcc_lo, s2
	s_xor_b32 s2, s2, -1
	s_delay_alu instid0(SALU_CYCLE_1)
	s_and_saveexec_b32 s26, s2
	s_cbranch_execz .LBB1105_144
; %bb.138:
	s_mov_b64 s[6:7], 1
                                        ; implicit-def: $sgpr31
	s_set_inst_prefetch_distance 0x1
	s_branch .LBB1105_141
	.p2align	6
.LBB1105_139:                           ;   in Loop: Header=BB1105_141 Depth=1
	v_add_co_u32 v37, vcc_lo, v33, s6
	v_add_co_ci_u32_e32 v38, vcc_lo, s7, v34, vcc_lo
	v_add_co_u32 v39, vcc_lo, v35, s6
	v_add_co_ci_u32_e32 v40, vcc_lo, s7, v36, vcc_lo
	s_clause 0x1
	global_load_u8 v37, v[37:38], off
	global_load_u8 v38, v[39:40], off
	s_waitcnt vmcnt(1)
	v_cmp_ne_u16_e32 vcc_lo, 0, v37
	s_waitcnt vmcnt(0)
	v_cmp_ne_u16_e64 s2, 0, v38
	s_delay_alu instid0(VALU_DEP_1) | instskip(SKIP_4) | instid1(SALU_CYCLE_1)
	s_xor_b32 s33, vcc_lo, s2
	s_add_u32 s2, s6, 1
	s_addc_u32 s3, s7, 0
	s_and_not1_b32 s31, s31, exec_lo
	s_and_b32 s33, s33, exec_lo
	s_or_b32 s31, s31, s33
.LBB1105_140:                           ;   in Loop: Header=BB1105_141 Depth=1
	v_dual_mov_b32 v38, s7 :: v_dual_mov_b32 v37, s6
	s_and_b32 s33, exec_lo, s31
	s_mov_b64 s[6:7], s[2:3]
	s_or_b32 s30, s33, s30
	s_delay_alu instid0(SALU_CYCLE_1)
	s_and_not1_b32 exec_lo, exec_lo, s30
	s_cbranch_execz .LBB1105_143
.LBB1105_141:                           ; =>This Inner Loop Header: Depth=1
	s_or_b32 s31, s31, exec_lo
	s_cmp_eq_u64 s[22:23], s[6:7]
	s_cbranch_scc0 .LBB1105_139
; %bb.142:                              ;   in Loop: Header=BB1105_141 Depth=1
	s_mov_b64 s[6:7], s[22:23]
                                        ; implicit-def: $sgpr2_sgpr3
	s_branch .LBB1105_140
.LBB1105_143:
	s_set_inst_prefetch_distance 0x2
	s_or_b32 exec_lo, exec_lo, s30
	v_cmp_gt_i64_e32 vcc_lo, s[22:23], v[37:38]
	s_or_not1_b32 s3, vcc_lo, exec_lo
.LBB1105_144:
	s_or_b32 exec_lo, exec_lo, s26
	s_delay_alu instid0(SALU_CYCLE_1)
	s_and_b32 s26, s3, exec_lo
.LBB1105_145:
	s_or_b32 exec_lo, exec_lo, s29
	v_or_b32_e32 v33, 4, v55
	s_delay_alu instid0(VALU_DEP_1) | instskip(SKIP_1) | instid1(SALU_CYCLE_1)
	v_cmp_gt_u32_e32 vcc_lo, s28, v33
	s_and_b32 s2, vcc_lo, s19
	s_and_saveexec_b32 s29, s2
	s_cbranch_execz .LBB1105_154
; %bb.146:
	v_mad_u64_u32 v[33:34], null, v27, s22, s[8:9]
	s_waitcnt lgkmcnt(0)
	v_mul_lo_u32 v37, v27, s23
	v_mul_lo_u32 v38, v28, s22
	v_mad_u64_u32 v[35:36], null, v21, s22, s[8:9]
	v_mul_lo_u32 v39, v21, s23
	v_mul_lo_u32 v40, v22, s22
	s_mov_b32 s30, 0
	s_delay_alu instid0(VALU_DEP_4) | instskip(NEXT) | instid1(VALU_DEP_2)
	v_add3_u32 v34, v38, v34, v37
	v_add3_u32 v36, v40, v36, v39
	s_clause 0x1
	global_load_u8 v37, v[33:34], off
	global_load_u8 v38, v[35:36], off
	s_waitcnt vmcnt(1)
	v_cmp_ne_u16_e32 vcc_lo, 0, v37
	s_waitcnt vmcnt(0)
	v_cmp_ne_u16_e64 s2, 0, v38
	s_delay_alu instid0(VALU_DEP_1) | instskip(SKIP_2) | instid1(SALU_CYCLE_1)
	s_xor_b32 s3, vcc_lo, s2
	s_mov_b32 s2, -1
	s_xor_b32 s3, s3, -1
	s_and_saveexec_b32 s27, s3
	s_cbranch_execz .LBB1105_153
; %bb.147:
	s_mov_b64 s[6:7], 1
                                        ; implicit-def: $sgpr31
	s_set_inst_prefetch_distance 0x1
	s_branch .LBB1105_150
	.p2align	6
.LBB1105_148:                           ;   in Loop: Header=BB1105_150 Depth=1
	v_add_co_u32 v37, vcc_lo, v33, s6
	v_add_co_ci_u32_e32 v38, vcc_lo, s7, v34, vcc_lo
	v_add_co_u32 v39, vcc_lo, v35, s6
	v_add_co_ci_u32_e32 v40, vcc_lo, s7, v36, vcc_lo
	s_clause 0x1
	global_load_u8 v37, v[37:38], off
	global_load_u8 v38, v[39:40], off
	s_waitcnt vmcnt(1)
	v_cmp_ne_u16_e32 vcc_lo, 0, v37
	s_waitcnt vmcnt(0)
	v_cmp_ne_u16_e64 s2, 0, v38
	s_delay_alu instid0(VALU_DEP_1) | instskip(SKIP_4) | instid1(SALU_CYCLE_1)
	s_xor_b32 s33, vcc_lo, s2
	s_add_u32 s2, s6, 1
	s_addc_u32 s3, s7, 0
	s_and_not1_b32 s31, s31, exec_lo
	s_and_b32 s33, s33, exec_lo
	s_or_b32 s31, s31, s33
.LBB1105_149:                           ;   in Loop: Header=BB1105_150 Depth=1
	v_dual_mov_b32 v38, s7 :: v_dual_mov_b32 v37, s6
	s_and_b32 s33, exec_lo, s31
	s_mov_b64 s[6:7], s[2:3]
	s_or_b32 s30, s33, s30
	s_delay_alu instid0(SALU_CYCLE_1)
	s_and_not1_b32 exec_lo, exec_lo, s30
	s_cbranch_execz .LBB1105_152
.LBB1105_150:                           ; =>This Inner Loop Header: Depth=1
	s_or_b32 s31, s31, exec_lo
	s_cmp_eq_u64 s[22:23], s[6:7]
	s_cbranch_scc0 .LBB1105_148
; %bb.151:                              ;   in Loop: Header=BB1105_150 Depth=1
	s_mov_b64 s[6:7], s[22:23]
                                        ; implicit-def: $sgpr2_sgpr3
	s_branch .LBB1105_149
.LBB1105_152:
	s_set_inst_prefetch_distance 0x2
	s_or_b32 exec_lo, exec_lo, s30
	v_cmp_gt_i64_e32 vcc_lo, s[22:23], v[37:38]
	s_or_not1_b32 s2, vcc_lo, exec_lo
.LBB1105_153:
	s_or_b32 exec_lo, exec_lo, s27
	s_delay_alu instid0(SALU_CYCLE_1)
	s_and_b32 s27, s2, exec_lo
.LBB1105_154:
	s_or_b32 exec_lo, exec_lo, s29
	v_or_b32_e32 v33, 3, v55
	s_mov_b32 s3, -1
	s_mov_b32 s30, 0
	s_mov_b32 s29, 0
	s_delay_alu instid0(VALU_DEP_1) | instskip(SKIP_1) | instid1(SALU_CYCLE_1)
	v_cmp_gt_u32_e32 vcc_lo, s28, v33
	s_and_b32 s2, vcc_lo, s19
	s_and_saveexec_b32 s31, s2
	s_cbranch_execz .LBB1105_163
; %bb.155:
	v_mad_u64_u32 v[33:34], null, v25, s22, s[8:9]
	s_waitcnt lgkmcnt(0)
	v_mul_lo_u32 v37, v25, s23
	v_mul_lo_u32 v38, v26, s22
	v_mad_u64_u32 v[35:36], null, v27, s22, s[8:9]
	v_mul_lo_u32 v39, v27, s23
	v_mul_lo_u32 v40, v28, s22
	s_mov_b32 s33, 0
	s_delay_alu instid0(VALU_DEP_4) | instskip(NEXT) | instid1(VALU_DEP_2)
	v_add3_u32 v34, v38, v34, v37
	v_add3_u32 v36, v40, v36, v39
	s_clause 0x1
	global_load_u8 v37, v[33:34], off
	global_load_u8 v38, v[35:36], off
	s_waitcnt vmcnt(1)
	v_cmp_ne_u16_e32 vcc_lo, 0, v37
	s_waitcnt vmcnt(0)
	v_cmp_ne_u16_e64 s2, 0, v38
	s_delay_alu instid0(VALU_DEP_1) | instskip(NEXT) | instid1(SALU_CYCLE_1)
	s_xor_b32 s2, vcc_lo, s2
	s_xor_b32 s2, s2, -1
	s_delay_alu instid0(SALU_CYCLE_1)
	s_and_saveexec_b32 s29, s2
	s_cbranch_execz .LBB1105_162
; %bb.156:
	s_mov_b64 s[6:7], 1
                                        ; implicit-def: $sgpr34
	s_set_inst_prefetch_distance 0x1
	s_branch .LBB1105_159
	.p2align	6
.LBB1105_157:                           ;   in Loop: Header=BB1105_159 Depth=1
	v_add_co_u32 v37, vcc_lo, v33, s6
	v_add_co_ci_u32_e32 v38, vcc_lo, s7, v34, vcc_lo
	v_add_co_u32 v39, vcc_lo, v35, s6
	v_add_co_ci_u32_e32 v40, vcc_lo, s7, v36, vcc_lo
	s_clause 0x1
	global_load_u8 v37, v[37:38], off
	global_load_u8 v38, v[39:40], off
	s_waitcnt vmcnt(1)
	v_cmp_ne_u16_e32 vcc_lo, 0, v37
	s_waitcnt vmcnt(0)
	v_cmp_ne_u16_e64 s2, 0, v38
	s_delay_alu instid0(VALU_DEP_1) | instskip(SKIP_4) | instid1(SALU_CYCLE_1)
	s_xor_b32 s35, vcc_lo, s2
	s_add_u32 s2, s6, 1
	s_addc_u32 s3, s7, 0
	s_and_not1_b32 s34, s34, exec_lo
	s_and_b32 s35, s35, exec_lo
	s_or_b32 s34, s34, s35
.LBB1105_158:                           ;   in Loop: Header=BB1105_159 Depth=1
	v_dual_mov_b32 v38, s7 :: v_dual_mov_b32 v37, s6
	s_and_b32 s35, exec_lo, s34
	s_mov_b64 s[6:7], s[2:3]
	s_or_b32 s33, s35, s33
	s_delay_alu instid0(SALU_CYCLE_1)
	s_and_not1_b32 exec_lo, exec_lo, s33
	s_cbranch_execz .LBB1105_161
.LBB1105_159:                           ; =>This Inner Loop Header: Depth=1
	s_or_b32 s34, s34, exec_lo
	s_cmp_eq_u64 s[22:23], s[6:7]
	s_cbranch_scc0 .LBB1105_157
; %bb.160:                              ;   in Loop: Header=BB1105_159 Depth=1
	s_mov_b64 s[6:7], s[22:23]
                                        ; implicit-def: $sgpr2_sgpr3
	s_branch .LBB1105_158
.LBB1105_161:
	s_set_inst_prefetch_distance 0x2
	s_or_b32 exec_lo, exec_lo, s33
	v_cmp_gt_i64_e32 vcc_lo, s[22:23], v[37:38]
	s_or_not1_b32 s3, vcc_lo, exec_lo
.LBB1105_162:
	s_or_b32 exec_lo, exec_lo, s29
	s_delay_alu instid0(SALU_CYCLE_1)
	s_and_b32 s29, s3, exec_lo
.LBB1105_163:
	s_or_b32 exec_lo, exec_lo, s31
	v_or_b32_e32 v33, 2, v55
	s_delay_alu instid0(VALU_DEP_1) | instskip(SKIP_1) | instid1(SALU_CYCLE_1)
	v_cmp_gt_u32_e32 vcc_lo, s28, v33
	s_and_b32 s2, vcc_lo, s19
	s_and_saveexec_b32 s31, s2
	s_cbranch_execz .LBB1105_172
; %bb.164:
	v_mad_u64_u32 v[33:34], null, v31, s22, s[8:9]
	s_waitcnt lgkmcnt(0)
	v_mul_lo_u32 v37, v31, s23
	v_mul_lo_u32 v38, v32, s22
	v_mad_u64_u32 v[35:36], null, v25, s22, s[8:9]
	v_mul_lo_u32 v39, v25, s23
	v_mul_lo_u32 v40, v26, s22
	s_mov_b32 s33, 0
	s_delay_alu instid0(VALU_DEP_4) | instskip(NEXT) | instid1(VALU_DEP_2)
	v_add3_u32 v34, v38, v34, v37
	v_add3_u32 v36, v40, v36, v39
	s_clause 0x1
	global_load_u8 v37, v[33:34], off
	global_load_u8 v38, v[35:36], off
	s_waitcnt vmcnt(1)
	v_cmp_ne_u16_e32 vcc_lo, 0, v37
	s_waitcnt vmcnt(0)
	v_cmp_ne_u16_e64 s2, 0, v38
	s_delay_alu instid0(VALU_DEP_1) | instskip(SKIP_2) | instid1(SALU_CYCLE_1)
	s_xor_b32 s3, vcc_lo, s2
	s_mov_b32 s2, -1
	s_xor_b32 s3, s3, -1
	s_and_saveexec_b32 s30, s3
	s_cbranch_execz .LBB1105_171
; %bb.165:
	s_mov_b64 s[6:7], 1
                                        ; implicit-def: $sgpr34
	s_set_inst_prefetch_distance 0x1
	s_branch .LBB1105_168
	.p2align	6
.LBB1105_166:                           ;   in Loop: Header=BB1105_168 Depth=1
	v_add_co_u32 v37, vcc_lo, v33, s6
	v_add_co_ci_u32_e32 v38, vcc_lo, s7, v34, vcc_lo
	v_add_co_u32 v39, vcc_lo, v35, s6
	v_add_co_ci_u32_e32 v40, vcc_lo, s7, v36, vcc_lo
	s_clause 0x1
	global_load_u8 v37, v[37:38], off
	global_load_u8 v38, v[39:40], off
	s_waitcnt vmcnt(1)
	v_cmp_ne_u16_e32 vcc_lo, 0, v37
	s_waitcnt vmcnt(0)
	v_cmp_ne_u16_e64 s2, 0, v38
	s_delay_alu instid0(VALU_DEP_1) | instskip(SKIP_4) | instid1(SALU_CYCLE_1)
	s_xor_b32 s35, vcc_lo, s2
	s_add_u32 s2, s6, 1
	s_addc_u32 s3, s7, 0
	s_and_not1_b32 s34, s34, exec_lo
	s_and_b32 s35, s35, exec_lo
	s_or_b32 s34, s34, s35
.LBB1105_167:                           ;   in Loop: Header=BB1105_168 Depth=1
	v_dual_mov_b32 v38, s7 :: v_dual_mov_b32 v37, s6
	s_and_b32 s35, exec_lo, s34
	s_mov_b64 s[6:7], s[2:3]
	s_or_b32 s33, s35, s33
	s_delay_alu instid0(SALU_CYCLE_1)
	s_and_not1_b32 exec_lo, exec_lo, s33
	s_cbranch_execz .LBB1105_170
.LBB1105_168:                           ; =>This Inner Loop Header: Depth=1
	s_or_b32 s34, s34, exec_lo
	s_cmp_eq_u64 s[22:23], s[6:7]
	s_cbranch_scc0 .LBB1105_166
; %bb.169:                              ;   in Loop: Header=BB1105_168 Depth=1
	s_mov_b64 s[6:7], s[22:23]
                                        ; implicit-def: $sgpr2_sgpr3
	s_branch .LBB1105_167
.LBB1105_170:
	s_set_inst_prefetch_distance 0x2
	s_or_b32 exec_lo, exec_lo, s33
	v_cmp_gt_i64_e32 vcc_lo, s[22:23], v[37:38]
	s_or_not1_b32 s2, vcc_lo, exec_lo
.LBB1105_171:
	s_or_b32 exec_lo, exec_lo, s30
	s_delay_alu instid0(SALU_CYCLE_1)
	s_and_b32 s30, s2, exec_lo
.LBB1105_172:
	s_or_b32 exec_lo, exec_lo, s31
	v_or_b32_e32 v33, 1, v55
	s_mov_b32 s3, -1
	s_mov_b32 s2, 0
	s_delay_alu instid0(VALU_DEP_1) | instskip(SKIP_1) | instid1(SALU_CYCLE_1)
	v_cmp_gt_u32_e32 vcc_lo, s28, v33
	s_and_b32 s6, vcc_lo, s19
	s_and_saveexec_b32 s31, s6
	s_cbranch_execz .LBB1105_181
; %bb.173:
	v_mad_u64_u32 v[33:34], null, v29, s22, s[8:9]
	s_waitcnt lgkmcnt(0)
	v_mul_lo_u32 v37, v29, s23
	v_mul_lo_u32 v38, v30, s22
	v_mad_u64_u32 v[35:36], null, v31, s22, s[8:9]
	v_mul_lo_u32 v39, v31, s23
	v_mul_lo_u32 v40, v32, s22
	s_mov_b32 s34, 0
	s_delay_alu instid0(VALU_DEP_4) | instskip(NEXT) | instid1(VALU_DEP_2)
	v_add3_u32 v34, v38, v34, v37
	v_add3_u32 v36, v40, v36, v39
	s_clause 0x1
	global_load_u8 v37, v[33:34], off
	global_load_u8 v38, v[35:36], off
	s_waitcnt vmcnt(1)
	v_cmp_ne_u16_e32 vcc_lo, 0, v37
	s_waitcnt vmcnt(0)
	v_cmp_ne_u16_e64 s2, 0, v38
	s_delay_alu instid0(VALU_DEP_1) | instskip(NEXT) | instid1(SALU_CYCLE_1)
	s_xor_b32 s2, vcc_lo, s2
	s_xor_b32 s2, s2, -1
	s_delay_alu instid0(SALU_CYCLE_1)
	s_and_saveexec_b32 s33, s2
	s_cbranch_execz .LBB1105_180
; %bb.174:
	s_mov_b64 s[6:7], 1
                                        ; implicit-def: $sgpr35
	s_set_inst_prefetch_distance 0x1
	s_branch .LBB1105_177
	.p2align	6
.LBB1105_175:                           ;   in Loop: Header=BB1105_177 Depth=1
	v_add_co_u32 v37, vcc_lo, v33, s6
	v_add_co_ci_u32_e32 v38, vcc_lo, s7, v34, vcc_lo
	v_add_co_u32 v39, vcc_lo, v35, s6
	v_add_co_ci_u32_e32 v40, vcc_lo, s7, v36, vcc_lo
	s_clause 0x1
	global_load_u8 v37, v[37:38], off
	global_load_u8 v38, v[39:40], off
	s_waitcnt vmcnt(1)
	v_cmp_ne_u16_e32 vcc_lo, 0, v37
	s_waitcnt vmcnt(0)
	v_cmp_ne_u16_e64 s2, 0, v38
	s_delay_alu instid0(VALU_DEP_1) | instskip(SKIP_4) | instid1(SALU_CYCLE_1)
	s_xor_b32 s36, vcc_lo, s2
	s_add_u32 s2, s6, 1
	s_addc_u32 s3, s7, 0
	s_and_not1_b32 s35, s35, exec_lo
	s_and_b32 s36, s36, exec_lo
	s_or_b32 s35, s35, s36
.LBB1105_176:                           ;   in Loop: Header=BB1105_177 Depth=1
	v_dual_mov_b32 v38, s7 :: v_dual_mov_b32 v37, s6
	s_and_b32 s36, exec_lo, s35
	s_mov_b64 s[6:7], s[2:3]
	s_or_b32 s34, s36, s34
	s_delay_alu instid0(SALU_CYCLE_1)
	s_and_not1_b32 exec_lo, exec_lo, s34
	s_cbranch_execz .LBB1105_179
.LBB1105_177:                           ; =>This Inner Loop Header: Depth=1
	s_or_b32 s35, s35, exec_lo
	s_cmp_eq_u64 s[22:23], s[6:7]
	s_cbranch_scc0 .LBB1105_175
; %bb.178:                              ;   in Loop: Header=BB1105_177 Depth=1
	s_mov_b64 s[6:7], s[22:23]
                                        ; implicit-def: $sgpr2_sgpr3
	s_branch .LBB1105_176
.LBB1105_179:
	s_set_inst_prefetch_distance 0x2
	s_or_b32 exec_lo, exec_lo, s34
	v_cmp_gt_i64_e32 vcc_lo, s[22:23], v[37:38]
	s_or_not1_b32 s3, vcc_lo, exec_lo
.LBB1105_180:
	s_or_b32 exec_lo, exec_lo, s33
	s_delay_alu instid0(SALU_CYCLE_1)
	s_and_b32 s2, s3, exec_lo
.LBB1105_181:
	s_or_b32 exec_lo, exec_lo, s31
	s_waitcnt lgkmcnt(0)
	v_dual_mov_b32 v36, s5 :: v_dual_mov_b32 v35, s4
	s_mov_b32 s3, exec_lo
	s_barrier
	buffer_gl0_inv
	v_cmpx_ne_u32_e32 0, v0
	s_cbranch_execz .LBB1105_183
; %bb.182:
	v_add_nc_u32_e32 v33, -8, v55
	ds_load_b64 v[35:36], v33
.LBB1105_183:
	s_or_b32 exec_lo, exec_lo, s3
	v_cndmask_b32_e64 v34, 0, 1, s29
	v_cndmask_b32_e64 v38, 0, 1, s26
	;; [unrolled: 1-line block ×7, first 2 shown]
	v_lshlrev_b16 v34, 8, v34
	v_lshlrev_b16 v38, 8, v38
	;; [unrolled: 1-line block ×3, first 2 shown]
	v_cmp_gt_u32_e32 vcc_lo, s28, v55
	v_lshlrev_b16 v41, 8, v41
	v_or_b32_e32 v33, v33, v34
	v_or_b32_e32 v34, v37, v38
	v_or_b32_e32 v37, v40, v39
	s_mov_b32 s3, -1
	v_and_b32_e32 v39, 0xffff, v41
	v_lshlrev_b32_e32 v40, 16, v33
	v_and_b32_e32 v41, 0xffff, v34
	v_lshlrev_b32_e32 v42, 16, v37
	s_and_b32 s4, vcc_lo, s19
	s_mov_b32 s2, 0
	s_and_saveexec_b32 s6, s4
	s_cbranch_execz .LBB1105_192
; %bb.184:
	s_waitcnt lgkmcnt(0)
	v_mad_u64_u32 v[33:34], null, v35, s22, s[8:9]
	v_mul_lo_u32 v37, v35, s23
	v_mul_lo_u32 v38, v36, s22
	v_mad_u64_u32 v[35:36], null, v29, s22, s[8:9]
	v_mul_lo_u32 v43, v29, s23
	v_mul_lo_u32 v44, v30, s22
	s_mov_b32 s19, 0
	s_delay_alu instid0(VALU_DEP_4) | instskip(NEXT) | instid1(VALU_DEP_2)
	v_add3_u32 v34, v38, v34, v37
	v_add3_u32 v36, v44, v36, v43
	s_clause 0x1
	global_load_u8 v37, v[33:34], off
	global_load_u8 v38, v[35:36], off
	s_waitcnt vmcnt(1)
	v_cmp_ne_u16_e32 vcc_lo, 0, v37
	s_waitcnt vmcnt(0)
	v_cmp_ne_u16_e64 s2, 0, v38
	s_delay_alu instid0(VALU_DEP_1) | instskip(NEXT) | instid1(SALU_CYCLE_1)
	s_xor_b32 s2, vcc_lo, s2
	s_xor_b32 s2, s2, -1
	s_delay_alu instid0(SALU_CYCLE_1)
	s_and_saveexec_b32 s7, s2
	s_cbranch_execz .LBB1105_191
; %bb.185:
	s_mov_b64 s[4:5], 1
                                        ; implicit-def: $sgpr24
	s_set_inst_prefetch_distance 0x1
	s_branch .LBB1105_188
	.p2align	6
.LBB1105_186:                           ;   in Loop: Header=BB1105_188 Depth=1
	v_add_co_u32 v37, vcc_lo, v33, s4
	v_add_co_ci_u32_e32 v38, vcc_lo, s5, v34, vcc_lo
	v_add_co_u32 v43, vcc_lo, v35, s4
	v_add_co_ci_u32_e32 v44, vcc_lo, s5, v36, vcc_lo
	s_clause 0x1
	global_load_u8 v37, v[37:38], off
	global_load_u8 v38, v[43:44], off
	s_waitcnt vmcnt(1)
	v_cmp_ne_u16_e32 vcc_lo, 0, v37
	s_waitcnt vmcnt(0)
	v_cmp_ne_u16_e64 s2, 0, v38
	s_delay_alu instid0(VALU_DEP_1) | instskip(SKIP_4) | instid1(SALU_CYCLE_1)
	s_xor_b32 s25, vcc_lo, s2
	s_add_u32 s2, s4, 1
	s_addc_u32 s3, s5, 0
	s_and_not1_b32 s24, s24, exec_lo
	s_and_b32 s25, s25, exec_lo
	s_or_b32 s24, s24, s25
.LBB1105_187:                           ;   in Loop: Header=BB1105_188 Depth=1
	v_dual_mov_b32 v38, s5 :: v_dual_mov_b32 v37, s4
	s_and_b32 s25, exec_lo, s24
	s_mov_b64 s[4:5], s[2:3]
	s_or_b32 s19, s25, s19
	s_delay_alu instid0(SALU_CYCLE_1)
	s_and_not1_b32 exec_lo, exec_lo, s19
	s_cbranch_execz .LBB1105_190
.LBB1105_188:                           ; =>This Inner Loop Header: Depth=1
	s_or_b32 s24, s24, exec_lo
	s_cmp_eq_u64 s[22:23], s[4:5]
	s_cbranch_scc0 .LBB1105_186
; %bb.189:                              ;   in Loop: Header=BB1105_188 Depth=1
	s_mov_b64 s[4:5], s[22:23]
                                        ; implicit-def: $sgpr2_sgpr3
	s_branch .LBB1105_187
.LBB1105_190:
	s_set_inst_prefetch_distance 0x2
	s_or_b32 exec_lo, exec_lo, s19
	v_cmp_gt_i64_e32 vcc_lo, s[22:23], v[37:38]
	s_or_not1_b32 s3, vcc_lo, exec_lo
.LBB1105_191:
	s_or_b32 exec_lo, exec_lo, s7
	s_delay_alu instid0(SALU_CYCLE_1)
	s_and_b32 s2, s3, exec_lo
.LBB1105_192:
	s_or_b32 exec_lo, exec_lo, s6
	v_or_b32_e32 v33, v39, v40
	v_or_b32_e32 v34, v41, v42
.LBB1105_193:
	s_mov_b32 s6, -1
	s_cbranch_execnz .LBB1105_345
.LBB1105_194:
	v_cmp_lt_i64_e64 s7, s[22:23], 1
	v_cmp_gt_i64_e64 s2, s[22:23], 0
	s_and_b32 vcc_lo, exec_lo, s20
	ds_store_b64 v55, v[19:20]
	s_cbranch_vccz .LBB1105_202
; %bb.195:
	v_cndmask_b32_e64 v42, 0, 1, s2
	s_and_not1_b32 vcc_lo, exec_lo, s2
	s_cbranch_vccnz .LBB1105_203
; %bb.196:
	v_mad_u64_u32 v[33:34], null, v17, s22, s[8:9]
	s_waitcnt lgkmcnt(0)
	v_mul_lo_u32 v37, v17, s23
	v_mul_lo_u32 v38, v18, s22
	v_mad_u64_u32 v[35:36], null, v19, s22, s[8:9]
	v_mul_lo_u32 v39, v19, s23
	v_mul_lo_u32 v40, v20, s22
	s_mov_b32 s25, 0
	s_mov_b32 s19, -1
	s_delay_alu instid0(VALU_DEP_4) | instskip(NEXT) | instid1(VALU_DEP_2)
	v_add3_u32 v34, v38, v34, v37
	v_add3_u32 v36, v40, v36, v39
	s_clause 0x1
	global_load_u8 v37, v[33:34], off
	global_load_u8 v38, v[35:36], off
	s_waitcnt vmcnt(1)
	v_cmp_ne_u16_e32 vcc_lo, 0, v37
	s_waitcnt vmcnt(0)
	v_cmp_ne_u16_e64 s2, 0, v38
	s_delay_alu instid0(VALU_DEP_1) | instskip(NEXT) | instid1(SALU_CYCLE_1)
	s_xor_b32 s2, vcc_lo, s2
	s_xor_b32 s2, s2, -1
	s_delay_alu instid0(SALU_CYCLE_1)
	s_and_saveexec_b32 s24, s2
	s_cbranch_execz .LBB1105_205
; %bb.197:
	s_mov_b64 s[4:5], 1
                                        ; implicit-def: $sgpr19
	s_set_inst_prefetch_distance 0x1
	s_branch .LBB1105_200
	.p2align	6
.LBB1105_198:                           ;   in Loop: Header=BB1105_200 Depth=1
	v_add_co_u32 v37, s2, v33, s4
	s_delay_alu instid0(VALU_DEP_1) | instskip(SKIP_1) | instid1(VALU_DEP_1)
	v_add_co_ci_u32_e64 v38, s2, s5, v34, s2
	v_add_co_u32 v39, s2, v35, s4
	v_add_co_ci_u32_e64 v40, s2, s5, v36, s2
	s_clause 0x1
	global_load_u8 v37, v[37:38], off
	global_load_u8 v38, v[39:40], off
	s_waitcnt vmcnt(1)
	v_cmp_ne_u16_e64 s2, 0, v37
	s_waitcnt vmcnt(0)
	v_cmp_ne_u16_e64 s3, 0, v38
	s_delay_alu instid0(VALU_DEP_1) | instskip(SKIP_4) | instid1(SALU_CYCLE_1)
	s_xor_b32 s26, s2, s3
	s_add_u32 s2, s4, 1
	s_addc_u32 s3, s5, 0
	s_and_not1_b32 s19, s19, exec_lo
	s_and_b32 s26, s26, exec_lo
	s_or_b32 s19, s19, s26
.LBB1105_199:                           ;   in Loop: Header=BB1105_200 Depth=1
	v_dual_mov_b32 v38, s5 :: v_dual_mov_b32 v37, s4
	s_and_b32 s26, exec_lo, s19
	s_mov_b64 s[4:5], s[2:3]
	s_or_b32 s25, s26, s25
	s_delay_alu instid0(SALU_CYCLE_1)
	s_and_not1_b32 exec_lo, exec_lo, s25
	s_cbranch_execz .LBB1105_204
.LBB1105_200:                           ; =>This Inner Loop Header: Depth=1
	s_or_b32 s19, s19, exec_lo
	s_cmp_eq_u64 s[22:23], s[4:5]
	s_cbranch_scc0 .LBB1105_198
; %bb.201:                              ;   in Loop: Header=BB1105_200 Depth=1
	s_mov_b64 s[4:5], s[22:23]
                                        ; implicit-def: $sgpr2_sgpr3
	s_branch .LBB1105_199
.LBB1105_202:
                                        ; implicit-def: $sgpr2
                                        ; implicit-def: $vgpr34
	s_cbranch_execnz .LBB1105_270
	s_branch .LBB1105_345
.LBB1105_203:
	v_mov_b32_e32 v33, 0
	s_mov_b32 s2, 0
	s_branch .LBB1105_213
.LBB1105_204:
	s_set_inst_prefetch_distance 0x2
	s_or_b32 exec_lo, exec_lo, s25
	v_cmp_gt_i64_e64 s2, s[22:23], v[37:38]
	s_delay_alu instid0(VALU_DEP_1)
	s_or_not1_b32 s19, s2, exec_lo
.LBB1105_205:
	s_or_b32 exec_lo, exec_lo, s24
	v_mad_u64_u32 v[35:36], null, v23, s22, s[8:9]
	v_mul_lo_u32 v37, v23, s23
	v_mul_lo_u32 v38, v24, s22
	s_mov_b32 s25, 0
	s_delay_alu instid0(VALU_DEP_1) | instskip(SKIP_3) | instid1(VALU_DEP_1)
	v_add3_u32 v36, v38, v36, v37
	global_load_u8 v37, v[35:36], off
	s_waitcnt vmcnt(0)
	v_cmp_ne_u16_e64 s2, 0, v37
	s_xor_b32 s3, vcc_lo, s2
	s_mov_b32 s2, -1
	s_xor_b32 s3, s3, -1
	s_delay_alu instid0(SALU_CYCLE_1)
	s_and_saveexec_b32 s24, s3
	s_cbranch_execz .LBB1105_212
; %bb.206:
	s_mov_b64 s[4:5], 1
                                        ; implicit-def: $sgpr26
	s_set_inst_prefetch_distance 0x1
	s_branch .LBB1105_209
	.p2align	6
.LBB1105_207:                           ;   in Loop: Header=BB1105_209 Depth=1
	v_add_co_u32 v37, vcc_lo, v35, s4
	v_add_co_ci_u32_e32 v38, vcc_lo, s5, v36, vcc_lo
	v_add_co_u32 v39, vcc_lo, v33, s4
	v_add_co_ci_u32_e32 v40, vcc_lo, s5, v34, vcc_lo
	s_clause 0x1
	global_load_u8 v37, v[37:38], off
	global_load_u8 v38, v[39:40], off
	s_waitcnt vmcnt(1)
	v_cmp_ne_u16_e32 vcc_lo, 0, v37
	s_waitcnt vmcnt(0)
	v_cmp_ne_u16_e64 s2, 0, v38
	s_delay_alu instid0(VALU_DEP_1) | instskip(SKIP_4) | instid1(SALU_CYCLE_1)
	s_xor_b32 s27, vcc_lo, s2
	s_add_u32 s2, s4, 1
	s_addc_u32 s3, s5, 0
	s_and_not1_b32 s26, s26, exec_lo
	s_and_b32 s27, s27, exec_lo
	s_or_b32 s26, s26, s27
.LBB1105_208:                           ;   in Loop: Header=BB1105_209 Depth=1
	v_dual_mov_b32 v38, s5 :: v_dual_mov_b32 v37, s4
	s_and_b32 s27, exec_lo, s26
	s_mov_b64 s[4:5], s[2:3]
	s_or_b32 s25, s27, s25
	s_delay_alu instid0(SALU_CYCLE_1)
	s_and_not1_b32 exec_lo, exec_lo, s25
	s_cbranch_execz .LBB1105_211
.LBB1105_209:                           ; =>This Inner Loop Header: Depth=1
	s_or_b32 s26, s26, exec_lo
	s_cmp_eq_u64 s[22:23], s[4:5]
	s_cbranch_scc0 .LBB1105_207
; %bb.210:                              ;   in Loop: Header=BB1105_209 Depth=1
	s_mov_b64 s[4:5], s[22:23]
                                        ; implicit-def: $sgpr2_sgpr3
	s_branch .LBB1105_208
.LBB1105_211:
	s_set_inst_prefetch_distance 0x2
	s_or_b32 exec_lo, exec_lo, s25
	v_cmp_gt_i64_e32 vcc_lo, s[22:23], v[37:38]
	s_or_not1_b32 s2, vcc_lo, exec_lo
.LBB1105_212:
	s_or_b32 exec_lo, exec_lo, s24
	v_cndmask_b32_e64 v33, 0, 1, s19
.LBB1105_213:
	v_and_b32_e32 v34, 0xff, v0
	s_waitcnt lgkmcnt(0)
	v_lshlrev_b16 v35, 8, v0
	v_and_b32_e32 v36, 0xff, v0
	v_lshlrev_b16 v37, 8, v0
	v_and_b32_e32 v38, 0xff, v0
	v_lshlrev_b16 v39, 8, v0
	v_lshlrev_b16 v33, 8, v33
	v_cndmask_b32_e64 v40, 0, 1, s2
	v_or_b32_e32 v34, v34, v35
	v_or_b32_e32 v35, v36, v37
	;; [unrolled: 1-line block ×3, first 2 shown]
	v_cmp_ne_u32_e32 vcc_lo, 1, v42
	v_or_b32_e32 v33, v40, v33
	v_and_b32_e32 v34, 0xffff, v34
	v_lshlrev_b32_e32 v35, 16, v35
	v_and_b32_e32 v36, 0xffff, v36
	s_delay_alu instid0(VALU_DEP_4) | instskip(NEXT) | instid1(VALU_DEP_3)
	v_lshlrev_b32_e32 v33, 16, v33
	v_or_b32_e32 v43, v34, v35
	s_delay_alu instid0(VALU_DEP_2)
	v_or_b32_e32 v40, v36, v33
	s_cbranch_vccnz .LBB1105_220
; %bb.214:
	v_mad_u64_u32 v[33:34], null, v21, s22, s[8:9]
	v_mul_lo_u32 v37, v21, s23
	v_mul_lo_u32 v38, v22, s22
	v_mad_u64_u32 v[35:36], null, v23, s22, s[8:9]
	v_mul_lo_u32 v39, v23, s23
	v_mul_lo_u32 v41, v24, s22
	s_mov_b32 s24, 0
	s_delay_alu instid0(VALU_DEP_4) | instskip(NEXT) | instid1(VALU_DEP_2)
	v_add3_u32 v34, v38, v34, v37
	v_add3_u32 v36, v41, v36, v39
	s_clause 0x1
	global_load_u8 v37, v[33:34], off
	global_load_u8 v38, v[35:36], off
	s_waitcnt vmcnt(1)
	v_cmp_ne_u16_e32 vcc_lo, 0, v37
	s_waitcnt vmcnt(0)
	v_cmp_ne_u16_e64 s2, 0, v38
	s_delay_alu instid0(VALU_DEP_1) | instskip(SKIP_2) | instid1(SALU_CYCLE_1)
	s_xor_b32 s3, vcc_lo, s2
	s_mov_b32 s2, -1
	s_xor_b32 s3, s3, -1
	s_and_saveexec_b32 s19, s3
	s_cbranch_execz .LBB1105_222
; %bb.215:
	s_mov_b64 s[4:5], 1
                                        ; implicit-def: $sgpr25
	s_set_inst_prefetch_distance 0x1
	s_branch .LBB1105_218
	.p2align	6
.LBB1105_216:                           ;   in Loop: Header=BB1105_218 Depth=1
	v_add_co_u32 v37, s2, v33, s4
	s_delay_alu instid0(VALU_DEP_1) | instskip(SKIP_1) | instid1(VALU_DEP_1)
	v_add_co_ci_u32_e64 v38, s2, s5, v34, s2
	v_add_co_u32 v44, s2, v35, s4
	v_add_co_ci_u32_e64 v45, s2, s5, v36, s2
	s_clause 0x1
	global_load_u8 v37, v[37:38], off
	global_load_u8 v38, v[44:45], off
	s_waitcnt vmcnt(1)
	v_cmp_ne_u16_e64 s2, 0, v37
	s_waitcnt vmcnt(0)
	v_cmp_ne_u16_e64 s3, 0, v38
	s_delay_alu instid0(VALU_DEP_1) | instskip(SKIP_4) | instid1(SALU_CYCLE_1)
	s_xor_b32 s26, s2, s3
	s_add_u32 s2, s4, 1
	s_addc_u32 s3, s5, 0
	s_and_not1_b32 s25, s25, exec_lo
	s_and_b32 s26, s26, exec_lo
	s_or_b32 s25, s25, s26
.LBB1105_217:                           ;   in Loop: Header=BB1105_218 Depth=1
	v_dual_mov_b32 v38, s5 :: v_dual_mov_b32 v37, s4
	s_and_b32 s26, exec_lo, s25
	s_mov_b64 s[4:5], s[2:3]
	s_or_b32 s24, s26, s24
	s_delay_alu instid0(SALU_CYCLE_1)
	s_and_not1_b32 exec_lo, exec_lo, s24
	s_cbranch_execz .LBB1105_221
.LBB1105_218:                           ; =>This Inner Loop Header: Depth=1
	s_or_b32 s25, s25, exec_lo
	s_cmp_eq_u64 s[22:23], s[4:5]
	s_cbranch_scc0 .LBB1105_216
; %bb.219:                              ;   in Loop: Header=BB1105_218 Depth=1
	s_mov_b64 s[4:5], s[22:23]
                                        ; implicit-def: $sgpr2_sgpr3
	s_branch .LBB1105_217
.LBB1105_220:
                                        ; implicit-def: $sgpr2
                                        ; implicit-def: $vgpr34_vgpr35
	s_cbranch_execnz .LBB1105_230
	s_branch .LBB1105_231
.LBB1105_221:
	s_set_inst_prefetch_distance 0x2
	s_or_b32 exec_lo, exec_lo, s24
	v_cmp_gt_i64_e64 s2, s[22:23], v[37:38]
	s_delay_alu instid0(VALU_DEP_1)
	s_or_not1_b32 s2, s2, exec_lo
.LBB1105_222:
	s_or_b32 exec_lo, exec_lo, s19
	v_mad_u64_u32 v[36:37], null, v27, s22, s[8:9]
	v_mul_lo_u32 v35, v27, s23
	v_mul_lo_u32 v38, v28, s22
	v_and_b32_e32 v39, 0xff, v40
	s_mov_b32 s19, 0
	s_delay_alu instid0(VALU_DEP_2) | instskip(SKIP_3) | instid1(VALU_DEP_1)
	v_add3_u32 v37, v38, v37, v35
	v_cndmask_b32_e64 v38, 0, 1, s2
	global_load_u8 v35, v[36:37], off
	v_lshlrev_b16 v38, 8, v38
	v_or_b32_e32 v38, v39, v38
	s_delay_alu instid0(VALU_DEP_1) | instskip(SKIP_2) | instid1(VALU_DEP_2)
	v_and_b32_e32 v38, 0xffff, v38
	s_waitcnt vmcnt(0)
	v_cmp_ne_u16_e64 s2, 0, v35
	v_and_or_b32 v35, 0xffff0000, v40, v38
	s_delay_alu instid0(VALU_DEP_2) | instskip(SKIP_2) | instid1(SALU_CYCLE_1)
	s_xor_b32 s3, vcc_lo, s2
	s_mov_b32 s2, -1
	s_xor_b32 s3, s3, -1
	s_and_saveexec_b32 s24, s3
	s_cbranch_execz .LBB1105_229
; %bb.223:
	s_mov_b64 s[4:5], 1
	s_mov_b32 s25, 0
                                        ; implicit-def: $sgpr26
	s_set_inst_prefetch_distance 0x1
	s_branch .LBB1105_226
	.p2align	6
.LBB1105_224:                           ;   in Loop: Header=BB1105_226 Depth=1
	v_add_co_u32 v38, vcc_lo, v36, s4
	v_add_co_ci_u32_e32 v39, vcc_lo, s5, v37, vcc_lo
	v_add_co_u32 v44, vcc_lo, v33, s4
	v_add_co_ci_u32_e32 v45, vcc_lo, s5, v34, vcc_lo
	s_clause 0x1
	global_load_u8 v38, v[38:39], off
	global_load_u8 v39, v[44:45], off
	s_waitcnt vmcnt(1)
	v_cmp_ne_u16_e32 vcc_lo, 0, v38
	s_waitcnt vmcnt(0)
	v_cmp_ne_u16_e64 s2, 0, v39
	s_delay_alu instid0(VALU_DEP_1) | instskip(SKIP_4) | instid1(SALU_CYCLE_1)
	s_xor_b32 s27, vcc_lo, s2
	s_add_u32 s2, s4, 1
	s_addc_u32 s3, s5, 0
	s_and_not1_b32 s26, s26, exec_lo
	s_and_b32 s27, s27, exec_lo
	s_or_b32 s26, s26, s27
.LBB1105_225:                           ;   in Loop: Header=BB1105_226 Depth=1
	v_dual_mov_b32 v39, s5 :: v_dual_mov_b32 v38, s4
	s_and_b32 s27, exec_lo, s26
	s_mov_b64 s[4:5], s[2:3]
	s_or_b32 s25, s27, s25
	s_delay_alu instid0(SALU_CYCLE_1)
	s_and_not1_b32 exec_lo, exec_lo, s25
	s_cbranch_execz .LBB1105_228
.LBB1105_226:                           ; =>This Inner Loop Header: Depth=1
	s_or_b32 s26, s26, exec_lo
	s_cmp_eq_u64 s[22:23], s[4:5]
	s_cbranch_scc0 .LBB1105_224
; %bb.227:                              ;   in Loop: Header=BB1105_226 Depth=1
	s_mov_b64 s[4:5], s[22:23]
                                        ; implicit-def: $sgpr2_sgpr3
	s_branch .LBB1105_225
.LBB1105_228:
	s_set_inst_prefetch_distance 0x2
	s_or_b32 exec_lo, exec_lo, s25
	v_cmp_gt_i64_e32 vcc_lo, s[22:23], v[38:39]
	s_or_not1_b32 s2, vcc_lo, exec_lo
.LBB1105_229:
	s_or_b32 exec_lo, exec_lo, s24
	s_delay_alu instid0(SALU_CYCLE_1)
	s_and_b32 vcc_lo, exec_lo, s19
	s_cbranch_vccz .LBB1105_231
.LBB1105_230:
	s_delay_alu instid0(VALU_DEP_1)
	v_and_b32_e32 v35, 0xffff00ff, v40
	s_and_not1_b32 s2, s2, exec_lo
.LBB1105_231:
	s_delay_alu instid0(VALU_DEP_1) | instskip(SKIP_2) | instid1(VALU_DEP_2)
	v_and_b32_e32 v33, 0xffffff00, v35
	v_cndmask_b32_e64 v34, 0, 1, s2
	v_cmp_ne_u32_e32 vcc_lo, 1, v42
	v_or_b32_e32 v33, v34, v33
	s_delay_alu instid0(VALU_DEP_1) | instskip(NEXT) | instid1(VALU_DEP_1)
	v_and_b32_e32 v33, 0xffff, v33
	v_and_or_b32 v34, 0xffff0000, v35, v33
	s_cbranch_vccnz .LBB1105_238
; %bb.232:
	v_mad_u64_u32 v[36:37], null, v25, s22, s[8:9]
	v_mul_lo_u32 v33, v25, s23
	v_mul_lo_u32 v35, v26, s22
	v_mad_u64_u32 v[38:39], null, v27, s22, s[8:9]
	v_mul_lo_u32 v40, v27, s23
	v_mul_lo_u32 v41, v28, s22
	s_delay_alu instid0(VALU_DEP_4) | instskip(NEXT) | instid1(VALU_DEP_2)
	v_add3_u32 v37, v35, v37, v33
	v_add3_u32 v39, v41, v39, v40
	s_clause 0x1
	global_load_u8 v33, v[36:37], off
	global_load_u8 v35, v[38:39], off
	s_waitcnt vmcnt(1)
	v_cmp_ne_u16_e32 vcc_lo, 0, v33
	s_waitcnt vmcnt(0)
	v_cmp_ne_u16_e64 s2, 0, v35
	s_delay_alu instid0(VALU_DEP_1) | instskip(SKIP_2) | instid1(SALU_CYCLE_1)
	s_xor_b32 s3, vcc_lo, s2
	s_mov_b32 s2, -1
	s_xor_b32 s3, s3, -1
	s_and_saveexec_b32 s19, s3
	s_cbranch_execz .LBB1105_240
; %bb.233:
	s_mov_b64 s[4:5], 1
	s_mov_b32 s24, 0
                                        ; implicit-def: $sgpr25
	s_set_inst_prefetch_distance 0x1
	s_branch .LBB1105_236
	.p2align	6
.LBB1105_234:                           ;   in Loop: Header=BB1105_236 Depth=1
	v_add_co_u32 v40, s2, v36, s4
	s_delay_alu instid0(VALU_DEP_1) | instskip(SKIP_1) | instid1(VALU_DEP_1)
	v_add_co_ci_u32_e64 v41, s2, s5, v37, s2
	v_add_co_u32 v44, s2, v38, s4
	v_add_co_ci_u32_e64 v45, s2, s5, v39, s2
	s_clause 0x1
	global_load_u8 v33, v[40:41], off
	global_load_u8 v35, v[44:45], off
	s_waitcnt vmcnt(1)
	v_cmp_ne_u16_e64 s2, 0, v33
	s_waitcnt vmcnt(0)
	v_cmp_ne_u16_e64 s3, 0, v35
	s_delay_alu instid0(VALU_DEP_1) | instskip(SKIP_4) | instid1(SALU_CYCLE_1)
	s_xor_b32 s26, s2, s3
	s_add_u32 s2, s4, 1
	s_addc_u32 s3, s5, 0
	s_and_not1_b32 s25, s25, exec_lo
	s_and_b32 s26, s26, exec_lo
	s_or_b32 s25, s25, s26
.LBB1105_235:                           ;   in Loop: Header=BB1105_236 Depth=1
	v_dual_mov_b32 v41, s5 :: v_dual_mov_b32 v40, s4
	s_and_b32 s26, exec_lo, s25
	s_mov_b64 s[4:5], s[2:3]
	s_or_b32 s24, s26, s24
	s_delay_alu instid0(SALU_CYCLE_1)
	s_and_not1_b32 exec_lo, exec_lo, s24
	s_cbranch_execz .LBB1105_239
.LBB1105_236:                           ; =>This Inner Loop Header: Depth=1
	s_or_b32 s25, s25, exec_lo
	s_cmp_eq_u64 s[22:23], s[4:5]
	s_cbranch_scc0 .LBB1105_234
; %bb.237:                              ;   in Loop: Header=BB1105_236 Depth=1
	s_mov_b64 s[4:5], s[22:23]
                                        ; implicit-def: $sgpr2_sgpr3
	s_branch .LBB1105_235
.LBB1105_238:
                                        ; implicit-def: $sgpr19
                                        ; implicit-def: $vgpr35_vgpr36
	s_cbranch_execnz .LBB1105_248
	s_branch .LBB1105_249
.LBB1105_239:
	s_set_inst_prefetch_distance 0x2
	s_or_b32 exec_lo, exec_lo, s24
	v_cmp_gt_i64_e64 s2, s[22:23], v[40:41]
	s_delay_alu instid0(VALU_DEP_1)
	s_or_not1_b32 s2, s2, exec_lo
.LBB1105_240:
	s_or_b32 exec_lo, exec_lo, s19
	v_mad_u64_u32 v[38:39], null, v31, s22, s[8:9]
	v_mul_lo_u32 v33, v31, s23
	v_mul_lo_u32 v35, v32, s22
	v_cndmask_b32_e64 v40, 0, 1, s2
	s_mov_b32 s24, 0
	s_mov_b32 s19, -1
	s_delay_alu instid0(VALU_DEP_1) | instskip(NEXT) | instid1(VALU_DEP_3)
	v_lshlrev_b16 v40, 8, v40
	v_add3_u32 v39, v35, v39, v33
	v_lshrrev_b32_e32 v35, 16, v43
	global_load_u8 v33, v[38:39], off
	v_and_b32_e32 v35, 0xff, v35
	s_delay_alu instid0(VALU_DEP_1) | instskip(NEXT) | instid1(VALU_DEP_1)
	v_or_b32_e32 v35, v35, v40
	v_lshlrev_b32_e32 v35, 16, v35
	s_delay_alu instid0(VALU_DEP_1) | instskip(SKIP_2) | instid1(VALU_DEP_1)
	v_and_or_b32 v35, 0xffff, v43, v35
	s_waitcnt vmcnt(0)
	v_cmp_ne_u16_e64 s2, 0, v33
	s_xor_b32 s2, vcc_lo, s2
	s_delay_alu instid0(SALU_CYCLE_1) | instskip(NEXT) | instid1(SALU_CYCLE_1)
	s_xor_b32 s2, s2, -1
	s_and_saveexec_b32 s25, s2
	s_cbranch_execz .LBB1105_247
; %bb.241:
	s_mov_b64 s[4:5], 1
	s_mov_b32 s19, 0
                                        ; implicit-def: $sgpr26
	s_set_inst_prefetch_distance 0x1
	s_branch .LBB1105_244
	.p2align	6
.LBB1105_242:                           ;   in Loop: Header=BB1105_244 Depth=1
	v_add_co_u32 v40, vcc_lo, v38, s4
	v_add_co_ci_u32_e32 v41, vcc_lo, s5, v39, vcc_lo
	v_add_co_u32 v44, vcc_lo, v36, s4
	v_add_co_ci_u32_e32 v45, vcc_lo, s5, v37, vcc_lo
	s_clause 0x1
	global_load_u8 v33, v[40:41], off
	global_load_u8 v40, v[44:45], off
	s_waitcnt vmcnt(1)
	v_cmp_ne_u16_e32 vcc_lo, 0, v33
	s_waitcnt vmcnt(0)
	v_cmp_ne_u16_e64 s2, 0, v40
	s_delay_alu instid0(VALU_DEP_1) | instskip(SKIP_4) | instid1(SALU_CYCLE_1)
	s_xor_b32 s27, vcc_lo, s2
	s_add_u32 s2, s4, 1
	s_addc_u32 s3, s5, 0
	s_and_not1_b32 s26, s26, exec_lo
	s_and_b32 s27, s27, exec_lo
	s_or_b32 s26, s26, s27
.LBB1105_243:                           ;   in Loop: Header=BB1105_244 Depth=1
	v_dual_mov_b32 v41, s5 :: v_dual_mov_b32 v40, s4
	s_and_b32 s27, exec_lo, s26
	s_mov_b64 s[4:5], s[2:3]
	s_or_b32 s19, s27, s19
	s_delay_alu instid0(SALU_CYCLE_1)
	s_and_not1_b32 exec_lo, exec_lo, s19
	s_cbranch_execz .LBB1105_246
.LBB1105_244:                           ; =>This Inner Loop Header: Depth=1
	s_or_b32 s26, s26, exec_lo
	s_cmp_eq_u64 s[22:23], s[4:5]
	s_cbranch_scc0 .LBB1105_242
; %bb.245:                              ;   in Loop: Header=BB1105_244 Depth=1
	s_mov_b64 s[4:5], s[22:23]
                                        ; implicit-def: $sgpr2_sgpr3
	s_branch .LBB1105_243
.LBB1105_246:
	s_set_inst_prefetch_distance 0x2
	s_or_b32 exec_lo, exec_lo, s19
	v_cmp_gt_i64_e32 vcc_lo, s[22:23], v[40:41]
	s_or_not1_b32 s19, vcc_lo, exec_lo
.LBB1105_247:
	s_or_b32 exec_lo, exec_lo, s25
	s_delay_alu instid0(SALU_CYCLE_1)
	s_and_b32 vcc_lo, exec_lo, s24
	s_cbranch_vccz .LBB1105_249
.LBB1105_248:
	v_and_b32_e32 v35, 0xffffff, v43
	s_and_not1_b32 s19, s19, exec_lo
.LBB1105_249:
	v_cmp_ne_u32_e32 vcc_lo, 1, v42
	s_mov_b32 s2, 0
	s_cbranch_vccnz .LBB1105_258
; %bb.250:
	v_mad_u64_u32 v[36:37], null, v29, s22, s[8:9]
	v_mul_lo_u32 v33, v29, s23
	v_mul_lo_u32 v40, v30, s22
	v_mad_u64_u32 v[38:39], null, v31, s22, s[8:9]
	v_mul_lo_u32 v41, v31, s23
	v_mul_lo_u32 v43, v32, s22
	s_mov_b32 s25, 0
	s_delay_alu instid0(VALU_DEP_4) | instskip(NEXT) | instid1(VALU_DEP_2)
	v_add3_u32 v37, v40, v37, v33
	v_add3_u32 v39, v43, v39, v41
	s_clause 0x1
	global_load_u8 v33, v[36:37], off
	global_load_u8 v40, v[38:39], off
	s_waitcnt vmcnt(1)
	v_cmp_ne_u16_e32 vcc_lo, 0, v33
	s_waitcnt vmcnt(0)
	v_cmp_ne_u16_e64 s2, 0, v40
	s_delay_alu instid0(VALU_DEP_1) | instskip(SKIP_2) | instid1(SALU_CYCLE_1)
	s_xor_b32 s3, vcc_lo, s2
	s_mov_b32 s2, -1
	s_xor_b32 s3, s3, -1
	s_and_saveexec_b32 s24, s3
	s_cbranch_execz .LBB1105_257
; %bb.251:
	s_mov_b64 s[4:5], 1
                                        ; implicit-def: $sgpr26
	s_set_inst_prefetch_distance 0x1
	s_branch .LBB1105_254
	.p2align	6
.LBB1105_252:                           ;   in Loop: Header=BB1105_254 Depth=1
	v_add_co_u32 v40, vcc_lo, v36, s4
	v_add_co_ci_u32_e32 v41, vcc_lo, s5, v37, vcc_lo
	v_add_co_u32 v43, vcc_lo, v38, s4
	v_add_co_ci_u32_e32 v44, vcc_lo, s5, v39, vcc_lo
	s_clause 0x1
	global_load_u8 v33, v[40:41], off
	global_load_u8 v40, v[43:44], off
	s_waitcnt vmcnt(1)
	v_cmp_ne_u16_e32 vcc_lo, 0, v33
	s_waitcnt vmcnt(0)
	v_cmp_ne_u16_e64 s2, 0, v40
	s_delay_alu instid0(VALU_DEP_1) | instskip(SKIP_4) | instid1(SALU_CYCLE_1)
	s_xor_b32 s27, vcc_lo, s2
	s_add_u32 s2, s4, 1
	s_addc_u32 s3, s5, 0
	s_and_not1_b32 s26, s26, exec_lo
	s_and_b32 s27, s27, exec_lo
	s_or_b32 s26, s26, s27
.LBB1105_253:                           ;   in Loop: Header=BB1105_254 Depth=1
	v_dual_mov_b32 v41, s5 :: v_dual_mov_b32 v40, s4
	s_and_b32 s27, exec_lo, s26
	s_mov_b64 s[4:5], s[2:3]
	s_or_b32 s25, s27, s25
	s_delay_alu instid0(SALU_CYCLE_1)
	s_and_not1_b32 exec_lo, exec_lo, s25
	s_cbranch_execz .LBB1105_256
.LBB1105_254:                           ; =>This Inner Loop Header: Depth=1
	s_or_b32 s26, s26, exec_lo
	s_cmp_eq_u64 s[22:23], s[4:5]
	s_cbranch_scc0 .LBB1105_252
; %bb.255:                              ;   in Loop: Header=BB1105_254 Depth=1
	s_mov_b64 s[4:5], s[22:23]
                                        ; implicit-def: $sgpr2_sgpr3
	s_branch .LBB1105_253
.LBB1105_256:
	s_set_inst_prefetch_distance 0x2
	s_or_b32 exec_lo, exec_lo, s25
	v_cmp_gt_i64_e32 vcc_lo, s[22:23], v[40:41]
	s_or_not1_b32 s2, vcc_lo, exec_lo
.LBB1105_257:
	s_or_b32 exec_lo, exec_lo, s24
.LBB1105_258:
	v_cndmask_b32_e64 v33, 0, 1, s2
	v_lshrrev_b32_e32 v35, 16, v35
	v_cndmask_b32_e64 v36, 0, 1, s19
	s_barrier
	s_delay_alu instid0(VALU_DEP_3) | instskip(NEXT) | instid1(VALU_DEP_3)
	v_lshlrev_b16 v33, 8, v33
	v_and_b32_e32 v35, 0xffffff00, v35
	buffer_gl0_inv
                                        ; implicit-def: $sgpr2
	s_mov_b32 s3, exec_lo
	v_or_b32_e32 v33, 1, v33
	v_or_b32_e32 v35, v36, v35
	s_delay_alu instid0(VALU_DEP_2) | instskip(NEXT) | instid1(VALU_DEP_2)
	v_and_b32_e32 v33, 0xffff, v33
	v_lshlrev_b32_e32 v35, 16, v35
	s_delay_alu instid0(VALU_DEP_1)
	v_or_b32_e32 v33, v33, v35
	v_cmpx_ne_u32_e32 0, v0
	s_xor_b32 s19, exec_lo, s3
	s_cbranch_execz .LBB1105_269
; %bb.259:
	v_cmp_ne_u32_e32 vcc_lo, 1, v42
	s_mov_b32 s2, 0
	s_cbranch_vccnz .LBB1105_268
; %bb.260:
	v_add_nc_u32_e32 v35, -8, v55
	v_mul_lo_u32 v41, v29, s23
	s_mov_b32 s25, 0
	ds_load_b64 v[39:40], v35
	v_mad_u64_u32 v[35:36], null, v29, s22, s[8:9]
	s_waitcnt lgkmcnt(0)
	v_mul_lo_u32 v42, v39, s23
	v_mul_lo_u32 v40, v40, s22
	v_mad_u64_u32 v[37:38], null, v39, s22, s[8:9]
	v_mul_lo_u32 v39, v30, s22
	s_delay_alu instid0(VALU_DEP_2) | instskip(NEXT) | instid1(VALU_DEP_2)
	v_add3_u32 v38, v40, v38, v42
	v_add3_u32 v36, v39, v36, v41
	s_clause 0x1
	global_load_u8 v39, v[37:38], off
	global_load_u8 v40, v[35:36], off
	s_waitcnt vmcnt(1)
	v_cmp_ne_u16_e32 vcc_lo, 0, v39
	s_waitcnt vmcnt(0)
	v_cmp_ne_u16_e64 s2, 0, v40
	s_delay_alu instid0(VALU_DEP_1) | instskip(SKIP_2) | instid1(SALU_CYCLE_1)
	s_xor_b32 s3, vcc_lo, s2
	s_mov_b32 s2, -1
	s_xor_b32 s3, s3, -1
	s_and_saveexec_b32 s24, s3
	s_cbranch_execz .LBB1105_267
; %bb.261:
	s_mov_b64 s[4:5], 1
                                        ; implicit-def: $sgpr26
	s_set_inst_prefetch_distance 0x1
	s_branch .LBB1105_264
	.p2align	6
.LBB1105_262:                           ;   in Loop: Header=BB1105_264 Depth=1
	v_add_co_u32 v39, vcc_lo, v37, s4
	v_add_co_ci_u32_e32 v40, vcc_lo, s5, v38, vcc_lo
	v_add_co_u32 v41, vcc_lo, v35, s4
	v_add_co_ci_u32_e32 v42, vcc_lo, s5, v36, vcc_lo
	s_clause 0x1
	global_load_u8 v39, v[39:40], off
	global_load_u8 v40, v[41:42], off
	s_waitcnt vmcnt(1)
	v_cmp_ne_u16_e32 vcc_lo, 0, v39
	s_waitcnt vmcnt(0)
	v_cmp_ne_u16_e64 s2, 0, v40
	s_delay_alu instid0(VALU_DEP_1) | instskip(SKIP_4) | instid1(SALU_CYCLE_1)
	s_xor_b32 s27, vcc_lo, s2
	s_add_u32 s2, s4, 1
	s_addc_u32 s3, s5, 0
	s_and_not1_b32 s26, s26, exec_lo
	s_and_b32 s27, s27, exec_lo
	s_or_b32 s26, s26, s27
.LBB1105_263:                           ;   in Loop: Header=BB1105_264 Depth=1
	v_dual_mov_b32 v40, s5 :: v_dual_mov_b32 v39, s4
	s_and_b32 s27, exec_lo, s26
	s_mov_b64 s[4:5], s[2:3]
	s_or_b32 s25, s27, s25
	s_delay_alu instid0(SALU_CYCLE_1)
	s_and_not1_b32 exec_lo, exec_lo, s25
	s_cbranch_execz .LBB1105_266
.LBB1105_264:                           ; =>This Inner Loop Header: Depth=1
	s_or_b32 s26, s26, exec_lo
	s_cmp_eq_u64 s[22:23], s[4:5]
	s_cbranch_scc0 .LBB1105_262
; %bb.265:                              ;   in Loop: Header=BB1105_264 Depth=1
	s_mov_b64 s[4:5], s[22:23]
                                        ; implicit-def: $sgpr2_sgpr3
	s_branch .LBB1105_263
.LBB1105_266:
	s_set_inst_prefetch_distance 0x2
	s_or_b32 exec_lo, exec_lo, s25
	v_cmp_gt_i64_e32 vcc_lo, s[22:23], v[39:40]
	s_or_not1_b32 s2, vcc_lo, exec_lo
.LBB1105_267:
	s_or_b32 exec_lo, exec_lo, s24
.LBB1105_268:
	s_delay_alu instid0(SALU_CYCLE_1)
	s_and_b32 s2, s2, exec_lo
	s_or_b32 s6, s6, exec_lo
.LBB1105_269:
	s_or_b32 exec_lo, exec_lo, s19
	s_branch .LBB1105_345
.LBB1105_270:
	v_or_b32_e32 v33, 7, v55
	v_mul_lo_u32 v40, v17, s23
	v_mul_lo_u32 v42, v18, s22
	s_xor_b32 s7, s7, -1
	s_mov_b32 s3, -1
	v_cmp_gt_u32_e32 vcc_lo, s28, v33
	s_mov_b32 s19, 0
	s_mov_b32 s24, 0
	s_and_b32 s2, vcc_lo, s7
	s_delay_alu instid0(SALU_CYCLE_1)
	s_and_saveexec_b32 s25, s2
	s_cbranch_execz .LBB1105_279
; %bb.271:
	v_mad_u64_u32 v[33:34], null, v17, s22, s[8:9]
	s_waitcnt lgkmcnt(0)
	v_mad_u64_u32 v[35:36], null, v19, s22, s[8:9]
	v_mul_lo_u32 v37, v19, s23
	v_mul_lo_u32 v38, v20, s22
	s_mov_b32 s26, 0
	s_delay_alu instid0(VALU_DEP_4) | instskip(NEXT) | instid1(VALU_DEP_2)
	v_add3_u32 v34, v42, v34, v40
	v_add3_u32 v36, v38, v36, v37
	s_clause 0x1
	global_load_u8 v37, v[33:34], off
	global_load_u8 v38, v[35:36], off
	s_waitcnt vmcnt(1)
	v_cmp_ne_u16_e32 vcc_lo, 0, v37
	s_waitcnt vmcnt(0)
	v_cmp_ne_u16_e64 s2, 0, v38
	s_delay_alu instid0(VALU_DEP_1) | instskip(NEXT) | instid1(SALU_CYCLE_1)
	s_xor_b32 s2, vcc_lo, s2
	s_xor_b32 s2, s2, -1
	s_delay_alu instid0(SALU_CYCLE_1)
	s_and_saveexec_b32 s24, s2
	s_cbranch_execz .LBB1105_278
; %bb.272:
	s_mov_b64 s[4:5], 1
                                        ; implicit-def: $sgpr27
	s_set_inst_prefetch_distance 0x1
	s_branch .LBB1105_275
	.p2align	6
.LBB1105_273:                           ;   in Loop: Header=BB1105_275 Depth=1
	v_add_co_u32 v37, vcc_lo, v33, s4
	v_add_co_ci_u32_e32 v38, vcc_lo, s5, v34, vcc_lo
	v_add_co_u32 v43, vcc_lo, v35, s4
	v_add_co_ci_u32_e32 v44, vcc_lo, s5, v36, vcc_lo
	s_clause 0x1
	global_load_u8 v37, v[37:38], off
	global_load_u8 v38, v[43:44], off
	s_waitcnt vmcnt(1)
	v_cmp_ne_u16_e32 vcc_lo, 0, v37
	s_waitcnt vmcnt(0)
	v_cmp_ne_u16_e64 s2, 0, v38
	s_delay_alu instid0(VALU_DEP_1) | instskip(SKIP_4) | instid1(SALU_CYCLE_1)
	s_xor_b32 s29, vcc_lo, s2
	s_add_u32 s2, s4, 1
	s_addc_u32 s3, s5, 0
	s_and_not1_b32 s27, s27, exec_lo
	s_and_b32 s29, s29, exec_lo
	s_or_b32 s27, s27, s29
.LBB1105_274:                           ;   in Loop: Header=BB1105_275 Depth=1
	v_dual_mov_b32 v38, s5 :: v_dual_mov_b32 v37, s4
	s_and_b32 s29, exec_lo, s27
	s_mov_b64 s[4:5], s[2:3]
	s_or_b32 s26, s29, s26
	s_delay_alu instid0(SALU_CYCLE_1)
	s_and_not1_b32 exec_lo, exec_lo, s26
	s_cbranch_execz .LBB1105_277
.LBB1105_275:                           ; =>This Inner Loop Header: Depth=1
	s_or_b32 s27, s27, exec_lo
	s_cmp_eq_u64 s[22:23], s[4:5]
	s_cbranch_scc0 .LBB1105_273
; %bb.276:                              ;   in Loop: Header=BB1105_275 Depth=1
	s_mov_b64 s[4:5], s[22:23]
                                        ; implicit-def: $sgpr2_sgpr3
	s_branch .LBB1105_274
.LBB1105_277:
	s_set_inst_prefetch_distance 0x2
	s_or_b32 exec_lo, exec_lo, s26
	v_cmp_gt_i64_e32 vcc_lo, s[22:23], v[37:38]
	s_or_not1_b32 s3, vcc_lo, exec_lo
.LBB1105_278:
	s_or_b32 exec_lo, exec_lo, s24
	s_delay_alu instid0(SALU_CYCLE_1)
	s_and_b32 s24, s3, exec_lo
.LBB1105_279:
	s_or_b32 exec_lo, exec_lo, s25
	v_or_b32_e32 v33, 6, v55
	v_mul_lo_u32 v39, v23, s23
	v_mul_lo_u32 v41, v24, s22
	s_delay_alu instid0(VALU_DEP_3) | instskip(SKIP_1) | instid1(SALU_CYCLE_1)
	v_cmp_gt_u32_e32 vcc_lo, s28, v33
	s_and_b32 s2, vcc_lo, s7
	s_and_saveexec_b32 s25, s2
	s_cbranch_execz .LBB1105_288
; %bb.280:
	v_mad_u64_u32 v[33:34], null, v23, s22, s[8:9]
	s_waitcnt lgkmcnt(0)
	v_mad_u64_u32 v[35:36], null, v17, s22, s[8:9]
	s_mov_b32 s26, 0
	s_delay_alu instid0(VALU_DEP_2) | instskip(NEXT) | instid1(VALU_DEP_2)
	v_add3_u32 v34, v41, v34, v39
	v_add3_u32 v36, v42, v36, v40
	s_clause 0x1
	global_load_u8 v37, v[33:34], off
	global_load_u8 v38, v[35:36], off
	s_waitcnt vmcnt(1)
	v_cmp_ne_u16_e32 vcc_lo, 0, v37
	s_waitcnt vmcnt(0)
	v_cmp_ne_u16_e64 s2, 0, v38
	s_delay_alu instid0(VALU_DEP_1) | instskip(SKIP_2) | instid1(SALU_CYCLE_1)
	s_xor_b32 s3, vcc_lo, s2
	s_mov_b32 s2, -1
	s_xor_b32 s3, s3, -1
	s_and_saveexec_b32 s19, s3
	s_cbranch_execz .LBB1105_287
; %bb.281:
	s_mov_b64 s[4:5], 1
                                        ; implicit-def: $sgpr27
	s_set_inst_prefetch_distance 0x1
	s_branch .LBB1105_284
	.p2align	6
.LBB1105_282:                           ;   in Loop: Header=BB1105_284 Depth=1
	v_add_co_u32 v37, vcc_lo, v33, s4
	v_add_co_ci_u32_e32 v38, vcc_lo, s5, v34, vcc_lo
	v_add_co_u32 v42, vcc_lo, v35, s4
	v_add_co_ci_u32_e32 v43, vcc_lo, s5, v36, vcc_lo
	s_clause 0x1
	global_load_u8 v37, v[37:38], off
	global_load_u8 v38, v[42:43], off
	s_waitcnt vmcnt(1)
	v_cmp_ne_u16_e32 vcc_lo, 0, v37
	s_waitcnt vmcnt(0)
	v_cmp_ne_u16_e64 s2, 0, v38
	s_delay_alu instid0(VALU_DEP_1) | instskip(SKIP_4) | instid1(SALU_CYCLE_1)
	s_xor_b32 s29, vcc_lo, s2
	s_add_u32 s2, s4, 1
	s_addc_u32 s3, s5, 0
	s_and_not1_b32 s27, s27, exec_lo
	s_and_b32 s29, s29, exec_lo
	s_or_b32 s27, s27, s29
.LBB1105_283:                           ;   in Loop: Header=BB1105_284 Depth=1
	v_dual_mov_b32 v38, s5 :: v_dual_mov_b32 v37, s4
	s_and_b32 s29, exec_lo, s27
	s_mov_b64 s[4:5], s[2:3]
	s_or_b32 s26, s29, s26
	s_delay_alu instid0(SALU_CYCLE_1)
	s_and_not1_b32 exec_lo, exec_lo, s26
	s_cbranch_execz .LBB1105_286
.LBB1105_284:                           ; =>This Inner Loop Header: Depth=1
	s_or_b32 s27, s27, exec_lo
	s_cmp_eq_u64 s[22:23], s[4:5]
	s_cbranch_scc0 .LBB1105_282
; %bb.285:                              ;   in Loop: Header=BB1105_284 Depth=1
	s_mov_b64 s[4:5], s[22:23]
                                        ; implicit-def: $sgpr2_sgpr3
	s_branch .LBB1105_283
.LBB1105_286:
	s_set_inst_prefetch_distance 0x2
	s_or_b32 exec_lo, exec_lo, s26
	v_cmp_gt_i64_e32 vcc_lo, s[22:23], v[37:38]
	s_or_not1_b32 s2, vcc_lo, exec_lo
.LBB1105_287:
	s_or_b32 exec_lo, exec_lo, s19
	s_delay_alu instid0(SALU_CYCLE_1)
	s_and_b32 s19, s2, exec_lo
.LBB1105_288:
	s_or_b32 exec_lo, exec_lo, s25
	v_or_b32_e32 v33, 5, v55
	v_mul_lo_u32 v42, v21, s23
	v_mul_lo_u32 v43, v22, s22
	s_mov_b32 s3, -1
	s_mov_b32 s25, 0
	v_cmp_gt_u32_e32 vcc_lo, s28, v33
	s_mov_b32 s26, 0
	s_and_b32 s2, vcc_lo, s7
	s_delay_alu instid0(SALU_CYCLE_1)
	s_and_saveexec_b32 s27, s2
	s_cbranch_execz .LBB1105_297
; %bb.289:
	v_mad_u64_u32 v[33:34], null, v21, s22, s[8:9]
	s_waitcnt lgkmcnt(0)
	v_mad_u64_u32 v[35:36], null, v23, s22, s[8:9]
	s_mov_b32 s29, 0
	s_delay_alu instid0(VALU_DEP_2) | instskip(NEXT) | instid1(VALU_DEP_2)
	v_add3_u32 v34, v43, v34, v42
	v_add3_u32 v36, v41, v36, v39
	s_clause 0x1
	global_load_u8 v37, v[33:34], off
	global_load_u8 v38, v[35:36], off
	s_waitcnt vmcnt(1)
	v_cmp_ne_u16_e32 vcc_lo, 0, v37
	s_waitcnt vmcnt(0)
	v_cmp_ne_u16_e64 s2, 0, v38
	s_delay_alu instid0(VALU_DEP_1) | instskip(NEXT) | instid1(SALU_CYCLE_1)
	s_xor_b32 s2, vcc_lo, s2
	s_xor_b32 s2, s2, -1
	s_delay_alu instid0(SALU_CYCLE_1)
	s_and_saveexec_b32 s26, s2
	s_cbranch_execz .LBB1105_296
; %bb.290:
	s_mov_b64 s[4:5], 1
                                        ; implicit-def: $sgpr30
	s_set_inst_prefetch_distance 0x1
	s_branch .LBB1105_293
	.p2align	6
.LBB1105_291:                           ;   in Loop: Header=BB1105_293 Depth=1
	v_add_co_u32 v37, vcc_lo, v33, s4
	v_add_co_ci_u32_e32 v38, vcc_lo, s5, v34, vcc_lo
	v_add_co_u32 v39, vcc_lo, v35, s4
	v_add_co_ci_u32_e32 v40, vcc_lo, s5, v36, vcc_lo
	s_clause 0x1
	global_load_u8 v37, v[37:38], off
	global_load_u8 v38, v[39:40], off
	s_waitcnt vmcnt(1)
	v_cmp_ne_u16_e32 vcc_lo, 0, v37
	s_waitcnt vmcnt(0)
	v_cmp_ne_u16_e64 s2, 0, v38
	s_delay_alu instid0(VALU_DEP_1) | instskip(SKIP_4) | instid1(SALU_CYCLE_1)
	s_xor_b32 s31, vcc_lo, s2
	s_add_u32 s2, s4, 1
	s_addc_u32 s3, s5, 0
	s_and_not1_b32 s30, s30, exec_lo
	s_and_b32 s31, s31, exec_lo
	s_or_b32 s30, s30, s31
.LBB1105_292:                           ;   in Loop: Header=BB1105_293 Depth=1
	v_dual_mov_b32 v38, s5 :: v_dual_mov_b32 v37, s4
	s_and_b32 s31, exec_lo, s30
	s_mov_b64 s[4:5], s[2:3]
	s_or_b32 s29, s31, s29
	s_delay_alu instid0(SALU_CYCLE_1)
	s_and_not1_b32 exec_lo, exec_lo, s29
	s_cbranch_execz .LBB1105_295
.LBB1105_293:                           ; =>This Inner Loop Header: Depth=1
	s_or_b32 s30, s30, exec_lo
	s_cmp_eq_u64 s[22:23], s[4:5]
	s_cbranch_scc0 .LBB1105_291
; %bb.294:                              ;   in Loop: Header=BB1105_293 Depth=1
	s_mov_b64 s[4:5], s[22:23]
                                        ; implicit-def: $sgpr2_sgpr3
	s_branch .LBB1105_292
.LBB1105_295:
	s_set_inst_prefetch_distance 0x2
	s_or_b32 exec_lo, exec_lo, s29
	v_cmp_gt_i64_e32 vcc_lo, s[22:23], v[37:38]
	s_or_not1_b32 s3, vcc_lo, exec_lo
.LBB1105_296:
	s_or_b32 exec_lo, exec_lo, s26
	s_delay_alu instid0(SALU_CYCLE_1)
	s_and_b32 s26, s3, exec_lo
.LBB1105_297:
	s_or_b32 exec_lo, exec_lo, s27
	v_or_b32_e32 v33, 4, v55
	v_mul_lo_u32 v39, v27, s23
	v_mul_lo_u32 v40, v28, s22
	s_delay_alu instid0(VALU_DEP_3) | instskip(SKIP_1) | instid1(SALU_CYCLE_1)
	v_cmp_gt_u32_e32 vcc_lo, s28, v33
	s_and_b32 s2, vcc_lo, s7
	s_and_saveexec_b32 s27, s2
	s_cbranch_execz .LBB1105_306
; %bb.298:
	v_mad_u64_u32 v[33:34], null, v27, s22, s[8:9]
	s_waitcnt lgkmcnt(0)
	v_mad_u64_u32 v[35:36], null, v21, s22, s[8:9]
	s_mov_b32 s29, 0
	s_delay_alu instid0(VALU_DEP_2) | instskip(NEXT) | instid1(VALU_DEP_2)
	v_add3_u32 v34, v40, v34, v39
	v_add3_u32 v36, v43, v36, v42
	s_clause 0x1
	global_load_u8 v37, v[33:34], off
	global_load_u8 v38, v[35:36], off
	s_waitcnt vmcnt(1)
	v_cmp_ne_u16_e32 vcc_lo, 0, v37
	s_waitcnt vmcnt(0)
	v_cmp_ne_u16_e64 s2, 0, v38
	s_delay_alu instid0(VALU_DEP_1) | instskip(SKIP_2) | instid1(SALU_CYCLE_1)
	s_xor_b32 s3, vcc_lo, s2
	s_mov_b32 s2, -1
	s_xor_b32 s3, s3, -1
	s_and_saveexec_b32 s25, s3
	s_cbranch_execz .LBB1105_305
; %bb.299:
	s_mov_b64 s[4:5], 1
                                        ; implicit-def: $sgpr30
	s_set_inst_prefetch_distance 0x1
	s_branch .LBB1105_302
	.p2align	6
.LBB1105_300:                           ;   in Loop: Header=BB1105_302 Depth=1
	v_add_co_u32 v37, vcc_lo, v33, s4
	v_add_co_ci_u32_e32 v38, vcc_lo, s5, v34, vcc_lo
	v_add_co_u32 v41, vcc_lo, v35, s4
	v_add_co_ci_u32_e32 v42, vcc_lo, s5, v36, vcc_lo
	s_clause 0x1
	global_load_u8 v37, v[37:38], off
	global_load_u8 v38, v[41:42], off
	s_waitcnt vmcnt(1)
	v_cmp_ne_u16_e32 vcc_lo, 0, v37
	s_waitcnt vmcnt(0)
	v_cmp_ne_u16_e64 s2, 0, v38
	s_delay_alu instid0(VALU_DEP_1) | instskip(SKIP_4) | instid1(SALU_CYCLE_1)
	s_xor_b32 s31, vcc_lo, s2
	s_add_u32 s2, s4, 1
	s_addc_u32 s3, s5, 0
	s_and_not1_b32 s30, s30, exec_lo
	s_and_b32 s31, s31, exec_lo
	s_or_b32 s30, s30, s31
.LBB1105_301:                           ;   in Loop: Header=BB1105_302 Depth=1
	v_dual_mov_b32 v38, s5 :: v_dual_mov_b32 v37, s4
	s_and_b32 s31, exec_lo, s30
	s_mov_b64 s[4:5], s[2:3]
	s_or_b32 s29, s31, s29
	s_delay_alu instid0(SALU_CYCLE_1)
	s_and_not1_b32 exec_lo, exec_lo, s29
	s_cbranch_execz .LBB1105_304
.LBB1105_302:                           ; =>This Inner Loop Header: Depth=1
	s_or_b32 s30, s30, exec_lo
	s_cmp_eq_u64 s[22:23], s[4:5]
	s_cbranch_scc0 .LBB1105_300
; %bb.303:                              ;   in Loop: Header=BB1105_302 Depth=1
	s_mov_b64 s[4:5], s[22:23]
                                        ; implicit-def: $sgpr2_sgpr3
	s_branch .LBB1105_301
.LBB1105_304:
	s_set_inst_prefetch_distance 0x2
	s_or_b32 exec_lo, exec_lo, s29
	v_cmp_gt_i64_e32 vcc_lo, s[22:23], v[37:38]
	s_or_not1_b32 s2, vcc_lo, exec_lo
.LBB1105_305:
	s_or_b32 exec_lo, exec_lo, s25
	s_delay_alu instid0(SALU_CYCLE_1)
	s_and_b32 s25, s2, exec_lo
.LBB1105_306:
	s_or_b32 exec_lo, exec_lo, s27
	v_or_b32_e32 v33, 3, v55
	v_mul_lo_u32 v41, v25, s23
	v_mul_lo_u32 v42, v26, s22
	s_mov_b32 s3, -1
	s_mov_b32 s29, 0
	v_cmp_gt_u32_e32 vcc_lo, s28, v33
	s_mov_b32 s27, 0
	s_and_b32 s2, vcc_lo, s7
	s_delay_alu instid0(SALU_CYCLE_1)
	s_and_saveexec_b32 s30, s2
	s_cbranch_execz .LBB1105_315
; %bb.307:
	v_mad_u64_u32 v[33:34], null, v25, s22, s[8:9]
	s_waitcnt lgkmcnt(0)
	v_mad_u64_u32 v[35:36], null, v27, s22, s[8:9]
	s_mov_b32 s31, 0
	s_delay_alu instid0(VALU_DEP_2) | instskip(NEXT) | instid1(VALU_DEP_2)
	v_add3_u32 v34, v42, v34, v41
	v_add3_u32 v36, v40, v36, v39
	s_clause 0x1
	global_load_u8 v37, v[33:34], off
	global_load_u8 v38, v[35:36], off
	s_waitcnt vmcnt(1)
	v_cmp_ne_u16_e32 vcc_lo, 0, v37
	s_waitcnt vmcnt(0)
	v_cmp_ne_u16_e64 s2, 0, v38
	s_delay_alu instid0(VALU_DEP_1) | instskip(NEXT) | instid1(SALU_CYCLE_1)
	s_xor_b32 s2, vcc_lo, s2
	s_xor_b32 s2, s2, -1
	s_delay_alu instid0(SALU_CYCLE_1)
	s_and_saveexec_b32 s27, s2
	s_cbranch_execz .LBB1105_314
; %bb.308:
	s_mov_b64 s[4:5], 1
                                        ; implicit-def: $sgpr33
	s_set_inst_prefetch_distance 0x1
	s_branch .LBB1105_311
	.p2align	6
.LBB1105_309:                           ;   in Loop: Header=BB1105_311 Depth=1
	v_add_co_u32 v37, vcc_lo, v33, s4
	v_add_co_ci_u32_e32 v38, vcc_lo, s5, v34, vcc_lo
	v_add_co_u32 v39, vcc_lo, v35, s4
	v_add_co_ci_u32_e32 v40, vcc_lo, s5, v36, vcc_lo
	s_clause 0x1
	global_load_u8 v37, v[37:38], off
	global_load_u8 v38, v[39:40], off
	s_waitcnt vmcnt(1)
	v_cmp_ne_u16_e32 vcc_lo, 0, v37
	s_waitcnt vmcnt(0)
	v_cmp_ne_u16_e64 s2, 0, v38
	s_delay_alu instid0(VALU_DEP_1) | instskip(SKIP_4) | instid1(SALU_CYCLE_1)
	s_xor_b32 s34, vcc_lo, s2
	s_add_u32 s2, s4, 1
	s_addc_u32 s3, s5, 0
	s_and_not1_b32 s33, s33, exec_lo
	s_and_b32 s34, s34, exec_lo
	s_or_b32 s33, s33, s34
.LBB1105_310:                           ;   in Loop: Header=BB1105_311 Depth=1
	v_dual_mov_b32 v38, s5 :: v_dual_mov_b32 v37, s4
	s_and_b32 s34, exec_lo, s33
	s_mov_b64 s[4:5], s[2:3]
	s_or_b32 s31, s34, s31
	s_delay_alu instid0(SALU_CYCLE_1)
	s_and_not1_b32 exec_lo, exec_lo, s31
	s_cbranch_execz .LBB1105_313
.LBB1105_311:                           ; =>This Inner Loop Header: Depth=1
	s_or_b32 s33, s33, exec_lo
	s_cmp_eq_u64 s[22:23], s[4:5]
	s_cbranch_scc0 .LBB1105_309
; %bb.312:                              ;   in Loop: Header=BB1105_311 Depth=1
	s_mov_b64 s[4:5], s[22:23]
                                        ; implicit-def: $sgpr2_sgpr3
	s_branch .LBB1105_310
.LBB1105_313:
	s_set_inst_prefetch_distance 0x2
	s_or_b32 exec_lo, exec_lo, s31
	v_cmp_gt_i64_e32 vcc_lo, s[22:23], v[37:38]
	s_or_not1_b32 s3, vcc_lo, exec_lo
.LBB1105_314:
	s_or_b32 exec_lo, exec_lo, s27
	s_delay_alu instid0(SALU_CYCLE_1)
	s_and_b32 s27, s3, exec_lo
.LBB1105_315:
	s_or_b32 exec_lo, exec_lo, s30
	v_or_b32_e32 v33, 2, v55
	v_mul_lo_u32 v39, v31, s23
	v_mul_lo_u32 v40, v32, s22
	s_delay_alu instid0(VALU_DEP_3) | instskip(SKIP_1) | instid1(SALU_CYCLE_1)
	v_cmp_gt_u32_e32 vcc_lo, s28, v33
	s_and_b32 s2, vcc_lo, s7
	s_and_saveexec_b32 s30, s2
	s_cbranch_execz .LBB1105_324
; %bb.316:
	v_mad_u64_u32 v[33:34], null, v31, s22, s[8:9]
	s_waitcnt lgkmcnt(0)
	v_mad_u64_u32 v[35:36], null, v25, s22, s[8:9]
	s_mov_b32 s31, 0
	s_delay_alu instid0(VALU_DEP_2) | instskip(NEXT) | instid1(VALU_DEP_2)
	v_add3_u32 v34, v40, v34, v39
	v_add3_u32 v36, v42, v36, v41
	s_clause 0x1
	global_load_u8 v37, v[33:34], off
	global_load_u8 v38, v[35:36], off
	s_waitcnt vmcnt(1)
	v_cmp_ne_u16_e32 vcc_lo, 0, v37
	s_waitcnt vmcnt(0)
	v_cmp_ne_u16_e64 s2, 0, v38
	s_delay_alu instid0(VALU_DEP_1) | instskip(SKIP_2) | instid1(SALU_CYCLE_1)
	s_xor_b32 s3, vcc_lo, s2
	s_mov_b32 s2, -1
	s_xor_b32 s3, s3, -1
	s_and_saveexec_b32 s29, s3
	s_cbranch_execz .LBB1105_323
; %bb.317:
	s_mov_b64 s[4:5], 1
                                        ; implicit-def: $sgpr33
	s_set_inst_prefetch_distance 0x1
	s_branch .LBB1105_320
	.p2align	6
.LBB1105_318:                           ;   in Loop: Header=BB1105_320 Depth=1
	v_add_co_u32 v37, vcc_lo, v33, s4
	v_add_co_ci_u32_e32 v38, vcc_lo, s5, v34, vcc_lo
	v_add_co_u32 v41, vcc_lo, v35, s4
	v_add_co_ci_u32_e32 v42, vcc_lo, s5, v36, vcc_lo
	s_clause 0x1
	global_load_u8 v37, v[37:38], off
	global_load_u8 v38, v[41:42], off
	s_waitcnt vmcnt(1)
	v_cmp_ne_u16_e32 vcc_lo, 0, v37
	s_waitcnt vmcnt(0)
	v_cmp_ne_u16_e64 s2, 0, v38
	s_delay_alu instid0(VALU_DEP_1) | instskip(SKIP_4) | instid1(SALU_CYCLE_1)
	s_xor_b32 s34, vcc_lo, s2
	s_add_u32 s2, s4, 1
	s_addc_u32 s3, s5, 0
	s_and_not1_b32 s33, s33, exec_lo
	s_and_b32 s34, s34, exec_lo
	s_or_b32 s33, s33, s34
.LBB1105_319:                           ;   in Loop: Header=BB1105_320 Depth=1
	v_dual_mov_b32 v38, s5 :: v_dual_mov_b32 v37, s4
	s_and_b32 s34, exec_lo, s33
	s_mov_b64 s[4:5], s[2:3]
	s_or_b32 s31, s34, s31
	s_delay_alu instid0(SALU_CYCLE_1)
	s_and_not1_b32 exec_lo, exec_lo, s31
	s_cbranch_execz .LBB1105_322
.LBB1105_320:                           ; =>This Inner Loop Header: Depth=1
	s_or_b32 s33, s33, exec_lo
	s_cmp_eq_u64 s[22:23], s[4:5]
	s_cbranch_scc0 .LBB1105_318
; %bb.321:                              ;   in Loop: Header=BB1105_320 Depth=1
	s_mov_b64 s[4:5], s[22:23]
                                        ; implicit-def: $sgpr2_sgpr3
	s_branch .LBB1105_319
.LBB1105_322:
	s_set_inst_prefetch_distance 0x2
	s_or_b32 exec_lo, exec_lo, s31
	v_cmp_gt_i64_e32 vcc_lo, s[22:23], v[37:38]
	s_or_not1_b32 s2, vcc_lo, exec_lo
.LBB1105_323:
	s_or_b32 exec_lo, exec_lo, s29
	s_delay_alu instid0(SALU_CYCLE_1)
	s_and_b32 s29, s2, exec_lo
.LBB1105_324:
	s_or_b32 exec_lo, exec_lo, s30
	v_or_b32_e32 v33, 1, v55
	s_mov_b32 s3, -1
	s_mov_b32 s2, 0
	s_delay_alu instid0(VALU_DEP_1) | instskip(SKIP_2) | instid1(SALU_CYCLE_1)
	v_cmp_gt_u32_e32 vcc_lo, s28, v33
	s_waitcnt lgkmcnt(0)
	s_and_b32 s4, vcc_lo, s7
	s_and_saveexec_b32 s30, s4
	s_cbranch_execz .LBB1105_333
; %bb.325:
	v_mad_u64_u32 v[33:34], null, v29, s22, s[8:9]
	v_mul_lo_u32 v37, v29, s23
	v_mul_lo_u32 v38, v30, s22
	v_mad_u64_u32 v[35:36], null, v31, s22, s[8:9]
	s_mov_b32 s33, 0
	s_delay_alu instid0(VALU_DEP_2) | instskip(NEXT) | instid1(VALU_DEP_2)
	v_add3_u32 v34, v38, v34, v37
	v_add3_u32 v36, v40, v36, v39
	s_clause 0x1
	global_load_u8 v37, v[33:34], off
	global_load_u8 v38, v[35:36], off
	s_waitcnt vmcnt(1)
	v_cmp_ne_u16_e32 vcc_lo, 0, v37
	s_waitcnt vmcnt(0)
	v_cmp_ne_u16_e64 s2, 0, v38
	s_delay_alu instid0(VALU_DEP_1) | instskip(NEXT) | instid1(SALU_CYCLE_1)
	s_xor_b32 s2, vcc_lo, s2
	s_xor_b32 s2, s2, -1
	s_delay_alu instid0(SALU_CYCLE_1)
	s_and_saveexec_b32 s31, s2
	s_cbranch_execz .LBB1105_332
; %bb.326:
	s_mov_b64 s[4:5], 1
                                        ; implicit-def: $sgpr34
	s_set_inst_prefetch_distance 0x1
	s_branch .LBB1105_329
	.p2align	6
.LBB1105_327:                           ;   in Loop: Header=BB1105_329 Depth=1
	v_add_co_u32 v37, vcc_lo, v33, s4
	v_add_co_ci_u32_e32 v38, vcc_lo, s5, v34, vcc_lo
	v_add_co_u32 v39, vcc_lo, v35, s4
	v_add_co_ci_u32_e32 v40, vcc_lo, s5, v36, vcc_lo
	s_clause 0x1
	global_load_u8 v37, v[37:38], off
	global_load_u8 v38, v[39:40], off
	s_waitcnt vmcnt(1)
	v_cmp_ne_u16_e32 vcc_lo, 0, v37
	s_waitcnt vmcnt(0)
	v_cmp_ne_u16_e64 s2, 0, v38
	s_delay_alu instid0(VALU_DEP_1) | instskip(SKIP_4) | instid1(SALU_CYCLE_1)
	s_xor_b32 s35, vcc_lo, s2
	s_add_u32 s2, s4, 1
	s_addc_u32 s3, s5, 0
	s_and_not1_b32 s34, s34, exec_lo
	s_and_b32 s35, s35, exec_lo
	s_or_b32 s34, s34, s35
.LBB1105_328:                           ;   in Loop: Header=BB1105_329 Depth=1
	v_dual_mov_b32 v38, s5 :: v_dual_mov_b32 v37, s4
	s_and_b32 s35, exec_lo, s34
	s_mov_b64 s[4:5], s[2:3]
	s_or_b32 s33, s35, s33
	s_delay_alu instid0(SALU_CYCLE_1)
	s_and_not1_b32 exec_lo, exec_lo, s33
	s_cbranch_execz .LBB1105_331
.LBB1105_329:                           ; =>This Inner Loop Header: Depth=1
	s_or_b32 s34, s34, exec_lo
	s_cmp_eq_u64 s[22:23], s[4:5]
	s_cbranch_scc0 .LBB1105_327
; %bb.330:                              ;   in Loop: Header=BB1105_329 Depth=1
	s_mov_b64 s[4:5], s[22:23]
                                        ; implicit-def: $sgpr2_sgpr3
	s_branch .LBB1105_328
.LBB1105_331:
	s_set_inst_prefetch_distance 0x2
	s_or_b32 exec_lo, exec_lo, s33
	v_cmp_gt_i64_e32 vcc_lo, s[22:23], v[37:38]
	s_or_not1_b32 s3, vcc_lo, exec_lo
.LBB1105_332:
	s_or_b32 exec_lo, exec_lo, s31
	s_delay_alu instid0(SALU_CYCLE_1)
	s_and_b32 s2, s3, exec_lo
.LBB1105_333:
	s_or_b32 exec_lo, exec_lo, s30
	v_cndmask_b32_e64 v34, 0, 1, s27
	v_cndmask_b32_e64 v35, 0, 1, s26
	;; [unrolled: 1-line block ×7, first 2 shown]
	v_lshlrev_b16 v35, 8, v35
	v_lshlrev_b16 v36, 8, v36
	;; [unrolled: 1-line block ×4, first 2 shown]
	s_mov_b32 s19, exec_lo
	v_or_b32_e32 v35, v38, v35
	v_or_b32_e32 v36, v39, v36
	;; [unrolled: 1-line block ×4, first 2 shown]
	s_delay_alu instid0(VALU_DEP_4) | instskip(NEXT) | instid1(VALU_DEP_4)
	v_and_b32_e32 v34, 0xffff, v35
	v_lshlrev_b32_e32 v35, 16, v36
	s_delay_alu instid0(VALU_DEP_4) | instskip(NEXT) | instid1(VALU_DEP_4)
	v_and_b32_e32 v36, 0xffff, v37
	v_lshlrev_b32_e32 v33, 16, v33
	s_barrier
	buffer_gl0_inv
	v_or_b32_e32 v34, v34, v35
                                        ; implicit-def: $sgpr2
	v_or_b32_e32 v33, v36, v33
	v_cmpx_ne_u32_e32 0, v0
	s_cbranch_execz .LBB1105_344
; %bb.334:
	v_cmp_gt_u32_e32 vcc_lo, s28, v55
	s_mov_b32 s3, -1
	s_mov_b32 s2, 0
	s_and_b32 s4, vcc_lo, s7
	s_delay_alu instid0(SALU_CYCLE_1)
	s_and_saveexec_b32 s7, s4
	s_cbranch_execz .LBB1105_343
; %bb.335:
	v_add_nc_u32_e32 v35, -8, v55
	v_mul_lo_u32 v41, v29, s23
	ds_load_b64 v[39:40], v35
	v_mad_u64_u32 v[35:36], null, v29, s22, s[8:9]
	s_waitcnt lgkmcnt(0)
	v_mul_lo_u32 v42, v39, s23
	v_mul_lo_u32 v40, v40, s22
	v_mad_u64_u32 v[37:38], null, v39, s22, s[8:9]
	v_mul_lo_u32 v39, v30, s22
	s_mov_b32 s9, 0
	s_delay_alu instid0(VALU_DEP_2) | instskip(NEXT) | instid1(VALU_DEP_2)
	v_add3_u32 v38, v40, v38, v42
	v_add3_u32 v36, v39, v36, v41
	s_clause 0x1
	global_load_u8 v39, v[37:38], off
	global_load_u8 v40, v[35:36], off
	s_waitcnt vmcnt(1)
	v_cmp_ne_u16_e32 vcc_lo, 0, v39
	s_waitcnt vmcnt(0)
	v_cmp_ne_u16_e64 s2, 0, v40
	s_delay_alu instid0(VALU_DEP_1) | instskip(NEXT) | instid1(SALU_CYCLE_1)
	s_xor_b32 s2, vcc_lo, s2
	s_xor_b32 s2, s2, -1
	s_delay_alu instid0(SALU_CYCLE_1)
	s_and_saveexec_b32 s8, s2
	s_cbranch_execz .LBB1105_342
; %bb.336:
	s_mov_b64 s[4:5], 1
                                        ; implicit-def: $sgpr24
	s_set_inst_prefetch_distance 0x1
	s_branch .LBB1105_339
	.p2align	6
.LBB1105_337:                           ;   in Loop: Header=BB1105_339 Depth=1
	v_add_co_u32 v39, vcc_lo, v37, s4
	v_add_co_ci_u32_e32 v40, vcc_lo, s5, v38, vcc_lo
	v_add_co_u32 v41, vcc_lo, v35, s4
	v_add_co_ci_u32_e32 v42, vcc_lo, s5, v36, vcc_lo
	s_clause 0x1
	global_load_u8 v39, v[39:40], off
	global_load_u8 v40, v[41:42], off
	s_waitcnt vmcnt(1)
	v_cmp_ne_u16_e32 vcc_lo, 0, v39
	s_waitcnt vmcnt(0)
	v_cmp_ne_u16_e64 s2, 0, v40
	s_delay_alu instid0(VALU_DEP_1) | instskip(SKIP_4) | instid1(SALU_CYCLE_1)
	s_xor_b32 s25, vcc_lo, s2
	s_add_u32 s2, s4, 1
	s_addc_u32 s3, s5, 0
	s_and_not1_b32 s24, s24, exec_lo
	s_and_b32 s25, s25, exec_lo
	s_or_b32 s24, s24, s25
.LBB1105_338:                           ;   in Loop: Header=BB1105_339 Depth=1
	v_dual_mov_b32 v40, s5 :: v_dual_mov_b32 v39, s4
	s_and_b32 s25, exec_lo, s24
	s_mov_b64 s[4:5], s[2:3]
	s_or_b32 s9, s25, s9
	s_delay_alu instid0(SALU_CYCLE_1)
	s_and_not1_b32 exec_lo, exec_lo, s9
	s_cbranch_execz .LBB1105_341
.LBB1105_339:                           ; =>This Inner Loop Header: Depth=1
	s_or_b32 s24, s24, exec_lo
	s_cmp_eq_u64 s[22:23], s[4:5]
	s_cbranch_scc0 .LBB1105_337
; %bb.340:                              ;   in Loop: Header=BB1105_339 Depth=1
	s_mov_b64 s[4:5], s[22:23]
                                        ; implicit-def: $sgpr2_sgpr3
	s_branch .LBB1105_338
.LBB1105_341:
	s_set_inst_prefetch_distance 0x2
	s_or_b32 exec_lo, exec_lo, s9
	v_cmp_gt_i64_e32 vcc_lo, s[22:23], v[39:40]
	s_or_not1_b32 s3, vcc_lo, exec_lo
.LBB1105_342:
	s_or_b32 exec_lo, exec_lo, s8
	s_delay_alu instid0(SALU_CYCLE_1)
	s_and_b32 s2, s3, exec_lo
.LBB1105_343:
	s_or_b32 exec_lo, exec_lo, s7
	s_delay_alu instid0(SALU_CYCLE_1)
	s_and_b32 s2, s2, exec_lo
	s_or_b32 s6, s6, exec_lo
.LBB1105_344:
	s_or_b32 exec_lo, exec_lo, s19
.LBB1105_345:
	s_and_saveexec_b32 s3, s6
	s_cbranch_execz .LBB1105_347
; %bb.346:
	s_waitcnt lgkmcnt(0)
	v_and_b32_e32 v35, 0xffffff00, v33
	v_cndmask_b32_e64 v36, 0, 1, s2
	s_delay_alu instid0(VALU_DEP_1) | instskip(NEXT) | instid1(VALU_DEP_1)
	v_or_b32_e32 v35, v36, v35
	v_and_b32_e32 v35, 0xffff, v35
	s_delay_alu instid0(VALU_DEP_1)
	v_and_or_b32 v33, 0xffff0000, v33, v35
.LBB1105_347:
	s_or_b32 exec_lo, exec_lo, s3
	s_delay_alu instid0(SALU_CYCLE_1)
	s_and_not1_b32 vcc_lo, exec_lo, s21
	s_cbranch_vccnz .LBB1105_349
; %bb.348:
	v_cmp_gt_u32_e32 vcc_lo, s28, v55
	s_waitcnt lgkmcnt(0)
	v_or_b32_e32 v36, 1, v55
	v_and_b32_e32 v37, 0xffffff00, v34
	v_or_b32_e32 v38, 2, v55
	v_cndmask_b32_e32 v35, 0, v33, vcc_lo
	s_delay_alu instid0(VALU_DEP_4) | instskip(SKIP_1) | instid1(VALU_DEP_4)
	v_cmp_gt_u32_e32 vcc_lo, s28, v36
	v_or_b32_e32 v36, 4, v55
	v_cmp_gt_u32_e64 s2, s28, v38
	v_or_b32_e32 v38, 3, v55
	v_and_b32_e32 v35, 0xff, v35
	s_delay_alu instid0(VALU_DEP_2) | instskip(NEXT) | instid1(VALU_DEP_2)
	v_cmp_gt_u32_e64 s3, s28, v38
	v_cndmask_b32_e32 v35, v35, v33, vcc_lo
	v_cmp_gt_u32_e32 vcc_lo, s28, v36
	v_cndmask_b32_e32 v36, v37, v34, vcc_lo
	v_or_b32_e32 v37, 5, v55
	s_delay_alu instid0(VALU_DEP_2) | instskip(SKIP_1) | instid1(VALU_DEP_1)
	v_and_b32_e32 v36, 0xffff00ff, v36
	v_and_b32_e32 v35, 0xffff, v35
	v_cndmask_b32_e64 v35, v35, v33, s2
	s_delay_alu instid0(VALU_DEP_4) | instskip(SKIP_1) | instid1(VALU_DEP_3)
	v_cmp_gt_u32_e64 s2, s28, v37
	v_or_b32_e32 v37, 6, v55
	v_and_b32_e32 v35, 0xffffff, v35
	s_delay_alu instid0(VALU_DEP_3) | instskip(NEXT) | instid1(VALU_DEP_2)
	v_cndmask_b32_e64 v36, v36, v34, s2
	v_cndmask_b32_e64 v35, v35, v33, s3
	s_delay_alu instid0(VALU_DEP_1) | instskip(SKIP_2) | instid1(VALU_DEP_3)
	v_dual_cndmask_b32 v35, v35, v33 :: v_dual_and_b32 v36, 0xff00ffff, v36
	v_cmp_gt_u32_e32 vcc_lo, s28, v37
	v_or_b32_e32 v37, 7, v55
	v_cndmask_b32_e64 v35, v35, v33, s2
	s_delay_alu instid0(VALU_DEP_1) | instskip(NEXT) | instid1(VALU_DEP_1)
	v_dual_cndmask_b32 v36, v36, v34 :: v_dual_cndmask_b32 v35, v35, v33
	v_and_b32_e32 v36, 0xffffff, v36
	s_delay_alu instid0(VALU_DEP_4) | instskip(NEXT) | instid1(VALU_DEP_2)
	v_cmp_gt_u32_e32 vcc_lo, s28, v37
	v_dual_cndmask_b32 v34, v36, v34 :: v_dual_cndmask_b32 v33, v35, v33
.LBB1105_349:
	s_delay_alu instid0(VALU_DEP_1) | instskip(SKIP_1) | instid1(VALU_DEP_2)
	v_and_b32_e32 v42, 0xff, v33
	s_waitcnt lgkmcnt(0)
	v_alignbit_b32 v35, v34, v33, 24
	v_bfe_u32 v44, v33, 8, 8
	v_bfe_u32 v46, v33, 16, 8
	v_and_b32_e32 v50, 0xff, v34
	v_bfe_u32 v52, v34, 8, 8
	v_and_b32_e32 v48, 0xff, v35
	v_add_nc_u32_e32 v35, v44, v42
	v_mbcnt_lo_u32_b32 v57, -1, 0
	v_bfe_u32 v54, v34, 16, 8
	v_lshrrev_b32_e32 v56, 24, v34
	v_lshrrev_b32_e32 v58, 5, v0
	v_add3_u32 v35, v35, v46, v48
	v_and_b32_e32 v36, 15, v57
	v_and_b32_e32 v37, 16, v57
	s_and_b32 vcc_lo, exec_lo, s18
	s_mov_b32 s9, -1
	v_add3_u32 v35, v35, v50, v52
	v_cmp_eq_u32_e64 s4, 0, v36
	v_cmp_lt_u32_e64 s2, 1, v36
	v_cmp_lt_u32_e64 s5, 3, v36
	v_cmp_lt_u32_e64 s3, 7, v36
	v_add3_u32 v59, v35, v54, v56
	v_or_b32_e32 v35, 31, v0
	v_cmp_eq_u32_e64 s7, 0, v37
	s_barrier
	buffer_gl0_inv
	v_cmp_eq_u32_e64 s6, v35, v0
	s_cbranch_vccz .LBB1105_380
; %bb.350:
	v_mov_b32_dpp v35, v59 row_shr:1 row_mask:0xf bank_mask:0xf
	s_delay_alu instid0(VALU_DEP_1) | instskip(NEXT) | instid1(VALU_DEP_1)
	v_cndmask_b32_e64 v35, v35, 0, s4
	v_add_nc_u32_e32 v35, v35, v59
	s_delay_alu instid0(VALU_DEP_1) | instskip(NEXT) | instid1(VALU_DEP_1)
	v_mov_b32_dpp v36, v35 row_shr:2 row_mask:0xf bank_mask:0xf
	v_cndmask_b32_e64 v36, 0, v36, s2
	s_delay_alu instid0(VALU_DEP_1) | instskip(NEXT) | instid1(VALU_DEP_1)
	v_add_nc_u32_e32 v35, v35, v36
	v_mov_b32_dpp v36, v35 row_shr:4 row_mask:0xf bank_mask:0xf
	s_delay_alu instid0(VALU_DEP_1) | instskip(NEXT) | instid1(VALU_DEP_1)
	v_cndmask_b32_e64 v36, 0, v36, s5
	v_add_nc_u32_e32 v35, v35, v36
	s_delay_alu instid0(VALU_DEP_1) | instskip(NEXT) | instid1(VALU_DEP_1)
	v_mov_b32_dpp v36, v35 row_shr:8 row_mask:0xf bank_mask:0xf
	v_cndmask_b32_e64 v36, 0, v36, s3
	s_delay_alu instid0(VALU_DEP_1) | instskip(SKIP_3) | instid1(VALU_DEP_1)
	v_add_nc_u32_e32 v35, v35, v36
	ds_swizzle_b32 v36, v35 offset:swizzle(BROADCAST,32,15)
	s_waitcnt lgkmcnt(0)
	v_cndmask_b32_e64 v36, v36, 0, s7
	v_add_nc_u32_e32 v35, v35, v36
	s_and_saveexec_b32 s8, s6
	s_cbranch_execz .LBB1105_352
; %bb.351:
	v_lshlrev_b32_e32 v36, 2, v58
	ds_store_b32 v36, v35
.LBB1105_352:
	s_or_b32 exec_lo, exec_lo, s8
	s_delay_alu instid0(SALU_CYCLE_1)
	s_mov_b32 s8, exec_lo
	s_waitcnt lgkmcnt(0)
	s_barrier
	buffer_gl0_inv
	v_cmpx_gt_u32_e32 16, v0
	s_cbranch_execz .LBB1105_354
; %bb.353:
	v_lshlrev_b32_e32 v36, 2, v0
	ds_load_b32 v37, v36
	s_waitcnt lgkmcnt(0)
	v_mov_b32_dpp v38, v37 row_shr:1 row_mask:0xf bank_mask:0xf
	s_delay_alu instid0(VALU_DEP_1) | instskip(NEXT) | instid1(VALU_DEP_1)
	v_cndmask_b32_e64 v38, v38, 0, s4
	v_add_nc_u32_e32 v37, v38, v37
	s_delay_alu instid0(VALU_DEP_1) | instskip(NEXT) | instid1(VALU_DEP_1)
	v_mov_b32_dpp v38, v37 row_shr:2 row_mask:0xf bank_mask:0xf
	v_cndmask_b32_e64 v38, 0, v38, s2
	s_delay_alu instid0(VALU_DEP_1) | instskip(NEXT) | instid1(VALU_DEP_1)
	v_add_nc_u32_e32 v37, v37, v38
	v_mov_b32_dpp v38, v37 row_shr:4 row_mask:0xf bank_mask:0xf
	s_delay_alu instid0(VALU_DEP_1) | instskip(NEXT) | instid1(VALU_DEP_1)
	v_cndmask_b32_e64 v38, 0, v38, s5
	v_add_nc_u32_e32 v37, v37, v38
	s_delay_alu instid0(VALU_DEP_1) | instskip(NEXT) | instid1(VALU_DEP_1)
	v_mov_b32_dpp v38, v37 row_shr:8 row_mask:0xf bank_mask:0xf
	v_cndmask_b32_e64 v38, 0, v38, s3
	s_delay_alu instid0(VALU_DEP_1)
	v_add_nc_u32_e32 v37, v37, v38
	ds_store_b32 v36, v37
.LBB1105_354:
	s_or_b32 exec_lo, exec_lo, s8
	v_cmp_gt_u32_e32 vcc_lo, 32, v0
	s_mov_b32 s9, exec_lo
	s_waitcnt lgkmcnt(0)
	s_barrier
	buffer_gl0_inv
                                        ; implicit-def: $vgpr43
	v_cmpx_lt_u32_e32 31, v0
	s_cbranch_execz .LBB1105_356
; %bb.355:
	v_lshl_add_u32 v36, v58, 2, -4
	ds_load_b32 v43, v36
	s_waitcnt lgkmcnt(0)
	v_add_nc_u32_e32 v35, v43, v35
.LBB1105_356:
	s_or_b32 exec_lo, exec_lo, s9
	v_add_nc_u32_e32 v36, -1, v57
	s_delay_alu instid0(VALU_DEP_1) | instskip(NEXT) | instid1(VALU_DEP_1)
	v_cmp_gt_i32_e64 s8, 0, v36
	v_cndmask_b32_e64 v36, v36, v57, s8
	v_cmp_eq_u32_e64 s8, 0, v57
	s_delay_alu instid0(VALU_DEP_2)
	v_lshlrev_b32_e32 v36, 2, v36
	ds_bpermute_b32 v45, v36, v35
	s_and_saveexec_b32 s9, vcc_lo
	s_cbranch_execz .LBB1105_379
; %bb.357:
	v_mov_b32_e32 v38, 0
	ds_load_b32 v35, v38 offset:60
	s_and_saveexec_b32 s18, s8
	s_cbranch_execz .LBB1105_359
; %bb.358:
	s_add_i32 s22, s15, 32
	s_mov_b32 s23, 0
	v_mov_b32_e32 v36, 1
	s_lshl_b64 s[22:23], s[22:23], 3
	s_delay_alu instid0(SALU_CYCLE_1)
	s_add_u32 s22, s10, s22
	s_addc_u32 s23, s11, s23
	s_waitcnt lgkmcnt(0)
	global_store_b64 v38, v[35:36], s[22:23]
.LBB1105_359:
	s_or_b32 exec_lo, exec_lo, s18
	v_xad_u32 v36, v57, -1, s15
	s_mov_b32 s19, 0
	s_mov_b32 s18, exec_lo
	s_delay_alu instid0(VALU_DEP_1) | instskip(NEXT) | instid1(VALU_DEP_1)
	v_add_nc_u32_e32 v37, 32, v36
	v_lshlrev_b64 v[37:38], 3, v[37:38]
	s_delay_alu instid0(VALU_DEP_1) | instskip(NEXT) | instid1(VALU_DEP_2)
	v_add_co_u32 v40, vcc_lo, s10, v37
	v_add_co_ci_u32_e32 v41, vcc_lo, s11, v38, vcc_lo
	global_load_b64 v[38:39], v[40:41], off glc
	s_waitcnt vmcnt(0)
	v_and_b32_e32 v37, 0xff, v39
	s_delay_alu instid0(VALU_DEP_1)
	v_cmpx_eq_u16_e32 0, v37
	s_cbranch_execz .LBB1105_365
; %bb.360:
	s_mov_b32 s21, 1
	.p2align	6
.LBB1105_361:                           ; =>This Loop Header: Depth=1
                                        ;     Child Loop BB1105_362 Depth 2
	s_delay_alu instid0(SALU_CYCLE_1)
	s_max_u32 s22, s21, 1
.LBB1105_362:                           ;   Parent Loop BB1105_361 Depth=1
                                        ; =>  This Inner Loop Header: Depth=2
	s_delay_alu instid0(SALU_CYCLE_1)
	s_add_i32 s22, s22, -1
	s_sleep 1
	s_cmp_eq_u32 s22, 0
	s_cbranch_scc0 .LBB1105_362
; %bb.363:                              ;   in Loop: Header=BB1105_361 Depth=1
	global_load_b64 v[38:39], v[40:41], off glc
	s_cmp_lt_u32 s21, 32
	s_cselect_b32 s22, -1, 0
	s_delay_alu instid0(SALU_CYCLE_1) | instskip(SKIP_3) | instid1(VALU_DEP_1)
	s_cmp_lg_u32 s22, 0
	s_addc_u32 s21, s21, 0
	s_waitcnt vmcnt(0)
	v_and_b32_e32 v37, 0xff, v39
	v_cmp_ne_u16_e32 vcc_lo, 0, v37
	s_or_b32 s19, vcc_lo, s19
	s_delay_alu instid0(SALU_CYCLE_1)
	s_and_not1_b32 exec_lo, exec_lo, s19
	s_cbranch_execnz .LBB1105_361
; %bb.364:
	s_or_b32 exec_lo, exec_lo, s19
.LBB1105_365:
	s_delay_alu instid0(SALU_CYCLE_1)
	s_or_b32 exec_lo, exec_lo, s18
	v_cmp_ne_u32_e32 vcc_lo, 31, v57
	v_lshlrev_b32_e64 v49, v57, -1
	v_add_nc_u32_e32 v53, 2, v57
	v_add_nc_u32_e32 v62, 4, v57
	;; [unrolled: 1-line block ×3, first 2 shown]
	v_add_co_ci_u32_e32 v37, vcc_lo, 0, v57, vcc_lo
	v_add_nc_u32_e32 v66, 16, v57
	s_delay_alu instid0(VALU_DEP_2)
	v_lshlrev_b32_e32 v47, 2, v37
	v_and_b32_e32 v37, 0xff, v39
	ds_bpermute_b32 v40, v47, v38
	v_cmp_eq_u16_e32 vcc_lo, 2, v37
	v_and_or_b32 v37, vcc_lo, v49, 0x80000000
	v_cmp_gt_u32_e32 vcc_lo, 30, v57
	s_delay_alu instid0(VALU_DEP_2) | instskip(SKIP_1) | instid1(VALU_DEP_2)
	v_ctz_i32_b32_e32 v37, v37
	v_cndmask_b32_e64 v41, 0, 1, vcc_lo
	v_cmp_lt_u32_e32 vcc_lo, v57, v37
	s_waitcnt lgkmcnt(0)
	s_delay_alu instid0(VALU_DEP_2) | instskip(NEXT) | instid1(VALU_DEP_1)
	v_dual_cndmask_b32 v40, 0, v40 :: v_dual_lshlrev_b32 v41, 1, v41
	v_add_lshl_u32 v51, v41, v57, 2
	v_cmp_gt_u32_e32 vcc_lo, 28, v57
	s_delay_alu instid0(VALU_DEP_3) | instskip(SKIP_4) | instid1(VALU_DEP_1)
	v_add_nc_u32_e32 v38, v40, v38
	v_cndmask_b32_e64 v41, 0, 1, vcc_lo
	v_cmp_le_u32_e32 vcc_lo, v53, v37
	ds_bpermute_b32 v40, v51, v38
	v_lshlrev_b32_e32 v41, 2, v41
	v_add_lshl_u32 v60, v41, v57, 2
	s_waitcnt lgkmcnt(0)
	v_cndmask_b32_e32 v40, 0, v40, vcc_lo
	v_cmp_gt_u32_e32 vcc_lo, 24, v57
	s_delay_alu instid0(VALU_DEP_2) | instskip(SKIP_4) | instid1(VALU_DEP_1)
	v_add_nc_u32_e32 v38, v38, v40
	v_cndmask_b32_e64 v41, 0, 1, vcc_lo
	v_cmp_le_u32_e32 vcc_lo, v62, v37
	ds_bpermute_b32 v40, v60, v38
	v_lshlrev_b32_e32 v41, 3, v41
	v_add_lshl_u32 v63, v41, v57, 2
	s_waitcnt lgkmcnt(0)
	v_cndmask_b32_e32 v40, 0, v40, vcc_lo
	v_cmp_gt_u32_e32 vcc_lo, 16, v57
	s_delay_alu instid0(VALU_DEP_2) | instskip(SKIP_4) | instid1(VALU_DEP_1)
	v_add_nc_u32_e32 v38, v38, v40
	v_cndmask_b32_e64 v41, 0, 1, vcc_lo
	v_cmp_le_u32_e32 vcc_lo, v64, v37
	ds_bpermute_b32 v40, v63, v38
	v_lshlrev_b32_e32 v41, 4, v41
	v_add_lshl_u32 v65, v41, v57, 2
	s_waitcnt lgkmcnt(0)
	v_cndmask_b32_e32 v40, 0, v40, vcc_lo
	v_cmp_le_u32_e32 vcc_lo, v66, v37
	s_delay_alu instid0(VALU_DEP_2) | instskip(SKIP_3) | instid1(VALU_DEP_1)
	v_add_nc_u32_e32 v38, v38, v40
	ds_bpermute_b32 v40, v65, v38
	s_waitcnt lgkmcnt(0)
	v_cndmask_b32_e32 v37, 0, v40, vcc_lo
	v_dual_mov_b32 v37, 0 :: v_dual_add_nc_u32 v38, v38, v37
	s_branch .LBB1105_367
.LBB1105_366:                           ;   in Loop: Header=BB1105_367 Depth=1
	s_or_b32 exec_lo, exec_lo, s18
	ds_bpermute_b32 v41, v47, v38
	v_and_b32_e32 v40, 0xff, v39
	v_subrev_nc_u32_e32 v36, 32, v36
	s_delay_alu instid0(VALU_DEP_2) | instskip(SKIP_1) | instid1(VALU_DEP_1)
	v_cmp_eq_u16_e32 vcc_lo, 2, v40
	v_and_or_b32 v40, vcc_lo, v49, 0x80000000
	v_ctz_i32_b32_e32 v40, v40
	s_delay_alu instid0(VALU_DEP_1) | instskip(SKIP_3) | instid1(VALU_DEP_2)
	v_cmp_lt_u32_e32 vcc_lo, v57, v40
	s_waitcnt lgkmcnt(0)
	v_cndmask_b32_e32 v41, 0, v41, vcc_lo
	v_cmp_le_u32_e32 vcc_lo, v53, v40
	v_add_nc_u32_e32 v38, v41, v38
	ds_bpermute_b32 v41, v51, v38
	s_waitcnt lgkmcnt(0)
	v_cndmask_b32_e32 v41, 0, v41, vcc_lo
	v_cmp_le_u32_e32 vcc_lo, v62, v40
	s_delay_alu instid0(VALU_DEP_2) | instskip(SKIP_4) | instid1(VALU_DEP_2)
	v_add_nc_u32_e32 v38, v38, v41
	ds_bpermute_b32 v41, v60, v38
	s_waitcnt lgkmcnt(0)
	v_cndmask_b32_e32 v41, 0, v41, vcc_lo
	v_cmp_le_u32_e32 vcc_lo, v64, v40
	v_add_nc_u32_e32 v38, v38, v41
	ds_bpermute_b32 v41, v63, v38
	s_waitcnt lgkmcnt(0)
	v_cndmask_b32_e32 v41, 0, v41, vcc_lo
	v_cmp_le_u32_e32 vcc_lo, v66, v40
	s_delay_alu instid0(VALU_DEP_2) | instskip(SKIP_3) | instid1(VALU_DEP_1)
	v_add_nc_u32_e32 v38, v38, v41
	ds_bpermute_b32 v41, v65, v38
	s_waitcnt lgkmcnt(0)
	v_cndmask_b32_e32 v40, 0, v41, vcc_lo
	v_add3_u32 v38, v40, v61, v38
.LBB1105_367:                           ; =>This Loop Header: Depth=1
                                        ;     Child Loop BB1105_370 Depth 2
                                        ;       Child Loop BB1105_371 Depth 3
	v_and_b32_e32 v39, 0xff, v39
	s_delay_alu instid0(VALU_DEP_2) | instskip(NEXT) | instid1(VALU_DEP_2)
	v_mov_b32_e32 v61, v38
	v_cmp_ne_u16_e32 vcc_lo, 2, v39
	v_cndmask_b32_e64 v39, 0, 1, vcc_lo
	;;#ASMSTART
	;;#ASMEND
	s_delay_alu instid0(VALU_DEP_1)
	v_cmp_ne_u32_e32 vcc_lo, 0, v39
	s_cmp_lg_u32 vcc_lo, exec_lo
	s_cbranch_scc1 .LBB1105_374
; %bb.368:                              ;   in Loop: Header=BB1105_367 Depth=1
	v_lshlrev_b64 v[38:39], 3, v[36:37]
	s_mov_b32 s18, exec_lo
	s_delay_alu instid0(VALU_DEP_1) | instskip(NEXT) | instid1(VALU_DEP_2)
	v_add_co_u32 v40, vcc_lo, s10, v38
	v_add_co_ci_u32_e32 v41, vcc_lo, s11, v39, vcc_lo
	global_load_b64 v[38:39], v[40:41], off glc
	s_waitcnt vmcnt(0)
	v_and_b32_e32 v67, 0xff, v39
	s_delay_alu instid0(VALU_DEP_1)
	v_cmpx_eq_u16_e32 0, v67
	s_cbranch_execz .LBB1105_366
; %bb.369:                              ;   in Loop: Header=BB1105_367 Depth=1
	s_mov_b32 s21, 1
	s_mov_b32 s19, 0
	.p2align	6
.LBB1105_370:                           ;   Parent Loop BB1105_367 Depth=1
                                        ; =>  This Loop Header: Depth=2
                                        ;       Child Loop BB1105_371 Depth 3
	s_max_u32 s22, s21, 1
.LBB1105_371:                           ;   Parent Loop BB1105_367 Depth=1
                                        ;     Parent Loop BB1105_370 Depth=2
                                        ; =>    This Inner Loop Header: Depth=3
	s_delay_alu instid0(SALU_CYCLE_1)
	s_add_i32 s22, s22, -1
	s_sleep 1
	s_cmp_eq_u32 s22, 0
	s_cbranch_scc0 .LBB1105_371
; %bb.372:                              ;   in Loop: Header=BB1105_370 Depth=2
	global_load_b64 v[38:39], v[40:41], off glc
	s_cmp_lt_u32 s21, 32
	s_cselect_b32 s22, -1, 0
	s_delay_alu instid0(SALU_CYCLE_1) | instskip(SKIP_3) | instid1(VALU_DEP_1)
	s_cmp_lg_u32 s22, 0
	s_addc_u32 s21, s21, 0
	s_waitcnt vmcnt(0)
	v_and_b32_e32 v67, 0xff, v39
	v_cmp_ne_u16_e32 vcc_lo, 0, v67
	s_or_b32 s19, vcc_lo, s19
	s_delay_alu instid0(SALU_CYCLE_1)
	s_and_not1_b32 exec_lo, exec_lo, s19
	s_cbranch_execnz .LBB1105_370
; %bb.373:                              ;   in Loop: Header=BB1105_367 Depth=1
	s_or_b32 exec_lo, exec_lo, s19
	s_branch .LBB1105_366
.LBB1105_374:                           ;   in Loop: Header=BB1105_367 Depth=1
                                        ; implicit-def: $vgpr38
                                        ; implicit-def: $vgpr39
	s_cbranch_execz .LBB1105_367
; %bb.375:
	s_and_saveexec_b32 s18, s8
	s_cbranch_execz .LBB1105_377
; %bb.376:
	s_add_i32 s22, s15, 32
	s_mov_b32 s23, 0
	v_dual_mov_b32 v37, 2 :: v_dual_add_nc_u32 v36, v61, v35
	s_lshl_b64 s[22:23], s[22:23], 3
	v_mov_b32_e32 v38, 0
	v_add_nc_u32_e64 v39, 0x8400, 0
	s_add_u32 s22, s10, s22
	s_addc_u32 s23, s11, s23
	global_store_b64 v38, v[36:37], s[22:23]
	ds_store_2addr_b32 v39, v35, v61 offset1:2
.LBB1105_377:
	s_or_b32 exec_lo, exec_lo, s18
	v_cmp_eq_u32_e32 vcc_lo, 0, v0
	s_and_b32 exec_lo, exec_lo, vcc_lo
	s_cbranch_execz .LBB1105_379
; %bb.378:
	v_mov_b32_e32 v35, 0
	ds_store_b32 v35, v61 offset:60
.LBB1105_379:
	s_or_b32 exec_lo, exec_lo, s9
	s_waitcnt lgkmcnt(0)
	v_cndmask_b32_e64 v36, v45, v43, s8
	v_cmp_ne_u32_e32 vcc_lo, 0, v0
	v_mov_b32_e32 v35, 0
	s_waitcnt_vscnt null, 0x0
	s_barrier
	buffer_gl0_inv
	v_cndmask_b32_e32 v36, 0, v36, vcc_lo
	ds_load_b32 v35, v35 offset:60
	s_waitcnt lgkmcnt(0)
	s_barrier
	buffer_gl0_inv
	v_add_nc_u32_e32 v53, v35, v36
	v_add_nc_u32_e64 v35, 0x8400, 0
	s_delay_alu instid0(VALU_DEP_2) | instskip(SKIP_2) | instid1(VALU_DEP_1)
	v_add_nc_u32_e32 v51, v53, v42
	ds_load_2addr_b32 v[35:36], v35 offset1:2
	v_add_nc_u32_e32 v49, v51, v44
	v_add_nc_u32_e32 v47, v49, v46
	s_delay_alu instid0(VALU_DEP_1) | instskip(NEXT) | instid1(VALU_DEP_1)
	v_add_nc_u32_e32 v45, v47, v48
	v_add_nc_u32_e32 v43, v45, v50
	s_waitcnt lgkmcnt(0)
	v_readfirstlane_b32 s8, v36
	s_delay_alu instid0(VALU_DEP_2) | instskip(NEXT) | instid1(VALU_DEP_1)
	v_add_nc_u32_e32 v41, v43, v52
	v_add_nc_u32_e32 v39, v41, v54
	v_lshrrev_b64 v[37:38], 24, v[33:34]
	s_branch .LBB1105_390
.LBB1105_380:
                                        ; implicit-def: $vgpr39
                                        ; implicit-def: $vgpr41
                                        ; implicit-def: $vgpr43
                                        ; implicit-def: $vgpr45
                                        ; implicit-def: $vgpr47
                                        ; implicit-def: $vgpr49
                                        ; implicit-def: $vgpr51
                                        ; implicit-def: $vgpr53
                                        ; implicit-def: $sgpr8
                                        ; implicit-def: $vgpr35
	v_lshrrev_b64 v[37:38], 24, v[33:34]
	s_and_b32 vcc_lo, exec_lo, s9
	s_cbranch_vccz .LBB1105_390
; %bb.381:
	v_mov_b32_dpp v35, v59 row_shr:1 row_mask:0xf bank_mask:0xf
	s_delay_alu instid0(VALU_DEP_1) | instskip(NEXT) | instid1(VALU_DEP_1)
	v_cndmask_b32_e64 v35, v35, 0, s4
	v_add_nc_u32_e32 v35, v35, v59
	s_delay_alu instid0(VALU_DEP_1) | instskip(NEXT) | instid1(VALU_DEP_1)
	v_mov_b32_dpp v36, v35 row_shr:2 row_mask:0xf bank_mask:0xf
	v_cndmask_b32_e64 v36, 0, v36, s2
	s_delay_alu instid0(VALU_DEP_1) | instskip(NEXT) | instid1(VALU_DEP_1)
	v_add_nc_u32_e32 v35, v35, v36
	v_mov_b32_dpp v36, v35 row_shr:4 row_mask:0xf bank_mask:0xf
	s_delay_alu instid0(VALU_DEP_1) | instskip(NEXT) | instid1(VALU_DEP_1)
	v_cndmask_b32_e64 v36, 0, v36, s5
	v_add_nc_u32_e32 v35, v35, v36
	s_delay_alu instid0(VALU_DEP_1) | instskip(NEXT) | instid1(VALU_DEP_1)
	v_mov_b32_dpp v36, v35 row_shr:8 row_mask:0xf bank_mask:0xf
	v_cndmask_b32_e64 v36, 0, v36, s3
	s_delay_alu instid0(VALU_DEP_1) | instskip(SKIP_3) | instid1(VALU_DEP_1)
	v_add_nc_u32_e32 v35, v35, v36
	ds_swizzle_b32 v36, v35 offset:swizzle(BROADCAST,32,15)
	s_waitcnt lgkmcnt(0)
	v_cndmask_b32_e64 v36, v36, 0, s7
	v_add_nc_u32_e32 v35, v35, v36
	s_and_saveexec_b32 s7, s6
	s_cbranch_execz .LBB1105_383
; %bb.382:
	v_lshlrev_b32_e32 v36, 2, v58
	ds_store_b32 v36, v35
.LBB1105_383:
	s_or_b32 exec_lo, exec_lo, s7
	s_delay_alu instid0(SALU_CYCLE_1)
	s_mov_b32 s6, exec_lo
	s_waitcnt lgkmcnt(0)
	s_barrier
	buffer_gl0_inv
	v_cmpx_gt_u32_e32 16, v0
	s_cbranch_execz .LBB1105_385
; %bb.384:
	v_lshlrev_b32_e32 v36, 2, v0
	ds_load_b32 v38, v36
	s_waitcnt lgkmcnt(0)
	v_mov_b32_dpp v39, v38 row_shr:1 row_mask:0xf bank_mask:0xf
	s_delay_alu instid0(VALU_DEP_1) | instskip(NEXT) | instid1(VALU_DEP_1)
	v_cndmask_b32_e64 v39, v39, 0, s4
	v_add_nc_u32_e32 v38, v39, v38
	s_delay_alu instid0(VALU_DEP_1) | instskip(NEXT) | instid1(VALU_DEP_1)
	v_mov_b32_dpp v39, v38 row_shr:2 row_mask:0xf bank_mask:0xf
	v_cndmask_b32_e64 v39, 0, v39, s2
	s_delay_alu instid0(VALU_DEP_1) | instskip(NEXT) | instid1(VALU_DEP_1)
	v_add_nc_u32_e32 v38, v38, v39
	v_mov_b32_dpp v39, v38 row_shr:4 row_mask:0xf bank_mask:0xf
	s_delay_alu instid0(VALU_DEP_1) | instskip(NEXT) | instid1(VALU_DEP_1)
	v_cndmask_b32_e64 v39, 0, v39, s5
	v_add_nc_u32_e32 v38, v38, v39
	s_delay_alu instid0(VALU_DEP_1) | instskip(NEXT) | instid1(VALU_DEP_1)
	v_mov_b32_dpp v39, v38 row_shr:8 row_mask:0xf bank_mask:0xf
	v_cndmask_b32_e64 v39, 0, v39, s3
	s_delay_alu instid0(VALU_DEP_1)
	v_add_nc_u32_e32 v38, v38, v39
	ds_store_b32 v36, v38
.LBB1105_385:
	s_or_b32 exec_lo, exec_lo, s6
	v_mov_b32_e32 v36, 0
	v_mov_b32_e32 v38, 0
	s_mov_b32 s2, exec_lo
	s_waitcnt lgkmcnt(0)
	s_barrier
	buffer_gl0_inv
	v_cmpx_lt_u32_e32 31, v0
	s_cbranch_execz .LBB1105_387
; %bb.386:
	v_lshl_add_u32 v38, v58, 2, -4
	ds_load_b32 v38, v38
.LBB1105_387:
	s_or_b32 exec_lo, exec_lo, s2
	v_add_nc_u32_e32 v39, -1, v57
	s_waitcnt lgkmcnt(0)
	v_add_nc_u32_e32 v35, v38, v35
	s_mov_b32 s8, 0
	s_delay_alu instid0(VALU_DEP_2) | instskip(SKIP_2) | instid1(VALU_DEP_2)
	v_cmp_gt_i32_e32 vcc_lo, 0, v39
	v_cndmask_b32_e32 v39, v39, v57, vcc_lo
	v_cmp_eq_u32_e32 vcc_lo, 0, v0
	v_lshlrev_b32_e32 v39, 2, v39
	ds_bpermute_b32 v39, v39, v35
	ds_load_b32 v35, v36 offset:60
	s_and_saveexec_b32 s2, vcc_lo
	s_cbranch_execz .LBB1105_389
; %bb.388:
	v_mov_b32_e32 v40, 0
	v_mov_b32_e32 v36, 2
	s_waitcnt lgkmcnt(0)
	global_store_b64 v40, v[35:36], s[10:11] offset:256
.LBB1105_389:
	s_or_b32 exec_lo, exec_lo, s2
	v_cmp_eq_u32_e64 s2, 0, v57
	s_waitcnt lgkmcnt(0)
	s_waitcnt_vscnt null, 0x0
	s_barrier
	buffer_gl0_inv
	v_cndmask_b32_e64 v36, v39, v38, s2
	s_delay_alu instid0(VALU_DEP_1) | instskip(NEXT) | instid1(VALU_DEP_1)
	v_cndmask_b32_e64 v53, v36, 0, vcc_lo
	v_add_nc_u32_e32 v51, v53, v42
	s_delay_alu instid0(VALU_DEP_1) | instskip(NEXT) | instid1(VALU_DEP_1)
	v_add_nc_u32_e32 v49, v51, v44
	v_add_nc_u32_e32 v47, v49, v46
	s_delay_alu instid0(VALU_DEP_1) | instskip(NEXT) | instid1(VALU_DEP_1)
	v_add_nc_u32_e32 v45, v47, v48
	;; [unrolled: 3-line block ×3, first 2 shown]
	v_add_nc_u32_e32 v39, v41, v54
.LBB1105_390:
	s_load_b128 s[4:7], s[0:1], 0x28
	v_add_nc_u32_e32 v59, s8, v35
	v_cmp_gt_u32_e64 s0, 0x201, v35
	v_lshrrev_b32_e32 v58, 8, v33
	v_lshrrev_b32_e32 v57, 16, v33
	;; [unrolled: 1-line block ×4, first 2 shown]
	v_cmp_lt_u32_e64 s1, v53, v59
	s_and_b32 vcc_lo, exec_lo, s0
	s_mov_b32 s2, -1
	s_cbranch_vccz .LBB1105_416
; %bb.391:
	s_delay_alu instid0(VALU_DEP_1) | instskip(NEXT) | instid1(SALU_CYCLE_1)
	s_or_b32 s2, s20, s1
	s_and_saveexec_b32 s1, s2
	s_cbranch_execz .LBB1105_394
; %bb.392:
	v_and_b32_e32 v40, 1, v33
	s_delay_alu instid0(VALU_DEP_1)
	v_cmp_eq_u32_e32 vcc_lo, 1, v40
	s_and_b32 exec_lo, exec_lo, vcc_lo
	s_cbranch_execz .LBB1105_394
; %bb.393:
	v_mov_b32_e32 v54, 0
	s_lshl_b64 s[2:3], s[12:13], 3
	s_waitcnt lgkmcnt(0)
	s_add_u32 s2, s4, s2
	s_addc_u32 s3, s5, s3
	v_lshlrev_b64 v[60:61], 3, v[53:54]
	s_delay_alu instid0(VALU_DEP_1) | instskip(NEXT) | instid1(VALU_DEP_2)
	v_add_co_u32 v60, vcc_lo, s2, v60
	v_add_co_ci_u32_e32 v61, vcc_lo, s3, v61, vcc_lo
	global_store_b64 v[60:61], v[29:30], off
.LBB1105_394:
	s_or_b32 exec_lo, exec_lo, s1
	v_cmp_lt_u32_e32 vcc_lo, v51, v59
	s_or_b32 s2, s20, vcc_lo
	s_delay_alu instid0(SALU_CYCLE_1)
	s_and_saveexec_b32 s1, s2
	s_cbranch_execz .LBB1105_397
; %bb.395:
	v_and_b32_e32 v40, 1, v58
	s_delay_alu instid0(VALU_DEP_1)
	v_cmp_eq_u32_e32 vcc_lo, 1, v40
	s_and_b32 exec_lo, exec_lo, vcc_lo
	s_cbranch_execz .LBB1105_397
; %bb.396:
	v_mov_b32_e32 v52, 0
	s_lshl_b64 s[2:3], s[12:13], 3
	s_waitcnt lgkmcnt(0)
	s_add_u32 s2, s4, s2
	s_addc_u32 s3, s5, s3
	v_lshlrev_b64 v[60:61], 3, v[51:52]
	s_delay_alu instid0(VALU_DEP_1) | instskip(NEXT) | instid1(VALU_DEP_2)
	v_add_co_u32 v60, vcc_lo, s2, v60
	v_add_co_ci_u32_e32 v61, vcc_lo, s3, v61, vcc_lo
	global_store_b64 v[60:61], v[31:32], off
.LBB1105_397:
	s_or_b32 exec_lo, exec_lo, s1
	v_cmp_lt_u32_e32 vcc_lo, v49, v59
	s_or_b32 s2, s20, vcc_lo
	s_delay_alu instid0(SALU_CYCLE_1)
	;; [unrolled: 24-line block ×7, first 2 shown]
	s_and_saveexec_b32 s1, s2
	s_cbranch_execz .LBB1105_415
; %bb.413:
	v_and_b32_e32 v40, 1, v56
	s_delay_alu instid0(VALU_DEP_1)
	v_cmp_eq_u32_e32 vcc_lo, 1, v40
	s_and_b32 exec_lo, exec_lo, vcc_lo
	s_cbranch_execz .LBB1105_415
; %bb.414:
	v_mov_b32_e32 v40, 0
	s_lshl_b64 s[2:3], s[12:13], 3
	s_waitcnt lgkmcnt(0)
	s_add_u32 s2, s4, s2
	s_addc_u32 s3, s5, s3
	v_lshlrev_b64 v[60:61], 3, v[39:40]
	s_delay_alu instid0(VALU_DEP_1) | instskip(NEXT) | instid1(VALU_DEP_2)
	v_add_co_u32 v60, vcc_lo, s2, v60
	v_add_co_ci_u32_e32 v61, vcc_lo, s3, v61, vcc_lo
	global_store_b64 v[60:61], v[19:20], off
.LBB1105_415:
	s_or_b32 exec_lo, exec_lo, s1
	s_mov_b32 s2, 0
.LBB1105_416:
	v_and_b32_e32 v33, 1, v33
	s_and_b32 vcc_lo, exec_lo, s2
	s_delay_alu instid0(VALU_DEP_1)
	v_cmp_eq_u32_e64 s1, 1, v33
	s_cbranch_vccz .LBB1105_437
; %bb.417:
	s_delay_alu instid0(VALU_DEP_1)
	s_and_saveexec_b32 s2, s1
	s_cbranch_execz .LBB1105_419
; %bb.418:
	v_subrev_nc_u32_e32 v40, s8, v53
	s_delay_alu instid0(VALU_DEP_1)
	v_lshlrev_b32_e32 v40, 3, v40
	ds_store_b64 v40, v[29:30]
.LBB1105_419:
	s_or_b32 exec_lo, exec_lo, s2
	v_and_b32_e32 v29, 1, v58
	s_mov_b32 s1, exec_lo
	s_delay_alu instid0(VALU_DEP_1)
	v_cmpx_eq_u32_e32 1, v29
	s_cbranch_execz .LBB1105_421
; %bb.420:
	v_subrev_nc_u32_e32 v29, s8, v51
	s_delay_alu instid0(VALU_DEP_1)
	v_lshlrev_b32_e32 v29, 3, v29
	ds_store_b64 v29, v[31:32]
.LBB1105_421:
	s_or_b32 exec_lo, exec_lo, s1
	v_and_b32_e32 v29, 1, v57
	s_mov_b32 s1, exec_lo
	s_delay_alu instid0(VALU_DEP_1)
	v_cmpx_eq_u32_e32 1, v29
	;; [unrolled: 12-line block ×7, first 2 shown]
	s_cbranch_execz .LBB1105_433
; %bb.432:
	v_subrev_nc_u32_e32 v17, s8, v39
	s_delay_alu instid0(VALU_DEP_1)
	v_lshlrev_b32_e32 v17, 3, v17
	ds_store_b64 v17, v[19:20]
.LBB1105_433:
	s_or_b32 exec_lo, exec_lo, s1
	s_delay_alu instid0(SALU_CYCLE_1)
	s_mov_b32 s2, exec_lo
	s_waitcnt lgkmcnt(0)
	s_waitcnt_vscnt null, 0x0
	s_barrier
	buffer_gl0_inv
	v_cmpx_lt_u32_e64 v0, v35
	s_cbranch_execz .LBB1105_436
; %bb.434:
	s_mov_b32 s9, 0
	s_lshl_b64 s[10:11], s[12:13], 3
	s_lshl_b64 s[18:19], s[8:9], 3
	v_dual_mov_b32 v19, v55 :: v_dual_mov_b32 v20, v0
	s_add_u32 s1, s10, s18
	s_addc_u32 s3, s11, s19
	s_add_u32 s1, s4, s1
	s_addc_u32 s3, s5, s3
	v_add_co_u32 v17, s1, s1, v55
	s_delay_alu instid0(VALU_DEP_1)
	v_add_co_ci_u32_e64 v18, null, s3, 0, s1
	.p2align	6
.LBB1105_435:                           ; =>This Inner Loop Header: Depth=1
	ds_load_b64 v[21:22], v19
	v_add_nc_u32_e32 v20, 0x200, v20
	v_add_nc_u32_e32 v19, 0x1000, v19
	s_delay_alu instid0(VALU_DEP_2) | instskip(SKIP_4) | instid1(VALU_DEP_1)
	v_cmp_ge_u32_e32 vcc_lo, v20, v35
	s_or_b32 s9, vcc_lo, s9
	s_waitcnt lgkmcnt(0)
	global_store_b64 v[17:18], v[21:22], off
	v_add_co_u32 v17, s1, 0x1000, v17
	v_add_co_ci_u32_e64 v18, s1, 0, v18, s1
	s_and_not1_b32 exec_lo, exec_lo, s9
	s_cbranch_execnz .LBB1105_435
.LBB1105_436:
	s_or_b32 exec_lo, exec_lo, s2
.LBB1105_437:
	s_delay_alu instid0(SALU_CYCLE_1)
	s_and_b32 vcc_lo, exec_lo, s0
	s_mov_b32 s0, -1
	s_waitcnt lgkmcnt(0)
	s_waitcnt_vscnt null, 0x0
	s_barrier
	buffer_gl0_inv
	s_cbranch_vccz .LBB1105_465
; %bb.438:
	v_cmp_lt_u32_e32 vcc_lo, v53, v59
	s_or_b32 s1, s20, vcc_lo
	s_delay_alu instid0(SALU_CYCLE_1)
	s_and_saveexec_b32 s0, s1
	s_cbranch_execz .LBB1105_441
; %bb.439:
	v_cmp_eq_u32_e32 vcc_lo, 1, v33
	s_and_b32 exec_lo, exec_lo, vcc_lo
	s_cbranch_execz .LBB1105_441
; %bb.440:
	v_mov_b32_e32 v54, 0
	s_lshl_b64 s[2:3], s[12:13], 3
	s_delay_alu instid0(SALU_CYCLE_1) | instskip(SKIP_1) | instid1(VALU_DEP_1)
	s_add_u32 s1, s6, s2
	s_addc_u32 s2, s7, s3
	v_lshlrev_b64 v[17:18], 3, v[53:54]
	s_delay_alu instid0(VALU_DEP_1) | instskip(NEXT) | instid1(VALU_DEP_2)
	v_add_co_u32 v17, vcc_lo, s1, v17
	v_add_co_ci_u32_e32 v18, vcc_lo, s2, v18, vcc_lo
	global_store_b64 v[17:18], v[13:14], off
.LBB1105_441:
	s_or_b32 exec_lo, exec_lo, s0
	v_cmp_lt_u32_e32 vcc_lo, v51, v59
	s_or_b32 s1, s20, vcc_lo
	s_delay_alu instid0(SALU_CYCLE_1)
	s_and_saveexec_b32 s0, s1
	s_cbranch_execz .LBB1105_444
; %bb.442:
	v_and_b32_e32 v17, 1, v58
	s_delay_alu instid0(VALU_DEP_1)
	v_cmp_eq_u32_e32 vcc_lo, 1, v17
	s_and_b32 exec_lo, exec_lo, vcc_lo
	s_cbranch_execz .LBB1105_444
; %bb.443:
	v_mov_b32_e32 v52, 0
	s_lshl_b64 s[2:3], s[12:13], 3
	s_delay_alu instid0(SALU_CYCLE_1) | instskip(SKIP_1) | instid1(VALU_DEP_1)
	s_add_u32 s1, s6, s2
	s_addc_u32 s2, s7, s3
	v_lshlrev_b64 v[17:18], 3, v[51:52]
	s_delay_alu instid0(VALU_DEP_1) | instskip(NEXT) | instid1(VALU_DEP_2)
	v_add_co_u32 v17, vcc_lo, s1, v17
	v_add_co_ci_u32_e32 v18, vcc_lo, s2, v18, vcc_lo
	global_store_b64 v[17:18], v[15:16], off
.LBB1105_444:
	s_or_b32 exec_lo, exec_lo, s0
	v_cmp_lt_u32_e32 vcc_lo, v49, v59
	s_or_b32 s1, s20, vcc_lo
	s_delay_alu instid0(SALU_CYCLE_1)
	s_and_saveexec_b32 s0, s1
	s_cbranch_execz .LBB1105_447
; %bb.445:
	v_and_b32_e32 v17, 1, v57
	s_delay_alu instid0(VALU_DEP_1)
	v_cmp_eq_u32_e32 vcc_lo, 1, v17
	s_and_b32 exec_lo, exec_lo, vcc_lo
	s_cbranch_execz .LBB1105_447
; %bb.446:
	v_mov_b32_e32 v50, 0
	s_lshl_b64 s[2:3], s[12:13], 3
	s_delay_alu instid0(SALU_CYCLE_1) | instskip(SKIP_1) | instid1(VALU_DEP_1)
	s_add_u32 s1, s6, s2
	s_addc_u32 s2, s7, s3
	v_lshlrev_b64 v[17:18], 3, v[49:50]
	s_delay_alu instid0(VALU_DEP_1) | instskip(NEXT) | instid1(VALU_DEP_2)
	v_add_co_u32 v17, vcc_lo, s1, v17
	v_add_co_ci_u32_e32 v18, vcc_lo, s2, v18, vcc_lo
	global_store_b64 v[17:18], v[9:10], off
.LBB1105_447:
	;; [unrolled: 24-line block ×7, first 2 shown]
	s_or_b32 exec_lo, exec_lo, s0
.LBB1105_463:
	v_cmp_eq_u32_e32 vcc_lo, 0, v0
	s_and_b32 s0, vcc_lo, s14
	s_delay_alu instid0(SALU_CYCLE_1)
	s_and_saveexec_b32 s1, s0
	s_cbranch_execz .LBB1105_486
.LBB1105_464:
	v_add_co_u32 v0, s0, s12, v35
	s_delay_alu instid0(VALU_DEP_1) | instskip(SKIP_1) | instid1(VALU_DEP_3)
	v_add_co_ci_u32_e64 v1, null, s13, 0, s0
	v_mov_b32_e32 v2, 0
	v_add_co_u32 v0, vcc_lo, v0, s8
	s_delay_alu instid0(VALU_DEP_3)
	v_add_co_ci_u32_e32 v1, vcc_lo, 0, v1, vcc_lo
	global_store_b64 v2, v[0:1], s[16:17]
	s_nop 0
	s_sendmsg sendmsg(MSG_DEALLOC_VGPRS)
	s_endpgm
.LBB1105_465:
	s_and_b32 vcc_lo, exec_lo, s0
	s_cbranch_vccz .LBB1105_463
; %bb.466:
	s_mov_b32 s0, exec_lo
	v_cmpx_eq_u32_e32 1, v33
	s_cbranch_execz .LBB1105_468
; %bb.467:
	v_subrev_nc_u32_e32 v17, s8, v53
	s_delay_alu instid0(VALU_DEP_1)
	v_lshlrev_b32_e32 v17, 3, v17
	ds_store_b64 v17, v[13:14]
.LBB1105_468:
	s_or_b32 exec_lo, exec_lo, s0
	v_and_b32_e32 v13, 1, v58
	s_mov_b32 s0, exec_lo
	s_delay_alu instid0(VALU_DEP_1)
	v_cmpx_eq_u32_e32 1, v13
	s_cbranch_execz .LBB1105_470
; %bb.469:
	v_subrev_nc_u32_e32 v13, s8, v51
	s_delay_alu instid0(VALU_DEP_1)
	v_lshlrev_b32_e32 v13, 3, v13
	ds_store_b64 v13, v[15:16]
.LBB1105_470:
	s_or_b32 exec_lo, exec_lo, s0
	v_and_b32_e32 v13, 1, v57
	s_mov_b32 s0, exec_lo
	s_delay_alu instid0(VALU_DEP_1)
	;; [unrolled: 12-line block ×7, first 2 shown]
	v_cmpx_eq_u32_e32 1, v1
	s_cbranch_execz .LBB1105_482
; %bb.481:
	v_subrev_nc_u32_e32 v1, s8, v39
	s_delay_alu instid0(VALU_DEP_1)
	v_lshlrev_b32_e32 v1, 3, v1
	ds_store_b64 v1, v[3:4]
.LBB1105_482:
	s_or_b32 exec_lo, exec_lo, s0
	s_delay_alu instid0(SALU_CYCLE_1)
	s_mov_b32 s1, exec_lo
	s_waitcnt lgkmcnt(0)
	s_waitcnt_vscnt null, 0x0
	s_barrier
	buffer_gl0_inv
	v_cmpx_lt_u32_e64 v0, v35
	s_cbranch_execz .LBB1105_485
; %bb.483:
	s_mov_b32 s9, 0
	s_lshl_b64 s[2:3], s[12:13], 3
	s_lshl_b64 s[4:5], s[8:9], 3
	v_mov_b32_e32 v3, v0
	s_add_u32 s0, s2, s4
	s_addc_u32 s2, s3, s5
	s_add_u32 s0, s6, s0
	s_addc_u32 s2, s7, s2
	v_add_co_u32 v1, s0, s0, v55
	s_delay_alu instid0(VALU_DEP_1)
	v_add_co_ci_u32_e64 v2, null, s2, 0, s0
	.p2align	6
.LBB1105_484:                           ; =>This Inner Loop Header: Depth=1
	ds_load_b64 v[4:5], v55
	v_add_nc_u32_e32 v3, 0x200, v3
	v_add_nc_u32_e32 v55, 0x1000, v55
	s_delay_alu instid0(VALU_DEP_2) | instskip(SKIP_4) | instid1(VALU_DEP_1)
	v_cmp_ge_u32_e32 vcc_lo, v3, v35
	s_or_b32 s9, vcc_lo, s9
	s_waitcnt lgkmcnt(0)
	global_store_b64 v[1:2], v[4:5], off
	v_add_co_u32 v1, s0, 0x1000, v1
	v_add_co_ci_u32_e64 v2, s0, 0, v2, s0
	s_and_not1_b32 exec_lo, exec_lo, s9
	s_cbranch_execnz .LBB1105_484
.LBB1105_485:
	s_or_b32 exec_lo, exec_lo, s1
	v_cmp_eq_u32_e32 vcc_lo, 0, v0
	s_and_b32 s0, vcc_lo, s14
	s_delay_alu instid0(SALU_CYCLE_1)
	s_and_saveexec_b32 s1, s0
	s_cbranch_execnz .LBB1105_464
.LBB1105_486:
	s_nop 0
	s_sendmsg sendmsg(MSG_DEALLOC_VGPRS)
	s_endpgm
	.section	.rodata,"a",@progbits
	.p2align	6, 0x0
	.amdhsa_kernel _ZN7rocprim17ROCPRIM_400000_NS6detail17trampoline_kernelINS0_14default_configENS1_25partition_config_selectorILNS1_17partition_subalgoE9EllbEEZZNS1_14partition_implILS5_9ELb0ES3_jPlS8_PNS0_10empty_typeENS0_5tupleIJS8_S9_EEENSB_IJS8_SA_EEENS0_18inequality_wrapperIZN2at6native12_GLOBAL__N_124unique_dim_cuda_templateIbEESt5tupleIJNSF_6TensorESK_SK_EERKSK_lbbbEUlllE0_EEPmJS9_EEE10hipError_tPvRmT3_T4_T5_T6_T7_T9_mT8_P12ihipStream_tbDpT10_ENKUlT_T0_E_clISt17integral_constantIbLb1EES19_IbLb0EEEEDaS15_S16_EUlS15_E_NS1_11comp_targetILNS1_3genE9ELNS1_11target_archE1100ELNS1_3gpuE3ELNS1_3repE0EEENS1_30default_config_static_selectorELNS0_4arch9wavefront6targetE0EEEvT1_
		.amdhsa_group_segment_fixed_size 33804
		.amdhsa_private_segment_fixed_size 0
		.amdhsa_kernarg_size 120
		.amdhsa_user_sgpr_count 15
		.amdhsa_user_sgpr_dispatch_ptr 0
		.amdhsa_user_sgpr_queue_ptr 0
		.amdhsa_user_sgpr_kernarg_segment_ptr 1
		.amdhsa_user_sgpr_dispatch_id 0
		.amdhsa_user_sgpr_private_segment_size 0
		.amdhsa_wavefront_size32 1
		.amdhsa_uses_dynamic_stack 0
		.amdhsa_enable_private_segment 0
		.amdhsa_system_sgpr_workgroup_id_x 1
		.amdhsa_system_sgpr_workgroup_id_y 0
		.amdhsa_system_sgpr_workgroup_id_z 0
		.amdhsa_system_sgpr_workgroup_info 0
		.amdhsa_system_vgpr_workitem_id 0
		.amdhsa_next_free_vgpr 68
		.amdhsa_next_free_sgpr 37
		.amdhsa_reserve_vcc 1
		.amdhsa_float_round_mode_32 0
		.amdhsa_float_round_mode_16_64 0
		.amdhsa_float_denorm_mode_32 3
		.amdhsa_float_denorm_mode_16_64 3
		.amdhsa_dx10_clamp 1
		.amdhsa_ieee_mode 1
		.amdhsa_fp16_overflow 0
		.amdhsa_workgroup_processor_mode 1
		.amdhsa_memory_ordered 1
		.amdhsa_forward_progress 0
		.amdhsa_shared_vgpr_count 0
		.amdhsa_exception_fp_ieee_invalid_op 0
		.amdhsa_exception_fp_denorm_src 0
		.amdhsa_exception_fp_ieee_div_zero 0
		.amdhsa_exception_fp_ieee_overflow 0
		.amdhsa_exception_fp_ieee_underflow 0
		.amdhsa_exception_fp_ieee_inexact 0
		.amdhsa_exception_int_div_zero 0
	.end_amdhsa_kernel
	.section	.text._ZN7rocprim17ROCPRIM_400000_NS6detail17trampoline_kernelINS0_14default_configENS1_25partition_config_selectorILNS1_17partition_subalgoE9EllbEEZZNS1_14partition_implILS5_9ELb0ES3_jPlS8_PNS0_10empty_typeENS0_5tupleIJS8_S9_EEENSB_IJS8_SA_EEENS0_18inequality_wrapperIZN2at6native12_GLOBAL__N_124unique_dim_cuda_templateIbEESt5tupleIJNSF_6TensorESK_SK_EERKSK_lbbbEUlllE0_EEPmJS9_EEE10hipError_tPvRmT3_T4_T5_T6_T7_T9_mT8_P12ihipStream_tbDpT10_ENKUlT_T0_E_clISt17integral_constantIbLb1EES19_IbLb0EEEEDaS15_S16_EUlS15_E_NS1_11comp_targetILNS1_3genE9ELNS1_11target_archE1100ELNS1_3gpuE3ELNS1_3repE0EEENS1_30default_config_static_selectorELNS0_4arch9wavefront6targetE0EEEvT1_,"axG",@progbits,_ZN7rocprim17ROCPRIM_400000_NS6detail17trampoline_kernelINS0_14default_configENS1_25partition_config_selectorILNS1_17partition_subalgoE9EllbEEZZNS1_14partition_implILS5_9ELb0ES3_jPlS8_PNS0_10empty_typeENS0_5tupleIJS8_S9_EEENSB_IJS8_SA_EEENS0_18inequality_wrapperIZN2at6native12_GLOBAL__N_124unique_dim_cuda_templateIbEESt5tupleIJNSF_6TensorESK_SK_EERKSK_lbbbEUlllE0_EEPmJS9_EEE10hipError_tPvRmT3_T4_T5_T6_T7_T9_mT8_P12ihipStream_tbDpT10_ENKUlT_T0_E_clISt17integral_constantIbLb1EES19_IbLb0EEEEDaS15_S16_EUlS15_E_NS1_11comp_targetILNS1_3genE9ELNS1_11target_archE1100ELNS1_3gpuE3ELNS1_3repE0EEENS1_30default_config_static_selectorELNS0_4arch9wavefront6targetE0EEEvT1_,comdat
.Lfunc_end1105:
	.size	_ZN7rocprim17ROCPRIM_400000_NS6detail17trampoline_kernelINS0_14default_configENS1_25partition_config_selectorILNS1_17partition_subalgoE9EllbEEZZNS1_14partition_implILS5_9ELb0ES3_jPlS8_PNS0_10empty_typeENS0_5tupleIJS8_S9_EEENSB_IJS8_SA_EEENS0_18inequality_wrapperIZN2at6native12_GLOBAL__N_124unique_dim_cuda_templateIbEESt5tupleIJNSF_6TensorESK_SK_EERKSK_lbbbEUlllE0_EEPmJS9_EEE10hipError_tPvRmT3_T4_T5_T6_T7_T9_mT8_P12ihipStream_tbDpT10_ENKUlT_T0_E_clISt17integral_constantIbLb1EES19_IbLb0EEEEDaS15_S16_EUlS15_E_NS1_11comp_targetILNS1_3genE9ELNS1_11target_archE1100ELNS1_3gpuE3ELNS1_3repE0EEENS1_30default_config_static_selectorELNS0_4arch9wavefront6targetE0EEEvT1_, .Lfunc_end1105-_ZN7rocprim17ROCPRIM_400000_NS6detail17trampoline_kernelINS0_14default_configENS1_25partition_config_selectorILNS1_17partition_subalgoE9EllbEEZZNS1_14partition_implILS5_9ELb0ES3_jPlS8_PNS0_10empty_typeENS0_5tupleIJS8_S9_EEENSB_IJS8_SA_EEENS0_18inequality_wrapperIZN2at6native12_GLOBAL__N_124unique_dim_cuda_templateIbEESt5tupleIJNSF_6TensorESK_SK_EERKSK_lbbbEUlllE0_EEPmJS9_EEE10hipError_tPvRmT3_T4_T5_T6_T7_T9_mT8_P12ihipStream_tbDpT10_ENKUlT_T0_E_clISt17integral_constantIbLb1EES19_IbLb0EEEEDaS15_S16_EUlS15_E_NS1_11comp_targetILNS1_3genE9ELNS1_11target_archE1100ELNS1_3gpuE3ELNS1_3repE0EEENS1_30default_config_static_selectorELNS0_4arch9wavefront6targetE0EEEvT1_
                                        ; -- End function
	.section	.AMDGPU.csdata,"",@progbits
; Kernel info:
; codeLenInByte = 19928
; NumSgprs: 39
; NumVgprs: 68
; ScratchSize: 0
; MemoryBound: 0
; FloatMode: 240
; IeeeMode: 1
; LDSByteSize: 33804 bytes/workgroup (compile time only)
; SGPRBlocks: 4
; VGPRBlocks: 8
; NumSGPRsForWavesPerEU: 39
; NumVGPRsForWavesPerEU: 68
; Occupancy: 12
; WaveLimiterHint : 1
; COMPUTE_PGM_RSRC2:SCRATCH_EN: 0
; COMPUTE_PGM_RSRC2:USER_SGPR: 15
; COMPUTE_PGM_RSRC2:TRAP_HANDLER: 0
; COMPUTE_PGM_RSRC2:TGID_X_EN: 1
; COMPUTE_PGM_RSRC2:TGID_Y_EN: 0
; COMPUTE_PGM_RSRC2:TGID_Z_EN: 0
; COMPUTE_PGM_RSRC2:TIDIG_COMP_CNT: 0
	.section	.text._ZN7rocprim17ROCPRIM_400000_NS6detail17trampoline_kernelINS0_14default_configENS1_25partition_config_selectorILNS1_17partition_subalgoE9EllbEEZZNS1_14partition_implILS5_9ELb0ES3_jPlS8_PNS0_10empty_typeENS0_5tupleIJS8_S9_EEENSB_IJS8_SA_EEENS0_18inequality_wrapperIZN2at6native12_GLOBAL__N_124unique_dim_cuda_templateIbEESt5tupleIJNSF_6TensorESK_SK_EERKSK_lbbbEUlllE0_EEPmJS9_EEE10hipError_tPvRmT3_T4_T5_T6_T7_T9_mT8_P12ihipStream_tbDpT10_ENKUlT_T0_E_clISt17integral_constantIbLb1EES19_IbLb0EEEEDaS15_S16_EUlS15_E_NS1_11comp_targetILNS1_3genE8ELNS1_11target_archE1030ELNS1_3gpuE2ELNS1_3repE0EEENS1_30default_config_static_selectorELNS0_4arch9wavefront6targetE0EEEvT1_,"axG",@progbits,_ZN7rocprim17ROCPRIM_400000_NS6detail17trampoline_kernelINS0_14default_configENS1_25partition_config_selectorILNS1_17partition_subalgoE9EllbEEZZNS1_14partition_implILS5_9ELb0ES3_jPlS8_PNS0_10empty_typeENS0_5tupleIJS8_S9_EEENSB_IJS8_SA_EEENS0_18inequality_wrapperIZN2at6native12_GLOBAL__N_124unique_dim_cuda_templateIbEESt5tupleIJNSF_6TensorESK_SK_EERKSK_lbbbEUlllE0_EEPmJS9_EEE10hipError_tPvRmT3_T4_T5_T6_T7_T9_mT8_P12ihipStream_tbDpT10_ENKUlT_T0_E_clISt17integral_constantIbLb1EES19_IbLb0EEEEDaS15_S16_EUlS15_E_NS1_11comp_targetILNS1_3genE8ELNS1_11target_archE1030ELNS1_3gpuE2ELNS1_3repE0EEENS1_30default_config_static_selectorELNS0_4arch9wavefront6targetE0EEEvT1_,comdat
	.globl	_ZN7rocprim17ROCPRIM_400000_NS6detail17trampoline_kernelINS0_14default_configENS1_25partition_config_selectorILNS1_17partition_subalgoE9EllbEEZZNS1_14partition_implILS5_9ELb0ES3_jPlS8_PNS0_10empty_typeENS0_5tupleIJS8_S9_EEENSB_IJS8_SA_EEENS0_18inequality_wrapperIZN2at6native12_GLOBAL__N_124unique_dim_cuda_templateIbEESt5tupleIJNSF_6TensorESK_SK_EERKSK_lbbbEUlllE0_EEPmJS9_EEE10hipError_tPvRmT3_T4_T5_T6_T7_T9_mT8_P12ihipStream_tbDpT10_ENKUlT_T0_E_clISt17integral_constantIbLb1EES19_IbLb0EEEEDaS15_S16_EUlS15_E_NS1_11comp_targetILNS1_3genE8ELNS1_11target_archE1030ELNS1_3gpuE2ELNS1_3repE0EEENS1_30default_config_static_selectorELNS0_4arch9wavefront6targetE0EEEvT1_ ; -- Begin function _ZN7rocprim17ROCPRIM_400000_NS6detail17trampoline_kernelINS0_14default_configENS1_25partition_config_selectorILNS1_17partition_subalgoE9EllbEEZZNS1_14partition_implILS5_9ELb0ES3_jPlS8_PNS0_10empty_typeENS0_5tupleIJS8_S9_EEENSB_IJS8_SA_EEENS0_18inequality_wrapperIZN2at6native12_GLOBAL__N_124unique_dim_cuda_templateIbEESt5tupleIJNSF_6TensorESK_SK_EERKSK_lbbbEUlllE0_EEPmJS9_EEE10hipError_tPvRmT3_T4_T5_T6_T7_T9_mT8_P12ihipStream_tbDpT10_ENKUlT_T0_E_clISt17integral_constantIbLb1EES19_IbLb0EEEEDaS15_S16_EUlS15_E_NS1_11comp_targetILNS1_3genE8ELNS1_11target_archE1030ELNS1_3gpuE2ELNS1_3repE0EEENS1_30default_config_static_selectorELNS0_4arch9wavefront6targetE0EEEvT1_
	.p2align	8
	.type	_ZN7rocprim17ROCPRIM_400000_NS6detail17trampoline_kernelINS0_14default_configENS1_25partition_config_selectorILNS1_17partition_subalgoE9EllbEEZZNS1_14partition_implILS5_9ELb0ES3_jPlS8_PNS0_10empty_typeENS0_5tupleIJS8_S9_EEENSB_IJS8_SA_EEENS0_18inequality_wrapperIZN2at6native12_GLOBAL__N_124unique_dim_cuda_templateIbEESt5tupleIJNSF_6TensorESK_SK_EERKSK_lbbbEUlllE0_EEPmJS9_EEE10hipError_tPvRmT3_T4_T5_T6_T7_T9_mT8_P12ihipStream_tbDpT10_ENKUlT_T0_E_clISt17integral_constantIbLb1EES19_IbLb0EEEEDaS15_S16_EUlS15_E_NS1_11comp_targetILNS1_3genE8ELNS1_11target_archE1030ELNS1_3gpuE2ELNS1_3repE0EEENS1_30default_config_static_selectorELNS0_4arch9wavefront6targetE0EEEvT1_,@function
_ZN7rocprim17ROCPRIM_400000_NS6detail17trampoline_kernelINS0_14default_configENS1_25partition_config_selectorILNS1_17partition_subalgoE9EllbEEZZNS1_14partition_implILS5_9ELb0ES3_jPlS8_PNS0_10empty_typeENS0_5tupleIJS8_S9_EEENSB_IJS8_SA_EEENS0_18inequality_wrapperIZN2at6native12_GLOBAL__N_124unique_dim_cuda_templateIbEESt5tupleIJNSF_6TensorESK_SK_EERKSK_lbbbEUlllE0_EEPmJS9_EEE10hipError_tPvRmT3_T4_T5_T6_T7_T9_mT8_P12ihipStream_tbDpT10_ENKUlT_T0_E_clISt17integral_constantIbLb1EES19_IbLb0EEEEDaS15_S16_EUlS15_E_NS1_11comp_targetILNS1_3genE8ELNS1_11target_archE1030ELNS1_3gpuE2ELNS1_3repE0EEENS1_30default_config_static_selectorELNS0_4arch9wavefront6targetE0EEEvT1_: ; @_ZN7rocprim17ROCPRIM_400000_NS6detail17trampoline_kernelINS0_14default_configENS1_25partition_config_selectorILNS1_17partition_subalgoE9EllbEEZZNS1_14partition_implILS5_9ELb0ES3_jPlS8_PNS0_10empty_typeENS0_5tupleIJS8_S9_EEENSB_IJS8_SA_EEENS0_18inequality_wrapperIZN2at6native12_GLOBAL__N_124unique_dim_cuda_templateIbEESt5tupleIJNSF_6TensorESK_SK_EERKSK_lbbbEUlllE0_EEPmJS9_EEE10hipError_tPvRmT3_T4_T5_T6_T7_T9_mT8_P12ihipStream_tbDpT10_ENKUlT_T0_E_clISt17integral_constantIbLb1EES19_IbLb0EEEEDaS15_S16_EUlS15_E_NS1_11comp_targetILNS1_3genE8ELNS1_11target_archE1030ELNS1_3gpuE2ELNS1_3repE0EEENS1_30default_config_static_selectorELNS0_4arch9wavefront6targetE0EEEvT1_
; %bb.0:
	.section	.rodata,"a",@progbits
	.p2align	6, 0x0
	.amdhsa_kernel _ZN7rocprim17ROCPRIM_400000_NS6detail17trampoline_kernelINS0_14default_configENS1_25partition_config_selectorILNS1_17partition_subalgoE9EllbEEZZNS1_14partition_implILS5_9ELb0ES3_jPlS8_PNS0_10empty_typeENS0_5tupleIJS8_S9_EEENSB_IJS8_SA_EEENS0_18inequality_wrapperIZN2at6native12_GLOBAL__N_124unique_dim_cuda_templateIbEESt5tupleIJNSF_6TensorESK_SK_EERKSK_lbbbEUlllE0_EEPmJS9_EEE10hipError_tPvRmT3_T4_T5_T6_T7_T9_mT8_P12ihipStream_tbDpT10_ENKUlT_T0_E_clISt17integral_constantIbLb1EES19_IbLb0EEEEDaS15_S16_EUlS15_E_NS1_11comp_targetILNS1_3genE8ELNS1_11target_archE1030ELNS1_3gpuE2ELNS1_3repE0EEENS1_30default_config_static_selectorELNS0_4arch9wavefront6targetE0EEEvT1_
		.amdhsa_group_segment_fixed_size 0
		.amdhsa_private_segment_fixed_size 0
		.amdhsa_kernarg_size 120
		.amdhsa_user_sgpr_count 15
		.amdhsa_user_sgpr_dispatch_ptr 0
		.amdhsa_user_sgpr_queue_ptr 0
		.amdhsa_user_sgpr_kernarg_segment_ptr 1
		.amdhsa_user_sgpr_dispatch_id 0
		.amdhsa_user_sgpr_private_segment_size 0
		.amdhsa_wavefront_size32 1
		.amdhsa_uses_dynamic_stack 0
		.amdhsa_enable_private_segment 0
		.amdhsa_system_sgpr_workgroup_id_x 1
		.amdhsa_system_sgpr_workgroup_id_y 0
		.amdhsa_system_sgpr_workgroup_id_z 0
		.amdhsa_system_sgpr_workgroup_info 0
		.amdhsa_system_vgpr_workitem_id 0
		.amdhsa_next_free_vgpr 1
		.amdhsa_next_free_sgpr 1
		.amdhsa_reserve_vcc 0
		.amdhsa_float_round_mode_32 0
		.amdhsa_float_round_mode_16_64 0
		.amdhsa_float_denorm_mode_32 3
		.amdhsa_float_denorm_mode_16_64 3
		.amdhsa_dx10_clamp 1
		.amdhsa_ieee_mode 1
		.amdhsa_fp16_overflow 0
		.amdhsa_workgroup_processor_mode 1
		.amdhsa_memory_ordered 1
		.amdhsa_forward_progress 0
		.amdhsa_shared_vgpr_count 0
		.amdhsa_exception_fp_ieee_invalid_op 0
		.amdhsa_exception_fp_denorm_src 0
		.amdhsa_exception_fp_ieee_div_zero 0
		.amdhsa_exception_fp_ieee_overflow 0
		.amdhsa_exception_fp_ieee_underflow 0
		.amdhsa_exception_fp_ieee_inexact 0
		.amdhsa_exception_int_div_zero 0
	.end_amdhsa_kernel
	.section	.text._ZN7rocprim17ROCPRIM_400000_NS6detail17trampoline_kernelINS0_14default_configENS1_25partition_config_selectorILNS1_17partition_subalgoE9EllbEEZZNS1_14partition_implILS5_9ELb0ES3_jPlS8_PNS0_10empty_typeENS0_5tupleIJS8_S9_EEENSB_IJS8_SA_EEENS0_18inequality_wrapperIZN2at6native12_GLOBAL__N_124unique_dim_cuda_templateIbEESt5tupleIJNSF_6TensorESK_SK_EERKSK_lbbbEUlllE0_EEPmJS9_EEE10hipError_tPvRmT3_T4_T5_T6_T7_T9_mT8_P12ihipStream_tbDpT10_ENKUlT_T0_E_clISt17integral_constantIbLb1EES19_IbLb0EEEEDaS15_S16_EUlS15_E_NS1_11comp_targetILNS1_3genE8ELNS1_11target_archE1030ELNS1_3gpuE2ELNS1_3repE0EEENS1_30default_config_static_selectorELNS0_4arch9wavefront6targetE0EEEvT1_,"axG",@progbits,_ZN7rocprim17ROCPRIM_400000_NS6detail17trampoline_kernelINS0_14default_configENS1_25partition_config_selectorILNS1_17partition_subalgoE9EllbEEZZNS1_14partition_implILS5_9ELb0ES3_jPlS8_PNS0_10empty_typeENS0_5tupleIJS8_S9_EEENSB_IJS8_SA_EEENS0_18inequality_wrapperIZN2at6native12_GLOBAL__N_124unique_dim_cuda_templateIbEESt5tupleIJNSF_6TensorESK_SK_EERKSK_lbbbEUlllE0_EEPmJS9_EEE10hipError_tPvRmT3_T4_T5_T6_T7_T9_mT8_P12ihipStream_tbDpT10_ENKUlT_T0_E_clISt17integral_constantIbLb1EES19_IbLb0EEEEDaS15_S16_EUlS15_E_NS1_11comp_targetILNS1_3genE8ELNS1_11target_archE1030ELNS1_3gpuE2ELNS1_3repE0EEENS1_30default_config_static_selectorELNS0_4arch9wavefront6targetE0EEEvT1_,comdat
.Lfunc_end1106:
	.size	_ZN7rocprim17ROCPRIM_400000_NS6detail17trampoline_kernelINS0_14default_configENS1_25partition_config_selectorILNS1_17partition_subalgoE9EllbEEZZNS1_14partition_implILS5_9ELb0ES3_jPlS8_PNS0_10empty_typeENS0_5tupleIJS8_S9_EEENSB_IJS8_SA_EEENS0_18inequality_wrapperIZN2at6native12_GLOBAL__N_124unique_dim_cuda_templateIbEESt5tupleIJNSF_6TensorESK_SK_EERKSK_lbbbEUlllE0_EEPmJS9_EEE10hipError_tPvRmT3_T4_T5_T6_T7_T9_mT8_P12ihipStream_tbDpT10_ENKUlT_T0_E_clISt17integral_constantIbLb1EES19_IbLb0EEEEDaS15_S16_EUlS15_E_NS1_11comp_targetILNS1_3genE8ELNS1_11target_archE1030ELNS1_3gpuE2ELNS1_3repE0EEENS1_30default_config_static_selectorELNS0_4arch9wavefront6targetE0EEEvT1_, .Lfunc_end1106-_ZN7rocprim17ROCPRIM_400000_NS6detail17trampoline_kernelINS0_14default_configENS1_25partition_config_selectorILNS1_17partition_subalgoE9EllbEEZZNS1_14partition_implILS5_9ELb0ES3_jPlS8_PNS0_10empty_typeENS0_5tupleIJS8_S9_EEENSB_IJS8_SA_EEENS0_18inequality_wrapperIZN2at6native12_GLOBAL__N_124unique_dim_cuda_templateIbEESt5tupleIJNSF_6TensorESK_SK_EERKSK_lbbbEUlllE0_EEPmJS9_EEE10hipError_tPvRmT3_T4_T5_T6_T7_T9_mT8_P12ihipStream_tbDpT10_ENKUlT_T0_E_clISt17integral_constantIbLb1EES19_IbLb0EEEEDaS15_S16_EUlS15_E_NS1_11comp_targetILNS1_3genE8ELNS1_11target_archE1030ELNS1_3gpuE2ELNS1_3repE0EEENS1_30default_config_static_selectorELNS0_4arch9wavefront6targetE0EEEvT1_
                                        ; -- End function
	.section	.AMDGPU.csdata,"",@progbits
; Kernel info:
; codeLenInByte = 0
; NumSgprs: 0
; NumVgprs: 0
; ScratchSize: 0
; MemoryBound: 0
; FloatMode: 240
; IeeeMode: 1
; LDSByteSize: 0 bytes/workgroup (compile time only)
; SGPRBlocks: 0
; VGPRBlocks: 0
; NumSGPRsForWavesPerEU: 1
; NumVGPRsForWavesPerEU: 1
; Occupancy: 16
; WaveLimiterHint : 0
; COMPUTE_PGM_RSRC2:SCRATCH_EN: 0
; COMPUTE_PGM_RSRC2:USER_SGPR: 15
; COMPUTE_PGM_RSRC2:TRAP_HANDLER: 0
; COMPUTE_PGM_RSRC2:TGID_X_EN: 1
; COMPUTE_PGM_RSRC2:TGID_Y_EN: 0
; COMPUTE_PGM_RSRC2:TGID_Z_EN: 0
; COMPUTE_PGM_RSRC2:TIDIG_COMP_CNT: 0
	.section	.text._ZN7rocprim17ROCPRIM_400000_NS6detail17trampoline_kernelINS0_14default_configENS1_25partition_config_selectorILNS1_17partition_subalgoE9EllbEEZZNS1_14partition_implILS5_9ELb0ES3_jPlS8_PNS0_10empty_typeENS0_5tupleIJS8_S9_EEENSB_IJS8_SA_EEENS0_18inequality_wrapperIZN2at6native12_GLOBAL__N_124unique_dim_cuda_templateIbEESt5tupleIJNSF_6TensorESK_SK_EERKSK_lbbbEUlllE0_EEPmJS9_EEE10hipError_tPvRmT3_T4_T5_T6_T7_T9_mT8_P12ihipStream_tbDpT10_ENKUlT_T0_E_clISt17integral_constantIbLb0EES19_IbLb1EEEEDaS15_S16_EUlS15_E_NS1_11comp_targetILNS1_3genE0ELNS1_11target_archE4294967295ELNS1_3gpuE0ELNS1_3repE0EEENS1_30default_config_static_selectorELNS0_4arch9wavefront6targetE0EEEvT1_,"axG",@progbits,_ZN7rocprim17ROCPRIM_400000_NS6detail17trampoline_kernelINS0_14default_configENS1_25partition_config_selectorILNS1_17partition_subalgoE9EllbEEZZNS1_14partition_implILS5_9ELb0ES3_jPlS8_PNS0_10empty_typeENS0_5tupleIJS8_S9_EEENSB_IJS8_SA_EEENS0_18inequality_wrapperIZN2at6native12_GLOBAL__N_124unique_dim_cuda_templateIbEESt5tupleIJNSF_6TensorESK_SK_EERKSK_lbbbEUlllE0_EEPmJS9_EEE10hipError_tPvRmT3_T4_T5_T6_T7_T9_mT8_P12ihipStream_tbDpT10_ENKUlT_T0_E_clISt17integral_constantIbLb0EES19_IbLb1EEEEDaS15_S16_EUlS15_E_NS1_11comp_targetILNS1_3genE0ELNS1_11target_archE4294967295ELNS1_3gpuE0ELNS1_3repE0EEENS1_30default_config_static_selectorELNS0_4arch9wavefront6targetE0EEEvT1_,comdat
	.globl	_ZN7rocprim17ROCPRIM_400000_NS6detail17trampoline_kernelINS0_14default_configENS1_25partition_config_selectorILNS1_17partition_subalgoE9EllbEEZZNS1_14partition_implILS5_9ELb0ES3_jPlS8_PNS0_10empty_typeENS0_5tupleIJS8_S9_EEENSB_IJS8_SA_EEENS0_18inequality_wrapperIZN2at6native12_GLOBAL__N_124unique_dim_cuda_templateIbEESt5tupleIJNSF_6TensorESK_SK_EERKSK_lbbbEUlllE0_EEPmJS9_EEE10hipError_tPvRmT3_T4_T5_T6_T7_T9_mT8_P12ihipStream_tbDpT10_ENKUlT_T0_E_clISt17integral_constantIbLb0EES19_IbLb1EEEEDaS15_S16_EUlS15_E_NS1_11comp_targetILNS1_3genE0ELNS1_11target_archE4294967295ELNS1_3gpuE0ELNS1_3repE0EEENS1_30default_config_static_selectorELNS0_4arch9wavefront6targetE0EEEvT1_ ; -- Begin function _ZN7rocprim17ROCPRIM_400000_NS6detail17trampoline_kernelINS0_14default_configENS1_25partition_config_selectorILNS1_17partition_subalgoE9EllbEEZZNS1_14partition_implILS5_9ELb0ES3_jPlS8_PNS0_10empty_typeENS0_5tupleIJS8_S9_EEENSB_IJS8_SA_EEENS0_18inequality_wrapperIZN2at6native12_GLOBAL__N_124unique_dim_cuda_templateIbEESt5tupleIJNSF_6TensorESK_SK_EERKSK_lbbbEUlllE0_EEPmJS9_EEE10hipError_tPvRmT3_T4_T5_T6_T7_T9_mT8_P12ihipStream_tbDpT10_ENKUlT_T0_E_clISt17integral_constantIbLb0EES19_IbLb1EEEEDaS15_S16_EUlS15_E_NS1_11comp_targetILNS1_3genE0ELNS1_11target_archE4294967295ELNS1_3gpuE0ELNS1_3repE0EEENS1_30default_config_static_selectorELNS0_4arch9wavefront6targetE0EEEvT1_
	.p2align	8
	.type	_ZN7rocprim17ROCPRIM_400000_NS6detail17trampoline_kernelINS0_14default_configENS1_25partition_config_selectorILNS1_17partition_subalgoE9EllbEEZZNS1_14partition_implILS5_9ELb0ES3_jPlS8_PNS0_10empty_typeENS0_5tupleIJS8_S9_EEENSB_IJS8_SA_EEENS0_18inequality_wrapperIZN2at6native12_GLOBAL__N_124unique_dim_cuda_templateIbEESt5tupleIJNSF_6TensorESK_SK_EERKSK_lbbbEUlllE0_EEPmJS9_EEE10hipError_tPvRmT3_T4_T5_T6_T7_T9_mT8_P12ihipStream_tbDpT10_ENKUlT_T0_E_clISt17integral_constantIbLb0EES19_IbLb1EEEEDaS15_S16_EUlS15_E_NS1_11comp_targetILNS1_3genE0ELNS1_11target_archE4294967295ELNS1_3gpuE0ELNS1_3repE0EEENS1_30default_config_static_selectorELNS0_4arch9wavefront6targetE0EEEvT1_,@function
_ZN7rocprim17ROCPRIM_400000_NS6detail17trampoline_kernelINS0_14default_configENS1_25partition_config_selectorILNS1_17partition_subalgoE9EllbEEZZNS1_14partition_implILS5_9ELb0ES3_jPlS8_PNS0_10empty_typeENS0_5tupleIJS8_S9_EEENSB_IJS8_SA_EEENS0_18inequality_wrapperIZN2at6native12_GLOBAL__N_124unique_dim_cuda_templateIbEESt5tupleIJNSF_6TensorESK_SK_EERKSK_lbbbEUlllE0_EEPmJS9_EEE10hipError_tPvRmT3_T4_T5_T6_T7_T9_mT8_P12ihipStream_tbDpT10_ENKUlT_T0_E_clISt17integral_constantIbLb0EES19_IbLb1EEEEDaS15_S16_EUlS15_E_NS1_11comp_targetILNS1_3genE0ELNS1_11target_archE4294967295ELNS1_3gpuE0ELNS1_3repE0EEENS1_30default_config_static_selectorELNS0_4arch9wavefront6targetE0EEEvT1_: ; @_ZN7rocprim17ROCPRIM_400000_NS6detail17trampoline_kernelINS0_14default_configENS1_25partition_config_selectorILNS1_17partition_subalgoE9EllbEEZZNS1_14partition_implILS5_9ELb0ES3_jPlS8_PNS0_10empty_typeENS0_5tupleIJS8_S9_EEENSB_IJS8_SA_EEENS0_18inequality_wrapperIZN2at6native12_GLOBAL__N_124unique_dim_cuda_templateIbEESt5tupleIJNSF_6TensorESK_SK_EERKSK_lbbbEUlllE0_EEPmJS9_EEE10hipError_tPvRmT3_T4_T5_T6_T7_T9_mT8_P12ihipStream_tbDpT10_ENKUlT_T0_E_clISt17integral_constantIbLb0EES19_IbLb1EEEEDaS15_S16_EUlS15_E_NS1_11comp_targetILNS1_3genE0ELNS1_11target_archE4294967295ELNS1_3gpuE0ELNS1_3repE0EEENS1_30default_config_static_selectorELNS0_4arch9wavefront6targetE0EEEvT1_
; %bb.0:
	.section	.rodata,"a",@progbits
	.p2align	6, 0x0
	.amdhsa_kernel _ZN7rocprim17ROCPRIM_400000_NS6detail17trampoline_kernelINS0_14default_configENS1_25partition_config_selectorILNS1_17partition_subalgoE9EllbEEZZNS1_14partition_implILS5_9ELb0ES3_jPlS8_PNS0_10empty_typeENS0_5tupleIJS8_S9_EEENSB_IJS8_SA_EEENS0_18inequality_wrapperIZN2at6native12_GLOBAL__N_124unique_dim_cuda_templateIbEESt5tupleIJNSF_6TensorESK_SK_EERKSK_lbbbEUlllE0_EEPmJS9_EEE10hipError_tPvRmT3_T4_T5_T6_T7_T9_mT8_P12ihipStream_tbDpT10_ENKUlT_T0_E_clISt17integral_constantIbLb0EES19_IbLb1EEEEDaS15_S16_EUlS15_E_NS1_11comp_targetILNS1_3genE0ELNS1_11target_archE4294967295ELNS1_3gpuE0ELNS1_3repE0EEENS1_30default_config_static_selectorELNS0_4arch9wavefront6targetE0EEEvT1_
		.amdhsa_group_segment_fixed_size 0
		.amdhsa_private_segment_fixed_size 0
		.amdhsa_kernarg_size 136
		.amdhsa_user_sgpr_count 15
		.amdhsa_user_sgpr_dispatch_ptr 0
		.amdhsa_user_sgpr_queue_ptr 0
		.amdhsa_user_sgpr_kernarg_segment_ptr 1
		.amdhsa_user_sgpr_dispatch_id 0
		.amdhsa_user_sgpr_private_segment_size 0
		.amdhsa_wavefront_size32 1
		.amdhsa_uses_dynamic_stack 0
		.amdhsa_enable_private_segment 0
		.amdhsa_system_sgpr_workgroup_id_x 1
		.amdhsa_system_sgpr_workgroup_id_y 0
		.amdhsa_system_sgpr_workgroup_id_z 0
		.amdhsa_system_sgpr_workgroup_info 0
		.amdhsa_system_vgpr_workitem_id 0
		.amdhsa_next_free_vgpr 1
		.amdhsa_next_free_sgpr 1
		.amdhsa_reserve_vcc 0
		.amdhsa_float_round_mode_32 0
		.amdhsa_float_round_mode_16_64 0
		.amdhsa_float_denorm_mode_32 3
		.amdhsa_float_denorm_mode_16_64 3
		.amdhsa_dx10_clamp 1
		.amdhsa_ieee_mode 1
		.amdhsa_fp16_overflow 0
		.amdhsa_workgroup_processor_mode 1
		.amdhsa_memory_ordered 1
		.amdhsa_forward_progress 0
		.amdhsa_shared_vgpr_count 0
		.amdhsa_exception_fp_ieee_invalid_op 0
		.amdhsa_exception_fp_denorm_src 0
		.amdhsa_exception_fp_ieee_div_zero 0
		.amdhsa_exception_fp_ieee_overflow 0
		.amdhsa_exception_fp_ieee_underflow 0
		.amdhsa_exception_fp_ieee_inexact 0
		.amdhsa_exception_int_div_zero 0
	.end_amdhsa_kernel
	.section	.text._ZN7rocprim17ROCPRIM_400000_NS6detail17trampoline_kernelINS0_14default_configENS1_25partition_config_selectorILNS1_17partition_subalgoE9EllbEEZZNS1_14partition_implILS5_9ELb0ES3_jPlS8_PNS0_10empty_typeENS0_5tupleIJS8_S9_EEENSB_IJS8_SA_EEENS0_18inequality_wrapperIZN2at6native12_GLOBAL__N_124unique_dim_cuda_templateIbEESt5tupleIJNSF_6TensorESK_SK_EERKSK_lbbbEUlllE0_EEPmJS9_EEE10hipError_tPvRmT3_T4_T5_T6_T7_T9_mT8_P12ihipStream_tbDpT10_ENKUlT_T0_E_clISt17integral_constantIbLb0EES19_IbLb1EEEEDaS15_S16_EUlS15_E_NS1_11comp_targetILNS1_3genE0ELNS1_11target_archE4294967295ELNS1_3gpuE0ELNS1_3repE0EEENS1_30default_config_static_selectorELNS0_4arch9wavefront6targetE0EEEvT1_,"axG",@progbits,_ZN7rocprim17ROCPRIM_400000_NS6detail17trampoline_kernelINS0_14default_configENS1_25partition_config_selectorILNS1_17partition_subalgoE9EllbEEZZNS1_14partition_implILS5_9ELb0ES3_jPlS8_PNS0_10empty_typeENS0_5tupleIJS8_S9_EEENSB_IJS8_SA_EEENS0_18inequality_wrapperIZN2at6native12_GLOBAL__N_124unique_dim_cuda_templateIbEESt5tupleIJNSF_6TensorESK_SK_EERKSK_lbbbEUlllE0_EEPmJS9_EEE10hipError_tPvRmT3_T4_T5_T6_T7_T9_mT8_P12ihipStream_tbDpT10_ENKUlT_T0_E_clISt17integral_constantIbLb0EES19_IbLb1EEEEDaS15_S16_EUlS15_E_NS1_11comp_targetILNS1_3genE0ELNS1_11target_archE4294967295ELNS1_3gpuE0ELNS1_3repE0EEENS1_30default_config_static_selectorELNS0_4arch9wavefront6targetE0EEEvT1_,comdat
.Lfunc_end1107:
	.size	_ZN7rocprim17ROCPRIM_400000_NS6detail17trampoline_kernelINS0_14default_configENS1_25partition_config_selectorILNS1_17partition_subalgoE9EllbEEZZNS1_14partition_implILS5_9ELb0ES3_jPlS8_PNS0_10empty_typeENS0_5tupleIJS8_S9_EEENSB_IJS8_SA_EEENS0_18inequality_wrapperIZN2at6native12_GLOBAL__N_124unique_dim_cuda_templateIbEESt5tupleIJNSF_6TensorESK_SK_EERKSK_lbbbEUlllE0_EEPmJS9_EEE10hipError_tPvRmT3_T4_T5_T6_T7_T9_mT8_P12ihipStream_tbDpT10_ENKUlT_T0_E_clISt17integral_constantIbLb0EES19_IbLb1EEEEDaS15_S16_EUlS15_E_NS1_11comp_targetILNS1_3genE0ELNS1_11target_archE4294967295ELNS1_3gpuE0ELNS1_3repE0EEENS1_30default_config_static_selectorELNS0_4arch9wavefront6targetE0EEEvT1_, .Lfunc_end1107-_ZN7rocprim17ROCPRIM_400000_NS6detail17trampoline_kernelINS0_14default_configENS1_25partition_config_selectorILNS1_17partition_subalgoE9EllbEEZZNS1_14partition_implILS5_9ELb0ES3_jPlS8_PNS0_10empty_typeENS0_5tupleIJS8_S9_EEENSB_IJS8_SA_EEENS0_18inequality_wrapperIZN2at6native12_GLOBAL__N_124unique_dim_cuda_templateIbEESt5tupleIJNSF_6TensorESK_SK_EERKSK_lbbbEUlllE0_EEPmJS9_EEE10hipError_tPvRmT3_T4_T5_T6_T7_T9_mT8_P12ihipStream_tbDpT10_ENKUlT_T0_E_clISt17integral_constantIbLb0EES19_IbLb1EEEEDaS15_S16_EUlS15_E_NS1_11comp_targetILNS1_3genE0ELNS1_11target_archE4294967295ELNS1_3gpuE0ELNS1_3repE0EEENS1_30default_config_static_selectorELNS0_4arch9wavefront6targetE0EEEvT1_
                                        ; -- End function
	.section	.AMDGPU.csdata,"",@progbits
; Kernel info:
; codeLenInByte = 0
; NumSgprs: 0
; NumVgprs: 0
; ScratchSize: 0
; MemoryBound: 0
; FloatMode: 240
; IeeeMode: 1
; LDSByteSize: 0 bytes/workgroup (compile time only)
; SGPRBlocks: 0
; VGPRBlocks: 0
; NumSGPRsForWavesPerEU: 1
; NumVGPRsForWavesPerEU: 1
; Occupancy: 16
; WaveLimiterHint : 0
; COMPUTE_PGM_RSRC2:SCRATCH_EN: 0
; COMPUTE_PGM_RSRC2:USER_SGPR: 15
; COMPUTE_PGM_RSRC2:TRAP_HANDLER: 0
; COMPUTE_PGM_RSRC2:TGID_X_EN: 1
; COMPUTE_PGM_RSRC2:TGID_Y_EN: 0
; COMPUTE_PGM_RSRC2:TGID_Z_EN: 0
; COMPUTE_PGM_RSRC2:TIDIG_COMP_CNT: 0
	.section	.text._ZN7rocprim17ROCPRIM_400000_NS6detail17trampoline_kernelINS0_14default_configENS1_25partition_config_selectorILNS1_17partition_subalgoE9EllbEEZZNS1_14partition_implILS5_9ELb0ES3_jPlS8_PNS0_10empty_typeENS0_5tupleIJS8_S9_EEENSB_IJS8_SA_EEENS0_18inequality_wrapperIZN2at6native12_GLOBAL__N_124unique_dim_cuda_templateIbEESt5tupleIJNSF_6TensorESK_SK_EERKSK_lbbbEUlllE0_EEPmJS9_EEE10hipError_tPvRmT3_T4_T5_T6_T7_T9_mT8_P12ihipStream_tbDpT10_ENKUlT_T0_E_clISt17integral_constantIbLb0EES19_IbLb1EEEEDaS15_S16_EUlS15_E_NS1_11comp_targetILNS1_3genE5ELNS1_11target_archE942ELNS1_3gpuE9ELNS1_3repE0EEENS1_30default_config_static_selectorELNS0_4arch9wavefront6targetE0EEEvT1_,"axG",@progbits,_ZN7rocprim17ROCPRIM_400000_NS6detail17trampoline_kernelINS0_14default_configENS1_25partition_config_selectorILNS1_17partition_subalgoE9EllbEEZZNS1_14partition_implILS5_9ELb0ES3_jPlS8_PNS0_10empty_typeENS0_5tupleIJS8_S9_EEENSB_IJS8_SA_EEENS0_18inequality_wrapperIZN2at6native12_GLOBAL__N_124unique_dim_cuda_templateIbEESt5tupleIJNSF_6TensorESK_SK_EERKSK_lbbbEUlllE0_EEPmJS9_EEE10hipError_tPvRmT3_T4_T5_T6_T7_T9_mT8_P12ihipStream_tbDpT10_ENKUlT_T0_E_clISt17integral_constantIbLb0EES19_IbLb1EEEEDaS15_S16_EUlS15_E_NS1_11comp_targetILNS1_3genE5ELNS1_11target_archE942ELNS1_3gpuE9ELNS1_3repE0EEENS1_30default_config_static_selectorELNS0_4arch9wavefront6targetE0EEEvT1_,comdat
	.globl	_ZN7rocprim17ROCPRIM_400000_NS6detail17trampoline_kernelINS0_14default_configENS1_25partition_config_selectorILNS1_17partition_subalgoE9EllbEEZZNS1_14partition_implILS5_9ELb0ES3_jPlS8_PNS0_10empty_typeENS0_5tupleIJS8_S9_EEENSB_IJS8_SA_EEENS0_18inequality_wrapperIZN2at6native12_GLOBAL__N_124unique_dim_cuda_templateIbEESt5tupleIJNSF_6TensorESK_SK_EERKSK_lbbbEUlllE0_EEPmJS9_EEE10hipError_tPvRmT3_T4_T5_T6_T7_T9_mT8_P12ihipStream_tbDpT10_ENKUlT_T0_E_clISt17integral_constantIbLb0EES19_IbLb1EEEEDaS15_S16_EUlS15_E_NS1_11comp_targetILNS1_3genE5ELNS1_11target_archE942ELNS1_3gpuE9ELNS1_3repE0EEENS1_30default_config_static_selectorELNS0_4arch9wavefront6targetE0EEEvT1_ ; -- Begin function _ZN7rocprim17ROCPRIM_400000_NS6detail17trampoline_kernelINS0_14default_configENS1_25partition_config_selectorILNS1_17partition_subalgoE9EllbEEZZNS1_14partition_implILS5_9ELb0ES3_jPlS8_PNS0_10empty_typeENS0_5tupleIJS8_S9_EEENSB_IJS8_SA_EEENS0_18inequality_wrapperIZN2at6native12_GLOBAL__N_124unique_dim_cuda_templateIbEESt5tupleIJNSF_6TensorESK_SK_EERKSK_lbbbEUlllE0_EEPmJS9_EEE10hipError_tPvRmT3_T4_T5_T6_T7_T9_mT8_P12ihipStream_tbDpT10_ENKUlT_T0_E_clISt17integral_constantIbLb0EES19_IbLb1EEEEDaS15_S16_EUlS15_E_NS1_11comp_targetILNS1_3genE5ELNS1_11target_archE942ELNS1_3gpuE9ELNS1_3repE0EEENS1_30default_config_static_selectorELNS0_4arch9wavefront6targetE0EEEvT1_
	.p2align	8
	.type	_ZN7rocprim17ROCPRIM_400000_NS6detail17trampoline_kernelINS0_14default_configENS1_25partition_config_selectorILNS1_17partition_subalgoE9EllbEEZZNS1_14partition_implILS5_9ELb0ES3_jPlS8_PNS0_10empty_typeENS0_5tupleIJS8_S9_EEENSB_IJS8_SA_EEENS0_18inequality_wrapperIZN2at6native12_GLOBAL__N_124unique_dim_cuda_templateIbEESt5tupleIJNSF_6TensorESK_SK_EERKSK_lbbbEUlllE0_EEPmJS9_EEE10hipError_tPvRmT3_T4_T5_T6_T7_T9_mT8_P12ihipStream_tbDpT10_ENKUlT_T0_E_clISt17integral_constantIbLb0EES19_IbLb1EEEEDaS15_S16_EUlS15_E_NS1_11comp_targetILNS1_3genE5ELNS1_11target_archE942ELNS1_3gpuE9ELNS1_3repE0EEENS1_30default_config_static_selectorELNS0_4arch9wavefront6targetE0EEEvT1_,@function
_ZN7rocprim17ROCPRIM_400000_NS6detail17trampoline_kernelINS0_14default_configENS1_25partition_config_selectorILNS1_17partition_subalgoE9EllbEEZZNS1_14partition_implILS5_9ELb0ES3_jPlS8_PNS0_10empty_typeENS0_5tupleIJS8_S9_EEENSB_IJS8_SA_EEENS0_18inequality_wrapperIZN2at6native12_GLOBAL__N_124unique_dim_cuda_templateIbEESt5tupleIJNSF_6TensorESK_SK_EERKSK_lbbbEUlllE0_EEPmJS9_EEE10hipError_tPvRmT3_T4_T5_T6_T7_T9_mT8_P12ihipStream_tbDpT10_ENKUlT_T0_E_clISt17integral_constantIbLb0EES19_IbLb1EEEEDaS15_S16_EUlS15_E_NS1_11comp_targetILNS1_3genE5ELNS1_11target_archE942ELNS1_3gpuE9ELNS1_3repE0EEENS1_30default_config_static_selectorELNS0_4arch9wavefront6targetE0EEEvT1_: ; @_ZN7rocprim17ROCPRIM_400000_NS6detail17trampoline_kernelINS0_14default_configENS1_25partition_config_selectorILNS1_17partition_subalgoE9EllbEEZZNS1_14partition_implILS5_9ELb0ES3_jPlS8_PNS0_10empty_typeENS0_5tupleIJS8_S9_EEENSB_IJS8_SA_EEENS0_18inequality_wrapperIZN2at6native12_GLOBAL__N_124unique_dim_cuda_templateIbEESt5tupleIJNSF_6TensorESK_SK_EERKSK_lbbbEUlllE0_EEPmJS9_EEE10hipError_tPvRmT3_T4_T5_T6_T7_T9_mT8_P12ihipStream_tbDpT10_ENKUlT_T0_E_clISt17integral_constantIbLb0EES19_IbLb1EEEEDaS15_S16_EUlS15_E_NS1_11comp_targetILNS1_3genE5ELNS1_11target_archE942ELNS1_3gpuE9ELNS1_3repE0EEENS1_30default_config_static_selectorELNS0_4arch9wavefront6targetE0EEEvT1_
; %bb.0:
	.section	.rodata,"a",@progbits
	.p2align	6, 0x0
	.amdhsa_kernel _ZN7rocprim17ROCPRIM_400000_NS6detail17trampoline_kernelINS0_14default_configENS1_25partition_config_selectorILNS1_17partition_subalgoE9EllbEEZZNS1_14partition_implILS5_9ELb0ES3_jPlS8_PNS0_10empty_typeENS0_5tupleIJS8_S9_EEENSB_IJS8_SA_EEENS0_18inequality_wrapperIZN2at6native12_GLOBAL__N_124unique_dim_cuda_templateIbEESt5tupleIJNSF_6TensorESK_SK_EERKSK_lbbbEUlllE0_EEPmJS9_EEE10hipError_tPvRmT3_T4_T5_T6_T7_T9_mT8_P12ihipStream_tbDpT10_ENKUlT_T0_E_clISt17integral_constantIbLb0EES19_IbLb1EEEEDaS15_S16_EUlS15_E_NS1_11comp_targetILNS1_3genE5ELNS1_11target_archE942ELNS1_3gpuE9ELNS1_3repE0EEENS1_30default_config_static_selectorELNS0_4arch9wavefront6targetE0EEEvT1_
		.amdhsa_group_segment_fixed_size 0
		.amdhsa_private_segment_fixed_size 0
		.amdhsa_kernarg_size 136
		.amdhsa_user_sgpr_count 15
		.amdhsa_user_sgpr_dispatch_ptr 0
		.amdhsa_user_sgpr_queue_ptr 0
		.amdhsa_user_sgpr_kernarg_segment_ptr 1
		.amdhsa_user_sgpr_dispatch_id 0
		.amdhsa_user_sgpr_private_segment_size 0
		.amdhsa_wavefront_size32 1
		.amdhsa_uses_dynamic_stack 0
		.amdhsa_enable_private_segment 0
		.amdhsa_system_sgpr_workgroup_id_x 1
		.amdhsa_system_sgpr_workgroup_id_y 0
		.amdhsa_system_sgpr_workgroup_id_z 0
		.amdhsa_system_sgpr_workgroup_info 0
		.amdhsa_system_vgpr_workitem_id 0
		.amdhsa_next_free_vgpr 1
		.amdhsa_next_free_sgpr 1
		.amdhsa_reserve_vcc 0
		.amdhsa_float_round_mode_32 0
		.amdhsa_float_round_mode_16_64 0
		.amdhsa_float_denorm_mode_32 3
		.amdhsa_float_denorm_mode_16_64 3
		.amdhsa_dx10_clamp 1
		.amdhsa_ieee_mode 1
		.amdhsa_fp16_overflow 0
		.amdhsa_workgroup_processor_mode 1
		.amdhsa_memory_ordered 1
		.amdhsa_forward_progress 0
		.amdhsa_shared_vgpr_count 0
		.amdhsa_exception_fp_ieee_invalid_op 0
		.amdhsa_exception_fp_denorm_src 0
		.amdhsa_exception_fp_ieee_div_zero 0
		.amdhsa_exception_fp_ieee_overflow 0
		.amdhsa_exception_fp_ieee_underflow 0
		.amdhsa_exception_fp_ieee_inexact 0
		.amdhsa_exception_int_div_zero 0
	.end_amdhsa_kernel
	.section	.text._ZN7rocprim17ROCPRIM_400000_NS6detail17trampoline_kernelINS0_14default_configENS1_25partition_config_selectorILNS1_17partition_subalgoE9EllbEEZZNS1_14partition_implILS5_9ELb0ES3_jPlS8_PNS0_10empty_typeENS0_5tupleIJS8_S9_EEENSB_IJS8_SA_EEENS0_18inequality_wrapperIZN2at6native12_GLOBAL__N_124unique_dim_cuda_templateIbEESt5tupleIJNSF_6TensorESK_SK_EERKSK_lbbbEUlllE0_EEPmJS9_EEE10hipError_tPvRmT3_T4_T5_T6_T7_T9_mT8_P12ihipStream_tbDpT10_ENKUlT_T0_E_clISt17integral_constantIbLb0EES19_IbLb1EEEEDaS15_S16_EUlS15_E_NS1_11comp_targetILNS1_3genE5ELNS1_11target_archE942ELNS1_3gpuE9ELNS1_3repE0EEENS1_30default_config_static_selectorELNS0_4arch9wavefront6targetE0EEEvT1_,"axG",@progbits,_ZN7rocprim17ROCPRIM_400000_NS6detail17trampoline_kernelINS0_14default_configENS1_25partition_config_selectorILNS1_17partition_subalgoE9EllbEEZZNS1_14partition_implILS5_9ELb0ES3_jPlS8_PNS0_10empty_typeENS0_5tupleIJS8_S9_EEENSB_IJS8_SA_EEENS0_18inequality_wrapperIZN2at6native12_GLOBAL__N_124unique_dim_cuda_templateIbEESt5tupleIJNSF_6TensorESK_SK_EERKSK_lbbbEUlllE0_EEPmJS9_EEE10hipError_tPvRmT3_T4_T5_T6_T7_T9_mT8_P12ihipStream_tbDpT10_ENKUlT_T0_E_clISt17integral_constantIbLb0EES19_IbLb1EEEEDaS15_S16_EUlS15_E_NS1_11comp_targetILNS1_3genE5ELNS1_11target_archE942ELNS1_3gpuE9ELNS1_3repE0EEENS1_30default_config_static_selectorELNS0_4arch9wavefront6targetE0EEEvT1_,comdat
.Lfunc_end1108:
	.size	_ZN7rocprim17ROCPRIM_400000_NS6detail17trampoline_kernelINS0_14default_configENS1_25partition_config_selectorILNS1_17partition_subalgoE9EllbEEZZNS1_14partition_implILS5_9ELb0ES3_jPlS8_PNS0_10empty_typeENS0_5tupleIJS8_S9_EEENSB_IJS8_SA_EEENS0_18inequality_wrapperIZN2at6native12_GLOBAL__N_124unique_dim_cuda_templateIbEESt5tupleIJNSF_6TensorESK_SK_EERKSK_lbbbEUlllE0_EEPmJS9_EEE10hipError_tPvRmT3_T4_T5_T6_T7_T9_mT8_P12ihipStream_tbDpT10_ENKUlT_T0_E_clISt17integral_constantIbLb0EES19_IbLb1EEEEDaS15_S16_EUlS15_E_NS1_11comp_targetILNS1_3genE5ELNS1_11target_archE942ELNS1_3gpuE9ELNS1_3repE0EEENS1_30default_config_static_selectorELNS0_4arch9wavefront6targetE0EEEvT1_, .Lfunc_end1108-_ZN7rocprim17ROCPRIM_400000_NS6detail17trampoline_kernelINS0_14default_configENS1_25partition_config_selectorILNS1_17partition_subalgoE9EllbEEZZNS1_14partition_implILS5_9ELb0ES3_jPlS8_PNS0_10empty_typeENS0_5tupleIJS8_S9_EEENSB_IJS8_SA_EEENS0_18inequality_wrapperIZN2at6native12_GLOBAL__N_124unique_dim_cuda_templateIbEESt5tupleIJNSF_6TensorESK_SK_EERKSK_lbbbEUlllE0_EEPmJS9_EEE10hipError_tPvRmT3_T4_T5_T6_T7_T9_mT8_P12ihipStream_tbDpT10_ENKUlT_T0_E_clISt17integral_constantIbLb0EES19_IbLb1EEEEDaS15_S16_EUlS15_E_NS1_11comp_targetILNS1_3genE5ELNS1_11target_archE942ELNS1_3gpuE9ELNS1_3repE0EEENS1_30default_config_static_selectorELNS0_4arch9wavefront6targetE0EEEvT1_
                                        ; -- End function
	.section	.AMDGPU.csdata,"",@progbits
; Kernel info:
; codeLenInByte = 0
; NumSgprs: 0
; NumVgprs: 0
; ScratchSize: 0
; MemoryBound: 0
; FloatMode: 240
; IeeeMode: 1
; LDSByteSize: 0 bytes/workgroup (compile time only)
; SGPRBlocks: 0
; VGPRBlocks: 0
; NumSGPRsForWavesPerEU: 1
; NumVGPRsForWavesPerEU: 1
; Occupancy: 16
; WaveLimiterHint : 0
; COMPUTE_PGM_RSRC2:SCRATCH_EN: 0
; COMPUTE_PGM_RSRC2:USER_SGPR: 15
; COMPUTE_PGM_RSRC2:TRAP_HANDLER: 0
; COMPUTE_PGM_RSRC2:TGID_X_EN: 1
; COMPUTE_PGM_RSRC2:TGID_Y_EN: 0
; COMPUTE_PGM_RSRC2:TGID_Z_EN: 0
; COMPUTE_PGM_RSRC2:TIDIG_COMP_CNT: 0
	.section	.text._ZN7rocprim17ROCPRIM_400000_NS6detail17trampoline_kernelINS0_14default_configENS1_25partition_config_selectorILNS1_17partition_subalgoE9EllbEEZZNS1_14partition_implILS5_9ELb0ES3_jPlS8_PNS0_10empty_typeENS0_5tupleIJS8_S9_EEENSB_IJS8_SA_EEENS0_18inequality_wrapperIZN2at6native12_GLOBAL__N_124unique_dim_cuda_templateIbEESt5tupleIJNSF_6TensorESK_SK_EERKSK_lbbbEUlllE0_EEPmJS9_EEE10hipError_tPvRmT3_T4_T5_T6_T7_T9_mT8_P12ihipStream_tbDpT10_ENKUlT_T0_E_clISt17integral_constantIbLb0EES19_IbLb1EEEEDaS15_S16_EUlS15_E_NS1_11comp_targetILNS1_3genE4ELNS1_11target_archE910ELNS1_3gpuE8ELNS1_3repE0EEENS1_30default_config_static_selectorELNS0_4arch9wavefront6targetE0EEEvT1_,"axG",@progbits,_ZN7rocprim17ROCPRIM_400000_NS6detail17trampoline_kernelINS0_14default_configENS1_25partition_config_selectorILNS1_17partition_subalgoE9EllbEEZZNS1_14partition_implILS5_9ELb0ES3_jPlS8_PNS0_10empty_typeENS0_5tupleIJS8_S9_EEENSB_IJS8_SA_EEENS0_18inequality_wrapperIZN2at6native12_GLOBAL__N_124unique_dim_cuda_templateIbEESt5tupleIJNSF_6TensorESK_SK_EERKSK_lbbbEUlllE0_EEPmJS9_EEE10hipError_tPvRmT3_T4_T5_T6_T7_T9_mT8_P12ihipStream_tbDpT10_ENKUlT_T0_E_clISt17integral_constantIbLb0EES19_IbLb1EEEEDaS15_S16_EUlS15_E_NS1_11comp_targetILNS1_3genE4ELNS1_11target_archE910ELNS1_3gpuE8ELNS1_3repE0EEENS1_30default_config_static_selectorELNS0_4arch9wavefront6targetE0EEEvT1_,comdat
	.globl	_ZN7rocprim17ROCPRIM_400000_NS6detail17trampoline_kernelINS0_14default_configENS1_25partition_config_selectorILNS1_17partition_subalgoE9EllbEEZZNS1_14partition_implILS5_9ELb0ES3_jPlS8_PNS0_10empty_typeENS0_5tupleIJS8_S9_EEENSB_IJS8_SA_EEENS0_18inequality_wrapperIZN2at6native12_GLOBAL__N_124unique_dim_cuda_templateIbEESt5tupleIJNSF_6TensorESK_SK_EERKSK_lbbbEUlllE0_EEPmJS9_EEE10hipError_tPvRmT3_T4_T5_T6_T7_T9_mT8_P12ihipStream_tbDpT10_ENKUlT_T0_E_clISt17integral_constantIbLb0EES19_IbLb1EEEEDaS15_S16_EUlS15_E_NS1_11comp_targetILNS1_3genE4ELNS1_11target_archE910ELNS1_3gpuE8ELNS1_3repE0EEENS1_30default_config_static_selectorELNS0_4arch9wavefront6targetE0EEEvT1_ ; -- Begin function _ZN7rocprim17ROCPRIM_400000_NS6detail17trampoline_kernelINS0_14default_configENS1_25partition_config_selectorILNS1_17partition_subalgoE9EllbEEZZNS1_14partition_implILS5_9ELb0ES3_jPlS8_PNS0_10empty_typeENS0_5tupleIJS8_S9_EEENSB_IJS8_SA_EEENS0_18inequality_wrapperIZN2at6native12_GLOBAL__N_124unique_dim_cuda_templateIbEESt5tupleIJNSF_6TensorESK_SK_EERKSK_lbbbEUlllE0_EEPmJS9_EEE10hipError_tPvRmT3_T4_T5_T6_T7_T9_mT8_P12ihipStream_tbDpT10_ENKUlT_T0_E_clISt17integral_constantIbLb0EES19_IbLb1EEEEDaS15_S16_EUlS15_E_NS1_11comp_targetILNS1_3genE4ELNS1_11target_archE910ELNS1_3gpuE8ELNS1_3repE0EEENS1_30default_config_static_selectorELNS0_4arch9wavefront6targetE0EEEvT1_
	.p2align	8
	.type	_ZN7rocprim17ROCPRIM_400000_NS6detail17trampoline_kernelINS0_14default_configENS1_25partition_config_selectorILNS1_17partition_subalgoE9EllbEEZZNS1_14partition_implILS5_9ELb0ES3_jPlS8_PNS0_10empty_typeENS0_5tupleIJS8_S9_EEENSB_IJS8_SA_EEENS0_18inequality_wrapperIZN2at6native12_GLOBAL__N_124unique_dim_cuda_templateIbEESt5tupleIJNSF_6TensorESK_SK_EERKSK_lbbbEUlllE0_EEPmJS9_EEE10hipError_tPvRmT3_T4_T5_T6_T7_T9_mT8_P12ihipStream_tbDpT10_ENKUlT_T0_E_clISt17integral_constantIbLb0EES19_IbLb1EEEEDaS15_S16_EUlS15_E_NS1_11comp_targetILNS1_3genE4ELNS1_11target_archE910ELNS1_3gpuE8ELNS1_3repE0EEENS1_30default_config_static_selectorELNS0_4arch9wavefront6targetE0EEEvT1_,@function
_ZN7rocprim17ROCPRIM_400000_NS6detail17trampoline_kernelINS0_14default_configENS1_25partition_config_selectorILNS1_17partition_subalgoE9EllbEEZZNS1_14partition_implILS5_9ELb0ES3_jPlS8_PNS0_10empty_typeENS0_5tupleIJS8_S9_EEENSB_IJS8_SA_EEENS0_18inequality_wrapperIZN2at6native12_GLOBAL__N_124unique_dim_cuda_templateIbEESt5tupleIJNSF_6TensorESK_SK_EERKSK_lbbbEUlllE0_EEPmJS9_EEE10hipError_tPvRmT3_T4_T5_T6_T7_T9_mT8_P12ihipStream_tbDpT10_ENKUlT_T0_E_clISt17integral_constantIbLb0EES19_IbLb1EEEEDaS15_S16_EUlS15_E_NS1_11comp_targetILNS1_3genE4ELNS1_11target_archE910ELNS1_3gpuE8ELNS1_3repE0EEENS1_30default_config_static_selectorELNS0_4arch9wavefront6targetE0EEEvT1_: ; @_ZN7rocprim17ROCPRIM_400000_NS6detail17trampoline_kernelINS0_14default_configENS1_25partition_config_selectorILNS1_17partition_subalgoE9EllbEEZZNS1_14partition_implILS5_9ELb0ES3_jPlS8_PNS0_10empty_typeENS0_5tupleIJS8_S9_EEENSB_IJS8_SA_EEENS0_18inequality_wrapperIZN2at6native12_GLOBAL__N_124unique_dim_cuda_templateIbEESt5tupleIJNSF_6TensorESK_SK_EERKSK_lbbbEUlllE0_EEPmJS9_EEE10hipError_tPvRmT3_T4_T5_T6_T7_T9_mT8_P12ihipStream_tbDpT10_ENKUlT_T0_E_clISt17integral_constantIbLb0EES19_IbLb1EEEEDaS15_S16_EUlS15_E_NS1_11comp_targetILNS1_3genE4ELNS1_11target_archE910ELNS1_3gpuE8ELNS1_3repE0EEENS1_30default_config_static_selectorELNS0_4arch9wavefront6targetE0EEEvT1_
; %bb.0:
	.section	.rodata,"a",@progbits
	.p2align	6, 0x0
	.amdhsa_kernel _ZN7rocprim17ROCPRIM_400000_NS6detail17trampoline_kernelINS0_14default_configENS1_25partition_config_selectorILNS1_17partition_subalgoE9EllbEEZZNS1_14partition_implILS5_9ELb0ES3_jPlS8_PNS0_10empty_typeENS0_5tupleIJS8_S9_EEENSB_IJS8_SA_EEENS0_18inequality_wrapperIZN2at6native12_GLOBAL__N_124unique_dim_cuda_templateIbEESt5tupleIJNSF_6TensorESK_SK_EERKSK_lbbbEUlllE0_EEPmJS9_EEE10hipError_tPvRmT3_T4_T5_T6_T7_T9_mT8_P12ihipStream_tbDpT10_ENKUlT_T0_E_clISt17integral_constantIbLb0EES19_IbLb1EEEEDaS15_S16_EUlS15_E_NS1_11comp_targetILNS1_3genE4ELNS1_11target_archE910ELNS1_3gpuE8ELNS1_3repE0EEENS1_30default_config_static_selectorELNS0_4arch9wavefront6targetE0EEEvT1_
		.amdhsa_group_segment_fixed_size 0
		.amdhsa_private_segment_fixed_size 0
		.amdhsa_kernarg_size 136
		.amdhsa_user_sgpr_count 15
		.amdhsa_user_sgpr_dispatch_ptr 0
		.amdhsa_user_sgpr_queue_ptr 0
		.amdhsa_user_sgpr_kernarg_segment_ptr 1
		.amdhsa_user_sgpr_dispatch_id 0
		.amdhsa_user_sgpr_private_segment_size 0
		.amdhsa_wavefront_size32 1
		.amdhsa_uses_dynamic_stack 0
		.amdhsa_enable_private_segment 0
		.amdhsa_system_sgpr_workgroup_id_x 1
		.amdhsa_system_sgpr_workgroup_id_y 0
		.amdhsa_system_sgpr_workgroup_id_z 0
		.amdhsa_system_sgpr_workgroup_info 0
		.amdhsa_system_vgpr_workitem_id 0
		.amdhsa_next_free_vgpr 1
		.amdhsa_next_free_sgpr 1
		.amdhsa_reserve_vcc 0
		.amdhsa_float_round_mode_32 0
		.amdhsa_float_round_mode_16_64 0
		.amdhsa_float_denorm_mode_32 3
		.amdhsa_float_denorm_mode_16_64 3
		.amdhsa_dx10_clamp 1
		.amdhsa_ieee_mode 1
		.amdhsa_fp16_overflow 0
		.amdhsa_workgroup_processor_mode 1
		.amdhsa_memory_ordered 1
		.amdhsa_forward_progress 0
		.amdhsa_shared_vgpr_count 0
		.amdhsa_exception_fp_ieee_invalid_op 0
		.amdhsa_exception_fp_denorm_src 0
		.amdhsa_exception_fp_ieee_div_zero 0
		.amdhsa_exception_fp_ieee_overflow 0
		.amdhsa_exception_fp_ieee_underflow 0
		.amdhsa_exception_fp_ieee_inexact 0
		.amdhsa_exception_int_div_zero 0
	.end_amdhsa_kernel
	.section	.text._ZN7rocprim17ROCPRIM_400000_NS6detail17trampoline_kernelINS0_14default_configENS1_25partition_config_selectorILNS1_17partition_subalgoE9EllbEEZZNS1_14partition_implILS5_9ELb0ES3_jPlS8_PNS0_10empty_typeENS0_5tupleIJS8_S9_EEENSB_IJS8_SA_EEENS0_18inequality_wrapperIZN2at6native12_GLOBAL__N_124unique_dim_cuda_templateIbEESt5tupleIJNSF_6TensorESK_SK_EERKSK_lbbbEUlllE0_EEPmJS9_EEE10hipError_tPvRmT3_T4_T5_T6_T7_T9_mT8_P12ihipStream_tbDpT10_ENKUlT_T0_E_clISt17integral_constantIbLb0EES19_IbLb1EEEEDaS15_S16_EUlS15_E_NS1_11comp_targetILNS1_3genE4ELNS1_11target_archE910ELNS1_3gpuE8ELNS1_3repE0EEENS1_30default_config_static_selectorELNS0_4arch9wavefront6targetE0EEEvT1_,"axG",@progbits,_ZN7rocprim17ROCPRIM_400000_NS6detail17trampoline_kernelINS0_14default_configENS1_25partition_config_selectorILNS1_17partition_subalgoE9EllbEEZZNS1_14partition_implILS5_9ELb0ES3_jPlS8_PNS0_10empty_typeENS0_5tupleIJS8_S9_EEENSB_IJS8_SA_EEENS0_18inequality_wrapperIZN2at6native12_GLOBAL__N_124unique_dim_cuda_templateIbEESt5tupleIJNSF_6TensorESK_SK_EERKSK_lbbbEUlllE0_EEPmJS9_EEE10hipError_tPvRmT3_T4_T5_T6_T7_T9_mT8_P12ihipStream_tbDpT10_ENKUlT_T0_E_clISt17integral_constantIbLb0EES19_IbLb1EEEEDaS15_S16_EUlS15_E_NS1_11comp_targetILNS1_3genE4ELNS1_11target_archE910ELNS1_3gpuE8ELNS1_3repE0EEENS1_30default_config_static_selectorELNS0_4arch9wavefront6targetE0EEEvT1_,comdat
.Lfunc_end1109:
	.size	_ZN7rocprim17ROCPRIM_400000_NS6detail17trampoline_kernelINS0_14default_configENS1_25partition_config_selectorILNS1_17partition_subalgoE9EllbEEZZNS1_14partition_implILS5_9ELb0ES3_jPlS8_PNS0_10empty_typeENS0_5tupleIJS8_S9_EEENSB_IJS8_SA_EEENS0_18inequality_wrapperIZN2at6native12_GLOBAL__N_124unique_dim_cuda_templateIbEESt5tupleIJNSF_6TensorESK_SK_EERKSK_lbbbEUlllE0_EEPmJS9_EEE10hipError_tPvRmT3_T4_T5_T6_T7_T9_mT8_P12ihipStream_tbDpT10_ENKUlT_T0_E_clISt17integral_constantIbLb0EES19_IbLb1EEEEDaS15_S16_EUlS15_E_NS1_11comp_targetILNS1_3genE4ELNS1_11target_archE910ELNS1_3gpuE8ELNS1_3repE0EEENS1_30default_config_static_selectorELNS0_4arch9wavefront6targetE0EEEvT1_, .Lfunc_end1109-_ZN7rocprim17ROCPRIM_400000_NS6detail17trampoline_kernelINS0_14default_configENS1_25partition_config_selectorILNS1_17partition_subalgoE9EllbEEZZNS1_14partition_implILS5_9ELb0ES3_jPlS8_PNS0_10empty_typeENS0_5tupleIJS8_S9_EEENSB_IJS8_SA_EEENS0_18inequality_wrapperIZN2at6native12_GLOBAL__N_124unique_dim_cuda_templateIbEESt5tupleIJNSF_6TensorESK_SK_EERKSK_lbbbEUlllE0_EEPmJS9_EEE10hipError_tPvRmT3_T4_T5_T6_T7_T9_mT8_P12ihipStream_tbDpT10_ENKUlT_T0_E_clISt17integral_constantIbLb0EES19_IbLb1EEEEDaS15_S16_EUlS15_E_NS1_11comp_targetILNS1_3genE4ELNS1_11target_archE910ELNS1_3gpuE8ELNS1_3repE0EEENS1_30default_config_static_selectorELNS0_4arch9wavefront6targetE0EEEvT1_
                                        ; -- End function
	.section	.AMDGPU.csdata,"",@progbits
; Kernel info:
; codeLenInByte = 0
; NumSgprs: 0
; NumVgprs: 0
; ScratchSize: 0
; MemoryBound: 0
; FloatMode: 240
; IeeeMode: 1
; LDSByteSize: 0 bytes/workgroup (compile time only)
; SGPRBlocks: 0
; VGPRBlocks: 0
; NumSGPRsForWavesPerEU: 1
; NumVGPRsForWavesPerEU: 1
; Occupancy: 16
; WaveLimiterHint : 0
; COMPUTE_PGM_RSRC2:SCRATCH_EN: 0
; COMPUTE_PGM_RSRC2:USER_SGPR: 15
; COMPUTE_PGM_RSRC2:TRAP_HANDLER: 0
; COMPUTE_PGM_RSRC2:TGID_X_EN: 1
; COMPUTE_PGM_RSRC2:TGID_Y_EN: 0
; COMPUTE_PGM_RSRC2:TGID_Z_EN: 0
; COMPUTE_PGM_RSRC2:TIDIG_COMP_CNT: 0
	.section	.text._ZN7rocprim17ROCPRIM_400000_NS6detail17trampoline_kernelINS0_14default_configENS1_25partition_config_selectorILNS1_17partition_subalgoE9EllbEEZZNS1_14partition_implILS5_9ELb0ES3_jPlS8_PNS0_10empty_typeENS0_5tupleIJS8_S9_EEENSB_IJS8_SA_EEENS0_18inequality_wrapperIZN2at6native12_GLOBAL__N_124unique_dim_cuda_templateIbEESt5tupleIJNSF_6TensorESK_SK_EERKSK_lbbbEUlllE0_EEPmJS9_EEE10hipError_tPvRmT3_T4_T5_T6_T7_T9_mT8_P12ihipStream_tbDpT10_ENKUlT_T0_E_clISt17integral_constantIbLb0EES19_IbLb1EEEEDaS15_S16_EUlS15_E_NS1_11comp_targetILNS1_3genE3ELNS1_11target_archE908ELNS1_3gpuE7ELNS1_3repE0EEENS1_30default_config_static_selectorELNS0_4arch9wavefront6targetE0EEEvT1_,"axG",@progbits,_ZN7rocprim17ROCPRIM_400000_NS6detail17trampoline_kernelINS0_14default_configENS1_25partition_config_selectorILNS1_17partition_subalgoE9EllbEEZZNS1_14partition_implILS5_9ELb0ES3_jPlS8_PNS0_10empty_typeENS0_5tupleIJS8_S9_EEENSB_IJS8_SA_EEENS0_18inequality_wrapperIZN2at6native12_GLOBAL__N_124unique_dim_cuda_templateIbEESt5tupleIJNSF_6TensorESK_SK_EERKSK_lbbbEUlllE0_EEPmJS9_EEE10hipError_tPvRmT3_T4_T5_T6_T7_T9_mT8_P12ihipStream_tbDpT10_ENKUlT_T0_E_clISt17integral_constantIbLb0EES19_IbLb1EEEEDaS15_S16_EUlS15_E_NS1_11comp_targetILNS1_3genE3ELNS1_11target_archE908ELNS1_3gpuE7ELNS1_3repE0EEENS1_30default_config_static_selectorELNS0_4arch9wavefront6targetE0EEEvT1_,comdat
	.globl	_ZN7rocprim17ROCPRIM_400000_NS6detail17trampoline_kernelINS0_14default_configENS1_25partition_config_selectorILNS1_17partition_subalgoE9EllbEEZZNS1_14partition_implILS5_9ELb0ES3_jPlS8_PNS0_10empty_typeENS0_5tupleIJS8_S9_EEENSB_IJS8_SA_EEENS0_18inequality_wrapperIZN2at6native12_GLOBAL__N_124unique_dim_cuda_templateIbEESt5tupleIJNSF_6TensorESK_SK_EERKSK_lbbbEUlllE0_EEPmJS9_EEE10hipError_tPvRmT3_T4_T5_T6_T7_T9_mT8_P12ihipStream_tbDpT10_ENKUlT_T0_E_clISt17integral_constantIbLb0EES19_IbLb1EEEEDaS15_S16_EUlS15_E_NS1_11comp_targetILNS1_3genE3ELNS1_11target_archE908ELNS1_3gpuE7ELNS1_3repE0EEENS1_30default_config_static_selectorELNS0_4arch9wavefront6targetE0EEEvT1_ ; -- Begin function _ZN7rocprim17ROCPRIM_400000_NS6detail17trampoline_kernelINS0_14default_configENS1_25partition_config_selectorILNS1_17partition_subalgoE9EllbEEZZNS1_14partition_implILS5_9ELb0ES3_jPlS8_PNS0_10empty_typeENS0_5tupleIJS8_S9_EEENSB_IJS8_SA_EEENS0_18inequality_wrapperIZN2at6native12_GLOBAL__N_124unique_dim_cuda_templateIbEESt5tupleIJNSF_6TensorESK_SK_EERKSK_lbbbEUlllE0_EEPmJS9_EEE10hipError_tPvRmT3_T4_T5_T6_T7_T9_mT8_P12ihipStream_tbDpT10_ENKUlT_T0_E_clISt17integral_constantIbLb0EES19_IbLb1EEEEDaS15_S16_EUlS15_E_NS1_11comp_targetILNS1_3genE3ELNS1_11target_archE908ELNS1_3gpuE7ELNS1_3repE0EEENS1_30default_config_static_selectorELNS0_4arch9wavefront6targetE0EEEvT1_
	.p2align	8
	.type	_ZN7rocprim17ROCPRIM_400000_NS6detail17trampoline_kernelINS0_14default_configENS1_25partition_config_selectorILNS1_17partition_subalgoE9EllbEEZZNS1_14partition_implILS5_9ELb0ES3_jPlS8_PNS0_10empty_typeENS0_5tupleIJS8_S9_EEENSB_IJS8_SA_EEENS0_18inequality_wrapperIZN2at6native12_GLOBAL__N_124unique_dim_cuda_templateIbEESt5tupleIJNSF_6TensorESK_SK_EERKSK_lbbbEUlllE0_EEPmJS9_EEE10hipError_tPvRmT3_T4_T5_T6_T7_T9_mT8_P12ihipStream_tbDpT10_ENKUlT_T0_E_clISt17integral_constantIbLb0EES19_IbLb1EEEEDaS15_S16_EUlS15_E_NS1_11comp_targetILNS1_3genE3ELNS1_11target_archE908ELNS1_3gpuE7ELNS1_3repE0EEENS1_30default_config_static_selectorELNS0_4arch9wavefront6targetE0EEEvT1_,@function
_ZN7rocprim17ROCPRIM_400000_NS6detail17trampoline_kernelINS0_14default_configENS1_25partition_config_selectorILNS1_17partition_subalgoE9EllbEEZZNS1_14partition_implILS5_9ELb0ES3_jPlS8_PNS0_10empty_typeENS0_5tupleIJS8_S9_EEENSB_IJS8_SA_EEENS0_18inequality_wrapperIZN2at6native12_GLOBAL__N_124unique_dim_cuda_templateIbEESt5tupleIJNSF_6TensorESK_SK_EERKSK_lbbbEUlllE0_EEPmJS9_EEE10hipError_tPvRmT3_T4_T5_T6_T7_T9_mT8_P12ihipStream_tbDpT10_ENKUlT_T0_E_clISt17integral_constantIbLb0EES19_IbLb1EEEEDaS15_S16_EUlS15_E_NS1_11comp_targetILNS1_3genE3ELNS1_11target_archE908ELNS1_3gpuE7ELNS1_3repE0EEENS1_30default_config_static_selectorELNS0_4arch9wavefront6targetE0EEEvT1_: ; @_ZN7rocprim17ROCPRIM_400000_NS6detail17trampoline_kernelINS0_14default_configENS1_25partition_config_selectorILNS1_17partition_subalgoE9EllbEEZZNS1_14partition_implILS5_9ELb0ES3_jPlS8_PNS0_10empty_typeENS0_5tupleIJS8_S9_EEENSB_IJS8_SA_EEENS0_18inequality_wrapperIZN2at6native12_GLOBAL__N_124unique_dim_cuda_templateIbEESt5tupleIJNSF_6TensorESK_SK_EERKSK_lbbbEUlllE0_EEPmJS9_EEE10hipError_tPvRmT3_T4_T5_T6_T7_T9_mT8_P12ihipStream_tbDpT10_ENKUlT_T0_E_clISt17integral_constantIbLb0EES19_IbLb1EEEEDaS15_S16_EUlS15_E_NS1_11comp_targetILNS1_3genE3ELNS1_11target_archE908ELNS1_3gpuE7ELNS1_3repE0EEENS1_30default_config_static_selectorELNS0_4arch9wavefront6targetE0EEEvT1_
; %bb.0:
	.section	.rodata,"a",@progbits
	.p2align	6, 0x0
	.amdhsa_kernel _ZN7rocprim17ROCPRIM_400000_NS6detail17trampoline_kernelINS0_14default_configENS1_25partition_config_selectorILNS1_17partition_subalgoE9EllbEEZZNS1_14partition_implILS5_9ELb0ES3_jPlS8_PNS0_10empty_typeENS0_5tupleIJS8_S9_EEENSB_IJS8_SA_EEENS0_18inequality_wrapperIZN2at6native12_GLOBAL__N_124unique_dim_cuda_templateIbEESt5tupleIJNSF_6TensorESK_SK_EERKSK_lbbbEUlllE0_EEPmJS9_EEE10hipError_tPvRmT3_T4_T5_T6_T7_T9_mT8_P12ihipStream_tbDpT10_ENKUlT_T0_E_clISt17integral_constantIbLb0EES19_IbLb1EEEEDaS15_S16_EUlS15_E_NS1_11comp_targetILNS1_3genE3ELNS1_11target_archE908ELNS1_3gpuE7ELNS1_3repE0EEENS1_30default_config_static_selectorELNS0_4arch9wavefront6targetE0EEEvT1_
		.amdhsa_group_segment_fixed_size 0
		.amdhsa_private_segment_fixed_size 0
		.amdhsa_kernarg_size 136
		.amdhsa_user_sgpr_count 15
		.amdhsa_user_sgpr_dispatch_ptr 0
		.amdhsa_user_sgpr_queue_ptr 0
		.amdhsa_user_sgpr_kernarg_segment_ptr 1
		.amdhsa_user_sgpr_dispatch_id 0
		.amdhsa_user_sgpr_private_segment_size 0
		.amdhsa_wavefront_size32 1
		.amdhsa_uses_dynamic_stack 0
		.amdhsa_enable_private_segment 0
		.amdhsa_system_sgpr_workgroup_id_x 1
		.amdhsa_system_sgpr_workgroup_id_y 0
		.amdhsa_system_sgpr_workgroup_id_z 0
		.amdhsa_system_sgpr_workgroup_info 0
		.amdhsa_system_vgpr_workitem_id 0
		.amdhsa_next_free_vgpr 1
		.amdhsa_next_free_sgpr 1
		.amdhsa_reserve_vcc 0
		.amdhsa_float_round_mode_32 0
		.amdhsa_float_round_mode_16_64 0
		.amdhsa_float_denorm_mode_32 3
		.amdhsa_float_denorm_mode_16_64 3
		.amdhsa_dx10_clamp 1
		.amdhsa_ieee_mode 1
		.amdhsa_fp16_overflow 0
		.amdhsa_workgroup_processor_mode 1
		.amdhsa_memory_ordered 1
		.amdhsa_forward_progress 0
		.amdhsa_shared_vgpr_count 0
		.amdhsa_exception_fp_ieee_invalid_op 0
		.amdhsa_exception_fp_denorm_src 0
		.amdhsa_exception_fp_ieee_div_zero 0
		.amdhsa_exception_fp_ieee_overflow 0
		.amdhsa_exception_fp_ieee_underflow 0
		.amdhsa_exception_fp_ieee_inexact 0
		.amdhsa_exception_int_div_zero 0
	.end_amdhsa_kernel
	.section	.text._ZN7rocprim17ROCPRIM_400000_NS6detail17trampoline_kernelINS0_14default_configENS1_25partition_config_selectorILNS1_17partition_subalgoE9EllbEEZZNS1_14partition_implILS5_9ELb0ES3_jPlS8_PNS0_10empty_typeENS0_5tupleIJS8_S9_EEENSB_IJS8_SA_EEENS0_18inequality_wrapperIZN2at6native12_GLOBAL__N_124unique_dim_cuda_templateIbEESt5tupleIJNSF_6TensorESK_SK_EERKSK_lbbbEUlllE0_EEPmJS9_EEE10hipError_tPvRmT3_T4_T5_T6_T7_T9_mT8_P12ihipStream_tbDpT10_ENKUlT_T0_E_clISt17integral_constantIbLb0EES19_IbLb1EEEEDaS15_S16_EUlS15_E_NS1_11comp_targetILNS1_3genE3ELNS1_11target_archE908ELNS1_3gpuE7ELNS1_3repE0EEENS1_30default_config_static_selectorELNS0_4arch9wavefront6targetE0EEEvT1_,"axG",@progbits,_ZN7rocprim17ROCPRIM_400000_NS6detail17trampoline_kernelINS0_14default_configENS1_25partition_config_selectorILNS1_17partition_subalgoE9EllbEEZZNS1_14partition_implILS5_9ELb0ES3_jPlS8_PNS0_10empty_typeENS0_5tupleIJS8_S9_EEENSB_IJS8_SA_EEENS0_18inequality_wrapperIZN2at6native12_GLOBAL__N_124unique_dim_cuda_templateIbEESt5tupleIJNSF_6TensorESK_SK_EERKSK_lbbbEUlllE0_EEPmJS9_EEE10hipError_tPvRmT3_T4_T5_T6_T7_T9_mT8_P12ihipStream_tbDpT10_ENKUlT_T0_E_clISt17integral_constantIbLb0EES19_IbLb1EEEEDaS15_S16_EUlS15_E_NS1_11comp_targetILNS1_3genE3ELNS1_11target_archE908ELNS1_3gpuE7ELNS1_3repE0EEENS1_30default_config_static_selectorELNS0_4arch9wavefront6targetE0EEEvT1_,comdat
.Lfunc_end1110:
	.size	_ZN7rocprim17ROCPRIM_400000_NS6detail17trampoline_kernelINS0_14default_configENS1_25partition_config_selectorILNS1_17partition_subalgoE9EllbEEZZNS1_14partition_implILS5_9ELb0ES3_jPlS8_PNS0_10empty_typeENS0_5tupleIJS8_S9_EEENSB_IJS8_SA_EEENS0_18inequality_wrapperIZN2at6native12_GLOBAL__N_124unique_dim_cuda_templateIbEESt5tupleIJNSF_6TensorESK_SK_EERKSK_lbbbEUlllE0_EEPmJS9_EEE10hipError_tPvRmT3_T4_T5_T6_T7_T9_mT8_P12ihipStream_tbDpT10_ENKUlT_T0_E_clISt17integral_constantIbLb0EES19_IbLb1EEEEDaS15_S16_EUlS15_E_NS1_11comp_targetILNS1_3genE3ELNS1_11target_archE908ELNS1_3gpuE7ELNS1_3repE0EEENS1_30default_config_static_selectorELNS0_4arch9wavefront6targetE0EEEvT1_, .Lfunc_end1110-_ZN7rocprim17ROCPRIM_400000_NS6detail17trampoline_kernelINS0_14default_configENS1_25partition_config_selectorILNS1_17partition_subalgoE9EllbEEZZNS1_14partition_implILS5_9ELb0ES3_jPlS8_PNS0_10empty_typeENS0_5tupleIJS8_S9_EEENSB_IJS8_SA_EEENS0_18inequality_wrapperIZN2at6native12_GLOBAL__N_124unique_dim_cuda_templateIbEESt5tupleIJNSF_6TensorESK_SK_EERKSK_lbbbEUlllE0_EEPmJS9_EEE10hipError_tPvRmT3_T4_T5_T6_T7_T9_mT8_P12ihipStream_tbDpT10_ENKUlT_T0_E_clISt17integral_constantIbLb0EES19_IbLb1EEEEDaS15_S16_EUlS15_E_NS1_11comp_targetILNS1_3genE3ELNS1_11target_archE908ELNS1_3gpuE7ELNS1_3repE0EEENS1_30default_config_static_selectorELNS0_4arch9wavefront6targetE0EEEvT1_
                                        ; -- End function
	.section	.AMDGPU.csdata,"",@progbits
; Kernel info:
; codeLenInByte = 0
; NumSgprs: 0
; NumVgprs: 0
; ScratchSize: 0
; MemoryBound: 0
; FloatMode: 240
; IeeeMode: 1
; LDSByteSize: 0 bytes/workgroup (compile time only)
; SGPRBlocks: 0
; VGPRBlocks: 0
; NumSGPRsForWavesPerEU: 1
; NumVGPRsForWavesPerEU: 1
; Occupancy: 16
; WaveLimiterHint : 0
; COMPUTE_PGM_RSRC2:SCRATCH_EN: 0
; COMPUTE_PGM_RSRC2:USER_SGPR: 15
; COMPUTE_PGM_RSRC2:TRAP_HANDLER: 0
; COMPUTE_PGM_RSRC2:TGID_X_EN: 1
; COMPUTE_PGM_RSRC2:TGID_Y_EN: 0
; COMPUTE_PGM_RSRC2:TGID_Z_EN: 0
; COMPUTE_PGM_RSRC2:TIDIG_COMP_CNT: 0
	.section	.text._ZN7rocprim17ROCPRIM_400000_NS6detail17trampoline_kernelINS0_14default_configENS1_25partition_config_selectorILNS1_17partition_subalgoE9EllbEEZZNS1_14partition_implILS5_9ELb0ES3_jPlS8_PNS0_10empty_typeENS0_5tupleIJS8_S9_EEENSB_IJS8_SA_EEENS0_18inequality_wrapperIZN2at6native12_GLOBAL__N_124unique_dim_cuda_templateIbEESt5tupleIJNSF_6TensorESK_SK_EERKSK_lbbbEUlllE0_EEPmJS9_EEE10hipError_tPvRmT3_T4_T5_T6_T7_T9_mT8_P12ihipStream_tbDpT10_ENKUlT_T0_E_clISt17integral_constantIbLb0EES19_IbLb1EEEEDaS15_S16_EUlS15_E_NS1_11comp_targetILNS1_3genE2ELNS1_11target_archE906ELNS1_3gpuE6ELNS1_3repE0EEENS1_30default_config_static_selectorELNS0_4arch9wavefront6targetE0EEEvT1_,"axG",@progbits,_ZN7rocprim17ROCPRIM_400000_NS6detail17trampoline_kernelINS0_14default_configENS1_25partition_config_selectorILNS1_17partition_subalgoE9EllbEEZZNS1_14partition_implILS5_9ELb0ES3_jPlS8_PNS0_10empty_typeENS0_5tupleIJS8_S9_EEENSB_IJS8_SA_EEENS0_18inequality_wrapperIZN2at6native12_GLOBAL__N_124unique_dim_cuda_templateIbEESt5tupleIJNSF_6TensorESK_SK_EERKSK_lbbbEUlllE0_EEPmJS9_EEE10hipError_tPvRmT3_T4_T5_T6_T7_T9_mT8_P12ihipStream_tbDpT10_ENKUlT_T0_E_clISt17integral_constantIbLb0EES19_IbLb1EEEEDaS15_S16_EUlS15_E_NS1_11comp_targetILNS1_3genE2ELNS1_11target_archE906ELNS1_3gpuE6ELNS1_3repE0EEENS1_30default_config_static_selectorELNS0_4arch9wavefront6targetE0EEEvT1_,comdat
	.globl	_ZN7rocprim17ROCPRIM_400000_NS6detail17trampoline_kernelINS0_14default_configENS1_25partition_config_selectorILNS1_17partition_subalgoE9EllbEEZZNS1_14partition_implILS5_9ELb0ES3_jPlS8_PNS0_10empty_typeENS0_5tupleIJS8_S9_EEENSB_IJS8_SA_EEENS0_18inequality_wrapperIZN2at6native12_GLOBAL__N_124unique_dim_cuda_templateIbEESt5tupleIJNSF_6TensorESK_SK_EERKSK_lbbbEUlllE0_EEPmJS9_EEE10hipError_tPvRmT3_T4_T5_T6_T7_T9_mT8_P12ihipStream_tbDpT10_ENKUlT_T0_E_clISt17integral_constantIbLb0EES19_IbLb1EEEEDaS15_S16_EUlS15_E_NS1_11comp_targetILNS1_3genE2ELNS1_11target_archE906ELNS1_3gpuE6ELNS1_3repE0EEENS1_30default_config_static_selectorELNS0_4arch9wavefront6targetE0EEEvT1_ ; -- Begin function _ZN7rocprim17ROCPRIM_400000_NS6detail17trampoline_kernelINS0_14default_configENS1_25partition_config_selectorILNS1_17partition_subalgoE9EllbEEZZNS1_14partition_implILS5_9ELb0ES3_jPlS8_PNS0_10empty_typeENS0_5tupleIJS8_S9_EEENSB_IJS8_SA_EEENS0_18inequality_wrapperIZN2at6native12_GLOBAL__N_124unique_dim_cuda_templateIbEESt5tupleIJNSF_6TensorESK_SK_EERKSK_lbbbEUlllE0_EEPmJS9_EEE10hipError_tPvRmT3_T4_T5_T6_T7_T9_mT8_P12ihipStream_tbDpT10_ENKUlT_T0_E_clISt17integral_constantIbLb0EES19_IbLb1EEEEDaS15_S16_EUlS15_E_NS1_11comp_targetILNS1_3genE2ELNS1_11target_archE906ELNS1_3gpuE6ELNS1_3repE0EEENS1_30default_config_static_selectorELNS0_4arch9wavefront6targetE0EEEvT1_
	.p2align	8
	.type	_ZN7rocprim17ROCPRIM_400000_NS6detail17trampoline_kernelINS0_14default_configENS1_25partition_config_selectorILNS1_17partition_subalgoE9EllbEEZZNS1_14partition_implILS5_9ELb0ES3_jPlS8_PNS0_10empty_typeENS0_5tupleIJS8_S9_EEENSB_IJS8_SA_EEENS0_18inequality_wrapperIZN2at6native12_GLOBAL__N_124unique_dim_cuda_templateIbEESt5tupleIJNSF_6TensorESK_SK_EERKSK_lbbbEUlllE0_EEPmJS9_EEE10hipError_tPvRmT3_T4_T5_T6_T7_T9_mT8_P12ihipStream_tbDpT10_ENKUlT_T0_E_clISt17integral_constantIbLb0EES19_IbLb1EEEEDaS15_S16_EUlS15_E_NS1_11comp_targetILNS1_3genE2ELNS1_11target_archE906ELNS1_3gpuE6ELNS1_3repE0EEENS1_30default_config_static_selectorELNS0_4arch9wavefront6targetE0EEEvT1_,@function
_ZN7rocprim17ROCPRIM_400000_NS6detail17trampoline_kernelINS0_14default_configENS1_25partition_config_selectorILNS1_17partition_subalgoE9EllbEEZZNS1_14partition_implILS5_9ELb0ES3_jPlS8_PNS0_10empty_typeENS0_5tupleIJS8_S9_EEENSB_IJS8_SA_EEENS0_18inequality_wrapperIZN2at6native12_GLOBAL__N_124unique_dim_cuda_templateIbEESt5tupleIJNSF_6TensorESK_SK_EERKSK_lbbbEUlllE0_EEPmJS9_EEE10hipError_tPvRmT3_T4_T5_T6_T7_T9_mT8_P12ihipStream_tbDpT10_ENKUlT_T0_E_clISt17integral_constantIbLb0EES19_IbLb1EEEEDaS15_S16_EUlS15_E_NS1_11comp_targetILNS1_3genE2ELNS1_11target_archE906ELNS1_3gpuE6ELNS1_3repE0EEENS1_30default_config_static_selectorELNS0_4arch9wavefront6targetE0EEEvT1_: ; @_ZN7rocprim17ROCPRIM_400000_NS6detail17trampoline_kernelINS0_14default_configENS1_25partition_config_selectorILNS1_17partition_subalgoE9EllbEEZZNS1_14partition_implILS5_9ELb0ES3_jPlS8_PNS0_10empty_typeENS0_5tupleIJS8_S9_EEENSB_IJS8_SA_EEENS0_18inequality_wrapperIZN2at6native12_GLOBAL__N_124unique_dim_cuda_templateIbEESt5tupleIJNSF_6TensorESK_SK_EERKSK_lbbbEUlllE0_EEPmJS9_EEE10hipError_tPvRmT3_T4_T5_T6_T7_T9_mT8_P12ihipStream_tbDpT10_ENKUlT_T0_E_clISt17integral_constantIbLb0EES19_IbLb1EEEEDaS15_S16_EUlS15_E_NS1_11comp_targetILNS1_3genE2ELNS1_11target_archE906ELNS1_3gpuE6ELNS1_3repE0EEENS1_30default_config_static_selectorELNS0_4arch9wavefront6targetE0EEEvT1_
; %bb.0:
	.section	.rodata,"a",@progbits
	.p2align	6, 0x0
	.amdhsa_kernel _ZN7rocprim17ROCPRIM_400000_NS6detail17trampoline_kernelINS0_14default_configENS1_25partition_config_selectorILNS1_17partition_subalgoE9EllbEEZZNS1_14partition_implILS5_9ELb0ES3_jPlS8_PNS0_10empty_typeENS0_5tupleIJS8_S9_EEENSB_IJS8_SA_EEENS0_18inequality_wrapperIZN2at6native12_GLOBAL__N_124unique_dim_cuda_templateIbEESt5tupleIJNSF_6TensorESK_SK_EERKSK_lbbbEUlllE0_EEPmJS9_EEE10hipError_tPvRmT3_T4_T5_T6_T7_T9_mT8_P12ihipStream_tbDpT10_ENKUlT_T0_E_clISt17integral_constantIbLb0EES19_IbLb1EEEEDaS15_S16_EUlS15_E_NS1_11comp_targetILNS1_3genE2ELNS1_11target_archE906ELNS1_3gpuE6ELNS1_3repE0EEENS1_30default_config_static_selectorELNS0_4arch9wavefront6targetE0EEEvT1_
		.amdhsa_group_segment_fixed_size 0
		.amdhsa_private_segment_fixed_size 0
		.amdhsa_kernarg_size 136
		.amdhsa_user_sgpr_count 15
		.amdhsa_user_sgpr_dispatch_ptr 0
		.amdhsa_user_sgpr_queue_ptr 0
		.amdhsa_user_sgpr_kernarg_segment_ptr 1
		.amdhsa_user_sgpr_dispatch_id 0
		.amdhsa_user_sgpr_private_segment_size 0
		.amdhsa_wavefront_size32 1
		.amdhsa_uses_dynamic_stack 0
		.amdhsa_enable_private_segment 0
		.amdhsa_system_sgpr_workgroup_id_x 1
		.amdhsa_system_sgpr_workgroup_id_y 0
		.amdhsa_system_sgpr_workgroup_id_z 0
		.amdhsa_system_sgpr_workgroup_info 0
		.amdhsa_system_vgpr_workitem_id 0
		.amdhsa_next_free_vgpr 1
		.amdhsa_next_free_sgpr 1
		.amdhsa_reserve_vcc 0
		.amdhsa_float_round_mode_32 0
		.amdhsa_float_round_mode_16_64 0
		.amdhsa_float_denorm_mode_32 3
		.amdhsa_float_denorm_mode_16_64 3
		.amdhsa_dx10_clamp 1
		.amdhsa_ieee_mode 1
		.amdhsa_fp16_overflow 0
		.amdhsa_workgroup_processor_mode 1
		.amdhsa_memory_ordered 1
		.amdhsa_forward_progress 0
		.amdhsa_shared_vgpr_count 0
		.amdhsa_exception_fp_ieee_invalid_op 0
		.amdhsa_exception_fp_denorm_src 0
		.amdhsa_exception_fp_ieee_div_zero 0
		.amdhsa_exception_fp_ieee_overflow 0
		.amdhsa_exception_fp_ieee_underflow 0
		.amdhsa_exception_fp_ieee_inexact 0
		.amdhsa_exception_int_div_zero 0
	.end_amdhsa_kernel
	.section	.text._ZN7rocprim17ROCPRIM_400000_NS6detail17trampoline_kernelINS0_14default_configENS1_25partition_config_selectorILNS1_17partition_subalgoE9EllbEEZZNS1_14partition_implILS5_9ELb0ES3_jPlS8_PNS0_10empty_typeENS0_5tupleIJS8_S9_EEENSB_IJS8_SA_EEENS0_18inequality_wrapperIZN2at6native12_GLOBAL__N_124unique_dim_cuda_templateIbEESt5tupleIJNSF_6TensorESK_SK_EERKSK_lbbbEUlllE0_EEPmJS9_EEE10hipError_tPvRmT3_T4_T5_T6_T7_T9_mT8_P12ihipStream_tbDpT10_ENKUlT_T0_E_clISt17integral_constantIbLb0EES19_IbLb1EEEEDaS15_S16_EUlS15_E_NS1_11comp_targetILNS1_3genE2ELNS1_11target_archE906ELNS1_3gpuE6ELNS1_3repE0EEENS1_30default_config_static_selectorELNS0_4arch9wavefront6targetE0EEEvT1_,"axG",@progbits,_ZN7rocprim17ROCPRIM_400000_NS6detail17trampoline_kernelINS0_14default_configENS1_25partition_config_selectorILNS1_17partition_subalgoE9EllbEEZZNS1_14partition_implILS5_9ELb0ES3_jPlS8_PNS0_10empty_typeENS0_5tupleIJS8_S9_EEENSB_IJS8_SA_EEENS0_18inequality_wrapperIZN2at6native12_GLOBAL__N_124unique_dim_cuda_templateIbEESt5tupleIJNSF_6TensorESK_SK_EERKSK_lbbbEUlllE0_EEPmJS9_EEE10hipError_tPvRmT3_T4_T5_T6_T7_T9_mT8_P12ihipStream_tbDpT10_ENKUlT_T0_E_clISt17integral_constantIbLb0EES19_IbLb1EEEEDaS15_S16_EUlS15_E_NS1_11comp_targetILNS1_3genE2ELNS1_11target_archE906ELNS1_3gpuE6ELNS1_3repE0EEENS1_30default_config_static_selectorELNS0_4arch9wavefront6targetE0EEEvT1_,comdat
.Lfunc_end1111:
	.size	_ZN7rocprim17ROCPRIM_400000_NS6detail17trampoline_kernelINS0_14default_configENS1_25partition_config_selectorILNS1_17partition_subalgoE9EllbEEZZNS1_14partition_implILS5_9ELb0ES3_jPlS8_PNS0_10empty_typeENS0_5tupleIJS8_S9_EEENSB_IJS8_SA_EEENS0_18inequality_wrapperIZN2at6native12_GLOBAL__N_124unique_dim_cuda_templateIbEESt5tupleIJNSF_6TensorESK_SK_EERKSK_lbbbEUlllE0_EEPmJS9_EEE10hipError_tPvRmT3_T4_T5_T6_T7_T9_mT8_P12ihipStream_tbDpT10_ENKUlT_T0_E_clISt17integral_constantIbLb0EES19_IbLb1EEEEDaS15_S16_EUlS15_E_NS1_11comp_targetILNS1_3genE2ELNS1_11target_archE906ELNS1_3gpuE6ELNS1_3repE0EEENS1_30default_config_static_selectorELNS0_4arch9wavefront6targetE0EEEvT1_, .Lfunc_end1111-_ZN7rocprim17ROCPRIM_400000_NS6detail17trampoline_kernelINS0_14default_configENS1_25partition_config_selectorILNS1_17partition_subalgoE9EllbEEZZNS1_14partition_implILS5_9ELb0ES3_jPlS8_PNS0_10empty_typeENS0_5tupleIJS8_S9_EEENSB_IJS8_SA_EEENS0_18inequality_wrapperIZN2at6native12_GLOBAL__N_124unique_dim_cuda_templateIbEESt5tupleIJNSF_6TensorESK_SK_EERKSK_lbbbEUlllE0_EEPmJS9_EEE10hipError_tPvRmT3_T4_T5_T6_T7_T9_mT8_P12ihipStream_tbDpT10_ENKUlT_T0_E_clISt17integral_constantIbLb0EES19_IbLb1EEEEDaS15_S16_EUlS15_E_NS1_11comp_targetILNS1_3genE2ELNS1_11target_archE906ELNS1_3gpuE6ELNS1_3repE0EEENS1_30default_config_static_selectorELNS0_4arch9wavefront6targetE0EEEvT1_
                                        ; -- End function
	.section	.AMDGPU.csdata,"",@progbits
; Kernel info:
; codeLenInByte = 0
; NumSgprs: 0
; NumVgprs: 0
; ScratchSize: 0
; MemoryBound: 0
; FloatMode: 240
; IeeeMode: 1
; LDSByteSize: 0 bytes/workgroup (compile time only)
; SGPRBlocks: 0
; VGPRBlocks: 0
; NumSGPRsForWavesPerEU: 1
; NumVGPRsForWavesPerEU: 1
; Occupancy: 15
; WaveLimiterHint : 0
; COMPUTE_PGM_RSRC2:SCRATCH_EN: 0
; COMPUTE_PGM_RSRC2:USER_SGPR: 15
; COMPUTE_PGM_RSRC2:TRAP_HANDLER: 0
; COMPUTE_PGM_RSRC2:TGID_X_EN: 1
; COMPUTE_PGM_RSRC2:TGID_Y_EN: 0
; COMPUTE_PGM_RSRC2:TGID_Z_EN: 0
; COMPUTE_PGM_RSRC2:TIDIG_COMP_CNT: 0
	.section	.text._ZN7rocprim17ROCPRIM_400000_NS6detail17trampoline_kernelINS0_14default_configENS1_25partition_config_selectorILNS1_17partition_subalgoE9EllbEEZZNS1_14partition_implILS5_9ELb0ES3_jPlS8_PNS0_10empty_typeENS0_5tupleIJS8_S9_EEENSB_IJS8_SA_EEENS0_18inequality_wrapperIZN2at6native12_GLOBAL__N_124unique_dim_cuda_templateIbEESt5tupleIJNSF_6TensorESK_SK_EERKSK_lbbbEUlllE0_EEPmJS9_EEE10hipError_tPvRmT3_T4_T5_T6_T7_T9_mT8_P12ihipStream_tbDpT10_ENKUlT_T0_E_clISt17integral_constantIbLb0EES19_IbLb1EEEEDaS15_S16_EUlS15_E_NS1_11comp_targetILNS1_3genE10ELNS1_11target_archE1200ELNS1_3gpuE4ELNS1_3repE0EEENS1_30default_config_static_selectorELNS0_4arch9wavefront6targetE0EEEvT1_,"axG",@progbits,_ZN7rocprim17ROCPRIM_400000_NS6detail17trampoline_kernelINS0_14default_configENS1_25partition_config_selectorILNS1_17partition_subalgoE9EllbEEZZNS1_14partition_implILS5_9ELb0ES3_jPlS8_PNS0_10empty_typeENS0_5tupleIJS8_S9_EEENSB_IJS8_SA_EEENS0_18inequality_wrapperIZN2at6native12_GLOBAL__N_124unique_dim_cuda_templateIbEESt5tupleIJNSF_6TensorESK_SK_EERKSK_lbbbEUlllE0_EEPmJS9_EEE10hipError_tPvRmT3_T4_T5_T6_T7_T9_mT8_P12ihipStream_tbDpT10_ENKUlT_T0_E_clISt17integral_constantIbLb0EES19_IbLb1EEEEDaS15_S16_EUlS15_E_NS1_11comp_targetILNS1_3genE10ELNS1_11target_archE1200ELNS1_3gpuE4ELNS1_3repE0EEENS1_30default_config_static_selectorELNS0_4arch9wavefront6targetE0EEEvT1_,comdat
	.globl	_ZN7rocprim17ROCPRIM_400000_NS6detail17trampoline_kernelINS0_14default_configENS1_25partition_config_selectorILNS1_17partition_subalgoE9EllbEEZZNS1_14partition_implILS5_9ELb0ES3_jPlS8_PNS0_10empty_typeENS0_5tupleIJS8_S9_EEENSB_IJS8_SA_EEENS0_18inequality_wrapperIZN2at6native12_GLOBAL__N_124unique_dim_cuda_templateIbEESt5tupleIJNSF_6TensorESK_SK_EERKSK_lbbbEUlllE0_EEPmJS9_EEE10hipError_tPvRmT3_T4_T5_T6_T7_T9_mT8_P12ihipStream_tbDpT10_ENKUlT_T0_E_clISt17integral_constantIbLb0EES19_IbLb1EEEEDaS15_S16_EUlS15_E_NS1_11comp_targetILNS1_3genE10ELNS1_11target_archE1200ELNS1_3gpuE4ELNS1_3repE0EEENS1_30default_config_static_selectorELNS0_4arch9wavefront6targetE0EEEvT1_ ; -- Begin function _ZN7rocprim17ROCPRIM_400000_NS6detail17trampoline_kernelINS0_14default_configENS1_25partition_config_selectorILNS1_17partition_subalgoE9EllbEEZZNS1_14partition_implILS5_9ELb0ES3_jPlS8_PNS0_10empty_typeENS0_5tupleIJS8_S9_EEENSB_IJS8_SA_EEENS0_18inequality_wrapperIZN2at6native12_GLOBAL__N_124unique_dim_cuda_templateIbEESt5tupleIJNSF_6TensorESK_SK_EERKSK_lbbbEUlllE0_EEPmJS9_EEE10hipError_tPvRmT3_T4_T5_T6_T7_T9_mT8_P12ihipStream_tbDpT10_ENKUlT_T0_E_clISt17integral_constantIbLb0EES19_IbLb1EEEEDaS15_S16_EUlS15_E_NS1_11comp_targetILNS1_3genE10ELNS1_11target_archE1200ELNS1_3gpuE4ELNS1_3repE0EEENS1_30default_config_static_selectorELNS0_4arch9wavefront6targetE0EEEvT1_
	.p2align	8
	.type	_ZN7rocprim17ROCPRIM_400000_NS6detail17trampoline_kernelINS0_14default_configENS1_25partition_config_selectorILNS1_17partition_subalgoE9EllbEEZZNS1_14partition_implILS5_9ELb0ES3_jPlS8_PNS0_10empty_typeENS0_5tupleIJS8_S9_EEENSB_IJS8_SA_EEENS0_18inequality_wrapperIZN2at6native12_GLOBAL__N_124unique_dim_cuda_templateIbEESt5tupleIJNSF_6TensorESK_SK_EERKSK_lbbbEUlllE0_EEPmJS9_EEE10hipError_tPvRmT3_T4_T5_T6_T7_T9_mT8_P12ihipStream_tbDpT10_ENKUlT_T0_E_clISt17integral_constantIbLb0EES19_IbLb1EEEEDaS15_S16_EUlS15_E_NS1_11comp_targetILNS1_3genE10ELNS1_11target_archE1200ELNS1_3gpuE4ELNS1_3repE0EEENS1_30default_config_static_selectorELNS0_4arch9wavefront6targetE0EEEvT1_,@function
_ZN7rocprim17ROCPRIM_400000_NS6detail17trampoline_kernelINS0_14default_configENS1_25partition_config_selectorILNS1_17partition_subalgoE9EllbEEZZNS1_14partition_implILS5_9ELb0ES3_jPlS8_PNS0_10empty_typeENS0_5tupleIJS8_S9_EEENSB_IJS8_SA_EEENS0_18inequality_wrapperIZN2at6native12_GLOBAL__N_124unique_dim_cuda_templateIbEESt5tupleIJNSF_6TensorESK_SK_EERKSK_lbbbEUlllE0_EEPmJS9_EEE10hipError_tPvRmT3_T4_T5_T6_T7_T9_mT8_P12ihipStream_tbDpT10_ENKUlT_T0_E_clISt17integral_constantIbLb0EES19_IbLb1EEEEDaS15_S16_EUlS15_E_NS1_11comp_targetILNS1_3genE10ELNS1_11target_archE1200ELNS1_3gpuE4ELNS1_3repE0EEENS1_30default_config_static_selectorELNS0_4arch9wavefront6targetE0EEEvT1_: ; @_ZN7rocprim17ROCPRIM_400000_NS6detail17trampoline_kernelINS0_14default_configENS1_25partition_config_selectorILNS1_17partition_subalgoE9EllbEEZZNS1_14partition_implILS5_9ELb0ES3_jPlS8_PNS0_10empty_typeENS0_5tupleIJS8_S9_EEENSB_IJS8_SA_EEENS0_18inequality_wrapperIZN2at6native12_GLOBAL__N_124unique_dim_cuda_templateIbEESt5tupleIJNSF_6TensorESK_SK_EERKSK_lbbbEUlllE0_EEPmJS9_EEE10hipError_tPvRmT3_T4_T5_T6_T7_T9_mT8_P12ihipStream_tbDpT10_ENKUlT_T0_E_clISt17integral_constantIbLb0EES19_IbLb1EEEEDaS15_S16_EUlS15_E_NS1_11comp_targetILNS1_3genE10ELNS1_11target_archE1200ELNS1_3gpuE4ELNS1_3repE0EEENS1_30default_config_static_selectorELNS0_4arch9wavefront6targetE0EEEvT1_
; %bb.0:
	.section	.rodata,"a",@progbits
	.p2align	6, 0x0
	.amdhsa_kernel _ZN7rocprim17ROCPRIM_400000_NS6detail17trampoline_kernelINS0_14default_configENS1_25partition_config_selectorILNS1_17partition_subalgoE9EllbEEZZNS1_14partition_implILS5_9ELb0ES3_jPlS8_PNS0_10empty_typeENS0_5tupleIJS8_S9_EEENSB_IJS8_SA_EEENS0_18inequality_wrapperIZN2at6native12_GLOBAL__N_124unique_dim_cuda_templateIbEESt5tupleIJNSF_6TensorESK_SK_EERKSK_lbbbEUlllE0_EEPmJS9_EEE10hipError_tPvRmT3_T4_T5_T6_T7_T9_mT8_P12ihipStream_tbDpT10_ENKUlT_T0_E_clISt17integral_constantIbLb0EES19_IbLb1EEEEDaS15_S16_EUlS15_E_NS1_11comp_targetILNS1_3genE10ELNS1_11target_archE1200ELNS1_3gpuE4ELNS1_3repE0EEENS1_30default_config_static_selectorELNS0_4arch9wavefront6targetE0EEEvT1_
		.amdhsa_group_segment_fixed_size 0
		.amdhsa_private_segment_fixed_size 0
		.amdhsa_kernarg_size 136
		.amdhsa_user_sgpr_count 15
		.amdhsa_user_sgpr_dispatch_ptr 0
		.amdhsa_user_sgpr_queue_ptr 0
		.amdhsa_user_sgpr_kernarg_segment_ptr 1
		.amdhsa_user_sgpr_dispatch_id 0
		.amdhsa_user_sgpr_private_segment_size 0
		.amdhsa_wavefront_size32 1
		.amdhsa_uses_dynamic_stack 0
		.amdhsa_enable_private_segment 0
		.amdhsa_system_sgpr_workgroup_id_x 1
		.amdhsa_system_sgpr_workgroup_id_y 0
		.amdhsa_system_sgpr_workgroup_id_z 0
		.amdhsa_system_sgpr_workgroup_info 0
		.amdhsa_system_vgpr_workitem_id 0
		.amdhsa_next_free_vgpr 1
		.amdhsa_next_free_sgpr 1
		.amdhsa_reserve_vcc 0
		.amdhsa_float_round_mode_32 0
		.amdhsa_float_round_mode_16_64 0
		.amdhsa_float_denorm_mode_32 3
		.amdhsa_float_denorm_mode_16_64 3
		.amdhsa_dx10_clamp 1
		.amdhsa_ieee_mode 1
		.amdhsa_fp16_overflow 0
		.amdhsa_workgroup_processor_mode 1
		.amdhsa_memory_ordered 1
		.amdhsa_forward_progress 0
		.amdhsa_shared_vgpr_count 0
		.amdhsa_exception_fp_ieee_invalid_op 0
		.amdhsa_exception_fp_denorm_src 0
		.amdhsa_exception_fp_ieee_div_zero 0
		.amdhsa_exception_fp_ieee_overflow 0
		.amdhsa_exception_fp_ieee_underflow 0
		.amdhsa_exception_fp_ieee_inexact 0
		.amdhsa_exception_int_div_zero 0
	.end_amdhsa_kernel
	.section	.text._ZN7rocprim17ROCPRIM_400000_NS6detail17trampoline_kernelINS0_14default_configENS1_25partition_config_selectorILNS1_17partition_subalgoE9EllbEEZZNS1_14partition_implILS5_9ELb0ES3_jPlS8_PNS0_10empty_typeENS0_5tupleIJS8_S9_EEENSB_IJS8_SA_EEENS0_18inequality_wrapperIZN2at6native12_GLOBAL__N_124unique_dim_cuda_templateIbEESt5tupleIJNSF_6TensorESK_SK_EERKSK_lbbbEUlllE0_EEPmJS9_EEE10hipError_tPvRmT3_T4_T5_T6_T7_T9_mT8_P12ihipStream_tbDpT10_ENKUlT_T0_E_clISt17integral_constantIbLb0EES19_IbLb1EEEEDaS15_S16_EUlS15_E_NS1_11comp_targetILNS1_3genE10ELNS1_11target_archE1200ELNS1_3gpuE4ELNS1_3repE0EEENS1_30default_config_static_selectorELNS0_4arch9wavefront6targetE0EEEvT1_,"axG",@progbits,_ZN7rocprim17ROCPRIM_400000_NS6detail17trampoline_kernelINS0_14default_configENS1_25partition_config_selectorILNS1_17partition_subalgoE9EllbEEZZNS1_14partition_implILS5_9ELb0ES3_jPlS8_PNS0_10empty_typeENS0_5tupleIJS8_S9_EEENSB_IJS8_SA_EEENS0_18inequality_wrapperIZN2at6native12_GLOBAL__N_124unique_dim_cuda_templateIbEESt5tupleIJNSF_6TensorESK_SK_EERKSK_lbbbEUlllE0_EEPmJS9_EEE10hipError_tPvRmT3_T4_T5_T6_T7_T9_mT8_P12ihipStream_tbDpT10_ENKUlT_T0_E_clISt17integral_constantIbLb0EES19_IbLb1EEEEDaS15_S16_EUlS15_E_NS1_11comp_targetILNS1_3genE10ELNS1_11target_archE1200ELNS1_3gpuE4ELNS1_3repE0EEENS1_30default_config_static_selectorELNS0_4arch9wavefront6targetE0EEEvT1_,comdat
.Lfunc_end1112:
	.size	_ZN7rocprim17ROCPRIM_400000_NS6detail17trampoline_kernelINS0_14default_configENS1_25partition_config_selectorILNS1_17partition_subalgoE9EllbEEZZNS1_14partition_implILS5_9ELb0ES3_jPlS8_PNS0_10empty_typeENS0_5tupleIJS8_S9_EEENSB_IJS8_SA_EEENS0_18inequality_wrapperIZN2at6native12_GLOBAL__N_124unique_dim_cuda_templateIbEESt5tupleIJNSF_6TensorESK_SK_EERKSK_lbbbEUlllE0_EEPmJS9_EEE10hipError_tPvRmT3_T4_T5_T6_T7_T9_mT8_P12ihipStream_tbDpT10_ENKUlT_T0_E_clISt17integral_constantIbLb0EES19_IbLb1EEEEDaS15_S16_EUlS15_E_NS1_11comp_targetILNS1_3genE10ELNS1_11target_archE1200ELNS1_3gpuE4ELNS1_3repE0EEENS1_30default_config_static_selectorELNS0_4arch9wavefront6targetE0EEEvT1_, .Lfunc_end1112-_ZN7rocprim17ROCPRIM_400000_NS6detail17trampoline_kernelINS0_14default_configENS1_25partition_config_selectorILNS1_17partition_subalgoE9EllbEEZZNS1_14partition_implILS5_9ELb0ES3_jPlS8_PNS0_10empty_typeENS0_5tupleIJS8_S9_EEENSB_IJS8_SA_EEENS0_18inequality_wrapperIZN2at6native12_GLOBAL__N_124unique_dim_cuda_templateIbEESt5tupleIJNSF_6TensorESK_SK_EERKSK_lbbbEUlllE0_EEPmJS9_EEE10hipError_tPvRmT3_T4_T5_T6_T7_T9_mT8_P12ihipStream_tbDpT10_ENKUlT_T0_E_clISt17integral_constantIbLb0EES19_IbLb1EEEEDaS15_S16_EUlS15_E_NS1_11comp_targetILNS1_3genE10ELNS1_11target_archE1200ELNS1_3gpuE4ELNS1_3repE0EEENS1_30default_config_static_selectorELNS0_4arch9wavefront6targetE0EEEvT1_
                                        ; -- End function
	.section	.AMDGPU.csdata,"",@progbits
; Kernel info:
; codeLenInByte = 0
; NumSgprs: 0
; NumVgprs: 0
; ScratchSize: 0
; MemoryBound: 0
; FloatMode: 240
; IeeeMode: 1
; LDSByteSize: 0 bytes/workgroup (compile time only)
; SGPRBlocks: 0
; VGPRBlocks: 0
; NumSGPRsForWavesPerEU: 1
; NumVGPRsForWavesPerEU: 1
; Occupancy: 15
; WaveLimiterHint : 0
; COMPUTE_PGM_RSRC2:SCRATCH_EN: 0
; COMPUTE_PGM_RSRC2:USER_SGPR: 15
; COMPUTE_PGM_RSRC2:TRAP_HANDLER: 0
; COMPUTE_PGM_RSRC2:TGID_X_EN: 1
; COMPUTE_PGM_RSRC2:TGID_Y_EN: 0
; COMPUTE_PGM_RSRC2:TGID_Z_EN: 0
; COMPUTE_PGM_RSRC2:TIDIG_COMP_CNT: 0
	.section	.text._ZN7rocprim17ROCPRIM_400000_NS6detail17trampoline_kernelINS0_14default_configENS1_25partition_config_selectorILNS1_17partition_subalgoE9EllbEEZZNS1_14partition_implILS5_9ELb0ES3_jPlS8_PNS0_10empty_typeENS0_5tupleIJS8_S9_EEENSB_IJS8_SA_EEENS0_18inequality_wrapperIZN2at6native12_GLOBAL__N_124unique_dim_cuda_templateIbEESt5tupleIJNSF_6TensorESK_SK_EERKSK_lbbbEUlllE0_EEPmJS9_EEE10hipError_tPvRmT3_T4_T5_T6_T7_T9_mT8_P12ihipStream_tbDpT10_ENKUlT_T0_E_clISt17integral_constantIbLb0EES19_IbLb1EEEEDaS15_S16_EUlS15_E_NS1_11comp_targetILNS1_3genE9ELNS1_11target_archE1100ELNS1_3gpuE3ELNS1_3repE0EEENS1_30default_config_static_selectorELNS0_4arch9wavefront6targetE0EEEvT1_,"axG",@progbits,_ZN7rocprim17ROCPRIM_400000_NS6detail17trampoline_kernelINS0_14default_configENS1_25partition_config_selectorILNS1_17partition_subalgoE9EllbEEZZNS1_14partition_implILS5_9ELb0ES3_jPlS8_PNS0_10empty_typeENS0_5tupleIJS8_S9_EEENSB_IJS8_SA_EEENS0_18inequality_wrapperIZN2at6native12_GLOBAL__N_124unique_dim_cuda_templateIbEESt5tupleIJNSF_6TensorESK_SK_EERKSK_lbbbEUlllE0_EEPmJS9_EEE10hipError_tPvRmT3_T4_T5_T6_T7_T9_mT8_P12ihipStream_tbDpT10_ENKUlT_T0_E_clISt17integral_constantIbLb0EES19_IbLb1EEEEDaS15_S16_EUlS15_E_NS1_11comp_targetILNS1_3genE9ELNS1_11target_archE1100ELNS1_3gpuE3ELNS1_3repE0EEENS1_30default_config_static_selectorELNS0_4arch9wavefront6targetE0EEEvT1_,comdat
	.globl	_ZN7rocprim17ROCPRIM_400000_NS6detail17trampoline_kernelINS0_14default_configENS1_25partition_config_selectorILNS1_17partition_subalgoE9EllbEEZZNS1_14partition_implILS5_9ELb0ES3_jPlS8_PNS0_10empty_typeENS0_5tupleIJS8_S9_EEENSB_IJS8_SA_EEENS0_18inequality_wrapperIZN2at6native12_GLOBAL__N_124unique_dim_cuda_templateIbEESt5tupleIJNSF_6TensorESK_SK_EERKSK_lbbbEUlllE0_EEPmJS9_EEE10hipError_tPvRmT3_T4_T5_T6_T7_T9_mT8_P12ihipStream_tbDpT10_ENKUlT_T0_E_clISt17integral_constantIbLb0EES19_IbLb1EEEEDaS15_S16_EUlS15_E_NS1_11comp_targetILNS1_3genE9ELNS1_11target_archE1100ELNS1_3gpuE3ELNS1_3repE0EEENS1_30default_config_static_selectorELNS0_4arch9wavefront6targetE0EEEvT1_ ; -- Begin function _ZN7rocprim17ROCPRIM_400000_NS6detail17trampoline_kernelINS0_14default_configENS1_25partition_config_selectorILNS1_17partition_subalgoE9EllbEEZZNS1_14partition_implILS5_9ELb0ES3_jPlS8_PNS0_10empty_typeENS0_5tupleIJS8_S9_EEENSB_IJS8_SA_EEENS0_18inequality_wrapperIZN2at6native12_GLOBAL__N_124unique_dim_cuda_templateIbEESt5tupleIJNSF_6TensorESK_SK_EERKSK_lbbbEUlllE0_EEPmJS9_EEE10hipError_tPvRmT3_T4_T5_T6_T7_T9_mT8_P12ihipStream_tbDpT10_ENKUlT_T0_E_clISt17integral_constantIbLb0EES19_IbLb1EEEEDaS15_S16_EUlS15_E_NS1_11comp_targetILNS1_3genE9ELNS1_11target_archE1100ELNS1_3gpuE3ELNS1_3repE0EEENS1_30default_config_static_selectorELNS0_4arch9wavefront6targetE0EEEvT1_
	.p2align	8
	.type	_ZN7rocprim17ROCPRIM_400000_NS6detail17trampoline_kernelINS0_14default_configENS1_25partition_config_selectorILNS1_17partition_subalgoE9EllbEEZZNS1_14partition_implILS5_9ELb0ES3_jPlS8_PNS0_10empty_typeENS0_5tupleIJS8_S9_EEENSB_IJS8_SA_EEENS0_18inequality_wrapperIZN2at6native12_GLOBAL__N_124unique_dim_cuda_templateIbEESt5tupleIJNSF_6TensorESK_SK_EERKSK_lbbbEUlllE0_EEPmJS9_EEE10hipError_tPvRmT3_T4_T5_T6_T7_T9_mT8_P12ihipStream_tbDpT10_ENKUlT_T0_E_clISt17integral_constantIbLb0EES19_IbLb1EEEEDaS15_S16_EUlS15_E_NS1_11comp_targetILNS1_3genE9ELNS1_11target_archE1100ELNS1_3gpuE3ELNS1_3repE0EEENS1_30default_config_static_selectorELNS0_4arch9wavefront6targetE0EEEvT1_,@function
_ZN7rocprim17ROCPRIM_400000_NS6detail17trampoline_kernelINS0_14default_configENS1_25partition_config_selectorILNS1_17partition_subalgoE9EllbEEZZNS1_14partition_implILS5_9ELb0ES3_jPlS8_PNS0_10empty_typeENS0_5tupleIJS8_S9_EEENSB_IJS8_SA_EEENS0_18inequality_wrapperIZN2at6native12_GLOBAL__N_124unique_dim_cuda_templateIbEESt5tupleIJNSF_6TensorESK_SK_EERKSK_lbbbEUlllE0_EEPmJS9_EEE10hipError_tPvRmT3_T4_T5_T6_T7_T9_mT8_P12ihipStream_tbDpT10_ENKUlT_T0_E_clISt17integral_constantIbLb0EES19_IbLb1EEEEDaS15_S16_EUlS15_E_NS1_11comp_targetILNS1_3genE9ELNS1_11target_archE1100ELNS1_3gpuE3ELNS1_3repE0EEENS1_30default_config_static_selectorELNS0_4arch9wavefront6targetE0EEEvT1_: ; @_ZN7rocprim17ROCPRIM_400000_NS6detail17trampoline_kernelINS0_14default_configENS1_25partition_config_selectorILNS1_17partition_subalgoE9EllbEEZZNS1_14partition_implILS5_9ELb0ES3_jPlS8_PNS0_10empty_typeENS0_5tupleIJS8_S9_EEENSB_IJS8_SA_EEENS0_18inequality_wrapperIZN2at6native12_GLOBAL__N_124unique_dim_cuda_templateIbEESt5tupleIJNSF_6TensorESK_SK_EERKSK_lbbbEUlllE0_EEPmJS9_EEE10hipError_tPvRmT3_T4_T5_T6_T7_T9_mT8_P12ihipStream_tbDpT10_ENKUlT_T0_E_clISt17integral_constantIbLb0EES19_IbLb1EEEEDaS15_S16_EUlS15_E_NS1_11comp_targetILNS1_3genE9ELNS1_11target_archE1100ELNS1_3gpuE3ELNS1_3repE0EEENS1_30default_config_static_selectorELNS0_4arch9wavefront6targetE0EEEvT1_
; %bb.0:
	s_clause 0x3
	s_load_b128 s[4:7], s[0:1], 0x8
	s_load_b64 s[24:25], s[0:1], 0x18
	s_load_b256 s[8:15], s[0:1], 0x40
	s_load_b128 s[20:23], s[0:1], 0x60
	v_cmp_ne_u32_e64 s3, 0, v0
	v_cmp_eq_u32_e64 s2, 0, v0
	s_delay_alu instid0(VALU_DEP_1)
	s_and_saveexec_b32 s16, s2
	s_cbranch_execz .LBB1113_4
; %bb.1:
	s_mov_b32 s18, exec_lo
	s_mov_b32 s17, exec_lo
	v_mbcnt_lo_u32_b32 v1, s18, 0
                                        ; implicit-def: $vgpr2
	s_delay_alu instid0(VALU_DEP_1)
	v_cmpx_eq_u32_e32 0, v1
	s_cbranch_execz .LBB1113_3
; %bb.2:
	s_load_b64 s[26:27], s[0:1], 0x78
	s_bcnt1_i32_b32 s18, s18
	s_delay_alu instid0(SALU_CYCLE_1)
	v_dual_mov_b32 v2, 0 :: v_dual_mov_b32 v3, s18
	s_waitcnt lgkmcnt(0)
	global_atomic_add_u32 v2, v2, v3, s[26:27] glc
.LBB1113_3:
	s_or_b32 exec_lo, exec_lo, s17
	s_waitcnt vmcnt(0)
	v_readfirstlane_b32 s17, v2
	s_delay_alu instid0(VALU_DEP_1)
	v_dual_mov_b32 v2, 0 :: v_dual_add_nc_u32 v1, s17, v1
	ds_store_b32 v2, v1
.LBB1113_4:
	s_or_b32 exec_lo, exec_lo, s16
	v_mov_b32_e32 v1, 0
	s_clause 0x1
	s_load_b128 s[16:19], s[0:1], 0x28
	s_load_b32 s0, s[0:1], 0x70
	s_waitcnt lgkmcnt(0)
	s_barrier
	buffer_gl0_inv
	ds_load_b32 v3, v1
	s_waitcnt lgkmcnt(0)
	s_barrier
	buffer_gl0_inv
	global_load_b64 v[1:2], v1, s[10:11]
	s_lshl_b64 s[26:27], s[6:7], 3
	s_mov_b32 s1, 0
	s_add_u32 s10, s4, s26
	s_addc_u32 s11, s5, s27
	v_lshlrev_b32_e32 v55, 3, v0
	v_lshrrev_b32_e32 v34, 2, v0
	v_or_b32_e32 v39, 0x200, v0
	v_or_b32_e32 v38, 0x400, v0
	v_or_b32_e32 v40, 0x600, v0
	v_or_b32_e32 v37, 0x800, v0
	v_or_b32_e32 v35, 0xa00, v0
	s_add_i32 s28, s0, -1
	s_lshl_b32 s5, s0, 12
	s_lshl_b32 s4, s28, 12
	v_or_b32_e32 v33, 0xc00, v0
	v_readfirstlane_b32 s30, v3
	s_add_i32 s4, s6, s4
	v_or_b32_e32 v36, 0xe00, v0
	s_sub_i32 s31, s12, s4
	s_delay_alu instid0(VALU_DEP_2)
	s_lshl_b32 s0, s30, 12
	s_add_u32 s4, s6, s5
	s_addc_u32 s5, s7, 0
	s_cmp_eq_u32 s30, s28
	v_cmp_ge_u64_e64 s4, s[4:5], s[12:13]
	s_cselect_b32 s28, -1, 0
	s_lshl_b64 s[12:13], s[0:1], 3
	s_mov_b32 s1, -1
	s_delay_alu instid0(VALU_DEP_1) | instskip(NEXT) | instid1(SALU_CYCLE_1)
	s_and_b32 s33, s4, s28
	s_xor_b32 s29, s33, -1
	s_add_u32 s4, s10, s12
	s_addc_u32 s5, s11, s13
	s_and_b32 vcc_lo, exec_lo, s29
	s_waitcnt vmcnt(0)
	v_readfirstlane_b32 s10, v1
	v_readfirstlane_b32 s11, v2
	s_cbranch_vccz .LBB1113_6
; %bb.5:
	v_add_co_u32 v9, s0, s4, v55
	s_delay_alu instid0(VALU_DEP_1)
	v_add_co_ci_u32_e64 v10, null, s5, 0, s0
	global_load_b64 v[1:2], v55, s[4:5]
	v_add_co_u32 v3, vcc_lo, v9, 0x2000
	v_add_co_ci_u32_e32 v4, vcc_lo, 0, v10, vcc_lo
	v_add_co_u32 v5, vcc_lo, v9, 0x4000
	v_add_co_ci_u32_e32 v6, vcc_lo, 0, v10, vcc_lo
	;; [unrolled: 2-line block ×4, first 2 shown]
	s_clause 0x6
	global_load_b64 v[11:12], v[3:4], off offset:-4096
	global_load_b64 v[3:4], v[3:4], off
	global_load_b64 v[13:14], v[5:6], off offset:-4096
	global_load_b64 v[5:6], v[5:6], off
	;; [unrolled: 2-line block ×3, first 2 shown]
	global_load_b64 v[9:10], v[9:10], off
	v_lshrrev_b32_e32 v18, 2, v39
	v_lshrrev_b32_e32 v19, 2, v38
	v_lshrrev_b32_e32 v20, 2, v40
	v_lshrrev_b32_e32 v21, 2, v37
	v_and_b32_e32 v17, 0x78, v34
	v_lshrrev_b32_e32 v22, 2, v35
	v_lshrrev_b32_e32 v23, 2, v33
	;; [unrolled: 1-line block ×3, first 2 shown]
	v_and_b32_e32 v18, 0xf8, v18
	v_and_b32_e32 v19, 0x178, v19
	v_and_b32_e32 v20, 0x1f8, v20
	v_and_b32_e32 v21, 0x278, v21
	v_add_nc_u32_e32 v17, v17, v55
	v_and_b32_e32 v22, 0x2f8, v22
	v_and_b32_e32 v23, 0x378, v23
	;; [unrolled: 1-line block ×3, first 2 shown]
	v_add_nc_u32_e32 v18, v18, v55
	v_add_nc_u32_e32 v19, v19, v55
	;; [unrolled: 1-line block ×4, first 2 shown]
	s_mov_b32 s1, 0
	v_add_nc_u32_e32 v22, v22, v55
	v_add_nc_u32_e32 v23, v23, v55
	;; [unrolled: 1-line block ×3, first 2 shown]
	s_waitcnt vmcnt(7)
	ds_store_b64 v17, v[1:2]
	s_waitcnt vmcnt(6)
	ds_store_b64 v18, v[11:12] offset:4096
	s_waitcnt vmcnt(5)
	ds_store_b64 v19, v[3:4] offset:8192
	;; [unrolled: 2-line block ×7, first 2 shown]
	s_waitcnt lgkmcnt(0)
	s_barrier
.LBB1113_6:
	v_cmp_gt_u32_e64 s0, s31, v0
	s_and_not1_b32 vcc_lo, exec_lo, s1
	s_cbranch_vccnz .LBB1113_24
; %bb.7:
                                        ; implicit-def: $vgpr1_vgpr2_vgpr3_vgpr4_vgpr5_vgpr6_vgpr7_vgpr8_vgpr9_vgpr10_vgpr11_vgpr12_vgpr13_vgpr14_vgpr15_vgpr16
	s_delay_alu instid0(VALU_DEP_1)
	s_and_saveexec_b32 s1, s0
	s_cbranch_execz .LBB1113_15
; %bb.8:
	global_load_b64 v[1:2], v55, s[4:5]
	s_or_b32 exec_lo, exec_lo, s1
	s_delay_alu instid0(SALU_CYCLE_1)
	s_mov_b32 s0, exec_lo
	v_cmpx_gt_u32_e64 s31, v39
	s_cbranch_execnz .LBB1113_16
.LBB1113_9:
	s_or_b32 exec_lo, exec_lo, s0
	s_delay_alu instid0(SALU_CYCLE_1)
	s_mov_b32 s0, exec_lo
	v_cmpx_gt_u32_e64 s31, v38
	s_cbranch_execz .LBB1113_17
.LBB1113_10:
	v_lshlrev_b32_e32 v5, 3, v38
	global_load_b64 v[5:6], v5, s[4:5]
	s_or_b32 exec_lo, exec_lo, s0
	s_delay_alu instid0(SALU_CYCLE_1)
	s_mov_b32 s0, exec_lo
	v_cmpx_gt_u32_e64 s31, v40
	s_cbranch_execnz .LBB1113_18
.LBB1113_11:
	s_or_b32 exec_lo, exec_lo, s0
	s_delay_alu instid0(SALU_CYCLE_1)
	s_mov_b32 s0, exec_lo
	v_cmpx_gt_u32_e64 s31, v37
	s_cbranch_execz .LBB1113_19
.LBB1113_12:
	v_lshlrev_b32_e32 v9, 3, v37
	global_load_b64 v[9:10], v9, s[4:5]
	s_or_b32 exec_lo, exec_lo, s0
	s_delay_alu instid0(SALU_CYCLE_1)
	s_mov_b32 s0, exec_lo
	v_cmpx_gt_u32_e64 s31, v35
	s_cbranch_execnz .LBB1113_20
.LBB1113_13:
	s_or_b32 exec_lo, exec_lo, s0
	s_delay_alu instid0(SALU_CYCLE_1)
	s_mov_b32 s0, exec_lo
	v_cmpx_gt_u32_e64 s31, v33
	s_cbranch_execz .LBB1113_21
.LBB1113_14:
	v_lshlrev_b32_e32 v13, 3, v33
	global_load_b64 v[13:14], v13, s[4:5]
	s_or_b32 exec_lo, exec_lo, s0
	s_delay_alu instid0(SALU_CYCLE_1)
	s_mov_b32 s0, exec_lo
	v_cmpx_gt_u32_e64 s31, v36
	s_cbranch_execnz .LBB1113_22
	s_branch .LBB1113_23
.LBB1113_15:
	s_or_b32 exec_lo, exec_lo, s1
	s_delay_alu instid0(SALU_CYCLE_1)
	s_mov_b32 s0, exec_lo
	v_cmpx_gt_u32_e64 s31, v39
	s_cbranch_execz .LBB1113_9
.LBB1113_16:
	v_lshlrev_b32_e32 v3, 3, v39
	global_load_b64 v[3:4], v3, s[4:5]
	s_or_b32 exec_lo, exec_lo, s0
	s_delay_alu instid0(SALU_CYCLE_1)
	s_mov_b32 s0, exec_lo
	v_cmpx_gt_u32_e64 s31, v38
	s_cbranch_execnz .LBB1113_10
.LBB1113_17:
	s_or_b32 exec_lo, exec_lo, s0
	s_delay_alu instid0(SALU_CYCLE_1)
	s_mov_b32 s0, exec_lo
	v_cmpx_gt_u32_e64 s31, v40
	s_cbranch_execz .LBB1113_11
.LBB1113_18:
	v_lshlrev_b32_e32 v7, 3, v40
	global_load_b64 v[7:8], v7, s[4:5]
	s_or_b32 exec_lo, exec_lo, s0
	s_delay_alu instid0(SALU_CYCLE_1)
	s_mov_b32 s0, exec_lo
	v_cmpx_gt_u32_e64 s31, v37
	s_cbranch_execnz .LBB1113_12
.LBB1113_19:
	s_or_b32 exec_lo, exec_lo, s0
	s_delay_alu instid0(SALU_CYCLE_1)
	s_mov_b32 s0, exec_lo
	v_cmpx_gt_u32_e64 s31, v35
	s_cbranch_execz .LBB1113_13
.LBB1113_20:
	v_lshlrev_b32_e32 v11, 3, v35
	global_load_b64 v[11:12], v11, s[4:5]
	s_or_b32 exec_lo, exec_lo, s0
	s_delay_alu instid0(SALU_CYCLE_1)
	s_mov_b32 s0, exec_lo
	v_cmpx_gt_u32_e64 s31, v33
	s_cbranch_execnz .LBB1113_14
.LBB1113_21:
	s_or_b32 exec_lo, exec_lo, s0
	s_delay_alu instid0(SALU_CYCLE_1)
	s_mov_b32 s0, exec_lo
	v_cmpx_gt_u32_e64 s31, v36
	s_cbranch_execz .LBB1113_23
.LBB1113_22:
	v_lshlrev_b32_e32 v15, 3, v36
	global_load_b64 v[15:16], v15, s[4:5]
.LBB1113_23:
	s_or_b32 exec_lo, exec_lo, s0
	v_lshrrev_b32_e32 v17, 2, v39
	v_lshrrev_b32_e32 v18, 2, v38
	v_lshrrev_b32_e32 v20, 2, v40
	v_lshrrev_b32_e32 v21, 2, v37
	v_and_b32_e32 v19, 0x78, v34
	v_lshrrev_b32_e32 v22, 2, v35
	v_lshrrev_b32_e32 v23, 2, v33
	;; [unrolled: 1-line block ×3, first 2 shown]
	v_and_b32_e32 v17, 0xf8, v17
	v_and_b32_e32 v18, 0x1f8, v18
	;; [unrolled: 1-line block ×4, first 2 shown]
	v_add_nc_u32_e32 v19, v19, v55
	v_and_b32_e32 v22, 0x3f8, v22
	v_and_b32_e32 v23, 0x3f8, v23
	;; [unrolled: 1-line block ×3, first 2 shown]
	v_add_nc_u32_e32 v17, v17, v55
	v_add_nc_u32_e32 v18, v18, v55
	;; [unrolled: 1-line block ×7, first 2 shown]
	s_waitcnt vmcnt(0)
	ds_store_b64 v19, v[1:2]
	ds_store_b64 v17, v[3:4] offset:4096
	ds_store_b64 v18, v[5:6] offset:8192
	;; [unrolled: 1-line block ×7, first 2 shown]
	s_waitcnt lgkmcnt(0)
	s_barrier
.LBB1113_24:
	v_add_lshl_u32 v41, v34, v55, 3
	buffer_gl0_inv
	s_add_u32 s0, s24, s26
	s_addc_u32 s1, s25, s27
	s_add_u32 s0, s0, s12
	ds_load_2addr_b64 v[29:32], v41 offset1:1
	ds_load_2addr_b64 v[25:28], v41 offset0:2 offset1:3
	ds_load_2addr_b64 v[21:24], v41 offset0:4 offset1:5
	;; [unrolled: 1-line block ×3, first 2 shown]
	s_addc_u32 s1, s1, s13
	s_and_b32 vcc_lo, exec_lo, s29
	s_mov_b32 s12, -1
	s_waitcnt lgkmcnt(0)
	s_barrier
	buffer_gl0_inv
	s_cbranch_vccz .LBB1113_26
; %bb.25:
	v_add_co_u32 v9, s12, s0, v55
	s_delay_alu instid0(VALU_DEP_1)
	v_add_co_ci_u32_e64 v10, null, s1, 0, s12
	global_load_b64 v[1:2], v55, s[0:1]
	v_add_co_u32 v3, vcc_lo, v9, 0x2000
	v_add_co_ci_u32_e32 v4, vcc_lo, 0, v10, vcc_lo
	v_add_co_u32 v5, vcc_lo, v9, 0x4000
	v_add_co_ci_u32_e32 v6, vcc_lo, 0, v10, vcc_lo
	;; [unrolled: 2-line block ×4, first 2 shown]
	s_clause 0x6
	global_load_b64 v[11:12], v[3:4], off offset:-4096
	global_load_b64 v[3:4], v[3:4], off
	global_load_b64 v[13:14], v[5:6], off offset:-4096
	global_load_b64 v[5:6], v[5:6], off
	;; [unrolled: 2-line block ×3, first 2 shown]
	global_load_b64 v[9:10], v[9:10], off
	v_lshrrev_b32_e32 v43, 2, v39
	v_lshrrev_b32_e32 v44, 2, v38
	;; [unrolled: 1-line block ×4, first 2 shown]
	v_and_b32_e32 v42, 0x78, v34
	v_lshrrev_b32_e32 v47, 2, v35
	v_lshrrev_b32_e32 v48, 2, v33
	;; [unrolled: 1-line block ×3, first 2 shown]
	v_and_b32_e32 v43, 0xf8, v43
	v_and_b32_e32 v44, 0x178, v44
	;; [unrolled: 1-line block ×4, first 2 shown]
	v_add_nc_u32_e32 v42, v42, v55
	v_and_b32_e32 v47, 0x2f8, v47
	v_and_b32_e32 v48, 0x378, v48
	;; [unrolled: 1-line block ×3, first 2 shown]
	v_add_nc_u32_e32 v43, v43, v55
	v_add_nc_u32_e32 v44, v44, v55
	;; [unrolled: 1-line block ×4, first 2 shown]
	s_mov_b32 s12, 0
	v_add_nc_u32_e32 v47, v47, v55
	v_add_nc_u32_e32 v48, v48, v55
	;; [unrolled: 1-line block ×3, first 2 shown]
	s_waitcnt vmcnt(7)
	ds_store_b64 v42, v[1:2]
	s_waitcnt vmcnt(6)
	ds_store_b64 v43, v[11:12] offset:4096
	s_waitcnt vmcnt(5)
	ds_store_b64 v44, v[3:4] offset:8192
	;; [unrolled: 2-line block ×7, first 2 shown]
	s_waitcnt lgkmcnt(0)
	s_barrier
.LBB1113_26:
	s_and_not1_b32 vcc_lo, exec_lo, s12
	s_cbranch_vccnz .LBB1113_44
; %bb.27:
	s_mov_b32 s12, exec_lo
                                        ; implicit-def: $vgpr1_vgpr2
	v_cmpx_gt_u32_e64 s31, v0
	s_cbranch_execz .LBB1113_29
; %bb.28:
	global_load_b64 v[1:2], v55, s[0:1]
.LBB1113_29:
	s_or_b32 exec_lo, exec_lo, s12
	s_delay_alu instid0(SALU_CYCLE_1)
	s_mov_b32 s12, exec_lo
                                        ; implicit-def: $vgpr3_vgpr4
	v_cmpx_gt_u32_e64 s31, v39
	s_cbranch_execz .LBB1113_31
; %bb.30:
	v_lshlrev_b32_e32 v3, 3, v39
	global_load_b64 v[3:4], v3, s[0:1]
.LBB1113_31:
	s_or_b32 exec_lo, exec_lo, s12
	s_delay_alu instid0(SALU_CYCLE_1)
	s_mov_b32 s12, exec_lo
                                        ; implicit-def: $vgpr5_vgpr6
	v_cmpx_gt_u32_e64 s31, v38
	s_cbranch_execz .LBB1113_33
; %bb.32:
	v_lshlrev_b32_e32 v5, 3, v38
	global_load_b64 v[5:6], v5, s[0:1]
.LBB1113_33:
	s_or_b32 exec_lo, exec_lo, s12
	s_delay_alu instid0(SALU_CYCLE_1)
	s_mov_b32 s12, exec_lo
                                        ; implicit-def: $vgpr7_vgpr8
	v_cmpx_gt_u32_e64 s31, v40
	s_cbranch_execz .LBB1113_35
; %bb.34:
	v_lshlrev_b32_e32 v7, 3, v40
	global_load_b64 v[7:8], v7, s[0:1]
.LBB1113_35:
	s_or_b32 exec_lo, exec_lo, s12
	s_delay_alu instid0(SALU_CYCLE_1)
	s_mov_b32 s12, exec_lo
                                        ; implicit-def: $vgpr9_vgpr10
	v_cmpx_gt_u32_e64 s31, v37
	s_cbranch_execz .LBB1113_37
; %bb.36:
	v_lshlrev_b32_e32 v9, 3, v37
	global_load_b64 v[9:10], v9, s[0:1]
.LBB1113_37:
	s_or_b32 exec_lo, exec_lo, s12
	s_delay_alu instid0(SALU_CYCLE_1)
	s_mov_b32 s12, exec_lo
                                        ; implicit-def: $vgpr11_vgpr12
	v_cmpx_gt_u32_e64 s31, v35
	s_cbranch_execz .LBB1113_39
; %bb.38:
	v_lshlrev_b32_e32 v11, 3, v35
	global_load_b64 v[11:12], v11, s[0:1]
.LBB1113_39:
	s_or_b32 exec_lo, exec_lo, s12
	s_delay_alu instid0(SALU_CYCLE_1)
	s_mov_b32 s12, exec_lo
                                        ; implicit-def: $vgpr13_vgpr14
	v_cmpx_gt_u32_e64 s31, v33
	s_cbranch_execz .LBB1113_41
; %bb.40:
	v_lshlrev_b32_e32 v13, 3, v33
	global_load_b64 v[13:14], v13, s[0:1]
.LBB1113_41:
	s_or_b32 exec_lo, exec_lo, s12
	s_delay_alu instid0(SALU_CYCLE_1)
	s_mov_b32 s12, exec_lo
                                        ; implicit-def: $vgpr15_vgpr16
	v_cmpx_gt_u32_e64 s31, v36
	s_cbranch_execz .LBB1113_43
; %bb.42:
	v_lshlrev_b32_e32 v15, 3, v36
	global_load_b64 v[15:16], v15, s[0:1]
.LBB1113_43:
	s_or_b32 exec_lo, exec_lo, s12
	v_lshrrev_b32_e32 v39, 2, v39
	v_lshrrev_b32_e32 v38, 2, v38
	;; [unrolled: 1-line block ×4, first 2 shown]
	v_and_b32_e32 v34, 0x78, v34
	v_lshrrev_b32_e32 v35, 2, v35
	v_lshrrev_b32_e32 v33, 2, v33
	;; [unrolled: 1-line block ×3, first 2 shown]
	v_and_b32_e32 v39, 0xf8, v39
	v_and_b32_e32 v38, 0x1f8, v38
	;; [unrolled: 1-line block ×4, first 2 shown]
	v_add_nc_u32_e32 v34, v34, v55
	v_and_b32_e32 v35, 0x3f8, v35
	v_and_b32_e32 v33, 0x3f8, v33
	;; [unrolled: 1-line block ×3, first 2 shown]
	v_add_nc_u32_e32 v39, v39, v55
	v_add_nc_u32_e32 v38, v38, v55
	v_add_nc_u32_e32 v40, v40, v55
	v_add_nc_u32_e32 v37, v37, v55
	v_add_nc_u32_e32 v35, v35, v55
	v_add_nc_u32_e32 v33, v33, v55
	v_add_nc_u32_e32 v36, v36, v55
	s_waitcnt vmcnt(0)
	ds_store_b64 v34, v[1:2]
	ds_store_b64 v39, v[3:4] offset:4096
	ds_store_b64 v38, v[5:6] offset:8192
	;; [unrolled: 1-line block ×7, first 2 shown]
	s_waitcnt lgkmcnt(0)
	s_barrier
.LBB1113_44:
	buffer_gl0_inv
	ds_load_2addr_b64 v[13:16], v41 offset1:1
	ds_load_2addr_b64 v[9:12], v41 offset0:2 offset1:3
	ds_load_2addr_b64 v[5:8], v41 offset0:4 offset1:5
	;; [unrolled: 1-line block ×3, first 2 shown]
	s_cmp_lg_u32 s30, 0
	s_waitcnt lgkmcnt(0)
	s_cselect_b32 s12, -1, 0
	s_cmp_lg_u64 s[6:7], 0
	v_cmp_lt_i64_e64 s7, s[14:15], 1
	s_cselect_b32 s0, -1, 0
	s_mov_b32 s6, 0
	s_or_b32 s1, s0, s12
	v_cmp_gt_i64_e64 s0, s[14:15], 0
	s_and_b32 vcc_lo, exec_lo, s1
	s_barrier
	buffer_gl0_inv
	s_cbranch_vccz .LBB1113_53
; %bb.45:
	v_mov_b32_e32 v33, 0
	s_and_b32 vcc_lo, exec_lo, s29
	ds_store_b64 v55, v[19:20]
	global_load_b64 v[35:36], v33, s[4:5] offset:-8
	s_cbranch_vccz .LBB1113_54
; %bb.46:
	v_cndmask_b32_e64 v44, 0, 1, s0
	s_and_not1_b32 vcc_lo, exec_lo, s0
	s_cbranch_vccnz .LBB1113_55
; %bb.47:
	v_mad_u64_u32 v[33:34], null, v17, s14, s[20:21]
	v_mul_lo_u32 v39, v17, s15
	v_mul_lo_u32 v40, v18, s14
	v_mad_u64_u32 v[37:38], null, v19, s14, s[20:21]
	v_mul_lo_u32 v41, v19, s15
	v_mul_lo_u32 v42, v20, s14
	s_mov_b32 s24, 0
	s_mov_b32 s6, -1
	s_delay_alu instid0(VALU_DEP_4) | instskip(NEXT) | instid1(VALU_DEP_2)
	v_add3_u32 v34, v40, v34, v39
	v_add3_u32 v38, v42, v38, v41
	s_clause 0x1
	global_load_u8 v39, v[33:34], off
	global_load_u8 v40, v[37:38], off
	s_waitcnt vmcnt(1)
	v_cmp_ne_u16_e32 vcc_lo, 0, v39
	s_waitcnt vmcnt(0)
	v_cmp_ne_u16_e64 s0, 0, v40
	s_delay_alu instid0(VALU_DEP_1) | instskip(NEXT) | instid1(SALU_CYCLE_1)
	s_xor_b32 s0, vcc_lo, s0
	s_xor_b32 s0, s0, -1
	s_delay_alu instid0(SALU_CYCLE_1)
	s_and_saveexec_b32 s13, s0
	s_cbranch_execz .LBB1113_57
; %bb.48:
	s_mov_b64 s[4:5], 1
                                        ; implicit-def: $sgpr6
	s_set_inst_prefetch_distance 0x1
	s_branch .LBB1113_51
	.p2align	6
.LBB1113_49:                            ;   in Loop: Header=BB1113_51 Depth=1
	v_add_co_u32 v39, s0, v33, s4
	s_delay_alu instid0(VALU_DEP_1) | instskip(SKIP_1) | instid1(VALU_DEP_1)
	v_add_co_ci_u32_e64 v40, s0, s5, v34, s0
	v_add_co_u32 v41, s0, v37, s4
	v_add_co_ci_u32_e64 v42, s0, s5, v38, s0
	s_clause 0x1
	global_load_u8 v39, v[39:40], off
	global_load_u8 v40, v[41:42], off
	s_waitcnt vmcnt(1)
	v_cmp_ne_u16_e64 s0, 0, v39
	s_waitcnt vmcnt(0)
	v_cmp_ne_u16_e64 s1, 0, v40
	s_delay_alu instid0(VALU_DEP_1) | instskip(SKIP_4) | instid1(SALU_CYCLE_1)
	s_xor_b32 s25, s0, s1
	s_add_u32 s0, s4, 1
	s_addc_u32 s1, s5, 0
	s_and_not1_b32 s6, s6, exec_lo
	s_and_b32 s25, s25, exec_lo
	s_or_b32 s6, s6, s25
.LBB1113_50:                            ;   in Loop: Header=BB1113_51 Depth=1
	v_dual_mov_b32 v40, s5 :: v_dual_mov_b32 v39, s4
	s_and_b32 s25, exec_lo, s6
	s_mov_b64 s[4:5], s[0:1]
	s_or_b32 s24, s25, s24
	s_delay_alu instid0(SALU_CYCLE_1)
	s_and_not1_b32 exec_lo, exec_lo, s24
	s_cbranch_execz .LBB1113_56
.LBB1113_51:                            ; =>This Inner Loop Header: Depth=1
	s_or_b32 s6, s6, exec_lo
	s_cmp_eq_u64 s[14:15], s[4:5]
	s_cbranch_scc0 .LBB1113_49
; %bb.52:                               ;   in Loop: Header=BB1113_51 Depth=1
	s_mov_b64 s[4:5], s[14:15]
                                        ; implicit-def: $sgpr0_sgpr1
	s_branch .LBB1113_50
.LBB1113_53:
                                        ; implicit-def: $sgpr0
                                        ; implicit-def: $vgpr34
	s_branch .LBB1113_198
.LBB1113_54:
                                        ; implicit-def: $sgpr0
                                        ; implicit-def: $vgpr34
	s_cbranch_execnz .LBB1113_122
	s_branch .LBB1113_197
.LBB1113_55:
	s_mov_b32 s0, 0
	s_branch .LBB1113_65
.LBB1113_56:
	s_set_inst_prefetch_distance 0x2
	s_or_b32 exec_lo, exec_lo, s24
	v_cmp_gt_i64_e64 s0, s[14:15], v[39:40]
	s_delay_alu instid0(VALU_DEP_1)
	s_or_not1_b32 s6, s0, exec_lo
.LBB1113_57:
	s_or_b32 exec_lo, exec_lo, s13
	v_mad_u64_u32 v[37:38], null, v23, s14, s[20:21]
	v_mul_lo_u32 v39, v23, s15
	v_mul_lo_u32 v40, v24, s14
	s_mov_b32 s24, 0
	s_delay_alu instid0(VALU_DEP_1) | instskip(SKIP_3) | instid1(VALU_DEP_1)
	v_add3_u32 v38, v40, v38, v39
	global_load_u8 v39, v[37:38], off
	s_waitcnt vmcnt(0)
	v_cmp_ne_u16_e64 s0, 0, v39
	s_xor_b32 s1, vcc_lo, s0
	s_mov_b32 s0, -1
	s_xor_b32 s1, s1, -1
	s_delay_alu instid0(SALU_CYCLE_1)
	s_and_saveexec_b32 s13, s1
	s_cbranch_execz .LBB1113_64
; %bb.58:
	s_mov_b64 s[4:5], 1
                                        ; implicit-def: $sgpr25
	s_set_inst_prefetch_distance 0x1
	s_branch .LBB1113_61
	.p2align	6
.LBB1113_59:                            ;   in Loop: Header=BB1113_61 Depth=1
	v_add_co_u32 v39, vcc_lo, v37, s4
	v_add_co_ci_u32_e32 v40, vcc_lo, s5, v38, vcc_lo
	v_add_co_u32 v41, vcc_lo, v33, s4
	v_add_co_ci_u32_e32 v42, vcc_lo, s5, v34, vcc_lo
	s_clause 0x1
	global_load_u8 v39, v[39:40], off
	global_load_u8 v40, v[41:42], off
	s_waitcnt vmcnt(1)
	v_cmp_ne_u16_e32 vcc_lo, 0, v39
	s_waitcnt vmcnt(0)
	v_cmp_ne_u16_e64 s0, 0, v40
	s_delay_alu instid0(VALU_DEP_1) | instskip(SKIP_4) | instid1(SALU_CYCLE_1)
	s_xor_b32 s26, vcc_lo, s0
	s_add_u32 s0, s4, 1
	s_addc_u32 s1, s5, 0
	s_and_not1_b32 s25, s25, exec_lo
	s_and_b32 s26, s26, exec_lo
	s_or_b32 s25, s25, s26
.LBB1113_60:                            ;   in Loop: Header=BB1113_61 Depth=1
	v_dual_mov_b32 v40, s5 :: v_dual_mov_b32 v39, s4
	s_and_b32 s26, exec_lo, s25
	s_mov_b64 s[4:5], s[0:1]
	s_or_b32 s24, s26, s24
	s_delay_alu instid0(SALU_CYCLE_1)
	s_and_not1_b32 exec_lo, exec_lo, s24
	s_cbranch_execz .LBB1113_63
.LBB1113_61:                            ; =>This Inner Loop Header: Depth=1
	s_or_b32 s25, s25, exec_lo
	s_cmp_eq_u64 s[14:15], s[4:5]
	s_cbranch_scc0 .LBB1113_59
; %bb.62:                               ;   in Loop: Header=BB1113_61 Depth=1
	s_mov_b64 s[4:5], s[14:15]
                                        ; implicit-def: $sgpr0_sgpr1
	s_branch .LBB1113_60
.LBB1113_63:
	s_set_inst_prefetch_distance 0x2
	s_or_b32 exec_lo, exec_lo, s24
	v_cmp_gt_i64_e32 vcc_lo, s[14:15], v[39:40]
	s_or_not1_b32 s0, vcc_lo, exec_lo
.LBB1113_64:
	s_or_b32 exec_lo, exec_lo, s13
	v_cndmask_b32_e64 v33, 0, 1, s6
.LBB1113_65:
	v_and_b32_e32 v34, 0xff, v0
	v_lshlrev_b16 v37, 8, v0
	v_and_b32_e32 v38, 0xff, v0
	v_lshlrev_b16 v39, 8, v0
	;; [unrolled: 2-line block ×3, first 2 shown]
	v_lshlrev_b16 v33, 8, v33
	v_cndmask_b32_e64 v42, 0, 1, s0
	v_or_b32_e32 v34, v34, v37
	v_or_b32_e32 v37, v38, v39
	;; [unrolled: 1-line block ×3, first 2 shown]
	v_cmp_ne_u32_e32 vcc_lo, 1, v44
	v_or_b32_e32 v33, v42, v33
	v_and_b32_e32 v34, 0xffff, v34
	v_lshlrev_b32_e32 v37, 16, v37
	v_and_b32_e32 v38, 0xffff, v38
	s_delay_alu instid0(VALU_DEP_4) | instskip(NEXT) | instid1(VALU_DEP_3)
	v_lshlrev_b32_e32 v33, 16, v33
	v_or_b32_e32 v45, v34, v37
	s_delay_alu instid0(VALU_DEP_2)
	v_or_b32_e32 v43, v38, v33
	s_cbranch_vccnz .LBB1113_72
; %bb.66:
	v_mad_u64_u32 v[33:34], null, v21, s14, s[20:21]
	v_mul_lo_u32 v39, v21, s15
	v_mul_lo_u32 v40, v22, s14
	v_mad_u64_u32 v[37:38], null, v23, s14, s[20:21]
	v_mul_lo_u32 v41, v23, s15
	v_mul_lo_u32 v42, v24, s14
	s_mov_b32 s13, 0
	s_delay_alu instid0(VALU_DEP_4) | instskip(NEXT) | instid1(VALU_DEP_2)
	v_add3_u32 v34, v40, v34, v39
	v_add3_u32 v38, v42, v38, v41
	s_clause 0x1
	global_load_u8 v39, v[33:34], off
	global_load_u8 v40, v[37:38], off
	s_waitcnt vmcnt(1)
	v_cmp_ne_u16_e32 vcc_lo, 0, v39
	s_waitcnt vmcnt(0)
	v_cmp_ne_u16_e64 s0, 0, v40
	s_delay_alu instid0(VALU_DEP_1) | instskip(SKIP_2) | instid1(SALU_CYCLE_1)
	s_xor_b32 s1, vcc_lo, s0
	s_mov_b32 s0, -1
	s_xor_b32 s1, s1, -1
	s_and_saveexec_b32 s6, s1
	s_cbranch_execz .LBB1113_74
; %bb.67:
	s_mov_b64 s[4:5], 1
                                        ; implicit-def: $sgpr24
	s_set_inst_prefetch_distance 0x1
	s_branch .LBB1113_70
	.p2align	6
.LBB1113_68:                            ;   in Loop: Header=BB1113_70 Depth=1
	v_add_co_u32 v39, s0, v33, s4
	s_delay_alu instid0(VALU_DEP_1) | instskip(SKIP_1) | instid1(VALU_DEP_1)
	v_add_co_ci_u32_e64 v40, s0, s5, v34, s0
	v_add_co_u32 v41, s0, v37, s4
	v_add_co_ci_u32_e64 v42, s0, s5, v38, s0
	s_clause 0x1
	global_load_u8 v39, v[39:40], off
	global_load_u8 v40, v[41:42], off
	s_waitcnt vmcnt(1)
	v_cmp_ne_u16_e64 s0, 0, v39
	s_waitcnt vmcnt(0)
	v_cmp_ne_u16_e64 s1, 0, v40
	s_delay_alu instid0(VALU_DEP_1) | instskip(SKIP_4) | instid1(SALU_CYCLE_1)
	s_xor_b32 s25, s0, s1
	s_add_u32 s0, s4, 1
	s_addc_u32 s1, s5, 0
	s_and_not1_b32 s24, s24, exec_lo
	s_and_b32 s25, s25, exec_lo
	s_or_b32 s24, s24, s25
.LBB1113_69:                            ;   in Loop: Header=BB1113_70 Depth=1
	v_dual_mov_b32 v40, s5 :: v_dual_mov_b32 v39, s4
	s_and_b32 s25, exec_lo, s24
	s_mov_b64 s[4:5], s[0:1]
	s_or_b32 s13, s25, s13
	s_delay_alu instid0(SALU_CYCLE_1)
	s_and_not1_b32 exec_lo, exec_lo, s13
	s_cbranch_execz .LBB1113_73
.LBB1113_70:                            ; =>This Inner Loop Header: Depth=1
	s_or_b32 s24, s24, exec_lo
	s_cmp_eq_u64 s[14:15], s[4:5]
	s_cbranch_scc0 .LBB1113_68
; %bb.71:                               ;   in Loop: Header=BB1113_70 Depth=1
	s_mov_b64 s[4:5], s[14:15]
                                        ; implicit-def: $sgpr0_sgpr1
	s_branch .LBB1113_69
.LBB1113_72:
                                        ; implicit-def: $sgpr0
                                        ; implicit-def: $vgpr37_vgpr38
	s_cbranch_execnz .LBB1113_82
	s_branch .LBB1113_83
.LBB1113_73:
	s_set_inst_prefetch_distance 0x2
	s_or_b32 exec_lo, exec_lo, s13
	v_cmp_gt_i64_e64 s0, s[14:15], v[39:40]
	s_delay_alu instid0(VALU_DEP_1)
	s_or_not1_b32 s0, s0, exec_lo
.LBB1113_74:
	s_or_b32 exec_lo, exec_lo, s6
	v_mad_u64_u32 v[39:40], null, v27, s14, s[20:21]
	v_mul_lo_u32 v37, v27, s15
	v_mul_lo_u32 v38, v28, s14
	v_and_b32_e32 v41, 0xff, v43
	s_mov_b32 s6, 0
	s_delay_alu instid0(VALU_DEP_2) | instskip(SKIP_3) | instid1(VALU_DEP_1)
	v_add3_u32 v40, v38, v40, v37
	v_cndmask_b32_e64 v38, 0, 1, s0
	global_load_u8 v37, v[39:40], off
	v_lshlrev_b16 v38, 8, v38
	v_or_b32_e32 v38, v41, v38
	s_delay_alu instid0(VALU_DEP_1) | instskip(NEXT) | instid1(VALU_DEP_1)
	v_and_b32_e32 v38, 0xffff, v38
	v_and_or_b32 v38, 0xffff0000, v43, v38
	s_waitcnt vmcnt(0)
	v_cmp_ne_u16_e64 s0, 0, v37
	s_delay_alu instid0(VALU_DEP_1) | instskip(SKIP_2) | instid1(SALU_CYCLE_1)
	s_xor_b32 s1, vcc_lo, s0
	s_mov_b32 s0, -1
	s_xor_b32 s1, s1, -1
	s_and_saveexec_b32 s13, s1
	s_cbranch_execz .LBB1113_81
; %bb.75:
	s_mov_b64 s[4:5], 1
	s_mov_b32 s24, 0
                                        ; implicit-def: $sgpr25
	s_set_inst_prefetch_distance 0x1
	s_branch .LBB1113_78
	.p2align	6
.LBB1113_76:                            ;   in Loop: Header=BB1113_78 Depth=1
	v_add_co_u32 v41, vcc_lo, v39, s4
	v_add_co_ci_u32_e32 v42, vcc_lo, s5, v40, vcc_lo
	v_add_co_u32 v46, vcc_lo, v33, s4
	v_add_co_ci_u32_e32 v47, vcc_lo, s5, v34, vcc_lo
	s_clause 0x1
	global_load_u8 v37, v[41:42], off
	global_load_u8 v41, v[46:47], off
	s_waitcnt vmcnt(1)
	v_cmp_ne_u16_e32 vcc_lo, 0, v37
	s_waitcnt vmcnt(0)
	v_cmp_ne_u16_e64 s0, 0, v41
	s_delay_alu instid0(VALU_DEP_1) | instskip(SKIP_4) | instid1(SALU_CYCLE_1)
	s_xor_b32 s26, vcc_lo, s0
	s_add_u32 s0, s4, 1
	s_addc_u32 s1, s5, 0
	s_and_not1_b32 s25, s25, exec_lo
	s_and_b32 s26, s26, exec_lo
	s_or_b32 s25, s25, s26
.LBB1113_77:                            ;   in Loop: Header=BB1113_78 Depth=1
	v_dual_mov_b32 v42, s5 :: v_dual_mov_b32 v41, s4
	s_and_b32 s26, exec_lo, s25
	s_mov_b64 s[4:5], s[0:1]
	s_or_b32 s24, s26, s24
	s_delay_alu instid0(SALU_CYCLE_1)
	s_and_not1_b32 exec_lo, exec_lo, s24
	s_cbranch_execz .LBB1113_80
.LBB1113_78:                            ; =>This Inner Loop Header: Depth=1
	s_or_b32 s25, s25, exec_lo
	s_cmp_eq_u64 s[14:15], s[4:5]
	s_cbranch_scc0 .LBB1113_76
; %bb.79:                               ;   in Loop: Header=BB1113_78 Depth=1
	s_mov_b64 s[4:5], s[14:15]
                                        ; implicit-def: $sgpr0_sgpr1
	s_branch .LBB1113_77
.LBB1113_80:
	s_set_inst_prefetch_distance 0x2
	s_or_b32 exec_lo, exec_lo, s24
	v_cmp_gt_i64_e32 vcc_lo, s[14:15], v[41:42]
	s_or_not1_b32 s0, vcc_lo, exec_lo
.LBB1113_81:
	s_or_b32 exec_lo, exec_lo, s13
	s_delay_alu instid0(SALU_CYCLE_1)
	s_and_b32 vcc_lo, exec_lo, s6
	s_cbranch_vccz .LBB1113_83
.LBB1113_82:
	s_delay_alu instid0(VALU_DEP_1)
	v_and_b32_e32 v38, 0xffff00ff, v43
	s_and_not1_b32 s0, s0, exec_lo
.LBB1113_83:
	s_delay_alu instid0(VALU_DEP_1) | instskip(SKIP_2) | instid1(VALU_DEP_2)
	v_and_b32_e32 v33, 0xffffff00, v38
	v_cndmask_b32_e64 v34, 0, 1, s0
	v_cmp_ne_u32_e32 vcc_lo, 1, v44
	v_or_b32_e32 v33, v34, v33
	s_delay_alu instid0(VALU_DEP_1) | instskip(NEXT) | instid1(VALU_DEP_1)
	v_and_b32_e32 v33, 0xffff, v33
	v_and_or_b32 v34, 0xffff0000, v38, v33
	s_cbranch_vccnz .LBB1113_90
; %bb.84:
	v_mad_u64_u32 v[38:39], null, v25, s14, s[20:21]
	v_mul_lo_u32 v33, v25, s15
	v_mul_lo_u32 v37, v26, s14
	v_mad_u64_u32 v[40:41], null, v27, s14, s[20:21]
	v_mul_lo_u32 v42, v27, s15
	v_mul_lo_u32 v43, v28, s14
	s_delay_alu instid0(VALU_DEP_4) | instskip(NEXT) | instid1(VALU_DEP_2)
	v_add3_u32 v39, v37, v39, v33
	v_add3_u32 v41, v43, v41, v42
	s_clause 0x1
	global_load_u8 v33, v[38:39], off
	global_load_u8 v37, v[40:41], off
	s_waitcnt vmcnt(1)
	v_cmp_ne_u16_e32 vcc_lo, 0, v33
	s_waitcnt vmcnt(0)
	v_cmp_ne_u16_e64 s0, 0, v37
	s_delay_alu instid0(VALU_DEP_1) | instskip(SKIP_2) | instid1(SALU_CYCLE_1)
	s_xor_b32 s1, vcc_lo, s0
	s_mov_b32 s0, -1
	s_xor_b32 s1, s1, -1
	s_and_saveexec_b32 s6, s1
	s_cbranch_execz .LBB1113_92
; %bb.85:
	s_mov_b64 s[4:5], 1
	s_mov_b32 s13, 0
                                        ; implicit-def: $sgpr24
	s_set_inst_prefetch_distance 0x1
	s_branch .LBB1113_88
	.p2align	6
.LBB1113_86:                            ;   in Loop: Header=BB1113_88 Depth=1
	v_add_co_u32 v42, s0, v38, s4
	s_delay_alu instid0(VALU_DEP_1) | instskip(SKIP_1) | instid1(VALU_DEP_1)
	v_add_co_ci_u32_e64 v43, s0, s5, v39, s0
	v_add_co_u32 v46, s0, v40, s4
	v_add_co_ci_u32_e64 v47, s0, s5, v41, s0
	s_clause 0x1
	global_load_u8 v33, v[42:43], off
	global_load_u8 v37, v[46:47], off
	s_waitcnt vmcnt(1)
	v_cmp_ne_u16_e64 s0, 0, v33
	s_waitcnt vmcnt(0)
	v_cmp_ne_u16_e64 s1, 0, v37
	s_delay_alu instid0(VALU_DEP_1) | instskip(SKIP_4) | instid1(SALU_CYCLE_1)
	s_xor_b32 s25, s0, s1
	s_add_u32 s0, s4, 1
	s_addc_u32 s1, s5, 0
	s_and_not1_b32 s24, s24, exec_lo
	s_and_b32 s25, s25, exec_lo
	s_or_b32 s24, s24, s25
.LBB1113_87:                            ;   in Loop: Header=BB1113_88 Depth=1
	v_dual_mov_b32 v43, s5 :: v_dual_mov_b32 v42, s4
	s_and_b32 s25, exec_lo, s24
	s_mov_b64 s[4:5], s[0:1]
	s_or_b32 s13, s25, s13
	s_delay_alu instid0(SALU_CYCLE_1)
	s_and_not1_b32 exec_lo, exec_lo, s13
	s_cbranch_execz .LBB1113_91
.LBB1113_88:                            ; =>This Inner Loop Header: Depth=1
	s_or_b32 s24, s24, exec_lo
	s_cmp_eq_u64 s[14:15], s[4:5]
	s_cbranch_scc0 .LBB1113_86
; %bb.89:                               ;   in Loop: Header=BB1113_88 Depth=1
	s_mov_b64 s[4:5], s[14:15]
                                        ; implicit-def: $sgpr0_sgpr1
	s_branch .LBB1113_87
.LBB1113_90:
                                        ; implicit-def: $sgpr6
                                        ; implicit-def: $vgpr37_vgpr38
	s_cbranch_execnz .LBB1113_100
	s_branch .LBB1113_101
.LBB1113_91:
	s_set_inst_prefetch_distance 0x2
	s_or_b32 exec_lo, exec_lo, s13
	v_cmp_gt_i64_e64 s0, s[14:15], v[42:43]
	s_delay_alu instid0(VALU_DEP_1)
	s_or_not1_b32 s0, s0, exec_lo
.LBB1113_92:
	s_or_b32 exec_lo, exec_lo, s6
	v_mad_u64_u32 v[40:41], null, v31, s14, s[20:21]
	v_mul_lo_u32 v33, v31, s15
	v_mul_lo_u32 v37, v32, s14
	v_cndmask_b32_e64 v42, 0, 1, s0
	s_mov_b32 s13, 0
	s_mov_b32 s6, -1
	s_delay_alu instid0(VALU_DEP_1) | instskip(NEXT) | instid1(VALU_DEP_3)
	v_lshlrev_b16 v42, 8, v42
	v_add3_u32 v41, v37, v41, v33
	v_lshrrev_b32_e32 v37, 16, v45
	global_load_u8 v33, v[40:41], off
	v_and_b32_e32 v37, 0xff, v37
	s_delay_alu instid0(VALU_DEP_1) | instskip(NEXT) | instid1(VALU_DEP_1)
	v_or_b32_e32 v37, v37, v42
	v_lshlrev_b32_e32 v37, 16, v37
	s_delay_alu instid0(VALU_DEP_1) | instskip(SKIP_2) | instid1(VALU_DEP_1)
	v_and_or_b32 v37, 0xffff, v45, v37
	s_waitcnt vmcnt(0)
	v_cmp_ne_u16_e64 s0, 0, v33
	s_xor_b32 s0, vcc_lo, s0
	s_delay_alu instid0(SALU_CYCLE_1) | instskip(NEXT) | instid1(SALU_CYCLE_1)
	s_xor_b32 s0, s0, -1
	s_and_saveexec_b32 s24, s0
	s_cbranch_execz .LBB1113_99
; %bb.93:
	s_mov_b64 s[4:5], 1
	s_mov_b32 s6, 0
                                        ; implicit-def: $sgpr25
	s_set_inst_prefetch_distance 0x1
	s_branch .LBB1113_96
	.p2align	6
.LBB1113_94:                            ;   in Loop: Header=BB1113_96 Depth=1
	v_add_co_u32 v42, vcc_lo, v40, s4
	v_add_co_ci_u32_e32 v43, vcc_lo, s5, v41, vcc_lo
	v_add_co_u32 v46, vcc_lo, v38, s4
	v_add_co_ci_u32_e32 v47, vcc_lo, s5, v39, vcc_lo
	s_clause 0x1
	global_load_u8 v33, v[42:43], off
	global_load_u8 v42, v[46:47], off
	s_waitcnt vmcnt(1)
	v_cmp_ne_u16_e32 vcc_lo, 0, v33
	s_waitcnt vmcnt(0)
	v_cmp_ne_u16_e64 s0, 0, v42
	s_delay_alu instid0(VALU_DEP_1) | instskip(SKIP_4) | instid1(SALU_CYCLE_1)
	s_xor_b32 s26, vcc_lo, s0
	s_add_u32 s0, s4, 1
	s_addc_u32 s1, s5, 0
	s_and_not1_b32 s25, s25, exec_lo
	s_and_b32 s26, s26, exec_lo
	s_or_b32 s25, s25, s26
.LBB1113_95:                            ;   in Loop: Header=BB1113_96 Depth=1
	v_dual_mov_b32 v43, s5 :: v_dual_mov_b32 v42, s4
	s_and_b32 s26, exec_lo, s25
	s_mov_b64 s[4:5], s[0:1]
	s_or_b32 s6, s26, s6
	s_delay_alu instid0(SALU_CYCLE_1)
	s_and_not1_b32 exec_lo, exec_lo, s6
	s_cbranch_execz .LBB1113_98
.LBB1113_96:                            ; =>This Inner Loop Header: Depth=1
	s_or_b32 s25, s25, exec_lo
	s_cmp_eq_u64 s[14:15], s[4:5]
	s_cbranch_scc0 .LBB1113_94
; %bb.97:                               ;   in Loop: Header=BB1113_96 Depth=1
	s_mov_b64 s[4:5], s[14:15]
                                        ; implicit-def: $sgpr0_sgpr1
	s_branch .LBB1113_95
.LBB1113_98:
	s_set_inst_prefetch_distance 0x2
	s_or_b32 exec_lo, exec_lo, s6
	v_cmp_gt_i64_e32 vcc_lo, s[14:15], v[42:43]
	s_or_not1_b32 s6, vcc_lo, exec_lo
.LBB1113_99:
	s_or_b32 exec_lo, exec_lo, s24
	s_delay_alu instid0(SALU_CYCLE_1)
	s_and_b32 vcc_lo, exec_lo, s13
	s_cbranch_vccz .LBB1113_101
.LBB1113_100:
	v_and_b32_e32 v37, 0xffffff, v45
	s_and_not1_b32 s6, s6, exec_lo
.LBB1113_101:
	v_cmp_ne_u32_e32 vcc_lo, 1, v44
	s_mov_b32 s0, 0
	s_cbranch_vccnz .LBB1113_110
; %bb.102:
	v_mad_u64_u32 v[38:39], null, v29, s14, s[20:21]
	v_mul_lo_u32 v33, v29, s15
	v_mul_lo_u32 v42, v30, s14
	v_mad_u64_u32 v[40:41], null, v31, s14, s[20:21]
	v_mul_lo_u32 v43, v31, s15
	v_mul_lo_u32 v45, v32, s14
	s_mov_b32 s24, 0
	s_delay_alu instid0(VALU_DEP_4) | instskip(NEXT) | instid1(VALU_DEP_2)
	v_add3_u32 v39, v42, v39, v33
	v_add3_u32 v41, v45, v41, v43
	s_clause 0x1
	global_load_u8 v33, v[38:39], off
	global_load_u8 v42, v[40:41], off
	s_waitcnt vmcnt(1)
	v_cmp_ne_u16_e32 vcc_lo, 0, v33
	s_waitcnt vmcnt(0)
	v_cmp_ne_u16_e64 s0, 0, v42
	s_delay_alu instid0(VALU_DEP_1) | instskip(SKIP_2) | instid1(SALU_CYCLE_1)
	s_xor_b32 s1, vcc_lo, s0
	s_mov_b32 s0, -1
	s_xor_b32 s1, s1, -1
	s_and_saveexec_b32 s13, s1
	s_cbranch_execz .LBB1113_109
; %bb.103:
	s_mov_b64 s[4:5], 1
                                        ; implicit-def: $sgpr25
	s_set_inst_prefetch_distance 0x1
	s_branch .LBB1113_106
	.p2align	6
.LBB1113_104:                           ;   in Loop: Header=BB1113_106 Depth=1
	v_add_co_u32 v42, vcc_lo, v38, s4
	v_add_co_ci_u32_e32 v43, vcc_lo, s5, v39, vcc_lo
	v_add_co_u32 v45, vcc_lo, v40, s4
	v_add_co_ci_u32_e32 v46, vcc_lo, s5, v41, vcc_lo
	s_clause 0x1
	global_load_u8 v33, v[42:43], off
	global_load_u8 v42, v[45:46], off
	s_waitcnt vmcnt(1)
	v_cmp_ne_u16_e32 vcc_lo, 0, v33
	s_waitcnt vmcnt(0)
	v_cmp_ne_u16_e64 s0, 0, v42
	s_delay_alu instid0(VALU_DEP_1) | instskip(SKIP_4) | instid1(SALU_CYCLE_1)
	s_xor_b32 s26, vcc_lo, s0
	s_add_u32 s0, s4, 1
	s_addc_u32 s1, s5, 0
	s_and_not1_b32 s25, s25, exec_lo
	s_and_b32 s26, s26, exec_lo
	s_or_b32 s25, s25, s26
.LBB1113_105:                           ;   in Loop: Header=BB1113_106 Depth=1
	v_dual_mov_b32 v43, s5 :: v_dual_mov_b32 v42, s4
	s_and_b32 s26, exec_lo, s25
	s_mov_b64 s[4:5], s[0:1]
	s_or_b32 s24, s26, s24
	s_delay_alu instid0(SALU_CYCLE_1)
	s_and_not1_b32 exec_lo, exec_lo, s24
	s_cbranch_execz .LBB1113_108
.LBB1113_106:                           ; =>This Inner Loop Header: Depth=1
	s_or_b32 s25, s25, exec_lo
	s_cmp_eq_u64 s[14:15], s[4:5]
	s_cbranch_scc0 .LBB1113_104
; %bb.107:                              ;   in Loop: Header=BB1113_106 Depth=1
	s_mov_b64 s[4:5], s[14:15]
                                        ; implicit-def: $sgpr0_sgpr1
	s_branch .LBB1113_105
.LBB1113_108:
	s_set_inst_prefetch_distance 0x2
	s_or_b32 exec_lo, exec_lo, s24
	v_cmp_gt_i64_e32 vcc_lo, s[14:15], v[42:43]
	s_or_not1_b32 s0, vcc_lo, exec_lo
.LBB1113_109:
	s_or_b32 exec_lo, exec_lo, s13
.LBB1113_110:
	s_waitcnt vmcnt(0)
	v_dual_mov_b32 v40, v36 :: v_dual_mov_b32 v39, v35
	s_waitcnt lgkmcnt(0)
	s_barrier
	buffer_gl0_inv
	s_and_saveexec_b32 s1, s3
	s_cbranch_execz .LBB1113_112
; %bb.111:
	v_add_nc_u32_e32 v33, -8, v55
	ds_load_b64 v[39:40], v33
.LBB1113_112:
	s_or_b32 exec_lo, exec_lo, s1
	v_cndmask_b32_e64 v33, 0, 1, s0
	v_lshrrev_b32_e32 v38, 24, v37
	v_cndmask_b32_e64 v41, 0, 1, s6
	v_and_b32_e32 v37, 0xff, v37
	v_cmp_ne_u32_e32 vcc_lo, 1, v44
	v_lshlrev_b16 v33, 8, v33
	v_lshlrev_b16 v38, 8, v38
	s_mov_b32 s6, 0
	s_mov_b32 s0, 0
	s_and_b32 vcc_lo, exec_lo, vcc_lo
	v_or_b32_e32 v33, v37, v33
	v_or_b32_e32 v37, v41, v38
	s_delay_alu instid0(VALU_DEP_2) | instskip(NEXT) | instid1(VALU_DEP_2)
	v_and_b32_e32 v33, 0xffff, v33
	v_lshlrev_b32_e32 v43, 16, v37
	s_cbranch_vccnz .LBB1113_121
; %bb.113:
	s_waitcnt lgkmcnt(0)
	v_mad_u64_u32 v[37:38], null, v39, s14, s[20:21]
	v_mul_lo_u32 v41, v39, s15
	v_mul_lo_u32 v42, v40, s14
	v_mad_u64_u32 v[39:40], null, v29, s14, s[20:21]
	v_mul_lo_u32 v44, v29, s15
	v_mul_lo_u32 v45, v30, s14
	s_mov_b32 s24, 0
	s_delay_alu instid0(VALU_DEP_4) | instskip(NEXT) | instid1(VALU_DEP_2)
	v_add3_u32 v38, v42, v38, v41
	v_add3_u32 v40, v45, v40, v44
	s_clause 0x1
	global_load_u8 v41, v[37:38], off
	global_load_u8 v42, v[39:40], off
	s_waitcnt vmcnt(1)
	v_cmp_ne_u16_e32 vcc_lo, 0, v41
	s_waitcnt vmcnt(0)
	v_cmp_ne_u16_e64 s0, 0, v42
	s_delay_alu instid0(VALU_DEP_1) | instskip(SKIP_2) | instid1(SALU_CYCLE_1)
	s_xor_b32 s1, vcc_lo, s0
	s_mov_b32 s0, -1
	s_xor_b32 s1, s1, -1
	s_and_saveexec_b32 s13, s1
	s_cbranch_execz .LBB1113_120
; %bb.114:
	s_mov_b64 s[4:5], 1
                                        ; implicit-def: $sgpr25
	s_set_inst_prefetch_distance 0x1
	s_branch .LBB1113_117
	.p2align	6
.LBB1113_115:                           ;   in Loop: Header=BB1113_117 Depth=1
	v_add_co_u32 v41, vcc_lo, v37, s4
	v_add_co_ci_u32_e32 v42, vcc_lo, s5, v38, vcc_lo
	v_add_co_u32 v44, vcc_lo, v39, s4
	v_add_co_ci_u32_e32 v45, vcc_lo, s5, v40, vcc_lo
	s_clause 0x1
	global_load_u8 v41, v[41:42], off
	global_load_u8 v42, v[44:45], off
	s_waitcnt vmcnt(1)
	v_cmp_ne_u16_e32 vcc_lo, 0, v41
	s_waitcnt vmcnt(0)
	v_cmp_ne_u16_e64 s0, 0, v42
	s_delay_alu instid0(VALU_DEP_1) | instskip(SKIP_4) | instid1(SALU_CYCLE_1)
	s_xor_b32 s26, vcc_lo, s0
	s_add_u32 s0, s4, 1
	s_addc_u32 s1, s5, 0
	s_and_not1_b32 s25, s25, exec_lo
	s_and_b32 s26, s26, exec_lo
	s_or_b32 s25, s25, s26
.LBB1113_116:                           ;   in Loop: Header=BB1113_117 Depth=1
	v_dual_mov_b32 v42, s5 :: v_dual_mov_b32 v41, s4
	s_and_b32 s26, exec_lo, s25
	s_mov_b64 s[4:5], s[0:1]
	s_or_b32 s24, s26, s24
	s_delay_alu instid0(SALU_CYCLE_1)
	s_and_not1_b32 exec_lo, exec_lo, s24
	s_cbranch_execz .LBB1113_119
.LBB1113_117:                           ; =>This Inner Loop Header: Depth=1
	s_or_b32 s25, s25, exec_lo
	s_cmp_eq_u64 s[14:15], s[4:5]
	s_cbranch_scc0 .LBB1113_115
; %bb.118:                              ;   in Loop: Header=BB1113_117 Depth=1
	s_mov_b64 s[4:5], s[14:15]
                                        ; implicit-def: $sgpr0_sgpr1
	s_branch .LBB1113_116
.LBB1113_119:
	s_set_inst_prefetch_distance 0x2
	s_or_b32 exec_lo, exec_lo, s24
	v_cmp_gt_i64_e32 vcc_lo, s[14:15], v[41:42]
	s_or_not1_b32 s0, vcc_lo, exec_lo
.LBB1113_120:
	s_or_b32 exec_lo, exec_lo, s13
.LBB1113_121:
	s_delay_alu instid0(VALU_DEP_1)
	v_or_b32_e32 v33, v33, v43
	s_and_b32 vcc_lo, exec_lo, s6
	s_cbranch_vccz .LBB1113_197
.LBB1113_122:
	v_or_b32_e32 v33, 7, v55
	s_xor_b32 s6, s7, -1
	s_mov_b32 s1, -1
	s_mov_b32 s7, 0
	s_mov_b32 s13, 0
	v_cmp_gt_u32_e32 vcc_lo, s31, v33
	s_and_b32 s0, vcc_lo, s6
	s_delay_alu instid0(SALU_CYCLE_1)
	s_and_saveexec_b32 s24, s0
	s_cbranch_execz .LBB1113_131
; %bb.123:
	v_mad_u64_u32 v[33:34], null, v17, s14, s[20:21]
	s_waitcnt lgkmcnt(0)
	v_mul_lo_u32 v39, v17, s15
	v_mul_lo_u32 v40, v18, s14
	v_mad_u64_u32 v[37:38], null, v19, s14, s[20:21]
	v_mul_lo_u32 v41, v19, s15
	v_mul_lo_u32 v42, v20, s14
	s_mov_b32 s25, 0
	s_delay_alu instid0(VALU_DEP_4) | instskip(NEXT) | instid1(VALU_DEP_2)
	v_add3_u32 v34, v40, v34, v39
	v_add3_u32 v38, v42, v38, v41
	s_clause 0x1
	global_load_u8 v39, v[33:34], off
	global_load_u8 v40, v[37:38], off
	s_waitcnt vmcnt(1)
	v_cmp_ne_u16_e32 vcc_lo, 0, v39
	s_waitcnt vmcnt(0)
	v_cmp_ne_u16_e64 s0, 0, v40
	s_delay_alu instid0(VALU_DEP_1) | instskip(NEXT) | instid1(SALU_CYCLE_1)
	s_xor_b32 s0, vcc_lo, s0
	s_xor_b32 s0, s0, -1
	s_delay_alu instid0(SALU_CYCLE_1)
	s_and_saveexec_b32 s13, s0
	s_cbranch_execz .LBB1113_130
; %bb.124:
	s_mov_b64 s[4:5], 1
                                        ; implicit-def: $sgpr26
	s_set_inst_prefetch_distance 0x1
	s_branch .LBB1113_127
	.p2align	6
.LBB1113_125:                           ;   in Loop: Header=BB1113_127 Depth=1
	v_add_co_u32 v39, vcc_lo, v33, s4
	v_add_co_ci_u32_e32 v40, vcc_lo, s5, v34, vcc_lo
	v_add_co_u32 v41, vcc_lo, v37, s4
	v_add_co_ci_u32_e32 v42, vcc_lo, s5, v38, vcc_lo
	s_clause 0x1
	global_load_u8 v39, v[39:40], off
	global_load_u8 v40, v[41:42], off
	s_waitcnt vmcnt(1)
	v_cmp_ne_u16_e32 vcc_lo, 0, v39
	s_waitcnt vmcnt(0)
	v_cmp_ne_u16_e64 s0, 0, v40
	s_delay_alu instid0(VALU_DEP_1) | instskip(SKIP_4) | instid1(SALU_CYCLE_1)
	s_xor_b32 s27, vcc_lo, s0
	s_add_u32 s0, s4, 1
	s_addc_u32 s1, s5, 0
	s_and_not1_b32 s26, s26, exec_lo
	s_and_b32 s27, s27, exec_lo
	s_or_b32 s26, s26, s27
.LBB1113_126:                           ;   in Loop: Header=BB1113_127 Depth=1
	v_dual_mov_b32 v40, s5 :: v_dual_mov_b32 v39, s4
	s_and_b32 s27, exec_lo, s26
	s_mov_b64 s[4:5], s[0:1]
	s_or_b32 s25, s27, s25
	s_delay_alu instid0(SALU_CYCLE_1)
	s_and_not1_b32 exec_lo, exec_lo, s25
	s_cbranch_execz .LBB1113_129
.LBB1113_127:                           ; =>This Inner Loop Header: Depth=1
	s_or_b32 s26, s26, exec_lo
	s_cmp_eq_u64 s[14:15], s[4:5]
	s_cbranch_scc0 .LBB1113_125
; %bb.128:                              ;   in Loop: Header=BB1113_127 Depth=1
	s_mov_b64 s[4:5], s[14:15]
                                        ; implicit-def: $sgpr0_sgpr1
	s_branch .LBB1113_126
.LBB1113_129:
	s_set_inst_prefetch_distance 0x2
	s_or_b32 exec_lo, exec_lo, s25
	v_cmp_gt_i64_e32 vcc_lo, s[14:15], v[39:40]
	s_or_not1_b32 s1, vcc_lo, exec_lo
.LBB1113_130:
	s_or_b32 exec_lo, exec_lo, s13
	s_delay_alu instid0(SALU_CYCLE_1)
	s_and_b32 s13, s1, exec_lo
.LBB1113_131:
	s_or_b32 exec_lo, exec_lo, s24
	v_or_b32_e32 v33, 6, v55
	s_delay_alu instid0(VALU_DEP_1) | instskip(SKIP_1) | instid1(SALU_CYCLE_1)
	v_cmp_gt_u32_e32 vcc_lo, s31, v33
	s_and_b32 s0, vcc_lo, s6
	s_and_saveexec_b32 s24, s0
	s_cbranch_execz .LBB1113_140
; %bb.132:
	v_mad_u64_u32 v[33:34], null, v23, s14, s[20:21]
	s_waitcnt lgkmcnt(0)
	v_mul_lo_u32 v39, v23, s15
	v_mul_lo_u32 v40, v24, s14
	v_mad_u64_u32 v[37:38], null, v17, s14, s[20:21]
	v_mul_lo_u32 v41, v17, s15
	v_mul_lo_u32 v42, v18, s14
	s_mov_b32 s25, 0
	s_delay_alu instid0(VALU_DEP_4) | instskip(NEXT) | instid1(VALU_DEP_2)
	v_add3_u32 v34, v40, v34, v39
	v_add3_u32 v38, v42, v38, v41
	s_clause 0x1
	global_load_u8 v39, v[33:34], off
	global_load_u8 v40, v[37:38], off
	s_waitcnt vmcnt(1)
	v_cmp_ne_u16_e32 vcc_lo, 0, v39
	s_waitcnt vmcnt(0)
	v_cmp_ne_u16_e64 s0, 0, v40
	s_delay_alu instid0(VALU_DEP_1) | instskip(SKIP_2) | instid1(SALU_CYCLE_1)
	s_xor_b32 s1, vcc_lo, s0
	s_mov_b32 s0, -1
	s_xor_b32 s1, s1, -1
	s_and_saveexec_b32 s7, s1
	s_cbranch_execz .LBB1113_139
; %bb.133:
	s_mov_b64 s[4:5], 1
                                        ; implicit-def: $sgpr26
	s_set_inst_prefetch_distance 0x1
	s_branch .LBB1113_136
	.p2align	6
.LBB1113_134:                           ;   in Loop: Header=BB1113_136 Depth=1
	v_add_co_u32 v39, vcc_lo, v33, s4
	v_add_co_ci_u32_e32 v40, vcc_lo, s5, v34, vcc_lo
	v_add_co_u32 v41, vcc_lo, v37, s4
	v_add_co_ci_u32_e32 v42, vcc_lo, s5, v38, vcc_lo
	s_clause 0x1
	global_load_u8 v39, v[39:40], off
	global_load_u8 v40, v[41:42], off
	s_waitcnt vmcnt(1)
	v_cmp_ne_u16_e32 vcc_lo, 0, v39
	s_waitcnt vmcnt(0)
	v_cmp_ne_u16_e64 s0, 0, v40
	s_delay_alu instid0(VALU_DEP_1) | instskip(SKIP_4) | instid1(SALU_CYCLE_1)
	s_xor_b32 s27, vcc_lo, s0
	s_add_u32 s0, s4, 1
	s_addc_u32 s1, s5, 0
	s_and_not1_b32 s26, s26, exec_lo
	s_and_b32 s27, s27, exec_lo
	s_or_b32 s26, s26, s27
.LBB1113_135:                           ;   in Loop: Header=BB1113_136 Depth=1
	v_dual_mov_b32 v40, s5 :: v_dual_mov_b32 v39, s4
	s_and_b32 s27, exec_lo, s26
	s_mov_b64 s[4:5], s[0:1]
	s_or_b32 s25, s27, s25
	s_delay_alu instid0(SALU_CYCLE_1)
	s_and_not1_b32 exec_lo, exec_lo, s25
	s_cbranch_execz .LBB1113_138
.LBB1113_136:                           ; =>This Inner Loop Header: Depth=1
	s_or_b32 s26, s26, exec_lo
	s_cmp_eq_u64 s[14:15], s[4:5]
	s_cbranch_scc0 .LBB1113_134
; %bb.137:                              ;   in Loop: Header=BB1113_136 Depth=1
	s_mov_b64 s[4:5], s[14:15]
                                        ; implicit-def: $sgpr0_sgpr1
	s_branch .LBB1113_135
.LBB1113_138:
	s_set_inst_prefetch_distance 0x2
	s_or_b32 exec_lo, exec_lo, s25
	v_cmp_gt_i64_e32 vcc_lo, s[14:15], v[39:40]
	s_or_not1_b32 s0, vcc_lo, exec_lo
.LBB1113_139:
	s_or_b32 exec_lo, exec_lo, s7
	s_delay_alu instid0(SALU_CYCLE_1)
	s_and_b32 s7, s0, exec_lo
.LBB1113_140:
	s_or_b32 exec_lo, exec_lo, s24
	v_or_b32_e32 v33, 5, v55
	s_mov_b32 s1, -1
	s_mov_b32 s25, 0
	s_mov_b32 s24, 0
	s_delay_alu instid0(VALU_DEP_1) | instskip(SKIP_1) | instid1(SALU_CYCLE_1)
	v_cmp_gt_u32_e32 vcc_lo, s31, v33
	s_and_b32 s0, vcc_lo, s6
	s_and_saveexec_b32 s26, s0
	s_cbranch_execz .LBB1113_149
; %bb.141:
	v_mad_u64_u32 v[33:34], null, v21, s14, s[20:21]
	s_waitcnt lgkmcnt(0)
	v_mul_lo_u32 v39, v21, s15
	v_mul_lo_u32 v40, v22, s14
	v_mad_u64_u32 v[37:38], null, v23, s14, s[20:21]
	v_mul_lo_u32 v41, v23, s15
	v_mul_lo_u32 v42, v24, s14
	s_mov_b32 s27, 0
	s_delay_alu instid0(VALU_DEP_4) | instskip(NEXT) | instid1(VALU_DEP_2)
	v_add3_u32 v34, v40, v34, v39
	v_add3_u32 v38, v42, v38, v41
	s_clause 0x1
	global_load_u8 v39, v[33:34], off
	global_load_u8 v40, v[37:38], off
	s_waitcnt vmcnt(1)
	v_cmp_ne_u16_e32 vcc_lo, 0, v39
	s_waitcnt vmcnt(0)
	v_cmp_ne_u16_e64 s0, 0, v40
	s_delay_alu instid0(VALU_DEP_1) | instskip(NEXT) | instid1(SALU_CYCLE_1)
	s_xor_b32 s0, vcc_lo, s0
	s_xor_b32 s0, s0, -1
	s_delay_alu instid0(SALU_CYCLE_1)
	s_and_saveexec_b32 s24, s0
	s_cbranch_execz .LBB1113_148
; %bb.142:
	s_mov_b64 s[4:5], 1
                                        ; implicit-def: $sgpr34
	s_set_inst_prefetch_distance 0x1
	s_branch .LBB1113_145
	.p2align	6
.LBB1113_143:                           ;   in Loop: Header=BB1113_145 Depth=1
	v_add_co_u32 v39, vcc_lo, v33, s4
	v_add_co_ci_u32_e32 v40, vcc_lo, s5, v34, vcc_lo
	v_add_co_u32 v41, vcc_lo, v37, s4
	v_add_co_ci_u32_e32 v42, vcc_lo, s5, v38, vcc_lo
	s_clause 0x1
	global_load_u8 v39, v[39:40], off
	global_load_u8 v40, v[41:42], off
	s_waitcnt vmcnt(1)
	v_cmp_ne_u16_e32 vcc_lo, 0, v39
	s_waitcnt vmcnt(0)
	v_cmp_ne_u16_e64 s0, 0, v40
	s_delay_alu instid0(VALU_DEP_1) | instskip(SKIP_4) | instid1(SALU_CYCLE_1)
	s_xor_b32 s35, vcc_lo, s0
	s_add_u32 s0, s4, 1
	s_addc_u32 s1, s5, 0
	s_and_not1_b32 s34, s34, exec_lo
	s_and_b32 s35, s35, exec_lo
	s_or_b32 s34, s34, s35
.LBB1113_144:                           ;   in Loop: Header=BB1113_145 Depth=1
	v_dual_mov_b32 v40, s5 :: v_dual_mov_b32 v39, s4
	s_and_b32 s35, exec_lo, s34
	s_mov_b64 s[4:5], s[0:1]
	s_or_b32 s27, s35, s27
	s_delay_alu instid0(SALU_CYCLE_1)
	s_and_not1_b32 exec_lo, exec_lo, s27
	s_cbranch_execz .LBB1113_147
.LBB1113_145:                           ; =>This Inner Loop Header: Depth=1
	s_or_b32 s34, s34, exec_lo
	s_cmp_eq_u64 s[14:15], s[4:5]
	s_cbranch_scc0 .LBB1113_143
; %bb.146:                              ;   in Loop: Header=BB1113_145 Depth=1
	s_mov_b64 s[4:5], s[14:15]
                                        ; implicit-def: $sgpr0_sgpr1
	s_branch .LBB1113_144
.LBB1113_147:
	s_set_inst_prefetch_distance 0x2
	s_or_b32 exec_lo, exec_lo, s27
	v_cmp_gt_i64_e32 vcc_lo, s[14:15], v[39:40]
	s_or_not1_b32 s1, vcc_lo, exec_lo
.LBB1113_148:
	s_or_b32 exec_lo, exec_lo, s24
	s_delay_alu instid0(SALU_CYCLE_1)
	s_and_b32 s24, s1, exec_lo
.LBB1113_149:
	s_or_b32 exec_lo, exec_lo, s26
	v_or_b32_e32 v33, 4, v55
	s_delay_alu instid0(VALU_DEP_1) | instskip(SKIP_1) | instid1(SALU_CYCLE_1)
	v_cmp_gt_u32_e32 vcc_lo, s31, v33
	s_and_b32 s0, vcc_lo, s6
	s_and_saveexec_b32 s26, s0
	s_cbranch_execz .LBB1113_158
; %bb.150:
	v_mad_u64_u32 v[33:34], null, v27, s14, s[20:21]
	s_waitcnt lgkmcnt(0)
	v_mul_lo_u32 v39, v27, s15
	v_mul_lo_u32 v40, v28, s14
	v_mad_u64_u32 v[37:38], null, v21, s14, s[20:21]
	v_mul_lo_u32 v41, v21, s15
	v_mul_lo_u32 v42, v22, s14
	s_mov_b32 s27, 0
	s_delay_alu instid0(VALU_DEP_4) | instskip(NEXT) | instid1(VALU_DEP_2)
	v_add3_u32 v34, v40, v34, v39
	v_add3_u32 v38, v42, v38, v41
	s_clause 0x1
	global_load_u8 v39, v[33:34], off
	global_load_u8 v40, v[37:38], off
	s_waitcnt vmcnt(1)
	v_cmp_ne_u16_e32 vcc_lo, 0, v39
	s_waitcnt vmcnt(0)
	v_cmp_ne_u16_e64 s0, 0, v40
	s_delay_alu instid0(VALU_DEP_1) | instskip(SKIP_2) | instid1(SALU_CYCLE_1)
	s_xor_b32 s1, vcc_lo, s0
	s_mov_b32 s0, -1
	s_xor_b32 s1, s1, -1
	s_and_saveexec_b32 s25, s1
	s_cbranch_execz .LBB1113_157
; %bb.151:
	s_mov_b64 s[4:5], 1
                                        ; implicit-def: $sgpr34
	s_set_inst_prefetch_distance 0x1
	s_branch .LBB1113_154
	.p2align	6
.LBB1113_152:                           ;   in Loop: Header=BB1113_154 Depth=1
	v_add_co_u32 v39, vcc_lo, v33, s4
	v_add_co_ci_u32_e32 v40, vcc_lo, s5, v34, vcc_lo
	v_add_co_u32 v41, vcc_lo, v37, s4
	v_add_co_ci_u32_e32 v42, vcc_lo, s5, v38, vcc_lo
	s_clause 0x1
	global_load_u8 v39, v[39:40], off
	global_load_u8 v40, v[41:42], off
	s_waitcnt vmcnt(1)
	v_cmp_ne_u16_e32 vcc_lo, 0, v39
	s_waitcnt vmcnt(0)
	v_cmp_ne_u16_e64 s0, 0, v40
	s_delay_alu instid0(VALU_DEP_1) | instskip(SKIP_4) | instid1(SALU_CYCLE_1)
	s_xor_b32 s35, vcc_lo, s0
	s_add_u32 s0, s4, 1
	s_addc_u32 s1, s5, 0
	s_and_not1_b32 s34, s34, exec_lo
	s_and_b32 s35, s35, exec_lo
	s_or_b32 s34, s34, s35
.LBB1113_153:                           ;   in Loop: Header=BB1113_154 Depth=1
	v_dual_mov_b32 v40, s5 :: v_dual_mov_b32 v39, s4
	s_and_b32 s35, exec_lo, s34
	s_mov_b64 s[4:5], s[0:1]
	s_or_b32 s27, s35, s27
	s_delay_alu instid0(SALU_CYCLE_1)
	s_and_not1_b32 exec_lo, exec_lo, s27
	s_cbranch_execz .LBB1113_156
.LBB1113_154:                           ; =>This Inner Loop Header: Depth=1
	s_or_b32 s34, s34, exec_lo
	s_cmp_eq_u64 s[14:15], s[4:5]
	s_cbranch_scc0 .LBB1113_152
; %bb.155:                              ;   in Loop: Header=BB1113_154 Depth=1
	s_mov_b64 s[4:5], s[14:15]
                                        ; implicit-def: $sgpr0_sgpr1
	s_branch .LBB1113_153
.LBB1113_156:
	s_set_inst_prefetch_distance 0x2
	s_or_b32 exec_lo, exec_lo, s27
	v_cmp_gt_i64_e32 vcc_lo, s[14:15], v[39:40]
	s_or_not1_b32 s0, vcc_lo, exec_lo
.LBB1113_157:
	s_or_b32 exec_lo, exec_lo, s25
	s_delay_alu instid0(SALU_CYCLE_1)
	s_and_b32 s25, s0, exec_lo
.LBB1113_158:
	s_or_b32 exec_lo, exec_lo, s26
	v_or_b32_e32 v33, 3, v55
	s_mov_b32 s1, -1
	s_mov_b32 s27, 0
	s_mov_b32 s26, 0
	s_delay_alu instid0(VALU_DEP_1) | instskip(SKIP_1) | instid1(SALU_CYCLE_1)
	v_cmp_gt_u32_e32 vcc_lo, s31, v33
	s_and_b32 s0, vcc_lo, s6
	s_and_saveexec_b32 s34, s0
	s_cbranch_execz .LBB1113_167
; %bb.159:
	v_mad_u64_u32 v[33:34], null, v25, s14, s[20:21]
	s_waitcnt lgkmcnt(0)
	v_mul_lo_u32 v39, v25, s15
	v_mul_lo_u32 v40, v26, s14
	v_mad_u64_u32 v[37:38], null, v27, s14, s[20:21]
	v_mul_lo_u32 v41, v27, s15
	v_mul_lo_u32 v42, v28, s14
	s_mov_b32 s35, 0
	s_delay_alu instid0(VALU_DEP_4) | instskip(NEXT) | instid1(VALU_DEP_2)
	v_add3_u32 v34, v40, v34, v39
	v_add3_u32 v38, v42, v38, v41
	s_clause 0x1
	global_load_u8 v39, v[33:34], off
	global_load_u8 v40, v[37:38], off
	s_waitcnt vmcnt(1)
	v_cmp_ne_u16_e32 vcc_lo, 0, v39
	s_waitcnt vmcnt(0)
	v_cmp_ne_u16_e64 s0, 0, v40
	s_delay_alu instid0(VALU_DEP_1) | instskip(NEXT) | instid1(SALU_CYCLE_1)
	s_xor_b32 s0, vcc_lo, s0
	s_xor_b32 s0, s0, -1
	s_delay_alu instid0(SALU_CYCLE_1)
	s_and_saveexec_b32 s26, s0
	s_cbranch_execz .LBB1113_166
; %bb.160:
	s_mov_b64 s[4:5], 1
                                        ; implicit-def: $sgpr36
	s_set_inst_prefetch_distance 0x1
	s_branch .LBB1113_163
	.p2align	6
.LBB1113_161:                           ;   in Loop: Header=BB1113_163 Depth=1
	v_add_co_u32 v39, vcc_lo, v33, s4
	v_add_co_ci_u32_e32 v40, vcc_lo, s5, v34, vcc_lo
	v_add_co_u32 v41, vcc_lo, v37, s4
	v_add_co_ci_u32_e32 v42, vcc_lo, s5, v38, vcc_lo
	s_clause 0x1
	global_load_u8 v39, v[39:40], off
	global_load_u8 v40, v[41:42], off
	s_waitcnt vmcnt(1)
	v_cmp_ne_u16_e32 vcc_lo, 0, v39
	s_waitcnt vmcnt(0)
	v_cmp_ne_u16_e64 s0, 0, v40
	s_delay_alu instid0(VALU_DEP_1) | instskip(SKIP_4) | instid1(SALU_CYCLE_1)
	s_xor_b32 s37, vcc_lo, s0
	s_add_u32 s0, s4, 1
	s_addc_u32 s1, s5, 0
	s_and_not1_b32 s36, s36, exec_lo
	s_and_b32 s37, s37, exec_lo
	s_or_b32 s36, s36, s37
.LBB1113_162:                           ;   in Loop: Header=BB1113_163 Depth=1
	v_dual_mov_b32 v40, s5 :: v_dual_mov_b32 v39, s4
	s_and_b32 s37, exec_lo, s36
	s_mov_b64 s[4:5], s[0:1]
	s_or_b32 s35, s37, s35
	s_delay_alu instid0(SALU_CYCLE_1)
	s_and_not1_b32 exec_lo, exec_lo, s35
	s_cbranch_execz .LBB1113_165
.LBB1113_163:                           ; =>This Inner Loop Header: Depth=1
	s_or_b32 s36, s36, exec_lo
	s_cmp_eq_u64 s[14:15], s[4:5]
	s_cbranch_scc0 .LBB1113_161
; %bb.164:                              ;   in Loop: Header=BB1113_163 Depth=1
	s_mov_b64 s[4:5], s[14:15]
                                        ; implicit-def: $sgpr0_sgpr1
	s_branch .LBB1113_162
.LBB1113_165:
	s_set_inst_prefetch_distance 0x2
	s_or_b32 exec_lo, exec_lo, s35
	v_cmp_gt_i64_e32 vcc_lo, s[14:15], v[39:40]
	s_or_not1_b32 s1, vcc_lo, exec_lo
.LBB1113_166:
	s_or_b32 exec_lo, exec_lo, s26
	s_delay_alu instid0(SALU_CYCLE_1)
	s_and_b32 s26, s1, exec_lo
.LBB1113_167:
	s_or_b32 exec_lo, exec_lo, s34
	v_or_b32_e32 v33, 2, v55
	s_delay_alu instid0(VALU_DEP_1) | instskip(SKIP_1) | instid1(SALU_CYCLE_1)
	v_cmp_gt_u32_e32 vcc_lo, s31, v33
	s_and_b32 s0, vcc_lo, s6
	s_and_saveexec_b32 s34, s0
	s_cbranch_execz .LBB1113_176
; %bb.168:
	v_mad_u64_u32 v[33:34], null, v31, s14, s[20:21]
	s_waitcnt lgkmcnt(0)
	v_mul_lo_u32 v39, v31, s15
	v_mul_lo_u32 v40, v32, s14
	v_mad_u64_u32 v[37:38], null, v25, s14, s[20:21]
	v_mul_lo_u32 v41, v25, s15
	v_mul_lo_u32 v42, v26, s14
	s_mov_b32 s35, 0
	s_delay_alu instid0(VALU_DEP_4) | instskip(NEXT) | instid1(VALU_DEP_2)
	v_add3_u32 v34, v40, v34, v39
	v_add3_u32 v38, v42, v38, v41
	s_clause 0x1
	global_load_u8 v39, v[33:34], off
	global_load_u8 v40, v[37:38], off
	s_waitcnt vmcnt(1)
	v_cmp_ne_u16_e32 vcc_lo, 0, v39
	s_waitcnt vmcnt(0)
	v_cmp_ne_u16_e64 s0, 0, v40
	s_delay_alu instid0(VALU_DEP_1) | instskip(SKIP_2) | instid1(SALU_CYCLE_1)
	s_xor_b32 s1, vcc_lo, s0
	s_mov_b32 s0, -1
	s_xor_b32 s1, s1, -1
	s_and_saveexec_b32 s27, s1
	s_cbranch_execz .LBB1113_175
; %bb.169:
	s_mov_b64 s[4:5], 1
                                        ; implicit-def: $sgpr36
	s_set_inst_prefetch_distance 0x1
	s_branch .LBB1113_172
	.p2align	6
.LBB1113_170:                           ;   in Loop: Header=BB1113_172 Depth=1
	v_add_co_u32 v39, vcc_lo, v33, s4
	v_add_co_ci_u32_e32 v40, vcc_lo, s5, v34, vcc_lo
	v_add_co_u32 v41, vcc_lo, v37, s4
	v_add_co_ci_u32_e32 v42, vcc_lo, s5, v38, vcc_lo
	s_clause 0x1
	global_load_u8 v39, v[39:40], off
	global_load_u8 v40, v[41:42], off
	s_waitcnt vmcnt(1)
	v_cmp_ne_u16_e32 vcc_lo, 0, v39
	s_waitcnt vmcnt(0)
	v_cmp_ne_u16_e64 s0, 0, v40
	s_delay_alu instid0(VALU_DEP_1) | instskip(SKIP_4) | instid1(SALU_CYCLE_1)
	s_xor_b32 s37, vcc_lo, s0
	s_add_u32 s0, s4, 1
	s_addc_u32 s1, s5, 0
	s_and_not1_b32 s36, s36, exec_lo
	s_and_b32 s37, s37, exec_lo
	s_or_b32 s36, s36, s37
.LBB1113_171:                           ;   in Loop: Header=BB1113_172 Depth=1
	v_dual_mov_b32 v40, s5 :: v_dual_mov_b32 v39, s4
	s_and_b32 s37, exec_lo, s36
	s_mov_b64 s[4:5], s[0:1]
	s_or_b32 s35, s37, s35
	s_delay_alu instid0(SALU_CYCLE_1)
	s_and_not1_b32 exec_lo, exec_lo, s35
	s_cbranch_execz .LBB1113_174
.LBB1113_172:                           ; =>This Inner Loop Header: Depth=1
	s_or_b32 s36, s36, exec_lo
	s_cmp_eq_u64 s[14:15], s[4:5]
	s_cbranch_scc0 .LBB1113_170
; %bb.173:                              ;   in Loop: Header=BB1113_172 Depth=1
	s_mov_b64 s[4:5], s[14:15]
                                        ; implicit-def: $sgpr0_sgpr1
	s_branch .LBB1113_171
.LBB1113_174:
	s_set_inst_prefetch_distance 0x2
	s_or_b32 exec_lo, exec_lo, s35
	v_cmp_gt_i64_e32 vcc_lo, s[14:15], v[39:40]
	s_or_not1_b32 s0, vcc_lo, exec_lo
.LBB1113_175:
	s_or_b32 exec_lo, exec_lo, s27
	s_delay_alu instid0(SALU_CYCLE_1)
	s_and_b32 s27, s0, exec_lo
.LBB1113_176:
	s_or_b32 exec_lo, exec_lo, s34
	v_or_b32_e32 v33, 1, v55
	s_mov_b32 s1, -1
	s_mov_b32 s0, 0
	s_delay_alu instid0(VALU_DEP_1) | instskip(SKIP_1) | instid1(SALU_CYCLE_1)
	v_cmp_gt_u32_e32 vcc_lo, s31, v33
	s_and_b32 s4, vcc_lo, s6
	s_and_saveexec_b32 s34, s4
	s_cbranch_execz .LBB1113_185
; %bb.177:
	v_mad_u64_u32 v[33:34], null, v29, s14, s[20:21]
	s_waitcnt lgkmcnt(0)
	v_mul_lo_u32 v39, v29, s15
	v_mul_lo_u32 v40, v30, s14
	v_mad_u64_u32 v[37:38], null, v31, s14, s[20:21]
	v_mul_lo_u32 v41, v31, s15
	v_mul_lo_u32 v42, v32, s14
	s_mov_b32 s36, 0
	s_delay_alu instid0(VALU_DEP_4) | instskip(NEXT) | instid1(VALU_DEP_2)
	v_add3_u32 v34, v40, v34, v39
	v_add3_u32 v38, v42, v38, v41
	s_clause 0x1
	global_load_u8 v39, v[33:34], off
	global_load_u8 v40, v[37:38], off
	s_waitcnt vmcnt(1)
	v_cmp_ne_u16_e32 vcc_lo, 0, v39
	s_waitcnt vmcnt(0)
	v_cmp_ne_u16_e64 s0, 0, v40
	s_delay_alu instid0(VALU_DEP_1) | instskip(NEXT) | instid1(SALU_CYCLE_1)
	s_xor_b32 s0, vcc_lo, s0
	s_xor_b32 s0, s0, -1
	s_delay_alu instid0(SALU_CYCLE_1)
	s_and_saveexec_b32 s35, s0
	s_cbranch_execz .LBB1113_184
; %bb.178:
	s_mov_b64 s[4:5], 1
                                        ; implicit-def: $sgpr37
	s_set_inst_prefetch_distance 0x1
	s_branch .LBB1113_181
	.p2align	6
.LBB1113_179:                           ;   in Loop: Header=BB1113_181 Depth=1
	v_add_co_u32 v39, vcc_lo, v33, s4
	v_add_co_ci_u32_e32 v40, vcc_lo, s5, v34, vcc_lo
	v_add_co_u32 v41, vcc_lo, v37, s4
	v_add_co_ci_u32_e32 v42, vcc_lo, s5, v38, vcc_lo
	s_clause 0x1
	global_load_u8 v39, v[39:40], off
	global_load_u8 v40, v[41:42], off
	s_waitcnt vmcnt(1)
	v_cmp_ne_u16_e32 vcc_lo, 0, v39
	s_waitcnt vmcnt(0)
	v_cmp_ne_u16_e64 s0, 0, v40
	s_delay_alu instid0(VALU_DEP_1) | instskip(SKIP_4) | instid1(SALU_CYCLE_1)
	s_xor_b32 s38, vcc_lo, s0
	s_add_u32 s0, s4, 1
	s_addc_u32 s1, s5, 0
	s_and_not1_b32 s37, s37, exec_lo
	s_and_b32 s38, s38, exec_lo
	s_or_b32 s37, s37, s38
.LBB1113_180:                           ;   in Loop: Header=BB1113_181 Depth=1
	v_dual_mov_b32 v40, s5 :: v_dual_mov_b32 v39, s4
	s_and_b32 s38, exec_lo, s37
	s_mov_b64 s[4:5], s[0:1]
	s_or_b32 s36, s38, s36
	s_delay_alu instid0(SALU_CYCLE_1)
	s_and_not1_b32 exec_lo, exec_lo, s36
	s_cbranch_execz .LBB1113_183
.LBB1113_181:                           ; =>This Inner Loop Header: Depth=1
	s_or_b32 s37, s37, exec_lo
	s_cmp_eq_u64 s[14:15], s[4:5]
	s_cbranch_scc0 .LBB1113_179
; %bb.182:                              ;   in Loop: Header=BB1113_181 Depth=1
	s_mov_b64 s[4:5], s[14:15]
                                        ; implicit-def: $sgpr0_sgpr1
	s_branch .LBB1113_180
.LBB1113_183:
	s_set_inst_prefetch_distance 0x2
	s_or_b32 exec_lo, exec_lo, s36
	v_cmp_gt_i64_e32 vcc_lo, s[14:15], v[39:40]
	s_or_not1_b32 s1, vcc_lo, exec_lo
.LBB1113_184:
	s_or_b32 exec_lo, exec_lo, s35
	s_delay_alu instid0(SALU_CYCLE_1)
	s_and_b32 s0, s1, exec_lo
.LBB1113_185:
	s_or_b32 exec_lo, exec_lo, s34
	s_waitcnt vmcnt(0) lgkmcnt(0)
	s_barrier
	buffer_gl0_inv
	s_and_saveexec_b32 s1, s3
	s_cbranch_execz .LBB1113_187
; %bb.186:
	v_add_nc_u32_e32 v33, -8, v55
	ds_load_b64 v[35:36], v33
.LBB1113_187:
	s_or_b32 exec_lo, exec_lo, s1
	v_cndmask_b32_e64 v34, 0, 1, s26
	v_cndmask_b32_e64 v38, 0, 1, s24
	;; [unrolled: 1-line block ×7, first 2 shown]
	v_lshlrev_b16 v34, 8, v34
	v_lshlrev_b16 v38, 8, v38
	;; [unrolled: 1-line block ×3, first 2 shown]
	v_cmp_gt_u32_e32 vcc_lo, s31, v55
	v_lshlrev_b16 v41, 8, v41
	v_or_b32_e32 v33, v33, v34
	v_or_b32_e32 v34, v37, v38
	;; [unrolled: 1-line block ×3, first 2 shown]
	s_mov_b32 s1, -1
	v_and_b32_e32 v39, 0xffff, v41
	v_lshlrev_b32_e32 v40, 16, v33
	v_and_b32_e32 v41, 0xffff, v34
	v_lshlrev_b32_e32 v42, 16, v37
	s_and_b32 s4, vcc_lo, s6
	s_mov_b32 s0, 0
	s_and_saveexec_b32 s6, s4
	s_cbranch_execz .LBB1113_196
; %bb.188:
	s_waitcnt lgkmcnt(0)
	v_mad_u64_u32 v[33:34], null, v35, s14, s[20:21]
	v_mul_lo_u32 v37, v35, s15
	v_mul_lo_u32 v38, v36, s14
	v_mad_u64_u32 v[35:36], null, v29, s14, s[20:21]
	v_mul_lo_u32 v43, v29, s15
	v_mul_lo_u32 v44, v30, s14
	s_mov_b32 s13, 0
	s_delay_alu instid0(VALU_DEP_4) | instskip(NEXT) | instid1(VALU_DEP_2)
	v_add3_u32 v34, v38, v34, v37
	v_add3_u32 v36, v44, v36, v43
	s_clause 0x1
	global_load_u8 v37, v[33:34], off
	global_load_u8 v38, v[35:36], off
	s_waitcnt vmcnt(1)
	v_cmp_ne_u16_e32 vcc_lo, 0, v37
	s_waitcnt vmcnt(0)
	v_cmp_ne_u16_e64 s0, 0, v38
	s_delay_alu instid0(VALU_DEP_1) | instskip(NEXT) | instid1(SALU_CYCLE_1)
	s_xor_b32 s0, vcc_lo, s0
	s_xor_b32 s0, s0, -1
	s_delay_alu instid0(SALU_CYCLE_1)
	s_and_saveexec_b32 s7, s0
	s_cbranch_execz .LBB1113_195
; %bb.189:
	s_mov_b64 s[4:5], 1
                                        ; implicit-def: $sgpr24
	s_set_inst_prefetch_distance 0x1
	s_branch .LBB1113_192
	.p2align	6
.LBB1113_190:                           ;   in Loop: Header=BB1113_192 Depth=1
	v_add_co_u32 v37, vcc_lo, v33, s4
	v_add_co_ci_u32_e32 v38, vcc_lo, s5, v34, vcc_lo
	v_add_co_u32 v43, vcc_lo, v35, s4
	v_add_co_ci_u32_e32 v44, vcc_lo, s5, v36, vcc_lo
	s_clause 0x1
	global_load_u8 v37, v[37:38], off
	global_load_u8 v38, v[43:44], off
	s_waitcnt vmcnt(1)
	v_cmp_ne_u16_e32 vcc_lo, 0, v37
	s_waitcnt vmcnt(0)
	v_cmp_ne_u16_e64 s0, 0, v38
	s_delay_alu instid0(VALU_DEP_1) | instskip(SKIP_4) | instid1(SALU_CYCLE_1)
	s_xor_b32 s25, vcc_lo, s0
	s_add_u32 s0, s4, 1
	s_addc_u32 s1, s5, 0
	s_and_not1_b32 s24, s24, exec_lo
	s_and_b32 s25, s25, exec_lo
	s_or_b32 s24, s24, s25
.LBB1113_191:                           ;   in Loop: Header=BB1113_192 Depth=1
	v_dual_mov_b32 v38, s5 :: v_dual_mov_b32 v37, s4
	s_and_b32 s25, exec_lo, s24
	s_mov_b64 s[4:5], s[0:1]
	s_or_b32 s13, s25, s13
	s_delay_alu instid0(SALU_CYCLE_1)
	s_and_not1_b32 exec_lo, exec_lo, s13
	s_cbranch_execz .LBB1113_194
.LBB1113_192:                           ; =>This Inner Loop Header: Depth=1
	s_or_b32 s24, s24, exec_lo
	s_cmp_eq_u64 s[14:15], s[4:5]
	s_cbranch_scc0 .LBB1113_190
; %bb.193:                              ;   in Loop: Header=BB1113_192 Depth=1
	s_mov_b64 s[4:5], s[14:15]
                                        ; implicit-def: $sgpr0_sgpr1
	s_branch .LBB1113_191
.LBB1113_194:
	s_set_inst_prefetch_distance 0x2
	s_or_b32 exec_lo, exec_lo, s13
	v_cmp_gt_i64_e32 vcc_lo, s[14:15], v[37:38]
	s_or_not1_b32 s1, vcc_lo, exec_lo
.LBB1113_195:
	s_or_b32 exec_lo, exec_lo, s7
	s_delay_alu instid0(SALU_CYCLE_1)
	s_and_b32 s0, s1, exec_lo
.LBB1113_196:
	s_or_b32 exec_lo, exec_lo, s6
	v_or_b32_e32 v33, v39, v40
	v_or_b32_e32 v34, v41, v42
.LBB1113_197:
	s_mov_b32 s6, -1
	s_cbranch_execnz .LBB1113_349
.LBB1113_198:
	v_cmp_lt_i64_e64 s7, s[14:15], 1
	v_cmp_gt_i64_e64 s0, s[14:15], 0
	s_and_b32 vcc_lo, exec_lo, s29
	ds_store_b64 v55, v[19:20]
	s_cbranch_vccz .LBB1113_206
; %bb.199:
	v_cndmask_b32_e64 v42, 0, 1, s0
	s_and_not1_b32 vcc_lo, exec_lo, s0
	s_cbranch_vccnz .LBB1113_207
; %bb.200:
	v_mad_u64_u32 v[33:34], null, v17, s14, s[20:21]
	v_mul_lo_u32 v37, v17, s15
	v_mul_lo_u32 v38, v18, s14
	s_waitcnt vmcnt(0) lgkmcnt(1)
	v_mad_u64_u32 v[35:36], null, v19, s14, s[20:21]
	v_mul_lo_u32 v39, v19, s15
	v_mul_lo_u32 v40, v20, s14
	s_mov_b32 s25, 0
	s_mov_b32 s13, -1
	s_delay_alu instid0(VALU_DEP_4) | instskip(NEXT) | instid1(VALU_DEP_2)
	v_add3_u32 v34, v38, v34, v37
	v_add3_u32 v36, v40, v36, v39
	s_clause 0x1
	global_load_u8 v37, v[33:34], off
	global_load_u8 v38, v[35:36], off
	s_waitcnt vmcnt(1)
	v_cmp_ne_u16_e32 vcc_lo, 0, v37
	s_waitcnt vmcnt(0)
	v_cmp_ne_u16_e64 s0, 0, v38
	s_delay_alu instid0(VALU_DEP_1) | instskip(NEXT) | instid1(SALU_CYCLE_1)
	s_xor_b32 s0, vcc_lo, s0
	s_xor_b32 s0, s0, -1
	s_delay_alu instid0(SALU_CYCLE_1)
	s_and_saveexec_b32 s24, s0
	s_cbranch_execz .LBB1113_209
; %bb.201:
	s_mov_b64 s[4:5], 1
                                        ; implicit-def: $sgpr13
	s_set_inst_prefetch_distance 0x1
	s_branch .LBB1113_204
	.p2align	6
.LBB1113_202:                           ;   in Loop: Header=BB1113_204 Depth=1
	v_add_co_u32 v37, s0, v33, s4
	s_delay_alu instid0(VALU_DEP_1) | instskip(SKIP_1) | instid1(VALU_DEP_1)
	v_add_co_ci_u32_e64 v38, s0, s5, v34, s0
	v_add_co_u32 v39, s0, v35, s4
	v_add_co_ci_u32_e64 v40, s0, s5, v36, s0
	s_clause 0x1
	global_load_u8 v37, v[37:38], off
	global_load_u8 v38, v[39:40], off
	s_waitcnt vmcnt(1)
	v_cmp_ne_u16_e64 s0, 0, v37
	s_waitcnt vmcnt(0)
	v_cmp_ne_u16_e64 s1, 0, v38
	s_delay_alu instid0(VALU_DEP_1) | instskip(SKIP_4) | instid1(SALU_CYCLE_1)
	s_xor_b32 s26, s0, s1
	s_add_u32 s0, s4, 1
	s_addc_u32 s1, s5, 0
	s_and_not1_b32 s13, s13, exec_lo
	s_and_b32 s26, s26, exec_lo
	s_or_b32 s13, s13, s26
.LBB1113_203:                           ;   in Loop: Header=BB1113_204 Depth=1
	v_dual_mov_b32 v38, s5 :: v_dual_mov_b32 v37, s4
	s_and_b32 s26, exec_lo, s13
	s_mov_b64 s[4:5], s[0:1]
	s_or_b32 s25, s26, s25
	s_delay_alu instid0(SALU_CYCLE_1)
	s_and_not1_b32 exec_lo, exec_lo, s25
	s_cbranch_execz .LBB1113_208
.LBB1113_204:                           ; =>This Inner Loop Header: Depth=1
	s_or_b32 s13, s13, exec_lo
	s_cmp_eq_u64 s[14:15], s[4:5]
	s_cbranch_scc0 .LBB1113_202
; %bb.205:                              ;   in Loop: Header=BB1113_204 Depth=1
	s_mov_b64 s[4:5], s[14:15]
                                        ; implicit-def: $sgpr0_sgpr1
	s_branch .LBB1113_203
.LBB1113_206:
                                        ; implicit-def: $sgpr0
                                        ; implicit-def: $vgpr34
	s_cbranch_execnz .LBB1113_274
	s_branch .LBB1113_349
.LBB1113_207:
	v_mov_b32_e32 v33, 0
	s_mov_b32 s0, 0
	s_branch .LBB1113_217
.LBB1113_208:
	s_set_inst_prefetch_distance 0x2
	s_or_b32 exec_lo, exec_lo, s25
	v_cmp_gt_i64_e64 s0, s[14:15], v[37:38]
	s_delay_alu instid0(VALU_DEP_1)
	s_or_not1_b32 s13, s0, exec_lo
.LBB1113_209:
	s_or_b32 exec_lo, exec_lo, s24
	v_mad_u64_u32 v[35:36], null, v23, s14, s[20:21]
	v_mul_lo_u32 v37, v23, s15
	v_mul_lo_u32 v38, v24, s14
	s_mov_b32 s25, 0
	s_delay_alu instid0(VALU_DEP_1) | instskip(SKIP_3) | instid1(VALU_DEP_1)
	v_add3_u32 v36, v38, v36, v37
	global_load_u8 v37, v[35:36], off
	s_waitcnt vmcnt(0)
	v_cmp_ne_u16_e64 s0, 0, v37
	s_xor_b32 s1, vcc_lo, s0
	s_mov_b32 s0, -1
	s_xor_b32 s1, s1, -1
	s_delay_alu instid0(SALU_CYCLE_1)
	s_and_saveexec_b32 s24, s1
	s_cbranch_execz .LBB1113_216
; %bb.210:
	s_mov_b64 s[4:5], 1
                                        ; implicit-def: $sgpr26
	s_set_inst_prefetch_distance 0x1
	s_branch .LBB1113_213
	.p2align	6
.LBB1113_211:                           ;   in Loop: Header=BB1113_213 Depth=1
	v_add_co_u32 v37, vcc_lo, v35, s4
	v_add_co_ci_u32_e32 v38, vcc_lo, s5, v36, vcc_lo
	v_add_co_u32 v39, vcc_lo, v33, s4
	v_add_co_ci_u32_e32 v40, vcc_lo, s5, v34, vcc_lo
	s_clause 0x1
	global_load_u8 v37, v[37:38], off
	global_load_u8 v38, v[39:40], off
	s_waitcnt vmcnt(1)
	v_cmp_ne_u16_e32 vcc_lo, 0, v37
	s_waitcnt vmcnt(0)
	v_cmp_ne_u16_e64 s0, 0, v38
	s_delay_alu instid0(VALU_DEP_1) | instskip(SKIP_4) | instid1(SALU_CYCLE_1)
	s_xor_b32 s27, vcc_lo, s0
	s_add_u32 s0, s4, 1
	s_addc_u32 s1, s5, 0
	s_and_not1_b32 s26, s26, exec_lo
	s_and_b32 s27, s27, exec_lo
	s_or_b32 s26, s26, s27
.LBB1113_212:                           ;   in Loop: Header=BB1113_213 Depth=1
	v_dual_mov_b32 v38, s5 :: v_dual_mov_b32 v37, s4
	s_and_b32 s27, exec_lo, s26
	s_mov_b64 s[4:5], s[0:1]
	s_or_b32 s25, s27, s25
	s_delay_alu instid0(SALU_CYCLE_1)
	s_and_not1_b32 exec_lo, exec_lo, s25
	s_cbranch_execz .LBB1113_215
.LBB1113_213:                           ; =>This Inner Loop Header: Depth=1
	s_or_b32 s26, s26, exec_lo
	s_cmp_eq_u64 s[14:15], s[4:5]
	s_cbranch_scc0 .LBB1113_211
; %bb.214:                              ;   in Loop: Header=BB1113_213 Depth=1
	s_mov_b64 s[4:5], s[14:15]
                                        ; implicit-def: $sgpr0_sgpr1
	s_branch .LBB1113_212
.LBB1113_215:
	s_set_inst_prefetch_distance 0x2
	s_or_b32 exec_lo, exec_lo, s25
	v_cmp_gt_i64_e32 vcc_lo, s[14:15], v[37:38]
	s_or_not1_b32 s0, vcc_lo, exec_lo
.LBB1113_216:
	s_or_b32 exec_lo, exec_lo, s24
	v_cndmask_b32_e64 v33, 0, 1, s13
.LBB1113_217:
	v_and_b32_e32 v34, 0xff, v0
	s_waitcnt vmcnt(0) lgkmcnt(1)
	v_lshlrev_b16 v35, 8, v0
	v_and_b32_e32 v36, 0xff, v0
	v_lshlrev_b16 v37, 8, v0
	v_and_b32_e32 v38, 0xff, v0
	v_lshlrev_b16 v39, 8, v0
	v_lshlrev_b16 v33, 8, v33
	v_cndmask_b32_e64 v40, 0, 1, s0
	v_or_b32_e32 v34, v34, v35
	v_or_b32_e32 v35, v36, v37
	;; [unrolled: 1-line block ×3, first 2 shown]
	v_cmp_ne_u32_e32 vcc_lo, 1, v42
	v_or_b32_e32 v33, v40, v33
	v_and_b32_e32 v34, 0xffff, v34
	v_lshlrev_b32_e32 v35, 16, v35
	v_and_b32_e32 v36, 0xffff, v36
	s_delay_alu instid0(VALU_DEP_4) | instskip(NEXT) | instid1(VALU_DEP_3)
	v_lshlrev_b32_e32 v33, 16, v33
	v_or_b32_e32 v43, v34, v35
	s_delay_alu instid0(VALU_DEP_2)
	v_or_b32_e32 v40, v36, v33
	s_cbranch_vccnz .LBB1113_224
; %bb.218:
	v_mad_u64_u32 v[33:34], null, v21, s14, s[20:21]
	v_mul_lo_u32 v37, v21, s15
	v_mul_lo_u32 v38, v22, s14
	v_mad_u64_u32 v[35:36], null, v23, s14, s[20:21]
	v_mul_lo_u32 v39, v23, s15
	v_mul_lo_u32 v41, v24, s14
	s_mov_b32 s24, 0
	s_delay_alu instid0(VALU_DEP_4) | instskip(NEXT) | instid1(VALU_DEP_2)
	v_add3_u32 v34, v38, v34, v37
	v_add3_u32 v36, v41, v36, v39
	s_clause 0x1
	global_load_u8 v37, v[33:34], off
	global_load_u8 v38, v[35:36], off
	s_waitcnt vmcnt(1)
	v_cmp_ne_u16_e32 vcc_lo, 0, v37
	s_waitcnt vmcnt(0)
	v_cmp_ne_u16_e64 s0, 0, v38
	s_delay_alu instid0(VALU_DEP_1) | instskip(SKIP_2) | instid1(SALU_CYCLE_1)
	s_xor_b32 s1, vcc_lo, s0
	s_mov_b32 s0, -1
	s_xor_b32 s1, s1, -1
	s_and_saveexec_b32 s13, s1
	s_cbranch_execz .LBB1113_226
; %bb.219:
	s_mov_b64 s[4:5], 1
                                        ; implicit-def: $sgpr25
	s_set_inst_prefetch_distance 0x1
	s_branch .LBB1113_222
	.p2align	6
.LBB1113_220:                           ;   in Loop: Header=BB1113_222 Depth=1
	v_add_co_u32 v37, s0, v33, s4
	s_delay_alu instid0(VALU_DEP_1) | instskip(SKIP_1) | instid1(VALU_DEP_1)
	v_add_co_ci_u32_e64 v38, s0, s5, v34, s0
	v_add_co_u32 v44, s0, v35, s4
	v_add_co_ci_u32_e64 v45, s0, s5, v36, s0
	s_clause 0x1
	global_load_u8 v37, v[37:38], off
	global_load_u8 v38, v[44:45], off
	s_waitcnt vmcnt(1)
	v_cmp_ne_u16_e64 s0, 0, v37
	s_waitcnt vmcnt(0)
	v_cmp_ne_u16_e64 s1, 0, v38
	s_delay_alu instid0(VALU_DEP_1) | instskip(SKIP_4) | instid1(SALU_CYCLE_1)
	s_xor_b32 s26, s0, s1
	s_add_u32 s0, s4, 1
	s_addc_u32 s1, s5, 0
	s_and_not1_b32 s25, s25, exec_lo
	s_and_b32 s26, s26, exec_lo
	s_or_b32 s25, s25, s26
.LBB1113_221:                           ;   in Loop: Header=BB1113_222 Depth=1
	v_dual_mov_b32 v38, s5 :: v_dual_mov_b32 v37, s4
	s_and_b32 s26, exec_lo, s25
	s_mov_b64 s[4:5], s[0:1]
	s_or_b32 s24, s26, s24
	s_delay_alu instid0(SALU_CYCLE_1)
	s_and_not1_b32 exec_lo, exec_lo, s24
	s_cbranch_execz .LBB1113_225
.LBB1113_222:                           ; =>This Inner Loop Header: Depth=1
	s_or_b32 s25, s25, exec_lo
	s_cmp_eq_u64 s[14:15], s[4:5]
	s_cbranch_scc0 .LBB1113_220
; %bb.223:                              ;   in Loop: Header=BB1113_222 Depth=1
	s_mov_b64 s[4:5], s[14:15]
                                        ; implicit-def: $sgpr0_sgpr1
	s_branch .LBB1113_221
.LBB1113_224:
                                        ; implicit-def: $sgpr0
                                        ; implicit-def: $vgpr34_vgpr35
	s_cbranch_execnz .LBB1113_234
	s_branch .LBB1113_235
.LBB1113_225:
	s_set_inst_prefetch_distance 0x2
	s_or_b32 exec_lo, exec_lo, s24
	v_cmp_gt_i64_e64 s0, s[14:15], v[37:38]
	s_delay_alu instid0(VALU_DEP_1)
	s_or_not1_b32 s0, s0, exec_lo
.LBB1113_226:
	s_or_b32 exec_lo, exec_lo, s13
	v_mad_u64_u32 v[36:37], null, v27, s14, s[20:21]
	v_mul_lo_u32 v35, v27, s15
	v_mul_lo_u32 v38, v28, s14
	v_and_b32_e32 v39, 0xff, v40
	s_mov_b32 s13, 0
	s_delay_alu instid0(VALU_DEP_2) | instskip(SKIP_3) | instid1(VALU_DEP_1)
	v_add3_u32 v37, v38, v37, v35
	v_cndmask_b32_e64 v38, 0, 1, s0
	global_load_u8 v35, v[36:37], off
	v_lshlrev_b16 v38, 8, v38
	v_or_b32_e32 v38, v39, v38
	s_delay_alu instid0(VALU_DEP_1) | instskip(SKIP_2) | instid1(VALU_DEP_2)
	v_and_b32_e32 v38, 0xffff, v38
	s_waitcnt vmcnt(0)
	v_cmp_ne_u16_e64 s0, 0, v35
	v_and_or_b32 v35, 0xffff0000, v40, v38
	s_delay_alu instid0(VALU_DEP_2) | instskip(SKIP_2) | instid1(SALU_CYCLE_1)
	s_xor_b32 s1, vcc_lo, s0
	s_mov_b32 s0, -1
	s_xor_b32 s1, s1, -1
	s_and_saveexec_b32 s24, s1
	s_cbranch_execz .LBB1113_233
; %bb.227:
	s_mov_b64 s[4:5], 1
	s_mov_b32 s25, 0
                                        ; implicit-def: $sgpr26
	s_set_inst_prefetch_distance 0x1
	s_branch .LBB1113_230
	.p2align	6
.LBB1113_228:                           ;   in Loop: Header=BB1113_230 Depth=1
	v_add_co_u32 v38, vcc_lo, v36, s4
	v_add_co_ci_u32_e32 v39, vcc_lo, s5, v37, vcc_lo
	v_add_co_u32 v44, vcc_lo, v33, s4
	v_add_co_ci_u32_e32 v45, vcc_lo, s5, v34, vcc_lo
	s_clause 0x1
	global_load_u8 v38, v[38:39], off
	global_load_u8 v39, v[44:45], off
	s_waitcnt vmcnt(1)
	v_cmp_ne_u16_e32 vcc_lo, 0, v38
	s_waitcnt vmcnt(0)
	v_cmp_ne_u16_e64 s0, 0, v39
	s_delay_alu instid0(VALU_DEP_1) | instskip(SKIP_4) | instid1(SALU_CYCLE_1)
	s_xor_b32 s27, vcc_lo, s0
	s_add_u32 s0, s4, 1
	s_addc_u32 s1, s5, 0
	s_and_not1_b32 s26, s26, exec_lo
	s_and_b32 s27, s27, exec_lo
	s_or_b32 s26, s26, s27
.LBB1113_229:                           ;   in Loop: Header=BB1113_230 Depth=1
	v_dual_mov_b32 v39, s5 :: v_dual_mov_b32 v38, s4
	s_and_b32 s27, exec_lo, s26
	s_mov_b64 s[4:5], s[0:1]
	s_or_b32 s25, s27, s25
	s_delay_alu instid0(SALU_CYCLE_1)
	s_and_not1_b32 exec_lo, exec_lo, s25
	s_cbranch_execz .LBB1113_232
.LBB1113_230:                           ; =>This Inner Loop Header: Depth=1
	s_or_b32 s26, s26, exec_lo
	s_cmp_eq_u64 s[14:15], s[4:5]
	s_cbranch_scc0 .LBB1113_228
; %bb.231:                              ;   in Loop: Header=BB1113_230 Depth=1
	s_mov_b64 s[4:5], s[14:15]
                                        ; implicit-def: $sgpr0_sgpr1
	s_branch .LBB1113_229
.LBB1113_232:
	s_set_inst_prefetch_distance 0x2
	s_or_b32 exec_lo, exec_lo, s25
	v_cmp_gt_i64_e32 vcc_lo, s[14:15], v[38:39]
	s_or_not1_b32 s0, vcc_lo, exec_lo
.LBB1113_233:
	s_or_b32 exec_lo, exec_lo, s24
	s_delay_alu instid0(SALU_CYCLE_1)
	s_and_b32 vcc_lo, exec_lo, s13
	s_cbranch_vccz .LBB1113_235
.LBB1113_234:
	s_delay_alu instid0(VALU_DEP_1)
	v_and_b32_e32 v35, 0xffff00ff, v40
	s_and_not1_b32 s0, s0, exec_lo
.LBB1113_235:
	s_delay_alu instid0(VALU_DEP_1) | instskip(SKIP_2) | instid1(VALU_DEP_2)
	v_and_b32_e32 v33, 0xffffff00, v35
	v_cndmask_b32_e64 v34, 0, 1, s0
	v_cmp_ne_u32_e32 vcc_lo, 1, v42
	v_or_b32_e32 v33, v34, v33
	s_delay_alu instid0(VALU_DEP_1) | instskip(NEXT) | instid1(VALU_DEP_1)
	v_and_b32_e32 v33, 0xffff, v33
	v_and_or_b32 v34, 0xffff0000, v35, v33
	s_cbranch_vccnz .LBB1113_242
; %bb.236:
	v_mad_u64_u32 v[36:37], null, v25, s14, s[20:21]
	v_mul_lo_u32 v33, v25, s15
	v_mul_lo_u32 v35, v26, s14
	v_mad_u64_u32 v[38:39], null, v27, s14, s[20:21]
	v_mul_lo_u32 v40, v27, s15
	v_mul_lo_u32 v41, v28, s14
	s_delay_alu instid0(VALU_DEP_4) | instskip(NEXT) | instid1(VALU_DEP_2)
	v_add3_u32 v37, v35, v37, v33
	v_add3_u32 v39, v41, v39, v40
	s_clause 0x1
	global_load_u8 v33, v[36:37], off
	global_load_u8 v35, v[38:39], off
	s_waitcnt vmcnt(1)
	v_cmp_ne_u16_e32 vcc_lo, 0, v33
	s_waitcnt vmcnt(0)
	v_cmp_ne_u16_e64 s0, 0, v35
	s_delay_alu instid0(VALU_DEP_1) | instskip(SKIP_2) | instid1(SALU_CYCLE_1)
	s_xor_b32 s1, vcc_lo, s0
	s_mov_b32 s0, -1
	s_xor_b32 s1, s1, -1
	s_and_saveexec_b32 s13, s1
	s_cbranch_execz .LBB1113_244
; %bb.237:
	s_mov_b64 s[4:5], 1
	s_mov_b32 s24, 0
                                        ; implicit-def: $sgpr25
	s_set_inst_prefetch_distance 0x1
	s_branch .LBB1113_240
	.p2align	6
.LBB1113_238:                           ;   in Loop: Header=BB1113_240 Depth=1
	v_add_co_u32 v40, s0, v36, s4
	s_delay_alu instid0(VALU_DEP_1) | instskip(SKIP_1) | instid1(VALU_DEP_1)
	v_add_co_ci_u32_e64 v41, s0, s5, v37, s0
	v_add_co_u32 v44, s0, v38, s4
	v_add_co_ci_u32_e64 v45, s0, s5, v39, s0
	s_clause 0x1
	global_load_u8 v33, v[40:41], off
	global_load_u8 v35, v[44:45], off
	s_waitcnt vmcnt(1)
	v_cmp_ne_u16_e64 s0, 0, v33
	s_waitcnt vmcnt(0)
	v_cmp_ne_u16_e64 s1, 0, v35
	s_delay_alu instid0(VALU_DEP_1) | instskip(SKIP_4) | instid1(SALU_CYCLE_1)
	s_xor_b32 s26, s0, s1
	s_add_u32 s0, s4, 1
	s_addc_u32 s1, s5, 0
	s_and_not1_b32 s25, s25, exec_lo
	s_and_b32 s26, s26, exec_lo
	s_or_b32 s25, s25, s26
.LBB1113_239:                           ;   in Loop: Header=BB1113_240 Depth=1
	v_dual_mov_b32 v41, s5 :: v_dual_mov_b32 v40, s4
	s_and_b32 s26, exec_lo, s25
	s_mov_b64 s[4:5], s[0:1]
	s_or_b32 s24, s26, s24
	s_delay_alu instid0(SALU_CYCLE_1)
	s_and_not1_b32 exec_lo, exec_lo, s24
	s_cbranch_execz .LBB1113_243
.LBB1113_240:                           ; =>This Inner Loop Header: Depth=1
	s_or_b32 s25, s25, exec_lo
	s_cmp_eq_u64 s[14:15], s[4:5]
	s_cbranch_scc0 .LBB1113_238
; %bb.241:                              ;   in Loop: Header=BB1113_240 Depth=1
	s_mov_b64 s[4:5], s[14:15]
                                        ; implicit-def: $sgpr0_sgpr1
	s_branch .LBB1113_239
.LBB1113_242:
                                        ; implicit-def: $sgpr13
                                        ; implicit-def: $vgpr35_vgpr36
	s_cbranch_execnz .LBB1113_252
	s_branch .LBB1113_253
.LBB1113_243:
	s_set_inst_prefetch_distance 0x2
	s_or_b32 exec_lo, exec_lo, s24
	v_cmp_gt_i64_e64 s0, s[14:15], v[40:41]
	s_delay_alu instid0(VALU_DEP_1)
	s_or_not1_b32 s0, s0, exec_lo
.LBB1113_244:
	s_or_b32 exec_lo, exec_lo, s13
	v_mad_u64_u32 v[38:39], null, v31, s14, s[20:21]
	v_mul_lo_u32 v33, v31, s15
	v_mul_lo_u32 v35, v32, s14
	v_cndmask_b32_e64 v40, 0, 1, s0
	s_mov_b32 s24, 0
	s_mov_b32 s13, -1
	s_delay_alu instid0(VALU_DEP_1) | instskip(NEXT) | instid1(VALU_DEP_3)
	v_lshlrev_b16 v40, 8, v40
	v_add3_u32 v39, v35, v39, v33
	v_lshrrev_b32_e32 v35, 16, v43
	global_load_u8 v33, v[38:39], off
	v_and_b32_e32 v35, 0xff, v35
	s_delay_alu instid0(VALU_DEP_1) | instskip(NEXT) | instid1(VALU_DEP_1)
	v_or_b32_e32 v35, v35, v40
	v_lshlrev_b32_e32 v35, 16, v35
	s_delay_alu instid0(VALU_DEP_1) | instskip(SKIP_2) | instid1(VALU_DEP_1)
	v_and_or_b32 v35, 0xffff, v43, v35
	s_waitcnt vmcnt(0)
	v_cmp_ne_u16_e64 s0, 0, v33
	s_xor_b32 s0, vcc_lo, s0
	s_delay_alu instid0(SALU_CYCLE_1) | instskip(NEXT) | instid1(SALU_CYCLE_1)
	s_xor_b32 s0, s0, -1
	s_and_saveexec_b32 s25, s0
	s_cbranch_execz .LBB1113_251
; %bb.245:
	s_mov_b64 s[4:5], 1
	s_mov_b32 s13, 0
                                        ; implicit-def: $sgpr26
	s_set_inst_prefetch_distance 0x1
	s_branch .LBB1113_248
	.p2align	6
.LBB1113_246:                           ;   in Loop: Header=BB1113_248 Depth=1
	v_add_co_u32 v40, vcc_lo, v38, s4
	v_add_co_ci_u32_e32 v41, vcc_lo, s5, v39, vcc_lo
	v_add_co_u32 v44, vcc_lo, v36, s4
	v_add_co_ci_u32_e32 v45, vcc_lo, s5, v37, vcc_lo
	s_clause 0x1
	global_load_u8 v33, v[40:41], off
	global_load_u8 v40, v[44:45], off
	s_waitcnt vmcnt(1)
	v_cmp_ne_u16_e32 vcc_lo, 0, v33
	s_waitcnt vmcnt(0)
	v_cmp_ne_u16_e64 s0, 0, v40
	s_delay_alu instid0(VALU_DEP_1) | instskip(SKIP_4) | instid1(SALU_CYCLE_1)
	s_xor_b32 s27, vcc_lo, s0
	s_add_u32 s0, s4, 1
	s_addc_u32 s1, s5, 0
	s_and_not1_b32 s26, s26, exec_lo
	s_and_b32 s27, s27, exec_lo
	s_or_b32 s26, s26, s27
.LBB1113_247:                           ;   in Loop: Header=BB1113_248 Depth=1
	v_dual_mov_b32 v41, s5 :: v_dual_mov_b32 v40, s4
	s_and_b32 s27, exec_lo, s26
	s_mov_b64 s[4:5], s[0:1]
	s_or_b32 s13, s27, s13
	s_delay_alu instid0(SALU_CYCLE_1)
	s_and_not1_b32 exec_lo, exec_lo, s13
	s_cbranch_execz .LBB1113_250
.LBB1113_248:                           ; =>This Inner Loop Header: Depth=1
	s_or_b32 s26, s26, exec_lo
	s_cmp_eq_u64 s[14:15], s[4:5]
	s_cbranch_scc0 .LBB1113_246
; %bb.249:                              ;   in Loop: Header=BB1113_248 Depth=1
	s_mov_b64 s[4:5], s[14:15]
                                        ; implicit-def: $sgpr0_sgpr1
	s_branch .LBB1113_247
.LBB1113_250:
	s_set_inst_prefetch_distance 0x2
	s_or_b32 exec_lo, exec_lo, s13
	v_cmp_gt_i64_e32 vcc_lo, s[14:15], v[40:41]
	s_or_not1_b32 s13, vcc_lo, exec_lo
.LBB1113_251:
	s_or_b32 exec_lo, exec_lo, s25
	s_delay_alu instid0(SALU_CYCLE_1)
	s_and_b32 vcc_lo, exec_lo, s24
	s_cbranch_vccz .LBB1113_253
.LBB1113_252:
	v_and_b32_e32 v35, 0xffffff, v43
	s_and_not1_b32 s13, s13, exec_lo
.LBB1113_253:
	v_cmp_ne_u32_e32 vcc_lo, 1, v42
	s_mov_b32 s0, 0
	s_cbranch_vccnz .LBB1113_262
; %bb.254:
	v_mad_u64_u32 v[36:37], null, v29, s14, s[20:21]
	v_mul_lo_u32 v33, v29, s15
	v_mul_lo_u32 v40, v30, s14
	v_mad_u64_u32 v[38:39], null, v31, s14, s[20:21]
	v_mul_lo_u32 v41, v31, s15
	v_mul_lo_u32 v43, v32, s14
	s_mov_b32 s25, 0
	s_delay_alu instid0(VALU_DEP_4) | instskip(NEXT) | instid1(VALU_DEP_2)
	v_add3_u32 v37, v40, v37, v33
	v_add3_u32 v39, v43, v39, v41
	s_clause 0x1
	global_load_u8 v33, v[36:37], off
	global_load_u8 v40, v[38:39], off
	s_waitcnt vmcnt(1)
	v_cmp_ne_u16_e32 vcc_lo, 0, v33
	s_waitcnt vmcnt(0)
	v_cmp_ne_u16_e64 s0, 0, v40
	s_delay_alu instid0(VALU_DEP_1) | instskip(SKIP_2) | instid1(SALU_CYCLE_1)
	s_xor_b32 s1, vcc_lo, s0
	s_mov_b32 s0, -1
	s_xor_b32 s1, s1, -1
	s_and_saveexec_b32 s24, s1
	s_cbranch_execz .LBB1113_261
; %bb.255:
	s_mov_b64 s[4:5], 1
                                        ; implicit-def: $sgpr26
	s_set_inst_prefetch_distance 0x1
	s_branch .LBB1113_258
	.p2align	6
.LBB1113_256:                           ;   in Loop: Header=BB1113_258 Depth=1
	v_add_co_u32 v40, vcc_lo, v36, s4
	v_add_co_ci_u32_e32 v41, vcc_lo, s5, v37, vcc_lo
	v_add_co_u32 v43, vcc_lo, v38, s4
	v_add_co_ci_u32_e32 v44, vcc_lo, s5, v39, vcc_lo
	s_clause 0x1
	global_load_u8 v33, v[40:41], off
	global_load_u8 v40, v[43:44], off
	s_waitcnt vmcnt(1)
	v_cmp_ne_u16_e32 vcc_lo, 0, v33
	s_waitcnt vmcnt(0)
	v_cmp_ne_u16_e64 s0, 0, v40
	s_delay_alu instid0(VALU_DEP_1) | instskip(SKIP_4) | instid1(SALU_CYCLE_1)
	s_xor_b32 s27, vcc_lo, s0
	s_add_u32 s0, s4, 1
	s_addc_u32 s1, s5, 0
	s_and_not1_b32 s26, s26, exec_lo
	s_and_b32 s27, s27, exec_lo
	s_or_b32 s26, s26, s27
.LBB1113_257:                           ;   in Loop: Header=BB1113_258 Depth=1
	v_dual_mov_b32 v41, s5 :: v_dual_mov_b32 v40, s4
	s_and_b32 s27, exec_lo, s26
	s_mov_b64 s[4:5], s[0:1]
	s_or_b32 s25, s27, s25
	s_delay_alu instid0(SALU_CYCLE_1)
	s_and_not1_b32 exec_lo, exec_lo, s25
	s_cbranch_execz .LBB1113_260
.LBB1113_258:                           ; =>This Inner Loop Header: Depth=1
	s_or_b32 s26, s26, exec_lo
	s_cmp_eq_u64 s[14:15], s[4:5]
	s_cbranch_scc0 .LBB1113_256
; %bb.259:                              ;   in Loop: Header=BB1113_258 Depth=1
	s_mov_b64 s[4:5], s[14:15]
                                        ; implicit-def: $sgpr0_sgpr1
	s_branch .LBB1113_257
.LBB1113_260:
	s_set_inst_prefetch_distance 0x2
	s_or_b32 exec_lo, exec_lo, s25
	v_cmp_gt_i64_e32 vcc_lo, s[14:15], v[40:41]
	s_or_not1_b32 s0, vcc_lo, exec_lo
.LBB1113_261:
	s_or_b32 exec_lo, exec_lo, s24
.LBB1113_262:
	v_cndmask_b32_e64 v33, 0, 1, s0
	v_lshrrev_b32_e32 v35, 16, v35
	v_cndmask_b32_e64 v36, 0, 1, s13
	s_waitcnt lgkmcnt(0)
	s_barrier
	v_lshlrev_b16 v33, 8, v33
	v_and_b32_e32 v35, 0xffffff00, v35
	buffer_gl0_inv
                                        ; implicit-def: $sgpr0
	v_or_b32_e32 v33, 1, v33
	v_or_b32_e32 v35, v36, v35
	s_delay_alu instid0(VALU_DEP_2) | instskip(NEXT) | instid1(VALU_DEP_2)
	v_and_b32_e32 v33, 0xffff, v33
	v_lshlrev_b32_e32 v35, 16, v35
	s_delay_alu instid0(VALU_DEP_1) | instskip(SKIP_1) | instid1(SALU_CYCLE_1)
	v_or_b32_e32 v33, v33, v35
	s_and_saveexec_b32 s1, s3
	s_xor_b32 s13, exec_lo, s1
	s_cbranch_execz .LBB1113_273
; %bb.263:
	v_cmp_ne_u32_e32 vcc_lo, 1, v42
	s_mov_b32 s0, 0
	s_cbranch_vccnz .LBB1113_272
; %bb.264:
	v_add_nc_u32_e32 v35, -8, v55
	v_mul_lo_u32 v41, v29, s15
	s_mov_b32 s25, 0
	ds_load_b64 v[39:40], v35
	v_mad_u64_u32 v[35:36], null, v29, s14, s[20:21]
	s_waitcnt lgkmcnt(0)
	v_mul_lo_u32 v42, v39, s15
	v_mul_lo_u32 v40, v40, s14
	v_mad_u64_u32 v[37:38], null, v39, s14, s[20:21]
	v_mul_lo_u32 v39, v30, s14
	s_delay_alu instid0(VALU_DEP_2) | instskip(NEXT) | instid1(VALU_DEP_2)
	v_add3_u32 v38, v40, v38, v42
	v_add3_u32 v36, v39, v36, v41
	s_clause 0x1
	global_load_u8 v39, v[37:38], off
	global_load_u8 v40, v[35:36], off
	s_waitcnt vmcnt(1)
	v_cmp_ne_u16_e32 vcc_lo, 0, v39
	s_waitcnt vmcnt(0)
	v_cmp_ne_u16_e64 s0, 0, v40
	s_delay_alu instid0(VALU_DEP_1) | instskip(SKIP_2) | instid1(SALU_CYCLE_1)
	s_xor_b32 s1, vcc_lo, s0
	s_mov_b32 s0, -1
	s_xor_b32 s1, s1, -1
	s_and_saveexec_b32 s24, s1
	s_cbranch_execz .LBB1113_271
; %bb.265:
	s_mov_b64 s[4:5], 1
                                        ; implicit-def: $sgpr26
	s_set_inst_prefetch_distance 0x1
	s_branch .LBB1113_268
	.p2align	6
.LBB1113_266:                           ;   in Loop: Header=BB1113_268 Depth=1
	v_add_co_u32 v39, vcc_lo, v37, s4
	v_add_co_ci_u32_e32 v40, vcc_lo, s5, v38, vcc_lo
	v_add_co_u32 v41, vcc_lo, v35, s4
	v_add_co_ci_u32_e32 v42, vcc_lo, s5, v36, vcc_lo
	s_clause 0x1
	global_load_u8 v39, v[39:40], off
	global_load_u8 v40, v[41:42], off
	s_waitcnt vmcnt(1)
	v_cmp_ne_u16_e32 vcc_lo, 0, v39
	s_waitcnt vmcnt(0)
	v_cmp_ne_u16_e64 s0, 0, v40
	s_delay_alu instid0(VALU_DEP_1) | instskip(SKIP_4) | instid1(SALU_CYCLE_1)
	s_xor_b32 s27, vcc_lo, s0
	s_add_u32 s0, s4, 1
	s_addc_u32 s1, s5, 0
	s_and_not1_b32 s26, s26, exec_lo
	s_and_b32 s27, s27, exec_lo
	s_or_b32 s26, s26, s27
.LBB1113_267:                           ;   in Loop: Header=BB1113_268 Depth=1
	v_dual_mov_b32 v40, s5 :: v_dual_mov_b32 v39, s4
	s_and_b32 s27, exec_lo, s26
	s_mov_b64 s[4:5], s[0:1]
	s_or_b32 s25, s27, s25
	s_delay_alu instid0(SALU_CYCLE_1)
	s_and_not1_b32 exec_lo, exec_lo, s25
	s_cbranch_execz .LBB1113_270
.LBB1113_268:                           ; =>This Inner Loop Header: Depth=1
	s_or_b32 s26, s26, exec_lo
	s_cmp_eq_u64 s[14:15], s[4:5]
	s_cbranch_scc0 .LBB1113_266
; %bb.269:                              ;   in Loop: Header=BB1113_268 Depth=1
	s_mov_b64 s[4:5], s[14:15]
                                        ; implicit-def: $sgpr0_sgpr1
	s_branch .LBB1113_267
.LBB1113_270:
	s_set_inst_prefetch_distance 0x2
	s_or_b32 exec_lo, exec_lo, s25
	v_cmp_gt_i64_e32 vcc_lo, s[14:15], v[39:40]
	s_or_not1_b32 s0, vcc_lo, exec_lo
.LBB1113_271:
	s_or_b32 exec_lo, exec_lo, s24
.LBB1113_272:
	s_delay_alu instid0(SALU_CYCLE_1)
	s_and_b32 s0, s0, exec_lo
	s_or_b32 s6, s6, exec_lo
.LBB1113_273:
	s_or_b32 exec_lo, exec_lo, s13
	s_branch .LBB1113_349
.LBB1113_274:
	v_or_b32_e32 v33, 7, v55
	s_waitcnt lgkmcnt(1)
	v_mul_lo_u32 v40, v17, s15
	v_mul_lo_u32 v42, v18, s14
	s_xor_b32 s7, s7, -1
	s_mov_b32 s1, -1
	v_cmp_gt_u32_e32 vcc_lo, s31, v33
	s_mov_b32 s13, 0
	s_mov_b32 s24, 0
	s_and_b32 s0, vcc_lo, s7
	s_delay_alu instid0(SALU_CYCLE_1)
	s_and_saveexec_b32 s25, s0
	s_cbranch_execz .LBB1113_283
; %bb.275:
	v_mad_u64_u32 v[33:34], null, v17, s14, s[20:21]
	s_waitcnt vmcnt(0)
	v_mad_u64_u32 v[35:36], null, v19, s14, s[20:21]
	v_mul_lo_u32 v37, v19, s15
	v_mul_lo_u32 v38, v20, s14
	s_mov_b32 s26, 0
	s_delay_alu instid0(VALU_DEP_4) | instskip(NEXT) | instid1(VALU_DEP_2)
	v_add3_u32 v34, v42, v34, v40
	v_add3_u32 v36, v38, v36, v37
	s_clause 0x1
	global_load_u8 v37, v[33:34], off
	global_load_u8 v38, v[35:36], off
	s_waitcnt vmcnt(1)
	v_cmp_ne_u16_e32 vcc_lo, 0, v37
	s_waitcnt vmcnt(0)
	v_cmp_ne_u16_e64 s0, 0, v38
	s_delay_alu instid0(VALU_DEP_1) | instskip(NEXT) | instid1(SALU_CYCLE_1)
	s_xor_b32 s0, vcc_lo, s0
	s_xor_b32 s0, s0, -1
	s_delay_alu instid0(SALU_CYCLE_1)
	s_and_saveexec_b32 s24, s0
	s_cbranch_execz .LBB1113_282
; %bb.276:
	s_mov_b64 s[4:5], 1
                                        ; implicit-def: $sgpr27
	s_set_inst_prefetch_distance 0x1
	s_branch .LBB1113_279
	.p2align	6
.LBB1113_277:                           ;   in Loop: Header=BB1113_279 Depth=1
	v_add_co_u32 v37, vcc_lo, v33, s4
	v_add_co_ci_u32_e32 v38, vcc_lo, s5, v34, vcc_lo
	v_add_co_u32 v43, vcc_lo, v35, s4
	v_add_co_ci_u32_e32 v44, vcc_lo, s5, v36, vcc_lo
	s_clause 0x1
	global_load_u8 v37, v[37:38], off
	global_load_u8 v38, v[43:44], off
	s_waitcnt vmcnt(1)
	v_cmp_ne_u16_e32 vcc_lo, 0, v37
	s_waitcnt vmcnt(0)
	v_cmp_ne_u16_e64 s0, 0, v38
	s_delay_alu instid0(VALU_DEP_1) | instskip(SKIP_4) | instid1(SALU_CYCLE_1)
	s_xor_b32 s34, vcc_lo, s0
	s_add_u32 s0, s4, 1
	s_addc_u32 s1, s5, 0
	s_and_not1_b32 s27, s27, exec_lo
	s_and_b32 s34, s34, exec_lo
	s_or_b32 s27, s27, s34
.LBB1113_278:                           ;   in Loop: Header=BB1113_279 Depth=1
	v_dual_mov_b32 v38, s5 :: v_dual_mov_b32 v37, s4
	s_and_b32 s34, exec_lo, s27
	s_mov_b64 s[4:5], s[0:1]
	s_or_b32 s26, s34, s26
	s_delay_alu instid0(SALU_CYCLE_1)
	s_and_not1_b32 exec_lo, exec_lo, s26
	s_cbranch_execz .LBB1113_281
.LBB1113_279:                           ; =>This Inner Loop Header: Depth=1
	s_or_b32 s27, s27, exec_lo
	s_cmp_eq_u64 s[14:15], s[4:5]
	s_cbranch_scc0 .LBB1113_277
; %bb.280:                              ;   in Loop: Header=BB1113_279 Depth=1
	s_mov_b64 s[4:5], s[14:15]
                                        ; implicit-def: $sgpr0_sgpr1
	s_branch .LBB1113_278
.LBB1113_281:
	s_set_inst_prefetch_distance 0x2
	s_or_b32 exec_lo, exec_lo, s26
	v_cmp_gt_i64_e32 vcc_lo, s[14:15], v[37:38]
	s_or_not1_b32 s1, vcc_lo, exec_lo
.LBB1113_282:
	s_or_b32 exec_lo, exec_lo, s24
	s_delay_alu instid0(SALU_CYCLE_1)
	s_and_b32 s24, s1, exec_lo
.LBB1113_283:
	s_or_b32 exec_lo, exec_lo, s25
	v_or_b32_e32 v33, 6, v55
	v_mul_lo_u32 v39, v23, s15
	v_mul_lo_u32 v41, v24, s14
	s_delay_alu instid0(VALU_DEP_3) | instskip(SKIP_1) | instid1(SALU_CYCLE_1)
	v_cmp_gt_u32_e32 vcc_lo, s31, v33
	s_and_b32 s0, vcc_lo, s7
	s_and_saveexec_b32 s25, s0
	s_cbranch_execz .LBB1113_292
; %bb.284:
	v_mad_u64_u32 v[33:34], null, v23, s14, s[20:21]
	s_waitcnt vmcnt(0)
	v_mad_u64_u32 v[35:36], null, v17, s14, s[20:21]
	s_mov_b32 s26, 0
	s_delay_alu instid0(VALU_DEP_2) | instskip(NEXT) | instid1(VALU_DEP_2)
	v_add3_u32 v34, v41, v34, v39
	v_add3_u32 v36, v42, v36, v40
	s_clause 0x1
	global_load_u8 v37, v[33:34], off
	global_load_u8 v38, v[35:36], off
	s_waitcnt vmcnt(1)
	v_cmp_ne_u16_e32 vcc_lo, 0, v37
	s_waitcnt vmcnt(0)
	v_cmp_ne_u16_e64 s0, 0, v38
	s_delay_alu instid0(VALU_DEP_1) | instskip(SKIP_2) | instid1(SALU_CYCLE_1)
	s_xor_b32 s1, vcc_lo, s0
	s_mov_b32 s0, -1
	s_xor_b32 s1, s1, -1
	s_and_saveexec_b32 s13, s1
	s_cbranch_execz .LBB1113_291
; %bb.285:
	s_mov_b64 s[4:5], 1
                                        ; implicit-def: $sgpr27
	s_set_inst_prefetch_distance 0x1
	s_branch .LBB1113_288
	.p2align	6
.LBB1113_286:                           ;   in Loop: Header=BB1113_288 Depth=1
	v_add_co_u32 v37, vcc_lo, v33, s4
	v_add_co_ci_u32_e32 v38, vcc_lo, s5, v34, vcc_lo
	v_add_co_u32 v42, vcc_lo, v35, s4
	v_add_co_ci_u32_e32 v43, vcc_lo, s5, v36, vcc_lo
	s_clause 0x1
	global_load_u8 v37, v[37:38], off
	global_load_u8 v38, v[42:43], off
	s_waitcnt vmcnt(1)
	v_cmp_ne_u16_e32 vcc_lo, 0, v37
	s_waitcnt vmcnt(0)
	v_cmp_ne_u16_e64 s0, 0, v38
	s_delay_alu instid0(VALU_DEP_1) | instskip(SKIP_4) | instid1(SALU_CYCLE_1)
	s_xor_b32 s34, vcc_lo, s0
	s_add_u32 s0, s4, 1
	s_addc_u32 s1, s5, 0
	s_and_not1_b32 s27, s27, exec_lo
	s_and_b32 s34, s34, exec_lo
	s_or_b32 s27, s27, s34
.LBB1113_287:                           ;   in Loop: Header=BB1113_288 Depth=1
	v_dual_mov_b32 v38, s5 :: v_dual_mov_b32 v37, s4
	s_and_b32 s34, exec_lo, s27
	s_mov_b64 s[4:5], s[0:1]
	s_or_b32 s26, s34, s26
	s_delay_alu instid0(SALU_CYCLE_1)
	s_and_not1_b32 exec_lo, exec_lo, s26
	s_cbranch_execz .LBB1113_290
.LBB1113_288:                           ; =>This Inner Loop Header: Depth=1
	s_or_b32 s27, s27, exec_lo
	s_cmp_eq_u64 s[14:15], s[4:5]
	s_cbranch_scc0 .LBB1113_286
; %bb.289:                              ;   in Loop: Header=BB1113_288 Depth=1
	s_mov_b64 s[4:5], s[14:15]
                                        ; implicit-def: $sgpr0_sgpr1
	s_branch .LBB1113_287
.LBB1113_290:
	s_set_inst_prefetch_distance 0x2
	s_or_b32 exec_lo, exec_lo, s26
	v_cmp_gt_i64_e32 vcc_lo, s[14:15], v[37:38]
	s_or_not1_b32 s0, vcc_lo, exec_lo
.LBB1113_291:
	s_or_b32 exec_lo, exec_lo, s13
	s_delay_alu instid0(SALU_CYCLE_1)
	s_and_b32 s13, s0, exec_lo
.LBB1113_292:
	s_or_b32 exec_lo, exec_lo, s25
	v_or_b32_e32 v33, 5, v55
	v_mul_lo_u32 v42, v21, s15
	v_mul_lo_u32 v43, v22, s14
	s_mov_b32 s1, -1
	s_mov_b32 s25, 0
	v_cmp_gt_u32_e32 vcc_lo, s31, v33
	s_mov_b32 s26, 0
	s_and_b32 s0, vcc_lo, s7
	s_delay_alu instid0(SALU_CYCLE_1)
	s_and_saveexec_b32 s27, s0
	s_cbranch_execz .LBB1113_301
; %bb.293:
	v_mad_u64_u32 v[33:34], null, v21, s14, s[20:21]
	s_waitcnt vmcnt(0)
	v_mad_u64_u32 v[35:36], null, v23, s14, s[20:21]
	s_mov_b32 s34, 0
	s_delay_alu instid0(VALU_DEP_2) | instskip(NEXT) | instid1(VALU_DEP_2)
	v_add3_u32 v34, v43, v34, v42
	v_add3_u32 v36, v41, v36, v39
	s_clause 0x1
	global_load_u8 v37, v[33:34], off
	global_load_u8 v38, v[35:36], off
	s_waitcnt vmcnt(1)
	v_cmp_ne_u16_e32 vcc_lo, 0, v37
	s_waitcnt vmcnt(0)
	v_cmp_ne_u16_e64 s0, 0, v38
	s_delay_alu instid0(VALU_DEP_1) | instskip(NEXT) | instid1(SALU_CYCLE_1)
	s_xor_b32 s0, vcc_lo, s0
	s_xor_b32 s0, s0, -1
	s_delay_alu instid0(SALU_CYCLE_1)
	s_and_saveexec_b32 s26, s0
	s_cbranch_execz .LBB1113_300
; %bb.294:
	s_mov_b64 s[4:5], 1
                                        ; implicit-def: $sgpr35
	s_set_inst_prefetch_distance 0x1
	s_branch .LBB1113_297
	.p2align	6
.LBB1113_295:                           ;   in Loop: Header=BB1113_297 Depth=1
	v_add_co_u32 v37, vcc_lo, v33, s4
	v_add_co_ci_u32_e32 v38, vcc_lo, s5, v34, vcc_lo
	v_add_co_u32 v39, vcc_lo, v35, s4
	v_add_co_ci_u32_e32 v40, vcc_lo, s5, v36, vcc_lo
	s_clause 0x1
	global_load_u8 v37, v[37:38], off
	global_load_u8 v38, v[39:40], off
	s_waitcnt vmcnt(1)
	v_cmp_ne_u16_e32 vcc_lo, 0, v37
	s_waitcnt vmcnt(0)
	v_cmp_ne_u16_e64 s0, 0, v38
	s_delay_alu instid0(VALU_DEP_1) | instskip(SKIP_4) | instid1(SALU_CYCLE_1)
	s_xor_b32 s36, vcc_lo, s0
	s_add_u32 s0, s4, 1
	s_addc_u32 s1, s5, 0
	s_and_not1_b32 s35, s35, exec_lo
	s_and_b32 s36, s36, exec_lo
	s_or_b32 s35, s35, s36
.LBB1113_296:                           ;   in Loop: Header=BB1113_297 Depth=1
	v_dual_mov_b32 v38, s5 :: v_dual_mov_b32 v37, s4
	s_and_b32 s36, exec_lo, s35
	s_mov_b64 s[4:5], s[0:1]
	s_or_b32 s34, s36, s34
	s_delay_alu instid0(SALU_CYCLE_1)
	s_and_not1_b32 exec_lo, exec_lo, s34
	s_cbranch_execz .LBB1113_299
.LBB1113_297:                           ; =>This Inner Loop Header: Depth=1
	s_or_b32 s35, s35, exec_lo
	s_cmp_eq_u64 s[14:15], s[4:5]
	s_cbranch_scc0 .LBB1113_295
; %bb.298:                              ;   in Loop: Header=BB1113_297 Depth=1
	s_mov_b64 s[4:5], s[14:15]
                                        ; implicit-def: $sgpr0_sgpr1
	s_branch .LBB1113_296
.LBB1113_299:
	s_set_inst_prefetch_distance 0x2
	s_or_b32 exec_lo, exec_lo, s34
	v_cmp_gt_i64_e32 vcc_lo, s[14:15], v[37:38]
	s_or_not1_b32 s1, vcc_lo, exec_lo
.LBB1113_300:
	s_or_b32 exec_lo, exec_lo, s26
	s_delay_alu instid0(SALU_CYCLE_1)
	s_and_b32 s26, s1, exec_lo
.LBB1113_301:
	s_or_b32 exec_lo, exec_lo, s27
	v_or_b32_e32 v33, 4, v55
	v_mul_lo_u32 v39, v27, s15
	v_mul_lo_u32 v40, v28, s14
	s_delay_alu instid0(VALU_DEP_3) | instskip(SKIP_1) | instid1(SALU_CYCLE_1)
	v_cmp_gt_u32_e32 vcc_lo, s31, v33
	s_and_b32 s0, vcc_lo, s7
	s_and_saveexec_b32 s27, s0
	s_cbranch_execz .LBB1113_310
; %bb.302:
	v_mad_u64_u32 v[33:34], null, v27, s14, s[20:21]
	s_waitcnt vmcnt(0)
	v_mad_u64_u32 v[35:36], null, v21, s14, s[20:21]
	s_mov_b32 s34, 0
	s_delay_alu instid0(VALU_DEP_2) | instskip(NEXT) | instid1(VALU_DEP_2)
	v_add3_u32 v34, v40, v34, v39
	v_add3_u32 v36, v43, v36, v42
	s_clause 0x1
	global_load_u8 v37, v[33:34], off
	global_load_u8 v38, v[35:36], off
	s_waitcnt vmcnt(1)
	v_cmp_ne_u16_e32 vcc_lo, 0, v37
	s_waitcnt vmcnt(0)
	v_cmp_ne_u16_e64 s0, 0, v38
	s_delay_alu instid0(VALU_DEP_1) | instskip(SKIP_2) | instid1(SALU_CYCLE_1)
	s_xor_b32 s1, vcc_lo, s0
	s_mov_b32 s0, -1
	s_xor_b32 s1, s1, -1
	s_and_saveexec_b32 s25, s1
	s_cbranch_execz .LBB1113_309
; %bb.303:
	s_mov_b64 s[4:5], 1
                                        ; implicit-def: $sgpr35
	s_set_inst_prefetch_distance 0x1
	s_branch .LBB1113_306
	.p2align	6
.LBB1113_304:                           ;   in Loop: Header=BB1113_306 Depth=1
	v_add_co_u32 v37, vcc_lo, v33, s4
	v_add_co_ci_u32_e32 v38, vcc_lo, s5, v34, vcc_lo
	v_add_co_u32 v41, vcc_lo, v35, s4
	v_add_co_ci_u32_e32 v42, vcc_lo, s5, v36, vcc_lo
	s_clause 0x1
	global_load_u8 v37, v[37:38], off
	global_load_u8 v38, v[41:42], off
	s_waitcnt vmcnt(1)
	v_cmp_ne_u16_e32 vcc_lo, 0, v37
	s_waitcnt vmcnt(0)
	v_cmp_ne_u16_e64 s0, 0, v38
	s_delay_alu instid0(VALU_DEP_1) | instskip(SKIP_4) | instid1(SALU_CYCLE_1)
	s_xor_b32 s36, vcc_lo, s0
	s_add_u32 s0, s4, 1
	s_addc_u32 s1, s5, 0
	s_and_not1_b32 s35, s35, exec_lo
	s_and_b32 s36, s36, exec_lo
	s_or_b32 s35, s35, s36
.LBB1113_305:                           ;   in Loop: Header=BB1113_306 Depth=1
	v_dual_mov_b32 v38, s5 :: v_dual_mov_b32 v37, s4
	s_and_b32 s36, exec_lo, s35
	s_mov_b64 s[4:5], s[0:1]
	s_or_b32 s34, s36, s34
	s_delay_alu instid0(SALU_CYCLE_1)
	s_and_not1_b32 exec_lo, exec_lo, s34
	s_cbranch_execz .LBB1113_308
.LBB1113_306:                           ; =>This Inner Loop Header: Depth=1
	s_or_b32 s35, s35, exec_lo
	s_cmp_eq_u64 s[14:15], s[4:5]
	s_cbranch_scc0 .LBB1113_304
; %bb.307:                              ;   in Loop: Header=BB1113_306 Depth=1
	s_mov_b64 s[4:5], s[14:15]
                                        ; implicit-def: $sgpr0_sgpr1
	s_branch .LBB1113_305
.LBB1113_308:
	s_set_inst_prefetch_distance 0x2
	s_or_b32 exec_lo, exec_lo, s34
	v_cmp_gt_i64_e32 vcc_lo, s[14:15], v[37:38]
	s_or_not1_b32 s0, vcc_lo, exec_lo
.LBB1113_309:
	s_or_b32 exec_lo, exec_lo, s25
	s_delay_alu instid0(SALU_CYCLE_1)
	s_and_b32 s25, s0, exec_lo
.LBB1113_310:
	s_or_b32 exec_lo, exec_lo, s27
	v_or_b32_e32 v33, 3, v55
	v_mul_lo_u32 v41, v25, s15
	v_mul_lo_u32 v42, v26, s14
	s_mov_b32 s1, -1
	s_mov_b32 s34, 0
	v_cmp_gt_u32_e32 vcc_lo, s31, v33
	s_mov_b32 s27, 0
	s_and_b32 s0, vcc_lo, s7
	s_delay_alu instid0(SALU_CYCLE_1)
	s_and_saveexec_b32 s35, s0
	s_cbranch_execz .LBB1113_319
; %bb.311:
	v_mad_u64_u32 v[33:34], null, v25, s14, s[20:21]
	s_waitcnt vmcnt(0)
	v_mad_u64_u32 v[35:36], null, v27, s14, s[20:21]
	s_mov_b32 s36, 0
	s_delay_alu instid0(VALU_DEP_2) | instskip(NEXT) | instid1(VALU_DEP_2)
	v_add3_u32 v34, v42, v34, v41
	v_add3_u32 v36, v40, v36, v39
	s_clause 0x1
	global_load_u8 v37, v[33:34], off
	global_load_u8 v38, v[35:36], off
	s_waitcnt vmcnt(1)
	v_cmp_ne_u16_e32 vcc_lo, 0, v37
	s_waitcnt vmcnt(0)
	v_cmp_ne_u16_e64 s0, 0, v38
	s_delay_alu instid0(VALU_DEP_1) | instskip(NEXT) | instid1(SALU_CYCLE_1)
	s_xor_b32 s0, vcc_lo, s0
	s_xor_b32 s0, s0, -1
	s_delay_alu instid0(SALU_CYCLE_1)
	s_and_saveexec_b32 s27, s0
	s_cbranch_execz .LBB1113_318
; %bb.312:
	s_mov_b64 s[4:5], 1
                                        ; implicit-def: $sgpr37
	s_set_inst_prefetch_distance 0x1
	s_branch .LBB1113_315
	.p2align	6
.LBB1113_313:                           ;   in Loop: Header=BB1113_315 Depth=1
	v_add_co_u32 v37, vcc_lo, v33, s4
	v_add_co_ci_u32_e32 v38, vcc_lo, s5, v34, vcc_lo
	v_add_co_u32 v39, vcc_lo, v35, s4
	v_add_co_ci_u32_e32 v40, vcc_lo, s5, v36, vcc_lo
	s_clause 0x1
	global_load_u8 v37, v[37:38], off
	global_load_u8 v38, v[39:40], off
	s_waitcnt vmcnt(1)
	v_cmp_ne_u16_e32 vcc_lo, 0, v37
	s_waitcnt vmcnt(0)
	v_cmp_ne_u16_e64 s0, 0, v38
	s_delay_alu instid0(VALU_DEP_1) | instskip(SKIP_4) | instid1(SALU_CYCLE_1)
	s_xor_b32 s38, vcc_lo, s0
	s_add_u32 s0, s4, 1
	s_addc_u32 s1, s5, 0
	s_and_not1_b32 s37, s37, exec_lo
	s_and_b32 s38, s38, exec_lo
	s_or_b32 s37, s37, s38
.LBB1113_314:                           ;   in Loop: Header=BB1113_315 Depth=1
	v_dual_mov_b32 v38, s5 :: v_dual_mov_b32 v37, s4
	s_and_b32 s38, exec_lo, s37
	s_mov_b64 s[4:5], s[0:1]
	s_or_b32 s36, s38, s36
	s_delay_alu instid0(SALU_CYCLE_1)
	s_and_not1_b32 exec_lo, exec_lo, s36
	s_cbranch_execz .LBB1113_317
.LBB1113_315:                           ; =>This Inner Loop Header: Depth=1
	s_or_b32 s37, s37, exec_lo
	s_cmp_eq_u64 s[14:15], s[4:5]
	s_cbranch_scc0 .LBB1113_313
; %bb.316:                              ;   in Loop: Header=BB1113_315 Depth=1
	s_mov_b64 s[4:5], s[14:15]
                                        ; implicit-def: $sgpr0_sgpr1
	s_branch .LBB1113_314
.LBB1113_317:
	s_set_inst_prefetch_distance 0x2
	s_or_b32 exec_lo, exec_lo, s36
	v_cmp_gt_i64_e32 vcc_lo, s[14:15], v[37:38]
	s_or_not1_b32 s1, vcc_lo, exec_lo
.LBB1113_318:
	s_or_b32 exec_lo, exec_lo, s27
	s_delay_alu instid0(SALU_CYCLE_1)
	s_and_b32 s27, s1, exec_lo
.LBB1113_319:
	s_or_b32 exec_lo, exec_lo, s35
	v_or_b32_e32 v33, 2, v55
	v_mul_lo_u32 v39, v31, s15
	v_mul_lo_u32 v40, v32, s14
	s_delay_alu instid0(VALU_DEP_3) | instskip(SKIP_1) | instid1(SALU_CYCLE_1)
	v_cmp_gt_u32_e32 vcc_lo, s31, v33
	s_and_b32 s0, vcc_lo, s7
	s_and_saveexec_b32 s35, s0
	s_cbranch_execz .LBB1113_328
; %bb.320:
	v_mad_u64_u32 v[33:34], null, v31, s14, s[20:21]
	s_waitcnt vmcnt(0)
	v_mad_u64_u32 v[35:36], null, v25, s14, s[20:21]
	s_mov_b32 s36, 0
	s_delay_alu instid0(VALU_DEP_2) | instskip(NEXT) | instid1(VALU_DEP_2)
	v_add3_u32 v34, v40, v34, v39
	v_add3_u32 v36, v42, v36, v41
	s_clause 0x1
	global_load_u8 v37, v[33:34], off
	global_load_u8 v38, v[35:36], off
	s_waitcnt vmcnt(1)
	v_cmp_ne_u16_e32 vcc_lo, 0, v37
	s_waitcnt vmcnt(0)
	v_cmp_ne_u16_e64 s0, 0, v38
	s_delay_alu instid0(VALU_DEP_1) | instskip(SKIP_2) | instid1(SALU_CYCLE_1)
	s_xor_b32 s1, vcc_lo, s0
	s_mov_b32 s0, -1
	s_xor_b32 s1, s1, -1
	s_and_saveexec_b32 s34, s1
	s_cbranch_execz .LBB1113_327
; %bb.321:
	s_mov_b64 s[4:5], 1
                                        ; implicit-def: $sgpr37
	s_set_inst_prefetch_distance 0x1
	s_branch .LBB1113_324
	.p2align	6
.LBB1113_322:                           ;   in Loop: Header=BB1113_324 Depth=1
	v_add_co_u32 v37, vcc_lo, v33, s4
	v_add_co_ci_u32_e32 v38, vcc_lo, s5, v34, vcc_lo
	v_add_co_u32 v41, vcc_lo, v35, s4
	v_add_co_ci_u32_e32 v42, vcc_lo, s5, v36, vcc_lo
	s_clause 0x1
	global_load_u8 v37, v[37:38], off
	global_load_u8 v38, v[41:42], off
	s_waitcnt vmcnt(1)
	v_cmp_ne_u16_e32 vcc_lo, 0, v37
	s_waitcnt vmcnt(0)
	v_cmp_ne_u16_e64 s0, 0, v38
	s_delay_alu instid0(VALU_DEP_1) | instskip(SKIP_4) | instid1(SALU_CYCLE_1)
	s_xor_b32 s38, vcc_lo, s0
	s_add_u32 s0, s4, 1
	s_addc_u32 s1, s5, 0
	s_and_not1_b32 s37, s37, exec_lo
	s_and_b32 s38, s38, exec_lo
	s_or_b32 s37, s37, s38
.LBB1113_323:                           ;   in Loop: Header=BB1113_324 Depth=1
	v_dual_mov_b32 v38, s5 :: v_dual_mov_b32 v37, s4
	s_and_b32 s38, exec_lo, s37
	s_mov_b64 s[4:5], s[0:1]
	s_or_b32 s36, s38, s36
	s_delay_alu instid0(SALU_CYCLE_1)
	s_and_not1_b32 exec_lo, exec_lo, s36
	s_cbranch_execz .LBB1113_326
.LBB1113_324:                           ; =>This Inner Loop Header: Depth=1
	s_or_b32 s37, s37, exec_lo
	s_cmp_eq_u64 s[14:15], s[4:5]
	s_cbranch_scc0 .LBB1113_322
; %bb.325:                              ;   in Loop: Header=BB1113_324 Depth=1
	s_mov_b64 s[4:5], s[14:15]
                                        ; implicit-def: $sgpr0_sgpr1
	s_branch .LBB1113_323
.LBB1113_326:
	s_set_inst_prefetch_distance 0x2
	s_or_b32 exec_lo, exec_lo, s36
	v_cmp_gt_i64_e32 vcc_lo, s[14:15], v[37:38]
	s_or_not1_b32 s0, vcc_lo, exec_lo
.LBB1113_327:
	s_or_b32 exec_lo, exec_lo, s34
	s_delay_alu instid0(SALU_CYCLE_1)
	s_and_b32 s34, s0, exec_lo
.LBB1113_328:
	s_or_b32 exec_lo, exec_lo, s35
	v_or_b32_e32 v33, 1, v55
	s_mov_b32 s1, -1
	s_mov_b32 s0, 0
	s_delay_alu instid0(VALU_DEP_1) | instskip(SKIP_1) | instid1(SALU_CYCLE_1)
	v_cmp_gt_u32_e32 vcc_lo, s31, v33
	s_and_b32 s4, vcc_lo, s7
	s_and_saveexec_b32 s35, s4
	s_cbranch_execz .LBB1113_337
; %bb.329:
	v_mad_u64_u32 v[33:34], null, v29, s14, s[20:21]
	v_mul_lo_u32 v37, v29, s15
	v_mul_lo_u32 v38, v30, s14
	s_waitcnt vmcnt(0)
	v_mad_u64_u32 v[35:36], null, v31, s14, s[20:21]
	s_mov_b32 s37, 0
	s_delay_alu instid0(VALU_DEP_2) | instskip(NEXT) | instid1(VALU_DEP_2)
	v_add3_u32 v34, v38, v34, v37
	v_add3_u32 v36, v40, v36, v39
	s_clause 0x1
	global_load_u8 v37, v[33:34], off
	global_load_u8 v38, v[35:36], off
	s_waitcnt vmcnt(1)
	v_cmp_ne_u16_e32 vcc_lo, 0, v37
	s_waitcnt vmcnt(0)
	v_cmp_ne_u16_e64 s0, 0, v38
	s_delay_alu instid0(VALU_DEP_1) | instskip(NEXT) | instid1(SALU_CYCLE_1)
	s_xor_b32 s0, vcc_lo, s0
	s_xor_b32 s0, s0, -1
	s_delay_alu instid0(SALU_CYCLE_1)
	s_and_saveexec_b32 s36, s0
	s_cbranch_execz .LBB1113_336
; %bb.330:
	s_mov_b64 s[4:5], 1
                                        ; implicit-def: $sgpr38
	s_set_inst_prefetch_distance 0x1
	s_branch .LBB1113_333
	.p2align	6
.LBB1113_331:                           ;   in Loop: Header=BB1113_333 Depth=1
	v_add_co_u32 v37, vcc_lo, v33, s4
	v_add_co_ci_u32_e32 v38, vcc_lo, s5, v34, vcc_lo
	v_add_co_u32 v39, vcc_lo, v35, s4
	v_add_co_ci_u32_e32 v40, vcc_lo, s5, v36, vcc_lo
	s_clause 0x1
	global_load_u8 v37, v[37:38], off
	global_load_u8 v38, v[39:40], off
	s_waitcnt vmcnt(1)
	v_cmp_ne_u16_e32 vcc_lo, 0, v37
	s_waitcnt vmcnt(0)
	v_cmp_ne_u16_e64 s0, 0, v38
	s_delay_alu instid0(VALU_DEP_1) | instskip(SKIP_4) | instid1(SALU_CYCLE_1)
	s_xor_b32 s39, vcc_lo, s0
	s_add_u32 s0, s4, 1
	s_addc_u32 s1, s5, 0
	s_and_not1_b32 s38, s38, exec_lo
	s_and_b32 s39, s39, exec_lo
	s_or_b32 s38, s38, s39
.LBB1113_332:                           ;   in Loop: Header=BB1113_333 Depth=1
	v_dual_mov_b32 v38, s5 :: v_dual_mov_b32 v37, s4
	s_and_b32 s39, exec_lo, s38
	s_mov_b64 s[4:5], s[0:1]
	s_or_b32 s37, s39, s37
	s_delay_alu instid0(SALU_CYCLE_1)
	s_and_not1_b32 exec_lo, exec_lo, s37
	s_cbranch_execz .LBB1113_335
.LBB1113_333:                           ; =>This Inner Loop Header: Depth=1
	s_or_b32 s38, s38, exec_lo
	s_cmp_eq_u64 s[14:15], s[4:5]
	s_cbranch_scc0 .LBB1113_331
; %bb.334:                              ;   in Loop: Header=BB1113_333 Depth=1
	s_mov_b64 s[4:5], s[14:15]
                                        ; implicit-def: $sgpr0_sgpr1
	s_branch .LBB1113_332
.LBB1113_335:
	s_set_inst_prefetch_distance 0x2
	s_or_b32 exec_lo, exec_lo, s37
	v_cmp_gt_i64_e32 vcc_lo, s[14:15], v[37:38]
	s_or_not1_b32 s1, vcc_lo, exec_lo
.LBB1113_336:
	s_or_b32 exec_lo, exec_lo, s36
	s_delay_alu instid0(SALU_CYCLE_1)
	s_and_b32 s0, s1, exec_lo
.LBB1113_337:
	s_or_b32 exec_lo, exec_lo, s35
	v_cndmask_b32_e64 v34, 0, 1, s27
	s_waitcnt vmcnt(0)
	v_cndmask_b32_e64 v35, 0, 1, s26
	v_cndmask_b32_e64 v36, 0, 1, s24
	;; [unrolled: 1-line block ×6, first 2 shown]
	v_lshlrev_b16 v35, 8, v35
	v_lshlrev_b16 v36, 8, v36
	;; [unrolled: 1-line block ×4, first 2 shown]
	s_waitcnt lgkmcnt(0)
	v_or_b32_e32 v35, v38, v35
	v_or_b32_e32 v36, v39, v36
	;; [unrolled: 1-line block ×4, first 2 shown]
	s_barrier
	v_and_b32_e32 v34, 0xffff, v35
	v_lshlrev_b32_e32 v35, 16, v36
	v_and_b32_e32 v36, 0xffff, v37
	v_lshlrev_b32_e32 v33, 16, v33
	buffer_gl0_inv
                                        ; implicit-def: $sgpr0
	v_or_b32_e32 v34, v34, v35
	v_or_b32_e32 v33, v36, v33
	s_and_saveexec_b32 s13, s3
	s_cbranch_execz .LBB1113_348
; %bb.338:
	v_cmp_gt_u32_e32 vcc_lo, s31, v55
	s_mov_b32 s1, -1
	s_mov_b32 s0, 0
	s_and_b32 s4, vcc_lo, s7
	s_delay_alu instid0(SALU_CYCLE_1)
	s_and_saveexec_b32 s3, s4
	s_cbranch_execz .LBB1113_347
; %bb.339:
	v_add_nc_u32_e32 v35, -8, v55
	v_mul_lo_u32 v41, v29, s15
	ds_load_b64 v[39:40], v35
	v_mad_u64_u32 v[35:36], null, v29, s14, s[20:21]
	s_waitcnt lgkmcnt(0)
	v_mul_lo_u32 v42, v39, s15
	v_mul_lo_u32 v40, v40, s14
	v_mad_u64_u32 v[37:38], null, v39, s14, s[20:21]
	v_mul_lo_u32 v39, v30, s14
	s_mov_b32 s20, 0
	s_delay_alu instid0(VALU_DEP_2) | instskip(NEXT) | instid1(VALU_DEP_2)
	v_add3_u32 v38, v40, v38, v42
	v_add3_u32 v36, v39, v36, v41
	s_clause 0x1
	global_load_u8 v39, v[37:38], off
	global_load_u8 v40, v[35:36], off
	s_waitcnt vmcnt(1)
	v_cmp_ne_u16_e32 vcc_lo, 0, v39
	s_waitcnt vmcnt(0)
	v_cmp_ne_u16_e64 s0, 0, v40
	s_delay_alu instid0(VALU_DEP_1) | instskip(NEXT) | instid1(SALU_CYCLE_1)
	s_xor_b32 s0, vcc_lo, s0
	s_xor_b32 s0, s0, -1
	s_delay_alu instid0(SALU_CYCLE_1)
	s_and_saveexec_b32 s7, s0
	s_cbranch_execz .LBB1113_346
; %bb.340:
	s_mov_b64 s[4:5], 1
                                        ; implicit-def: $sgpr21
	s_set_inst_prefetch_distance 0x1
	s_branch .LBB1113_343
	.p2align	6
.LBB1113_341:                           ;   in Loop: Header=BB1113_343 Depth=1
	v_add_co_u32 v39, vcc_lo, v37, s4
	v_add_co_ci_u32_e32 v40, vcc_lo, s5, v38, vcc_lo
	v_add_co_u32 v41, vcc_lo, v35, s4
	v_add_co_ci_u32_e32 v42, vcc_lo, s5, v36, vcc_lo
	s_clause 0x1
	global_load_u8 v39, v[39:40], off
	global_load_u8 v40, v[41:42], off
	s_waitcnt vmcnt(1)
	v_cmp_ne_u16_e32 vcc_lo, 0, v39
	s_waitcnt vmcnt(0)
	v_cmp_ne_u16_e64 s0, 0, v40
	s_delay_alu instid0(VALU_DEP_1) | instskip(SKIP_4) | instid1(SALU_CYCLE_1)
	s_xor_b32 s24, vcc_lo, s0
	s_add_u32 s0, s4, 1
	s_addc_u32 s1, s5, 0
	s_and_not1_b32 s21, s21, exec_lo
	s_and_b32 s24, s24, exec_lo
	s_or_b32 s21, s21, s24
.LBB1113_342:                           ;   in Loop: Header=BB1113_343 Depth=1
	v_dual_mov_b32 v40, s5 :: v_dual_mov_b32 v39, s4
	s_and_b32 s24, exec_lo, s21
	s_mov_b64 s[4:5], s[0:1]
	s_or_b32 s20, s24, s20
	s_delay_alu instid0(SALU_CYCLE_1)
	s_and_not1_b32 exec_lo, exec_lo, s20
	s_cbranch_execz .LBB1113_345
.LBB1113_343:                           ; =>This Inner Loop Header: Depth=1
	s_or_b32 s21, s21, exec_lo
	s_cmp_eq_u64 s[14:15], s[4:5]
	s_cbranch_scc0 .LBB1113_341
; %bb.344:                              ;   in Loop: Header=BB1113_343 Depth=1
	s_mov_b64 s[4:5], s[14:15]
                                        ; implicit-def: $sgpr0_sgpr1
	s_branch .LBB1113_342
.LBB1113_345:
	s_set_inst_prefetch_distance 0x2
	s_or_b32 exec_lo, exec_lo, s20
	v_cmp_gt_i64_e32 vcc_lo, s[14:15], v[39:40]
	s_or_not1_b32 s1, vcc_lo, exec_lo
.LBB1113_346:
	s_or_b32 exec_lo, exec_lo, s7
	s_delay_alu instid0(SALU_CYCLE_1)
	s_and_b32 s0, s1, exec_lo
.LBB1113_347:
	s_or_b32 exec_lo, exec_lo, s3
	s_delay_alu instid0(SALU_CYCLE_1)
	s_and_b32 s0, s0, exec_lo
	s_or_b32 s6, s6, exec_lo
.LBB1113_348:
	s_or_b32 exec_lo, exec_lo, s13
.LBB1113_349:
	s_and_saveexec_b32 s1, s6
	s_cbranch_execz .LBB1113_351
; %bb.350:
	s_waitcnt vmcnt(0) lgkmcnt(0)
	v_and_b32_e32 v35, 0xffffff00, v33
	v_cndmask_b32_e64 v36, 0, 1, s0
	s_delay_alu instid0(VALU_DEP_1) | instskip(NEXT) | instid1(VALU_DEP_1)
	v_or_b32_e32 v35, v36, v35
	v_and_b32_e32 v35, 0xffff, v35
	s_delay_alu instid0(VALU_DEP_1)
	v_and_or_b32 v33, 0xffff0000, v33, v35
.LBB1113_351:
	s_or_b32 exec_lo, exec_lo, s1
	s_delay_alu instid0(SALU_CYCLE_1)
	s_and_not1_b32 vcc_lo, exec_lo, s33
	s_cbranch_vccnz .LBB1113_353
; %bb.352:
	v_cmp_gt_u32_e32 vcc_lo, s31, v55
	s_waitcnt vmcnt(0) lgkmcnt(0)
	v_or_b32_e32 v36, 1, v55
	v_and_b32_e32 v37, 0xffffff00, v34
	v_or_b32_e32 v38, 2, v55
	v_cndmask_b32_e32 v35, 0, v33, vcc_lo
	s_delay_alu instid0(VALU_DEP_4) | instskip(SKIP_1) | instid1(VALU_DEP_4)
	v_cmp_gt_u32_e32 vcc_lo, s31, v36
	v_or_b32_e32 v36, 4, v55
	v_cmp_gt_u32_e64 s0, s31, v38
	v_or_b32_e32 v38, 3, v55
	v_and_b32_e32 v35, 0xff, v35
	s_delay_alu instid0(VALU_DEP_2) | instskip(NEXT) | instid1(VALU_DEP_2)
	v_cmp_gt_u32_e64 s1, s31, v38
	v_cndmask_b32_e32 v35, v35, v33, vcc_lo
	v_cmp_gt_u32_e32 vcc_lo, s31, v36
	v_cndmask_b32_e32 v36, v37, v34, vcc_lo
	v_or_b32_e32 v37, 5, v55
	s_delay_alu instid0(VALU_DEP_2) | instskip(SKIP_1) | instid1(VALU_DEP_1)
	v_and_b32_e32 v36, 0xffff00ff, v36
	v_and_b32_e32 v35, 0xffff, v35
	v_cndmask_b32_e64 v35, v35, v33, s0
	s_delay_alu instid0(VALU_DEP_4) | instskip(SKIP_1) | instid1(VALU_DEP_3)
	v_cmp_gt_u32_e64 s0, s31, v37
	v_or_b32_e32 v37, 6, v55
	v_and_b32_e32 v35, 0xffffff, v35
	s_delay_alu instid0(VALU_DEP_3) | instskip(NEXT) | instid1(VALU_DEP_2)
	v_cndmask_b32_e64 v36, v36, v34, s0
	v_cndmask_b32_e64 v35, v35, v33, s1
	s_delay_alu instid0(VALU_DEP_1) | instskip(SKIP_2) | instid1(VALU_DEP_3)
	v_dual_cndmask_b32 v35, v35, v33 :: v_dual_and_b32 v36, 0xff00ffff, v36
	v_cmp_gt_u32_e32 vcc_lo, s31, v37
	v_or_b32_e32 v37, 7, v55
	v_cndmask_b32_e64 v35, v35, v33, s0
	s_delay_alu instid0(VALU_DEP_1) | instskip(NEXT) | instid1(VALU_DEP_1)
	v_dual_cndmask_b32 v36, v36, v34 :: v_dual_cndmask_b32 v35, v35, v33
	v_and_b32_e32 v36, 0xffffff, v36
	s_delay_alu instid0(VALU_DEP_4) | instskip(NEXT) | instid1(VALU_DEP_2)
	v_cmp_gt_u32_e32 vcc_lo, s31, v37
	v_dual_cndmask_b32 v34, v36, v34 :: v_dual_cndmask_b32 v33, v35, v33
.LBB1113_353:
	s_delay_alu instid0(VALU_DEP_1) | instskip(SKIP_1) | instid1(VALU_DEP_2)
	v_and_b32_e32 v42, 0xff, v33
	s_waitcnt vmcnt(0) lgkmcnt(0)
	v_alignbit_b32 v35, v34, v33, 24
	v_bfe_u32 v44, v33, 8, 8
	v_bfe_u32 v46, v33, 16, 8
	v_and_b32_e32 v50, 0xff, v34
	v_bfe_u32 v52, v34, 8, 8
	v_and_b32_e32 v48, 0xff, v35
	v_add_nc_u32_e32 v35, v44, v42
	v_mbcnt_lo_u32_b32 v57, -1, 0
	v_bfe_u32 v54, v34, 16, 8
	v_lshrrev_b32_e32 v56, 24, v34
	v_lshrrev_b32_e32 v58, 5, v0
	v_add3_u32 v35, v35, v46, v48
	v_and_b32_e32 v36, 15, v57
	v_and_b32_e32 v37, 16, v57
	s_and_b32 vcc_lo, exec_lo, s12
	s_mov_b32 s7, -1
	v_add3_u32 v35, v35, v50, v52
	v_cmp_eq_u32_e64 s3, 0, v36
	v_cmp_lt_u32_e64 s0, 1, v36
	v_cmp_lt_u32_e64 s4, 3, v36
	;; [unrolled: 1-line block ×3, first 2 shown]
	v_add3_u32 v59, v35, v54, v56
	v_or_b32_e32 v35, 31, v0
	v_cmp_eq_u32_e64 s6, 0, v37
	s_barrier
	buffer_gl0_inv
	v_cmp_eq_u32_e64 s5, v35, v0
	s_cbranch_vccz .LBB1113_379
; %bb.354:
	v_mov_b32_dpp v35, v59 row_shr:1 row_mask:0xf bank_mask:0xf
	s_delay_alu instid0(VALU_DEP_1) | instskip(NEXT) | instid1(VALU_DEP_1)
	v_cndmask_b32_e64 v35, v35, 0, s3
	v_add_nc_u32_e32 v35, v35, v59
	s_delay_alu instid0(VALU_DEP_1) | instskip(NEXT) | instid1(VALU_DEP_1)
	v_mov_b32_dpp v36, v35 row_shr:2 row_mask:0xf bank_mask:0xf
	v_cndmask_b32_e64 v36, 0, v36, s0
	s_delay_alu instid0(VALU_DEP_1) | instskip(NEXT) | instid1(VALU_DEP_1)
	v_add_nc_u32_e32 v35, v35, v36
	v_mov_b32_dpp v36, v35 row_shr:4 row_mask:0xf bank_mask:0xf
	s_delay_alu instid0(VALU_DEP_1) | instskip(NEXT) | instid1(VALU_DEP_1)
	v_cndmask_b32_e64 v36, 0, v36, s4
	v_add_nc_u32_e32 v35, v35, v36
	s_delay_alu instid0(VALU_DEP_1) | instskip(NEXT) | instid1(VALU_DEP_1)
	v_mov_b32_dpp v36, v35 row_shr:8 row_mask:0xf bank_mask:0xf
	v_cndmask_b32_e64 v36, 0, v36, s1
	s_delay_alu instid0(VALU_DEP_1) | instskip(SKIP_3) | instid1(VALU_DEP_1)
	v_add_nc_u32_e32 v35, v35, v36
	ds_swizzle_b32 v36, v35 offset:swizzle(BROADCAST,32,15)
	s_waitcnt lgkmcnt(0)
	v_cndmask_b32_e64 v36, v36, 0, s6
	v_add_nc_u32_e32 v35, v35, v36
	s_and_saveexec_b32 s7, s5
	s_cbranch_execz .LBB1113_356
; %bb.355:
	v_lshlrev_b32_e32 v36, 2, v58
	ds_store_b32 v36, v35
.LBB1113_356:
	s_or_b32 exec_lo, exec_lo, s7
	s_delay_alu instid0(SALU_CYCLE_1)
	s_mov_b32 s7, exec_lo
	s_waitcnt lgkmcnt(0)
	s_barrier
	buffer_gl0_inv
	v_cmpx_gt_u32_e32 16, v0
	s_cbranch_execz .LBB1113_358
; %bb.357:
	v_lshlrev_b32_e32 v36, 2, v0
	ds_load_b32 v37, v36
	s_waitcnt lgkmcnt(0)
	v_mov_b32_dpp v38, v37 row_shr:1 row_mask:0xf bank_mask:0xf
	s_delay_alu instid0(VALU_DEP_1) | instskip(NEXT) | instid1(VALU_DEP_1)
	v_cndmask_b32_e64 v38, v38, 0, s3
	v_add_nc_u32_e32 v37, v38, v37
	s_delay_alu instid0(VALU_DEP_1) | instskip(NEXT) | instid1(VALU_DEP_1)
	v_mov_b32_dpp v38, v37 row_shr:2 row_mask:0xf bank_mask:0xf
	v_cndmask_b32_e64 v38, 0, v38, s0
	s_delay_alu instid0(VALU_DEP_1) | instskip(NEXT) | instid1(VALU_DEP_1)
	v_add_nc_u32_e32 v37, v37, v38
	v_mov_b32_dpp v38, v37 row_shr:4 row_mask:0xf bank_mask:0xf
	s_delay_alu instid0(VALU_DEP_1) | instskip(NEXT) | instid1(VALU_DEP_1)
	v_cndmask_b32_e64 v38, 0, v38, s4
	v_add_nc_u32_e32 v37, v37, v38
	s_delay_alu instid0(VALU_DEP_1) | instskip(NEXT) | instid1(VALU_DEP_1)
	v_mov_b32_dpp v38, v37 row_shr:8 row_mask:0xf bank_mask:0xf
	v_cndmask_b32_e64 v38, 0, v38, s1
	s_delay_alu instid0(VALU_DEP_1)
	v_add_nc_u32_e32 v37, v37, v38
	ds_store_b32 v36, v37
.LBB1113_358:
	s_or_b32 exec_lo, exec_lo, s7
	v_cmp_gt_u32_e32 vcc_lo, 32, v0
	s_mov_b32 s12, exec_lo
	s_waitcnt lgkmcnt(0)
	s_barrier
	buffer_gl0_inv
                                        ; implicit-def: $vgpr43
	v_cmpx_lt_u32_e32 31, v0
	s_cbranch_execz .LBB1113_360
; %bb.359:
	v_lshl_add_u32 v36, v58, 2, -4
	ds_load_b32 v43, v36
	s_waitcnt lgkmcnt(0)
	v_add_nc_u32_e32 v35, v43, v35
.LBB1113_360:
	s_or_b32 exec_lo, exec_lo, s12
	v_add_nc_u32_e32 v36, -1, v57
	s_delay_alu instid0(VALU_DEP_1) | instskip(NEXT) | instid1(VALU_DEP_1)
	v_cmp_gt_i32_e64 s7, 0, v36
	v_cndmask_b32_e64 v36, v36, v57, s7
	v_cmp_eq_u32_e64 s7, 0, v57
	s_delay_alu instid0(VALU_DEP_2)
	v_lshlrev_b32_e32 v36, 2, v36
	ds_bpermute_b32 v45, v36, v35
	s_and_saveexec_b32 s12, vcc_lo
	s_cbranch_execz .LBB1113_378
; %bb.361:
	v_mov_b32_e32 v38, 0
	ds_load_b32 v35, v38 offset:60
	s_and_saveexec_b32 s13, s7
	s_cbranch_execz .LBB1113_363
; %bb.362:
	s_add_i32 s14, s30, 32
	s_mov_b32 s15, 0
	v_mov_b32_e32 v36, 1
	s_lshl_b64 s[14:15], s[14:15], 3
	s_delay_alu instid0(SALU_CYCLE_1)
	s_add_u32 s14, s22, s14
	s_addc_u32 s15, s23, s15
	s_waitcnt lgkmcnt(0)
	global_store_b64 v38, v[35:36], s[14:15]
.LBB1113_363:
	s_or_b32 exec_lo, exec_lo, s13
	v_xad_u32 v36, v57, -1, s30
	s_mov_b32 s14, 0
	s_mov_b32 s13, exec_lo
	s_delay_alu instid0(VALU_DEP_1) | instskip(NEXT) | instid1(VALU_DEP_1)
	v_add_nc_u32_e32 v37, 32, v36
	v_lshlrev_b64 v[37:38], 3, v[37:38]
	s_delay_alu instid0(VALU_DEP_1) | instskip(NEXT) | instid1(VALU_DEP_2)
	v_add_co_u32 v40, vcc_lo, s22, v37
	v_add_co_ci_u32_e32 v41, vcc_lo, s23, v38, vcc_lo
	global_load_b64 v[38:39], v[40:41], off glc
	s_waitcnt vmcnt(0)
	v_and_b32_e32 v37, 0xff, v39
	s_delay_alu instid0(VALU_DEP_1)
	v_cmpx_eq_u16_e32 0, v37
	s_cbranch_execz .LBB1113_366
.LBB1113_364:                           ; =>This Inner Loop Header: Depth=1
	global_load_b64 v[38:39], v[40:41], off glc
	s_waitcnt vmcnt(0)
	v_and_b32_e32 v37, 0xff, v39
	s_delay_alu instid0(VALU_DEP_1) | instskip(SKIP_1) | instid1(SALU_CYCLE_1)
	v_cmp_ne_u16_e32 vcc_lo, 0, v37
	s_or_b32 s14, vcc_lo, s14
	s_and_not1_b32 exec_lo, exec_lo, s14
	s_cbranch_execnz .LBB1113_364
; %bb.365:
	s_or_b32 exec_lo, exec_lo, s14
.LBB1113_366:
	s_delay_alu instid0(SALU_CYCLE_1)
	s_or_b32 exec_lo, exec_lo, s13
	v_cmp_ne_u32_e32 vcc_lo, 31, v57
	v_lshlrev_b32_e64 v49, v57, -1
	v_add_nc_u32_e32 v53, 2, v57
	v_add_nc_u32_e32 v61, 4, v57
	;; [unrolled: 1-line block ×3, first 2 shown]
	v_add_co_ci_u32_e32 v37, vcc_lo, 0, v57, vcc_lo
	v_add_nc_u32_e32 v66, 16, v57
	s_delay_alu instid0(VALU_DEP_2)
	v_lshlrev_b32_e32 v47, 2, v37
	v_and_b32_e32 v37, 0xff, v39
	ds_bpermute_b32 v40, v47, v38
	v_cmp_eq_u16_e32 vcc_lo, 2, v37
	v_and_or_b32 v37, vcc_lo, v49, 0x80000000
	v_cmp_gt_u32_e32 vcc_lo, 30, v57
	s_delay_alu instid0(VALU_DEP_2) | instskip(SKIP_1) | instid1(VALU_DEP_2)
	v_ctz_i32_b32_e32 v37, v37
	v_cndmask_b32_e64 v41, 0, 1, vcc_lo
	v_cmp_lt_u32_e32 vcc_lo, v57, v37
	s_waitcnt lgkmcnt(0)
	s_delay_alu instid0(VALU_DEP_2) | instskip(NEXT) | instid1(VALU_DEP_1)
	v_dual_cndmask_b32 v40, 0, v40 :: v_dual_lshlrev_b32 v41, 1, v41
	v_add_lshl_u32 v51, v41, v57, 2
	v_cmp_gt_u32_e32 vcc_lo, 28, v57
	s_delay_alu instid0(VALU_DEP_3) | instskip(SKIP_4) | instid1(VALU_DEP_1)
	v_add_nc_u32_e32 v38, v40, v38
	v_cndmask_b32_e64 v41, 0, 1, vcc_lo
	v_cmp_le_u32_e32 vcc_lo, v53, v37
	ds_bpermute_b32 v40, v51, v38
	v_lshlrev_b32_e32 v41, 2, v41
	v_add_lshl_u32 v60, v41, v57, 2
	s_waitcnt lgkmcnt(0)
	v_cndmask_b32_e32 v40, 0, v40, vcc_lo
	v_cmp_gt_u32_e32 vcc_lo, 24, v57
	s_delay_alu instid0(VALU_DEP_2) | instskip(SKIP_4) | instid1(VALU_DEP_1)
	v_add_nc_u32_e32 v38, v38, v40
	v_cndmask_b32_e64 v41, 0, 1, vcc_lo
	v_cmp_le_u32_e32 vcc_lo, v61, v37
	ds_bpermute_b32 v40, v60, v38
	v_lshlrev_b32_e32 v41, 3, v41
	v_add_lshl_u32 v63, v41, v57, 2
	s_waitcnt lgkmcnt(0)
	v_cndmask_b32_e32 v40, 0, v40, vcc_lo
	v_cmp_gt_u32_e32 vcc_lo, 16, v57
	s_delay_alu instid0(VALU_DEP_2) | instskip(SKIP_4) | instid1(VALU_DEP_1)
	v_add_nc_u32_e32 v38, v38, v40
	v_cndmask_b32_e64 v41, 0, 1, vcc_lo
	v_cmp_le_u32_e32 vcc_lo, v64, v37
	ds_bpermute_b32 v40, v63, v38
	v_lshlrev_b32_e32 v41, 4, v41
	v_add_lshl_u32 v65, v41, v57, 2
	s_waitcnt lgkmcnt(0)
	v_cndmask_b32_e32 v40, 0, v40, vcc_lo
	v_cmp_le_u32_e32 vcc_lo, v66, v37
	s_delay_alu instid0(VALU_DEP_2) | instskip(SKIP_3) | instid1(VALU_DEP_1)
	v_add_nc_u32_e32 v38, v38, v40
	ds_bpermute_b32 v40, v65, v38
	s_waitcnt lgkmcnt(0)
	v_cndmask_b32_e32 v37, 0, v40, vcc_lo
	v_dual_mov_b32 v37, 0 :: v_dual_add_nc_u32 v38, v38, v37
	s_branch .LBB1113_368
.LBB1113_367:                           ;   in Loop: Header=BB1113_368 Depth=1
	s_or_b32 exec_lo, exec_lo, s13
	ds_bpermute_b32 v41, v47, v38
	v_and_b32_e32 v40, 0xff, v39
	v_subrev_nc_u32_e32 v36, 32, v36
	s_delay_alu instid0(VALU_DEP_2) | instskip(SKIP_1) | instid1(VALU_DEP_1)
	v_cmp_eq_u16_e32 vcc_lo, 2, v40
	v_and_or_b32 v40, vcc_lo, v49, 0x80000000
	v_ctz_i32_b32_e32 v40, v40
	s_delay_alu instid0(VALU_DEP_1) | instskip(SKIP_3) | instid1(VALU_DEP_2)
	v_cmp_lt_u32_e32 vcc_lo, v57, v40
	s_waitcnt lgkmcnt(0)
	v_cndmask_b32_e32 v41, 0, v41, vcc_lo
	v_cmp_le_u32_e32 vcc_lo, v53, v40
	v_add_nc_u32_e32 v38, v41, v38
	ds_bpermute_b32 v41, v51, v38
	s_waitcnt lgkmcnt(0)
	v_cndmask_b32_e32 v41, 0, v41, vcc_lo
	v_cmp_le_u32_e32 vcc_lo, v61, v40
	s_delay_alu instid0(VALU_DEP_2) | instskip(SKIP_4) | instid1(VALU_DEP_2)
	v_add_nc_u32_e32 v38, v38, v41
	ds_bpermute_b32 v41, v60, v38
	s_waitcnt lgkmcnt(0)
	v_cndmask_b32_e32 v41, 0, v41, vcc_lo
	v_cmp_le_u32_e32 vcc_lo, v64, v40
	v_add_nc_u32_e32 v38, v38, v41
	ds_bpermute_b32 v41, v63, v38
	s_waitcnt lgkmcnt(0)
	v_cndmask_b32_e32 v41, 0, v41, vcc_lo
	v_cmp_le_u32_e32 vcc_lo, v66, v40
	s_delay_alu instid0(VALU_DEP_2) | instskip(SKIP_3) | instid1(VALU_DEP_1)
	v_add_nc_u32_e32 v38, v38, v41
	ds_bpermute_b32 v41, v65, v38
	s_waitcnt lgkmcnt(0)
	v_cndmask_b32_e32 v40, 0, v41, vcc_lo
	v_add3_u32 v38, v40, v62, v38
.LBB1113_368:                           ; =>This Loop Header: Depth=1
                                        ;     Child Loop BB1113_371 Depth 2
	s_delay_alu instid0(VALU_DEP_1) | instskip(NEXT) | instid1(VALU_DEP_1)
	v_dual_mov_b32 v62, v38 :: v_dual_and_b32 v39, 0xff, v39
	v_cmp_ne_u16_e32 vcc_lo, 2, v39
	v_cndmask_b32_e64 v39, 0, 1, vcc_lo
	;;#ASMSTART
	;;#ASMEND
	s_delay_alu instid0(VALU_DEP_1)
	v_cmp_ne_u32_e32 vcc_lo, 0, v39
	s_cmp_lg_u32 vcc_lo, exec_lo
	s_cbranch_scc1 .LBB1113_373
; %bb.369:                              ;   in Loop: Header=BB1113_368 Depth=1
	v_lshlrev_b64 v[38:39], 3, v[36:37]
	s_mov_b32 s13, exec_lo
	s_delay_alu instid0(VALU_DEP_1) | instskip(NEXT) | instid1(VALU_DEP_2)
	v_add_co_u32 v40, vcc_lo, s22, v38
	v_add_co_ci_u32_e32 v41, vcc_lo, s23, v39, vcc_lo
	global_load_b64 v[38:39], v[40:41], off glc
	s_waitcnt vmcnt(0)
	v_and_b32_e32 v67, 0xff, v39
	s_delay_alu instid0(VALU_DEP_1)
	v_cmpx_eq_u16_e32 0, v67
	s_cbranch_execz .LBB1113_367
; %bb.370:                              ;   in Loop: Header=BB1113_368 Depth=1
	s_mov_b32 s14, 0
.LBB1113_371:                           ;   Parent Loop BB1113_368 Depth=1
                                        ; =>  This Inner Loop Header: Depth=2
	global_load_b64 v[38:39], v[40:41], off glc
	s_waitcnt vmcnt(0)
	v_and_b32_e32 v67, 0xff, v39
	s_delay_alu instid0(VALU_DEP_1) | instskip(SKIP_1) | instid1(SALU_CYCLE_1)
	v_cmp_ne_u16_e32 vcc_lo, 0, v67
	s_or_b32 s14, vcc_lo, s14
	s_and_not1_b32 exec_lo, exec_lo, s14
	s_cbranch_execnz .LBB1113_371
; %bb.372:                              ;   in Loop: Header=BB1113_368 Depth=1
	s_or_b32 exec_lo, exec_lo, s14
	s_branch .LBB1113_367
.LBB1113_373:                           ;   in Loop: Header=BB1113_368 Depth=1
                                        ; implicit-def: $vgpr38
                                        ; implicit-def: $vgpr39
	s_cbranch_execz .LBB1113_368
; %bb.374:
	s_and_saveexec_b32 s13, s7
	s_cbranch_execz .LBB1113_376
; %bb.375:
	s_add_i32 s14, s30, 32
	s_mov_b32 s15, 0
	v_dual_mov_b32 v37, 2 :: v_dual_add_nc_u32 v36, v62, v35
	s_lshl_b64 s[14:15], s[14:15], 3
	v_mov_b32_e32 v38, 0
	v_add_nc_u32_e64 v39, 0x8400, 0
	s_add_u32 s14, s22, s14
	s_addc_u32 s15, s23, s15
	global_store_b64 v38, v[36:37], s[14:15]
	ds_store_2addr_b32 v39, v35, v62 offset1:2
.LBB1113_376:
	s_or_b32 exec_lo, exec_lo, s13
	s_delay_alu instid0(SALU_CYCLE_1)
	s_and_b32 exec_lo, exec_lo, s2
	s_cbranch_execz .LBB1113_378
; %bb.377:
	v_mov_b32_e32 v35, 0
	ds_store_b32 v35, v62 offset:60
.LBB1113_378:
	s_or_b32 exec_lo, exec_lo, s12
	v_mov_b32_e32 v35, 0
	s_waitcnt lgkmcnt(0)
	s_waitcnt_vscnt null, 0x0
	s_barrier
	buffer_gl0_inv
	v_cndmask_b32_e64 v36, v45, v43, s7
	ds_load_b32 v35, v35 offset:60
	s_waitcnt lgkmcnt(0)
	s_barrier
	buffer_gl0_inv
	v_cndmask_b32_e64 v36, v36, 0, s2
	s_delay_alu instid0(VALU_DEP_1) | instskip(SKIP_1) | instid1(VALU_DEP_2)
	v_add_nc_u32_e32 v53, v35, v36
	v_add_nc_u32_e64 v35, 0x8400, 0
	v_add_nc_u32_e32 v51, v53, v42
	ds_load_2addr_b32 v[35:36], v35 offset1:2
	v_add_nc_u32_e32 v49, v51, v44
	s_delay_alu instid0(VALU_DEP_1) | instskip(NEXT) | instid1(VALU_DEP_1)
	v_add_nc_u32_e32 v47, v49, v46
	v_add_nc_u32_e32 v45, v47, v48
	s_delay_alu instid0(VALU_DEP_1) | instskip(SKIP_2) | instid1(VALU_DEP_2)
	v_add_nc_u32_e32 v43, v45, v50
	s_waitcnt lgkmcnt(0)
	v_readfirstlane_b32 s12, v36
	v_add_nc_u32_e32 v41, v43, v52
	s_delay_alu instid0(VALU_DEP_1)
	v_add_nc_u32_e32 v39, v41, v54
	v_lshrrev_b64 v[37:38], 24, v[33:34]
	s_branch .LBB1113_389
.LBB1113_379:
                                        ; implicit-def: $vgpr39
                                        ; implicit-def: $vgpr41
                                        ; implicit-def: $vgpr43
                                        ; implicit-def: $vgpr45
                                        ; implicit-def: $vgpr47
                                        ; implicit-def: $vgpr49
                                        ; implicit-def: $vgpr51
                                        ; implicit-def: $vgpr53
                                        ; implicit-def: $sgpr12
                                        ; implicit-def: $vgpr35
	v_lshrrev_b64 v[37:38], 24, v[33:34]
	s_and_b32 vcc_lo, exec_lo, s7
	s_cbranch_vccz .LBB1113_389
; %bb.380:
	v_mov_b32_dpp v35, v59 row_shr:1 row_mask:0xf bank_mask:0xf
	s_delay_alu instid0(VALU_DEP_1) | instskip(NEXT) | instid1(VALU_DEP_1)
	v_cndmask_b32_e64 v35, v35, 0, s3
	v_add_nc_u32_e32 v35, v35, v59
	s_delay_alu instid0(VALU_DEP_1) | instskip(NEXT) | instid1(VALU_DEP_1)
	v_mov_b32_dpp v36, v35 row_shr:2 row_mask:0xf bank_mask:0xf
	v_cndmask_b32_e64 v36, 0, v36, s0
	s_delay_alu instid0(VALU_DEP_1) | instskip(NEXT) | instid1(VALU_DEP_1)
	v_add_nc_u32_e32 v35, v35, v36
	v_mov_b32_dpp v36, v35 row_shr:4 row_mask:0xf bank_mask:0xf
	s_delay_alu instid0(VALU_DEP_1) | instskip(NEXT) | instid1(VALU_DEP_1)
	v_cndmask_b32_e64 v36, 0, v36, s4
	v_add_nc_u32_e32 v35, v35, v36
	s_delay_alu instid0(VALU_DEP_1) | instskip(NEXT) | instid1(VALU_DEP_1)
	v_mov_b32_dpp v36, v35 row_shr:8 row_mask:0xf bank_mask:0xf
	v_cndmask_b32_e64 v36, 0, v36, s1
	s_delay_alu instid0(VALU_DEP_1) | instskip(SKIP_3) | instid1(VALU_DEP_1)
	v_add_nc_u32_e32 v35, v35, v36
	ds_swizzle_b32 v36, v35 offset:swizzle(BROADCAST,32,15)
	s_waitcnt lgkmcnt(0)
	v_cndmask_b32_e64 v36, v36, 0, s6
	v_add_nc_u32_e32 v35, v35, v36
	s_and_saveexec_b32 s6, s5
	s_cbranch_execz .LBB1113_382
; %bb.381:
	v_lshlrev_b32_e32 v36, 2, v58
	ds_store_b32 v36, v35
.LBB1113_382:
	s_or_b32 exec_lo, exec_lo, s6
	s_delay_alu instid0(SALU_CYCLE_1)
	s_mov_b32 s5, exec_lo
	s_waitcnt lgkmcnt(0)
	s_barrier
	buffer_gl0_inv
	v_cmpx_gt_u32_e32 16, v0
	s_cbranch_execz .LBB1113_384
; %bb.383:
	v_lshlrev_b32_e32 v36, 2, v0
	ds_load_b32 v38, v36
	s_waitcnt lgkmcnt(0)
	v_mov_b32_dpp v39, v38 row_shr:1 row_mask:0xf bank_mask:0xf
	s_delay_alu instid0(VALU_DEP_1) | instskip(NEXT) | instid1(VALU_DEP_1)
	v_cndmask_b32_e64 v39, v39, 0, s3
	v_add_nc_u32_e32 v38, v39, v38
	s_delay_alu instid0(VALU_DEP_1) | instskip(NEXT) | instid1(VALU_DEP_1)
	v_mov_b32_dpp v39, v38 row_shr:2 row_mask:0xf bank_mask:0xf
	v_cndmask_b32_e64 v39, 0, v39, s0
	s_delay_alu instid0(VALU_DEP_1) | instskip(NEXT) | instid1(VALU_DEP_1)
	v_add_nc_u32_e32 v38, v38, v39
	v_mov_b32_dpp v39, v38 row_shr:4 row_mask:0xf bank_mask:0xf
	s_delay_alu instid0(VALU_DEP_1) | instskip(NEXT) | instid1(VALU_DEP_1)
	v_cndmask_b32_e64 v39, 0, v39, s4
	v_add_nc_u32_e32 v38, v38, v39
	s_delay_alu instid0(VALU_DEP_1) | instskip(NEXT) | instid1(VALU_DEP_1)
	v_mov_b32_dpp v39, v38 row_shr:8 row_mask:0xf bank_mask:0xf
	v_cndmask_b32_e64 v39, 0, v39, s1
	s_delay_alu instid0(VALU_DEP_1)
	v_add_nc_u32_e32 v38, v38, v39
	ds_store_b32 v36, v38
.LBB1113_384:
	s_or_b32 exec_lo, exec_lo, s5
	v_mov_b32_e32 v36, 0
	v_mov_b32_e32 v38, 0
	s_mov_b32 s0, exec_lo
	s_waitcnt lgkmcnt(0)
	s_barrier
	buffer_gl0_inv
	v_cmpx_lt_u32_e32 31, v0
	s_cbranch_execz .LBB1113_386
; %bb.385:
	v_lshl_add_u32 v38, v58, 2, -4
	ds_load_b32 v38, v38
.LBB1113_386:
	s_or_b32 exec_lo, exec_lo, s0
	v_add_nc_u32_e32 v39, -1, v57
	s_waitcnt lgkmcnt(0)
	v_add_nc_u32_e32 v35, v38, v35
	s_mov_b32 s12, 0
	s_delay_alu instid0(VALU_DEP_2) | instskip(SKIP_1) | instid1(VALU_DEP_1)
	v_cmp_gt_i32_e32 vcc_lo, 0, v39
	v_cndmask_b32_e32 v39, v39, v57, vcc_lo
	v_lshlrev_b32_e32 v39, 2, v39
	ds_bpermute_b32 v39, v39, v35
	ds_load_b32 v35, v36 offset:60
	s_and_saveexec_b32 s0, s2
	s_cbranch_execz .LBB1113_388
; %bb.387:
	v_mov_b32_e32 v40, 0
	v_mov_b32_e32 v36, 2
	s_waitcnt lgkmcnt(0)
	global_store_b64 v40, v[35:36], s[22:23] offset:256
.LBB1113_388:
	s_or_b32 exec_lo, exec_lo, s0
	v_cmp_eq_u32_e32 vcc_lo, 0, v57
	s_waitcnt lgkmcnt(0)
	s_waitcnt_vscnt null, 0x0
	s_barrier
	buffer_gl0_inv
	v_cndmask_b32_e32 v36, v39, v38, vcc_lo
	s_delay_alu instid0(VALU_DEP_1) | instskip(NEXT) | instid1(VALU_DEP_1)
	v_cndmask_b32_e64 v53, v36, 0, s2
	v_add_nc_u32_e32 v51, v53, v42
	s_delay_alu instid0(VALU_DEP_1) | instskip(NEXT) | instid1(VALU_DEP_1)
	v_add_nc_u32_e32 v49, v51, v44
	v_add_nc_u32_e32 v47, v49, v46
	s_delay_alu instid0(VALU_DEP_1) | instskip(NEXT) | instid1(VALU_DEP_1)
	v_add_nc_u32_e32 v45, v47, v48
	;; [unrolled: 3-line block ×3, first 2 shown]
	v_add_nc_u32_e32 v39, v41, v54
.LBB1113_389:
	v_add_nc_u32_e32 v59, s12, v35
	v_cmp_gt_u32_e64 s0, 0x201, v35
	v_lshrrev_b32_e32 v58, 8, v33
	v_lshrrev_b32_e32 v57, 16, v33
	;; [unrolled: 1-line block ×4, first 2 shown]
	v_cmp_lt_u32_e64 s1, v53, v59
	s_and_b32 vcc_lo, exec_lo, s0
	s_mov_b32 s3, -1
	s_cbranch_vccz .LBB1113_415
; %bb.390:
	s_delay_alu instid0(VALU_DEP_1) | instskip(NEXT) | instid1(SALU_CYCLE_1)
	s_or_b32 s3, s29, s1
	s_and_saveexec_b32 s1, s3
	s_cbranch_execz .LBB1113_393
; %bb.391:
	v_and_b32_e32 v40, 1, v33
	s_delay_alu instid0(VALU_DEP_1)
	v_cmp_eq_u32_e32 vcc_lo, 1, v40
	s_and_b32 exec_lo, exec_lo, vcc_lo
	s_cbranch_execz .LBB1113_393
; %bb.392:
	v_mov_b32_e32 v54, 0
	s_lshl_b64 s[4:5], s[10:11], 3
	s_delay_alu instid0(SALU_CYCLE_1) | instskip(SKIP_1) | instid1(VALU_DEP_1)
	s_add_u32 s3, s16, s4
	s_addc_u32 s4, s17, s5
	v_lshlrev_b64 v[60:61], 3, v[53:54]
	s_delay_alu instid0(VALU_DEP_1) | instskip(NEXT) | instid1(VALU_DEP_2)
	v_add_co_u32 v60, vcc_lo, s3, v60
	v_add_co_ci_u32_e32 v61, vcc_lo, s4, v61, vcc_lo
	global_store_b64 v[60:61], v[29:30], off
.LBB1113_393:
	s_or_b32 exec_lo, exec_lo, s1
	v_cmp_lt_u32_e32 vcc_lo, v51, v59
	s_or_b32 s3, s29, vcc_lo
	s_delay_alu instid0(SALU_CYCLE_1)
	s_and_saveexec_b32 s1, s3
	s_cbranch_execz .LBB1113_396
; %bb.394:
	v_and_b32_e32 v40, 1, v58
	s_delay_alu instid0(VALU_DEP_1)
	v_cmp_eq_u32_e32 vcc_lo, 1, v40
	s_and_b32 exec_lo, exec_lo, vcc_lo
	s_cbranch_execz .LBB1113_396
; %bb.395:
	v_mov_b32_e32 v52, 0
	s_lshl_b64 s[4:5], s[10:11], 3
	s_delay_alu instid0(SALU_CYCLE_1) | instskip(SKIP_1) | instid1(VALU_DEP_1)
	s_add_u32 s3, s16, s4
	s_addc_u32 s4, s17, s5
	v_lshlrev_b64 v[60:61], 3, v[51:52]
	s_delay_alu instid0(VALU_DEP_1) | instskip(NEXT) | instid1(VALU_DEP_2)
	v_add_co_u32 v60, vcc_lo, s3, v60
	v_add_co_ci_u32_e32 v61, vcc_lo, s4, v61, vcc_lo
	global_store_b64 v[60:61], v[31:32], off
.LBB1113_396:
	s_or_b32 exec_lo, exec_lo, s1
	v_cmp_lt_u32_e32 vcc_lo, v49, v59
	s_or_b32 s3, s29, vcc_lo
	s_delay_alu instid0(SALU_CYCLE_1)
	s_and_saveexec_b32 s1, s3
	s_cbranch_execz .LBB1113_399
; %bb.397:
	v_and_b32_e32 v40, 1, v57
	s_delay_alu instid0(VALU_DEP_1)
	v_cmp_eq_u32_e32 vcc_lo, 1, v40
	s_and_b32 exec_lo, exec_lo, vcc_lo
	s_cbranch_execz .LBB1113_399
; %bb.398:
	v_mov_b32_e32 v50, 0
	s_lshl_b64 s[4:5], s[10:11], 3
	s_delay_alu instid0(SALU_CYCLE_1) | instskip(SKIP_1) | instid1(VALU_DEP_1)
	s_add_u32 s3, s16, s4
	s_addc_u32 s4, s17, s5
	v_lshlrev_b64 v[60:61], 3, v[49:50]
	s_delay_alu instid0(VALU_DEP_1) | instskip(NEXT) | instid1(VALU_DEP_2)
	v_add_co_u32 v60, vcc_lo, s3, v60
	v_add_co_ci_u32_e32 v61, vcc_lo, s4, v61, vcc_lo
	global_store_b64 v[60:61], v[25:26], off
.LBB1113_399:
	s_or_b32 exec_lo, exec_lo, s1
	v_cmp_lt_u32_e32 vcc_lo, v47, v59
	s_or_b32 s3, s29, vcc_lo
	s_delay_alu instid0(SALU_CYCLE_1)
	s_and_saveexec_b32 s1, s3
	s_cbranch_execz .LBB1113_402
; %bb.400:
	v_and_b32_e32 v40, 1, v37
	s_delay_alu instid0(VALU_DEP_1)
	v_cmp_eq_u32_e32 vcc_lo, 1, v40
	s_and_b32 exec_lo, exec_lo, vcc_lo
	s_cbranch_execz .LBB1113_402
; %bb.401:
	v_mov_b32_e32 v48, 0
	s_lshl_b64 s[4:5], s[10:11], 3
	s_delay_alu instid0(SALU_CYCLE_1) | instskip(SKIP_1) | instid1(VALU_DEP_1)
	s_add_u32 s3, s16, s4
	s_addc_u32 s4, s17, s5
	v_lshlrev_b64 v[60:61], 3, v[47:48]
	s_delay_alu instid0(VALU_DEP_1) | instskip(NEXT) | instid1(VALU_DEP_2)
	v_add_co_u32 v60, vcc_lo, s3, v60
	v_add_co_ci_u32_e32 v61, vcc_lo, s4, v61, vcc_lo
	global_store_b64 v[60:61], v[27:28], off
.LBB1113_402:
	s_or_b32 exec_lo, exec_lo, s1
	v_cmp_lt_u32_e32 vcc_lo, v45, v59
	s_or_b32 s3, s29, vcc_lo
	s_delay_alu instid0(SALU_CYCLE_1)
	s_and_saveexec_b32 s1, s3
	s_cbranch_execz .LBB1113_405
; %bb.403:
	v_and_b32_e32 v40, 1, v34
	s_delay_alu instid0(VALU_DEP_1)
	v_cmp_eq_u32_e32 vcc_lo, 1, v40
	s_and_b32 exec_lo, exec_lo, vcc_lo
	s_cbranch_execz .LBB1113_405
; %bb.404:
	v_mov_b32_e32 v46, 0
	s_lshl_b64 s[4:5], s[10:11], 3
	s_delay_alu instid0(SALU_CYCLE_1) | instskip(SKIP_1) | instid1(VALU_DEP_1)
	s_add_u32 s3, s16, s4
	s_addc_u32 s4, s17, s5
	v_lshlrev_b64 v[60:61], 3, v[45:46]
	s_delay_alu instid0(VALU_DEP_1) | instskip(NEXT) | instid1(VALU_DEP_2)
	v_add_co_u32 v60, vcc_lo, s3, v60
	v_add_co_ci_u32_e32 v61, vcc_lo, s4, v61, vcc_lo
	global_store_b64 v[60:61], v[21:22], off
.LBB1113_405:
	s_or_b32 exec_lo, exec_lo, s1
	v_cmp_lt_u32_e32 vcc_lo, v43, v59
	s_or_b32 s3, s29, vcc_lo
	s_delay_alu instid0(SALU_CYCLE_1)
	s_and_saveexec_b32 s1, s3
	s_cbranch_execz .LBB1113_408
; %bb.406:
	v_and_b32_e32 v40, 1, v38
	s_delay_alu instid0(VALU_DEP_1)
	v_cmp_eq_u32_e32 vcc_lo, 1, v40
	s_and_b32 exec_lo, exec_lo, vcc_lo
	s_cbranch_execz .LBB1113_408
; %bb.407:
	v_mov_b32_e32 v44, 0
	s_lshl_b64 s[4:5], s[10:11], 3
	s_delay_alu instid0(SALU_CYCLE_1) | instskip(SKIP_1) | instid1(VALU_DEP_1)
	s_add_u32 s3, s16, s4
	s_addc_u32 s4, s17, s5
	v_lshlrev_b64 v[60:61], 3, v[43:44]
	s_delay_alu instid0(VALU_DEP_1) | instskip(NEXT) | instid1(VALU_DEP_2)
	v_add_co_u32 v60, vcc_lo, s3, v60
	v_add_co_ci_u32_e32 v61, vcc_lo, s4, v61, vcc_lo
	global_store_b64 v[60:61], v[23:24], off
.LBB1113_408:
	s_or_b32 exec_lo, exec_lo, s1
	v_cmp_lt_u32_e32 vcc_lo, v41, v59
	s_or_b32 s3, s29, vcc_lo
	s_delay_alu instid0(SALU_CYCLE_1)
	s_and_saveexec_b32 s1, s3
	s_cbranch_execz .LBB1113_411
; %bb.409:
	v_and_b32_e32 v40, 1, v36
	s_delay_alu instid0(VALU_DEP_1)
	v_cmp_eq_u32_e32 vcc_lo, 1, v40
	s_and_b32 exec_lo, exec_lo, vcc_lo
	s_cbranch_execz .LBB1113_411
; %bb.410:
	v_mov_b32_e32 v42, 0
	s_lshl_b64 s[4:5], s[10:11], 3
	s_delay_alu instid0(SALU_CYCLE_1) | instskip(SKIP_1) | instid1(VALU_DEP_1)
	s_add_u32 s3, s16, s4
	s_addc_u32 s4, s17, s5
	v_lshlrev_b64 v[60:61], 3, v[41:42]
	s_delay_alu instid0(VALU_DEP_1) | instskip(NEXT) | instid1(VALU_DEP_2)
	v_add_co_u32 v60, vcc_lo, s3, v60
	v_add_co_ci_u32_e32 v61, vcc_lo, s4, v61, vcc_lo
	global_store_b64 v[60:61], v[17:18], off
.LBB1113_411:
	s_or_b32 exec_lo, exec_lo, s1
	v_cmp_lt_u32_e32 vcc_lo, v39, v59
	s_or_b32 s3, s29, vcc_lo
	s_delay_alu instid0(SALU_CYCLE_1)
	s_and_saveexec_b32 s1, s3
	s_cbranch_execz .LBB1113_414
; %bb.412:
	v_and_b32_e32 v40, 1, v56
	s_delay_alu instid0(VALU_DEP_1)
	v_cmp_eq_u32_e32 vcc_lo, 1, v40
	s_and_b32 exec_lo, exec_lo, vcc_lo
	s_cbranch_execz .LBB1113_414
; %bb.413:
	v_mov_b32_e32 v40, 0
	s_lshl_b64 s[4:5], s[10:11], 3
	s_delay_alu instid0(SALU_CYCLE_1) | instskip(SKIP_1) | instid1(VALU_DEP_1)
	s_add_u32 s3, s16, s4
	s_addc_u32 s4, s17, s5
	v_lshlrev_b64 v[60:61], 3, v[39:40]
	s_delay_alu instid0(VALU_DEP_1) | instskip(NEXT) | instid1(VALU_DEP_2)
	v_add_co_u32 v60, vcc_lo, s3, v60
	v_add_co_ci_u32_e32 v61, vcc_lo, s4, v61, vcc_lo
	global_store_b64 v[60:61], v[19:20], off
.LBB1113_414:
	s_or_b32 exec_lo, exec_lo, s1
	s_mov_b32 s3, 0
.LBB1113_415:
	v_and_b32_e32 v33, 1, v33
	s_and_b32 vcc_lo, exec_lo, s3
	s_delay_alu instid0(VALU_DEP_1)
	v_cmp_eq_u32_e64 s1, 1, v33
	s_cbranch_vccz .LBB1113_436
; %bb.416:
	s_delay_alu instid0(VALU_DEP_1)
	s_and_saveexec_b32 s3, s1
	s_cbranch_execz .LBB1113_418
; %bb.417:
	v_subrev_nc_u32_e32 v40, s12, v53
	s_delay_alu instid0(VALU_DEP_1)
	v_lshlrev_b32_e32 v40, 3, v40
	ds_store_b64 v40, v[29:30]
.LBB1113_418:
	s_or_b32 exec_lo, exec_lo, s3
	v_and_b32_e32 v29, 1, v58
	s_mov_b32 s1, exec_lo
	s_delay_alu instid0(VALU_DEP_1)
	v_cmpx_eq_u32_e32 1, v29
	s_cbranch_execz .LBB1113_420
; %bb.419:
	v_subrev_nc_u32_e32 v29, s12, v51
	s_delay_alu instid0(VALU_DEP_1)
	v_lshlrev_b32_e32 v29, 3, v29
	ds_store_b64 v29, v[31:32]
.LBB1113_420:
	s_or_b32 exec_lo, exec_lo, s1
	v_and_b32_e32 v29, 1, v57
	s_mov_b32 s1, exec_lo
	s_delay_alu instid0(VALU_DEP_1)
	v_cmpx_eq_u32_e32 1, v29
	;; [unrolled: 12-line block ×7, first 2 shown]
	s_cbranch_execz .LBB1113_432
; %bb.431:
	v_subrev_nc_u32_e32 v17, s12, v39
	s_delay_alu instid0(VALU_DEP_1)
	v_lshlrev_b32_e32 v17, 3, v17
	ds_store_b64 v17, v[19:20]
.LBB1113_432:
	s_or_b32 exec_lo, exec_lo, s1
	s_delay_alu instid0(SALU_CYCLE_1)
	s_mov_b32 s3, exec_lo
	s_waitcnt lgkmcnt(0)
	s_waitcnt_vscnt null, 0x0
	s_barrier
	buffer_gl0_inv
	v_cmpx_lt_u32_e64 v0, v35
	s_cbranch_execz .LBB1113_435
; %bb.433:
	s_mov_b32 s13, 0
	s_lshl_b64 s[4:5], s[10:11], 3
	s_lshl_b64 s[6:7], s[12:13], 3
	v_dual_mov_b32 v19, v55 :: v_dual_mov_b32 v20, v0
	s_add_u32 s1, s4, s6
	s_addc_u32 s4, s5, s7
	s_add_u32 s1, s16, s1
	s_addc_u32 s4, s17, s4
	v_add_co_u32 v17, s1, s1, v55
	s_delay_alu instid0(VALU_DEP_1)
	v_add_co_ci_u32_e64 v18, null, s4, 0, s1
	.p2align	6
.LBB1113_434:                           ; =>This Inner Loop Header: Depth=1
	ds_load_b64 v[21:22], v19
	v_add_nc_u32_e32 v20, 0x200, v20
	v_add_nc_u32_e32 v19, 0x1000, v19
	s_delay_alu instid0(VALU_DEP_2) | instskip(SKIP_4) | instid1(VALU_DEP_1)
	v_cmp_ge_u32_e32 vcc_lo, v20, v35
	s_or_b32 s13, vcc_lo, s13
	s_waitcnt lgkmcnt(0)
	global_store_b64 v[17:18], v[21:22], off
	v_add_co_u32 v17, s1, 0x1000, v17
	v_add_co_ci_u32_e64 v18, s1, 0, v18, s1
	s_and_not1_b32 exec_lo, exec_lo, s13
	s_cbranch_execnz .LBB1113_434
.LBB1113_435:
	s_or_b32 exec_lo, exec_lo, s3
.LBB1113_436:
	s_delay_alu instid0(SALU_CYCLE_1)
	s_and_b32 vcc_lo, exec_lo, s0
	s_mov_b32 s0, -1
	s_waitcnt_vscnt null, 0x0
	s_barrier
	buffer_gl0_inv
	s_cbranch_vccz .LBB1113_464
; %bb.437:
	v_cmp_lt_u32_e32 vcc_lo, v53, v59
	s_or_b32 s1, s29, vcc_lo
	s_delay_alu instid0(SALU_CYCLE_1)
	s_and_saveexec_b32 s0, s1
	s_cbranch_execz .LBB1113_440
; %bb.438:
	v_cmp_eq_u32_e32 vcc_lo, 1, v33
	s_and_b32 exec_lo, exec_lo, vcc_lo
	s_cbranch_execz .LBB1113_440
; %bb.439:
	v_mov_b32_e32 v54, 0
	s_lshl_b64 s[4:5], s[10:11], 3
	s_delay_alu instid0(SALU_CYCLE_1) | instskip(SKIP_1) | instid1(VALU_DEP_1)
	s_add_u32 s1, s18, s4
	s_addc_u32 s3, s19, s5
	v_lshlrev_b64 v[17:18], 3, v[53:54]
	s_delay_alu instid0(VALU_DEP_1) | instskip(NEXT) | instid1(VALU_DEP_2)
	v_add_co_u32 v17, vcc_lo, s1, v17
	v_add_co_ci_u32_e32 v18, vcc_lo, s3, v18, vcc_lo
	global_store_b64 v[17:18], v[13:14], off
.LBB1113_440:
	s_or_b32 exec_lo, exec_lo, s0
	v_cmp_lt_u32_e32 vcc_lo, v51, v59
	s_or_b32 s1, s29, vcc_lo
	s_delay_alu instid0(SALU_CYCLE_1)
	s_and_saveexec_b32 s0, s1
	s_cbranch_execz .LBB1113_443
; %bb.441:
	v_and_b32_e32 v17, 1, v58
	s_delay_alu instid0(VALU_DEP_1)
	v_cmp_eq_u32_e32 vcc_lo, 1, v17
	s_and_b32 exec_lo, exec_lo, vcc_lo
	s_cbranch_execz .LBB1113_443
; %bb.442:
	v_mov_b32_e32 v52, 0
	s_lshl_b64 s[4:5], s[10:11], 3
	s_delay_alu instid0(SALU_CYCLE_1) | instskip(SKIP_1) | instid1(VALU_DEP_1)
	s_add_u32 s1, s18, s4
	s_addc_u32 s3, s19, s5
	v_lshlrev_b64 v[17:18], 3, v[51:52]
	s_delay_alu instid0(VALU_DEP_1) | instskip(NEXT) | instid1(VALU_DEP_2)
	v_add_co_u32 v17, vcc_lo, s1, v17
	v_add_co_ci_u32_e32 v18, vcc_lo, s3, v18, vcc_lo
	global_store_b64 v[17:18], v[15:16], off
.LBB1113_443:
	s_or_b32 exec_lo, exec_lo, s0
	v_cmp_lt_u32_e32 vcc_lo, v49, v59
	s_or_b32 s1, s29, vcc_lo
	s_delay_alu instid0(SALU_CYCLE_1)
	s_and_saveexec_b32 s0, s1
	s_cbranch_execz .LBB1113_446
; %bb.444:
	v_and_b32_e32 v17, 1, v57
	s_delay_alu instid0(VALU_DEP_1)
	v_cmp_eq_u32_e32 vcc_lo, 1, v17
	s_and_b32 exec_lo, exec_lo, vcc_lo
	s_cbranch_execz .LBB1113_446
; %bb.445:
	v_mov_b32_e32 v50, 0
	s_lshl_b64 s[4:5], s[10:11], 3
	s_delay_alu instid0(SALU_CYCLE_1) | instskip(SKIP_1) | instid1(VALU_DEP_1)
	s_add_u32 s1, s18, s4
	s_addc_u32 s3, s19, s5
	v_lshlrev_b64 v[17:18], 3, v[49:50]
	s_delay_alu instid0(VALU_DEP_1) | instskip(NEXT) | instid1(VALU_DEP_2)
	v_add_co_u32 v17, vcc_lo, s1, v17
	v_add_co_ci_u32_e32 v18, vcc_lo, s3, v18, vcc_lo
	global_store_b64 v[17:18], v[9:10], off
.LBB1113_446:
	;; [unrolled: 24-line block ×7, first 2 shown]
	s_or_b32 exec_lo, exec_lo, s0
.LBB1113_462:
	s_and_b32 s0, s2, s28
	s_delay_alu instid0(SALU_CYCLE_1)
	s_and_saveexec_b32 s1, s0
	s_cbranch_execz .LBB1113_485
.LBB1113_463:
	v_add_co_u32 v0, s0, s10, v35
	s_delay_alu instid0(VALU_DEP_1) | instskip(SKIP_1) | instid1(VALU_DEP_3)
	v_add_co_ci_u32_e64 v1, null, s11, 0, s0
	v_mov_b32_e32 v2, 0
	v_add_co_u32 v0, vcc_lo, v0, s12
	s_delay_alu instid0(VALU_DEP_3)
	v_add_co_ci_u32_e32 v1, vcc_lo, 0, v1, vcc_lo
	global_store_b64 v2, v[0:1], s[8:9]
	s_nop 0
	s_sendmsg sendmsg(MSG_DEALLOC_VGPRS)
	s_endpgm
.LBB1113_464:
	s_and_b32 vcc_lo, exec_lo, s0
	s_cbranch_vccz .LBB1113_462
; %bb.465:
	s_mov_b32 s0, exec_lo
	v_cmpx_eq_u32_e32 1, v33
	s_cbranch_execz .LBB1113_467
; %bb.466:
	v_subrev_nc_u32_e32 v17, s12, v53
	s_delay_alu instid0(VALU_DEP_1)
	v_lshlrev_b32_e32 v17, 3, v17
	ds_store_b64 v17, v[13:14]
.LBB1113_467:
	s_or_b32 exec_lo, exec_lo, s0
	v_and_b32_e32 v13, 1, v58
	s_mov_b32 s0, exec_lo
	s_delay_alu instid0(VALU_DEP_1)
	v_cmpx_eq_u32_e32 1, v13
	s_cbranch_execz .LBB1113_469
; %bb.468:
	v_subrev_nc_u32_e32 v13, s12, v51
	s_delay_alu instid0(VALU_DEP_1)
	v_lshlrev_b32_e32 v13, 3, v13
	ds_store_b64 v13, v[15:16]
.LBB1113_469:
	s_or_b32 exec_lo, exec_lo, s0
	v_and_b32_e32 v13, 1, v57
	s_mov_b32 s0, exec_lo
	s_delay_alu instid0(VALU_DEP_1)
	;; [unrolled: 12-line block ×7, first 2 shown]
	v_cmpx_eq_u32_e32 1, v1
	s_cbranch_execz .LBB1113_481
; %bb.480:
	v_subrev_nc_u32_e32 v1, s12, v39
	s_delay_alu instid0(VALU_DEP_1)
	v_lshlrev_b32_e32 v1, 3, v1
	ds_store_b64 v1, v[3:4]
.LBB1113_481:
	s_or_b32 exec_lo, exec_lo, s0
	s_delay_alu instid0(SALU_CYCLE_1)
	s_mov_b32 s1, exec_lo
	s_waitcnt lgkmcnt(0)
	s_waitcnt_vscnt null, 0x0
	s_barrier
	buffer_gl0_inv
	v_cmpx_lt_u32_e64 v0, v35
	s_cbranch_execz .LBB1113_484
; %bb.482:
	s_mov_b32 s13, 0
	s_lshl_b64 s[4:5], s[10:11], 3
	s_lshl_b64 s[6:7], s[12:13], 3
	s_delay_alu instid0(SALU_CYCLE_1) | instskip(SKIP_4) | instid1(VALU_DEP_1)
	s_add_u32 s0, s4, s6
	s_addc_u32 s3, s5, s7
	s_add_u32 s0, s18, s0
	s_addc_u32 s3, s19, s3
	v_add_co_u32 v1, s0, s0, v55
	v_add_co_ci_u32_e64 v2, null, s3, 0, s0
	.p2align	6
.LBB1113_483:                           ; =>This Inner Loop Header: Depth=1
	ds_load_b64 v[3:4], v55
	v_add_nc_u32_e32 v0, 0x200, v0
	v_add_nc_u32_e32 v55, 0x1000, v55
	s_delay_alu instid0(VALU_DEP_2) | instskip(SKIP_4) | instid1(VALU_DEP_1)
	v_cmp_ge_u32_e32 vcc_lo, v0, v35
	s_or_b32 s13, vcc_lo, s13
	s_waitcnt lgkmcnt(0)
	global_store_b64 v[1:2], v[3:4], off
	v_add_co_u32 v1, s0, 0x1000, v1
	v_add_co_ci_u32_e64 v2, s0, 0, v2, s0
	s_and_not1_b32 exec_lo, exec_lo, s13
	s_cbranch_execnz .LBB1113_483
.LBB1113_484:
	s_or_b32 exec_lo, exec_lo, s1
	s_and_b32 s0, s2, s28
	s_delay_alu instid0(SALU_CYCLE_1)
	s_and_saveexec_b32 s1, s0
	s_cbranch_execnz .LBB1113_463
.LBB1113_485:
	s_nop 0
	s_sendmsg sendmsg(MSG_DEALLOC_VGPRS)
	s_endpgm
	.section	.rodata,"a",@progbits
	.p2align	6, 0x0
	.amdhsa_kernel _ZN7rocprim17ROCPRIM_400000_NS6detail17trampoline_kernelINS0_14default_configENS1_25partition_config_selectorILNS1_17partition_subalgoE9EllbEEZZNS1_14partition_implILS5_9ELb0ES3_jPlS8_PNS0_10empty_typeENS0_5tupleIJS8_S9_EEENSB_IJS8_SA_EEENS0_18inequality_wrapperIZN2at6native12_GLOBAL__N_124unique_dim_cuda_templateIbEESt5tupleIJNSF_6TensorESK_SK_EERKSK_lbbbEUlllE0_EEPmJS9_EEE10hipError_tPvRmT3_T4_T5_T6_T7_T9_mT8_P12ihipStream_tbDpT10_ENKUlT_T0_E_clISt17integral_constantIbLb0EES19_IbLb1EEEEDaS15_S16_EUlS15_E_NS1_11comp_targetILNS1_3genE9ELNS1_11target_archE1100ELNS1_3gpuE3ELNS1_3repE0EEENS1_30default_config_static_selectorELNS0_4arch9wavefront6targetE0EEEvT1_
		.amdhsa_group_segment_fixed_size 33804
		.amdhsa_private_segment_fixed_size 0
		.amdhsa_kernarg_size 136
		.amdhsa_user_sgpr_count 15
		.amdhsa_user_sgpr_dispatch_ptr 0
		.amdhsa_user_sgpr_queue_ptr 0
		.amdhsa_user_sgpr_kernarg_segment_ptr 1
		.amdhsa_user_sgpr_dispatch_id 0
		.amdhsa_user_sgpr_private_segment_size 0
		.amdhsa_wavefront_size32 1
		.amdhsa_uses_dynamic_stack 0
		.amdhsa_enable_private_segment 0
		.amdhsa_system_sgpr_workgroup_id_x 1
		.amdhsa_system_sgpr_workgroup_id_y 0
		.amdhsa_system_sgpr_workgroup_id_z 0
		.amdhsa_system_sgpr_workgroup_info 0
		.amdhsa_system_vgpr_workitem_id 0
		.amdhsa_next_free_vgpr 68
		.amdhsa_next_free_sgpr 40
		.amdhsa_reserve_vcc 1
		.amdhsa_float_round_mode_32 0
		.amdhsa_float_round_mode_16_64 0
		.amdhsa_float_denorm_mode_32 3
		.amdhsa_float_denorm_mode_16_64 3
		.amdhsa_dx10_clamp 1
		.amdhsa_ieee_mode 1
		.amdhsa_fp16_overflow 0
		.amdhsa_workgroup_processor_mode 1
		.amdhsa_memory_ordered 1
		.amdhsa_forward_progress 0
		.amdhsa_shared_vgpr_count 0
		.amdhsa_exception_fp_ieee_invalid_op 0
		.amdhsa_exception_fp_denorm_src 0
		.amdhsa_exception_fp_ieee_div_zero 0
		.amdhsa_exception_fp_ieee_overflow 0
		.amdhsa_exception_fp_ieee_underflow 0
		.amdhsa_exception_fp_ieee_inexact 0
		.amdhsa_exception_int_div_zero 0
	.end_amdhsa_kernel
	.section	.text._ZN7rocprim17ROCPRIM_400000_NS6detail17trampoline_kernelINS0_14default_configENS1_25partition_config_selectorILNS1_17partition_subalgoE9EllbEEZZNS1_14partition_implILS5_9ELb0ES3_jPlS8_PNS0_10empty_typeENS0_5tupleIJS8_S9_EEENSB_IJS8_SA_EEENS0_18inequality_wrapperIZN2at6native12_GLOBAL__N_124unique_dim_cuda_templateIbEESt5tupleIJNSF_6TensorESK_SK_EERKSK_lbbbEUlllE0_EEPmJS9_EEE10hipError_tPvRmT3_T4_T5_T6_T7_T9_mT8_P12ihipStream_tbDpT10_ENKUlT_T0_E_clISt17integral_constantIbLb0EES19_IbLb1EEEEDaS15_S16_EUlS15_E_NS1_11comp_targetILNS1_3genE9ELNS1_11target_archE1100ELNS1_3gpuE3ELNS1_3repE0EEENS1_30default_config_static_selectorELNS0_4arch9wavefront6targetE0EEEvT1_,"axG",@progbits,_ZN7rocprim17ROCPRIM_400000_NS6detail17trampoline_kernelINS0_14default_configENS1_25partition_config_selectorILNS1_17partition_subalgoE9EllbEEZZNS1_14partition_implILS5_9ELb0ES3_jPlS8_PNS0_10empty_typeENS0_5tupleIJS8_S9_EEENSB_IJS8_SA_EEENS0_18inequality_wrapperIZN2at6native12_GLOBAL__N_124unique_dim_cuda_templateIbEESt5tupleIJNSF_6TensorESK_SK_EERKSK_lbbbEUlllE0_EEPmJS9_EEE10hipError_tPvRmT3_T4_T5_T6_T7_T9_mT8_P12ihipStream_tbDpT10_ENKUlT_T0_E_clISt17integral_constantIbLb0EES19_IbLb1EEEEDaS15_S16_EUlS15_E_NS1_11comp_targetILNS1_3genE9ELNS1_11target_archE1100ELNS1_3gpuE3ELNS1_3repE0EEENS1_30default_config_static_selectorELNS0_4arch9wavefront6targetE0EEEvT1_,comdat
.Lfunc_end1113:
	.size	_ZN7rocprim17ROCPRIM_400000_NS6detail17trampoline_kernelINS0_14default_configENS1_25partition_config_selectorILNS1_17partition_subalgoE9EllbEEZZNS1_14partition_implILS5_9ELb0ES3_jPlS8_PNS0_10empty_typeENS0_5tupleIJS8_S9_EEENSB_IJS8_SA_EEENS0_18inequality_wrapperIZN2at6native12_GLOBAL__N_124unique_dim_cuda_templateIbEESt5tupleIJNSF_6TensorESK_SK_EERKSK_lbbbEUlllE0_EEPmJS9_EEE10hipError_tPvRmT3_T4_T5_T6_T7_T9_mT8_P12ihipStream_tbDpT10_ENKUlT_T0_E_clISt17integral_constantIbLb0EES19_IbLb1EEEEDaS15_S16_EUlS15_E_NS1_11comp_targetILNS1_3genE9ELNS1_11target_archE1100ELNS1_3gpuE3ELNS1_3repE0EEENS1_30default_config_static_selectorELNS0_4arch9wavefront6targetE0EEEvT1_, .Lfunc_end1113-_ZN7rocprim17ROCPRIM_400000_NS6detail17trampoline_kernelINS0_14default_configENS1_25partition_config_selectorILNS1_17partition_subalgoE9EllbEEZZNS1_14partition_implILS5_9ELb0ES3_jPlS8_PNS0_10empty_typeENS0_5tupleIJS8_S9_EEENSB_IJS8_SA_EEENS0_18inequality_wrapperIZN2at6native12_GLOBAL__N_124unique_dim_cuda_templateIbEESt5tupleIJNSF_6TensorESK_SK_EERKSK_lbbbEUlllE0_EEPmJS9_EEE10hipError_tPvRmT3_T4_T5_T6_T7_T9_mT8_P12ihipStream_tbDpT10_ENKUlT_T0_E_clISt17integral_constantIbLb0EES19_IbLb1EEEEDaS15_S16_EUlS15_E_NS1_11comp_targetILNS1_3genE9ELNS1_11target_archE1100ELNS1_3gpuE3ELNS1_3repE0EEENS1_30default_config_static_selectorELNS0_4arch9wavefront6targetE0EEEvT1_
                                        ; -- End function
	.section	.AMDGPU.csdata,"",@progbits
; Kernel info:
; codeLenInByte = 19964
; NumSgprs: 42
; NumVgprs: 68
; ScratchSize: 0
; MemoryBound: 0
; FloatMode: 240
; IeeeMode: 1
; LDSByteSize: 33804 bytes/workgroup (compile time only)
; SGPRBlocks: 5
; VGPRBlocks: 8
; NumSGPRsForWavesPerEU: 42
; NumVGPRsForWavesPerEU: 68
; Occupancy: 12
; WaveLimiterHint : 1
; COMPUTE_PGM_RSRC2:SCRATCH_EN: 0
; COMPUTE_PGM_RSRC2:USER_SGPR: 15
; COMPUTE_PGM_RSRC2:TRAP_HANDLER: 0
; COMPUTE_PGM_RSRC2:TGID_X_EN: 1
; COMPUTE_PGM_RSRC2:TGID_Y_EN: 0
; COMPUTE_PGM_RSRC2:TGID_Z_EN: 0
; COMPUTE_PGM_RSRC2:TIDIG_COMP_CNT: 0
	.section	.text._ZN7rocprim17ROCPRIM_400000_NS6detail17trampoline_kernelINS0_14default_configENS1_25partition_config_selectorILNS1_17partition_subalgoE9EllbEEZZNS1_14partition_implILS5_9ELb0ES3_jPlS8_PNS0_10empty_typeENS0_5tupleIJS8_S9_EEENSB_IJS8_SA_EEENS0_18inequality_wrapperIZN2at6native12_GLOBAL__N_124unique_dim_cuda_templateIbEESt5tupleIJNSF_6TensorESK_SK_EERKSK_lbbbEUlllE0_EEPmJS9_EEE10hipError_tPvRmT3_T4_T5_T6_T7_T9_mT8_P12ihipStream_tbDpT10_ENKUlT_T0_E_clISt17integral_constantIbLb0EES19_IbLb1EEEEDaS15_S16_EUlS15_E_NS1_11comp_targetILNS1_3genE8ELNS1_11target_archE1030ELNS1_3gpuE2ELNS1_3repE0EEENS1_30default_config_static_selectorELNS0_4arch9wavefront6targetE0EEEvT1_,"axG",@progbits,_ZN7rocprim17ROCPRIM_400000_NS6detail17trampoline_kernelINS0_14default_configENS1_25partition_config_selectorILNS1_17partition_subalgoE9EllbEEZZNS1_14partition_implILS5_9ELb0ES3_jPlS8_PNS0_10empty_typeENS0_5tupleIJS8_S9_EEENSB_IJS8_SA_EEENS0_18inequality_wrapperIZN2at6native12_GLOBAL__N_124unique_dim_cuda_templateIbEESt5tupleIJNSF_6TensorESK_SK_EERKSK_lbbbEUlllE0_EEPmJS9_EEE10hipError_tPvRmT3_T4_T5_T6_T7_T9_mT8_P12ihipStream_tbDpT10_ENKUlT_T0_E_clISt17integral_constantIbLb0EES19_IbLb1EEEEDaS15_S16_EUlS15_E_NS1_11comp_targetILNS1_3genE8ELNS1_11target_archE1030ELNS1_3gpuE2ELNS1_3repE0EEENS1_30default_config_static_selectorELNS0_4arch9wavefront6targetE0EEEvT1_,comdat
	.globl	_ZN7rocprim17ROCPRIM_400000_NS6detail17trampoline_kernelINS0_14default_configENS1_25partition_config_selectorILNS1_17partition_subalgoE9EllbEEZZNS1_14partition_implILS5_9ELb0ES3_jPlS8_PNS0_10empty_typeENS0_5tupleIJS8_S9_EEENSB_IJS8_SA_EEENS0_18inequality_wrapperIZN2at6native12_GLOBAL__N_124unique_dim_cuda_templateIbEESt5tupleIJNSF_6TensorESK_SK_EERKSK_lbbbEUlllE0_EEPmJS9_EEE10hipError_tPvRmT3_T4_T5_T6_T7_T9_mT8_P12ihipStream_tbDpT10_ENKUlT_T0_E_clISt17integral_constantIbLb0EES19_IbLb1EEEEDaS15_S16_EUlS15_E_NS1_11comp_targetILNS1_3genE8ELNS1_11target_archE1030ELNS1_3gpuE2ELNS1_3repE0EEENS1_30default_config_static_selectorELNS0_4arch9wavefront6targetE0EEEvT1_ ; -- Begin function _ZN7rocprim17ROCPRIM_400000_NS6detail17trampoline_kernelINS0_14default_configENS1_25partition_config_selectorILNS1_17partition_subalgoE9EllbEEZZNS1_14partition_implILS5_9ELb0ES3_jPlS8_PNS0_10empty_typeENS0_5tupleIJS8_S9_EEENSB_IJS8_SA_EEENS0_18inequality_wrapperIZN2at6native12_GLOBAL__N_124unique_dim_cuda_templateIbEESt5tupleIJNSF_6TensorESK_SK_EERKSK_lbbbEUlllE0_EEPmJS9_EEE10hipError_tPvRmT3_T4_T5_T6_T7_T9_mT8_P12ihipStream_tbDpT10_ENKUlT_T0_E_clISt17integral_constantIbLb0EES19_IbLb1EEEEDaS15_S16_EUlS15_E_NS1_11comp_targetILNS1_3genE8ELNS1_11target_archE1030ELNS1_3gpuE2ELNS1_3repE0EEENS1_30default_config_static_selectorELNS0_4arch9wavefront6targetE0EEEvT1_
	.p2align	8
	.type	_ZN7rocprim17ROCPRIM_400000_NS6detail17trampoline_kernelINS0_14default_configENS1_25partition_config_selectorILNS1_17partition_subalgoE9EllbEEZZNS1_14partition_implILS5_9ELb0ES3_jPlS8_PNS0_10empty_typeENS0_5tupleIJS8_S9_EEENSB_IJS8_SA_EEENS0_18inequality_wrapperIZN2at6native12_GLOBAL__N_124unique_dim_cuda_templateIbEESt5tupleIJNSF_6TensorESK_SK_EERKSK_lbbbEUlllE0_EEPmJS9_EEE10hipError_tPvRmT3_T4_T5_T6_T7_T9_mT8_P12ihipStream_tbDpT10_ENKUlT_T0_E_clISt17integral_constantIbLb0EES19_IbLb1EEEEDaS15_S16_EUlS15_E_NS1_11comp_targetILNS1_3genE8ELNS1_11target_archE1030ELNS1_3gpuE2ELNS1_3repE0EEENS1_30default_config_static_selectorELNS0_4arch9wavefront6targetE0EEEvT1_,@function
_ZN7rocprim17ROCPRIM_400000_NS6detail17trampoline_kernelINS0_14default_configENS1_25partition_config_selectorILNS1_17partition_subalgoE9EllbEEZZNS1_14partition_implILS5_9ELb0ES3_jPlS8_PNS0_10empty_typeENS0_5tupleIJS8_S9_EEENSB_IJS8_SA_EEENS0_18inequality_wrapperIZN2at6native12_GLOBAL__N_124unique_dim_cuda_templateIbEESt5tupleIJNSF_6TensorESK_SK_EERKSK_lbbbEUlllE0_EEPmJS9_EEE10hipError_tPvRmT3_T4_T5_T6_T7_T9_mT8_P12ihipStream_tbDpT10_ENKUlT_T0_E_clISt17integral_constantIbLb0EES19_IbLb1EEEEDaS15_S16_EUlS15_E_NS1_11comp_targetILNS1_3genE8ELNS1_11target_archE1030ELNS1_3gpuE2ELNS1_3repE0EEENS1_30default_config_static_selectorELNS0_4arch9wavefront6targetE0EEEvT1_: ; @_ZN7rocprim17ROCPRIM_400000_NS6detail17trampoline_kernelINS0_14default_configENS1_25partition_config_selectorILNS1_17partition_subalgoE9EllbEEZZNS1_14partition_implILS5_9ELb0ES3_jPlS8_PNS0_10empty_typeENS0_5tupleIJS8_S9_EEENSB_IJS8_SA_EEENS0_18inequality_wrapperIZN2at6native12_GLOBAL__N_124unique_dim_cuda_templateIbEESt5tupleIJNSF_6TensorESK_SK_EERKSK_lbbbEUlllE0_EEPmJS9_EEE10hipError_tPvRmT3_T4_T5_T6_T7_T9_mT8_P12ihipStream_tbDpT10_ENKUlT_T0_E_clISt17integral_constantIbLb0EES19_IbLb1EEEEDaS15_S16_EUlS15_E_NS1_11comp_targetILNS1_3genE8ELNS1_11target_archE1030ELNS1_3gpuE2ELNS1_3repE0EEENS1_30default_config_static_selectorELNS0_4arch9wavefront6targetE0EEEvT1_
; %bb.0:
	.section	.rodata,"a",@progbits
	.p2align	6, 0x0
	.amdhsa_kernel _ZN7rocprim17ROCPRIM_400000_NS6detail17trampoline_kernelINS0_14default_configENS1_25partition_config_selectorILNS1_17partition_subalgoE9EllbEEZZNS1_14partition_implILS5_9ELb0ES3_jPlS8_PNS0_10empty_typeENS0_5tupleIJS8_S9_EEENSB_IJS8_SA_EEENS0_18inequality_wrapperIZN2at6native12_GLOBAL__N_124unique_dim_cuda_templateIbEESt5tupleIJNSF_6TensorESK_SK_EERKSK_lbbbEUlllE0_EEPmJS9_EEE10hipError_tPvRmT3_T4_T5_T6_T7_T9_mT8_P12ihipStream_tbDpT10_ENKUlT_T0_E_clISt17integral_constantIbLb0EES19_IbLb1EEEEDaS15_S16_EUlS15_E_NS1_11comp_targetILNS1_3genE8ELNS1_11target_archE1030ELNS1_3gpuE2ELNS1_3repE0EEENS1_30default_config_static_selectorELNS0_4arch9wavefront6targetE0EEEvT1_
		.amdhsa_group_segment_fixed_size 0
		.amdhsa_private_segment_fixed_size 0
		.amdhsa_kernarg_size 136
		.amdhsa_user_sgpr_count 15
		.amdhsa_user_sgpr_dispatch_ptr 0
		.amdhsa_user_sgpr_queue_ptr 0
		.amdhsa_user_sgpr_kernarg_segment_ptr 1
		.amdhsa_user_sgpr_dispatch_id 0
		.amdhsa_user_sgpr_private_segment_size 0
		.amdhsa_wavefront_size32 1
		.amdhsa_uses_dynamic_stack 0
		.amdhsa_enable_private_segment 0
		.amdhsa_system_sgpr_workgroup_id_x 1
		.amdhsa_system_sgpr_workgroup_id_y 0
		.amdhsa_system_sgpr_workgroup_id_z 0
		.amdhsa_system_sgpr_workgroup_info 0
		.amdhsa_system_vgpr_workitem_id 0
		.amdhsa_next_free_vgpr 1
		.amdhsa_next_free_sgpr 1
		.amdhsa_reserve_vcc 0
		.amdhsa_float_round_mode_32 0
		.amdhsa_float_round_mode_16_64 0
		.amdhsa_float_denorm_mode_32 3
		.amdhsa_float_denorm_mode_16_64 3
		.amdhsa_dx10_clamp 1
		.amdhsa_ieee_mode 1
		.amdhsa_fp16_overflow 0
		.amdhsa_workgroup_processor_mode 1
		.amdhsa_memory_ordered 1
		.amdhsa_forward_progress 0
		.amdhsa_shared_vgpr_count 0
		.amdhsa_exception_fp_ieee_invalid_op 0
		.amdhsa_exception_fp_denorm_src 0
		.amdhsa_exception_fp_ieee_div_zero 0
		.amdhsa_exception_fp_ieee_overflow 0
		.amdhsa_exception_fp_ieee_underflow 0
		.amdhsa_exception_fp_ieee_inexact 0
		.amdhsa_exception_int_div_zero 0
	.end_amdhsa_kernel
	.section	.text._ZN7rocprim17ROCPRIM_400000_NS6detail17trampoline_kernelINS0_14default_configENS1_25partition_config_selectorILNS1_17partition_subalgoE9EllbEEZZNS1_14partition_implILS5_9ELb0ES3_jPlS8_PNS0_10empty_typeENS0_5tupleIJS8_S9_EEENSB_IJS8_SA_EEENS0_18inequality_wrapperIZN2at6native12_GLOBAL__N_124unique_dim_cuda_templateIbEESt5tupleIJNSF_6TensorESK_SK_EERKSK_lbbbEUlllE0_EEPmJS9_EEE10hipError_tPvRmT3_T4_T5_T6_T7_T9_mT8_P12ihipStream_tbDpT10_ENKUlT_T0_E_clISt17integral_constantIbLb0EES19_IbLb1EEEEDaS15_S16_EUlS15_E_NS1_11comp_targetILNS1_3genE8ELNS1_11target_archE1030ELNS1_3gpuE2ELNS1_3repE0EEENS1_30default_config_static_selectorELNS0_4arch9wavefront6targetE0EEEvT1_,"axG",@progbits,_ZN7rocprim17ROCPRIM_400000_NS6detail17trampoline_kernelINS0_14default_configENS1_25partition_config_selectorILNS1_17partition_subalgoE9EllbEEZZNS1_14partition_implILS5_9ELb0ES3_jPlS8_PNS0_10empty_typeENS0_5tupleIJS8_S9_EEENSB_IJS8_SA_EEENS0_18inequality_wrapperIZN2at6native12_GLOBAL__N_124unique_dim_cuda_templateIbEESt5tupleIJNSF_6TensorESK_SK_EERKSK_lbbbEUlllE0_EEPmJS9_EEE10hipError_tPvRmT3_T4_T5_T6_T7_T9_mT8_P12ihipStream_tbDpT10_ENKUlT_T0_E_clISt17integral_constantIbLb0EES19_IbLb1EEEEDaS15_S16_EUlS15_E_NS1_11comp_targetILNS1_3genE8ELNS1_11target_archE1030ELNS1_3gpuE2ELNS1_3repE0EEENS1_30default_config_static_selectorELNS0_4arch9wavefront6targetE0EEEvT1_,comdat
.Lfunc_end1114:
	.size	_ZN7rocprim17ROCPRIM_400000_NS6detail17trampoline_kernelINS0_14default_configENS1_25partition_config_selectorILNS1_17partition_subalgoE9EllbEEZZNS1_14partition_implILS5_9ELb0ES3_jPlS8_PNS0_10empty_typeENS0_5tupleIJS8_S9_EEENSB_IJS8_SA_EEENS0_18inequality_wrapperIZN2at6native12_GLOBAL__N_124unique_dim_cuda_templateIbEESt5tupleIJNSF_6TensorESK_SK_EERKSK_lbbbEUlllE0_EEPmJS9_EEE10hipError_tPvRmT3_T4_T5_T6_T7_T9_mT8_P12ihipStream_tbDpT10_ENKUlT_T0_E_clISt17integral_constantIbLb0EES19_IbLb1EEEEDaS15_S16_EUlS15_E_NS1_11comp_targetILNS1_3genE8ELNS1_11target_archE1030ELNS1_3gpuE2ELNS1_3repE0EEENS1_30default_config_static_selectorELNS0_4arch9wavefront6targetE0EEEvT1_, .Lfunc_end1114-_ZN7rocprim17ROCPRIM_400000_NS6detail17trampoline_kernelINS0_14default_configENS1_25partition_config_selectorILNS1_17partition_subalgoE9EllbEEZZNS1_14partition_implILS5_9ELb0ES3_jPlS8_PNS0_10empty_typeENS0_5tupleIJS8_S9_EEENSB_IJS8_SA_EEENS0_18inequality_wrapperIZN2at6native12_GLOBAL__N_124unique_dim_cuda_templateIbEESt5tupleIJNSF_6TensorESK_SK_EERKSK_lbbbEUlllE0_EEPmJS9_EEE10hipError_tPvRmT3_T4_T5_T6_T7_T9_mT8_P12ihipStream_tbDpT10_ENKUlT_T0_E_clISt17integral_constantIbLb0EES19_IbLb1EEEEDaS15_S16_EUlS15_E_NS1_11comp_targetILNS1_3genE8ELNS1_11target_archE1030ELNS1_3gpuE2ELNS1_3repE0EEENS1_30default_config_static_selectorELNS0_4arch9wavefront6targetE0EEEvT1_
                                        ; -- End function
	.section	.AMDGPU.csdata,"",@progbits
; Kernel info:
; codeLenInByte = 0
; NumSgprs: 0
; NumVgprs: 0
; ScratchSize: 0
; MemoryBound: 0
; FloatMode: 240
; IeeeMode: 1
; LDSByteSize: 0 bytes/workgroup (compile time only)
; SGPRBlocks: 0
; VGPRBlocks: 0
; NumSGPRsForWavesPerEU: 1
; NumVGPRsForWavesPerEU: 1
; Occupancy: 16
; WaveLimiterHint : 0
; COMPUTE_PGM_RSRC2:SCRATCH_EN: 0
; COMPUTE_PGM_RSRC2:USER_SGPR: 15
; COMPUTE_PGM_RSRC2:TRAP_HANDLER: 0
; COMPUTE_PGM_RSRC2:TGID_X_EN: 1
; COMPUTE_PGM_RSRC2:TGID_Y_EN: 0
; COMPUTE_PGM_RSRC2:TGID_Z_EN: 0
; COMPUTE_PGM_RSRC2:TIDIG_COMP_CNT: 0
	.section	.text._ZN7rocprim17ROCPRIM_400000_NS6detail17trampoline_kernelINS0_14default_configENS1_37merge_sort_block_sort_config_selectorIlNS0_10empty_typeEEEZNS1_21merge_sort_block_sortIS3_PlS8_PS5_S9_ZN2at6native12_GLOBAL__N_124unique_dim_cuda_templateIN3c108BFloat16EEESt5tupleIJNSA_6TensorESH_SH_EERKSH_lbbbEUlllE_EE10hipError_tT0_T1_T2_T3_mRjT4_P12ihipStream_tbNS1_7vsmem_tEEUlT_E_NS1_11comp_targetILNS1_3genE0ELNS1_11target_archE4294967295ELNS1_3gpuE0ELNS1_3repE0EEENS1_30default_config_static_selectorELNS0_4arch9wavefront6targetE0EEEvSO_,"axG",@progbits,_ZN7rocprim17ROCPRIM_400000_NS6detail17trampoline_kernelINS0_14default_configENS1_37merge_sort_block_sort_config_selectorIlNS0_10empty_typeEEEZNS1_21merge_sort_block_sortIS3_PlS8_PS5_S9_ZN2at6native12_GLOBAL__N_124unique_dim_cuda_templateIN3c108BFloat16EEESt5tupleIJNSA_6TensorESH_SH_EERKSH_lbbbEUlllE_EE10hipError_tT0_T1_T2_T3_mRjT4_P12ihipStream_tbNS1_7vsmem_tEEUlT_E_NS1_11comp_targetILNS1_3genE0ELNS1_11target_archE4294967295ELNS1_3gpuE0ELNS1_3repE0EEENS1_30default_config_static_selectorELNS0_4arch9wavefront6targetE0EEEvSO_,comdat
	.globl	_ZN7rocprim17ROCPRIM_400000_NS6detail17trampoline_kernelINS0_14default_configENS1_37merge_sort_block_sort_config_selectorIlNS0_10empty_typeEEEZNS1_21merge_sort_block_sortIS3_PlS8_PS5_S9_ZN2at6native12_GLOBAL__N_124unique_dim_cuda_templateIN3c108BFloat16EEESt5tupleIJNSA_6TensorESH_SH_EERKSH_lbbbEUlllE_EE10hipError_tT0_T1_T2_T3_mRjT4_P12ihipStream_tbNS1_7vsmem_tEEUlT_E_NS1_11comp_targetILNS1_3genE0ELNS1_11target_archE4294967295ELNS1_3gpuE0ELNS1_3repE0EEENS1_30default_config_static_selectorELNS0_4arch9wavefront6targetE0EEEvSO_ ; -- Begin function _ZN7rocprim17ROCPRIM_400000_NS6detail17trampoline_kernelINS0_14default_configENS1_37merge_sort_block_sort_config_selectorIlNS0_10empty_typeEEEZNS1_21merge_sort_block_sortIS3_PlS8_PS5_S9_ZN2at6native12_GLOBAL__N_124unique_dim_cuda_templateIN3c108BFloat16EEESt5tupleIJNSA_6TensorESH_SH_EERKSH_lbbbEUlllE_EE10hipError_tT0_T1_T2_T3_mRjT4_P12ihipStream_tbNS1_7vsmem_tEEUlT_E_NS1_11comp_targetILNS1_3genE0ELNS1_11target_archE4294967295ELNS1_3gpuE0ELNS1_3repE0EEENS1_30default_config_static_selectorELNS0_4arch9wavefront6targetE0EEEvSO_
	.p2align	8
	.type	_ZN7rocprim17ROCPRIM_400000_NS6detail17trampoline_kernelINS0_14default_configENS1_37merge_sort_block_sort_config_selectorIlNS0_10empty_typeEEEZNS1_21merge_sort_block_sortIS3_PlS8_PS5_S9_ZN2at6native12_GLOBAL__N_124unique_dim_cuda_templateIN3c108BFloat16EEESt5tupleIJNSA_6TensorESH_SH_EERKSH_lbbbEUlllE_EE10hipError_tT0_T1_T2_T3_mRjT4_P12ihipStream_tbNS1_7vsmem_tEEUlT_E_NS1_11comp_targetILNS1_3genE0ELNS1_11target_archE4294967295ELNS1_3gpuE0ELNS1_3repE0EEENS1_30default_config_static_selectorELNS0_4arch9wavefront6targetE0EEEvSO_,@function
_ZN7rocprim17ROCPRIM_400000_NS6detail17trampoline_kernelINS0_14default_configENS1_37merge_sort_block_sort_config_selectorIlNS0_10empty_typeEEEZNS1_21merge_sort_block_sortIS3_PlS8_PS5_S9_ZN2at6native12_GLOBAL__N_124unique_dim_cuda_templateIN3c108BFloat16EEESt5tupleIJNSA_6TensorESH_SH_EERKSH_lbbbEUlllE_EE10hipError_tT0_T1_T2_T3_mRjT4_P12ihipStream_tbNS1_7vsmem_tEEUlT_E_NS1_11comp_targetILNS1_3genE0ELNS1_11target_archE4294967295ELNS1_3gpuE0ELNS1_3repE0EEENS1_30default_config_static_selectorELNS0_4arch9wavefront6targetE0EEEvSO_: ; @_ZN7rocprim17ROCPRIM_400000_NS6detail17trampoline_kernelINS0_14default_configENS1_37merge_sort_block_sort_config_selectorIlNS0_10empty_typeEEEZNS1_21merge_sort_block_sortIS3_PlS8_PS5_S9_ZN2at6native12_GLOBAL__N_124unique_dim_cuda_templateIN3c108BFloat16EEESt5tupleIJNSA_6TensorESH_SH_EERKSH_lbbbEUlllE_EE10hipError_tT0_T1_T2_T3_mRjT4_P12ihipStream_tbNS1_7vsmem_tEEUlT_E_NS1_11comp_targetILNS1_3genE0ELNS1_11target_archE4294967295ELNS1_3gpuE0ELNS1_3repE0EEENS1_30default_config_static_selectorELNS0_4arch9wavefront6targetE0EEEvSO_
; %bb.0:
	.section	.rodata,"a",@progbits
	.p2align	6, 0x0
	.amdhsa_kernel _ZN7rocprim17ROCPRIM_400000_NS6detail17trampoline_kernelINS0_14default_configENS1_37merge_sort_block_sort_config_selectorIlNS0_10empty_typeEEEZNS1_21merge_sort_block_sortIS3_PlS8_PS5_S9_ZN2at6native12_GLOBAL__N_124unique_dim_cuda_templateIN3c108BFloat16EEESt5tupleIJNSA_6TensorESH_SH_EERKSH_lbbbEUlllE_EE10hipError_tT0_T1_T2_T3_mRjT4_P12ihipStream_tbNS1_7vsmem_tEEUlT_E_NS1_11comp_targetILNS1_3genE0ELNS1_11target_archE4294967295ELNS1_3gpuE0ELNS1_3repE0EEENS1_30default_config_static_selectorELNS0_4arch9wavefront6targetE0EEEvSO_
		.amdhsa_group_segment_fixed_size 0
		.amdhsa_private_segment_fixed_size 0
		.amdhsa_kernarg_size 72
		.amdhsa_user_sgpr_count 15
		.amdhsa_user_sgpr_dispatch_ptr 0
		.amdhsa_user_sgpr_queue_ptr 0
		.amdhsa_user_sgpr_kernarg_segment_ptr 1
		.amdhsa_user_sgpr_dispatch_id 0
		.amdhsa_user_sgpr_private_segment_size 0
		.amdhsa_wavefront_size32 1
		.amdhsa_uses_dynamic_stack 0
		.amdhsa_enable_private_segment 0
		.amdhsa_system_sgpr_workgroup_id_x 1
		.amdhsa_system_sgpr_workgroup_id_y 0
		.amdhsa_system_sgpr_workgroup_id_z 0
		.amdhsa_system_sgpr_workgroup_info 0
		.amdhsa_system_vgpr_workitem_id 0
		.amdhsa_next_free_vgpr 1
		.amdhsa_next_free_sgpr 1
		.amdhsa_reserve_vcc 0
		.amdhsa_float_round_mode_32 0
		.amdhsa_float_round_mode_16_64 0
		.amdhsa_float_denorm_mode_32 3
		.amdhsa_float_denorm_mode_16_64 3
		.amdhsa_dx10_clamp 1
		.amdhsa_ieee_mode 1
		.amdhsa_fp16_overflow 0
		.amdhsa_workgroup_processor_mode 1
		.amdhsa_memory_ordered 1
		.amdhsa_forward_progress 0
		.amdhsa_shared_vgpr_count 0
		.amdhsa_exception_fp_ieee_invalid_op 0
		.amdhsa_exception_fp_denorm_src 0
		.amdhsa_exception_fp_ieee_div_zero 0
		.amdhsa_exception_fp_ieee_overflow 0
		.amdhsa_exception_fp_ieee_underflow 0
		.amdhsa_exception_fp_ieee_inexact 0
		.amdhsa_exception_int_div_zero 0
	.end_amdhsa_kernel
	.section	.text._ZN7rocprim17ROCPRIM_400000_NS6detail17trampoline_kernelINS0_14default_configENS1_37merge_sort_block_sort_config_selectorIlNS0_10empty_typeEEEZNS1_21merge_sort_block_sortIS3_PlS8_PS5_S9_ZN2at6native12_GLOBAL__N_124unique_dim_cuda_templateIN3c108BFloat16EEESt5tupleIJNSA_6TensorESH_SH_EERKSH_lbbbEUlllE_EE10hipError_tT0_T1_T2_T3_mRjT4_P12ihipStream_tbNS1_7vsmem_tEEUlT_E_NS1_11comp_targetILNS1_3genE0ELNS1_11target_archE4294967295ELNS1_3gpuE0ELNS1_3repE0EEENS1_30default_config_static_selectorELNS0_4arch9wavefront6targetE0EEEvSO_,"axG",@progbits,_ZN7rocprim17ROCPRIM_400000_NS6detail17trampoline_kernelINS0_14default_configENS1_37merge_sort_block_sort_config_selectorIlNS0_10empty_typeEEEZNS1_21merge_sort_block_sortIS3_PlS8_PS5_S9_ZN2at6native12_GLOBAL__N_124unique_dim_cuda_templateIN3c108BFloat16EEESt5tupleIJNSA_6TensorESH_SH_EERKSH_lbbbEUlllE_EE10hipError_tT0_T1_T2_T3_mRjT4_P12ihipStream_tbNS1_7vsmem_tEEUlT_E_NS1_11comp_targetILNS1_3genE0ELNS1_11target_archE4294967295ELNS1_3gpuE0ELNS1_3repE0EEENS1_30default_config_static_selectorELNS0_4arch9wavefront6targetE0EEEvSO_,comdat
.Lfunc_end1115:
	.size	_ZN7rocprim17ROCPRIM_400000_NS6detail17trampoline_kernelINS0_14default_configENS1_37merge_sort_block_sort_config_selectorIlNS0_10empty_typeEEEZNS1_21merge_sort_block_sortIS3_PlS8_PS5_S9_ZN2at6native12_GLOBAL__N_124unique_dim_cuda_templateIN3c108BFloat16EEESt5tupleIJNSA_6TensorESH_SH_EERKSH_lbbbEUlllE_EE10hipError_tT0_T1_T2_T3_mRjT4_P12ihipStream_tbNS1_7vsmem_tEEUlT_E_NS1_11comp_targetILNS1_3genE0ELNS1_11target_archE4294967295ELNS1_3gpuE0ELNS1_3repE0EEENS1_30default_config_static_selectorELNS0_4arch9wavefront6targetE0EEEvSO_, .Lfunc_end1115-_ZN7rocprim17ROCPRIM_400000_NS6detail17trampoline_kernelINS0_14default_configENS1_37merge_sort_block_sort_config_selectorIlNS0_10empty_typeEEEZNS1_21merge_sort_block_sortIS3_PlS8_PS5_S9_ZN2at6native12_GLOBAL__N_124unique_dim_cuda_templateIN3c108BFloat16EEESt5tupleIJNSA_6TensorESH_SH_EERKSH_lbbbEUlllE_EE10hipError_tT0_T1_T2_T3_mRjT4_P12ihipStream_tbNS1_7vsmem_tEEUlT_E_NS1_11comp_targetILNS1_3genE0ELNS1_11target_archE4294967295ELNS1_3gpuE0ELNS1_3repE0EEENS1_30default_config_static_selectorELNS0_4arch9wavefront6targetE0EEEvSO_
                                        ; -- End function
	.section	.AMDGPU.csdata,"",@progbits
; Kernel info:
; codeLenInByte = 0
; NumSgprs: 0
; NumVgprs: 0
; ScratchSize: 0
; MemoryBound: 0
; FloatMode: 240
; IeeeMode: 1
; LDSByteSize: 0 bytes/workgroup (compile time only)
; SGPRBlocks: 0
; VGPRBlocks: 0
; NumSGPRsForWavesPerEU: 1
; NumVGPRsForWavesPerEU: 1
; Occupancy: 16
; WaveLimiterHint : 0
; COMPUTE_PGM_RSRC2:SCRATCH_EN: 0
; COMPUTE_PGM_RSRC2:USER_SGPR: 15
; COMPUTE_PGM_RSRC2:TRAP_HANDLER: 0
; COMPUTE_PGM_RSRC2:TGID_X_EN: 1
; COMPUTE_PGM_RSRC2:TGID_Y_EN: 0
; COMPUTE_PGM_RSRC2:TGID_Z_EN: 0
; COMPUTE_PGM_RSRC2:TIDIG_COMP_CNT: 0
	.section	.text._ZN7rocprim17ROCPRIM_400000_NS6detail17trampoline_kernelINS0_14default_configENS1_37merge_sort_block_sort_config_selectorIlNS0_10empty_typeEEEZNS1_21merge_sort_block_sortIS3_PlS8_PS5_S9_ZN2at6native12_GLOBAL__N_124unique_dim_cuda_templateIN3c108BFloat16EEESt5tupleIJNSA_6TensorESH_SH_EERKSH_lbbbEUlllE_EE10hipError_tT0_T1_T2_T3_mRjT4_P12ihipStream_tbNS1_7vsmem_tEEUlT_E_NS1_11comp_targetILNS1_3genE5ELNS1_11target_archE942ELNS1_3gpuE9ELNS1_3repE0EEENS1_30default_config_static_selectorELNS0_4arch9wavefront6targetE0EEEvSO_,"axG",@progbits,_ZN7rocprim17ROCPRIM_400000_NS6detail17trampoline_kernelINS0_14default_configENS1_37merge_sort_block_sort_config_selectorIlNS0_10empty_typeEEEZNS1_21merge_sort_block_sortIS3_PlS8_PS5_S9_ZN2at6native12_GLOBAL__N_124unique_dim_cuda_templateIN3c108BFloat16EEESt5tupleIJNSA_6TensorESH_SH_EERKSH_lbbbEUlllE_EE10hipError_tT0_T1_T2_T3_mRjT4_P12ihipStream_tbNS1_7vsmem_tEEUlT_E_NS1_11comp_targetILNS1_3genE5ELNS1_11target_archE942ELNS1_3gpuE9ELNS1_3repE0EEENS1_30default_config_static_selectorELNS0_4arch9wavefront6targetE0EEEvSO_,comdat
	.globl	_ZN7rocprim17ROCPRIM_400000_NS6detail17trampoline_kernelINS0_14default_configENS1_37merge_sort_block_sort_config_selectorIlNS0_10empty_typeEEEZNS1_21merge_sort_block_sortIS3_PlS8_PS5_S9_ZN2at6native12_GLOBAL__N_124unique_dim_cuda_templateIN3c108BFloat16EEESt5tupleIJNSA_6TensorESH_SH_EERKSH_lbbbEUlllE_EE10hipError_tT0_T1_T2_T3_mRjT4_P12ihipStream_tbNS1_7vsmem_tEEUlT_E_NS1_11comp_targetILNS1_3genE5ELNS1_11target_archE942ELNS1_3gpuE9ELNS1_3repE0EEENS1_30default_config_static_selectorELNS0_4arch9wavefront6targetE0EEEvSO_ ; -- Begin function _ZN7rocprim17ROCPRIM_400000_NS6detail17trampoline_kernelINS0_14default_configENS1_37merge_sort_block_sort_config_selectorIlNS0_10empty_typeEEEZNS1_21merge_sort_block_sortIS3_PlS8_PS5_S9_ZN2at6native12_GLOBAL__N_124unique_dim_cuda_templateIN3c108BFloat16EEESt5tupleIJNSA_6TensorESH_SH_EERKSH_lbbbEUlllE_EE10hipError_tT0_T1_T2_T3_mRjT4_P12ihipStream_tbNS1_7vsmem_tEEUlT_E_NS1_11comp_targetILNS1_3genE5ELNS1_11target_archE942ELNS1_3gpuE9ELNS1_3repE0EEENS1_30default_config_static_selectorELNS0_4arch9wavefront6targetE0EEEvSO_
	.p2align	8
	.type	_ZN7rocprim17ROCPRIM_400000_NS6detail17trampoline_kernelINS0_14default_configENS1_37merge_sort_block_sort_config_selectorIlNS0_10empty_typeEEEZNS1_21merge_sort_block_sortIS3_PlS8_PS5_S9_ZN2at6native12_GLOBAL__N_124unique_dim_cuda_templateIN3c108BFloat16EEESt5tupleIJNSA_6TensorESH_SH_EERKSH_lbbbEUlllE_EE10hipError_tT0_T1_T2_T3_mRjT4_P12ihipStream_tbNS1_7vsmem_tEEUlT_E_NS1_11comp_targetILNS1_3genE5ELNS1_11target_archE942ELNS1_3gpuE9ELNS1_3repE0EEENS1_30default_config_static_selectorELNS0_4arch9wavefront6targetE0EEEvSO_,@function
_ZN7rocprim17ROCPRIM_400000_NS6detail17trampoline_kernelINS0_14default_configENS1_37merge_sort_block_sort_config_selectorIlNS0_10empty_typeEEEZNS1_21merge_sort_block_sortIS3_PlS8_PS5_S9_ZN2at6native12_GLOBAL__N_124unique_dim_cuda_templateIN3c108BFloat16EEESt5tupleIJNSA_6TensorESH_SH_EERKSH_lbbbEUlllE_EE10hipError_tT0_T1_T2_T3_mRjT4_P12ihipStream_tbNS1_7vsmem_tEEUlT_E_NS1_11comp_targetILNS1_3genE5ELNS1_11target_archE942ELNS1_3gpuE9ELNS1_3repE0EEENS1_30default_config_static_selectorELNS0_4arch9wavefront6targetE0EEEvSO_: ; @_ZN7rocprim17ROCPRIM_400000_NS6detail17trampoline_kernelINS0_14default_configENS1_37merge_sort_block_sort_config_selectorIlNS0_10empty_typeEEEZNS1_21merge_sort_block_sortIS3_PlS8_PS5_S9_ZN2at6native12_GLOBAL__N_124unique_dim_cuda_templateIN3c108BFloat16EEESt5tupleIJNSA_6TensorESH_SH_EERKSH_lbbbEUlllE_EE10hipError_tT0_T1_T2_T3_mRjT4_P12ihipStream_tbNS1_7vsmem_tEEUlT_E_NS1_11comp_targetILNS1_3genE5ELNS1_11target_archE942ELNS1_3gpuE9ELNS1_3repE0EEENS1_30default_config_static_selectorELNS0_4arch9wavefront6targetE0EEEvSO_
; %bb.0:
	.section	.rodata,"a",@progbits
	.p2align	6, 0x0
	.amdhsa_kernel _ZN7rocprim17ROCPRIM_400000_NS6detail17trampoline_kernelINS0_14default_configENS1_37merge_sort_block_sort_config_selectorIlNS0_10empty_typeEEEZNS1_21merge_sort_block_sortIS3_PlS8_PS5_S9_ZN2at6native12_GLOBAL__N_124unique_dim_cuda_templateIN3c108BFloat16EEESt5tupleIJNSA_6TensorESH_SH_EERKSH_lbbbEUlllE_EE10hipError_tT0_T1_T2_T3_mRjT4_P12ihipStream_tbNS1_7vsmem_tEEUlT_E_NS1_11comp_targetILNS1_3genE5ELNS1_11target_archE942ELNS1_3gpuE9ELNS1_3repE0EEENS1_30default_config_static_selectorELNS0_4arch9wavefront6targetE0EEEvSO_
		.amdhsa_group_segment_fixed_size 0
		.amdhsa_private_segment_fixed_size 0
		.amdhsa_kernarg_size 72
		.amdhsa_user_sgpr_count 15
		.amdhsa_user_sgpr_dispatch_ptr 0
		.amdhsa_user_sgpr_queue_ptr 0
		.amdhsa_user_sgpr_kernarg_segment_ptr 1
		.amdhsa_user_sgpr_dispatch_id 0
		.amdhsa_user_sgpr_private_segment_size 0
		.amdhsa_wavefront_size32 1
		.amdhsa_uses_dynamic_stack 0
		.amdhsa_enable_private_segment 0
		.amdhsa_system_sgpr_workgroup_id_x 1
		.amdhsa_system_sgpr_workgroup_id_y 0
		.amdhsa_system_sgpr_workgroup_id_z 0
		.amdhsa_system_sgpr_workgroup_info 0
		.amdhsa_system_vgpr_workitem_id 0
		.amdhsa_next_free_vgpr 1
		.amdhsa_next_free_sgpr 1
		.amdhsa_reserve_vcc 0
		.amdhsa_float_round_mode_32 0
		.amdhsa_float_round_mode_16_64 0
		.amdhsa_float_denorm_mode_32 3
		.amdhsa_float_denorm_mode_16_64 3
		.amdhsa_dx10_clamp 1
		.amdhsa_ieee_mode 1
		.amdhsa_fp16_overflow 0
		.amdhsa_workgroup_processor_mode 1
		.amdhsa_memory_ordered 1
		.amdhsa_forward_progress 0
		.amdhsa_shared_vgpr_count 0
		.amdhsa_exception_fp_ieee_invalid_op 0
		.amdhsa_exception_fp_denorm_src 0
		.amdhsa_exception_fp_ieee_div_zero 0
		.amdhsa_exception_fp_ieee_overflow 0
		.amdhsa_exception_fp_ieee_underflow 0
		.amdhsa_exception_fp_ieee_inexact 0
		.amdhsa_exception_int_div_zero 0
	.end_amdhsa_kernel
	.section	.text._ZN7rocprim17ROCPRIM_400000_NS6detail17trampoline_kernelINS0_14default_configENS1_37merge_sort_block_sort_config_selectorIlNS0_10empty_typeEEEZNS1_21merge_sort_block_sortIS3_PlS8_PS5_S9_ZN2at6native12_GLOBAL__N_124unique_dim_cuda_templateIN3c108BFloat16EEESt5tupleIJNSA_6TensorESH_SH_EERKSH_lbbbEUlllE_EE10hipError_tT0_T1_T2_T3_mRjT4_P12ihipStream_tbNS1_7vsmem_tEEUlT_E_NS1_11comp_targetILNS1_3genE5ELNS1_11target_archE942ELNS1_3gpuE9ELNS1_3repE0EEENS1_30default_config_static_selectorELNS0_4arch9wavefront6targetE0EEEvSO_,"axG",@progbits,_ZN7rocprim17ROCPRIM_400000_NS6detail17trampoline_kernelINS0_14default_configENS1_37merge_sort_block_sort_config_selectorIlNS0_10empty_typeEEEZNS1_21merge_sort_block_sortIS3_PlS8_PS5_S9_ZN2at6native12_GLOBAL__N_124unique_dim_cuda_templateIN3c108BFloat16EEESt5tupleIJNSA_6TensorESH_SH_EERKSH_lbbbEUlllE_EE10hipError_tT0_T1_T2_T3_mRjT4_P12ihipStream_tbNS1_7vsmem_tEEUlT_E_NS1_11comp_targetILNS1_3genE5ELNS1_11target_archE942ELNS1_3gpuE9ELNS1_3repE0EEENS1_30default_config_static_selectorELNS0_4arch9wavefront6targetE0EEEvSO_,comdat
.Lfunc_end1116:
	.size	_ZN7rocprim17ROCPRIM_400000_NS6detail17trampoline_kernelINS0_14default_configENS1_37merge_sort_block_sort_config_selectorIlNS0_10empty_typeEEEZNS1_21merge_sort_block_sortIS3_PlS8_PS5_S9_ZN2at6native12_GLOBAL__N_124unique_dim_cuda_templateIN3c108BFloat16EEESt5tupleIJNSA_6TensorESH_SH_EERKSH_lbbbEUlllE_EE10hipError_tT0_T1_T2_T3_mRjT4_P12ihipStream_tbNS1_7vsmem_tEEUlT_E_NS1_11comp_targetILNS1_3genE5ELNS1_11target_archE942ELNS1_3gpuE9ELNS1_3repE0EEENS1_30default_config_static_selectorELNS0_4arch9wavefront6targetE0EEEvSO_, .Lfunc_end1116-_ZN7rocprim17ROCPRIM_400000_NS6detail17trampoline_kernelINS0_14default_configENS1_37merge_sort_block_sort_config_selectorIlNS0_10empty_typeEEEZNS1_21merge_sort_block_sortIS3_PlS8_PS5_S9_ZN2at6native12_GLOBAL__N_124unique_dim_cuda_templateIN3c108BFloat16EEESt5tupleIJNSA_6TensorESH_SH_EERKSH_lbbbEUlllE_EE10hipError_tT0_T1_T2_T3_mRjT4_P12ihipStream_tbNS1_7vsmem_tEEUlT_E_NS1_11comp_targetILNS1_3genE5ELNS1_11target_archE942ELNS1_3gpuE9ELNS1_3repE0EEENS1_30default_config_static_selectorELNS0_4arch9wavefront6targetE0EEEvSO_
                                        ; -- End function
	.section	.AMDGPU.csdata,"",@progbits
; Kernel info:
; codeLenInByte = 0
; NumSgprs: 0
; NumVgprs: 0
; ScratchSize: 0
; MemoryBound: 0
; FloatMode: 240
; IeeeMode: 1
; LDSByteSize: 0 bytes/workgroup (compile time only)
; SGPRBlocks: 0
; VGPRBlocks: 0
; NumSGPRsForWavesPerEU: 1
; NumVGPRsForWavesPerEU: 1
; Occupancy: 16
; WaveLimiterHint : 0
; COMPUTE_PGM_RSRC2:SCRATCH_EN: 0
; COMPUTE_PGM_RSRC2:USER_SGPR: 15
; COMPUTE_PGM_RSRC2:TRAP_HANDLER: 0
; COMPUTE_PGM_RSRC2:TGID_X_EN: 1
; COMPUTE_PGM_RSRC2:TGID_Y_EN: 0
; COMPUTE_PGM_RSRC2:TGID_Z_EN: 0
; COMPUTE_PGM_RSRC2:TIDIG_COMP_CNT: 0
	.section	.text._ZN7rocprim17ROCPRIM_400000_NS6detail17trampoline_kernelINS0_14default_configENS1_37merge_sort_block_sort_config_selectorIlNS0_10empty_typeEEEZNS1_21merge_sort_block_sortIS3_PlS8_PS5_S9_ZN2at6native12_GLOBAL__N_124unique_dim_cuda_templateIN3c108BFloat16EEESt5tupleIJNSA_6TensorESH_SH_EERKSH_lbbbEUlllE_EE10hipError_tT0_T1_T2_T3_mRjT4_P12ihipStream_tbNS1_7vsmem_tEEUlT_E_NS1_11comp_targetILNS1_3genE4ELNS1_11target_archE910ELNS1_3gpuE8ELNS1_3repE0EEENS1_30default_config_static_selectorELNS0_4arch9wavefront6targetE0EEEvSO_,"axG",@progbits,_ZN7rocprim17ROCPRIM_400000_NS6detail17trampoline_kernelINS0_14default_configENS1_37merge_sort_block_sort_config_selectorIlNS0_10empty_typeEEEZNS1_21merge_sort_block_sortIS3_PlS8_PS5_S9_ZN2at6native12_GLOBAL__N_124unique_dim_cuda_templateIN3c108BFloat16EEESt5tupleIJNSA_6TensorESH_SH_EERKSH_lbbbEUlllE_EE10hipError_tT0_T1_T2_T3_mRjT4_P12ihipStream_tbNS1_7vsmem_tEEUlT_E_NS1_11comp_targetILNS1_3genE4ELNS1_11target_archE910ELNS1_3gpuE8ELNS1_3repE0EEENS1_30default_config_static_selectorELNS0_4arch9wavefront6targetE0EEEvSO_,comdat
	.globl	_ZN7rocprim17ROCPRIM_400000_NS6detail17trampoline_kernelINS0_14default_configENS1_37merge_sort_block_sort_config_selectorIlNS0_10empty_typeEEEZNS1_21merge_sort_block_sortIS3_PlS8_PS5_S9_ZN2at6native12_GLOBAL__N_124unique_dim_cuda_templateIN3c108BFloat16EEESt5tupleIJNSA_6TensorESH_SH_EERKSH_lbbbEUlllE_EE10hipError_tT0_T1_T2_T3_mRjT4_P12ihipStream_tbNS1_7vsmem_tEEUlT_E_NS1_11comp_targetILNS1_3genE4ELNS1_11target_archE910ELNS1_3gpuE8ELNS1_3repE0EEENS1_30default_config_static_selectorELNS0_4arch9wavefront6targetE0EEEvSO_ ; -- Begin function _ZN7rocprim17ROCPRIM_400000_NS6detail17trampoline_kernelINS0_14default_configENS1_37merge_sort_block_sort_config_selectorIlNS0_10empty_typeEEEZNS1_21merge_sort_block_sortIS3_PlS8_PS5_S9_ZN2at6native12_GLOBAL__N_124unique_dim_cuda_templateIN3c108BFloat16EEESt5tupleIJNSA_6TensorESH_SH_EERKSH_lbbbEUlllE_EE10hipError_tT0_T1_T2_T3_mRjT4_P12ihipStream_tbNS1_7vsmem_tEEUlT_E_NS1_11comp_targetILNS1_3genE4ELNS1_11target_archE910ELNS1_3gpuE8ELNS1_3repE0EEENS1_30default_config_static_selectorELNS0_4arch9wavefront6targetE0EEEvSO_
	.p2align	8
	.type	_ZN7rocprim17ROCPRIM_400000_NS6detail17trampoline_kernelINS0_14default_configENS1_37merge_sort_block_sort_config_selectorIlNS0_10empty_typeEEEZNS1_21merge_sort_block_sortIS3_PlS8_PS5_S9_ZN2at6native12_GLOBAL__N_124unique_dim_cuda_templateIN3c108BFloat16EEESt5tupleIJNSA_6TensorESH_SH_EERKSH_lbbbEUlllE_EE10hipError_tT0_T1_T2_T3_mRjT4_P12ihipStream_tbNS1_7vsmem_tEEUlT_E_NS1_11comp_targetILNS1_3genE4ELNS1_11target_archE910ELNS1_3gpuE8ELNS1_3repE0EEENS1_30default_config_static_selectorELNS0_4arch9wavefront6targetE0EEEvSO_,@function
_ZN7rocprim17ROCPRIM_400000_NS6detail17trampoline_kernelINS0_14default_configENS1_37merge_sort_block_sort_config_selectorIlNS0_10empty_typeEEEZNS1_21merge_sort_block_sortIS3_PlS8_PS5_S9_ZN2at6native12_GLOBAL__N_124unique_dim_cuda_templateIN3c108BFloat16EEESt5tupleIJNSA_6TensorESH_SH_EERKSH_lbbbEUlllE_EE10hipError_tT0_T1_T2_T3_mRjT4_P12ihipStream_tbNS1_7vsmem_tEEUlT_E_NS1_11comp_targetILNS1_3genE4ELNS1_11target_archE910ELNS1_3gpuE8ELNS1_3repE0EEENS1_30default_config_static_selectorELNS0_4arch9wavefront6targetE0EEEvSO_: ; @_ZN7rocprim17ROCPRIM_400000_NS6detail17trampoline_kernelINS0_14default_configENS1_37merge_sort_block_sort_config_selectorIlNS0_10empty_typeEEEZNS1_21merge_sort_block_sortIS3_PlS8_PS5_S9_ZN2at6native12_GLOBAL__N_124unique_dim_cuda_templateIN3c108BFloat16EEESt5tupleIJNSA_6TensorESH_SH_EERKSH_lbbbEUlllE_EE10hipError_tT0_T1_T2_T3_mRjT4_P12ihipStream_tbNS1_7vsmem_tEEUlT_E_NS1_11comp_targetILNS1_3genE4ELNS1_11target_archE910ELNS1_3gpuE8ELNS1_3repE0EEENS1_30default_config_static_selectorELNS0_4arch9wavefront6targetE0EEEvSO_
; %bb.0:
	.section	.rodata,"a",@progbits
	.p2align	6, 0x0
	.amdhsa_kernel _ZN7rocprim17ROCPRIM_400000_NS6detail17trampoline_kernelINS0_14default_configENS1_37merge_sort_block_sort_config_selectorIlNS0_10empty_typeEEEZNS1_21merge_sort_block_sortIS3_PlS8_PS5_S9_ZN2at6native12_GLOBAL__N_124unique_dim_cuda_templateIN3c108BFloat16EEESt5tupleIJNSA_6TensorESH_SH_EERKSH_lbbbEUlllE_EE10hipError_tT0_T1_T2_T3_mRjT4_P12ihipStream_tbNS1_7vsmem_tEEUlT_E_NS1_11comp_targetILNS1_3genE4ELNS1_11target_archE910ELNS1_3gpuE8ELNS1_3repE0EEENS1_30default_config_static_selectorELNS0_4arch9wavefront6targetE0EEEvSO_
		.amdhsa_group_segment_fixed_size 0
		.amdhsa_private_segment_fixed_size 0
		.amdhsa_kernarg_size 72
		.amdhsa_user_sgpr_count 15
		.amdhsa_user_sgpr_dispatch_ptr 0
		.amdhsa_user_sgpr_queue_ptr 0
		.amdhsa_user_sgpr_kernarg_segment_ptr 1
		.amdhsa_user_sgpr_dispatch_id 0
		.amdhsa_user_sgpr_private_segment_size 0
		.amdhsa_wavefront_size32 1
		.amdhsa_uses_dynamic_stack 0
		.amdhsa_enable_private_segment 0
		.amdhsa_system_sgpr_workgroup_id_x 1
		.amdhsa_system_sgpr_workgroup_id_y 0
		.amdhsa_system_sgpr_workgroup_id_z 0
		.amdhsa_system_sgpr_workgroup_info 0
		.amdhsa_system_vgpr_workitem_id 0
		.amdhsa_next_free_vgpr 1
		.amdhsa_next_free_sgpr 1
		.amdhsa_reserve_vcc 0
		.amdhsa_float_round_mode_32 0
		.amdhsa_float_round_mode_16_64 0
		.amdhsa_float_denorm_mode_32 3
		.amdhsa_float_denorm_mode_16_64 3
		.amdhsa_dx10_clamp 1
		.amdhsa_ieee_mode 1
		.amdhsa_fp16_overflow 0
		.amdhsa_workgroup_processor_mode 1
		.amdhsa_memory_ordered 1
		.amdhsa_forward_progress 0
		.amdhsa_shared_vgpr_count 0
		.amdhsa_exception_fp_ieee_invalid_op 0
		.amdhsa_exception_fp_denorm_src 0
		.amdhsa_exception_fp_ieee_div_zero 0
		.amdhsa_exception_fp_ieee_overflow 0
		.amdhsa_exception_fp_ieee_underflow 0
		.amdhsa_exception_fp_ieee_inexact 0
		.amdhsa_exception_int_div_zero 0
	.end_amdhsa_kernel
	.section	.text._ZN7rocprim17ROCPRIM_400000_NS6detail17trampoline_kernelINS0_14default_configENS1_37merge_sort_block_sort_config_selectorIlNS0_10empty_typeEEEZNS1_21merge_sort_block_sortIS3_PlS8_PS5_S9_ZN2at6native12_GLOBAL__N_124unique_dim_cuda_templateIN3c108BFloat16EEESt5tupleIJNSA_6TensorESH_SH_EERKSH_lbbbEUlllE_EE10hipError_tT0_T1_T2_T3_mRjT4_P12ihipStream_tbNS1_7vsmem_tEEUlT_E_NS1_11comp_targetILNS1_3genE4ELNS1_11target_archE910ELNS1_3gpuE8ELNS1_3repE0EEENS1_30default_config_static_selectorELNS0_4arch9wavefront6targetE0EEEvSO_,"axG",@progbits,_ZN7rocprim17ROCPRIM_400000_NS6detail17trampoline_kernelINS0_14default_configENS1_37merge_sort_block_sort_config_selectorIlNS0_10empty_typeEEEZNS1_21merge_sort_block_sortIS3_PlS8_PS5_S9_ZN2at6native12_GLOBAL__N_124unique_dim_cuda_templateIN3c108BFloat16EEESt5tupleIJNSA_6TensorESH_SH_EERKSH_lbbbEUlllE_EE10hipError_tT0_T1_T2_T3_mRjT4_P12ihipStream_tbNS1_7vsmem_tEEUlT_E_NS1_11comp_targetILNS1_3genE4ELNS1_11target_archE910ELNS1_3gpuE8ELNS1_3repE0EEENS1_30default_config_static_selectorELNS0_4arch9wavefront6targetE0EEEvSO_,comdat
.Lfunc_end1117:
	.size	_ZN7rocprim17ROCPRIM_400000_NS6detail17trampoline_kernelINS0_14default_configENS1_37merge_sort_block_sort_config_selectorIlNS0_10empty_typeEEEZNS1_21merge_sort_block_sortIS3_PlS8_PS5_S9_ZN2at6native12_GLOBAL__N_124unique_dim_cuda_templateIN3c108BFloat16EEESt5tupleIJNSA_6TensorESH_SH_EERKSH_lbbbEUlllE_EE10hipError_tT0_T1_T2_T3_mRjT4_P12ihipStream_tbNS1_7vsmem_tEEUlT_E_NS1_11comp_targetILNS1_3genE4ELNS1_11target_archE910ELNS1_3gpuE8ELNS1_3repE0EEENS1_30default_config_static_selectorELNS0_4arch9wavefront6targetE0EEEvSO_, .Lfunc_end1117-_ZN7rocprim17ROCPRIM_400000_NS6detail17trampoline_kernelINS0_14default_configENS1_37merge_sort_block_sort_config_selectorIlNS0_10empty_typeEEEZNS1_21merge_sort_block_sortIS3_PlS8_PS5_S9_ZN2at6native12_GLOBAL__N_124unique_dim_cuda_templateIN3c108BFloat16EEESt5tupleIJNSA_6TensorESH_SH_EERKSH_lbbbEUlllE_EE10hipError_tT0_T1_T2_T3_mRjT4_P12ihipStream_tbNS1_7vsmem_tEEUlT_E_NS1_11comp_targetILNS1_3genE4ELNS1_11target_archE910ELNS1_3gpuE8ELNS1_3repE0EEENS1_30default_config_static_selectorELNS0_4arch9wavefront6targetE0EEEvSO_
                                        ; -- End function
	.section	.AMDGPU.csdata,"",@progbits
; Kernel info:
; codeLenInByte = 0
; NumSgprs: 0
; NumVgprs: 0
; ScratchSize: 0
; MemoryBound: 0
; FloatMode: 240
; IeeeMode: 1
; LDSByteSize: 0 bytes/workgroup (compile time only)
; SGPRBlocks: 0
; VGPRBlocks: 0
; NumSGPRsForWavesPerEU: 1
; NumVGPRsForWavesPerEU: 1
; Occupancy: 16
; WaveLimiterHint : 0
; COMPUTE_PGM_RSRC2:SCRATCH_EN: 0
; COMPUTE_PGM_RSRC2:USER_SGPR: 15
; COMPUTE_PGM_RSRC2:TRAP_HANDLER: 0
; COMPUTE_PGM_RSRC2:TGID_X_EN: 1
; COMPUTE_PGM_RSRC2:TGID_Y_EN: 0
; COMPUTE_PGM_RSRC2:TGID_Z_EN: 0
; COMPUTE_PGM_RSRC2:TIDIG_COMP_CNT: 0
	.section	.text._ZN7rocprim17ROCPRIM_400000_NS6detail17trampoline_kernelINS0_14default_configENS1_37merge_sort_block_sort_config_selectorIlNS0_10empty_typeEEEZNS1_21merge_sort_block_sortIS3_PlS8_PS5_S9_ZN2at6native12_GLOBAL__N_124unique_dim_cuda_templateIN3c108BFloat16EEESt5tupleIJNSA_6TensorESH_SH_EERKSH_lbbbEUlllE_EE10hipError_tT0_T1_T2_T3_mRjT4_P12ihipStream_tbNS1_7vsmem_tEEUlT_E_NS1_11comp_targetILNS1_3genE3ELNS1_11target_archE908ELNS1_3gpuE7ELNS1_3repE0EEENS1_30default_config_static_selectorELNS0_4arch9wavefront6targetE0EEEvSO_,"axG",@progbits,_ZN7rocprim17ROCPRIM_400000_NS6detail17trampoline_kernelINS0_14default_configENS1_37merge_sort_block_sort_config_selectorIlNS0_10empty_typeEEEZNS1_21merge_sort_block_sortIS3_PlS8_PS5_S9_ZN2at6native12_GLOBAL__N_124unique_dim_cuda_templateIN3c108BFloat16EEESt5tupleIJNSA_6TensorESH_SH_EERKSH_lbbbEUlllE_EE10hipError_tT0_T1_T2_T3_mRjT4_P12ihipStream_tbNS1_7vsmem_tEEUlT_E_NS1_11comp_targetILNS1_3genE3ELNS1_11target_archE908ELNS1_3gpuE7ELNS1_3repE0EEENS1_30default_config_static_selectorELNS0_4arch9wavefront6targetE0EEEvSO_,comdat
	.globl	_ZN7rocprim17ROCPRIM_400000_NS6detail17trampoline_kernelINS0_14default_configENS1_37merge_sort_block_sort_config_selectorIlNS0_10empty_typeEEEZNS1_21merge_sort_block_sortIS3_PlS8_PS5_S9_ZN2at6native12_GLOBAL__N_124unique_dim_cuda_templateIN3c108BFloat16EEESt5tupleIJNSA_6TensorESH_SH_EERKSH_lbbbEUlllE_EE10hipError_tT0_T1_T2_T3_mRjT4_P12ihipStream_tbNS1_7vsmem_tEEUlT_E_NS1_11comp_targetILNS1_3genE3ELNS1_11target_archE908ELNS1_3gpuE7ELNS1_3repE0EEENS1_30default_config_static_selectorELNS0_4arch9wavefront6targetE0EEEvSO_ ; -- Begin function _ZN7rocprim17ROCPRIM_400000_NS6detail17trampoline_kernelINS0_14default_configENS1_37merge_sort_block_sort_config_selectorIlNS0_10empty_typeEEEZNS1_21merge_sort_block_sortIS3_PlS8_PS5_S9_ZN2at6native12_GLOBAL__N_124unique_dim_cuda_templateIN3c108BFloat16EEESt5tupleIJNSA_6TensorESH_SH_EERKSH_lbbbEUlllE_EE10hipError_tT0_T1_T2_T3_mRjT4_P12ihipStream_tbNS1_7vsmem_tEEUlT_E_NS1_11comp_targetILNS1_3genE3ELNS1_11target_archE908ELNS1_3gpuE7ELNS1_3repE0EEENS1_30default_config_static_selectorELNS0_4arch9wavefront6targetE0EEEvSO_
	.p2align	8
	.type	_ZN7rocprim17ROCPRIM_400000_NS6detail17trampoline_kernelINS0_14default_configENS1_37merge_sort_block_sort_config_selectorIlNS0_10empty_typeEEEZNS1_21merge_sort_block_sortIS3_PlS8_PS5_S9_ZN2at6native12_GLOBAL__N_124unique_dim_cuda_templateIN3c108BFloat16EEESt5tupleIJNSA_6TensorESH_SH_EERKSH_lbbbEUlllE_EE10hipError_tT0_T1_T2_T3_mRjT4_P12ihipStream_tbNS1_7vsmem_tEEUlT_E_NS1_11comp_targetILNS1_3genE3ELNS1_11target_archE908ELNS1_3gpuE7ELNS1_3repE0EEENS1_30default_config_static_selectorELNS0_4arch9wavefront6targetE0EEEvSO_,@function
_ZN7rocprim17ROCPRIM_400000_NS6detail17trampoline_kernelINS0_14default_configENS1_37merge_sort_block_sort_config_selectorIlNS0_10empty_typeEEEZNS1_21merge_sort_block_sortIS3_PlS8_PS5_S9_ZN2at6native12_GLOBAL__N_124unique_dim_cuda_templateIN3c108BFloat16EEESt5tupleIJNSA_6TensorESH_SH_EERKSH_lbbbEUlllE_EE10hipError_tT0_T1_T2_T3_mRjT4_P12ihipStream_tbNS1_7vsmem_tEEUlT_E_NS1_11comp_targetILNS1_3genE3ELNS1_11target_archE908ELNS1_3gpuE7ELNS1_3repE0EEENS1_30default_config_static_selectorELNS0_4arch9wavefront6targetE0EEEvSO_: ; @_ZN7rocprim17ROCPRIM_400000_NS6detail17trampoline_kernelINS0_14default_configENS1_37merge_sort_block_sort_config_selectorIlNS0_10empty_typeEEEZNS1_21merge_sort_block_sortIS3_PlS8_PS5_S9_ZN2at6native12_GLOBAL__N_124unique_dim_cuda_templateIN3c108BFloat16EEESt5tupleIJNSA_6TensorESH_SH_EERKSH_lbbbEUlllE_EE10hipError_tT0_T1_T2_T3_mRjT4_P12ihipStream_tbNS1_7vsmem_tEEUlT_E_NS1_11comp_targetILNS1_3genE3ELNS1_11target_archE908ELNS1_3gpuE7ELNS1_3repE0EEENS1_30default_config_static_selectorELNS0_4arch9wavefront6targetE0EEEvSO_
; %bb.0:
	.section	.rodata,"a",@progbits
	.p2align	6, 0x0
	.amdhsa_kernel _ZN7rocprim17ROCPRIM_400000_NS6detail17trampoline_kernelINS0_14default_configENS1_37merge_sort_block_sort_config_selectorIlNS0_10empty_typeEEEZNS1_21merge_sort_block_sortIS3_PlS8_PS5_S9_ZN2at6native12_GLOBAL__N_124unique_dim_cuda_templateIN3c108BFloat16EEESt5tupleIJNSA_6TensorESH_SH_EERKSH_lbbbEUlllE_EE10hipError_tT0_T1_T2_T3_mRjT4_P12ihipStream_tbNS1_7vsmem_tEEUlT_E_NS1_11comp_targetILNS1_3genE3ELNS1_11target_archE908ELNS1_3gpuE7ELNS1_3repE0EEENS1_30default_config_static_selectorELNS0_4arch9wavefront6targetE0EEEvSO_
		.amdhsa_group_segment_fixed_size 0
		.amdhsa_private_segment_fixed_size 0
		.amdhsa_kernarg_size 72
		.amdhsa_user_sgpr_count 15
		.amdhsa_user_sgpr_dispatch_ptr 0
		.amdhsa_user_sgpr_queue_ptr 0
		.amdhsa_user_sgpr_kernarg_segment_ptr 1
		.amdhsa_user_sgpr_dispatch_id 0
		.amdhsa_user_sgpr_private_segment_size 0
		.amdhsa_wavefront_size32 1
		.amdhsa_uses_dynamic_stack 0
		.amdhsa_enable_private_segment 0
		.amdhsa_system_sgpr_workgroup_id_x 1
		.amdhsa_system_sgpr_workgroup_id_y 0
		.amdhsa_system_sgpr_workgroup_id_z 0
		.amdhsa_system_sgpr_workgroup_info 0
		.amdhsa_system_vgpr_workitem_id 0
		.amdhsa_next_free_vgpr 1
		.amdhsa_next_free_sgpr 1
		.amdhsa_reserve_vcc 0
		.amdhsa_float_round_mode_32 0
		.amdhsa_float_round_mode_16_64 0
		.amdhsa_float_denorm_mode_32 3
		.amdhsa_float_denorm_mode_16_64 3
		.amdhsa_dx10_clamp 1
		.amdhsa_ieee_mode 1
		.amdhsa_fp16_overflow 0
		.amdhsa_workgroup_processor_mode 1
		.amdhsa_memory_ordered 1
		.amdhsa_forward_progress 0
		.amdhsa_shared_vgpr_count 0
		.amdhsa_exception_fp_ieee_invalid_op 0
		.amdhsa_exception_fp_denorm_src 0
		.amdhsa_exception_fp_ieee_div_zero 0
		.amdhsa_exception_fp_ieee_overflow 0
		.amdhsa_exception_fp_ieee_underflow 0
		.amdhsa_exception_fp_ieee_inexact 0
		.amdhsa_exception_int_div_zero 0
	.end_amdhsa_kernel
	.section	.text._ZN7rocprim17ROCPRIM_400000_NS6detail17trampoline_kernelINS0_14default_configENS1_37merge_sort_block_sort_config_selectorIlNS0_10empty_typeEEEZNS1_21merge_sort_block_sortIS3_PlS8_PS5_S9_ZN2at6native12_GLOBAL__N_124unique_dim_cuda_templateIN3c108BFloat16EEESt5tupleIJNSA_6TensorESH_SH_EERKSH_lbbbEUlllE_EE10hipError_tT0_T1_T2_T3_mRjT4_P12ihipStream_tbNS1_7vsmem_tEEUlT_E_NS1_11comp_targetILNS1_3genE3ELNS1_11target_archE908ELNS1_3gpuE7ELNS1_3repE0EEENS1_30default_config_static_selectorELNS0_4arch9wavefront6targetE0EEEvSO_,"axG",@progbits,_ZN7rocprim17ROCPRIM_400000_NS6detail17trampoline_kernelINS0_14default_configENS1_37merge_sort_block_sort_config_selectorIlNS0_10empty_typeEEEZNS1_21merge_sort_block_sortIS3_PlS8_PS5_S9_ZN2at6native12_GLOBAL__N_124unique_dim_cuda_templateIN3c108BFloat16EEESt5tupleIJNSA_6TensorESH_SH_EERKSH_lbbbEUlllE_EE10hipError_tT0_T1_T2_T3_mRjT4_P12ihipStream_tbNS1_7vsmem_tEEUlT_E_NS1_11comp_targetILNS1_3genE3ELNS1_11target_archE908ELNS1_3gpuE7ELNS1_3repE0EEENS1_30default_config_static_selectorELNS0_4arch9wavefront6targetE0EEEvSO_,comdat
.Lfunc_end1118:
	.size	_ZN7rocprim17ROCPRIM_400000_NS6detail17trampoline_kernelINS0_14default_configENS1_37merge_sort_block_sort_config_selectorIlNS0_10empty_typeEEEZNS1_21merge_sort_block_sortIS3_PlS8_PS5_S9_ZN2at6native12_GLOBAL__N_124unique_dim_cuda_templateIN3c108BFloat16EEESt5tupleIJNSA_6TensorESH_SH_EERKSH_lbbbEUlllE_EE10hipError_tT0_T1_T2_T3_mRjT4_P12ihipStream_tbNS1_7vsmem_tEEUlT_E_NS1_11comp_targetILNS1_3genE3ELNS1_11target_archE908ELNS1_3gpuE7ELNS1_3repE0EEENS1_30default_config_static_selectorELNS0_4arch9wavefront6targetE0EEEvSO_, .Lfunc_end1118-_ZN7rocprim17ROCPRIM_400000_NS6detail17trampoline_kernelINS0_14default_configENS1_37merge_sort_block_sort_config_selectorIlNS0_10empty_typeEEEZNS1_21merge_sort_block_sortIS3_PlS8_PS5_S9_ZN2at6native12_GLOBAL__N_124unique_dim_cuda_templateIN3c108BFloat16EEESt5tupleIJNSA_6TensorESH_SH_EERKSH_lbbbEUlllE_EE10hipError_tT0_T1_T2_T3_mRjT4_P12ihipStream_tbNS1_7vsmem_tEEUlT_E_NS1_11comp_targetILNS1_3genE3ELNS1_11target_archE908ELNS1_3gpuE7ELNS1_3repE0EEENS1_30default_config_static_selectorELNS0_4arch9wavefront6targetE0EEEvSO_
                                        ; -- End function
	.section	.AMDGPU.csdata,"",@progbits
; Kernel info:
; codeLenInByte = 0
; NumSgprs: 0
; NumVgprs: 0
; ScratchSize: 0
; MemoryBound: 0
; FloatMode: 240
; IeeeMode: 1
; LDSByteSize: 0 bytes/workgroup (compile time only)
; SGPRBlocks: 0
; VGPRBlocks: 0
; NumSGPRsForWavesPerEU: 1
; NumVGPRsForWavesPerEU: 1
; Occupancy: 16
; WaveLimiterHint : 0
; COMPUTE_PGM_RSRC2:SCRATCH_EN: 0
; COMPUTE_PGM_RSRC2:USER_SGPR: 15
; COMPUTE_PGM_RSRC2:TRAP_HANDLER: 0
; COMPUTE_PGM_RSRC2:TGID_X_EN: 1
; COMPUTE_PGM_RSRC2:TGID_Y_EN: 0
; COMPUTE_PGM_RSRC2:TGID_Z_EN: 0
; COMPUTE_PGM_RSRC2:TIDIG_COMP_CNT: 0
	.section	.text._ZN7rocprim17ROCPRIM_400000_NS6detail17trampoline_kernelINS0_14default_configENS1_37merge_sort_block_sort_config_selectorIlNS0_10empty_typeEEEZNS1_21merge_sort_block_sortIS3_PlS8_PS5_S9_ZN2at6native12_GLOBAL__N_124unique_dim_cuda_templateIN3c108BFloat16EEESt5tupleIJNSA_6TensorESH_SH_EERKSH_lbbbEUlllE_EE10hipError_tT0_T1_T2_T3_mRjT4_P12ihipStream_tbNS1_7vsmem_tEEUlT_E_NS1_11comp_targetILNS1_3genE2ELNS1_11target_archE906ELNS1_3gpuE6ELNS1_3repE0EEENS1_30default_config_static_selectorELNS0_4arch9wavefront6targetE0EEEvSO_,"axG",@progbits,_ZN7rocprim17ROCPRIM_400000_NS6detail17trampoline_kernelINS0_14default_configENS1_37merge_sort_block_sort_config_selectorIlNS0_10empty_typeEEEZNS1_21merge_sort_block_sortIS3_PlS8_PS5_S9_ZN2at6native12_GLOBAL__N_124unique_dim_cuda_templateIN3c108BFloat16EEESt5tupleIJNSA_6TensorESH_SH_EERKSH_lbbbEUlllE_EE10hipError_tT0_T1_T2_T3_mRjT4_P12ihipStream_tbNS1_7vsmem_tEEUlT_E_NS1_11comp_targetILNS1_3genE2ELNS1_11target_archE906ELNS1_3gpuE6ELNS1_3repE0EEENS1_30default_config_static_selectorELNS0_4arch9wavefront6targetE0EEEvSO_,comdat
	.globl	_ZN7rocprim17ROCPRIM_400000_NS6detail17trampoline_kernelINS0_14default_configENS1_37merge_sort_block_sort_config_selectorIlNS0_10empty_typeEEEZNS1_21merge_sort_block_sortIS3_PlS8_PS5_S9_ZN2at6native12_GLOBAL__N_124unique_dim_cuda_templateIN3c108BFloat16EEESt5tupleIJNSA_6TensorESH_SH_EERKSH_lbbbEUlllE_EE10hipError_tT0_T1_T2_T3_mRjT4_P12ihipStream_tbNS1_7vsmem_tEEUlT_E_NS1_11comp_targetILNS1_3genE2ELNS1_11target_archE906ELNS1_3gpuE6ELNS1_3repE0EEENS1_30default_config_static_selectorELNS0_4arch9wavefront6targetE0EEEvSO_ ; -- Begin function _ZN7rocprim17ROCPRIM_400000_NS6detail17trampoline_kernelINS0_14default_configENS1_37merge_sort_block_sort_config_selectorIlNS0_10empty_typeEEEZNS1_21merge_sort_block_sortIS3_PlS8_PS5_S9_ZN2at6native12_GLOBAL__N_124unique_dim_cuda_templateIN3c108BFloat16EEESt5tupleIJNSA_6TensorESH_SH_EERKSH_lbbbEUlllE_EE10hipError_tT0_T1_T2_T3_mRjT4_P12ihipStream_tbNS1_7vsmem_tEEUlT_E_NS1_11comp_targetILNS1_3genE2ELNS1_11target_archE906ELNS1_3gpuE6ELNS1_3repE0EEENS1_30default_config_static_selectorELNS0_4arch9wavefront6targetE0EEEvSO_
	.p2align	8
	.type	_ZN7rocprim17ROCPRIM_400000_NS6detail17trampoline_kernelINS0_14default_configENS1_37merge_sort_block_sort_config_selectorIlNS0_10empty_typeEEEZNS1_21merge_sort_block_sortIS3_PlS8_PS5_S9_ZN2at6native12_GLOBAL__N_124unique_dim_cuda_templateIN3c108BFloat16EEESt5tupleIJNSA_6TensorESH_SH_EERKSH_lbbbEUlllE_EE10hipError_tT0_T1_T2_T3_mRjT4_P12ihipStream_tbNS1_7vsmem_tEEUlT_E_NS1_11comp_targetILNS1_3genE2ELNS1_11target_archE906ELNS1_3gpuE6ELNS1_3repE0EEENS1_30default_config_static_selectorELNS0_4arch9wavefront6targetE0EEEvSO_,@function
_ZN7rocprim17ROCPRIM_400000_NS6detail17trampoline_kernelINS0_14default_configENS1_37merge_sort_block_sort_config_selectorIlNS0_10empty_typeEEEZNS1_21merge_sort_block_sortIS3_PlS8_PS5_S9_ZN2at6native12_GLOBAL__N_124unique_dim_cuda_templateIN3c108BFloat16EEESt5tupleIJNSA_6TensorESH_SH_EERKSH_lbbbEUlllE_EE10hipError_tT0_T1_T2_T3_mRjT4_P12ihipStream_tbNS1_7vsmem_tEEUlT_E_NS1_11comp_targetILNS1_3genE2ELNS1_11target_archE906ELNS1_3gpuE6ELNS1_3repE0EEENS1_30default_config_static_selectorELNS0_4arch9wavefront6targetE0EEEvSO_: ; @_ZN7rocprim17ROCPRIM_400000_NS6detail17trampoline_kernelINS0_14default_configENS1_37merge_sort_block_sort_config_selectorIlNS0_10empty_typeEEEZNS1_21merge_sort_block_sortIS3_PlS8_PS5_S9_ZN2at6native12_GLOBAL__N_124unique_dim_cuda_templateIN3c108BFloat16EEESt5tupleIJNSA_6TensorESH_SH_EERKSH_lbbbEUlllE_EE10hipError_tT0_T1_T2_T3_mRjT4_P12ihipStream_tbNS1_7vsmem_tEEUlT_E_NS1_11comp_targetILNS1_3genE2ELNS1_11target_archE906ELNS1_3gpuE6ELNS1_3repE0EEENS1_30default_config_static_selectorELNS0_4arch9wavefront6targetE0EEEvSO_
; %bb.0:
	.section	.rodata,"a",@progbits
	.p2align	6, 0x0
	.amdhsa_kernel _ZN7rocprim17ROCPRIM_400000_NS6detail17trampoline_kernelINS0_14default_configENS1_37merge_sort_block_sort_config_selectorIlNS0_10empty_typeEEEZNS1_21merge_sort_block_sortIS3_PlS8_PS5_S9_ZN2at6native12_GLOBAL__N_124unique_dim_cuda_templateIN3c108BFloat16EEESt5tupleIJNSA_6TensorESH_SH_EERKSH_lbbbEUlllE_EE10hipError_tT0_T1_T2_T3_mRjT4_P12ihipStream_tbNS1_7vsmem_tEEUlT_E_NS1_11comp_targetILNS1_3genE2ELNS1_11target_archE906ELNS1_3gpuE6ELNS1_3repE0EEENS1_30default_config_static_selectorELNS0_4arch9wavefront6targetE0EEEvSO_
		.amdhsa_group_segment_fixed_size 0
		.amdhsa_private_segment_fixed_size 0
		.amdhsa_kernarg_size 72
		.amdhsa_user_sgpr_count 15
		.amdhsa_user_sgpr_dispatch_ptr 0
		.amdhsa_user_sgpr_queue_ptr 0
		.amdhsa_user_sgpr_kernarg_segment_ptr 1
		.amdhsa_user_sgpr_dispatch_id 0
		.amdhsa_user_sgpr_private_segment_size 0
		.amdhsa_wavefront_size32 1
		.amdhsa_uses_dynamic_stack 0
		.amdhsa_enable_private_segment 0
		.amdhsa_system_sgpr_workgroup_id_x 1
		.amdhsa_system_sgpr_workgroup_id_y 0
		.amdhsa_system_sgpr_workgroup_id_z 0
		.amdhsa_system_sgpr_workgroup_info 0
		.amdhsa_system_vgpr_workitem_id 0
		.amdhsa_next_free_vgpr 1
		.amdhsa_next_free_sgpr 1
		.amdhsa_reserve_vcc 0
		.amdhsa_float_round_mode_32 0
		.amdhsa_float_round_mode_16_64 0
		.amdhsa_float_denorm_mode_32 3
		.amdhsa_float_denorm_mode_16_64 3
		.amdhsa_dx10_clamp 1
		.amdhsa_ieee_mode 1
		.amdhsa_fp16_overflow 0
		.amdhsa_workgroup_processor_mode 1
		.amdhsa_memory_ordered 1
		.amdhsa_forward_progress 0
		.amdhsa_shared_vgpr_count 0
		.amdhsa_exception_fp_ieee_invalid_op 0
		.amdhsa_exception_fp_denorm_src 0
		.amdhsa_exception_fp_ieee_div_zero 0
		.amdhsa_exception_fp_ieee_overflow 0
		.amdhsa_exception_fp_ieee_underflow 0
		.amdhsa_exception_fp_ieee_inexact 0
		.amdhsa_exception_int_div_zero 0
	.end_amdhsa_kernel
	.section	.text._ZN7rocprim17ROCPRIM_400000_NS6detail17trampoline_kernelINS0_14default_configENS1_37merge_sort_block_sort_config_selectorIlNS0_10empty_typeEEEZNS1_21merge_sort_block_sortIS3_PlS8_PS5_S9_ZN2at6native12_GLOBAL__N_124unique_dim_cuda_templateIN3c108BFloat16EEESt5tupleIJNSA_6TensorESH_SH_EERKSH_lbbbEUlllE_EE10hipError_tT0_T1_T2_T3_mRjT4_P12ihipStream_tbNS1_7vsmem_tEEUlT_E_NS1_11comp_targetILNS1_3genE2ELNS1_11target_archE906ELNS1_3gpuE6ELNS1_3repE0EEENS1_30default_config_static_selectorELNS0_4arch9wavefront6targetE0EEEvSO_,"axG",@progbits,_ZN7rocprim17ROCPRIM_400000_NS6detail17trampoline_kernelINS0_14default_configENS1_37merge_sort_block_sort_config_selectorIlNS0_10empty_typeEEEZNS1_21merge_sort_block_sortIS3_PlS8_PS5_S9_ZN2at6native12_GLOBAL__N_124unique_dim_cuda_templateIN3c108BFloat16EEESt5tupleIJNSA_6TensorESH_SH_EERKSH_lbbbEUlllE_EE10hipError_tT0_T1_T2_T3_mRjT4_P12ihipStream_tbNS1_7vsmem_tEEUlT_E_NS1_11comp_targetILNS1_3genE2ELNS1_11target_archE906ELNS1_3gpuE6ELNS1_3repE0EEENS1_30default_config_static_selectorELNS0_4arch9wavefront6targetE0EEEvSO_,comdat
.Lfunc_end1119:
	.size	_ZN7rocprim17ROCPRIM_400000_NS6detail17trampoline_kernelINS0_14default_configENS1_37merge_sort_block_sort_config_selectorIlNS0_10empty_typeEEEZNS1_21merge_sort_block_sortIS3_PlS8_PS5_S9_ZN2at6native12_GLOBAL__N_124unique_dim_cuda_templateIN3c108BFloat16EEESt5tupleIJNSA_6TensorESH_SH_EERKSH_lbbbEUlllE_EE10hipError_tT0_T1_T2_T3_mRjT4_P12ihipStream_tbNS1_7vsmem_tEEUlT_E_NS1_11comp_targetILNS1_3genE2ELNS1_11target_archE906ELNS1_3gpuE6ELNS1_3repE0EEENS1_30default_config_static_selectorELNS0_4arch9wavefront6targetE0EEEvSO_, .Lfunc_end1119-_ZN7rocprim17ROCPRIM_400000_NS6detail17trampoline_kernelINS0_14default_configENS1_37merge_sort_block_sort_config_selectorIlNS0_10empty_typeEEEZNS1_21merge_sort_block_sortIS3_PlS8_PS5_S9_ZN2at6native12_GLOBAL__N_124unique_dim_cuda_templateIN3c108BFloat16EEESt5tupleIJNSA_6TensorESH_SH_EERKSH_lbbbEUlllE_EE10hipError_tT0_T1_T2_T3_mRjT4_P12ihipStream_tbNS1_7vsmem_tEEUlT_E_NS1_11comp_targetILNS1_3genE2ELNS1_11target_archE906ELNS1_3gpuE6ELNS1_3repE0EEENS1_30default_config_static_selectorELNS0_4arch9wavefront6targetE0EEEvSO_
                                        ; -- End function
	.section	.AMDGPU.csdata,"",@progbits
; Kernel info:
; codeLenInByte = 0
; NumSgprs: 0
; NumVgprs: 0
; ScratchSize: 0
; MemoryBound: 0
; FloatMode: 240
; IeeeMode: 1
; LDSByteSize: 0 bytes/workgroup (compile time only)
; SGPRBlocks: 0
; VGPRBlocks: 0
; NumSGPRsForWavesPerEU: 1
; NumVGPRsForWavesPerEU: 1
; Occupancy: 16
; WaveLimiterHint : 0
; COMPUTE_PGM_RSRC2:SCRATCH_EN: 0
; COMPUTE_PGM_RSRC2:USER_SGPR: 15
; COMPUTE_PGM_RSRC2:TRAP_HANDLER: 0
; COMPUTE_PGM_RSRC2:TGID_X_EN: 1
; COMPUTE_PGM_RSRC2:TGID_Y_EN: 0
; COMPUTE_PGM_RSRC2:TGID_Z_EN: 0
; COMPUTE_PGM_RSRC2:TIDIG_COMP_CNT: 0
	.section	.text._ZN7rocprim17ROCPRIM_400000_NS6detail17trampoline_kernelINS0_14default_configENS1_37merge_sort_block_sort_config_selectorIlNS0_10empty_typeEEEZNS1_21merge_sort_block_sortIS3_PlS8_PS5_S9_ZN2at6native12_GLOBAL__N_124unique_dim_cuda_templateIN3c108BFloat16EEESt5tupleIJNSA_6TensorESH_SH_EERKSH_lbbbEUlllE_EE10hipError_tT0_T1_T2_T3_mRjT4_P12ihipStream_tbNS1_7vsmem_tEEUlT_E_NS1_11comp_targetILNS1_3genE10ELNS1_11target_archE1201ELNS1_3gpuE5ELNS1_3repE0EEENS1_30default_config_static_selectorELNS0_4arch9wavefront6targetE0EEEvSO_,"axG",@progbits,_ZN7rocprim17ROCPRIM_400000_NS6detail17trampoline_kernelINS0_14default_configENS1_37merge_sort_block_sort_config_selectorIlNS0_10empty_typeEEEZNS1_21merge_sort_block_sortIS3_PlS8_PS5_S9_ZN2at6native12_GLOBAL__N_124unique_dim_cuda_templateIN3c108BFloat16EEESt5tupleIJNSA_6TensorESH_SH_EERKSH_lbbbEUlllE_EE10hipError_tT0_T1_T2_T3_mRjT4_P12ihipStream_tbNS1_7vsmem_tEEUlT_E_NS1_11comp_targetILNS1_3genE10ELNS1_11target_archE1201ELNS1_3gpuE5ELNS1_3repE0EEENS1_30default_config_static_selectorELNS0_4arch9wavefront6targetE0EEEvSO_,comdat
	.globl	_ZN7rocprim17ROCPRIM_400000_NS6detail17trampoline_kernelINS0_14default_configENS1_37merge_sort_block_sort_config_selectorIlNS0_10empty_typeEEEZNS1_21merge_sort_block_sortIS3_PlS8_PS5_S9_ZN2at6native12_GLOBAL__N_124unique_dim_cuda_templateIN3c108BFloat16EEESt5tupleIJNSA_6TensorESH_SH_EERKSH_lbbbEUlllE_EE10hipError_tT0_T1_T2_T3_mRjT4_P12ihipStream_tbNS1_7vsmem_tEEUlT_E_NS1_11comp_targetILNS1_3genE10ELNS1_11target_archE1201ELNS1_3gpuE5ELNS1_3repE0EEENS1_30default_config_static_selectorELNS0_4arch9wavefront6targetE0EEEvSO_ ; -- Begin function _ZN7rocprim17ROCPRIM_400000_NS6detail17trampoline_kernelINS0_14default_configENS1_37merge_sort_block_sort_config_selectorIlNS0_10empty_typeEEEZNS1_21merge_sort_block_sortIS3_PlS8_PS5_S9_ZN2at6native12_GLOBAL__N_124unique_dim_cuda_templateIN3c108BFloat16EEESt5tupleIJNSA_6TensorESH_SH_EERKSH_lbbbEUlllE_EE10hipError_tT0_T1_T2_T3_mRjT4_P12ihipStream_tbNS1_7vsmem_tEEUlT_E_NS1_11comp_targetILNS1_3genE10ELNS1_11target_archE1201ELNS1_3gpuE5ELNS1_3repE0EEENS1_30default_config_static_selectorELNS0_4arch9wavefront6targetE0EEEvSO_
	.p2align	8
	.type	_ZN7rocprim17ROCPRIM_400000_NS6detail17trampoline_kernelINS0_14default_configENS1_37merge_sort_block_sort_config_selectorIlNS0_10empty_typeEEEZNS1_21merge_sort_block_sortIS3_PlS8_PS5_S9_ZN2at6native12_GLOBAL__N_124unique_dim_cuda_templateIN3c108BFloat16EEESt5tupleIJNSA_6TensorESH_SH_EERKSH_lbbbEUlllE_EE10hipError_tT0_T1_T2_T3_mRjT4_P12ihipStream_tbNS1_7vsmem_tEEUlT_E_NS1_11comp_targetILNS1_3genE10ELNS1_11target_archE1201ELNS1_3gpuE5ELNS1_3repE0EEENS1_30default_config_static_selectorELNS0_4arch9wavefront6targetE0EEEvSO_,@function
_ZN7rocprim17ROCPRIM_400000_NS6detail17trampoline_kernelINS0_14default_configENS1_37merge_sort_block_sort_config_selectorIlNS0_10empty_typeEEEZNS1_21merge_sort_block_sortIS3_PlS8_PS5_S9_ZN2at6native12_GLOBAL__N_124unique_dim_cuda_templateIN3c108BFloat16EEESt5tupleIJNSA_6TensorESH_SH_EERKSH_lbbbEUlllE_EE10hipError_tT0_T1_T2_T3_mRjT4_P12ihipStream_tbNS1_7vsmem_tEEUlT_E_NS1_11comp_targetILNS1_3genE10ELNS1_11target_archE1201ELNS1_3gpuE5ELNS1_3repE0EEENS1_30default_config_static_selectorELNS0_4arch9wavefront6targetE0EEEvSO_: ; @_ZN7rocprim17ROCPRIM_400000_NS6detail17trampoline_kernelINS0_14default_configENS1_37merge_sort_block_sort_config_selectorIlNS0_10empty_typeEEEZNS1_21merge_sort_block_sortIS3_PlS8_PS5_S9_ZN2at6native12_GLOBAL__N_124unique_dim_cuda_templateIN3c108BFloat16EEESt5tupleIJNSA_6TensorESH_SH_EERKSH_lbbbEUlllE_EE10hipError_tT0_T1_T2_T3_mRjT4_P12ihipStream_tbNS1_7vsmem_tEEUlT_E_NS1_11comp_targetILNS1_3genE10ELNS1_11target_archE1201ELNS1_3gpuE5ELNS1_3repE0EEENS1_30default_config_static_selectorELNS0_4arch9wavefront6targetE0EEEvSO_
; %bb.0:
	.section	.rodata,"a",@progbits
	.p2align	6, 0x0
	.amdhsa_kernel _ZN7rocprim17ROCPRIM_400000_NS6detail17trampoline_kernelINS0_14default_configENS1_37merge_sort_block_sort_config_selectorIlNS0_10empty_typeEEEZNS1_21merge_sort_block_sortIS3_PlS8_PS5_S9_ZN2at6native12_GLOBAL__N_124unique_dim_cuda_templateIN3c108BFloat16EEESt5tupleIJNSA_6TensorESH_SH_EERKSH_lbbbEUlllE_EE10hipError_tT0_T1_T2_T3_mRjT4_P12ihipStream_tbNS1_7vsmem_tEEUlT_E_NS1_11comp_targetILNS1_3genE10ELNS1_11target_archE1201ELNS1_3gpuE5ELNS1_3repE0EEENS1_30default_config_static_selectorELNS0_4arch9wavefront6targetE0EEEvSO_
		.amdhsa_group_segment_fixed_size 0
		.amdhsa_private_segment_fixed_size 0
		.amdhsa_kernarg_size 72
		.amdhsa_user_sgpr_count 15
		.amdhsa_user_sgpr_dispatch_ptr 0
		.amdhsa_user_sgpr_queue_ptr 0
		.amdhsa_user_sgpr_kernarg_segment_ptr 1
		.amdhsa_user_sgpr_dispatch_id 0
		.amdhsa_user_sgpr_private_segment_size 0
		.amdhsa_wavefront_size32 1
		.amdhsa_uses_dynamic_stack 0
		.amdhsa_enable_private_segment 0
		.amdhsa_system_sgpr_workgroup_id_x 1
		.amdhsa_system_sgpr_workgroup_id_y 0
		.amdhsa_system_sgpr_workgroup_id_z 0
		.amdhsa_system_sgpr_workgroup_info 0
		.amdhsa_system_vgpr_workitem_id 0
		.amdhsa_next_free_vgpr 1
		.amdhsa_next_free_sgpr 1
		.amdhsa_reserve_vcc 0
		.amdhsa_float_round_mode_32 0
		.amdhsa_float_round_mode_16_64 0
		.amdhsa_float_denorm_mode_32 3
		.amdhsa_float_denorm_mode_16_64 3
		.amdhsa_dx10_clamp 1
		.amdhsa_ieee_mode 1
		.amdhsa_fp16_overflow 0
		.amdhsa_workgroup_processor_mode 1
		.amdhsa_memory_ordered 1
		.amdhsa_forward_progress 0
		.amdhsa_shared_vgpr_count 0
		.amdhsa_exception_fp_ieee_invalid_op 0
		.amdhsa_exception_fp_denorm_src 0
		.amdhsa_exception_fp_ieee_div_zero 0
		.amdhsa_exception_fp_ieee_overflow 0
		.amdhsa_exception_fp_ieee_underflow 0
		.amdhsa_exception_fp_ieee_inexact 0
		.amdhsa_exception_int_div_zero 0
	.end_amdhsa_kernel
	.section	.text._ZN7rocprim17ROCPRIM_400000_NS6detail17trampoline_kernelINS0_14default_configENS1_37merge_sort_block_sort_config_selectorIlNS0_10empty_typeEEEZNS1_21merge_sort_block_sortIS3_PlS8_PS5_S9_ZN2at6native12_GLOBAL__N_124unique_dim_cuda_templateIN3c108BFloat16EEESt5tupleIJNSA_6TensorESH_SH_EERKSH_lbbbEUlllE_EE10hipError_tT0_T1_T2_T3_mRjT4_P12ihipStream_tbNS1_7vsmem_tEEUlT_E_NS1_11comp_targetILNS1_3genE10ELNS1_11target_archE1201ELNS1_3gpuE5ELNS1_3repE0EEENS1_30default_config_static_selectorELNS0_4arch9wavefront6targetE0EEEvSO_,"axG",@progbits,_ZN7rocprim17ROCPRIM_400000_NS6detail17trampoline_kernelINS0_14default_configENS1_37merge_sort_block_sort_config_selectorIlNS0_10empty_typeEEEZNS1_21merge_sort_block_sortIS3_PlS8_PS5_S9_ZN2at6native12_GLOBAL__N_124unique_dim_cuda_templateIN3c108BFloat16EEESt5tupleIJNSA_6TensorESH_SH_EERKSH_lbbbEUlllE_EE10hipError_tT0_T1_T2_T3_mRjT4_P12ihipStream_tbNS1_7vsmem_tEEUlT_E_NS1_11comp_targetILNS1_3genE10ELNS1_11target_archE1201ELNS1_3gpuE5ELNS1_3repE0EEENS1_30default_config_static_selectorELNS0_4arch9wavefront6targetE0EEEvSO_,comdat
.Lfunc_end1120:
	.size	_ZN7rocprim17ROCPRIM_400000_NS6detail17trampoline_kernelINS0_14default_configENS1_37merge_sort_block_sort_config_selectorIlNS0_10empty_typeEEEZNS1_21merge_sort_block_sortIS3_PlS8_PS5_S9_ZN2at6native12_GLOBAL__N_124unique_dim_cuda_templateIN3c108BFloat16EEESt5tupleIJNSA_6TensorESH_SH_EERKSH_lbbbEUlllE_EE10hipError_tT0_T1_T2_T3_mRjT4_P12ihipStream_tbNS1_7vsmem_tEEUlT_E_NS1_11comp_targetILNS1_3genE10ELNS1_11target_archE1201ELNS1_3gpuE5ELNS1_3repE0EEENS1_30default_config_static_selectorELNS0_4arch9wavefront6targetE0EEEvSO_, .Lfunc_end1120-_ZN7rocprim17ROCPRIM_400000_NS6detail17trampoline_kernelINS0_14default_configENS1_37merge_sort_block_sort_config_selectorIlNS0_10empty_typeEEEZNS1_21merge_sort_block_sortIS3_PlS8_PS5_S9_ZN2at6native12_GLOBAL__N_124unique_dim_cuda_templateIN3c108BFloat16EEESt5tupleIJNSA_6TensorESH_SH_EERKSH_lbbbEUlllE_EE10hipError_tT0_T1_T2_T3_mRjT4_P12ihipStream_tbNS1_7vsmem_tEEUlT_E_NS1_11comp_targetILNS1_3genE10ELNS1_11target_archE1201ELNS1_3gpuE5ELNS1_3repE0EEENS1_30default_config_static_selectorELNS0_4arch9wavefront6targetE0EEEvSO_
                                        ; -- End function
	.section	.AMDGPU.csdata,"",@progbits
; Kernel info:
; codeLenInByte = 0
; NumSgprs: 0
; NumVgprs: 0
; ScratchSize: 0
; MemoryBound: 0
; FloatMode: 240
; IeeeMode: 1
; LDSByteSize: 0 bytes/workgroup (compile time only)
; SGPRBlocks: 0
; VGPRBlocks: 0
; NumSGPRsForWavesPerEU: 1
; NumVGPRsForWavesPerEU: 1
; Occupancy: 16
; WaveLimiterHint : 0
; COMPUTE_PGM_RSRC2:SCRATCH_EN: 0
; COMPUTE_PGM_RSRC2:USER_SGPR: 15
; COMPUTE_PGM_RSRC2:TRAP_HANDLER: 0
; COMPUTE_PGM_RSRC2:TGID_X_EN: 1
; COMPUTE_PGM_RSRC2:TGID_Y_EN: 0
; COMPUTE_PGM_RSRC2:TGID_Z_EN: 0
; COMPUTE_PGM_RSRC2:TIDIG_COMP_CNT: 0
	.section	.text._ZN7rocprim17ROCPRIM_400000_NS6detail17trampoline_kernelINS0_14default_configENS1_37merge_sort_block_sort_config_selectorIlNS0_10empty_typeEEEZNS1_21merge_sort_block_sortIS3_PlS8_PS5_S9_ZN2at6native12_GLOBAL__N_124unique_dim_cuda_templateIN3c108BFloat16EEESt5tupleIJNSA_6TensorESH_SH_EERKSH_lbbbEUlllE_EE10hipError_tT0_T1_T2_T3_mRjT4_P12ihipStream_tbNS1_7vsmem_tEEUlT_E_NS1_11comp_targetILNS1_3genE10ELNS1_11target_archE1200ELNS1_3gpuE4ELNS1_3repE0EEENS1_30default_config_static_selectorELNS0_4arch9wavefront6targetE0EEEvSO_,"axG",@progbits,_ZN7rocprim17ROCPRIM_400000_NS6detail17trampoline_kernelINS0_14default_configENS1_37merge_sort_block_sort_config_selectorIlNS0_10empty_typeEEEZNS1_21merge_sort_block_sortIS3_PlS8_PS5_S9_ZN2at6native12_GLOBAL__N_124unique_dim_cuda_templateIN3c108BFloat16EEESt5tupleIJNSA_6TensorESH_SH_EERKSH_lbbbEUlllE_EE10hipError_tT0_T1_T2_T3_mRjT4_P12ihipStream_tbNS1_7vsmem_tEEUlT_E_NS1_11comp_targetILNS1_3genE10ELNS1_11target_archE1200ELNS1_3gpuE4ELNS1_3repE0EEENS1_30default_config_static_selectorELNS0_4arch9wavefront6targetE0EEEvSO_,comdat
	.globl	_ZN7rocprim17ROCPRIM_400000_NS6detail17trampoline_kernelINS0_14default_configENS1_37merge_sort_block_sort_config_selectorIlNS0_10empty_typeEEEZNS1_21merge_sort_block_sortIS3_PlS8_PS5_S9_ZN2at6native12_GLOBAL__N_124unique_dim_cuda_templateIN3c108BFloat16EEESt5tupleIJNSA_6TensorESH_SH_EERKSH_lbbbEUlllE_EE10hipError_tT0_T1_T2_T3_mRjT4_P12ihipStream_tbNS1_7vsmem_tEEUlT_E_NS1_11comp_targetILNS1_3genE10ELNS1_11target_archE1200ELNS1_3gpuE4ELNS1_3repE0EEENS1_30default_config_static_selectorELNS0_4arch9wavefront6targetE0EEEvSO_ ; -- Begin function _ZN7rocprim17ROCPRIM_400000_NS6detail17trampoline_kernelINS0_14default_configENS1_37merge_sort_block_sort_config_selectorIlNS0_10empty_typeEEEZNS1_21merge_sort_block_sortIS3_PlS8_PS5_S9_ZN2at6native12_GLOBAL__N_124unique_dim_cuda_templateIN3c108BFloat16EEESt5tupleIJNSA_6TensorESH_SH_EERKSH_lbbbEUlllE_EE10hipError_tT0_T1_T2_T3_mRjT4_P12ihipStream_tbNS1_7vsmem_tEEUlT_E_NS1_11comp_targetILNS1_3genE10ELNS1_11target_archE1200ELNS1_3gpuE4ELNS1_3repE0EEENS1_30default_config_static_selectorELNS0_4arch9wavefront6targetE0EEEvSO_
	.p2align	8
	.type	_ZN7rocprim17ROCPRIM_400000_NS6detail17trampoline_kernelINS0_14default_configENS1_37merge_sort_block_sort_config_selectorIlNS0_10empty_typeEEEZNS1_21merge_sort_block_sortIS3_PlS8_PS5_S9_ZN2at6native12_GLOBAL__N_124unique_dim_cuda_templateIN3c108BFloat16EEESt5tupleIJNSA_6TensorESH_SH_EERKSH_lbbbEUlllE_EE10hipError_tT0_T1_T2_T3_mRjT4_P12ihipStream_tbNS1_7vsmem_tEEUlT_E_NS1_11comp_targetILNS1_3genE10ELNS1_11target_archE1200ELNS1_3gpuE4ELNS1_3repE0EEENS1_30default_config_static_selectorELNS0_4arch9wavefront6targetE0EEEvSO_,@function
_ZN7rocprim17ROCPRIM_400000_NS6detail17trampoline_kernelINS0_14default_configENS1_37merge_sort_block_sort_config_selectorIlNS0_10empty_typeEEEZNS1_21merge_sort_block_sortIS3_PlS8_PS5_S9_ZN2at6native12_GLOBAL__N_124unique_dim_cuda_templateIN3c108BFloat16EEESt5tupleIJNSA_6TensorESH_SH_EERKSH_lbbbEUlllE_EE10hipError_tT0_T1_T2_T3_mRjT4_P12ihipStream_tbNS1_7vsmem_tEEUlT_E_NS1_11comp_targetILNS1_3genE10ELNS1_11target_archE1200ELNS1_3gpuE4ELNS1_3repE0EEENS1_30default_config_static_selectorELNS0_4arch9wavefront6targetE0EEEvSO_: ; @_ZN7rocprim17ROCPRIM_400000_NS6detail17trampoline_kernelINS0_14default_configENS1_37merge_sort_block_sort_config_selectorIlNS0_10empty_typeEEEZNS1_21merge_sort_block_sortIS3_PlS8_PS5_S9_ZN2at6native12_GLOBAL__N_124unique_dim_cuda_templateIN3c108BFloat16EEESt5tupleIJNSA_6TensorESH_SH_EERKSH_lbbbEUlllE_EE10hipError_tT0_T1_T2_T3_mRjT4_P12ihipStream_tbNS1_7vsmem_tEEUlT_E_NS1_11comp_targetILNS1_3genE10ELNS1_11target_archE1200ELNS1_3gpuE4ELNS1_3repE0EEENS1_30default_config_static_selectorELNS0_4arch9wavefront6targetE0EEEvSO_
; %bb.0:
	.section	.rodata,"a",@progbits
	.p2align	6, 0x0
	.amdhsa_kernel _ZN7rocprim17ROCPRIM_400000_NS6detail17trampoline_kernelINS0_14default_configENS1_37merge_sort_block_sort_config_selectorIlNS0_10empty_typeEEEZNS1_21merge_sort_block_sortIS3_PlS8_PS5_S9_ZN2at6native12_GLOBAL__N_124unique_dim_cuda_templateIN3c108BFloat16EEESt5tupleIJNSA_6TensorESH_SH_EERKSH_lbbbEUlllE_EE10hipError_tT0_T1_T2_T3_mRjT4_P12ihipStream_tbNS1_7vsmem_tEEUlT_E_NS1_11comp_targetILNS1_3genE10ELNS1_11target_archE1200ELNS1_3gpuE4ELNS1_3repE0EEENS1_30default_config_static_selectorELNS0_4arch9wavefront6targetE0EEEvSO_
		.amdhsa_group_segment_fixed_size 0
		.amdhsa_private_segment_fixed_size 0
		.amdhsa_kernarg_size 72
		.amdhsa_user_sgpr_count 15
		.amdhsa_user_sgpr_dispatch_ptr 0
		.amdhsa_user_sgpr_queue_ptr 0
		.amdhsa_user_sgpr_kernarg_segment_ptr 1
		.amdhsa_user_sgpr_dispatch_id 0
		.amdhsa_user_sgpr_private_segment_size 0
		.amdhsa_wavefront_size32 1
		.amdhsa_uses_dynamic_stack 0
		.amdhsa_enable_private_segment 0
		.amdhsa_system_sgpr_workgroup_id_x 1
		.amdhsa_system_sgpr_workgroup_id_y 0
		.amdhsa_system_sgpr_workgroup_id_z 0
		.amdhsa_system_sgpr_workgroup_info 0
		.amdhsa_system_vgpr_workitem_id 0
		.amdhsa_next_free_vgpr 1
		.amdhsa_next_free_sgpr 1
		.amdhsa_reserve_vcc 0
		.amdhsa_float_round_mode_32 0
		.amdhsa_float_round_mode_16_64 0
		.amdhsa_float_denorm_mode_32 3
		.amdhsa_float_denorm_mode_16_64 3
		.amdhsa_dx10_clamp 1
		.amdhsa_ieee_mode 1
		.amdhsa_fp16_overflow 0
		.amdhsa_workgroup_processor_mode 1
		.amdhsa_memory_ordered 1
		.amdhsa_forward_progress 0
		.amdhsa_shared_vgpr_count 0
		.amdhsa_exception_fp_ieee_invalid_op 0
		.amdhsa_exception_fp_denorm_src 0
		.amdhsa_exception_fp_ieee_div_zero 0
		.amdhsa_exception_fp_ieee_overflow 0
		.amdhsa_exception_fp_ieee_underflow 0
		.amdhsa_exception_fp_ieee_inexact 0
		.amdhsa_exception_int_div_zero 0
	.end_amdhsa_kernel
	.section	.text._ZN7rocprim17ROCPRIM_400000_NS6detail17trampoline_kernelINS0_14default_configENS1_37merge_sort_block_sort_config_selectorIlNS0_10empty_typeEEEZNS1_21merge_sort_block_sortIS3_PlS8_PS5_S9_ZN2at6native12_GLOBAL__N_124unique_dim_cuda_templateIN3c108BFloat16EEESt5tupleIJNSA_6TensorESH_SH_EERKSH_lbbbEUlllE_EE10hipError_tT0_T1_T2_T3_mRjT4_P12ihipStream_tbNS1_7vsmem_tEEUlT_E_NS1_11comp_targetILNS1_3genE10ELNS1_11target_archE1200ELNS1_3gpuE4ELNS1_3repE0EEENS1_30default_config_static_selectorELNS0_4arch9wavefront6targetE0EEEvSO_,"axG",@progbits,_ZN7rocprim17ROCPRIM_400000_NS6detail17trampoline_kernelINS0_14default_configENS1_37merge_sort_block_sort_config_selectorIlNS0_10empty_typeEEEZNS1_21merge_sort_block_sortIS3_PlS8_PS5_S9_ZN2at6native12_GLOBAL__N_124unique_dim_cuda_templateIN3c108BFloat16EEESt5tupleIJNSA_6TensorESH_SH_EERKSH_lbbbEUlllE_EE10hipError_tT0_T1_T2_T3_mRjT4_P12ihipStream_tbNS1_7vsmem_tEEUlT_E_NS1_11comp_targetILNS1_3genE10ELNS1_11target_archE1200ELNS1_3gpuE4ELNS1_3repE0EEENS1_30default_config_static_selectorELNS0_4arch9wavefront6targetE0EEEvSO_,comdat
.Lfunc_end1121:
	.size	_ZN7rocprim17ROCPRIM_400000_NS6detail17trampoline_kernelINS0_14default_configENS1_37merge_sort_block_sort_config_selectorIlNS0_10empty_typeEEEZNS1_21merge_sort_block_sortIS3_PlS8_PS5_S9_ZN2at6native12_GLOBAL__N_124unique_dim_cuda_templateIN3c108BFloat16EEESt5tupleIJNSA_6TensorESH_SH_EERKSH_lbbbEUlllE_EE10hipError_tT0_T1_T2_T3_mRjT4_P12ihipStream_tbNS1_7vsmem_tEEUlT_E_NS1_11comp_targetILNS1_3genE10ELNS1_11target_archE1200ELNS1_3gpuE4ELNS1_3repE0EEENS1_30default_config_static_selectorELNS0_4arch9wavefront6targetE0EEEvSO_, .Lfunc_end1121-_ZN7rocprim17ROCPRIM_400000_NS6detail17trampoline_kernelINS0_14default_configENS1_37merge_sort_block_sort_config_selectorIlNS0_10empty_typeEEEZNS1_21merge_sort_block_sortIS3_PlS8_PS5_S9_ZN2at6native12_GLOBAL__N_124unique_dim_cuda_templateIN3c108BFloat16EEESt5tupleIJNSA_6TensorESH_SH_EERKSH_lbbbEUlllE_EE10hipError_tT0_T1_T2_T3_mRjT4_P12ihipStream_tbNS1_7vsmem_tEEUlT_E_NS1_11comp_targetILNS1_3genE10ELNS1_11target_archE1200ELNS1_3gpuE4ELNS1_3repE0EEENS1_30default_config_static_selectorELNS0_4arch9wavefront6targetE0EEEvSO_
                                        ; -- End function
	.section	.AMDGPU.csdata,"",@progbits
; Kernel info:
; codeLenInByte = 0
; NumSgprs: 0
; NumVgprs: 0
; ScratchSize: 0
; MemoryBound: 0
; FloatMode: 240
; IeeeMode: 1
; LDSByteSize: 0 bytes/workgroup (compile time only)
; SGPRBlocks: 0
; VGPRBlocks: 0
; NumSGPRsForWavesPerEU: 1
; NumVGPRsForWavesPerEU: 1
; Occupancy: 16
; WaveLimiterHint : 0
; COMPUTE_PGM_RSRC2:SCRATCH_EN: 0
; COMPUTE_PGM_RSRC2:USER_SGPR: 15
; COMPUTE_PGM_RSRC2:TRAP_HANDLER: 0
; COMPUTE_PGM_RSRC2:TGID_X_EN: 1
; COMPUTE_PGM_RSRC2:TGID_Y_EN: 0
; COMPUTE_PGM_RSRC2:TGID_Z_EN: 0
; COMPUTE_PGM_RSRC2:TIDIG_COMP_CNT: 0
	.section	.text._ZN7rocprim17ROCPRIM_400000_NS6detail17trampoline_kernelINS0_14default_configENS1_37merge_sort_block_sort_config_selectorIlNS0_10empty_typeEEEZNS1_21merge_sort_block_sortIS3_PlS8_PS5_S9_ZN2at6native12_GLOBAL__N_124unique_dim_cuda_templateIN3c108BFloat16EEESt5tupleIJNSA_6TensorESH_SH_EERKSH_lbbbEUlllE_EE10hipError_tT0_T1_T2_T3_mRjT4_P12ihipStream_tbNS1_7vsmem_tEEUlT_E_NS1_11comp_targetILNS1_3genE9ELNS1_11target_archE1100ELNS1_3gpuE3ELNS1_3repE0EEENS1_30default_config_static_selectorELNS0_4arch9wavefront6targetE0EEEvSO_,"axG",@progbits,_ZN7rocprim17ROCPRIM_400000_NS6detail17trampoline_kernelINS0_14default_configENS1_37merge_sort_block_sort_config_selectorIlNS0_10empty_typeEEEZNS1_21merge_sort_block_sortIS3_PlS8_PS5_S9_ZN2at6native12_GLOBAL__N_124unique_dim_cuda_templateIN3c108BFloat16EEESt5tupleIJNSA_6TensorESH_SH_EERKSH_lbbbEUlllE_EE10hipError_tT0_T1_T2_T3_mRjT4_P12ihipStream_tbNS1_7vsmem_tEEUlT_E_NS1_11comp_targetILNS1_3genE9ELNS1_11target_archE1100ELNS1_3gpuE3ELNS1_3repE0EEENS1_30default_config_static_selectorELNS0_4arch9wavefront6targetE0EEEvSO_,comdat
	.globl	_ZN7rocprim17ROCPRIM_400000_NS6detail17trampoline_kernelINS0_14default_configENS1_37merge_sort_block_sort_config_selectorIlNS0_10empty_typeEEEZNS1_21merge_sort_block_sortIS3_PlS8_PS5_S9_ZN2at6native12_GLOBAL__N_124unique_dim_cuda_templateIN3c108BFloat16EEESt5tupleIJNSA_6TensorESH_SH_EERKSH_lbbbEUlllE_EE10hipError_tT0_T1_T2_T3_mRjT4_P12ihipStream_tbNS1_7vsmem_tEEUlT_E_NS1_11comp_targetILNS1_3genE9ELNS1_11target_archE1100ELNS1_3gpuE3ELNS1_3repE0EEENS1_30default_config_static_selectorELNS0_4arch9wavefront6targetE0EEEvSO_ ; -- Begin function _ZN7rocprim17ROCPRIM_400000_NS6detail17trampoline_kernelINS0_14default_configENS1_37merge_sort_block_sort_config_selectorIlNS0_10empty_typeEEEZNS1_21merge_sort_block_sortIS3_PlS8_PS5_S9_ZN2at6native12_GLOBAL__N_124unique_dim_cuda_templateIN3c108BFloat16EEESt5tupleIJNSA_6TensorESH_SH_EERKSH_lbbbEUlllE_EE10hipError_tT0_T1_T2_T3_mRjT4_P12ihipStream_tbNS1_7vsmem_tEEUlT_E_NS1_11comp_targetILNS1_3genE9ELNS1_11target_archE1100ELNS1_3gpuE3ELNS1_3repE0EEENS1_30default_config_static_selectorELNS0_4arch9wavefront6targetE0EEEvSO_
	.p2align	8
	.type	_ZN7rocprim17ROCPRIM_400000_NS6detail17trampoline_kernelINS0_14default_configENS1_37merge_sort_block_sort_config_selectorIlNS0_10empty_typeEEEZNS1_21merge_sort_block_sortIS3_PlS8_PS5_S9_ZN2at6native12_GLOBAL__N_124unique_dim_cuda_templateIN3c108BFloat16EEESt5tupleIJNSA_6TensorESH_SH_EERKSH_lbbbEUlllE_EE10hipError_tT0_T1_T2_T3_mRjT4_P12ihipStream_tbNS1_7vsmem_tEEUlT_E_NS1_11comp_targetILNS1_3genE9ELNS1_11target_archE1100ELNS1_3gpuE3ELNS1_3repE0EEENS1_30default_config_static_selectorELNS0_4arch9wavefront6targetE0EEEvSO_,@function
_ZN7rocprim17ROCPRIM_400000_NS6detail17trampoline_kernelINS0_14default_configENS1_37merge_sort_block_sort_config_selectorIlNS0_10empty_typeEEEZNS1_21merge_sort_block_sortIS3_PlS8_PS5_S9_ZN2at6native12_GLOBAL__N_124unique_dim_cuda_templateIN3c108BFloat16EEESt5tupleIJNSA_6TensorESH_SH_EERKSH_lbbbEUlllE_EE10hipError_tT0_T1_T2_T3_mRjT4_P12ihipStream_tbNS1_7vsmem_tEEUlT_E_NS1_11comp_targetILNS1_3genE9ELNS1_11target_archE1100ELNS1_3gpuE3ELNS1_3repE0EEENS1_30default_config_static_selectorELNS0_4arch9wavefront6targetE0EEEvSO_: ; @_ZN7rocprim17ROCPRIM_400000_NS6detail17trampoline_kernelINS0_14default_configENS1_37merge_sort_block_sort_config_selectorIlNS0_10empty_typeEEEZNS1_21merge_sort_block_sortIS3_PlS8_PS5_S9_ZN2at6native12_GLOBAL__N_124unique_dim_cuda_templateIN3c108BFloat16EEESt5tupleIJNSA_6TensorESH_SH_EERKSH_lbbbEUlllE_EE10hipError_tT0_T1_T2_T3_mRjT4_P12ihipStream_tbNS1_7vsmem_tEEUlT_E_NS1_11comp_targetILNS1_3genE9ELNS1_11target_archE1100ELNS1_3gpuE3ELNS1_3repE0EEENS1_30default_config_static_selectorELNS0_4arch9wavefront6targetE0EEEvSO_
; %bb.0:
	s_clause 0x1
	s_load_b64 s[16:17], s[0:1], 0x48
	s_load_b32 s3, s[0:1], 0x0
	s_add_u32 s4, s0, 0x48
	s_addc_u32 s5, s1, 0
	s_waitcnt lgkmcnt(0)
	s_mul_i32 s2, s17, s15
	s_delay_alu instid0(SALU_CYCLE_1) | instskip(NEXT) | instid1(SALU_CYCLE_1)
	s_add_i32 s2, s2, s14
	s_mul_i32 s2, s2, s16
	s_delay_alu instid0(SALU_CYCLE_1) | instskip(NEXT) | instid1(SALU_CYCLE_1)
	s_add_i32 s2, s2, s13
	s_cmp_ge_u32 s2, s3
	s_cbranch_scc1 .LBB1122_880
; %bb.1:
	s_clause 0x2
	s_load_b64 s[18:19], s[0:1], 0x8
	s_load_b128 s[8:11], s[0:1], 0x38
	s_load_b128 s[20:23], s[0:1], 0x18
	v_and_b32_e32 v12, 0x3ff, v0
	s_mov_b32 s3, 0
	v_bfe_u32 v24, v0, 10, 10
	s_lshl_b64 s[0:1], s[2:3], 13
	v_bfe_u32 v25, v0, 20, 10
	v_lshlrev_b32_e32 v22, 3, v12
	v_lshrrev_b32_e32 v27, 2, v12
	v_add_nc_u32_e32 v30, 0x100, v12
	v_add_nc_u32_e32 v29, 0x200, v12
	;; [unrolled: 1-line block ×3, first 2 shown]
	v_lshlrev_b32_e32 v23, 2, v12
	v_lshrrev_b32_e32 v26, 3, v12
	s_waitcnt lgkmcnt(0)
	s_lshr_b64 s[24:25], s[18:19], 10
	v_cmp_gt_i64_e64 s17, s[8:9], 0
	s_add_u32 s14, s20, s0
	s_addc_u32 s15, s21, s1
	s_add_u32 s6, s22, s0
	s_addc_u32 s7, s23, s1
	s_cmp_lg_u64 s[24:25], s[2:3]
	s_cbranch_scc0 .LBB1122_10
; %bb.2:
	v_add_co_u32 v0, s0, s14, v22
	s_delay_alu instid0(VALU_DEP_1) | instskip(SKIP_1) | instid1(VALU_DEP_3)
	v_add_co_ci_u32_e64 v1, null, s15, 0, s0
	v_lshrrev_b32_e32 v8, 2, v30
	v_add_co_u32 v0, vcc_lo, 0x1000, v0
	s_delay_alu instid0(VALU_DEP_3)
	v_add_co_ci_u32_e32 v1, vcc_lo, 0, v1, vcc_lo
	v_lshrrev_b32_e32 v9, 2, v29
	s_clause 0x3
	global_load_b64 v[2:3], v22, s[14:15]
	global_load_b64 v[4:5], v22, s[14:15] offset:2048
	global_load_b64 v[6:7], v[0:1], off
	global_load_b64 v[0:1], v[0:1], off offset:2048
	v_lshrrev_b32_e32 v10, 2, v28
	v_and_b32_e32 v11, 0xf8, v27
	v_dual_mov_b32 v13, 0 :: v_dual_and_b32 v8, 0x1f8, v8
	v_and_b32_e32 v9, 0x1f8, v9
	s_delay_alu instid0(VALU_DEP_4) | instskip(NEXT) | instid1(VALU_DEP_4)
	v_and_b32_e32 v10, 0x1f8, v10
	v_add_nc_u32_e32 v31, v11, v22
	v_add_lshl_u32 v35, v26, v23, 3
	v_add_nc_u32_e32 v34, v8, v22
	v_add_nc_u32_e32 v32, v9, v22
	;; [unrolled: 1-line block ×3, first 2 shown]
	v_cndmask_b32_e64 v36, 0, 1, s17
	s_waitcnt vmcnt(3)
	ds_store_b64 v31, v[2:3]
	s_waitcnt vmcnt(2)
	ds_store_b64 v34, v[4:5] offset:2048
	s_waitcnt vmcnt(1)
	ds_store_b64 v32, v[6:7] offset:4096
	;; [unrolled: 2-line block ×3, first 2 shown]
	s_waitcnt lgkmcnt(0)
	s_barrier
	buffer_gl0_inv
	ds_load_2addr_b64 v[8:11], v35 offset1:1
	ds_load_2addr_b64 v[4:7], v35 offset0:2 offset1:3
	s_waitcnt lgkmcnt(0)
	s_barrier
	buffer_gl0_inv
	s_load_b32 s0, s[4:5], 0xc
	v_dual_mov_b32 v3, v11 :: v_dual_mov_b32 v2, v10
	s_waitcnt lgkmcnt(0)
	s_lshr_b32 s12, s0, 16
	s_cmp_lt_u32 s13, s16
	v_mad_u32_u24 v1, v25, s12, v24
	s_cselect_b32 s0, 12, 18
	s_mov_b32 s12, exec_lo
	s_add_u32 s0, s4, s0
	s_addc_u32 s1, s5, 0
	global_load_u16 v0, v13, s[0:1]
	s_waitcnt vmcnt(0)
	v_mul_lo_u32 v0, v1, v0
	v_mov_b32_e32 v1, v9
	s_delay_alu instid0(VALU_DEP_2) | instskip(SKIP_1) | instid1(VALU_DEP_2)
	v_add_lshl_u32 v37, v0, v12, 2
	v_mov_b32_e32 v0, v8
	v_cmpx_gt_u32_e32 0x400, v37
	s_cbranch_execz .LBB1122_72
; %bb.3:
	s_and_not1_b32 vcc_lo, exec_lo, s17
	s_cbranch_vccnz .LBB1122_16
; %bb.4:
	v_mul_lo_u32 v18, v11, s8
	v_mul_lo_u32 v19, v10, s9
	v_mad_u64_u32 v[14:15], null, v10, s8, 0
	v_mul_lo_u32 v20, v9, s8
	v_mul_lo_u32 v21, v8, s9
	v_mad_u64_u32 v[16:17], null, v8, s8, 0
	s_mov_b32 s20, 0
	s_mov_b64 s[0:1], s[8:9]
	s_delay_alu instid0(VALU_DEP_4) | instskip(NEXT) | instid1(VALU_DEP_2)
	v_add3_u32 v15, v15, v19, v18
                                        ; implicit-def: $sgpr19
                                        ; implicit-def: $sgpr21
                                        ; implicit-def: $sgpr22
                                        ; implicit-def: $sgpr23
                                        ; implicit-def: $sgpr24
	v_add3_u32 v17, v17, v21, v20
	s_delay_alu instid0(VALU_DEP_2) | instskip(NEXT) | instid1(VALU_DEP_2)
	v_lshlrev_b64 v[14:15], 1, v[14:15]
	v_lshlrev_b64 v[16:17], 1, v[16:17]
	s_delay_alu instid0(VALU_DEP_2) | instskip(NEXT) | instid1(VALU_DEP_3)
	v_add_co_u32 v14, vcc_lo, s10, v14
	v_add_co_ci_u32_e32 v15, vcc_lo, s11, v15, vcc_lo
	s_delay_alu instid0(VALU_DEP_3) | instskip(NEXT) | instid1(VALU_DEP_4)
	v_add_co_u32 v16, vcc_lo, s10, v16
	v_add_co_ci_u32_e32 v17, vcc_lo, s11, v17, vcc_lo
	s_set_inst_prefetch_distance 0x1
	s_branch .LBB1122_6
	.p2align	6
.LBB1122_5:                             ;   in Loop: Header=BB1122_6 Depth=1
	s_or_b32 exec_lo, exec_lo, s25
	s_delay_alu instid0(SALU_CYCLE_1) | instskip(NEXT) | instid1(SALU_CYCLE_1)
	s_and_b32 s25, exec_lo, s26
	s_or_b32 s20, s25, s20
	s_and_not1_b32 s21, s21, exec_lo
	s_and_b32 s25, s22, exec_lo
	s_and_not1_b32 s19, s19, exec_lo
	s_and_b32 s26, s23, exec_lo
	s_or_b32 s21, s21, s25
	s_or_b32 s19, s19, s26
	s_and_not1_b32 exec_lo, exec_lo, s20
	s_cbranch_execz .LBB1122_11
.LBB1122_6:                             ; =>This Inner Loop Header: Depth=1
	global_load_u16 v18, v[14:15], off
	global_load_u16 v19, v[16:17], off
	s_or_b32 s23, s23, exec_lo
	s_mov_b32 s27, 0
	s_mov_b32 s25, exec_lo
	s_waitcnt vmcnt(1)
	v_lshlrev_b32_e32 v18, 16, v18
	s_waitcnt vmcnt(0)
	v_lshlrev_b32_e32 v19, 16, v19
	s_delay_alu instid0(VALU_DEP_1)
	v_cmpx_nlt_f32_e32 v18, v19
; %bb.7:                                ;   in Loop: Header=BB1122_6 Depth=1
	v_cmp_ngt_f32_e32 vcc_lo, v18, v19
	s_and_not1_b32 s23, s23, exec_lo
	s_and_b32 s24, vcc_lo, s24
	s_and_b32 s27, vcc_lo, exec_lo
	s_and_b32 s24, s24, exec_lo
	s_delay_alu instid0(SALU_CYCLE_1)
	s_or_b32 s23, s23, s24
; %bb.8:                                ;   in Loop: Header=BB1122_6 Depth=1
	s_or_b32 exec_lo, exec_lo, s25
	s_mov_b32 s26, -1
	s_or_b32 s22, s22, exec_lo
                                        ; implicit-def: $sgpr24
	s_and_saveexec_b32 s25, s27
	s_cbranch_execz .LBB1122_5
; %bb.9:                                ;   in Loop: Header=BB1122_6 Depth=1
	v_add_co_u32 v14, vcc_lo, v14, 2
	s_add_u32 s0, s0, -1
	s_addc_u32 s1, s1, -1
	v_add_co_ci_u32_e32 v15, vcc_lo, 0, v15, vcc_lo
	v_add_co_u32 v16, vcc_lo, v16, 2
	s_cmp_eq_u64 s[0:1], 0
	v_add_co_ci_u32_e32 v17, vcc_lo, 0, v17, vcc_lo
	s_cselect_b32 s26, -1, 0
	s_and_b32 s24, s23, exec_lo
	s_and_not1_b32 s22, s22, exec_lo
	s_or_not1_b32 s26, s26, exec_lo
	s_branch .LBB1122_5
.LBB1122_10:
	s_mov_b32 s17, s3
                                        ; implicit-def: $vgpr0_vgpr1
	s_cbranch_execnz .LBB1122_522
	s_branch .LBB1122_878
.LBB1122_11:
	s_set_inst_prefetch_distance 0x2
	s_or_b32 exec_lo, exec_lo, s20
	s_and_saveexec_b32 s0, s21
	s_delay_alu instid0(SALU_CYCLE_1)
	s_xor_b32 s0, exec_lo, s0
	s_cbranch_execz .LBB1122_15
; %bb.12:
	v_dual_mov_b32 v15, v11 :: v_dual_mov_b32 v14, v10
	s_and_saveexec_b32 s1, s19
; %bb.13:
	v_dual_mov_b32 v0, v10 :: v_dual_mov_b32 v1, v11
	v_dual_mov_b32 v2, v8 :: v_dual_mov_b32 v3, v9
	;; [unrolled: 1-line block ×4, first 2 shown]
; %bb.14:
	s_or_b32 exec_lo, exec_lo, s1
	s_delay_alu instid0(VALU_DEP_2)
	v_dual_mov_b32 v10, v14 :: v_dual_mov_b32 v11, v15
.LBB1122_15:
	s_or_b32 exec_lo, exec_lo, s0
.LBB1122_16:
	v_dual_mov_b32 v16, v6 :: v_dual_mov_b32 v17, v7
	v_dual_mov_b32 v14, v4 :: v_dual_mov_b32 v15, v5
	s_and_not1_b32 vcc_lo, exec_lo, s17
	s_cbranch_vccnz .LBB1122_28
; %bb.17:
	v_mul_lo_u32 v38, v7, s8
	v_mul_lo_u32 v39, v6, s9
	v_mad_u64_u32 v[18:19], null, v6, s8, 0
	v_mul_lo_u32 v40, v5, s8
	v_mul_lo_u32 v41, v4, s9
	v_mad_u64_u32 v[20:21], null, v4, s8, 0
	s_mov_b32 s20, 0
	s_mov_b64 s[0:1], s[8:9]
	s_delay_alu instid0(VALU_DEP_4) | instskip(NEXT) | instid1(VALU_DEP_2)
	v_add3_u32 v19, v19, v39, v38
                                        ; implicit-def: $sgpr19
                                        ; implicit-def: $sgpr21
                                        ; implicit-def: $sgpr22
                                        ; implicit-def: $sgpr23
                                        ; implicit-def: $sgpr24
	v_add3_u32 v21, v21, v41, v40
	s_delay_alu instid0(VALU_DEP_2) | instskip(NEXT) | instid1(VALU_DEP_2)
	v_lshlrev_b64 v[18:19], 1, v[18:19]
	v_lshlrev_b64 v[20:21], 1, v[20:21]
	s_delay_alu instid0(VALU_DEP_2) | instskip(NEXT) | instid1(VALU_DEP_3)
	v_add_co_u32 v18, vcc_lo, s10, v18
	v_add_co_ci_u32_e32 v19, vcc_lo, s11, v19, vcc_lo
	s_delay_alu instid0(VALU_DEP_3) | instskip(NEXT) | instid1(VALU_DEP_4)
	v_add_co_u32 v20, vcc_lo, s10, v20
	v_add_co_ci_u32_e32 v21, vcc_lo, s11, v21, vcc_lo
	s_set_inst_prefetch_distance 0x1
	s_branch .LBB1122_19
	.p2align	6
.LBB1122_18:                            ;   in Loop: Header=BB1122_19 Depth=1
	s_or_b32 exec_lo, exec_lo, s25
	s_delay_alu instid0(SALU_CYCLE_1) | instskip(NEXT) | instid1(SALU_CYCLE_1)
	s_and_b32 s25, exec_lo, s26
	s_or_b32 s20, s25, s20
	s_and_not1_b32 s21, s21, exec_lo
	s_and_b32 s25, s22, exec_lo
	s_and_not1_b32 s19, s19, exec_lo
	s_and_b32 s26, s23, exec_lo
	s_or_b32 s21, s21, s25
	s_or_b32 s19, s19, s26
	s_and_not1_b32 exec_lo, exec_lo, s20
	s_cbranch_execz .LBB1122_23
.LBB1122_19:                            ; =>This Inner Loop Header: Depth=1
	global_load_u16 v38, v[18:19], off
	global_load_u16 v39, v[20:21], off
	s_or_b32 s23, s23, exec_lo
	s_mov_b32 s27, 0
	s_mov_b32 s25, exec_lo
	s_waitcnt vmcnt(1)
	v_lshlrev_b32_e32 v38, 16, v38
	s_waitcnt vmcnt(0)
	v_lshlrev_b32_e32 v39, 16, v39
	s_delay_alu instid0(VALU_DEP_1)
	v_cmpx_nlt_f32_e32 v38, v39
; %bb.20:                               ;   in Loop: Header=BB1122_19 Depth=1
	v_cmp_ngt_f32_e32 vcc_lo, v38, v39
	s_and_not1_b32 s23, s23, exec_lo
	s_and_b32 s24, vcc_lo, s24
	s_and_b32 s27, vcc_lo, exec_lo
	s_and_b32 s24, s24, exec_lo
	s_delay_alu instid0(SALU_CYCLE_1)
	s_or_b32 s23, s23, s24
; %bb.21:                               ;   in Loop: Header=BB1122_19 Depth=1
	s_or_b32 exec_lo, exec_lo, s25
	s_mov_b32 s26, -1
	s_or_b32 s22, s22, exec_lo
                                        ; implicit-def: $sgpr24
	s_and_saveexec_b32 s25, s27
	s_cbranch_execz .LBB1122_18
; %bb.22:                               ;   in Loop: Header=BB1122_19 Depth=1
	v_add_co_u32 v18, vcc_lo, v18, 2
	s_add_u32 s0, s0, -1
	s_addc_u32 s1, s1, -1
	v_add_co_ci_u32_e32 v19, vcc_lo, 0, v19, vcc_lo
	v_add_co_u32 v20, vcc_lo, v20, 2
	s_cmp_eq_u64 s[0:1], 0
	v_add_co_ci_u32_e32 v21, vcc_lo, 0, v21, vcc_lo
	s_cselect_b32 s26, -1, 0
	s_and_b32 s24, s23, exec_lo
	s_and_not1_b32 s22, s22, exec_lo
	s_or_not1_b32 s26, s26, exec_lo
	s_branch .LBB1122_18
.LBB1122_23:
	s_set_inst_prefetch_distance 0x2
	s_or_b32 exec_lo, exec_lo, s20
	s_and_saveexec_b32 s0, s21
	s_delay_alu instid0(SALU_CYCLE_1)
	s_xor_b32 s0, exec_lo, s0
	s_cbranch_execz .LBB1122_27
; %bb.24:
	s_and_saveexec_b32 s1, s19
; %bb.25:
	v_dual_mov_b32 v38, v0 :: v_dual_mov_b32 v39, v1
	v_dual_mov_b32 v40, v2 :: v_dual_mov_b32 v41, v3
	;; [unrolled: 1-line block ×11, first 2 shown]
; %bb.26:
	s_or_b32 exec_lo, exec_lo, s1
.LBB1122_27:
	s_delay_alu instid0(SALU_CYCLE_1)
	s_or_b32 exec_lo, exec_lo, s0
.LBB1122_28:
	s_delay_alu instid0(SALU_CYCLE_1)
	s_and_b32 vcc_lo, exec_lo, s17
	s_cbranch_vccz .LBB1122_40
; %bb.29:
	v_mul_lo_u32 v38, v15, s8
	v_mul_lo_u32 v39, v14, s9
	v_mad_u64_u32 v[18:19], null, v14, s8, 0
	v_mul_lo_u32 v40, v11, s8
	v_mul_lo_u32 v41, v10, s9
	v_mad_u64_u32 v[20:21], null, v10, s8, 0
	s_mov_b32 s19, 0
	s_mov_b64 s[0:1], s[8:9]
	s_delay_alu instid0(VALU_DEP_4) | instskip(NEXT) | instid1(VALU_DEP_2)
	v_add3_u32 v19, v19, v39, v38
                                        ; implicit-def: $sgpr17
                                        ; implicit-def: $sgpr20
                                        ; implicit-def: $sgpr21
                                        ; implicit-def: $sgpr22
                                        ; implicit-def: $sgpr23
	v_add3_u32 v21, v21, v41, v40
	s_delay_alu instid0(VALU_DEP_2) | instskip(NEXT) | instid1(VALU_DEP_2)
	v_lshlrev_b64 v[18:19], 1, v[18:19]
	v_lshlrev_b64 v[20:21], 1, v[20:21]
	s_delay_alu instid0(VALU_DEP_2) | instskip(NEXT) | instid1(VALU_DEP_3)
	v_add_co_u32 v18, vcc_lo, s10, v18
	v_add_co_ci_u32_e32 v19, vcc_lo, s11, v19, vcc_lo
	s_delay_alu instid0(VALU_DEP_3) | instskip(NEXT) | instid1(VALU_DEP_4)
	v_add_co_u32 v20, vcc_lo, s10, v20
	v_add_co_ci_u32_e32 v21, vcc_lo, s11, v21, vcc_lo
	s_set_inst_prefetch_distance 0x1
	s_branch .LBB1122_31
	.p2align	6
.LBB1122_30:                            ;   in Loop: Header=BB1122_31 Depth=1
	s_or_b32 exec_lo, exec_lo, s24
	s_delay_alu instid0(SALU_CYCLE_1) | instskip(NEXT) | instid1(SALU_CYCLE_1)
	s_and_b32 s24, exec_lo, s25
	s_or_b32 s19, s24, s19
	s_and_not1_b32 s20, s20, exec_lo
	s_and_b32 s24, s21, exec_lo
	s_and_not1_b32 s17, s17, exec_lo
	s_and_b32 s25, s22, exec_lo
	s_or_b32 s20, s20, s24
	s_or_b32 s17, s17, s25
	s_and_not1_b32 exec_lo, exec_lo, s19
	s_cbranch_execz .LBB1122_35
.LBB1122_31:                            ; =>This Inner Loop Header: Depth=1
	global_load_u16 v38, v[18:19], off
	global_load_u16 v39, v[20:21], off
	s_or_b32 s22, s22, exec_lo
	s_mov_b32 s26, 0
	s_mov_b32 s24, exec_lo
	s_waitcnt vmcnt(1)
	v_lshlrev_b32_e32 v38, 16, v38
	s_waitcnt vmcnt(0)
	v_lshlrev_b32_e32 v39, 16, v39
	s_delay_alu instid0(VALU_DEP_1)
	v_cmpx_nlt_f32_e32 v38, v39
; %bb.32:                               ;   in Loop: Header=BB1122_31 Depth=1
	v_cmp_ngt_f32_e32 vcc_lo, v38, v39
	s_and_not1_b32 s22, s22, exec_lo
	s_and_b32 s23, vcc_lo, s23
	s_and_b32 s26, vcc_lo, exec_lo
	s_and_b32 s23, s23, exec_lo
	s_delay_alu instid0(SALU_CYCLE_1)
	s_or_b32 s22, s22, s23
; %bb.33:                               ;   in Loop: Header=BB1122_31 Depth=1
	s_or_b32 exec_lo, exec_lo, s24
	s_mov_b32 s25, -1
	s_or_b32 s21, s21, exec_lo
                                        ; implicit-def: $sgpr23
	s_and_saveexec_b32 s24, s26
	s_cbranch_execz .LBB1122_30
; %bb.34:                               ;   in Loop: Header=BB1122_31 Depth=1
	v_add_co_u32 v18, vcc_lo, v18, 2
	s_add_u32 s0, s0, -1
	s_addc_u32 s1, s1, -1
	v_add_co_ci_u32_e32 v19, vcc_lo, 0, v19, vcc_lo
	v_add_co_u32 v20, vcc_lo, v20, 2
	s_cmp_eq_u64 s[0:1], 0
	v_add_co_ci_u32_e32 v21, vcc_lo, 0, v21, vcc_lo
	s_cselect_b32 s25, -1, 0
	s_and_b32 s23, s22, exec_lo
	s_and_not1_b32 s21, s21, exec_lo
	s_or_not1_b32 s25, s25, exec_lo
	s_branch .LBB1122_30
.LBB1122_35:
	s_set_inst_prefetch_distance 0x2
	s_or_b32 exec_lo, exec_lo, s19
	s_and_saveexec_b32 s0, s20
	s_delay_alu instid0(SALU_CYCLE_1)
	s_xor_b32 s0, exec_lo, s0
	s_cbranch_execz .LBB1122_39
; %bb.36:
	v_dual_mov_b32 v19, v11 :: v_dual_mov_b32 v18, v10
	s_and_saveexec_b32 s1, s17
; %bb.37:
	v_dual_mov_b32 v2, v14 :: v_dual_mov_b32 v3, v15
	v_dual_mov_b32 v4, v10 :: v_dual_mov_b32 v5, v11
	;; [unrolled: 1-line block ×4, first 2 shown]
; %bb.38:
	s_or_b32 exec_lo, exec_lo, s1
	s_delay_alu instid0(VALU_DEP_2)
	v_dual_mov_b32 v10, v18 :: v_dual_mov_b32 v11, v19
.LBB1122_39:
	s_or_b32 exec_lo, exec_lo, s0
.LBB1122_40:
	v_cmp_ne_u32_e32 vcc_lo, 1, v36
	s_cbranch_vccnz .LBB1122_52
; %bb.41:
	s_delay_alu instid0(VALU_DEP_2)
	v_mul_lo_u32 v38, v11, s8
	v_mul_lo_u32 v39, v10, s9
	v_mad_u64_u32 v[18:19], null, v10, s8, 0
	v_mul_lo_u32 v40, v9, s8
	v_mul_lo_u32 v41, v8, s9
	v_mad_u64_u32 v[20:21], null, v8, s8, 0
	s_mov_b32 s19, 0
	s_mov_b64 s[0:1], s[8:9]
	s_delay_alu instid0(VALU_DEP_4) | instskip(NEXT) | instid1(VALU_DEP_2)
	v_add3_u32 v19, v19, v39, v38
                                        ; implicit-def: $sgpr17
                                        ; implicit-def: $sgpr20
                                        ; implicit-def: $sgpr21
                                        ; implicit-def: $sgpr22
                                        ; implicit-def: $sgpr23
	v_add3_u32 v21, v21, v41, v40
	s_delay_alu instid0(VALU_DEP_2) | instskip(NEXT) | instid1(VALU_DEP_2)
	v_lshlrev_b64 v[18:19], 1, v[18:19]
	v_lshlrev_b64 v[20:21], 1, v[20:21]
	s_delay_alu instid0(VALU_DEP_2) | instskip(NEXT) | instid1(VALU_DEP_3)
	v_add_co_u32 v18, vcc_lo, s10, v18
	v_add_co_ci_u32_e32 v19, vcc_lo, s11, v19, vcc_lo
	s_delay_alu instid0(VALU_DEP_3) | instskip(NEXT) | instid1(VALU_DEP_4)
	v_add_co_u32 v20, vcc_lo, s10, v20
	v_add_co_ci_u32_e32 v21, vcc_lo, s11, v21, vcc_lo
	s_set_inst_prefetch_distance 0x1
	s_branch .LBB1122_43
	.p2align	6
.LBB1122_42:                            ;   in Loop: Header=BB1122_43 Depth=1
	s_or_b32 exec_lo, exec_lo, s24
	s_delay_alu instid0(SALU_CYCLE_1) | instskip(NEXT) | instid1(SALU_CYCLE_1)
	s_and_b32 s24, exec_lo, s25
	s_or_b32 s19, s24, s19
	s_and_not1_b32 s20, s20, exec_lo
	s_and_b32 s24, s21, exec_lo
	s_and_not1_b32 s17, s17, exec_lo
	s_and_b32 s25, s22, exec_lo
	s_or_b32 s20, s20, s24
	s_or_b32 s17, s17, s25
	s_and_not1_b32 exec_lo, exec_lo, s19
	s_cbranch_execz .LBB1122_47
.LBB1122_43:                            ; =>This Inner Loop Header: Depth=1
	global_load_u16 v38, v[18:19], off
	global_load_u16 v39, v[20:21], off
	s_or_b32 s22, s22, exec_lo
	s_mov_b32 s26, 0
	s_mov_b32 s24, exec_lo
	s_waitcnt vmcnt(1)
	v_lshlrev_b32_e32 v38, 16, v38
	s_waitcnt vmcnt(0)
	v_lshlrev_b32_e32 v39, 16, v39
	s_delay_alu instid0(VALU_DEP_1)
	v_cmpx_nlt_f32_e32 v38, v39
; %bb.44:                               ;   in Loop: Header=BB1122_43 Depth=1
	v_cmp_ngt_f32_e32 vcc_lo, v38, v39
	s_and_not1_b32 s22, s22, exec_lo
	s_and_b32 s23, vcc_lo, s23
	s_and_b32 s26, vcc_lo, exec_lo
	s_and_b32 s23, s23, exec_lo
	s_delay_alu instid0(SALU_CYCLE_1)
	s_or_b32 s22, s22, s23
; %bb.45:                               ;   in Loop: Header=BB1122_43 Depth=1
	s_or_b32 exec_lo, exec_lo, s24
	s_mov_b32 s25, -1
	s_or_b32 s21, s21, exec_lo
                                        ; implicit-def: $sgpr23
	s_and_saveexec_b32 s24, s26
	s_cbranch_execz .LBB1122_42
; %bb.46:                               ;   in Loop: Header=BB1122_43 Depth=1
	v_add_co_u32 v18, vcc_lo, v18, 2
	s_add_u32 s0, s0, -1
	s_addc_u32 s1, s1, -1
	v_add_co_ci_u32_e32 v19, vcc_lo, 0, v19, vcc_lo
	v_add_co_u32 v20, vcc_lo, v20, 2
	s_cmp_eq_u64 s[0:1], 0
	v_add_co_ci_u32_e32 v21, vcc_lo, 0, v21, vcc_lo
	s_cselect_b32 s25, -1, 0
	s_and_b32 s23, s22, exec_lo
	s_and_not1_b32 s21, s21, exec_lo
	s_or_not1_b32 s25, s25, exec_lo
	s_branch .LBB1122_42
.LBB1122_47:
	s_set_inst_prefetch_distance 0x2
	s_or_b32 exec_lo, exec_lo, s19
	s_and_saveexec_b32 s0, s20
	s_delay_alu instid0(SALU_CYCLE_1)
	s_xor_b32 s0, exec_lo, s0
	s_cbranch_execz .LBB1122_51
; %bb.48:
	v_dual_mov_b32 v19, v11 :: v_dual_mov_b32 v18, v10
	s_and_saveexec_b32 s1, s17
; %bb.49:
	v_dual_mov_b32 v0, v10 :: v_dual_mov_b32 v1, v11
	v_dual_mov_b32 v2, v8 :: v_dual_mov_b32 v3, v9
	;; [unrolled: 1-line block ×4, first 2 shown]
; %bb.50:
	s_or_b32 exec_lo, exec_lo, s1
	s_delay_alu instid0(VALU_DEP_2)
	v_dual_mov_b32 v10, v18 :: v_dual_mov_b32 v11, v19
.LBB1122_51:
	s_or_b32 exec_lo, exec_lo, s0
.LBB1122_52:
	v_cmp_ne_u32_e32 vcc_lo, 1, v36
	s_cbranch_vccnz .LBB1122_62
; %bb.53:
	v_mul_lo_u32 v38, v17, s8
	v_mul_lo_u32 v39, v16, s9
	v_mad_u64_u32 v[18:19], null, v16, s8, 0
	v_mul_lo_u32 v40, v15, s8
	v_mul_lo_u32 v41, v14, s9
	v_mad_u64_u32 v[20:21], null, v14, s8, 0
	s_mov_b32 s19, 0
	s_mov_b64 s[0:1], s[8:9]
	s_delay_alu instid0(VALU_DEP_4) | instskip(NEXT) | instid1(VALU_DEP_2)
	v_add3_u32 v19, v19, v39, v38
                                        ; implicit-def: $sgpr17
                                        ; implicit-def: $sgpr20
                                        ; implicit-def: $sgpr21
                                        ; implicit-def: $sgpr22
                                        ; implicit-def: $sgpr23
	v_add3_u32 v21, v21, v41, v40
	s_delay_alu instid0(VALU_DEP_2) | instskip(NEXT) | instid1(VALU_DEP_2)
	v_lshlrev_b64 v[18:19], 1, v[18:19]
	v_lshlrev_b64 v[20:21], 1, v[20:21]
	s_delay_alu instid0(VALU_DEP_2) | instskip(NEXT) | instid1(VALU_DEP_3)
	v_add_co_u32 v18, vcc_lo, s10, v18
	v_add_co_ci_u32_e32 v19, vcc_lo, s11, v19, vcc_lo
	s_delay_alu instid0(VALU_DEP_3) | instskip(NEXT) | instid1(VALU_DEP_4)
	v_add_co_u32 v20, vcc_lo, s10, v20
	v_add_co_ci_u32_e32 v21, vcc_lo, s11, v21, vcc_lo
	s_set_inst_prefetch_distance 0x1
	s_branch .LBB1122_55
	.p2align	6
.LBB1122_54:                            ;   in Loop: Header=BB1122_55 Depth=1
	s_or_b32 exec_lo, exec_lo, s24
	s_delay_alu instid0(SALU_CYCLE_1) | instskip(NEXT) | instid1(SALU_CYCLE_1)
	s_and_b32 s24, exec_lo, s25
	s_or_b32 s19, s24, s19
	s_and_not1_b32 s20, s20, exec_lo
	s_and_b32 s24, s21, exec_lo
	s_and_not1_b32 s17, s17, exec_lo
	s_and_b32 s25, s22, exec_lo
	s_or_b32 s20, s20, s24
	s_or_b32 s17, s17, s25
	s_and_not1_b32 exec_lo, exec_lo, s19
	s_cbranch_execz .LBB1122_59
.LBB1122_55:                            ; =>This Inner Loop Header: Depth=1
	global_load_u16 v38, v[18:19], off
	global_load_u16 v39, v[20:21], off
	s_or_b32 s22, s22, exec_lo
	s_mov_b32 s26, 0
	s_mov_b32 s24, exec_lo
	s_waitcnt vmcnt(1)
	v_lshlrev_b32_e32 v38, 16, v38
	s_waitcnt vmcnt(0)
	v_lshlrev_b32_e32 v39, 16, v39
	s_delay_alu instid0(VALU_DEP_1)
	v_cmpx_nlt_f32_e32 v38, v39
; %bb.56:                               ;   in Loop: Header=BB1122_55 Depth=1
	v_cmp_ngt_f32_e32 vcc_lo, v38, v39
	s_and_not1_b32 s22, s22, exec_lo
	s_and_b32 s23, vcc_lo, s23
	s_and_b32 s26, vcc_lo, exec_lo
	s_and_b32 s23, s23, exec_lo
	s_delay_alu instid0(SALU_CYCLE_1)
	s_or_b32 s22, s22, s23
; %bb.57:                               ;   in Loop: Header=BB1122_55 Depth=1
	s_or_b32 exec_lo, exec_lo, s24
	s_mov_b32 s25, -1
	s_or_b32 s21, s21, exec_lo
                                        ; implicit-def: $sgpr23
	s_and_saveexec_b32 s24, s26
	s_cbranch_execz .LBB1122_54
; %bb.58:                               ;   in Loop: Header=BB1122_55 Depth=1
	v_add_co_u32 v18, vcc_lo, v18, 2
	s_add_u32 s0, s0, -1
	s_addc_u32 s1, s1, -1
	v_add_co_ci_u32_e32 v19, vcc_lo, 0, v19, vcc_lo
	v_add_co_u32 v20, vcc_lo, v20, 2
	s_cmp_eq_u64 s[0:1], 0
	v_add_co_ci_u32_e32 v21, vcc_lo, 0, v21, vcc_lo
	s_cselect_b32 s25, -1, 0
	s_and_b32 s23, s22, exec_lo
	s_and_not1_b32 s21, s21, exec_lo
	s_or_not1_b32 s25, s25, exec_lo
	s_branch .LBB1122_54
.LBB1122_59:
	s_set_inst_prefetch_distance 0x2
	s_or_b32 exec_lo, exec_lo, s19
	s_and_saveexec_b32 s0, s20
	s_delay_alu instid0(SALU_CYCLE_1)
	s_xor_b32 s0, exec_lo, s0
; %bb.60:
	v_cndmask_b32_e64 v7, v7, v15, s17
	v_cndmask_b32_e64 v6, v6, v14, s17
	;; [unrolled: 1-line block ×6, first 2 shown]
; %bb.61:
	s_or_b32 exec_lo, exec_lo, s0
.LBB1122_62:
	v_cmp_ne_u32_e32 vcc_lo, 1, v36
	s_cbranch_vccnz .LBB1122_72
; %bb.63:
	v_mul_lo_u32 v20, v15, s8
	v_mul_lo_u32 v21, v14, s9
	v_mad_u64_u32 v[16:17], null, v14, s8, 0
	v_mul_lo_u32 v38, v11, s8
	v_mul_lo_u32 v39, v10, s9
	v_mad_u64_u32 v[18:19], null, v10, s8, 0
	s_mov_b32 s19, 0
	s_mov_b64 s[0:1], s[8:9]
	s_delay_alu instid0(VALU_DEP_4) | instskip(NEXT) | instid1(VALU_DEP_2)
	v_add3_u32 v17, v17, v21, v20
                                        ; implicit-def: $sgpr17
                                        ; implicit-def: $sgpr20
                                        ; implicit-def: $sgpr21
                                        ; implicit-def: $sgpr22
                                        ; implicit-def: $sgpr23
	v_add3_u32 v19, v19, v39, v38
	s_delay_alu instid0(VALU_DEP_2) | instskip(NEXT) | instid1(VALU_DEP_2)
	v_lshlrev_b64 v[16:17], 1, v[16:17]
	v_lshlrev_b64 v[18:19], 1, v[18:19]
	s_delay_alu instid0(VALU_DEP_2) | instskip(NEXT) | instid1(VALU_DEP_3)
	v_add_co_u32 v16, vcc_lo, s10, v16
	v_add_co_ci_u32_e32 v17, vcc_lo, s11, v17, vcc_lo
	s_delay_alu instid0(VALU_DEP_3) | instskip(NEXT) | instid1(VALU_DEP_4)
	v_add_co_u32 v18, vcc_lo, s10, v18
	v_add_co_ci_u32_e32 v19, vcc_lo, s11, v19, vcc_lo
	s_set_inst_prefetch_distance 0x1
	s_branch .LBB1122_65
	.p2align	6
.LBB1122_64:                            ;   in Loop: Header=BB1122_65 Depth=1
	s_or_b32 exec_lo, exec_lo, s24
	s_delay_alu instid0(SALU_CYCLE_1) | instskip(NEXT) | instid1(SALU_CYCLE_1)
	s_and_b32 s24, exec_lo, s25
	s_or_b32 s19, s24, s19
	s_and_not1_b32 s20, s20, exec_lo
	s_and_b32 s24, s21, exec_lo
	s_and_not1_b32 s17, s17, exec_lo
	s_and_b32 s25, s22, exec_lo
	s_or_b32 s20, s20, s24
	s_or_b32 s17, s17, s25
	s_and_not1_b32 exec_lo, exec_lo, s19
	s_cbranch_execz .LBB1122_69
.LBB1122_65:                            ; =>This Inner Loop Header: Depth=1
	global_load_u16 v20, v[16:17], off
	global_load_u16 v21, v[18:19], off
	s_or_b32 s22, s22, exec_lo
	s_mov_b32 s26, 0
	s_mov_b32 s24, exec_lo
	s_waitcnt vmcnt(1)
	v_lshlrev_b32_e32 v20, 16, v20
	s_waitcnt vmcnt(0)
	v_lshlrev_b32_e32 v21, 16, v21
	s_delay_alu instid0(VALU_DEP_1)
	v_cmpx_nlt_f32_e32 v20, v21
; %bb.66:                               ;   in Loop: Header=BB1122_65 Depth=1
	v_cmp_ngt_f32_e32 vcc_lo, v20, v21
	s_and_not1_b32 s22, s22, exec_lo
	s_and_b32 s23, vcc_lo, s23
	s_and_b32 s26, vcc_lo, exec_lo
	s_and_b32 s23, s23, exec_lo
	s_delay_alu instid0(SALU_CYCLE_1)
	s_or_b32 s22, s22, s23
; %bb.67:                               ;   in Loop: Header=BB1122_65 Depth=1
	s_or_b32 exec_lo, exec_lo, s24
	s_mov_b32 s25, -1
	s_or_b32 s21, s21, exec_lo
                                        ; implicit-def: $sgpr23
	s_and_saveexec_b32 s24, s26
	s_cbranch_execz .LBB1122_64
; %bb.68:                               ;   in Loop: Header=BB1122_65 Depth=1
	v_add_co_u32 v16, vcc_lo, v16, 2
	s_add_u32 s0, s0, -1
	s_addc_u32 s1, s1, -1
	v_add_co_ci_u32_e32 v17, vcc_lo, 0, v17, vcc_lo
	v_add_co_u32 v18, vcc_lo, v18, 2
	s_cmp_eq_u64 s[0:1], 0
	v_add_co_ci_u32_e32 v19, vcc_lo, 0, v19, vcc_lo
	s_cselect_b32 s25, -1, 0
	s_and_b32 s23, s22, exec_lo
	s_and_not1_b32 s21, s21, exec_lo
	s_or_not1_b32 s25, s25, exec_lo
	s_branch .LBB1122_64
.LBB1122_69:
	s_set_inst_prefetch_distance 0x2
	s_or_b32 exec_lo, exec_lo, s19
	s_and_saveexec_b32 s0, s20
	s_delay_alu instid0(SALU_CYCLE_1)
	s_xor_b32 s0, exec_lo, s0
; %bb.70:
	v_cndmask_b32_e64 v5, v5, v11, s17
	v_cndmask_b32_e64 v4, v4, v10, s17
	v_cndmask_b32_e64 v3, v3, v15, s17
	v_cndmask_b32_e64 v2, v2, v14, s17
; %bb.71:
	s_or_b32 exec_lo, exec_lo, s0
.LBB1122_72:
	s_delay_alu instid0(SALU_CYCLE_1) | instskip(SKIP_4) | instid1(VALU_DEP_2)
	s_or_b32 exec_lo, exec_lo, s12
	v_mbcnt_lo_u32_b32 v11, -1, 0
	v_and_b32_e32 v10, 0xffffff80, v37
	s_mov_b32 s12, 0
	s_mov_b32 s17, exec_lo
	v_lshlrev_b32_e32 v16, 2, v11
	s_delay_alu instid0(VALU_DEP_2) | instskip(NEXT) | instid1(VALU_DEP_2)
	v_sub_nc_u32_e64 v15, 0x400, v10 clamp
	v_or_b32_e32 v14, 4, v16
	v_and_b32_e32 v17, 4, v16
	v_and_b32_e32 v37, 0x78, v16
	s_delay_alu instid0(VALU_DEP_3) | instskip(NEXT) | instid1(VALU_DEP_1)
	v_min_u32_e32 v18, v15, v14
	v_add_nc_u32_e32 v14, 4, v18
	s_delay_alu instid0(VALU_DEP_3) | instskip(NEXT) | instid1(VALU_DEP_2)
	v_sub_nc_u32_e32 v21, v18, v37
	v_min_u32_e32 v19, v15, v14
	v_lshlrev_b32_e32 v14, 3, v10
	v_mov_b32_e32 v10, v2
	v_min_u32_e32 v38, v15, v17
	s_delay_alu instid0(VALU_DEP_4) | instskip(NEXT) | instid1(VALU_DEP_4)
	v_sub_nc_u32_e32 v20, v19, v18
	v_lshl_or_b32 v17, v11, 5, v14
	v_mov_b32_e32 v11, v3
	s_delay_alu instid0(VALU_DEP_4)
	v_min_u32_e32 v39, v38, v21
	v_lshl_or_b32 v21, v37, 3, v14
	v_sub_nc_u32_e64 v20, v38, v20 clamp
	ds_store_b128 v17, v[8:11]
	ds_store_b128 v17, v[4:7] offset:16
	; wave barrier
	v_cmpx_lt_u32_e64 v20, v39
	s_cbranch_execz .LBB1122_85
; %bb.73:
	v_lshlrev_b32_e32 v8, 3, v18
	v_lshlrev_b32_e32 v9, 3, v38
	s_lshl_b64 s[0:1], s[8:9], 1
	s_delay_alu instid0(VALU_DEP_1)
	v_add3_u32 v40, v14, v8, v9
	s_branch .LBB1122_76
.LBB1122_74:                            ;   in Loop: Header=BB1122_76 Depth=1
	s_set_inst_prefetch_distance 0x2
	s_or_b32 exec_lo, exec_lo, s22
.LBB1122_75:                            ;   in Loop: Header=BB1122_76 Depth=1
	s_delay_alu instid0(VALU_DEP_1) | instskip(SKIP_1) | instid1(VALU_DEP_2)
	v_add_nc_u32_e32 v8, 1, v41
	v_cndmask_b32_e64 v39, v39, v41, s19
	v_cndmask_b32_e64 v20, v8, v20, s19
	s_delay_alu instid0(VALU_DEP_1) | instskip(SKIP_1) | instid1(SALU_CYCLE_1)
	v_cmp_ge_u32_e32 vcc_lo, v20, v39
	s_or_b32 s12, vcc_lo, s12
	s_and_not1_b32 exec_lo, exec_lo, s12
	s_cbranch_execz .LBB1122_84
.LBB1122_76:                            ; =>This Loop Header: Depth=1
                                        ;     Child Loop BB1122_79 Depth 2
	v_add_nc_u32_e32 v8, v39, v20
	v_cmp_ne_u32_e32 vcc_lo, 1, v36
	s_delay_alu instid0(VALU_DEP_2)
	v_lshrrev_b32_e32 v41, 1, v8
	s_cbranch_vccnz .LBB1122_83
; %bb.77:                               ;   in Loop: Header=BB1122_76 Depth=1
	s_delay_alu instid0(VALU_DEP_1) | instskip(SKIP_3) | instid1(VALU_DEP_2)
	v_not_b32_e32 v8, v41
	v_lshl_add_u32 v9, v41, 3, v21
	s_mov_b32 s22, 0
	s_mov_b64 s[20:21], s[8:9]
                                        ; implicit-def: $sgpr19
                                        ; implicit-def: $sgpr23
                                        ; implicit-def: $sgpr24
	v_lshl_add_u32 v8, v8, 3, v40
	ds_load_b64 v[10:11], v8
	ds_load_b64 v[42:43], v9
	s_waitcnt lgkmcnt(1)
	v_mul_lo_u32 v44, s0, v11
	v_mul_lo_u32 v45, s1, v10
	v_mad_u64_u32 v[8:9], null, s0, v10, s[10:11]
	s_waitcnt lgkmcnt(0)
	v_mul_lo_u32 v43, s0, v43
	v_mul_lo_u32 v46, s1, v42
	v_mad_u64_u32 v[10:11], null, s0, v42, s[10:11]
	s_delay_alu instid0(VALU_DEP_4) | instskip(NEXT) | instid1(VALU_DEP_2)
	v_add3_u32 v9, v45, v9, v44
	v_add3_u32 v11, v46, v11, v43
	s_set_inst_prefetch_distance 0x1
	s_branch .LBB1122_79
	.p2align	6
.LBB1122_78:                            ;   in Loop: Header=BB1122_79 Depth=2
	s_or_b32 exec_lo, exec_lo, s27
	s_delay_alu instid0(SALU_CYCLE_1) | instskip(NEXT) | instid1(SALU_CYCLE_1)
	s_and_b32 s25, exec_lo, s26
	s_or_b32 s22, s25, s22
	s_and_not1_b32 s19, s19, exec_lo
	s_and_b32 s25, s23, exec_lo
	s_delay_alu instid0(SALU_CYCLE_1)
	s_or_b32 s19, s19, s25
	s_and_not1_b32 exec_lo, exec_lo, s22
	s_cbranch_execz .LBB1122_74
.LBB1122_79:                            ;   Parent Loop BB1122_76 Depth=1
                                        ; =>  This Inner Loop Header: Depth=2
	global_load_u16 v42, v[8:9], off
	global_load_u16 v43, v[10:11], off
	s_mov_b32 s26, -1
	s_mov_b32 s28, 0
	s_mov_b32 s25, -1
	s_mov_b32 s27, exec_lo
	s_waitcnt vmcnt(1)
	v_lshlrev_b32_e32 v42, 16, v42
	s_waitcnt vmcnt(0)
	v_lshlrev_b32_e32 v43, 16, v43
	s_delay_alu instid0(VALU_DEP_1)
	v_cmpx_nlt_f32_e32 v42, v43
; %bb.80:                               ;   in Loop: Header=BB1122_79 Depth=2
	v_cmp_ngt_f32_e32 vcc_lo, v42, v43
	s_and_b32 s24, vcc_lo, s24
	s_and_b32 s28, vcc_lo, exec_lo
	s_or_not1_b32 s25, s24, exec_lo
; %bb.81:                               ;   in Loop: Header=BB1122_79 Depth=2
	s_or_b32 exec_lo, exec_lo, s27
	s_delay_alu instid0(SALU_CYCLE_1) | instskip(SKIP_1) | instid1(SALU_CYCLE_1)
	s_and_not1_b32 s23, s23, exec_lo
	s_and_b32 s24, s25, exec_lo
	s_or_b32 s23, s23, s24
                                        ; implicit-def: $sgpr24
	s_and_saveexec_b32 s27, s28
	s_cbranch_execz .LBB1122_78
; %bb.82:                               ;   in Loop: Header=BB1122_79 Depth=2
	s_add_u32 s20, s20, -1
	s_addc_u32 s21, s21, -1
	v_add_co_u32 v8, vcc_lo, v8, 2
	s_cmp_eq_u64 s[20:21], 0
	v_add_co_ci_u32_e32 v9, vcc_lo, 0, v9, vcc_lo
	v_add_co_u32 v10, vcc_lo, v10, 2
	s_cselect_b32 s26, -1, 0
	v_add_co_ci_u32_e32 v11, vcc_lo, 0, v11, vcc_lo
	s_and_not1_b32 s23, s23, exec_lo
	s_and_b32 s24, s25, exec_lo
	s_or_not1_b32 s26, s26, exec_lo
	s_branch .LBB1122_78
.LBB1122_83:                            ;   in Loop: Header=BB1122_76 Depth=1
	s_mov_b32 s19, 0
	s_branch .LBB1122_75
.LBB1122_84:
	s_or_b32 exec_lo, exec_lo, s12
.LBB1122_85:
	s_delay_alu instid0(SALU_CYCLE_1) | instskip(SKIP_3) | instid1(VALU_DEP_3)
	s_or_b32 exec_lo, exec_lo, s17
	v_add_nc_u32_e32 v9, v18, v38
	v_add_nc_u32_e32 v8, v20, v37
	v_cmp_lt_i64_e64 s12, s[8:9], 1
	v_sub_nc_u32_e32 v9, v9, v20
	s_delay_alu instid0(VALU_DEP_3) | instskip(NEXT) | instid1(VALU_DEP_2)
	v_cmp_le_u32_e32 vcc_lo, v8, v18
	v_cmp_le_u32_e64 s0, v9, v19
	s_delay_alu instid0(VALU_DEP_1) | instskip(NEXT) | instid1(SALU_CYCLE_1)
	s_or_b32 s0, vcc_lo, s0
	s_and_saveexec_b32 s17, s0
	s_cbranch_execz .LBB1122_129
; %bb.86:
	v_cmp_ge_u32_e32 vcc_lo, v8, v18
	s_mov_b32 s1, exec_lo
                                        ; implicit-def: $vgpr0_vgpr1
	v_cmpx_lt_u32_e64 v8, v18
	s_cbranch_execz .LBB1122_88
; %bb.87:
	v_lshl_add_u32 v0, v20, 3, v21
	ds_load_b64 v[0:1], v0
.LBB1122_88:
	s_or_b32 exec_lo, exec_lo, s1
	v_cmp_ge_u32_e64 s0, v9, v19
	s_mov_b32 s19, exec_lo
                                        ; implicit-def: $vgpr2_vgpr3
	v_cmpx_lt_u32_e64 v9, v19
	s_cbranch_execz .LBB1122_90
; %bb.89:
	v_lshl_add_u32 v2, v9, 3, v14
	ds_load_b64 v[2:3], v2
.LBB1122_90:
	s_or_b32 exec_lo, exec_lo, s19
	s_or_b32 s1, vcc_lo, s0
	s_xor_b32 s19, vcc_lo, -1
	s_or_b32 s1, s1, s12
	s_or_b32 s19, s0, s19
	s_xor_b32 s1, s1, -1
	s_delay_alu instid0(SALU_CYCLE_1)
	s_and_saveexec_b32 s20, s1
	s_cbranch_execz .LBB1122_98
; %bb.91:
	s_waitcnt lgkmcnt(0)
	v_mul_lo_u32 v10, v3, s8
	v_mul_lo_u32 v11, v2, s9
	v_mad_u64_u32 v[4:5], null, v2, s8, 0
	v_mul_lo_u32 v20, v1, s8
	v_mul_lo_u32 v21, v0, s9
	v_mad_u64_u32 v[6:7], null, v0, s8, 0
	s_mov_b32 s21, 0
	s_mov_b64 s[0:1], s[8:9]
	s_delay_alu instid0(VALU_DEP_4) | instskip(NEXT) | instid1(VALU_DEP_2)
	v_add3_u32 v5, v5, v11, v10
                                        ; implicit-def: $sgpr22
                                        ; implicit-def: $sgpr23
                                        ; implicit-def: $sgpr24
	v_add3_u32 v7, v7, v21, v20
	s_delay_alu instid0(VALU_DEP_2) | instskip(NEXT) | instid1(VALU_DEP_2)
	v_lshlrev_b64 v[4:5], 1, v[4:5]
	v_lshlrev_b64 v[6:7], 1, v[6:7]
	s_delay_alu instid0(VALU_DEP_2) | instskip(NEXT) | instid1(VALU_DEP_3)
	v_add_co_u32 v4, vcc_lo, s10, v4
	v_add_co_ci_u32_e32 v5, vcc_lo, s11, v5, vcc_lo
	s_delay_alu instid0(VALU_DEP_3) | instskip(NEXT) | instid1(VALU_DEP_4)
	v_add_co_u32 v6, vcc_lo, s10, v6
	v_add_co_ci_u32_e32 v7, vcc_lo, s11, v7, vcc_lo
	s_set_inst_prefetch_distance 0x1
	s_branch .LBB1122_93
	.p2align	6
.LBB1122_92:                            ;   in Loop: Header=BB1122_93 Depth=1
	s_or_b32 exec_lo, exec_lo, s27
	s_delay_alu instid0(SALU_CYCLE_1) | instskip(NEXT) | instid1(SALU_CYCLE_1)
	s_and_b32 s25, exec_lo, s25
	s_or_b32 s21, s25, s21
	s_and_not1_b32 s22, s22, exec_lo
	s_and_b32 s25, s23, exec_lo
	s_delay_alu instid0(SALU_CYCLE_1)
	s_or_b32 s22, s22, s25
	s_and_not1_b32 exec_lo, exec_lo, s21
	s_cbranch_execz .LBB1122_97
.LBB1122_93:                            ; =>This Inner Loop Header: Depth=1
	global_load_u16 v10, v[4:5], off
	global_load_u16 v11, v[6:7], off
	s_mov_b32 s25, -1
	s_mov_b32 s28, 0
	s_mov_b32 s26, -1
	s_mov_b32 s27, exec_lo
	s_waitcnt vmcnt(1)
	v_lshlrev_b32_e32 v10, 16, v10
	s_waitcnt vmcnt(0)
	v_lshlrev_b32_e32 v11, 16, v11
	s_delay_alu instid0(VALU_DEP_1)
	v_cmpx_nlt_f32_e32 v10, v11
; %bb.94:                               ;   in Loop: Header=BB1122_93 Depth=1
	v_cmp_ngt_f32_e32 vcc_lo, v10, v11
	s_and_b32 s24, vcc_lo, s24
	s_and_b32 s28, vcc_lo, exec_lo
	s_or_not1_b32 s26, s24, exec_lo
; %bb.95:                               ;   in Loop: Header=BB1122_93 Depth=1
	s_or_b32 exec_lo, exec_lo, s27
	s_delay_alu instid0(SALU_CYCLE_1) | instskip(SKIP_1) | instid1(SALU_CYCLE_1)
	s_and_not1_b32 s23, s23, exec_lo
	s_and_b32 s24, s26, exec_lo
	s_or_b32 s23, s23, s24
                                        ; implicit-def: $sgpr24
	s_and_saveexec_b32 s27, s28
	s_cbranch_execz .LBB1122_92
; %bb.96:                               ;   in Loop: Header=BB1122_93 Depth=1
	v_add_co_u32 v4, vcc_lo, v4, 2
	s_add_u32 s0, s0, -1
	s_addc_u32 s1, s1, -1
	v_add_co_ci_u32_e32 v5, vcc_lo, 0, v5, vcc_lo
	v_add_co_u32 v6, vcc_lo, v6, 2
	s_cmp_eq_u64 s[0:1], 0
	v_add_co_ci_u32_e32 v7, vcc_lo, 0, v7, vcc_lo
	s_cselect_b32 s25, -1, 0
	s_and_b32 s24, s26, exec_lo
	s_and_not1_b32 s23, s23, exec_lo
	s_or_not1_b32 s25, s25, exec_lo
	s_branch .LBB1122_92
.LBB1122_97:
	s_set_inst_prefetch_distance 0x2
	s_or_b32 exec_lo, exec_lo, s21
	s_xor_b32 s0, s22, -1
	s_and_not1_b32 s1, s19, exec_lo
	s_and_b32 s0, s0, exec_lo
	s_delay_alu instid0(SALU_CYCLE_1)
	s_or_b32 s19, s1, s0
.LBB1122_98:
	s_or_b32 exec_lo, exec_lo, s20
	v_cndmask_b32_e64 v4, v9, v8, s19
	v_cndmask_b32_e64 v5, v19, v18, s19
	s_mov_b32 s20, -1
	s_mov_b32 s21, -1
	s_mov_b32 s22, exec_lo
	v_add_nc_u32_e32 v6, 1, v4
	v_add_nc_u32_e32 v4, -1, v5
	s_delay_alu instid0(VALU_DEP_2) | instskip(NEXT) | instid1(VALU_DEP_2)
	v_cndmask_b32_e64 v9, v6, v9, s19
	v_min_u32_e32 v4, v6, v4
	v_cndmask_b32_e64 v8, v8, v6, s19
	s_delay_alu instid0(VALU_DEP_2)
	v_lshl_add_u32 v4, v4, 3, v14
	ds_load_b64 v[4:5], v4
	s_waitcnt lgkmcnt(0)
	v_cndmask_b32_e64 v10, v5, v3, s19
	v_cndmask_b32_e64 v11, v4, v2, s19
	;; [unrolled: 1-line block ×4, first 2 shown]
	v_cmpx_lt_u32_e64 v9, v19
	s_cbranch_execz .LBB1122_108
; %bb.99:
	v_cmp_lt_u32_e64 s21, v8, v18
	s_xor_b32 s0, s12, -1
	s_delay_alu instid0(VALU_DEP_1) | instid1(SALU_CYCLE_1)
	s_and_b32 s0, s21, s0
	s_delay_alu instid0(SALU_CYCLE_1)
	s_and_saveexec_b32 s23, s0
	s_cbranch_execz .LBB1122_107
; %bb.100:
	v_mul_lo_u32 v37, v10, s8
	v_mul_lo_u32 v38, v11, s9
	v_mad_u64_u32 v[4:5], null, v11, s8, 0
	v_mul_lo_u32 v39, v20, s8
	v_mul_lo_u32 v40, v21, s9
	v_mad_u64_u32 v[6:7], null, v21, s8, 0
	s_mov_b32 s24, 0
	s_mov_b64 s[0:1], s[8:9]
	s_delay_alu instid0(VALU_DEP_4) | instskip(NEXT) | instid1(VALU_DEP_2)
	v_add3_u32 v5, v5, v38, v37
                                        ; implicit-def: $sgpr25
                                        ; implicit-def: $sgpr26
                                        ; implicit-def: $sgpr27
	v_add3_u32 v7, v7, v40, v39
	s_delay_alu instid0(VALU_DEP_2) | instskip(NEXT) | instid1(VALU_DEP_2)
	v_lshlrev_b64 v[4:5], 1, v[4:5]
	v_lshlrev_b64 v[6:7], 1, v[6:7]
	s_delay_alu instid0(VALU_DEP_2) | instskip(NEXT) | instid1(VALU_DEP_3)
	v_add_co_u32 v4, vcc_lo, s10, v4
	v_add_co_ci_u32_e32 v5, vcc_lo, s11, v5, vcc_lo
	s_delay_alu instid0(VALU_DEP_3) | instskip(NEXT) | instid1(VALU_DEP_4)
	v_add_co_u32 v6, vcc_lo, s10, v6
	v_add_co_ci_u32_e32 v7, vcc_lo, s11, v7, vcc_lo
	s_set_inst_prefetch_distance 0x1
	s_branch .LBB1122_102
	.p2align	6
.LBB1122_101:                           ;   in Loop: Header=BB1122_102 Depth=1
	s_or_b32 exec_lo, exec_lo, s30
	s_delay_alu instid0(SALU_CYCLE_1) | instskip(NEXT) | instid1(SALU_CYCLE_1)
	s_and_b32 s28, exec_lo, s28
	s_or_b32 s24, s28, s24
	s_and_not1_b32 s25, s25, exec_lo
	s_and_b32 s28, s26, exec_lo
	s_delay_alu instid0(SALU_CYCLE_1)
	s_or_b32 s25, s25, s28
	s_and_not1_b32 exec_lo, exec_lo, s24
	s_cbranch_execz .LBB1122_106
.LBB1122_102:                           ; =>This Inner Loop Header: Depth=1
	global_load_u16 v37, v[4:5], off
	global_load_u16 v38, v[6:7], off
	s_mov_b32 s28, -1
	s_mov_b32 s31, 0
	s_mov_b32 s29, -1
	s_mov_b32 s30, exec_lo
	s_waitcnt vmcnt(1)
	v_lshlrev_b32_e32 v37, 16, v37
	s_waitcnt vmcnt(0)
	v_lshlrev_b32_e32 v38, 16, v38
	s_delay_alu instid0(VALU_DEP_1)
	v_cmpx_nlt_f32_e32 v37, v38
; %bb.103:                              ;   in Loop: Header=BB1122_102 Depth=1
	v_cmp_ngt_f32_e32 vcc_lo, v37, v38
	s_and_b32 s27, vcc_lo, s27
	s_and_b32 s31, vcc_lo, exec_lo
	s_or_not1_b32 s29, s27, exec_lo
; %bb.104:                              ;   in Loop: Header=BB1122_102 Depth=1
	s_or_b32 exec_lo, exec_lo, s30
	s_delay_alu instid0(SALU_CYCLE_1) | instskip(SKIP_1) | instid1(SALU_CYCLE_1)
	s_and_not1_b32 s26, s26, exec_lo
	s_and_b32 s27, s29, exec_lo
	s_or_b32 s26, s26, s27
                                        ; implicit-def: $sgpr27
	s_and_saveexec_b32 s30, s31
	s_cbranch_execz .LBB1122_101
; %bb.105:                              ;   in Loop: Header=BB1122_102 Depth=1
	v_add_co_u32 v4, vcc_lo, v4, 2
	s_add_u32 s0, s0, -1
	s_addc_u32 s1, s1, -1
	v_add_co_ci_u32_e32 v5, vcc_lo, 0, v5, vcc_lo
	v_add_co_u32 v6, vcc_lo, v6, 2
	s_cmp_eq_u64 s[0:1], 0
	v_add_co_ci_u32_e32 v7, vcc_lo, 0, v7, vcc_lo
	s_cselect_b32 s28, -1, 0
	s_and_b32 s27, s29, exec_lo
	s_and_not1_b32 s26, s26, exec_lo
	s_or_not1_b32 s28, s28, exec_lo
	s_branch .LBB1122_101
.LBB1122_106:
	s_set_inst_prefetch_distance 0x2
	s_or_b32 exec_lo, exec_lo, s24
	s_xor_b32 s0, s25, -1
	s_and_not1_b32 s1, s21, exec_lo
	s_and_b32 s0, s0, exec_lo
	s_delay_alu instid0(SALU_CYCLE_1)
	s_or_b32 s21, s1, s0
.LBB1122_107:
	s_or_b32 exec_lo, exec_lo, s23
	s_delay_alu instid0(SALU_CYCLE_1)
	s_or_not1_b32 s21, s21, exec_lo
.LBB1122_108:
	s_or_b32 exec_lo, exec_lo, s22
	v_cndmask_b32_e64 v4, v9, v8, s21
	v_cndmask_b32_e64 v5, v19, v18, s21
	s_mov_b32 s22, exec_lo
	s_delay_alu instid0(VALU_DEP_2) | instskip(NEXT) | instid1(VALU_DEP_2)
	v_add_nc_u32_e32 v6, 1, v4
	v_add_nc_u32_e32 v4, -1, v5
	s_delay_alu instid0(VALU_DEP_2) | instskip(NEXT) | instid1(VALU_DEP_2)
	v_cndmask_b32_e64 v9, v6, v9, s21
	v_min_u32_e32 v4, v6, v4
	v_cndmask_b32_e64 v8, v8, v6, s21
	s_delay_alu instid0(VALU_DEP_2)
	v_lshl_add_u32 v4, v4, 3, v14
	ds_load_b64 v[4:5], v4
	s_waitcnt lgkmcnt(0)
	v_cndmask_b32_e64 v37, v5, v10, s21
	v_cndmask_b32_e64 v38, v4, v11, s21
	v_cndmask_b32_e64 v39, v20, v5, s21
	v_cndmask_b32_e64 v40, v21, v4, s21
	v_cmpx_lt_u32_e64 v9, v19
	s_cbranch_execz .LBB1122_118
; %bb.109:
	v_cmp_lt_u32_e64 s20, v8, v18
	s_xor_b32 s0, s12, -1
	s_delay_alu instid0(VALU_DEP_1) | instid1(SALU_CYCLE_1)
	s_and_b32 s0, s20, s0
	s_delay_alu instid0(SALU_CYCLE_1)
	s_and_saveexec_b32 s23, s0
	s_cbranch_execz .LBB1122_117
; %bb.110:
	v_mul_lo_u32 v41, v37, s8
	v_mul_lo_u32 v42, v38, s9
	v_mad_u64_u32 v[4:5], null, v38, s8, 0
	v_mul_lo_u32 v43, v39, s8
	v_mul_lo_u32 v44, v40, s9
	v_mad_u64_u32 v[6:7], null, v40, s8, 0
	s_mov_b32 s24, 0
	s_mov_b64 s[0:1], s[8:9]
	s_delay_alu instid0(VALU_DEP_4) | instskip(NEXT) | instid1(VALU_DEP_2)
	v_add3_u32 v5, v5, v42, v41
                                        ; implicit-def: $sgpr25
                                        ; implicit-def: $sgpr26
                                        ; implicit-def: $sgpr27
	v_add3_u32 v7, v7, v44, v43
	s_delay_alu instid0(VALU_DEP_2) | instskip(NEXT) | instid1(VALU_DEP_2)
	v_lshlrev_b64 v[4:5], 1, v[4:5]
	v_lshlrev_b64 v[6:7], 1, v[6:7]
	s_delay_alu instid0(VALU_DEP_2) | instskip(NEXT) | instid1(VALU_DEP_3)
	v_add_co_u32 v4, vcc_lo, s10, v4
	v_add_co_ci_u32_e32 v5, vcc_lo, s11, v5, vcc_lo
	s_delay_alu instid0(VALU_DEP_3) | instskip(NEXT) | instid1(VALU_DEP_4)
	v_add_co_u32 v6, vcc_lo, s10, v6
	v_add_co_ci_u32_e32 v7, vcc_lo, s11, v7, vcc_lo
	s_set_inst_prefetch_distance 0x1
	s_branch .LBB1122_112
	.p2align	6
.LBB1122_111:                           ;   in Loop: Header=BB1122_112 Depth=1
	s_or_b32 exec_lo, exec_lo, s30
	s_delay_alu instid0(SALU_CYCLE_1) | instskip(NEXT) | instid1(SALU_CYCLE_1)
	s_and_b32 s28, exec_lo, s28
	s_or_b32 s24, s28, s24
	s_and_not1_b32 s25, s25, exec_lo
	s_and_b32 s28, s26, exec_lo
	s_delay_alu instid0(SALU_CYCLE_1)
	s_or_b32 s25, s25, s28
	s_and_not1_b32 exec_lo, exec_lo, s24
	s_cbranch_execz .LBB1122_116
.LBB1122_112:                           ; =>This Inner Loop Header: Depth=1
	global_load_u16 v41, v[4:5], off
	global_load_u16 v42, v[6:7], off
	s_mov_b32 s28, -1
	s_mov_b32 s31, 0
	s_mov_b32 s29, -1
	s_mov_b32 s30, exec_lo
	s_waitcnt vmcnt(1)
	v_lshlrev_b32_e32 v41, 16, v41
	s_waitcnt vmcnt(0)
	v_lshlrev_b32_e32 v42, 16, v42
	s_delay_alu instid0(VALU_DEP_1)
	v_cmpx_nlt_f32_e32 v41, v42
; %bb.113:                              ;   in Loop: Header=BB1122_112 Depth=1
	v_cmp_ngt_f32_e32 vcc_lo, v41, v42
	s_and_b32 s27, vcc_lo, s27
	s_and_b32 s31, vcc_lo, exec_lo
	s_or_not1_b32 s29, s27, exec_lo
; %bb.114:                              ;   in Loop: Header=BB1122_112 Depth=1
	s_or_b32 exec_lo, exec_lo, s30
	s_delay_alu instid0(SALU_CYCLE_1) | instskip(SKIP_1) | instid1(SALU_CYCLE_1)
	s_and_not1_b32 s26, s26, exec_lo
	s_and_b32 s27, s29, exec_lo
	s_or_b32 s26, s26, s27
                                        ; implicit-def: $sgpr27
	s_and_saveexec_b32 s30, s31
	s_cbranch_execz .LBB1122_111
; %bb.115:                              ;   in Loop: Header=BB1122_112 Depth=1
	v_add_co_u32 v4, vcc_lo, v4, 2
	s_add_u32 s0, s0, -1
	s_addc_u32 s1, s1, -1
	v_add_co_ci_u32_e32 v5, vcc_lo, 0, v5, vcc_lo
	v_add_co_u32 v6, vcc_lo, v6, 2
	s_cmp_eq_u64 s[0:1], 0
	v_add_co_ci_u32_e32 v7, vcc_lo, 0, v7, vcc_lo
	s_cselect_b32 s28, -1, 0
	s_and_b32 s27, s29, exec_lo
	s_and_not1_b32 s26, s26, exec_lo
	s_or_not1_b32 s28, s28, exec_lo
	s_branch .LBB1122_111
.LBB1122_116:
	s_set_inst_prefetch_distance 0x2
	s_or_b32 exec_lo, exec_lo, s24
	s_xor_b32 s0, s25, -1
	s_and_not1_b32 s1, s20, exec_lo
	s_and_b32 s0, s0, exec_lo
	s_delay_alu instid0(SALU_CYCLE_1)
	s_or_b32 s20, s1, s0
.LBB1122_117:
	s_or_b32 exec_lo, exec_lo, s23
	s_delay_alu instid0(SALU_CYCLE_1)
	s_or_not1_b32 s20, s20, exec_lo
.LBB1122_118:
	s_or_b32 exec_lo, exec_lo, s22
	v_cndmask_b32_e64 v4, v9, v8, s20
	v_cndmask_b32_e64 v5, v19, v18, s20
	s_mov_b32 s22, exec_lo
	s_delay_alu instid0(VALU_DEP_2) | instskip(NEXT) | instid1(VALU_DEP_2)
	v_add_nc_u32_e32 v41, 1, v4
	v_add_nc_u32_e32 v4, -1, v5
	s_delay_alu instid0(VALU_DEP_2) | instskip(NEXT) | instid1(VALU_DEP_2)
	v_cndmask_b32_e64 v9, v41, v9, s20
	v_min_u32_e32 v4, v41, v4
	s_delay_alu instid0(VALU_DEP_1)
	v_lshl_add_u32 v4, v4, 3, v14
	ds_load_b64 v[4:5], v4
	s_waitcnt lgkmcnt(0)
	v_cndmask_b32_e64 v7, v39, v5, s20
	v_cndmask_b32_e64 v6, v40, v4, s20
	v_cmpx_lt_u32_e64 v9, v19
	s_cbranch_execz .LBB1122_128
; %bb.119:
	v_cndmask_b32_e64 v8, v8, v41, s20
	v_cndmask_b32_e64 v19, v5, v37, s20
	;; [unrolled: 1-line block ×3, first 2 shown]
	s_delay_alu instid0(VALU_DEP_3) | instskip(NEXT) | instid1(VALU_DEP_2)
	v_cmp_ge_u32_e32 vcc_lo, v8, v18
	v_dual_cndmask_b32 v5, v7, v19 :: v_dual_cndmask_b32 v4, v6, v41
	s_or_b32 s0, vcc_lo, s12
	s_delay_alu instid0(SALU_CYCLE_1) | instskip(NEXT) | instid1(SALU_CYCLE_1)
	s_xor_b32 s0, s0, -1
	s_and_saveexec_b32 s23, s0
	s_cbranch_execz .LBB1122_127
; %bb.120:
	v_mul_lo_u32 v18, v19, s8
	v_mul_lo_u32 v42, v41, s9
	v_mad_u64_u32 v[4:5], null, v41, s8, 0
	v_mul_lo_u32 v43, v7, s8
	v_mul_lo_u32 v44, v6, s9
	v_mad_u64_u32 v[8:9], null, v6, s8, 0
	s_mov_b32 s24, 0
	s_mov_b64 s[0:1], s[8:9]
	s_delay_alu instid0(VALU_DEP_4) | instskip(NEXT) | instid1(VALU_DEP_2)
	v_add3_u32 v5, v5, v42, v18
                                        ; implicit-def: $sgpr25
                                        ; implicit-def: $sgpr26
                                        ; implicit-def: $sgpr27
	v_add3_u32 v9, v9, v44, v43
	s_delay_alu instid0(VALU_DEP_2) | instskip(NEXT) | instid1(VALU_DEP_2)
	v_lshlrev_b64 v[4:5], 1, v[4:5]
	v_lshlrev_b64 v[8:9], 1, v[8:9]
	s_delay_alu instid0(VALU_DEP_2) | instskip(NEXT) | instid1(VALU_DEP_3)
	v_add_co_u32 v4, vcc_lo, s10, v4
	v_add_co_ci_u32_e32 v5, vcc_lo, s11, v5, vcc_lo
	s_delay_alu instid0(VALU_DEP_3) | instskip(NEXT) | instid1(VALU_DEP_4)
	v_add_co_u32 v8, vcc_lo, s10, v8
	v_add_co_ci_u32_e32 v9, vcc_lo, s11, v9, vcc_lo
	s_set_inst_prefetch_distance 0x1
	s_branch .LBB1122_122
	.p2align	6
.LBB1122_121:                           ;   in Loop: Header=BB1122_122 Depth=1
	s_or_b32 exec_lo, exec_lo, s30
	s_delay_alu instid0(SALU_CYCLE_1) | instskip(NEXT) | instid1(SALU_CYCLE_1)
	s_and_b32 s28, exec_lo, s28
	s_or_b32 s24, s28, s24
	s_and_not1_b32 s25, s25, exec_lo
	s_and_b32 s28, s26, exec_lo
	s_delay_alu instid0(SALU_CYCLE_1)
	s_or_b32 s25, s25, s28
	s_and_not1_b32 exec_lo, exec_lo, s24
	s_cbranch_execz .LBB1122_126
.LBB1122_122:                           ; =>This Inner Loop Header: Depth=1
	global_load_u16 v18, v[4:5], off
	global_load_u16 v42, v[8:9], off
	s_mov_b32 s28, -1
	s_mov_b32 s31, 0
	s_mov_b32 s29, -1
	s_mov_b32 s30, exec_lo
	s_waitcnt vmcnt(1)
	v_lshlrev_b32_e32 v18, 16, v18
	s_waitcnt vmcnt(0)
	v_lshlrev_b32_e32 v42, 16, v42
	s_delay_alu instid0(VALU_DEP_1)
	v_cmpx_nlt_f32_e32 v18, v42
; %bb.123:                              ;   in Loop: Header=BB1122_122 Depth=1
	v_cmp_ngt_f32_e32 vcc_lo, v18, v42
	s_and_b32 s27, vcc_lo, s27
	s_and_b32 s31, vcc_lo, exec_lo
	s_or_not1_b32 s29, s27, exec_lo
; %bb.124:                              ;   in Loop: Header=BB1122_122 Depth=1
	s_or_b32 exec_lo, exec_lo, s30
	s_delay_alu instid0(SALU_CYCLE_1) | instskip(SKIP_1) | instid1(SALU_CYCLE_1)
	s_and_not1_b32 s26, s26, exec_lo
	s_and_b32 s27, s29, exec_lo
	s_or_b32 s26, s26, s27
                                        ; implicit-def: $sgpr27
	s_and_saveexec_b32 s30, s31
	s_cbranch_execz .LBB1122_121
; %bb.125:                              ;   in Loop: Header=BB1122_122 Depth=1
	v_add_co_u32 v4, vcc_lo, v4, 2
	s_add_u32 s0, s0, -1
	s_addc_u32 s1, s1, -1
	v_add_co_ci_u32_e32 v5, vcc_lo, 0, v5, vcc_lo
	v_add_co_u32 v8, vcc_lo, v8, 2
	s_cmp_eq_u64 s[0:1], 0
	v_add_co_ci_u32_e32 v9, vcc_lo, 0, v9, vcc_lo
	s_cselect_b32 s28, -1, 0
	s_and_b32 s27, s29, exec_lo
	s_and_not1_b32 s26, s26, exec_lo
	s_or_not1_b32 s28, s28, exec_lo
	s_branch .LBB1122_121
.LBB1122_126:
	s_set_inst_prefetch_distance 0x2
	s_or_b32 exec_lo, exec_lo, s24
	v_cndmask_b32_e64 v5, v7, v19, s25
	v_cndmask_b32_e64 v4, v6, v41, s25
.LBB1122_127:
	s_or_b32 exec_lo, exec_lo, s23
	s_delay_alu instid0(VALU_DEP_1)
	v_dual_mov_b32 v7, v5 :: v_dual_mov_b32 v6, v4
.LBB1122_128:
	s_or_b32 exec_lo, exec_lo, s22
	v_cndmask_b32_e64 v1, v3, v1, s19
	v_cndmask_b32_e64 v0, v2, v0, s19
	;; [unrolled: 1-line block ×6, first 2 shown]
.LBB1122_129:
	s_or_b32 exec_lo, exec_lo, s17
	v_and_b32_e32 v37, 0x70, v16
	v_and_b32_e32 v9, 12, v16
	s_mov_b32 s17, exec_lo
	; wave barrier
	s_delay_alu instid0(VALU_DEP_2) | instskip(NEXT) | instid1(VALU_DEP_2)
	v_or_b32_e32 v8, 8, v37
	v_min_u32_e32 v38, v15, v9
	v_lshl_add_u32 v21, v37, 3, v14
	ds_store_b128 v17, v[0:3]
	ds_store_b128 v17, v[4:7] offset:16
	v_min_u32_e32 v18, v15, v8
	; wave barrier
	s_delay_alu instid0(VALU_DEP_1) | instskip(SKIP_1) | instid1(VALU_DEP_2)
	v_add_nc_u32_e32 v8, 8, v18
	v_sub_nc_u32_e32 v9, v18, v37
	v_min_u32_e32 v19, v15, v8
	s_delay_alu instid0(VALU_DEP_2) | instskip(NEXT) | instid1(VALU_DEP_2)
	v_min_u32_e32 v39, v38, v9
	v_sub_nc_u32_e32 v8, v19, v18
	s_delay_alu instid0(VALU_DEP_1) | instskip(NEXT) | instid1(VALU_DEP_1)
	v_sub_nc_u32_e64 v20, v38, v8 clamp
	v_cmpx_lt_u32_e64 v20, v39
	s_cbranch_execz .LBB1122_141
; %bb.130:
	v_lshlrev_b32_e32 v8, 3, v18
	v_lshlrev_b32_e32 v9, 3, v38
	s_lshl_b64 s[0:1], s[8:9], 1
	s_mov_b32 s19, 0
	s_delay_alu instid0(VALU_DEP_1)
	v_add3_u32 v40, v14, v8, v9
	s_branch .LBB1122_133
.LBB1122_131:                           ;   in Loop: Header=BB1122_133 Depth=1
	s_set_inst_prefetch_distance 0x2
	s_or_b32 exec_lo, exec_lo, s23
.LBB1122_132:                           ;   in Loop: Header=BB1122_133 Depth=1
	s_delay_alu instid0(VALU_DEP_1) | instskip(SKIP_1) | instid1(VALU_DEP_2)
	v_add_nc_u32_e32 v8, 1, v41
	v_cndmask_b32_e64 v39, v39, v41, s22
	v_cndmask_b32_e64 v20, v8, v20, s22
	s_delay_alu instid0(VALU_DEP_1) | instskip(SKIP_1) | instid1(SALU_CYCLE_1)
	v_cmp_ge_u32_e32 vcc_lo, v20, v39
	s_or_b32 s19, vcc_lo, s19
	s_and_not1_b32 exec_lo, exec_lo, s19
	s_cbranch_execz .LBB1122_140
.LBB1122_133:                           ; =>This Loop Header: Depth=1
                                        ;     Child Loop BB1122_136 Depth 2
	v_add_nc_u32_e32 v8, v39, v20
	v_cmp_ne_u32_e32 vcc_lo, 1, v36
	s_mov_b32 s22, 0
	s_delay_alu instid0(VALU_DEP_2)
	v_lshrrev_b32_e32 v41, 1, v8
	s_cbranch_vccnz .LBB1122_132
; %bb.134:                              ;   in Loop: Header=BB1122_133 Depth=1
	s_delay_alu instid0(VALU_DEP_1) | instskip(SKIP_3) | instid1(VALU_DEP_2)
	v_not_b32_e32 v8, v41
	v_lshl_add_u32 v9, v41, 3, v21
	s_mov_b32 s23, 0
	s_mov_b64 s[20:21], s[8:9]
                                        ; implicit-def: $sgpr22
                                        ; implicit-def: $sgpr24
                                        ; implicit-def: $sgpr25
	v_lshl_add_u32 v8, v8, 3, v40
	ds_load_b64 v[10:11], v8
	ds_load_b64 v[42:43], v9
	s_waitcnt lgkmcnt(1)
	v_mul_lo_u32 v44, s0, v11
	v_mul_lo_u32 v45, s1, v10
	v_mad_u64_u32 v[8:9], null, s0, v10, s[10:11]
	s_waitcnt lgkmcnt(0)
	v_mul_lo_u32 v43, s0, v43
	v_mul_lo_u32 v46, s1, v42
	v_mad_u64_u32 v[10:11], null, s0, v42, s[10:11]
	s_delay_alu instid0(VALU_DEP_4) | instskip(NEXT) | instid1(VALU_DEP_2)
	v_add3_u32 v9, v45, v9, v44
	v_add3_u32 v11, v46, v11, v43
	s_set_inst_prefetch_distance 0x1
	s_branch .LBB1122_136
	.p2align	6
.LBB1122_135:                           ;   in Loop: Header=BB1122_136 Depth=2
	s_or_b32 exec_lo, exec_lo, s28
	s_delay_alu instid0(SALU_CYCLE_1) | instskip(NEXT) | instid1(SALU_CYCLE_1)
	s_and_b32 s26, exec_lo, s27
	s_or_b32 s23, s26, s23
	s_and_not1_b32 s22, s22, exec_lo
	s_and_b32 s26, s24, exec_lo
	s_delay_alu instid0(SALU_CYCLE_1)
	s_or_b32 s22, s22, s26
	s_and_not1_b32 exec_lo, exec_lo, s23
	s_cbranch_execz .LBB1122_131
.LBB1122_136:                           ;   Parent Loop BB1122_133 Depth=1
                                        ; =>  This Inner Loop Header: Depth=2
	global_load_u16 v42, v[8:9], off
	global_load_u16 v43, v[10:11], off
	s_mov_b32 s27, -1
	s_mov_b32 s29, 0
	s_mov_b32 s26, -1
	s_mov_b32 s28, exec_lo
	s_waitcnt vmcnt(1)
	v_lshlrev_b32_e32 v42, 16, v42
	s_waitcnt vmcnt(0)
	v_lshlrev_b32_e32 v43, 16, v43
	s_delay_alu instid0(VALU_DEP_1)
	v_cmpx_nlt_f32_e32 v42, v43
; %bb.137:                              ;   in Loop: Header=BB1122_136 Depth=2
	v_cmp_ngt_f32_e32 vcc_lo, v42, v43
	s_and_b32 s25, vcc_lo, s25
	s_and_b32 s29, vcc_lo, exec_lo
	s_or_not1_b32 s26, s25, exec_lo
; %bb.138:                              ;   in Loop: Header=BB1122_136 Depth=2
	s_or_b32 exec_lo, exec_lo, s28
	s_delay_alu instid0(SALU_CYCLE_1) | instskip(SKIP_1) | instid1(SALU_CYCLE_1)
	s_and_not1_b32 s24, s24, exec_lo
	s_and_b32 s25, s26, exec_lo
	s_or_b32 s24, s24, s25
                                        ; implicit-def: $sgpr25
	s_and_saveexec_b32 s28, s29
	s_cbranch_execz .LBB1122_135
; %bb.139:                              ;   in Loop: Header=BB1122_136 Depth=2
	v_add_co_u32 v8, vcc_lo, v8, 2
	s_add_u32 s20, s20, -1
	s_addc_u32 s21, s21, -1
	v_add_co_ci_u32_e32 v9, vcc_lo, 0, v9, vcc_lo
	v_add_co_u32 v10, vcc_lo, v10, 2
	s_cmp_eq_u64 s[20:21], 0
	v_add_co_ci_u32_e32 v11, vcc_lo, 0, v11, vcc_lo
	s_cselect_b32 s27, -1, 0
	s_and_not1_b32 s24, s24, exec_lo
	s_and_b32 s25, s26, exec_lo
	s_or_not1_b32 s27, s27, exec_lo
	s_branch .LBB1122_135
.LBB1122_140:
	s_or_b32 exec_lo, exec_lo, s19
.LBB1122_141:
	s_delay_alu instid0(SALU_CYCLE_1) | instskip(SKIP_2) | instid1(VALU_DEP_2)
	s_or_b32 exec_lo, exec_lo, s17
	v_add_nc_u32_e32 v9, v18, v38
	v_add_nc_u32_e32 v8, v20, v37
	v_sub_nc_u32_e32 v9, v9, v20
	s_delay_alu instid0(VALU_DEP_2) | instskip(NEXT) | instid1(VALU_DEP_2)
	v_cmp_le_u32_e32 vcc_lo, v8, v18
	v_cmp_le_u32_e64 s0, v9, v19
	s_delay_alu instid0(VALU_DEP_1) | instskip(NEXT) | instid1(SALU_CYCLE_1)
	s_or_b32 s0, vcc_lo, s0
	s_and_saveexec_b32 s17, s0
	s_cbranch_execz .LBB1122_185
; %bb.142:
	v_cmp_ge_u32_e32 vcc_lo, v8, v18
	s_mov_b32 s1, exec_lo
                                        ; implicit-def: $vgpr0_vgpr1
	v_cmpx_lt_u32_e64 v8, v18
	s_cbranch_execz .LBB1122_144
; %bb.143:
	v_lshl_add_u32 v0, v20, 3, v21
	ds_load_b64 v[0:1], v0
.LBB1122_144:
	s_or_b32 exec_lo, exec_lo, s1
	v_cmp_ge_u32_e64 s0, v9, v19
	s_mov_b32 s19, exec_lo
                                        ; implicit-def: $vgpr4_vgpr5
	v_cmpx_lt_u32_e64 v9, v19
	s_cbranch_execz .LBB1122_146
; %bb.145:
	v_lshl_add_u32 v2, v9, 3, v14
	ds_load_b64 v[4:5], v2
.LBB1122_146:
	s_or_b32 exec_lo, exec_lo, s19
	s_or_b32 s1, vcc_lo, s0
	s_xor_b32 s19, vcc_lo, -1
	s_or_b32 s1, s1, s12
	s_or_b32 s19, s0, s19
	s_xor_b32 s1, s1, -1
	s_delay_alu instid0(SALU_CYCLE_1)
	s_and_saveexec_b32 s20, s1
	s_cbranch_execz .LBB1122_154
; %bb.147:
	s_waitcnt lgkmcnt(0)
	v_mul_lo_u32 v10, v5, s8
	v_mul_lo_u32 v11, v4, s9
	v_mad_u64_u32 v[2:3], null, v4, s8, 0
	v_mul_lo_u32 v20, v1, s8
	v_mul_lo_u32 v21, v0, s9
	v_mad_u64_u32 v[6:7], null, v0, s8, 0
	s_mov_b32 s21, 0
	s_mov_b64 s[0:1], s[8:9]
	s_delay_alu instid0(VALU_DEP_4) | instskip(NEXT) | instid1(VALU_DEP_2)
	v_add3_u32 v3, v3, v11, v10
                                        ; implicit-def: $sgpr22
                                        ; implicit-def: $sgpr23
                                        ; implicit-def: $sgpr24
	v_add3_u32 v7, v7, v21, v20
	s_delay_alu instid0(VALU_DEP_2) | instskip(NEXT) | instid1(VALU_DEP_2)
	v_lshlrev_b64 v[2:3], 1, v[2:3]
	v_lshlrev_b64 v[6:7], 1, v[6:7]
	s_delay_alu instid0(VALU_DEP_2) | instskip(NEXT) | instid1(VALU_DEP_3)
	v_add_co_u32 v2, vcc_lo, s10, v2
	v_add_co_ci_u32_e32 v3, vcc_lo, s11, v3, vcc_lo
	s_delay_alu instid0(VALU_DEP_3) | instskip(NEXT) | instid1(VALU_DEP_4)
	v_add_co_u32 v6, vcc_lo, s10, v6
	v_add_co_ci_u32_e32 v7, vcc_lo, s11, v7, vcc_lo
	s_set_inst_prefetch_distance 0x1
	s_branch .LBB1122_149
	.p2align	6
.LBB1122_148:                           ;   in Loop: Header=BB1122_149 Depth=1
	s_or_b32 exec_lo, exec_lo, s27
	s_delay_alu instid0(SALU_CYCLE_1) | instskip(NEXT) | instid1(SALU_CYCLE_1)
	s_and_b32 s25, exec_lo, s25
	s_or_b32 s21, s25, s21
	s_and_not1_b32 s22, s22, exec_lo
	s_and_b32 s25, s23, exec_lo
	s_delay_alu instid0(SALU_CYCLE_1)
	s_or_b32 s22, s22, s25
	s_and_not1_b32 exec_lo, exec_lo, s21
	s_cbranch_execz .LBB1122_153
.LBB1122_149:                           ; =>This Inner Loop Header: Depth=1
	global_load_u16 v10, v[2:3], off
	global_load_u16 v11, v[6:7], off
	s_mov_b32 s25, -1
	s_mov_b32 s28, 0
	s_mov_b32 s26, -1
	s_mov_b32 s27, exec_lo
	s_waitcnt vmcnt(1)
	v_lshlrev_b32_e32 v10, 16, v10
	s_waitcnt vmcnt(0)
	v_lshlrev_b32_e32 v11, 16, v11
	s_delay_alu instid0(VALU_DEP_1)
	v_cmpx_nlt_f32_e32 v10, v11
; %bb.150:                              ;   in Loop: Header=BB1122_149 Depth=1
	v_cmp_ngt_f32_e32 vcc_lo, v10, v11
	s_and_b32 s24, vcc_lo, s24
	s_and_b32 s28, vcc_lo, exec_lo
	s_or_not1_b32 s26, s24, exec_lo
; %bb.151:                              ;   in Loop: Header=BB1122_149 Depth=1
	s_or_b32 exec_lo, exec_lo, s27
	s_delay_alu instid0(SALU_CYCLE_1) | instskip(SKIP_1) | instid1(SALU_CYCLE_1)
	s_and_not1_b32 s23, s23, exec_lo
	s_and_b32 s24, s26, exec_lo
	s_or_b32 s23, s23, s24
                                        ; implicit-def: $sgpr24
	s_and_saveexec_b32 s27, s28
	s_cbranch_execz .LBB1122_148
; %bb.152:                              ;   in Loop: Header=BB1122_149 Depth=1
	v_add_co_u32 v2, vcc_lo, v2, 2
	s_add_u32 s0, s0, -1
	s_addc_u32 s1, s1, -1
	v_add_co_ci_u32_e32 v3, vcc_lo, 0, v3, vcc_lo
	v_add_co_u32 v6, vcc_lo, v6, 2
	s_cmp_eq_u64 s[0:1], 0
	v_add_co_ci_u32_e32 v7, vcc_lo, 0, v7, vcc_lo
	s_cselect_b32 s25, -1, 0
	s_and_b32 s24, s26, exec_lo
	s_and_not1_b32 s23, s23, exec_lo
	s_or_not1_b32 s25, s25, exec_lo
	s_branch .LBB1122_148
.LBB1122_153:
	s_set_inst_prefetch_distance 0x2
	s_or_b32 exec_lo, exec_lo, s21
	s_xor_b32 s0, s22, -1
	s_and_not1_b32 s1, s19, exec_lo
	s_and_b32 s0, s0, exec_lo
	s_delay_alu instid0(SALU_CYCLE_1)
	s_or_b32 s19, s1, s0
.LBB1122_154:
	s_or_b32 exec_lo, exec_lo, s20
	v_cndmask_b32_e64 v2, v9, v8, s19
	v_cndmask_b32_e64 v3, v19, v18, s19
	s_mov_b32 s20, -1
	s_mov_b32 s21, -1
	s_mov_b32 s22, exec_lo
	v_add_nc_u32_e32 v6, 1, v2
	v_add_nc_u32_e32 v2, -1, v3
	s_delay_alu instid0(VALU_DEP_2) | instskip(NEXT) | instid1(VALU_DEP_2)
	v_cndmask_b32_e64 v9, v6, v9, s19
	v_min_u32_e32 v2, v6, v2
	v_cndmask_b32_e64 v8, v8, v6, s19
	s_delay_alu instid0(VALU_DEP_2)
	v_lshl_add_u32 v2, v2, 3, v14
	ds_load_b64 v[2:3], v2
	s_waitcnt lgkmcnt(0)
	v_cndmask_b32_e64 v10, v3, v5, s19
	v_cndmask_b32_e64 v11, v2, v4, s19
	;; [unrolled: 1-line block ×4, first 2 shown]
	v_cmpx_lt_u32_e64 v9, v19
	s_cbranch_execz .LBB1122_164
; %bb.155:
	v_cmp_lt_u32_e64 s21, v8, v18
	s_xor_b32 s0, s12, -1
	s_delay_alu instid0(VALU_DEP_1) | instid1(SALU_CYCLE_1)
	s_and_b32 s0, s21, s0
	s_delay_alu instid0(SALU_CYCLE_1)
	s_and_saveexec_b32 s23, s0
	s_cbranch_execz .LBB1122_163
; %bb.156:
	v_mul_lo_u32 v37, v10, s8
	v_mul_lo_u32 v38, v11, s9
	v_mad_u64_u32 v[2:3], null, v11, s8, 0
	v_mul_lo_u32 v39, v20, s8
	v_mul_lo_u32 v40, v21, s9
	v_mad_u64_u32 v[6:7], null, v21, s8, 0
	s_mov_b32 s24, 0
	s_mov_b64 s[0:1], s[8:9]
	s_delay_alu instid0(VALU_DEP_4) | instskip(NEXT) | instid1(VALU_DEP_2)
	v_add3_u32 v3, v3, v38, v37
                                        ; implicit-def: $sgpr25
                                        ; implicit-def: $sgpr26
                                        ; implicit-def: $sgpr27
	v_add3_u32 v7, v7, v40, v39
	s_delay_alu instid0(VALU_DEP_2) | instskip(NEXT) | instid1(VALU_DEP_2)
	v_lshlrev_b64 v[2:3], 1, v[2:3]
	v_lshlrev_b64 v[6:7], 1, v[6:7]
	s_delay_alu instid0(VALU_DEP_2) | instskip(NEXT) | instid1(VALU_DEP_3)
	v_add_co_u32 v2, vcc_lo, s10, v2
	v_add_co_ci_u32_e32 v3, vcc_lo, s11, v3, vcc_lo
	s_delay_alu instid0(VALU_DEP_3) | instskip(NEXT) | instid1(VALU_DEP_4)
	v_add_co_u32 v6, vcc_lo, s10, v6
	v_add_co_ci_u32_e32 v7, vcc_lo, s11, v7, vcc_lo
	s_set_inst_prefetch_distance 0x1
	s_branch .LBB1122_158
	.p2align	6
.LBB1122_157:                           ;   in Loop: Header=BB1122_158 Depth=1
	s_or_b32 exec_lo, exec_lo, s30
	s_delay_alu instid0(SALU_CYCLE_1) | instskip(NEXT) | instid1(SALU_CYCLE_1)
	s_and_b32 s28, exec_lo, s28
	s_or_b32 s24, s28, s24
	s_and_not1_b32 s25, s25, exec_lo
	s_and_b32 s28, s26, exec_lo
	s_delay_alu instid0(SALU_CYCLE_1)
	s_or_b32 s25, s25, s28
	s_and_not1_b32 exec_lo, exec_lo, s24
	s_cbranch_execz .LBB1122_162
.LBB1122_158:                           ; =>This Inner Loop Header: Depth=1
	global_load_u16 v37, v[2:3], off
	global_load_u16 v38, v[6:7], off
	s_mov_b32 s28, -1
	s_mov_b32 s31, 0
	s_mov_b32 s29, -1
	s_mov_b32 s30, exec_lo
	s_waitcnt vmcnt(1)
	v_lshlrev_b32_e32 v37, 16, v37
	s_waitcnt vmcnt(0)
	v_lshlrev_b32_e32 v38, 16, v38
	s_delay_alu instid0(VALU_DEP_1)
	v_cmpx_nlt_f32_e32 v37, v38
; %bb.159:                              ;   in Loop: Header=BB1122_158 Depth=1
	v_cmp_ngt_f32_e32 vcc_lo, v37, v38
	s_and_b32 s27, vcc_lo, s27
	s_and_b32 s31, vcc_lo, exec_lo
	s_or_not1_b32 s29, s27, exec_lo
; %bb.160:                              ;   in Loop: Header=BB1122_158 Depth=1
	s_or_b32 exec_lo, exec_lo, s30
	s_delay_alu instid0(SALU_CYCLE_1) | instskip(SKIP_1) | instid1(SALU_CYCLE_1)
	s_and_not1_b32 s26, s26, exec_lo
	s_and_b32 s27, s29, exec_lo
	s_or_b32 s26, s26, s27
                                        ; implicit-def: $sgpr27
	s_and_saveexec_b32 s30, s31
	s_cbranch_execz .LBB1122_157
; %bb.161:                              ;   in Loop: Header=BB1122_158 Depth=1
	v_add_co_u32 v2, vcc_lo, v2, 2
	s_add_u32 s0, s0, -1
	s_addc_u32 s1, s1, -1
	v_add_co_ci_u32_e32 v3, vcc_lo, 0, v3, vcc_lo
	v_add_co_u32 v6, vcc_lo, v6, 2
	s_cmp_eq_u64 s[0:1], 0
	v_add_co_ci_u32_e32 v7, vcc_lo, 0, v7, vcc_lo
	s_cselect_b32 s28, -1, 0
	s_and_b32 s27, s29, exec_lo
	s_and_not1_b32 s26, s26, exec_lo
	s_or_not1_b32 s28, s28, exec_lo
	s_branch .LBB1122_157
.LBB1122_162:
	s_set_inst_prefetch_distance 0x2
	s_or_b32 exec_lo, exec_lo, s24
	s_xor_b32 s0, s25, -1
	s_and_not1_b32 s1, s21, exec_lo
	s_and_b32 s0, s0, exec_lo
	s_delay_alu instid0(SALU_CYCLE_1)
	s_or_b32 s21, s1, s0
.LBB1122_163:
	s_or_b32 exec_lo, exec_lo, s23
	s_delay_alu instid0(SALU_CYCLE_1)
	s_or_not1_b32 s21, s21, exec_lo
.LBB1122_164:
	s_or_b32 exec_lo, exec_lo, s22
	v_cndmask_b32_e64 v2, v9, v8, s21
	v_cndmask_b32_e64 v3, v19, v18, s21
	s_mov_b32 s22, exec_lo
	s_delay_alu instid0(VALU_DEP_2) | instskip(NEXT) | instid1(VALU_DEP_2)
	v_add_nc_u32_e32 v6, 1, v2
	v_add_nc_u32_e32 v2, -1, v3
	s_delay_alu instid0(VALU_DEP_2) | instskip(NEXT) | instid1(VALU_DEP_2)
	v_cndmask_b32_e64 v40, v6, v9, s21
	v_min_u32_e32 v2, v6, v2
	v_cndmask_b32_e64 v37, v8, v6, s21
	s_delay_alu instid0(VALU_DEP_2)
	v_lshl_add_u32 v2, v2, 3, v14
	ds_load_b64 v[2:3], v2
	s_waitcnt lgkmcnt(0)
	v_cndmask_b32_e64 v38, v3, v10, s21
	v_cndmask_b32_e64 v39, v2, v11, s21
	;; [unrolled: 1-line block ×4, first 2 shown]
	v_cmpx_lt_u32_e64 v40, v19
	s_cbranch_execz .LBB1122_174
; %bb.165:
	v_cmp_lt_u32_e64 s20, v37, v18
	s_xor_b32 s0, s12, -1
	s_delay_alu instid0(VALU_DEP_1) | instid1(SALU_CYCLE_1)
	s_and_b32 s0, s20, s0
	s_delay_alu instid0(SALU_CYCLE_1)
	s_and_saveexec_b32 s23, s0
	s_cbranch_execz .LBB1122_173
; %bb.166:
	v_mul_lo_u32 v8, v38, s8
	v_mul_lo_u32 v9, v39, s9
	v_mad_u64_u32 v[2:3], null, v39, s8, 0
	v_mul_lo_u32 v43, v41, s8
	v_mul_lo_u32 v44, v42, s9
	v_mad_u64_u32 v[6:7], null, v42, s8, 0
	s_mov_b32 s24, 0
	s_mov_b64 s[0:1], s[8:9]
	s_delay_alu instid0(VALU_DEP_4) | instskip(NEXT) | instid1(VALU_DEP_2)
	v_add3_u32 v3, v3, v9, v8
                                        ; implicit-def: $sgpr25
                                        ; implicit-def: $sgpr26
                                        ; implicit-def: $sgpr27
	v_add3_u32 v7, v7, v44, v43
	s_delay_alu instid0(VALU_DEP_2) | instskip(NEXT) | instid1(VALU_DEP_2)
	v_lshlrev_b64 v[2:3], 1, v[2:3]
	v_lshlrev_b64 v[6:7], 1, v[6:7]
	s_delay_alu instid0(VALU_DEP_2) | instskip(NEXT) | instid1(VALU_DEP_3)
	v_add_co_u32 v2, vcc_lo, s10, v2
	v_add_co_ci_u32_e32 v3, vcc_lo, s11, v3, vcc_lo
	s_delay_alu instid0(VALU_DEP_3) | instskip(NEXT) | instid1(VALU_DEP_4)
	v_add_co_u32 v6, vcc_lo, s10, v6
	v_add_co_ci_u32_e32 v7, vcc_lo, s11, v7, vcc_lo
	s_set_inst_prefetch_distance 0x1
	s_branch .LBB1122_168
	.p2align	6
.LBB1122_167:                           ;   in Loop: Header=BB1122_168 Depth=1
	s_or_b32 exec_lo, exec_lo, s30
	s_delay_alu instid0(SALU_CYCLE_1) | instskip(NEXT) | instid1(SALU_CYCLE_1)
	s_and_b32 s28, exec_lo, s28
	s_or_b32 s24, s28, s24
	s_and_not1_b32 s25, s25, exec_lo
	s_and_b32 s28, s26, exec_lo
	s_delay_alu instid0(SALU_CYCLE_1)
	s_or_b32 s25, s25, s28
	s_and_not1_b32 exec_lo, exec_lo, s24
	s_cbranch_execz .LBB1122_172
.LBB1122_168:                           ; =>This Inner Loop Header: Depth=1
	global_load_u16 v8, v[2:3], off
	global_load_u16 v9, v[6:7], off
	s_mov_b32 s28, -1
	s_mov_b32 s31, 0
	s_mov_b32 s29, -1
	s_mov_b32 s30, exec_lo
	s_waitcnt vmcnt(1)
	v_lshlrev_b32_e32 v8, 16, v8
	s_waitcnt vmcnt(0)
	v_lshlrev_b32_e32 v9, 16, v9
	s_delay_alu instid0(VALU_DEP_1)
	v_cmpx_nlt_f32_e32 v8, v9
; %bb.169:                              ;   in Loop: Header=BB1122_168 Depth=1
	v_cmp_ngt_f32_e32 vcc_lo, v8, v9
	s_and_b32 s27, vcc_lo, s27
	s_and_b32 s31, vcc_lo, exec_lo
	s_or_not1_b32 s29, s27, exec_lo
; %bb.170:                              ;   in Loop: Header=BB1122_168 Depth=1
	s_or_b32 exec_lo, exec_lo, s30
	s_delay_alu instid0(SALU_CYCLE_1) | instskip(SKIP_1) | instid1(SALU_CYCLE_1)
	s_and_not1_b32 s26, s26, exec_lo
	s_and_b32 s27, s29, exec_lo
	s_or_b32 s26, s26, s27
                                        ; implicit-def: $sgpr27
	s_and_saveexec_b32 s30, s31
	s_cbranch_execz .LBB1122_167
; %bb.171:                              ;   in Loop: Header=BB1122_168 Depth=1
	v_add_co_u32 v2, vcc_lo, v2, 2
	s_add_u32 s0, s0, -1
	s_addc_u32 s1, s1, -1
	v_add_co_ci_u32_e32 v3, vcc_lo, 0, v3, vcc_lo
	v_add_co_u32 v6, vcc_lo, v6, 2
	s_cmp_eq_u64 s[0:1], 0
	v_add_co_ci_u32_e32 v7, vcc_lo, 0, v7, vcc_lo
	s_cselect_b32 s28, -1, 0
	s_and_b32 s27, s29, exec_lo
	s_and_not1_b32 s26, s26, exec_lo
	s_or_not1_b32 s28, s28, exec_lo
	s_branch .LBB1122_167
.LBB1122_172:
	s_set_inst_prefetch_distance 0x2
	s_or_b32 exec_lo, exec_lo, s24
	s_xor_b32 s0, s25, -1
	s_and_not1_b32 s1, s20, exec_lo
	s_and_b32 s0, s0, exec_lo
	s_delay_alu instid0(SALU_CYCLE_1)
	s_or_b32 s20, s1, s0
.LBB1122_173:
	s_or_b32 exec_lo, exec_lo, s23
	s_delay_alu instid0(SALU_CYCLE_1)
	s_or_not1_b32 s20, s20, exec_lo
.LBB1122_174:
	s_or_b32 exec_lo, exec_lo, s22
	v_cndmask_b32_e64 v2, v40, v37, s20
	v_cndmask_b32_e64 v3, v19, v18, s20
	;; [unrolled: 1-line block ×5, first 2 shown]
	v_add_nc_u32_e32 v43, 1, v2
	v_add_nc_u32_e32 v2, -1, v3
	v_cndmask_b32_e64 v3, v10, v20, s21
	v_cndmask_b32_e64 v4, v39, v42, s20
	s_mov_b32 s19, exec_lo
	v_cndmask_b32_e64 v10, v43, v40, s20
	v_min_u32_e32 v2, v43, v2
	s_delay_alu instid0(VALU_DEP_1)
	v_lshl_add_u32 v2, v2, 3, v14
	ds_load_b64 v[8:9], v2
	v_cndmask_b32_e64 v2, v11, v21, s21
	s_waitcnt lgkmcnt(0)
	v_cndmask_b32_e64 v7, v41, v9, s20
	v_cndmask_b32_e64 v6, v42, v8, s20
	v_cmpx_lt_u32_e64 v10, v19
	s_cbranch_execz .LBB1122_184
; %bb.175:
	v_cndmask_b32_e64 v10, v37, v43, s20
	v_cndmask_b32_e64 v19, v9, v38, s20
	;; [unrolled: 1-line block ×3, first 2 shown]
	s_delay_alu instid0(VALU_DEP_3) | instskip(NEXT) | instid1(VALU_DEP_2)
	v_cmp_ge_u32_e32 vcc_lo, v10, v18
	v_dual_cndmask_b32 v9, v7, v19 :: v_dual_cndmask_b32 v8, v6, v20
	s_or_b32 s0, vcc_lo, s12
	s_delay_alu instid0(SALU_CYCLE_1) | instskip(NEXT) | instid1(SALU_CYCLE_1)
	s_xor_b32 s0, s0, -1
	s_and_saveexec_b32 s20, s0
	s_cbranch_execz .LBB1122_183
; %bb.176:
	v_mul_lo_u32 v18, v19, s8
	v_mul_lo_u32 v21, v20, s9
	v_mad_u64_u32 v[8:9], null, v20, s8, 0
	v_mul_lo_u32 v37, v7, s8
	v_mul_lo_u32 v38, v6, s9
	v_mad_u64_u32 v[10:11], null, v6, s8, 0
	s_mov_b32 s21, 0
	s_mov_b64 s[0:1], s[8:9]
	s_delay_alu instid0(VALU_DEP_4) | instskip(NEXT) | instid1(VALU_DEP_2)
	v_add3_u32 v9, v9, v21, v18
                                        ; implicit-def: $sgpr22
                                        ; implicit-def: $sgpr23
                                        ; implicit-def: $sgpr24
	v_add3_u32 v11, v11, v38, v37
	s_delay_alu instid0(VALU_DEP_2) | instskip(NEXT) | instid1(VALU_DEP_2)
	v_lshlrev_b64 v[8:9], 1, v[8:9]
	v_lshlrev_b64 v[10:11], 1, v[10:11]
	s_delay_alu instid0(VALU_DEP_2) | instskip(NEXT) | instid1(VALU_DEP_3)
	v_add_co_u32 v8, vcc_lo, s10, v8
	v_add_co_ci_u32_e32 v9, vcc_lo, s11, v9, vcc_lo
	s_delay_alu instid0(VALU_DEP_3) | instskip(NEXT) | instid1(VALU_DEP_4)
	v_add_co_u32 v10, vcc_lo, s10, v10
	v_add_co_ci_u32_e32 v11, vcc_lo, s11, v11, vcc_lo
	s_set_inst_prefetch_distance 0x1
	s_branch .LBB1122_178
	.p2align	6
.LBB1122_177:                           ;   in Loop: Header=BB1122_178 Depth=1
	s_or_b32 exec_lo, exec_lo, s27
	s_delay_alu instid0(SALU_CYCLE_1) | instskip(NEXT) | instid1(SALU_CYCLE_1)
	s_and_b32 s25, exec_lo, s25
	s_or_b32 s21, s25, s21
	s_and_not1_b32 s22, s22, exec_lo
	s_and_b32 s25, s23, exec_lo
	s_delay_alu instid0(SALU_CYCLE_1)
	s_or_b32 s22, s22, s25
	s_and_not1_b32 exec_lo, exec_lo, s21
	s_cbranch_execz .LBB1122_182
.LBB1122_178:                           ; =>This Inner Loop Header: Depth=1
	global_load_u16 v18, v[8:9], off
	global_load_u16 v21, v[10:11], off
	s_mov_b32 s25, -1
	s_mov_b32 s28, 0
	s_mov_b32 s26, -1
	s_mov_b32 s27, exec_lo
	s_waitcnt vmcnt(1)
	v_lshlrev_b32_e32 v18, 16, v18
	s_waitcnt vmcnt(0)
	v_lshlrev_b32_e32 v21, 16, v21
	s_delay_alu instid0(VALU_DEP_1)
	v_cmpx_nlt_f32_e32 v18, v21
; %bb.179:                              ;   in Loop: Header=BB1122_178 Depth=1
	v_cmp_ngt_f32_e32 vcc_lo, v18, v21
	s_and_b32 s24, vcc_lo, s24
	s_and_b32 s28, vcc_lo, exec_lo
	s_or_not1_b32 s26, s24, exec_lo
; %bb.180:                              ;   in Loop: Header=BB1122_178 Depth=1
	s_or_b32 exec_lo, exec_lo, s27
	s_delay_alu instid0(SALU_CYCLE_1) | instskip(SKIP_1) | instid1(SALU_CYCLE_1)
	s_and_not1_b32 s23, s23, exec_lo
	s_and_b32 s24, s26, exec_lo
	s_or_b32 s23, s23, s24
                                        ; implicit-def: $sgpr24
	s_and_saveexec_b32 s27, s28
	s_cbranch_execz .LBB1122_177
; %bb.181:                              ;   in Loop: Header=BB1122_178 Depth=1
	v_add_co_u32 v8, vcc_lo, v8, 2
	s_add_u32 s0, s0, -1
	s_addc_u32 s1, s1, -1
	v_add_co_ci_u32_e32 v9, vcc_lo, 0, v9, vcc_lo
	v_add_co_u32 v10, vcc_lo, v10, 2
	s_cmp_eq_u64 s[0:1], 0
	v_add_co_ci_u32_e32 v11, vcc_lo, 0, v11, vcc_lo
	s_cselect_b32 s25, -1, 0
	s_and_b32 s24, s26, exec_lo
	s_and_not1_b32 s23, s23, exec_lo
	s_or_not1_b32 s25, s25, exec_lo
	s_branch .LBB1122_177
.LBB1122_182:
	s_set_inst_prefetch_distance 0x2
	s_or_b32 exec_lo, exec_lo, s21
	v_cndmask_b32_e64 v9, v7, v19, s22
	v_cndmask_b32_e64 v8, v6, v20, s22
.LBB1122_183:
	s_or_b32 exec_lo, exec_lo, s20
	s_delay_alu instid0(VALU_DEP_1)
	v_dual_mov_b32 v6, v8 :: v_dual_mov_b32 v7, v9
.LBB1122_184:
	s_or_b32 exec_lo, exec_lo, s19
.LBB1122_185:
	s_delay_alu instid0(SALU_CYCLE_1) | instskip(SKIP_3) | instid1(VALU_DEP_2)
	s_or_b32 exec_lo, exec_lo, s17
	v_and_b32_e32 v37, 0x60, v16
	v_and_b32_e32 v9, 28, v16
	s_mov_b32 s17, exec_lo
	; wave barrier
	v_or_b32_e32 v8, 16, v37
	s_delay_alu instid0(VALU_DEP_2) | instskip(SKIP_4) | instid1(VALU_DEP_1)
	v_min_u32_e32 v38, v15, v9
	v_lshl_add_u32 v21, v37, 3, v14
	ds_store_b128 v17, v[0:3]
	ds_store_b128 v17, v[4:7] offset:16
	v_min_u32_e32 v18, v15, v8
	; wave barrier
	v_add_nc_u32_e32 v8, 16, v18
	v_sub_nc_u32_e32 v9, v18, v37
	s_delay_alu instid0(VALU_DEP_2) | instskip(NEXT) | instid1(VALU_DEP_2)
	v_min_u32_e32 v19, v15, v8
	v_min_u32_e32 v39, v38, v9
	s_delay_alu instid0(VALU_DEP_2) | instskip(NEXT) | instid1(VALU_DEP_1)
	v_sub_nc_u32_e32 v8, v19, v18
	v_sub_nc_u32_e64 v20, v38, v8 clamp
	s_delay_alu instid0(VALU_DEP_1)
	v_cmpx_lt_u32_e64 v20, v39
	s_cbranch_execz .LBB1122_197
; %bb.186:
	v_lshlrev_b32_e32 v8, 3, v18
	v_lshlrev_b32_e32 v9, 3, v38
	s_lshl_b64 s[0:1], s[8:9], 1
	s_mov_b32 s19, 0
	s_delay_alu instid0(VALU_DEP_1)
	v_add3_u32 v40, v14, v8, v9
	s_branch .LBB1122_189
.LBB1122_187:                           ;   in Loop: Header=BB1122_189 Depth=1
	s_set_inst_prefetch_distance 0x2
	s_or_b32 exec_lo, exec_lo, s23
.LBB1122_188:                           ;   in Loop: Header=BB1122_189 Depth=1
	s_delay_alu instid0(VALU_DEP_1) | instskip(SKIP_1) | instid1(VALU_DEP_2)
	v_add_nc_u32_e32 v8, 1, v41
	v_cndmask_b32_e64 v39, v39, v41, s22
	v_cndmask_b32_e64 v20, v8, v20, s22
	s_delay_alu instid0(VALU_DEP_1) | instskip(SKIP_1) | instid1(SALU_CYCLE_1)
	v_cmp_ge_u32_e32 vcc_lo, v20, v39
	s_or_b32 s19, vcc_lo, s19
	s_and_not1_b32 exec_lo, exec_lo, s19
	s_cbranch_execz .LBB1122_196
.LBB1122_189:                           ; =>This Loop Header: Depth=1
                                        ;     Child Loop BB1122_192 Depth 2
	v_add_nc_u32_e32 v8, v39, v20
	v_cmp_ne_u32_e32 vcc_lo, 1, v36
	s_mov_b32 s22, 0
	s_delay_alu instid0(VALU_DEP_2)
	v_lshrrev_b32_e32 v41, 1, v8
	s_cbranch_vccnz .LBB1122_188
; %bb.190:                              ;   in Loop: Header=BB1122_189 Depth=1
	s_delay_alu instid0(VALU_DEP_1) | instskip(SKIP_3) | instid1(VALU_DEP_2)
	v_not_b32_e32 v8, v41
	v_lshl_add_u32 v9, v41, 3, v21
	s_mov_b32 s23, 0
	s_mov_b64 s[20:21], s[8:9]
                                        ; implicit-def: $sgpr22
                                        ; implicit-def: $sgpr24
                                        ; implicit-def: $sgpr25
	v_lshl_add_u32 v8, v8, 3, v40
	ds_load_b64 v[10:11], v8
	ds_load_b64 v[42:43], v9
	s_waitcnt lgkmcnt(1)
	v_mul_lo_u32 v44, s0, v11
	v_mul_lo_u32 v45, s1, v10
	v_mad_u64_u32 v[8:9], null, s0, v10, s[10:11]
	s_waitcnt lgkmcnt(0)
	v_mul_lo_u32 v43, s0, v43
	v_mul_lo_u32 v46, s1, v42
	v_mad_u64_u32 v[10:11], null, s0, v42, s[10:11]
	s_delay_alu instid0(VALU_DEP_4) | instskip(NEXT) | instid1(VALU_DEP_2)
	v_add3_u32 v9, v45, v9, v44
	v_add3_u32 v11, v46, v11, v43
	s_set_inst_prefetch_distance 0x1
	s_branch .LBB1122_192
	.p2align	6
.LBB1122_191:                           ;   in Loop: Header=BB1122_192 Depth=2
	s_or_b32 exec_lo, exec_lo, s28
	s_delay_alu instid0(SALU_CYCLE_1) | instskip(NEXT) | instid1(SALU_CYCLE_1)
	s_and_b32 s26, exec_lo, s27
	s_or_b32 s23, s26, s23
	s_and_not1_b32 s22, s22, exec_lo
	s_and_b32 s26, s24, exec_lo
	s_delay_alu instid0(SALU_CYCLE_1)
	s_or_b32 s22, s22, s26
	s_and_not1_b32 exec_lo, exec_lo, s23
	s_cbranch_execz .LBB1122_187
.LBB1122_192:                           ;   Parent Loop BB1122_189 Depth=1
                                        ; =>  This Inner Loop Header: Depth=2
	global_load_u16 v42, v[8:9], off
	global_load_u16 v43, v[10:11], off
	s_mov_b32 s27, -1
	s_mov_b32 s29, 0
	s_mov_b32 s26, -1
	s_mov_b32 s28, exec_lo
	s_waitcnt vmcnt(1)
	v_lshlrev_b32_e32 v42, 16, v42
	s_waitcnt vmcnt(0)
	v_lshlrev_b32_e32 v43, 16, v43
	s_delay_alu instid0(VALU_DEP_1)
	v_cmpx_nlt_f32_e32 v42, v43
; %bb.193:                              ;   in Loop: Header=BB1122_192 Depth=2
	v_cmp_ngt_f32_e32 vcc_lo, v42, v43
	s_and_b32 s25, vcc_lo, s25
	s_and_b32 s29, vcc_lo, exec_lo
	s_or_not1_b32 s26, s25, exec_lo
; %bb.194:                              ;   in Loop: Header=BB1122_192 Depth=2
	s_or_b32 exec_lo, exec_lo, s28
	s_delay_alu instid0(SALU_CYCLE_1) | instskip(SKIP_1) | instid1(SALU_CYCLE_1)
	s_and_not1_b32 s24, s24, exec_lo
	s_and_b32 s25, s26, exec_lo
	s_or_b32 s24, s24, s25
                                        ; implicit-def: $sgpr25
	s_and_saveexec_b32 s28, s29
	s_cbranch_execz .LBB1122_191
; %bb.195:                              ;   in Loop: Header=BB1122_192 Depth=2
	v_add_co_u32 v8, vcc_lo, v8, 2
	s_add_u32 s20, s20, -1
	s_addc_u32 s21, s21, -1
	v_add_co_ci_u32_e32 v9, vcc_lo, 0, v9, vcc_lo
	v_add_co_u32 v10, vcc_lo, v10, 2
	s_cmp_eq_u64 s[20:21], 0
	v_add_co_ci_u32_e32 v11, vcc_lo, 0, v11, vcc_lo
	s_cselect_b32 s27, -1, 0
	s_and_not1_b32 s24, s24, exec_lo
	s_and_b32 s25, s26, exec_lo
	s_or_not1_b32 s27, s27, exec_lo
	s_branch .LBB1122_191
.LBB1122_196:
	s_or_b32 exec_lo, exec_lo, s19
.LBB1122_197:
	s_delay_alu instid0(SALU_CYCLE_1) | instskip(SKIP_2) | instid1(VALU_DEP_2)
	s_or_b32 exec_lo, exec_lo, s17
	v_add_nc_u32_e32 v9, v18, v38
	v_add_nc_u32_e32 v8, v20, v37
	v_sub_nc_u32_e32 v9, v9, v20
	s_delay_alu instid0(VALU_DEP_2) | instskip(NEXT) | instid1(VALU_DEP_2)
	v_cmp_le_u32_e32 vcc_lo, v8, v18
	v_cmp_le_u32_e64 s0, v9, v19
	s_delay_alu instid0(VALU_DEP_1) | instskip(NEXT) | instid1(SALU_CYCLE_1)
	s_or_b32 s0, vcc_lo, s0
	s_and_saveexec_b32 s17, s0
	s_cbranch_execz .LBB1122_241
; %bb.198:
	v_cmp_ge_u32_e32 vcc_lo, v8, v18
	s_mov_b32 s1, exec_lo
                                        ; implicit-def: $vgpr0_vgpr1
	v_cmpx_lt_u32_e64 v8, v18
	s_cbranch_execz .LBB1122_200
; %bb.199:
	v_lshl_add_u32 v0, v20, 3, v21
	ds_load_b64 v[0:1], v0
.LBB1122_200:
	s_or_b32 exec_lo, exec_lo, s1
	v_cmp_ge_u32_e64 s0, v9, v19
	s_mov_b32 s19, exec_lo
                                        ; implicit-def: $vgpr4_vgpr5
	v_cmpx_lt_u32_e64 v9, v19
	s_cbranch_execz .LBB1122_202
; %bb.201:
	v_lshl_add_u32 v2, v9, 3, v14
	ds_load_b64 v[4:5], v2
.LBB1122_202:
	s_or_b32 exec_lo, exec_lo, s19
	s_or_b32 s1, vcc_lo, s0
	s_xor_b32 s19, vcc_lo, -1
	s_or_b32 s1, s1, s12
	s_or_b32 s19, s0, s19
	s_xor_b32 s1, s1, -1
	s_delay_alu instid0(SALU_CYCLE_1)
	s_and_saveexec_b32 s20, s1
	s_cbranch_execz .LBB1122_210
; %bb.203:
	s_waitcnt lgkmcnt(0)
	v_mul_lo_u32 v10, v5, s8
	v_mul_lo_u32 v11, v4, s9
	v_mad_u64_u32 v[2:3], null, v4, s8, 0
	v_mul_lo_u32 v20, v1, s8
	v_mul_lo_u32 v21, v0, s9
	v_mad_u64_u32 v[6:7], null, v0, s8, 0
	s_mov_b32 s21, 0
	s_mov_b64 s[0:1], s[8:9]
	s_delay_alu instid0(VALU_DEP_4) | instskip(NEXT) | instid1(VALU_DEP_2)
	v_add3_u32 v3, v3, v11, v10
                                        ; implicit-def: $sgpr22
                                        ; implicit-def: $sgpr23
                                        ; implicit-def: $sgpr24
	v_add3_u32 v7, v7, v21, v20
	s_delay_alu instid0(VALU_DEP_2) | instskip(NEXT) | instid1(VALU_DEP_2)
	v_lshlrev_b64 v[2:3], 1, v[2:3]
	v_lshlrev_b64 v[6:7], 1, v[6:7]
	s_delay_alu instid0(VALU_DEP_2) | instskip(NEXT) | instid1(VALU_DEP_3)
	v_add_co_u32 v2, vcc_lo, s10, v2
	v_add_co_ci_u32_e32 v3, vcc_lo, s11, v3, vcc_lo
	s_delay_alu instid0(VALU_DEP_3) | instskip(NEXT) | instid1(VALU_DEP_4)
	v_add_co_u32 v6, vcc_lo, s10, v6
	v_add_co_ci_u32_e32 v7, vcc_lo, s11, v7, vcc_lo
	s_set_inst_prefetch_distance 0x1
	s_branch .LBB1122_205
	.p2align	6
.LBB1122_204:                           ;   in Loop: Header=BB1122_205 Depth=1
	s_or_b32 exec_lo, exec_lo, s27
	s_delay_alu instid0(SALU_CYCLE_1) | instskip(NEXT) | instid1(SALU_CYCLE_1)
	s_and_b32 s25, exec_lo, s25
	s_or_b32 s21, s25, s21
	s_and_not1_b32 s22, s22, exec_lo
	s_and_b32 s25, s23, exec_lo
	s_delay_alu instid0(SALU_CYCLE_1)
	s_or_b32 s22, s22, s25
	s_and_not1_b32 exec_lo, exec_lo, s21
	s_cbranch_execz .LBB1122_209
.LBB1122_205:                           ; =>This Inner Loop Header: Depth=1
	global_load_u16 v10, v[2:3], off
	global_load_u16 v11, v[6:7], off
	s_mov_b32 s25, -1
	s_mov_b32 s28, 0
	s_mov_b32 s26, -1
	s_mov_b32 s27, exec_lo
	s_waitcnt vmcnt(1)
	v_lshlrev_b32_e32 v10, 16, v10
	s_waitcnt vmcnt(0)
	v_lshlrev_b32_e32 v11, 16, v11
	s_delay_alu instid0(VALU_DEP_1)
	v_cmpx_nlt_f32_e32 v10, v11
; %bb.206:                              ;   in Loop: Header=BB1122_205 Depth=1
	v_cmp_ngt_f32_e32 vcc_lo, v10, v11
	s_and_b32 s24, vcc_lo, s24
	s_and_b32 s28, vcc_lo, exec_lo
	s_or_not1_b32 s26, s24, exec_lo
; %bb.207:                              ;   in Loop: Header=BB1122_205 Depth=1
	s_or_b32 exec_lo, exec_lo, s27
	s_delay_alu instid0(SALU_CYCLE_1) | instskip(SKIP_1) | instid1(SALU_CYCLE_1)
	s_and_not1_b32 s23, s23, exec_lo
	s_and_b32 s24, s26, exec_lo
	s_or_b32 s23, s23, s24
                                        ; implicit-def: $sgpr24
	s_and_saveexec_b32 s27, s28
	s_cbranch_execz .LBB1122_204
; %bb.208:                              ;   in Loop: Header=BB1122_205 Depth=1
	v_add_co_u32 v2, vcc_lo, v2, 2
	s_add_u32 s0, s0, -1
	s_addc_u32 s1, s1, -1
	v_add_co_ci_u32_e32 v3, vcc_lo, 0, v3, vcc_lo
	v_add_co_u32 v6, vcc_lo, v6, 2
	s_cmp_eq_u64 s[0:1], 0
	v_add_co_ci_u32_e32 v7, vcc_lo, 0, v7, vcc_lo
	s_cselect_b32 s25, -1, 0
	s_and_b32 s24, s26, exec_lo
	s_and_not1_b32 s23, s23, exec_lo
	s_or_not1_b32 s25, s25, exec_lo
	s_branch .LBB1122_204
.LBB1122_209:
	s_set_inst_prefetch_distance 0x2
	s_or_b32 exec_lo, exec_lo, s21
	s_xor_b32 s0, s22, -1
	s_and_not1_b32 s1, s19, exec_lo
	s_and_b32 s0, s0, exec_lo
	s_delay_alu instid0(SALU_CYCLE_1)
	s_or_b32 s19, s1, s0
.LBB1122_210:
	s_or_b32 exec_lo, exec_lo, s20
	v_cndmask_b32_e64 v2, v9, v8, s19
	v_cndmask_b32_e64 v3, v19, v18, s19
	s_mov_b32 s20, -1
	s_mov_b32 s21, -1
	s_mov_b32 s22, exec_lo
	v_add_nc_u32_e32 v6, 1, v2
	v_add_nc_u32_e32 v2, -1, v3
	s_delay_alu instid0(VALU_DEP_2) | instskip(NEXT) | instid1(VALU_DEP_2)
	v_cndmask_b32_e64 v9, v6, v9, s19
	v_min_u32_e32 v2, v6, v2
	v_cndmask_b32_e64 v8, v8, v6, s19
	s_delay_alu instid0(VALU_DEP_2)
	v_lshl_add_u32 v2, v2, 3, v14
	ds_load_b64 v[2:3], v2
	s_waitcnt lgkmcnt(0)
	v_cndmask_b32_e64 v10, v3, v5, s19
	v_cndmask_b32_e64 v11, v2, v4, s19
	;; [unrolled: 1-line block ×4, first 2 shown]
	v_cmpx_lt_u32_e64 v9, v19
	s_cbranch_execz .LBB1122_220
; %bb.211:
	v_cmp_lt_u32_e64 s21, v8, v18
	s_xor_b32 s0, s12, -1
	s_delay_alu instid0(VALU_DEP_1) | instid1(SALU_CYCLE_1)
	s_and_b32 s0, s21, s0
	s_delay_alu instid0(SALU_CYCLE_1)
	s_and_saveexec_b32 s23, s0
	s_cbranch_execz .LBB1122_219
; %bb.212:
	v_mul_lo_u32 v37, v10, s8
	v_mul_lo_u32 v38, v11, s9
	v_mad_u64_u32 v[2:3], null, v11, s8, 0
	v_mul_lo_u32 v39, v20, s8
	v_mul_lo_u32 v40, v21, s9
	v_mad_u64_u32 v[6:7], null, v21, s8, 0
	s_mov_b32 s24, 0
	s_mov_b64 s[0:1], s[8:9]
	s_delay_alu instid0(VALU_DEP_4) | instskip(NEXT) | instid1(VALU_DEP_2)
	v_add3_u32 v3, v3, v38, v37
                                        ; implicit-def: $sgpr25
                                        ; implicit-def: $sgpr26
                                        ; implicit-def: $sgpr27
	v_add3_u32 v7, v7, v40, v39
	s_delay_alu instid0(VALU_DEP_2) | instskip(NEXT) | instid1(VALU_DEP_2)
	v_lshlrev_b64 v[2:3], 1, v[2:3]
	v_lshlrev_b64 v[6:7], 1, v[6:7]
	s_delay_alu instid0(VALU_DEP_2) | instskip(NEXT) | instid1(VALU_DEP_3)
	v_add_co_u32 v2, vcc_lo, s10, v2
	v_add_co_ci_u32_e32 v3, vcc_lo, s11, v3, vcc_lo
	s_delay_alu instid0(VALU_DEP_3) | instskip(NEXT) | instid1(VALU_DEP_4)
	v_add_co_u32 v6, vcc_lo, s10, v6
	v_add_co_ci_u32_e32 v7, vcc_lo, s11, v7, vcc_lo
	s_set_inst_prefetch_distance 0x1
	s_branch .LBB1122_214
	.p2align	6
.LBB1122_213:                           ;   in Loop: Header=BB1122_214 Depth=1
	s_or_b32 exec_lo, exec_lo, s30
	s_delay_alu instid0(SALU_CYCLE_1) | instskip(NEXT) | instid1(SALU_CYCLE_1)
	s_and_b32 s28, exec_lo, s28
	s_or_b32 s24, s28, s24
	s_and_not1_b32 s25, s25, exec_lo
	s_and_b32 s28, s26, exec_lo
	s_delay_alu instid0(SALU_CYCLE_1)
	s_or_b32 s25, s25, s28
	s_and_not1_b32 exec_lo, exec_lo, s24
	s_cbranch_execz .LBB1122_218
.LBB1122_214:                           ; =>This Inner Loop Header: Depth=1
	global_load_u16 v37, v[2:3], off
	global_load_u16 v38, v[6:7], off
	s_mov_b32 s28, -1
	s_mov_b32 s31, 0
	s_mov_b32 s29, -1
	s_mov_b32 s30, exec_lo
	s_waitcnt vmcnt(1)
	v_lshlrev_b32_e32 v37, 16, v37
	s_waitcnt vmcnt(0)
	v_lshlrev_b32_e32 v38, 16, v38
	s_delay_alu instid0(VALU_DEP_1)
	v_cmpx_nlt_f32_e32 v37, v38
; %bb.215:                              ;   in Loop: Header=BB1122_214 Depth=1
	v_cmp_ngt_f32_e32 vcc_lo, v37, v38
	s_and_b32 s27, vcc_lo, s27
	s_and_b32 s31, vcc_lo, exec_lo
	s_or_not1_b32 s29, s27, exec_lo
; %bb.216:                              ;   in Loop: Header=BB1122_214 Depth=1
	s_or_b32 exec_lo, exec_lo, s30
	s_delay_alu instid0(SALU_CYCLE_1) | instskip(SKIP_1) | instid1(SALU_CYCLE_1)
	s_and_not1_b32 s26, s26, exec_lo
	s_and_b32 s27, s29, exec_lo
	s_or_b32 s26, s26, s27
                                        ; implicit-def: $sgpr27
	s_and_saveexec_b32 s30, s31
	s_cbranch_execz .LBB1122_213
; %bb.217:                              ;   in Loop: Header=BB1122_214 Depth=1
	v_add_co_u32 v2, vcc_lo, v2, 2
	s_add_u32 s0, s0, -1
	s_addc_u32 s1, s1, -1
	v_add_co_ci_u32_e32 v3, vcc_lo, 0, v3, vcc_lo
	v_add_co_u32 v6, vcc_lo, v6, 2
	s_cmp_eq_u64 s[0:1], 0
	v_add_co_ci_u32_e32 v7, vcc_lo, 0, v7, vcc_lo
	s_cselect_b32 s28, -1, 0
	s_and_b32 s27, s29, exec_lo
	s_and_not1_b32 s26, s26, exec_lo
	s_or_not1_b32 s28, s28, exec_lo
	s_branch .LBB1122_213
.LBB1122_218:
	s_set_inst_prefetch_distance 0x2
	s_or_b32 exec_lo, exec_lo, s24
	s_xor_b32 s0, s25, -1
	s_and_not1_b32 s1, s21, exec_lo
	s_and_b32 s0, s0, exec_lo
	s_delay_alu instid0(SALU_CYCLE_1)
	s_or_b32 s21, s1, s0
.LBB1122_219:
	s_or_b32 exec_lo, exec_lo, s23
	s_delay_alu instid0(SALU_CYCLE_1)
	s_or_not1_b32 s21, s21, exec_lo
.LBB1122_220:
	s_or_b32 exec_lo, exec_lo, s22
	v_cndmask_b32_e64 v2, v9, v8, s21
	v_cndmask_b32_e64 v3, v19, v18, s21
	s_mov_b32 s22, exec_lo
	s_delay_alu instid0(VALU_DEP_2) | instskip(NEXT) | instid1(VALU_DEP_2)
	v_add_nc_u32_e32 v6, 1, v2
	v_add_nc_u32_e32 v2, -1, v3
	s_delay_alu instid0(VALU_DEP_2) | instskip(NEXT) | instid1(VALU_DEP_2)
	v_cndmask_b32_e64 v40, v6, v9, s21
	v_min_u32_e32 v2, v6, v2
	v_cndmask_b32_e64 v37, v8, v6, s21
	s_delay_alu instid0(VALU_DEP_2)
	v_lshl_add_u32 v2, v2, 3, v14
	ds_load_b64 v[2:3], v2
	s_waitcnt lgkmcnt(0)
	v_cndmask_b32_e64 v38, v3, v10, s21
	v_cndmask_b32_e64 v39, v2, v11, s21
	;; [unrolled: 1-line block ×4, first 2 shown]
	v_cmpx_lt_u32_e64 v40, v19
	s_cbranch_execz .LBB1122_230
; %bb.221:
	v_cmp_lt_u32_e64 s20, v37, v18
	s_xor_b32 s0, s12, -1
	s_delay_alu instid0(VALU_DEP_1) | instid1(SALU_CYCLE_1)
	s_and_b32 s0, s20, s0
	s_delay_alu instid0(SALU_CYCLE_1)
	s_and_saveexec_b32 s23, s0
	s_cbranch_execz .LBB1122_229
; %bb.222:
	v_mul_lo_u32 v8, v38, s8
	v_mul_lo_u32 v9, v39, s9
	v_mad_u64_u32 v[2:3], null, v39, s8, 0
	v_mul_lo_u32 v43, v41, s8
	v_mul_lo_u32 v44, v42, s9
	v_mad_u64_u32 v[6:7], null, v42, s8, 0
	s_mov_b32 s24, 0
	s_mov_b64 s[0:1], s[8:9]
	s_delay_alu instid0(VALU_DEP_4) | instskip(NEXT) | instid1(VALU_DEP_2)
	v_add3_u32 v3, v3, v9, v8
                                        ; implicit-def: $sgpr25
                                        ; implicit-def: $sgpr26
                                        ; implicit-def: $sgpr27
	v_add3_u32 v7, v7, v44, v43
	s_delay_alu instid0(VALU_DEP_2) | instskip(NEXT) | instid1(VALU_DEP_2)
	v_lshlrev_b64 v[2:3], 1, v[2:3]
	v_lshlrev_b64 v[6:7], 1, v[6:7]
	s_delay_alu instid0(VALU_DEP_2) | instskip(NEXT) | instid1(VALU_DEP_3)
	v_add_co_u32 v2, vcc_lo, s10, v2
	v_add_co_ci_u32_e32 v3, vcc_lo, s11, v3, vcc_lo
	s_delay_alu instid0(VALU_DEP_3) | instskip(NEXT) | instid1(VALU_DEP_4)
	v_add_co_u32 v6, vcc_lo, s10, v6
	v_add_co_ci_u32_e32 v7, vcc_lo, s11, v7, vcc_lo
	s_set_inst_prefetch_distance 0x1
	s_branch .LBB1122_224
	.p2align	6
.LBB1122_223:                           ;   in Loop: Header=BB1122_224 Depth=1
	s_or_b32 exec_lo, exec_lo, s30
	s_delay_alu instid0(SALU_CYCLE_1) | instskip(NEXT) | instid1(SALU_CYCLE_1)
	s_and_b32 s28, exec_lo, s28
	s_or_b32 s24, s28, s24
	s_and_not1_b32 s25, s25, exec_lo
	s_and_b32 s28, s26, exec_lo
	s_delay_alu instid0(SALU_CYCLE_1)
	s_or_b32 s25, s25, s28
	s_and_not1_b32 exec_lo, exec_lo, s24
	s_cbranch_execz .LBB1122_228
.LBB1122_224:                           ; =>This Inner Loop Header: Depth=1
	global_load_u16 v8, v[2:3], off
	global_load_u16 v9, v[6:7], off
	s_mov_b32 s28, -1
	s_mov_b32 s31, 0
	s_mov_b32 s29, -1
	s_mov_b32 s30, exec_lo
	s_waitcnt vmcnt(1)
	v_lshlrev_b32_e32 v8, 16, v8
	s_waitcnt vmcnt(0)
	v_lshlrev_b32_e32 v9, 16, v9
	s_delay_alu instid0(VALU_DEP_1)
	v_cmpx_nlt_f32_e32 v8, v9
; %bb.225:                              ;   in Loop: Header=BB1122_224 Depth=1
	v_cmp_ngt_f32_e32 vcc_lo, v8, v9
	s_and_b32 s27, vcc_lo, s27
	s_and_b32 s31, vcc_lo, exec_lo
	s_or_not1_b32 s29, s27, exec_lo
; %bb.226:                              ;   in Loop: Header=BB1122_224 Depth=1
	s_or_b32 exec_lo, exec_lo, s30
	s_delay_alu instid0(SALU_CYCLE_1) | instskip(SKIP_1) | instid1(SALU_CYCLE_1)
	s_and_not1_b32 s26, s26, exec_lo
	s_and_b32 s27, s29, exec_lo
	s_or_b32 s26, s26, s27
                                        ; implicit-def: $sgpr27
	s_and_saveexec_b32 s30, s31
	s_cbranch_execz .LBB1122_223
; %bb.227:                              ;   in Loop: Header=BB1122_224 Depth=1
	v_add_co_u32 v2, vcc_lo, v2, 2
	s_add_u32 s0, s0, -1
	s_addc_u32 s1, s1, -1
	v_add_co_ci_u32_e32 v3, vcc_lo, 0, v3, vcc_lo
	v_add_co_u32 v6, vcc_lo, v6, 2
	s_cmp_eq_u64 s[0:1], 0
	v_add_co_ci_u32_e32 v7, vcc_lo, 0, v7, vcc_lo
	s_cselect_b32 s28, -1, 0
	s_and_b32 s27, s29, exec_lo
	s_and_not1_b32 s26, s26, exec_lo
	s_or_not1_b32 s28, s28, exec_lo
	s_branch .LBB1122_223
.LBB1122_228:
	s_set_inst_prefetch_distance 0x2
	s_or_b32 exec_lo, exec_lo, s24
	s_xor_b32 s0, s25, -1
	s_and_not1_b32 s1, s20, exec_lo
	s_and_b32 s0, s0, exec_lo
	s_delay_alu instid0(SALU_CYCLE_1)
	s_or_b32 s20, s1, s0
.LBB1122_229:
	s_or_b32 exec_lo, exec_lo, s23
	s_delay_alu instid0(SALU_CYCLE_1)
	s_or_not1_b32 s20, s20, exec_lo
.LBB1122_230:
	s_or_b32 exec_lo, exec_lo, s22
	v_cndmask_b32_e64 v2, v40, v37, s20
	v_cndmask_b32_e64 v3, v19, v18, s20
	;; [unrolled: 1-line block ×5, first 2 shown]
	v_add_nc_u32_e32 v43, 1, v2
	v_add_nc_u32_e32 v2, -1, v3
	v_cndmask_b32_e64 v3, v10, v20, s21
	v_cndmask_b32_e64 v4, v39, v42, s20
	s_mov_b32 s19, exec_lo
	v_cndmask_b32_e64 v10, v43, v40, s20
	v_min_u32_e32 v2, v43, v2
	s_delay_alu instid0(VALU_DEP_1)
	v_lshl_add_u32 v2, v2, 3, v14
	ds_load_b64 v[8:9], v2
	v_cndmask_b32_e64 v2, v11, v21, s21
	s_waitcnt lgkmcnt(0)
	v_cndmask_b32_e64 v7, v41, v9, s20
	v_cndmask_b32_e64 v6, v42, v8, s20
	v_cmpx_lt_u32_e64 v10, v19
	s_cbranch_execz .LBB1122_240
; %bb.231:
	v_cndmask_b32_e64 v10, v37, v43, s20
	v_cndmask_b32_e64 v19, v9, v38, s20
	;; [unrolled: 1-line block ×3, first 2 shown]
	s_delay_alu instid0(VALU_DEP_3) | instskip(NEXT) | instid1(VALU_DEP_2)
	v_cmp_ge_u32_e32 vcc_lo, v10, v18
	v_dual_cndmask_b32 v9, v7, v19 :: v_dual_cndmask_b32 v8, v6, v20
	s_or_b32 s0, vcc_lo, s12
	s_delay_alu instid0(SALU_CYCLE_1) | instskip(NEXT) | instid1(SALU_CYCLE_1)
	s_xor_b32 s0, s0, -1
	s_and_saveexec_b32 s20, s0
	s_cbranch_execz .LBB1122_239
; %bb.232:
	v_mul_lo_u32 v18, v19, s8
	v_mul_lo_u32 v21, v20, s9
	v_mad_u64_u32 v[8:9], null, v20, s8, 0
	v_mul_lo_u32 v37, v7, s8
	v_mul_lo_u32 v38, v6, s9
	v_mad_u64_u32 v[10:11], null, v6, s8, 0
	s_mov_b32 s21, 0
	s_mov_b64 s[0:1], s[8:9]
	s_delay_alu instid0(VALU_DEP_4) | instskip(NEXT) | instid1(VALU_DEP_2)
	v_add3_u32 v9, v9, v21, v18
                                        ; implicit-def: $sgpr22
                                        ; implicit-def: $sgpr23
                                        ; implicit-def: $sgpr24
	v_add3_u32 v11, v11, v38, v37
	s_delay_alu instid0(VALU_DEP_2) | instskip(NEXT) | instid1(VALU_DEP_2)
	v_lshlrev_b64 v[8:9], 1, v[8:9]
	v_lshlrev_b64 v[10:11], 1, v[10:11]
	s_delay_alu instid0(VALU_DEP_2) | instskip(NEXT) | instid1(VALU_DEP_3)
	v_add_co_u32 v8, vcc_lo, s10, v8
	v_add_co_ci_u32_e32 v9, vcc_lo, s11, v9, vcc_lo
	s_delay_alu instid0(VALU_DEP_3) | instskip(NEXT) | instid1(VALU_DEP_4)
	v_add_co_u32 v10, vcc_lo, s10, v10
	v_add_co_ci_u32_e32 v11, vcc_lo, s11, v11, vcc_lo
	s_set_inst_prefetch_distance 0x1
	s_branch .LBB1122_234
	.p2align	6
.LBB1122_233:                           ;   in Loop: Header=BB1122_234 Depth=1
	s_or_b32 exec_lo, exec_lo, s27
	s_delay_alu instid0(SALU_CYCLE_1) | instskip(NEXT) | instid1(SALU_CYCLE_1)
	s_and_b32 s25, exec_lo, s25
	s_or_b32 s21, s25, s21
	s_and_not1_b32 s22, s22, exec_lo
	s_and_b32 s25, s23, exec_lo
	s_delay_alu instid0(SALU_CYCLE_1)
	s_or_b32 s22, s22, s25
	s_and_not1_b32 exec_lo, exec_lo, s21
	s_cbranch_execz .LBB1122_238
.LBB1122_234:                           ; =>This Inner Loop Header: Depth=1
	global_load_u16 v18, v[8:9], off
	global_load_u16 v21, v[10:11], off
	s_mov_b32 s25, -1
	s_mov_b32 s28, 0
	s_mov_b32 s26, -1
	s_mov_b32 s27, exec_lo
	s_waitcnt vmcnt(1)
	v_lshlrev_b32_e32 v18, 16, v18
	s_waitcnt vmcnt(0)
	v_lshlrev_b32_e32 v21, 16, v21
	s_delay_alu instid0(VALU_DEP_1)
	v_cmpx_nlt_f32_e32 v18, v21
; %bb.235:                              ;   in Loop: Header=BB1122_234 Depth=1
	v_cmp_ngt_f32_e32 vcc_lo, v18, v21
	s_and_b32 s24, vcc_lo, s24
	s_and_b32 s28, vcc_lo, exec_lo
	s_or_not1_b32 s26, s24, exec_lo
; %bb.236:                              ;   in Loop: Header=BB1122_234 Depth=1
	s_or_b32 exec_lo, exec_lo, s27
	s_delay_alu instid0(SALU_CYCLE_1) | instskip(SKIP_1) | instid1(SALU_CYCLE_1)
	s_and_not1_b32 s23, s23, exec_lo
	s_and_b32 s24, s26, exec_lo
	s_or_b32 s23, s23, s24
                                        ; implicit-def: $sgpr24
	s_and_saveexec_b32 s27, s28
	s_cbranch_execz .LBB1122_233
; %bb.237:                              ;   in Loop: Header=BB1122_234 Depth=1
	v_add_co_u32 v8, vcc_lo, v8, 2
	s_add_u32 s0, s0, -1
	s_addc_u32 s1, s1, -1
	v_add_co_ci_u32_e32 v9, vcc_lo, 0, v9, vcc_lo
	v_add_co_u32 v10, vcc_lo, v10, 2
	s_cmp_eq_u64 s[0:1], 0
	v_add_co_ci_u32_e32 v11, vcc_lo, 0, v11, vcc_lo
	s_cselect_b32 s25, -1, 0
	s_and_b32 s24, s26, exec_lo
	s_and_not1_b32 s23, s23, exec_lo
	s_or_not1_b32 s25, s25, exec_lo
	s_branch .LBB1122_233
.LBB1122_238:
	s_set_inst_prefetch_distance 0x2
	s_or_b32 exec_lo, exec_lo, s21
	v_cndmask_b32_e64 v9, v7, v19, s22
	v_cndmask_b32_e64 v8, v6, v20, s22
.LBB1122_239:
	s_or_b32 exec_lo, exec_lo, s20
	s_delay_alu instid0(VALU_DEP_1)
	v_dual_mov_b32 v6, v8 :: v_dual_mov_b32 v7, v9
.LBB1122_240:
	s_or_b32 exec_lo, exec_lo, s19
.LBB1122_241:
	s_delay_alu instid0(SALU_CYCLE_1) | instskip(SKIP_3) | instid1(VALU_DEP_2)
	s_or_b32 exec_lo, exec_lo, s17
	v_and_b32_e32 v20, 64, v16
	v_and_b32_e32 v9, 60, v16
	s_mov_b32 s17, exec_lo
	; wave barrier
	v_or_b32_e32 v8, 32, v20
	s_delay_alu instid0(VALU_DEP_2) | instskip(SKIP_4) | instid1(VALU_DEP_1)
	v_min_u32_e32 v21, v15, v9
	v_lshl_add_u32 v19, v20, 3, v14
	ds_store_b128 v17, v[0:3]
	ds_store_b128 v17, v[4:7] offset:16
	v_min_u32_e32 v18, v15, v8
	; wave barrier
	v_add_nc_u32_e32 v8, 32, v18
	v_sub_nc_u32_e32 v9, v18, v20
	s_delay_alu instid0(VALU_DEP_2) | instskip(NEXT) | instid1(VALU_DEP_2)
	v_min_u32_e32 v16, v15, v8
	v_min_u32_e32 v37, v21, v9
	s_delay_alu instid0(VALU_DEP_2) | instskip(NEXT) | instid1(VALU_DEP_1)
	v_sub_nc_u32_e32 v8, v16, v18
	v_sub_nc_u32_e64 v15, v21, v8 clamp
	s_delay_alu instid0(VALU_DEP_1)
	v_cmpx_lt_u32_e64 v15, v37
	s_cbranch_execz .LBB1122_253
; %bb.242:
	v_lshlrev_b32_e32 v8, 3, v18
	v_lshlrev_b32_e32 v9, 3, v21
	s_lshl_b64 s[0:1], s[8:9], 1
	s_mov_b32 s19, 0
	s_delay_alu instid0(VALU_DEP_1)
	v_add3_u32 v17, v14, v8, v9
	s_branch .LBB1122_245
.LBB1122_243:                           ;   in Loop: Header=BB1122_245 Depth=1
	s_set_inst_prefetch_distance 0x2
	s_or_b32 exec_lo, exec_lo, s23
.LBB1122_244:                           ;   in Loop: Header=BB1122_245 Depth=1
	s_delay_alu instid0(VALU_DEP_1) | instskip(SKIP_1) | instid1(VALU_DEP_2)
	v_add_nc_u32_e32 v8, 1, v38
	v_cndmask_b32_e64 v37, v37, v38, s22
	v_cndmask_b32_e64 v15, v8, v15, s22
	s_delay_alu instid0(VALU_DEP_1) | instskip(SKIP_1) | instid1(SALU_CYCLE_1)
	v_cmp_ge_u32_e32 vcc_lo, v15, v37
	s_or_b32 s19, vcc_lo, s19
	s_and_not1_b32 exec_lo, exec_lo, s19
	s_cbranch_execz .LBB1122_252
.LBB1122_245:                           ; =>This Loop Header: Depth=1
                                        ;     Child Loop BB1122_248 Depth 2
	v_add_nc_u32_e32 v8, v37, v15
	v_cmp_ne_u32_e32 vcc_lo, 1, v36
	s_mov_b32 s22, 0
	s_delay_alu instid0(VALU_DEP_2)
	v_lshrrev_b32_e32 v38, 1, v8
	s_cbranch_vccnz .LBB1122_244
; %bb.246:                              ;   in Loop: Header=BB1122_245 Depth=1
	s_delay_alu instid0(VALU_DEP_1) | instskip(SKIP_3) | instid1(VALU_DEP_2)
	v_not_b32_e32 v8, v38
	v_lshl_add_u32 v9, v38, 3, v19
	s_mov_b32 s23, 0
	s_mov_b64 s[20:21], s[8:9]
                                        ; implicit-def: $sgpr22
                                        ; implicit-def: $sgpr24
                                        ; implicit-def: $sgpr25
	v_lshl_add_u32 v8, v8, 3, v17
	ds_load_b64 v[10:11], v8
	ds_load_b64 v[39:40], v9
	s_waitcnt lgkmcnt(1)
	v_mul_lo_u32 v41, s0, v11
	v_mul_lo_u32 v42, s1, v10
	v_mad_u64_u32 v[8:9], null, s0, v10, s[10:11]
	s_waitcnt lgkmcnt(0)
	v_mul_lo_u32 v40, s0, v40
	v_mul_lo_u32 v43, s1, v39
	v_mad_u64_u32 v[10:11], null, s0, v39, s[10:11]
	s_delay_alu instid0(VALU_DEP_4) | instskip(NEXT) | instid1(VALU_DEP_2)
	v_add3_u32 v9, v42, v9, v41
	v_add3_u32 v11, v43, v11, v40
	s_set_inst_prefetch_distance 0x1
	s_branch .LBB1122_248
	.p2align	6
.LBB1122_247:                           ;   in Loop: Header=BB1122_248 Depth=2
	s_or_b32 exec_lo, exec_lo, s28
	s_delay_alu instid0(SALU_CYCLE_1) | instskip(NEXT) | instid1(SALU_CYCLE_1)
	s_and_b32 s26, exec_lo, s27
	s_or_b32 s23, s26, s23
	s_and_not1_b32 s22, s22, exec_lo
	s_and_b32 s26, s24, exec_lo
	s_delay_alu instid0(SALU_CYCLE_1)
	s_or_b32 s22, s22, s26
	s_and_not1_b32 exec_lo, exec_lo, s23
	s_cbranch_execz .LBB1122_243
.LBB1122_248:                           ;   Parent Loop BB1122_245 Depth=1
                                        ; =>  This Inner Loop Header: Depth=2
	global_load_u16 v39, v[8:9], off
	global_load_u16 v40, v[10:11], off
	s_mov_b32 s27, -1
	s_mov_b32 s29, 0
	s_mov_b32 s26, -1
	s_mov_b32 s28, exec_lo
	s_waitcnt vmcnt(1)
	v_lshlrev_b32_e32 v39, 16, v39
	s_waitcnt vmcnt(0)
	v_lshlrev_b32_e32 v40, 16, v40
	s_delay_alu instid0(VALU_DEP_1)
	v_cmpx_nlt_f32_e32 v39, v40
; %bb.249:                              ;   in Loop: Header=BB1122_248 Depth=2
	v_cmp_ngt_f32_e32 vcc_lo, v39, v40
	s_and_b32 s25, vcc_lo, s25
	s_and_b32 s29, vcc_lo, exec_lo
	s_or_not1_b32 s26, s25, exec_lo
; %bb.250:                              ;   in Loop: Header=BB1122_248 Depth=2
	s_or_b32 exec_lo, exec_lo, s28
	s_delay_alu instid0(SALU_CYCLE_1) | instskip(SKIP_1) | instid1(SALU_CYCLE_1)
	s_and_not1_b32 s24, s24, exec_lo
	s_and_b32 s25, s26, exec_lo
	s_or_b32 s24, s24, s25
                                        ; implicit-def: $sgpr25
	s_and_saveexec_b32 s28, s29
	s_cbranch_execz .LBB1122_247
; %bb.251:                              ;   in Loop: Header=BB1122_248 Depth=2
	v_add_co_u32 v8, vcc_lo, v8, 2
	s_add_u32 s20, s20, -1
	s_addc_u32 s21, s21, -1
	v_add_co_ci_u32_e32 v9, vcc_lo, 0, v9, vcc_lo
	v_add_co_u32 v10, vcc_lo, v10, 2
	s_cmp_eq_u64 s[20:21], 0
	v_add_co_ci_u32_e32 v11, vcc_lo, 0, v11, vcc_lo
	s_cselect_b32 s27, -1, 0
	s_and_not1_b32 s24, s24, exec_lo
	s_and_b32 s25, s26, exec_lo
	s_or_not1_b32 s27, s27, exec_lo
	s_branch .LBB1122_247
.LBB1122_252:
	s_or_b32 exec_lo, exec_lo, s19
.LBB1122_253:
	s_delay_alu instid0(SALU_CYCLE_1) | instskip(SKIP_2) | instid1(VALU_DEP_2)
	s_or_b32 exec_lo, exec_lo, s17
	v_add_nc_u32_e32 v9, v18, v21
	v_add_nc_u32_e32 v8, v15, v20
	v_sub_nc_u32_e32 v9, v9, v15
	s_delay_alu instid0(VALU_DEP_2) | instskip(NEXT) | instid1(VALU_DEP_2)
	v_cmp_le_u32_e32 vcc_lo, v8, v18
	v_cmp_le_u32_e64 s0, v9, v16
	s_delay_alu instid0(VALU_DEP_1) | instskip(NEXT) | instid1(SALU_CYCLE_1)
	s_or_b32 s0, vcc_lo, s0
	s_and_saveexec_b32 s17, s0
	s_cbranch_execz .LBB1122_297
; %bb.254:
	v_cmp_ge_u32_e32 vcc_lo, v8, v18
	s_mov_b32 s1, exec_lo
                                        ; implicit-def: $vgpr0_vgpr1
	v_cmpx_lt_u32_e64 v8, v18
	s_cbranch_execz .LBB1122_256
; %bb.255:
	v_lshl_add_u32 v0, v15, 3, v19
	ds_load_b64 v[0:1], v0
.LBB1122_256:
	s_or_b32 exec_lo, exec_lo, s1
	v_cmp_ge_u32_e64 s0, v9, v16
	s_mov_b32 s19, exec_lo
                                        ; implicit-def: $vgpr4_vgpr5
	v_cmpx_lt_u32_e64 v9, v16
	s_cbranch_execz .LBB1122_258
; %bb.257:
	v_lshl_add_u32 v2, v9, 3, v14
	ds_load_b64 v[4:5], v2
.LBB1122_258:
	s_or_b32 exec_lo, exec_lo, s19
	s_or_b32 s1, vcc_lo, s0
	s_xor_b32 s19, vcc_lo, -1
	s_or_b32 s1, s1, s12
	s_or_b32 s19, s0, s19
	s_xor_b32 s1, s1, -1
	s_delay_alu instid0(SALU_CYCLE_1)
	s_and_saveexec_b32 s20, s1
	s_cbranch_execz .LBB1122_266
; %bb.259:
	s_waitcnt lgkmcnt(0)
	v_mul_lo_u32 v10, v5, s8
	v_mul_lo_u32 v11, v4, s9
	v_mad_u64_u32 v[2:3], null, v4, s8, 0
	v_mul_lo_u32 v15, v1, s8
	v_mul_lo_u32 v17, v0, s9
	v_mad_u64_u32 v[6:7], null, v0, s8, 0
	s_mov_b32 s21, 0
	s_mov_b64 s[0:1], s[8:9]
	s_delay_alu instid0(VALU_DEP_4) | instskip(NEXT) | instid1(VALU_DEP_2)
	v_add3_u32 v3, v3, v11, v10
                                        ; implicit-def: $sgpr22
                                        ; implicit-def: $sgpr23
                                        ; implicit-def: $sgpr24
	v_add3_u32 v7, v7, v17, v15
	s_delay_alu instid0(VALU_DEP_2) | instskip(NEXT) | instid1(VALU_DEP_2)
	v_lshlrev_b64 v[2:3], 1, v[2:3]
	v_lshlrev_b64 v[6:7], 1, v[6:7]
	s_delay_alu instid0(VALU_DEP_2) | instskip(NEXT) | instid1(VALU_DEP_3)
	v_add_co_u32 v2, vcc_lo, s10, v2
	v_add_co_ci_u32_e32 v3, vcc_lo, s11, v3, vcc_lo
	s_delay_alu instid0(VALU_DEP_3) | instskip(NEXT) | instid1(VALU_DEP_4)
	v_add_co_u32 v6, vcc_lo, s10, v6
	v_add_co_ci_u32_e32 v7, vcc_lo, s11, v7, vcc_lo
	s_set_inst_prefetch_distance 0x1
	s_branch .LBB1122_261
	.p2align	6
.LBB1122_260:                           ;   in Loop: Header=BB1122_261 Depth=1
	s_or_b32 exec_lo, exec_lo, s27
	s_delay_alu instid0(SALU_CYCLE_1) | instskip(NEXT) | instid1(SALU_CYCLE_1)
	s_and_b32 s25, exec_lo, s25
	s_or_b32 s21, s25, s21
	s_and_not1_b32 s22, s22, exec_lo
	s_and_b32 s25, s23, exec_lo
	s_delay_alu instid0(SALU_CYCLE_1)
	s_or_b32 s22, s22, s25
	s_and_not1_b32 exec_lo, exec_lo, s21
	s_cbranch_execz .LBB1122_265
.LBB1122_261:                           ; =>This Inner Loop Header: Depth=1
	global_load_u16 v10, v[2:3], off
	global_load_u16 v11, v[6:7], off
	s_mov_b32 s25, -1
	s_mov_b32 s28, 0
	s_mov_b32 s26, -1
	s_mov_b32 s27, exec_lo
	s_waitcnt vmcnt(1)
	v_lshlrev_b32_e32 v10, 16, v10
	s_waitcnt vmcnt(0)
	v_lshlrev_b32_e32 v11, 16, v11
	s_delay_alu instid0(VALU_DEP_1)
	v_cmpx_nlt_f32_e32 v10, v11
; %bb.262:                              ;   in Loop: Header=BB1122_261 Depth=1
	v_cmp_ngt_f32_e32 vcc_lo, v10, v11
	s_and_b32 s24, vcc_lo, s24
	s_and_b32 s28, vcc_lo, exec_lo
	s_or_not1_b32 s26, s24, exec_lo
; %bb.263:                              ;   in Loop: Header=BB1122_261 Depth=1
	s_or_b32 exec_lo, exec_lo, s27
	s_delay_alu instid0(SALU_CYCLE_1) | instskip(SKIP_1) | instid1(SALU_CYCLE_1)
	s_and_not1_b32 s23, s23, exec_lo
	s_and_b32 s24, s26, exec_lo
	s_or_b32 s23, s23, s24
                                        ; implicit-def: $sgpr24
	s_and_saveexec_b32 s27, s28
	s_cbranch_execz .LBB1122_260
; %bb.264:                              ;   in Loop: Header=BB1122_261 Depth=1
	v_add_co_u32 v2, vcc_lo, v2, 2
	s_add_u32 s0, s0, -1
	s_addc_u32 s1, s1, -1
	v_add_co_ci_u32_e32 v3, vcc_lo, 0, v3, vcc_lo
	v_add_co_u32 v6, vcc_lo, v6, 2
	s_cmp_eq_u64 s[0:1], 0
	v_add_co_ci_u32_e32 v7, vcc_lo, 0, v7, vcc_lo
	s_cselect_b32 s25, -1, 0
	s_and_b32 s24, s26, exec_lo
	s_and_not1_b32 s23, s23, exec_lo
	s_or_not1_b32 s25, s25, exec_lo
	s_branch .LBB1122_260
.LBB1122_265:
	s_set_inst_prefetch_distance 0x2
	s_or_b32 exec_lo, exec_lo, s21
	s_xor_b32 s0, s22, -1
	s_and_not1_b32 s1, s19, exec_lo
	s_and_b32 s0, s0, exec_lo
	s_delay_alu instid0(SALU_CYCLE_1)
	s_or_b32 s19, s1, s0
.LBB1122_266:
	s_or_b32 exec_lo, exec_lo, s20
	v_cndmask_b32_e64 v2, v9, v8, s19
	v_cndmask_b32_e64 v3, v16, v18, s19
	s_mov_b32 s20, -1
	s_mov_b32 s21, -1
	s_mov_b32 s22, exec_lo
	v_add_nc_u32_e32 v6, 1, v2
	v_add_nc_u32_e32 v2, -1, v3
	s_delay_alu instid0(VALU_DEP_2) | instskip(NEXT) | instid1(VALU_DEP_2)
	v_cndmask_b32_e64 v9, v6, v9, s19
	v_min_u32_e32 v2, v6, v2
	v_cndmask_b32_e64 v8, v8, v6, s19
	s_delay_alu instid0(VALU_DEP_2)
	v_lshl_add_u32 v2, v2, 3, v14
	ds_load_b64 v[2:3], v2
	s_waitcnt lgkmcnt(0)
	v_cndmask_b32_e64 v10, v3, v5, s19
	v_cndmask_b32_e64 v11, v2, v4, s19
	;; [unrolled: 1-line block ×4, first 2 shown]
	v_cmpx_lt_u32_e64 v9, v16
	s_cbranch_execz .LBB1122_276
; %bb.267:
	v_cmp_lt_u32_e64 s21, v8, v18
	s_xor_b32 s0, s12, -1
	s_delay_alu instid0(VALU_DEP_1) | instid1(SALU_CYCLE_1)
	s_and_b32 s0, s21, s0
	s_delay_alu instid0(SALU_CYCLE_1)
	s_and_saveexec_b32 s23, s0
	s_cbranch_execz .LBB1122_275
; %bb.268:
	v_mul_lo_u32 v19, v10, s8
	v_mul_lo_u32 v20, v11, s9
	v_mad_u64_u32 v[2:3], null, v11, s8, 0
	v_mul_lo_u32 v21, v15, s8
	v_mul_lo_u32 v37, v17, s9
	v_mad_u64_u32 v[6:7], null, v17, s8, 0
	s_mov_b32 s24, 0
	s_mov_b64 s[0:1], s[8:9]
	s_delay_alu instid0(VALU_DEP_4) | instskip(NEXT) | instid1(VALU_DEP_2)
	v_add3_u32 v3, v3, v20, v19
                                        ; implicit-def: $sgpr25
                                        ; implicit-def: $sgpr26
                                        ; implicit-def: $sgpr27
	v_add3_u32 v7, v7, v37, v21
	s_delay_alu instid0(VALU_DEP_2) | instskip(NEXT) | instid1(VALU_DEP_2)
	v_lshlrev_b64 v[2:3], 1, v[2:3]
	v_lshlrev_b64 v[6:7], 1, v[6:7]
	s_delay_alu instid0(VALU_DEP_2) | instskip(NEXT) | instid1(VALU_DEP_3)
	v_add_co_u32 v2, vcc_lo, s10, v2
	v_add_co_ci_u32_e32 v3, vcc_lo, s11, v3, vcc_lo
	s_delay_alu instid0(VALU_DEP_3) | instskip(NEXT) | instid1(VALU_DEP_4)
	v_add_co_u32 v6, vcc_lo, s10, v6
	v_add_co_ci_u32_e32 v7, vcc_lo, s11, v7, vcc_lo
	s_set_inst_prefetch_distance 0x1
	s_branch .LBB1122_270
	.p2align	6
.LBB1122_269:                           ;   in Loop: Header=BB1122_270 Depth=1
	s_or_b32 exec_lo, exec_lo, s30
	s_delay_alu instid0(SALU_CYCLE_1) | instskip(NEXT) | instid1(SALU_CYCLE_1)
	s_and_b32 s28, exec_lo, s28
	s_or_b32 s24, s28, s24
	s_and_not1_b32 s25, s25, exec_lo
	s_and_b32 s28, s26, exec_lo
	s_delay_alu instid0(SALU_CYCLE_1)
	s_or_b32 s25, s25, s28
	s_and_not1_b32 exec_lo, exec_lo, s24
	s_cbranch_execz .LBB1122_274
.LBB1122_270:                           ; =>This Inner Loop Header: Depth=1
	global_load_u16 v19, v[2:3], off
	global_load_u16 v20, v[6:7], off
	s_mov_b32 s28, -1
	s_mov_b32 s31, 0
	s_mov_b32 s29, -1
	s_mov_b32 s30, exec_lo
	s_waitcnt vmcnt(1)
	v_lshlrev_b32_e32 v19, 16, v19
	s_waitcnt vmcnt(0)
	v_lshlrev_b32_e32 v20, 16, v20
	s_delay_alu instid0(VALU_DEP_1)
	v_cmpx_nlt_f32_e32 v19, v20
; %bb.271:                              ;   in Loop: Header=BB1122_270 Depth=1
	v_cmp_ngt_f32_e32 vcc_lo, v19, v20
	s_and_b32 s27, vcc_lo, s27
	s_and_b32 s31, vcc_lo, exec_lo
	s_or_not1_b32 s29, s27, exec_lo
; %bb.272:                              ;   in Loop: Header=BB1122_270 Depth=1
	s_or_b32 exec_lo, exec_lo, s30
	s_delay_alu instid0(SALU_CYCLE_1) | instskip(SKIP_1) | instid1(SALU_CYCLE_1)
	s_and_not1_b32 s26, s26, exec_lo
	s_and_b32 s27, s29, exec_lo
	s_or_b32 s26, s26, s27
                                        ; implicit-def: $sgpr27
	s_and_saveexec_b32 s30, s31
	s_cbranch_execz .LBB1122_269
; %bb.273:                              ;   in Loop: Header=BB1122_270 Depth=1
	v_add_co_u32 v2, vcc_lo, v2, 2
	s_add_u32 s0, s0, -1
	s_addc_u32 s1, s1, -1
	v_add_co_ci_u32_e32 v3, vcc_lo, 0, v3, vcc_lo
	v_add_co_u32 v6, vcc_lo, v6, 2
	s_cmp_eq_u64 s[0:1], 0
	v_add_co_ci_u32_e32 v7, vcc_lo, 0, v7, vcc_lo
	s_cselect_b32 s28, -1, 0
	s_and_b32 s27, s29, exec_lo
	s_and_not1_b32 s26, s26, exec_lo
	s_or_not1_b32 s28, s28, exec_lo
	s_branch .LBB1122_269
.LBB1122_274:
	s_set_inst_prefetch_distance 0x2
	s_or_b32 exec_lo, exec_lo, s24
	s_xor_b32 s0, s25, -1
	s_and_not1_b32 s1, s21, exec_lo
	s_and_b32 s0, s0, exec_lo
	s_delay_alu instid0(SALU_CYCLE_1)
	s_or_b32 s21, s1, s0
.LBB1122_275:
	s_or_b32 exec_lo, exec_lo, s23
	s_delay_alu instid0(SALU_CYCLE_1)
	s_or_not1_b32 s21, s21, exec_lo
.LBB1122_276:
	s_or_b32 exec_lo, exec_lo, s22
	v_cndmask_b32_e64 v2, v9, v8, s21
	v_cndmask_b32_e64 v3, v16, v18, s21
	s_mov_b32 s22, exec_lo
	s_delay_alu instid0(VALU_DEP_2) | instskip(NEXT) | instid1(VALU_DEP_2)
	v_add_nc_u32_e32 v6, 1, v2
	v_add_nc_u32_e32 v2, -1, v3
	s_delay_alu instid0(VALU_DEP_2) | instskip(NEXT) | instid1(VALU_DEP_2)
	v_cndmask_b32_e64 v37, v6, v9, s21
	v_min_u32_e32 v2, v6, v2
	v_cndmask_b32_e64 v19, v8, v6, s21
	s_delay_alu instid0(VALU_DEP_2)
	v_lshl_add_u32 v2, v2, 3, v14
	ds_load_b64 v[2:3], v2
	s_waitcnt lgkmcnt(0)
	v_cndmask_b32_e64 v20, v3, v10, s21
	v_cndmask_b32_e64 v21, v2, v11, s21
	;; [unrolled: 1-line block ×4, first 2 shown]
	v_cmpx_lt_u32_e64 v37, v16
	s_cbranch_execz .LBB1122_286
; %bb.277:
	v_cmp_lt_u32_e64 s20, v19, v18
	s_xor_b32 s0, s12, -1
	s_delay_alu instid0(VALU_DEP_1) | instid1(SALU_CYCLE_1)
	s_and_b32 s0, s20, s0
	s_delay_alu instid0(SALU_CYCLE_1)
	s_and_saveexec_b32 s23, s0
	s_cbranch_execz .LBB1122_285
; %bb.278:
	v_mul_lo_u32 v8, v20, s8
	v_mul_lo_u32 v9, v21, s9
	v_mad_u64_u32 v[2:3], null, v21, s8, 0
	v_mul_lo_u32 v40, v38, s8
	v_mul_lo_u32 v41, v39, s9
	v_mad_u64_u32 v[6:7], null, v39, s8, 0
	s_mov_b32 s24, 0
	s_mov_b64 s[0:1], s[8:9]
	s_delay_alu instid0(VALU_DEP_4) | instskip(NEXT) | instid1(VALU_DEP_2)
	v_add3_u32 v3, v3, v9, v8
                                        ; implicit-def: $sgpr25
                                        ; implicit-def: $sgpr26
                                        ; implicit-def: $sgpr27
	v_add3_u32 v7, v7, v41, v40
	s_delay_alu instid0(VALU_DEP_2) | instskip(NEXT) | instid1(VALU_DEP_2)
	v_lshlrev_b64 v[2:3], 1, v[2:3]
	v_lshlrev_b64 v[6:7], 1, v[6:7]
	s_delay_alu instid0(VALU_DEP_2) | instskip(NEXT) | instid1(VALU_DEP_3)
	v_add_co_u32 v2, vcc_lo, s10, v2
	v_add_co_ci_u32_e32 v3, vcc_lo, s11, v3, vcc_lo
	s_delay_alu instid0(VALU_DEP_3) | instskip(NEXT) | instid1(VALU_DEP_4)
	v_add_co_u32 v6, vcc_lo, s10, v6
	v_add_co_ci_u32_e32 v7, vcc_lo, s11, v7, vcc_lo
	s_set_inst_prefetch_distance 0x1
	s_branch .LBB1122_280
	.p2align	6
.LBB1122_279:                           ;   in Loop: Header=BB1122_280 Depth=1
	s_or_b32 exec_lo, exec_lo, s30
	s_delay_alu instid0(SALU_CYCLE_1) | instskip(NEXT) | instid1(SALU_CYCLE_1)
	s_and_b32 s28, exec_lo, s28
	s_or_b32 s24, s28, s24
	s_and_not1_b32 s25, s25, exec_lo
	s_and_b32 s28, s26, exec_lo
	s_delay_alu instid0(SALU_CYCLE_1)
	s_or_b32 s25, s25, s28
	s_and_not1_b32 exec_lo, exec_lo, s24
	s_cbranch_execz .LBB1122_284
.LBB1122_280:                           ; =>This Inner Loop Header: Depth=1
	global_load_u16 v8, v[2:3], off
	global_load_u16 v9, v[6:7], off
	s_mov_b32 s28, -1
	s_mov_b32 s31, 0
	s_mov_b32 s29, -1
	s_mov_b32 s30, exec_lo
	s_waitcnt vmcnt(1)
	v_lshlrev_b32_e32 v8, 16, v8
	s_waitcnt vmcnt(0)
	v_lshlrev_b32_e32 v9, 16, v9
	s_delay_alu instid0(VALU_DEP_1)
	v_cmpx_nlt_f32_e32 v8, v9
; %bb.281:                              ;   in Loop: Header=BB1122_280 Depth=1
	v_cmp_ngt_f32_e32 vcc_lo, v8, v9
	s_and_b32 s27, vcc_lo, s27
	s_and_b32 s31, vcc_lo, exec_lo
	s_or_not1_b32 s29, s27, exec_lo
; %bb.282:                              ;   in Loop: Header=BB1122_280 Depth=1
	s_or_b32 exec_lo, exec_lo, s30
	s_delay_alu instid0(SALU_CYCLE_1) | instskip(SKIP_1) | instid1(SALU_CYCLE_1)
	s_and_not1_b32 s26, s26, exec_lo
	s_and_b32 s27, s29, exec_lo
	s_or_b32 s26, s26, s27
                                        ; implicit-def: $sgpr27
	s_and_saveexec_b32 s30, s31
	s_cbranch_execz .LBB1122_279
; %bb.283:                              ;   in Loop: Header=BB1122_280 Depth=1
	v_add_co_u32 v2, vcc_lo, v2, 2
	s_add_u32 s0, s0, -1
	s_addc_u32 s1, s1, -1
	v_add_co_ci_u32_e32 v3, vcc_lo, 0, v3, vcc_lo
	v_add_co_u32 v6, vcc_lo, v6, 2
	s_cmp_eq_u64 s[0:1], 0
	v_add_co_ci_u32_e32 v7, vcc_lo, 0, v7, vcc_lo
	s_cselect_b32 s28, -1, 0
	s_and_b32 s27, s29, exec_lo
	s_and_not1_b32 s26, s26, exec_lo
	s_or_not1_b32 s28, s28, exec_lo
	s_branch .LBB1122_279
.LBB1122_284:
	s_set_inst_prefetch_distance 0x2
	s_or_b32 exec_lo, exec_lo, s24
	s_xor_b32 s0, s25, -1
	s_and_not1_b32 s1, s20, exec_lo
	s_and_b32 s0, s0, exec_lo
	s_delay_alu instid0(SALU_CYCLE_1)
	s_or_b32 s20, s1, s0
.LBB1122_285:
	s_or_b32 exec_lo, exec_lo, s23
	s_delay_alu instid0(SALU_CYCLE_1)
	s_or_not1_b32 s20, s20, exec_lo
.LBB1122_286:
	s_or_b32 exec_lo, exec_lo, s22
	v_cndmask_b32_e64 v2, v37, v19, s20
	v_cndmask_b32_e64 v3, v16, v18, s20
	;; [unrolled: 1-line block ×5, first 2 shown]
	v_add_nc_u32_e32 v40, 1, v2
	v_add_nc_u32_e32 v2, -1, v3
	v_cndmask_b32_e64 v3, v10, v15, s21
	v_cndmask_b32_e64 v4, v21, v39, s20
	s_mov_b32 s19, exec_lo
	v_cndmask_b32_e64 v10, v40, v37, s20
	v_min_u32_e32 v2, v40, v2
	s_delay_alu instid0(VALU_DEP_1)
	v_lshl_add_u32 v2, v2, 3, v14
	ds_load_b64 v[8:9], v2
	v_cndmask_b32_e64 v2, v11, v17, s21
	s_waitcnt lgkmcnt(0)
	v_cndmask_b32_e64 v7, v38, v9, s20
	v_cndmask_b32_e64 v6, v39, v8, s20
	v_cmpx_lt_u32_e64 v10, v16
	s_cbranch_execz .LBB1122_296
; %bb.287:
	v_cndmask_b32_e64 v10, v19, v40, s20
	v_cndmask_b32_e64 v14, v9, v20, s20
	;; [unrolled: 1-line block ×3, first 2 shown]
	s_delay_alu instid0(VALU_DEP_3) | instskip(NEXT) | instid1(VALU_DEP_2)
	v_cmp_ge_u32_e32 vcc_lo, v10, v18
	v_dual_cndmask_b32 v9, v7, v14 :: v_dual_cndmask_b32 v8, v6, v15
	s_or_b32 s0, vcc_lo, s12
	s_delay_alu instid0(SALU_CYCLE_1) | instskip(NEXT) | instid1(SALU_CYCLE_1)
	s_xor_b32 s0, s0, -1
	s_and_saveexec_b32 s20, s0
	s_cbranch_execz .LBB1122_295
; %bb.288:
	v_mul_lo_u32 v16, v14, s8
	v_mul_lo_u32 v17, v15, s9
	v_mad_u64_u32 v[8:9], null, v15, s8, 0
	v_mul_lo_u32 v18, v7, s8
	v_mul_lo_u32 v19, v6, s9
	v_mad_u64_u32 v[10:11], null, v6, s8, 0
	s_mov_b32 s21, 0
	s_mov_b64 s[0:1], s[8:9]
	s_delay_alu instid0(VALU_DEP_4) | instskip(NEXT) | instid1(VALU_DEP_2)
	v_add3_u32 v9, v9, v17, v16
                                        ; implicit-def: $sgpr22
                                        ; implicit-def: $sgpr23
                                        ; implicit-def: $sgpr24
	v_add3_u32 v11, v11, v19, v18
	s_delay_alu instid0(VALU_DEP_2) | instskip(NEXT) | instid1(VALU_DEP_2)
	v_lshlrev_b64 v[8:9], 1, v[8:9]
	v_lshlrev_b64 v[10:11], 1, v[10:11]
	s_delay_alu instid0(VALU_DEP_2) | instskip(NEXT) | instid1(VALU_DEP_3)
	v_add_co_u32 v8, vcc_lo, s10, v8
	v_add_co_ci_u32_e32 v9, vcc_lo, s11, v9, vcc_lo
	s_delay_alu instid0(VALU_DEP_3) | instskip(NEXT) | instid1(VALU_DEP_4)
	v_add_co_u32 v10, vcc_lo, s10, v10
	v_add_co_ci_u32_e32 v11, vcc_lo, s11, v11, vcc_lo
	s_set_inst_prefetch_distance 0x1
	s_branch .LBB1122_290
	.p2align	6
.LBB1122_289:                           ;   in Loop: Header=BB1122_290 Depth=1
	s_or_b32 exec_lo, exec_lo, s27
	s_delay_alu instid0(SALU_CYCLE_1) | instskip(NEXT) | instid1(SALU_CYCLE_1)
	s_and_b32 s25, exec_lo, s25
	s_or_b32 s21, s25, s21
	s_and_not1_b32 s22, s22, exec_lo
	s_and_b32 s25, s23, exec_lo
	s_delay_alu instid0(SALU_CYCLE_1)
	s_or_b32 s22, s22, s25
	s_and_not1_b32 exec_lo, exec_lo, s21
	s_cbranch_execz .LBB1122_294
.LBB1122_290:                           ; =>This Inner Loop Header: Depth=1
	global_load_u16 v16, v[8:9], off
	global_load_u16 v17, v[10:11], off
	s_mov_b32 s25, -1
	s_mov_b32 s28, 0
	s_mov_b32 s26, -1
	s_mov_b32 s27, exec_lo
	s_waitcnt vmcnt(1)
	v_lshlrev_b32_e32 v16, 16, v16
	s_waitcnt vmcnt(0)
	v_lshlrev_b32_e32 v17, 16, v17
	s_delay_alu instid0(VALU_DEP_1)
	v_cmpx_nlt_f32_e32 v16, v17
; %bb.291:                              ;   in Loop: Header=BB1122_290 Depth=1
	v_cmp_ngt_f32_e32 vcc_lo, v16, v17
	s_and_b32 s24, vcc_lo, s24
	s_and_b32 s28, vcc_lo, exec_lo
	s_or_not1_b32 s26, s24, exec_lo
; %bb.292:                              ;   in Loop: Header=BB1122_290 Depth=1
	s_or_b32 exec_lo, exec_lo, s27
	s_delay_alu instid0(SALU_CYCLE_1) | instskip(SKIP_1) | instid1(SALU_CYCLE_1)
	s_and_not1_b32 s23, s23, exec_lo
	s_and_b32 s24, s26, exec_lo
	s_or_b32 s23, s23, s24
                                        ; implicit-def: $sgpr24
	s_and_saveexec_b32 s27, s28
	s_cbranch_execz .LBB1122_289
; %bb.293:                              ;   in Loop: Header=BB1122_290 Depth=1
	v_add_co_u32 v8, vcc_lo, v8, 2
	s_add_u32 s0, s0, -1
	s_addc_u32 s1, s1, -1
	v_add_co_ci_u32_e32 v9, vcc_lo, 0, v9, vcc_lo
	v_add_co_u32 v10, vcc_lo, v10, 2
	s_cmp_eq_u64 s[0:1], 0
	v_add_co_ci_u32_e32 v11, vcc_lo, 0, v11, vcc_lo
	s_cselect_b32 s25, -1, 0
	s_and_b32 s24, s26, exec_lo
	s_and_not1_b32 s23, s23, exec_lo
	s_or_not1_b32 s25, s25, exec_lo
	s_branch .LBB1122_289
.LBB1122_294:
	s_set_inst_prefetch_distance 0x2
	s_or_b32 exec_lo, exec_lo, s21
	v_cndmask_b32_e64 v9, v7, v14, s22
	v_cndmask_b32_e64 v8, v6, v15, s22
.LBB1122_295:
	s_or_b32 exec_lo, exec_lo, s20
	s_delay_alu instid0(VALU_DEP_1)
	v_dual_mov_b32 v6, v8 :: v_dual_mov_b32 v7, v9
.LBB1122_296:
	s_or_b32 exec_lo, exec_lo, s19
.LBB1122_297:
	s_delay_alu instid0(SALU_CYCLE_1) | instskip(SKIP_4) | instid1(VALU_DEP_3)
	s_or_b32 exec_lo, exec_lo, s17
	v_and_b32_e32 v19, 0xf80, v23
	v_and_b32_e32 v20, 0x7c, v23
	v_lshlrev_b32_e32 v14, 3, v23
	s_mov_b32 s17, exec_lo
	v_or_b32_e32 v8, 64, v19
	v_lshlrev_b32_e32 v18, 3, v19
	; wave barrier
	s_waitcnt lgkmcnt(0)
	s_barrier
	s_delay_alu instid0(VALU_DEP_2)
	v_min_u32_e32 v9, 0x3c0, v8
	v_min_u32_e32 v15, 0x400, v8
	buffer_gl0_inv
	ds_store_b128 v14, v[0:3]
	ds_store_b128 v14, v[4:7] offset:16
	s_waitcnt lgkmcnt(0)
	v_add_nc_u32_e32 v16, 64, v9
	v_sub_nc_u32_e32 v8, v15, v19
	s_barrier
	buffer_gl0_inv
	v_sub_nc_u32_e32 v9, v16, v15
	v_min_u32_e32 v21, v20, v8
	s_delay_alu instid0(VALU_DEP_2) | instskip(NEXT) | instid1(VALU_DEP_1)
	v_sub_nc_u32_e64 v17, v20, v9 clamp
	v_cmpx_lt_u32_e64 v17, v21
	s_cbranch_execz .LBB1122_309
; %bb.298:
	v_lshlrev_b32_e32 v8, 3, v20
	s_lshl_b64 s[0:1], s[8:9], 1
	s_mov_b32 s19, 0
	s_delay_alu instid0(VALU_DEP_1)
	v_lshl_add_u32 v37, v15, 3, v8
	s_branch .LBB1122_301
.LBB1122_299:                           ;   in Loop: Header=BB1122_301 Depth=1
	s_set_inst_prefetch_distance 0x2
	s_or_b32 exec_lo, exec_lo, s23
.LBB1122_300:                           ;   in Loop: Header=BB1122_301 Depth=1
	s_delay_alu instid0(VALU_DEP_1) | instskip(SKIP_1) | instid1(VALU_DEP_2)
	v_add_nc_u32_e32 v8, 1, v38
	v_cndmask_b32_e64 v21, v21, v38, s22
	v_cndmask_b32_e64 v17, v8, v17, s22
	s_delay_alu instid0(VALU_DEP_1) | instskip(SKIP_1) | instid1(SALU_CYCLE_1)
	v_cmp_ge_u32_e32 vcc_lo, v17, v21
	s_or_b32 s19, vcc_lo, s19
	s_and_not1_b32 exec_lo, exec_lo, s19
	s_cbranch_execz .LBB1122_308
.LBB1122_301:                           ; =>This Loop Header: Depth=1
                                        ;     Child Loop BB1122_304 Depth 2
	v_add_nc_u32_e32 v8, v21, v17
	v_cmp_ne_u32_e32 vcc_lo, 1, v36
	s_mov_b32 s22, 0
	s_delay_alu instid0(VALU_DEP_2)
	v_lshrrev_b32_e32 v38, 1, v8
	s_cbranch_vccnz .LBB1122_300
; %bb.302:                              ;   in Loop: Header=BB1122_301 Depth=1
	s_delay_alu instid0(VALU_DEP_1) | instskip(SKIP_3) | instid1(VALU_DEP_2)
	v_not_b32_e32 v8, v38
	v_lshl_add_u32 v9, v38, 3, v18
	s_mov_b32 s23, 0
	s_mov_b64 s[20:21], s[8:9]
                                        ; implicit-def: $sgpr22
                                        ; implicit-def: $sgpr24
                                        ; implicit-def: $sgpr25
	v_lshl_add_u32 v8, v8, 3, v37
	ds_load_b64 v[10:11], v8
	ds_load_b64 v[39:40], v9
	s_waitcnt lgkmcnt(1)
	v_mul_lo_u32 v41, s0, v11
	v_mul_lo_u32 v42, s1, v10
	v_mad_u64_u32 v[8:9], null, s0, v10, s[10:11]
	s_waitcnt lgkmcnt(0)
	v_mul_lo_u32 v40, s0, v40
	v_mul_lo_u32 v43, s1, v39
	v_mad_u64_u32 v[10:11], null, s0, v39, s[10:11]
	s_delay_alu instid0(VALU_DEP_4) | instskip(NEXT) | instid1(VALU_DEP_2)
	v_add3_u32 v9, v42, v9, v41
	v_add3_u32 v11, v43, v11, v40
	s_set_inst_prefetch_distance 0x1
	s_branch .LBB1122_304
	.p2align	6
.LBB1122_303:                           ;   in Loop: Header=BB1122_304 Depth=2
	s_or_b32 exec_lo, exec_lo, s28
	s_delay_alu instid0(SALU_CYCLE_1) | instskip(NEXT) | instid1(SALU_CYCLE_1)
	s_and_b32 s26, exec_lo, s27
	s_or_b32 s23, s26, s23
	s_and_not1_b32 s22, s22, exec_lo
	s_and_b32 s26, s24, exec_lo
	s_delay_alu instid0(SALU_CYCLE_1)
	s_or_b32 s22, s22, s26
	s_and_not1_b32 exec_lo, exec_lo, s23
	s_cbranch_execz .LBB1122_299
.LBB1122_304:                           ;   Parent Loop BB1122_301 Depth=1
                                        ; =>  This Inner Loop Header: Depth=2
	global_load_u16 v39, v[8:9], off
	global_load_u16 v40, v[10:11], off
	s_mov_b32 s27, -1
	s_mov_b32 s29, 0
	s_mov_b32 s26, -1
	s_mov_b32 s28, exec_lo
	s_waitcnt vmcnt(1)
	v_lshlrev_b32_e32 v39, 16, v39
	s_waitcnt vmcnt(0)
	v_lshlrev_b32_e32 v40, 16, v40
	s_delay_alu instid0(VALU_DEP_1)
	v_cmpx_nlt_f32_e32 v39, v40
; %bb.305:                              ;   in Loop: Header=BB1122_304 Depth=2
	v_cmp_ngt_f32_e32 vcc_lo, v39, v40
	s_and_b32 s25, vcc_lo, s25
	s_and_b32 s29, vcc_lo, exec_lo
	s_or_not1_b32 s26, s25, exec_lo
; %bb.306:                              ;   in Loop: Header=BB1122_304 Depth=2
	s_or_b32 exec_lo, exec_lo, s28
	s_delay_alu instid0(SALU_CYCLE_1) | instskip(SKIP_1) | instid1(SALU_CYCLE_1)
	s_and_not1_b32 s24, s24, exec_lo
	s_and_b32 s25, s26, exec_lo
	s_or_b32 s24, s24, s25
                                        ; implicit-def: $sgpr25
	s_and_saveexec_b32 s28, s29
	s_cbranch_execz .LBB1122_303
; %bb.307:                              ;   in Loop: Header=BB1122_304 Depth=2
	v_add_co_u32 v8, vcc_lo, v8, 2
	s_add_u32 s20, s20, -1
	s_addc_u32 s21, s21, -1
	v_add_co_ci_u32_e32 v9, vcc_lo, 0, v9, vcc_lo
	v_add_co_u32 v10, vcc_lo, v10, 2
	s_cmp_eq_u64 s[20:21], 0
	v_add_co_ci_u32_e32 v11, vcc_lo, 0, v11, vcc_lo
	s_cselect_b32 s27, -1, 0
	s_and_not1_b32 s24, s24, exec_lo
	s_and_b32 s25, s26, exec_lo
	s_or_not1_b32 s27, s27, exec_lo
	s_branch .LBB1122_303
.LBB1122_308:
	s_or_b32 exec_lo, exec_lo, s19
.LBB1122_309:
	s_delay_alu instid0(SALU_CYCLE_1) | instskip(SKIP_2) | instid1(VALU_DEP_2)
	s_or_b32 exec_lo, exec_lo, s17
	v_sub_nc_u32_e32 v9, v20, v17
	v_add_nc_u32_e32 v8, v17, v19
	v_add_nc_u32_e32 v9, v9, v15
	s_delay_alu instid0(VALU_DEP_2) | instskip(NEXT) | instid1(VALU_DEP_2)
	v_cmp_le_u32_e32 vcc_lo, v8, v15
	v_cmp_le_u32_e64 s0, v9, v16
	s_delay_alu instid0(VALU_DEP_1) | instskip(NEXT) | instid1(SALU_CYCLE_1)
	s_or_b32 s0, vcc_lo, s0
	s_and_saveexec_b32 s17, s0
	s_cbranch_execz .LBB1122_353
; %bb.310:
	v_cmp_ge_u32_e32 vcc_lo, v8, v15
	s_mov_b32 s1, exec_lo
                                        ; implicit-def: $vgpr0_vgpr1
	v_cmpx_lt_u32_e64 v8, v15
	s_cbranch_execz .LBB1122_312
; %bb.311:
	v_lshl_add_u32 v0, v17, 3, v18
	ds_load_b64 v[0:1], v0
.LBB1122_312:
	s_or_b32 exec_lo, exec_lo, s1
	v_cmp_ge_u32_e64 s0, v9, v16
	s_mov_b32 s19, exec_lo
                                        ; implicit-def: $vgpr4_vgpr5
	v_cmpx_lt_u32_e64 v9, v16
	s_cbranch_execz .LBB1122_314
; %bb.313:
	v_lshlrev_b32_e32 v2, 3, v9
	ds_load_b64 v[4:5], v2
.LBB1122_314:
	s_or_b32 exec_lo, exec_lo, s19
	s_or_b32 s1, vcc_lo, s0
	s_xor_b32 s19, vcc_lo, -1
	s_or_b32 s1, s1, s12
	s_or_b32 s19, s0, s19
	s_xor_b32 s1, s1, -1
	s_delay_alu instid0(SALU_CYCLE_1)
	s_and_saveexec_b32 s20, s1
	s_cbranch_execz .LBB1122_322
; %bb.315:
	s_waitcnt lgkmcnt(0)
	v_mul_lo_u32 v10, v5, s8
	v_mul_lo_u32 v11, v4, s9
	v_mad_u64_u32 v[2:3], null, v4, s8, 0
	v_mul_lo_u32 v17, v1, s8
	v_mul_lo_u32 v18, v0, s9
	v_mad_u64_u32 v[6:7], null, v0, s8, 0
	s_mov_b32 s21, 0
	s_mov_b64 s[0:1], s[8:9]
	s_delay_alu instid0(VALU_DEP_4) | instskip(NEXT) | instid1(VALU_DEP_2)
	v_add3_u32 v3, v3, v11, v10
                                        ; implicit-def: $sgpr22
                                        ; implicit-def: $sgpr23
                                        ; implicit-def: $sgpr24
	v_add3_u32 v7, v7, v18, v17
	s_delay_alu instid0(VALU_DEP_2) | instskip(NEXT) | instid1(VALU_DEP_2)
	v_lshlrev_b64 v[2:3], 1, v[2:3]
	v_lshlrev_b64 v[6:7], 1, v[6:7]
	s_delay_alu instid0(VALU_DEP_2) | instskip(NEXT) | instid1(VALU_DEP_3)
	v_add_co_u32 v2, vcc_lo, s10, v2
	v_add_co_ci_u32_e32 v3, vcc_lo, s11, v3, vcc_lo
	s_delay_alu instid0(VALU_DEP_3) | instskip(NEXT) | instid1(VALU_DEP_4)
	v_add_co_u32 v6, vcc_lo, s10, v6
	v_add_co_ci_u32_e32 v7, vcc_lo, s11, v7, vcc_lo
	s_set_inst_prefetch_distance 0x1
	s_branch .LBB1122_317
	.p2align	6
.LBB1122_316:                           ;   in Loop: Header=BB1122_317 Depth=1
	s_or_b32 exec_lo, exec_lo, s27
	s_delay_alu instid0(SALU_CYCLE_1) | instskip(NEXT) | instid1(SALU_CYCLE_1)
	s_and_b32 s25, exec_lo, s25
	s_or_b32 s21, s25, s21
	s_and_not1_b32 s22, s22, exec_lo
	s_and_b32 s25, s23, exec_lo
	s_delay_alu instid0(SALU_CYCLE_1)
	s_or_b32 s22, s22, s25
	s_and_not1_b32 exec_lo, exec_lo, s21
	s_cbranch_execz .LBB1122_321
.LBB1122_317:                           ; =>This Inner Loop Header: Depth=1
	global_load_u16 v10, v[2:3], off
	global_load_u16 v11, v[6:7], off
	s_mov_b32 s25, -1
	s_mov_b32 s28, 0
	s_mov_b32 s26, -1
	s_mov_b32 s27, exec_lo
	s_waitcnt vmcnt(1)
	v_lshlrev_b32_e32 v10, 16, v10
	s_waitcnt vmcnt(0)
	v_lshlrev_b32_e32 v11, 16, v11
	s_delay_alu instid0(VALU_DEP_1)
	v_cmpx_nlt_f32_e32 v10, v11
; %bb.318:                              ;   in Loop: Header=BB1122_317 Depth=1
	v_cmp_ngt_f32_e32 vcc_lo, v10, v11
	s_and_b32 s24, vcc_lo, s24
	s_and_b32 s28, vcc_lo, exec_lo
	s_or_not1_b32 s26, s24, exec_lo
; %bb.319:                              ;   in Loop: Header=BB1122_317 Depth=1
	s_or_b32 exec_lo, exec_lo, s27
	s_delay_alu instid0(SALU_CYCLE_1) | instskip(SKIP_1) | instid1(SALU_CYCLE_1)
	s_and_not1_b32 s23, s23, exec_lo
	s_and_b32 s24, s26, exec_lo
	s_or_b32 s23, s23, s24
                                        ; implicit-def: $sgpr24
	s_and_saveexec_b32 s27, s28
	s_cbranch_execz .LBB1122_316
; %bb.320:                              ;   in Loop: Header=BB1122_317 Depth=1
	v_add_co_u32 v2, vcc_lo, v2, 2
	s_add_u32 s0, s0, -1
	s_addc_u32 s1, s1, -1
	v_add_co_ci_u32_e32 v3, vcc_lo, 0, v3, vcc_lo
	v_add_co_u32 v6, vcc_lo, v6, 2
	s_cmp_eq_u64 s[0:1], 0
	v_add_co_ci_u32_e32 v7, vcc_lo, 0, v7, vcc_lo
	s_cselect_b32 s25, -1, 0
	s_and_b32 s24, s26, exec_lo
	s_and_not1_b32 s23, s23, exec_lo
	s_or_not1_b32 s25, s25, exec_lo
	s_branch .LBB1122_316
.LBB1122_321:
	s_set_inst_prefetch_distance 0x2
	s_or_b32 exec_lo, exec_lo, s21
	s_xor_b32 s0, s22, -1
	s_and_not1_b32 s1, s19, exec_lo
	s_and_b32 s0, s0, exec_lo
	s_delay_alu instid0(SALU_CYCLE_1)
	s_or_b32 s19, s1, s0
.LBB1122_322:
	s_or_b32 exec_lo, exec_lo, s20
	v_cndmask_b32_e64 v2, v9, v8, s19
	v_cndmask_b32_e64 v3, v16, v15, s19
	s_mov_b32 s20, -1
	s_mov_b32 s21, -1
	s_mov_b32 s22, exec_lo
	v_add_nc_u32_e32 v6, 1, v2
	v_add_nc_u32_e32 v2, -1, v3
	s_delay_alu instid0(VALU_DEP_2) | instskip(NEXT) | instid1(VALU_DEP_2)
	v_cndmask_b32_e64 v9, v6, v9, s19
	v_min_u32_e32 v2, v6, v2
	v_cndmask_b32_e64 v8, v8, v6, s19
	s_delay_alu instid0(VALU_DEP_2)
	v_lshlrev_b32_e32 v2, 3, v2
	ds_load_b64 v[2:3], v2
	s_waitcnt lgkmcnt(0)
	v_cndmask_b32_e64 v10, v3, v5, s19
	v_cndmask_b32_e64 v11, v2, v4, s19
	;; [unrolled: 1-line block ×4, first 2 shown]
	v_cmpx_lt_u32_e64 v9, v16
	s_cbranch_execz .LBB1122_332
; %bb.323:
	v_cmp_lt_u32_e64 s21, v8, v15
	s_xor_b32 s0, s12, -1
	s_delay_alu instid0(VALU_DEP_1) | instid1(SALU_CYCLE_1)
	s_and_b32 s0, s21, s0
	s_delay_alu instid0(SALU_CYCLE_1)
	s_and_saveexec_b32 s23, s0
	s_cbranch_execz .LBB1122_331
; %bb.324:
	v_mul_lo_u32 v19, v10, s8
	v_mul_lo_u32 v20, v11, s9
	v_mad_u64_u32 v[2:3], null, v11, s8, 0
	v_mul_lo_u32 v21, v17, s8
	v_mul_lo_u32 v37, v18, s9
	v_mad_u64_u32 v[6:7], null, v18, s8, 0
	s_mov_b32 s24, 0
	s_mov_b64 s[0:1], s[8:9]
	s_delay_alu instid0(VALU_DEP_4) | instskip(NEXT) | instid1(VALU_DEP_2)
	v_add3_u32 v3, v3, v20, v19
                                        ; implicit-def: $sgpr25
                                        ; implicit-def: $sgpr26
                                        ; implicit-def: $sgpr27
	v_add3_u32 v7, v7, v37, v21
	s_delay_alu instid0(VALU_DEP_2) | instskip(NEXT) | instid1(VALU_DEP_2)
	v_lshlrev_b64 v[2:3], 1, v[2:3]
	v_lshlrev_b64 v[6:7], 1, v[6:7]
	s_delay_alu instid0(VALU_DEP_2) | instskip(NEXT) | instid1(VALU_DEP_3)
	v_add_co_u32 v2, vcc_lo, s10, v2
	v_add_co_ci_u32_e32 v3, vcc_lo, s11, v3, vcc_lo
	s_delay_alu instid0(VALU_DEP_3) | instskip(NEXT) | instid1(VALU_DEP_4)
	v_add_co_u32 v6, vcc_lo, s10, v6
	v_add_co_ci_u32_e32 v7, vcc_lo, s11, v7, vcc_lo
	s_set_inst_prefetch_distance 0x1
	s_branch .LBB1122_326
	.p2align	6
.LBB1122_325:                           ;   in Loop: Header=BB1122_326 Depth=1
	s_or_b32 exec_lo, exec_lo, s30
	s_delay_alu instid0(SALU_CYCLE_1) | instskip(NEXT) | instid1(SALU_CYCLE_1)
	s_and_b32 s28, exec_lo, s28
	s_or_b32 s24, s28, s24
	s_and_not1_b32 s25, s25, exec_lo
	s_and_b32 s28, s26, exec_lo
	s_delay_alu instid0(SALU_CYCLE_1)
	s_or_b32 s25, s25, s28
	s_and_not1_b32 exec_lo, exec_lo, s24
	s_cbranch_execz .LBB1122_330
.LBB1122_326:                           ; =>This Inner Loop Header: Depth=1
	global_load_u16 v19, v[2:3], off
	global_load_u16 v20, v[6:7], off
	s_mov_b32 s28, -1
	s_mov_b32 s31, 0
	s_mov_b32 s29, -1
	s_mov_b32 s30, exec_lo
	s_waitcnt vmcnt(1)
	v_lshlrev_b32_e32 v19, 16, v19
	s_waitcnt vmcnt(0)
	v_lshlrev_b32_e32 v20, 16, v20
	s_delay_alu instid0(VALU_DEP_1)
	v_cmpx_nlt_f32_e32 v19, v20
; %bb.327:                              ;   in Loop: Header=BB1122_326 Depth=1
	v_cmp_ngt_f32_e32 vcc_lo, v19, v20
	s_and_b32 s27, vcc_lo, s27
	s_and_b32 s31, vcc_lo, exec_lo
	s_or_not1_b32 s29, s27, exec_lo
; %bb.328:                              ;   in Loop: Header=BB1122_326 Depth=1
	s_or_b32 exec_lo, exec_lo, s30
	s_delay_alu instid0(SALU_CYCLE_1) | instskip(SKIP_1) | instid1(SALU_CYCLE_1)
	s_and_not1_b32 s26, s26, exec_lo
	s_and_b32 s27, s29, exec_lo
	s_or_b32 s26, s26, s27
                                        ; implicit-def: $sgpr27
	s_and_saveexec_b32 s30, s31
	s_cbranch_execz .LBB1122_325
; %bb.329:                              ;   in Loop: Header=BB1122_326 Depth=1
	v_add_co_u32 v2, vcc_lo, v2, 2
	s_add_u32 s0, s0, -1
	s_addc_u32 s1, s1, -1
	v_add_co_ci_u32_e32 v3, vcc_lo, 0, v3, vcc_lo
	v_add_co_u32 v6, vcc_lo, v6, 2
	s_cmp_eq_u64 s[0:1], 0
	v_add_co_ci_u32_e32 v7, vcc_lo, 0, v7, vcc_lo
	s_cselect_b32 s28, -1, 0
	s_and_b32 s27, s29, exec_lo
	s_and_not1_b32 s26, s26, exec_lo
	s_or_not1_b32 s28, s28, exec_lo
	s_branch .LBB1122_325
.LBB1122_330:
	s_set_inst_prefetch_distance 0x2
	s_or_b32 exec_lo, exec_lo, s24
	s_xor_b32 s0, s25, -1
	s_and_not1_b32 s1, s21, exec_lo
	s_and_b32 s0, s0, exec_lo
	s_delay_alu instid0(SALU_CYCLE_1)
	s_or_b32 s21, s1, s0
.LBB1122_331:
	s_or_b32 exec_lo, exec_lo, s23
	s_delay_alu instid0(SALU_CYCLE_1)
	s_or_not1_b32 s21, s21, exec_lo
.LBB1122_332:
	s_or_b32 exec_lo, exec_lo, s22
	v_cndmask_b32_e64 v2, v9, v8, s21
	v_cndmask_b32_e64 v3, v16, v15, s21
	s_mov_b32 s22, exec_lo
	s_delay_alu instid0(VALU_DEP_2) | instskip(NEXT) | instid1(VALU_DEP_2)
	v_add_nc_u32_e32 v6, 1, v2
	v_add_nc_u32_e32 v2, -1, v3
	s_delay_alu instid0(VALU_DEP_2) | instskip(NEXT) | instid1(VALU_DEP_2)
	v_cndmask_b32_e64 v37, v6, v9, s21
	v_min_u32_e32 v2, v6, v2
	v_cndmask_b32_e64 v19, v8, v6, s21
	s_delay_alu instid0(VALU_DEP_2)
	v_lshlrev_b32_e32 v2, 3, v2
	ds_load_b64 v[2:3], v2
	s_waitcnt lgkmcnt(0)
	v_cndmask_b32_e64 v20, v3, v10, s21
	v_cndmask_b32_e64 v21, v2, v11, s21
	;; [unrolled: 1-line block ×4, first 2 shown]
	v_cmpx_lt_u32_e64 v37, v16
	s_cbranch_execz .LBB1122_342
; %bb.333:
	v_cmp_lt_u32_e64 s20, v19, v15
	s_xor_b32 s0, s12, -1
	s_delay_alu instid0(VALU_DEP_1) | instid1(SALU_CYCLE_1)
	s_and_b32 s0, s20, s0
	s_delay_alu instid0(SALU_CYCLE_1)
	s_and_saveexec_b32 s23, s0
	s_cbranch_execz .LBB1122_341
; %bb.334:
	v_mul_lo_u32 v8, v20, s8
	v_mul_lo_u32 v9, v21, s9
	v_mad_u64_u32 v[2:3], null, v21, s8, 0
	v_mul_lo_u32 v40, v38, s8
	v_mul_lo_u32 v41, v39, s9
	v_mad_u64_u32 v[6:7], null, v39, s8, 0
	s_mov_b32 s24, 0
	s_mov_b64 s[0:1], s[8:9]
	s_delay_alu instid0(VALU_DEP_4) | instskip(NEXT) | instid1(VALU_DEP_2)
	v_add3_u32 v3, v3, v9, v8
                                        ; implicit-def: $sgpr25
                                        ; implicit-def: $sgpr26
                                        ; implicit-def: $sgpr27
	v_add3_u32 v7, v7, v41, v40
	s_delay_alu instid0(VALU_DEP_2) | instskip(NEXT) | instid1(VALU_DEP_2)
	v_lshlrev_b64 v[2:3], 1, v[2:3]
	v_lshlrev_b64 v[6:7], 1, v[6:7]
	s_delay_alu instid0(VALU_DEP_2) | instskip(NEXT) | instid1(VALU_DEP_3)
	v_add_co_u32 v2, vcc_lo, s10, v2
	v_add_co_ci_u32_e32 v3, vcc_lo, s11, v3, vcc_lo
	s_delay_alu instid0(VALU_DEP_3) | instskip(NEXT) | instid1(VALU_DEP_4)
	v_add_co_u32 v6, vcc_lo, s10, v6
	v_add_co_ci_u32_e32 v7, vcc_lo, s11, v7, vcc_lo
	s_set_inst_prefetch_distance 0x1
	s_branch .LBB1122_336
	.p2align	6
.LBB1122_335:                           ;   in Loop: Header=BB1122_336 Depth=1
	s_or_b32 exec_lo, exec_lo, s30
	s_delay_alu instid0(SALU_CYCLE_1) | instskip(NEXT) | instid1(SALU_CYCLE_1)
	s_and_b32 s28, exec_lo, s28
	s_or_b32 s24, s28, s24
	s_and_not1_b32 s25, s25, exec_lo
	s_and_b32 s28, s26, exec_lo
	s_delay_alu instid0(SALU_CYCLE_1)
	s_or_b32 s25, s25, s28
	s_and_not1_b32 exec_lo, exec_lo, s24
	s_cbranch_execz .LBB1122_340
.LBB1122_336:                           ; =>This Inner Loop Header: Depth=1
	global_load_u16 v8, v[2:3], off
	global_load_u16 v9, v[6:7], off
	s_mov_b32 s28, -1
	s_mov_b32 s31, 0
	s_mov_b32 s29, -1
	s_mov_b32 s30, exec_lo
	s_waitcnt vmcnt(1)
	v_lshlrev_b32_e32 v8, 16, v8
	s_waitcnt vmcnt(0)
	v_lshlrev_b32_e32 v9, 16, v9
	s_delay_alu instid0(VALU_DEP_1)
	v_cmpx_nlt_f32_e32 v8, v9
; %bb.337:                              ;   in Loop: Header=BB1122_336 Depth=1
	v_cmp_ngt_f32_e32 vcc_lo, v8, v9
	s_and_b32 s27, vcc_lo, s27
	s_and_b32 s31, vcc_lo, exec_lo
	s_or_not1_b32 s29, s27, exec_lo
; %bb.338:                              ;   in Loop: Header=BB1122_336 Depth=1
	s_or_b32 exec_lo, exec_lo, s30
	s_delay_alu instid0(SALU_CYCLE_1) | instskip(SKIP_1) | instid1(SALU_CYCLE_1)
	s_and_not1_b32 s26, s26, exec_lo
	s_and_b32 s27, s29, exec_lo
	s_or_b32 s26, s26, s27
                                        ; implicit-def: $sgpr27
	s_and_saveexec_b32 s30, s31
	s_cbranch_execz .LBB1122_335
; %bb.339:                              ;   in Loop: Header=BB1122_336 Depth=1
	v_add_co_u32 v2, vcc_lo, v2, 2
	s_add_u32 s0, s0, -1
	s_addc_u32 s1, s1, -1
	v_add_co_ci_u32_e32 v3, vcc_lo, 0, v3, vcc_lo
	v_add_co_u32 v6, vcc_lo, v6, 2
	s_cmp_eq_u64 s[0:1], 0
	v_add_co_ci_u32_e32 v7, vcc_lo, 0, v7, vcc_lo
	s_cselect_b32 s28, -1, 0
	s_and_b32 s27, s29, exec_lo
	s_and_not1_b32 s26, s26, exec_lo
	s_or_not1_b32 s28, s28, exec_lo
	s_branch .LBB1122_335
.LBB1122_340:
	s_set_inst_prefetch_distance 0x2
	s_or_b32 exec_lo, exec_lo, s24
	s_xor_b32 s0, s25, -1
	s_and_not1_b32 s1, s20, exec_lo
	s_and_b32 s0, s0, exec_lo
	s_delay_alu instid0(SALU_CYCLE_1)
	s_or_b32 s20, s1, s0
.LBB1122_341:
	s_or_b32 exec_lo, exec_lo, s23
	s_delay_alu instid0(SALU_CYCLE_1)
	s_or_not1_b32 s20, s20, exec_lo
.LBB1122_342:
	s_or_b32 exec_lo, exec_lo, s22
	v_cndmask_b32_e64 v2, v37, v19, s20
	v_cndmask_b32_e64 v3, v16, v15, s20
	;; [unrolled: 1-line block ×5, first 2 shown]
	v_add_nc_u32_e32 v40, 1, v2
	v_add_nc_u32_e32 v2, -1, v3
	v_cndmask_b32_e64 v3, v10, v17, s21
	v_cndmask_b32_e64 v4, v21, v39, s20
	s_mov_b32 s19, exec_lo
	v_cndmask_b32_e64 v10, v40, v37, s20
	v_min_u32_e32 v2, v40, v2
	s_delay_alu instid0(VALU_DEP_1)
	v_lshlrev_b32_e32 v2, 3, v2
	ds_load_b64 v[8:9], v2
	v_cndmask_b32_e64 v2, v11, v18, s21
	s_waitcnt lgkmcnt(0)
	v_cndmask_b32_e64 v7, v38, v9, s20
	v_cndmask_b32_e64 v6, v39, v8, s20
	v_cmpx_lt_u32_e64 v10, v16
	s_cbranch_execz .LBB1122_352
; %bb.343:
	v_cndmask_b32_e64 v10, v19, v40, s20
	v_cndmask_b32_e64 v16, v9, v20, s20
	;; [unrolled: 1-line block ×3, first 2 shown]
	s_delay_alu instid0(VALU_DEP_3) | instskip(NEXT) | instid1(VALU_DEP_2)
	v_cmp_ge_u32_e32 vcc_lo, v10, v15
	v_dual_cndmask_b32 v9, v7, v16 :: v_dual_cndmask_b32 v8, v6, v17
	s_or_b32 s0, vcc_lo, s12
	s_delay_alu instid0(SALU_CYCLE_1) | instskip(NEXT) | instid1(SALU_CYCLE_1)
	s_xor_b32 s0, s0, -1
	s_and_saveexec_b32 s20, s0
	s_cbranch_execz .LBB1122_351
; %bb.344:
	v_mul_lo_u32 v15, v16, s8
	v_mul_lo_u32 v18, v17, s9
	v_mad_u64_u32 v[8:9], null, v17, s8, 0
	v_mul_lo_u32 v19, v7, s8
	v_mul_lo_u32 v20, v6, s9
	v_mad_u64_u32 v[10:11], null, v6, s8, 0
	s_mov_b32 s21, 0
	s_mov_b64 s[0:1], s[8:9]
	s_delay_alu instid0(VALU_DEP_4) | instskip(NEXT) | instid1(VALU_DEP_2)
	v_add3_u32 v9, v9, v18, v15
                                        ; implicit-def: $sgpr22
                                        ; implicit-def: $sgpr23
                                        ; implicit-def: $sgpr24
	v_add3_u32 v11, v11, v20, v19
	s_delay_alu instid0(VALU_DEP_2) | instskip(NEXT) | instid1(VALU_DEP_2)
	v_lshlrev_b64 v[8:9], 1, v[8:9]
	v_lshlrev_b64 v[10:11], 1, v[10:11]
	s_delay_alu instid0(VALU_DEP_2) | instskip(NEXT) | instid1(VALU_DEP_3)
	v_add_co_u32 v8, vcc_lo, s10, v8
	v_add_co_ci_u32_e32 v9, vcc_lo, s11, v9, vcc_lo
	s_delay_alu instid0(VALU_DEP_3) | instskip(NEXT) | instid1(VALU_DEP_4)
	v_add_co_u32 v10, vcc_lo, s10, v10
	v_add_co_ci_u32_e32 v11, vcc_lo, s11, v11, vcc_lo
	s_set_inst_prefetch_distance 0x1
	s_branch .LBB1122_346
	.p2align	6
.LBB1122_345:                           ;   in Loop: Header=BB1122_346 Depth=1
	s_or_b32 exec_lo, exec_lo, s27
	s_delay_alu instid0(SALU_CYCLE_1) | instskip(NEXT) | instid1(SALU_CYCLE_1)
	s_and_b32 s25, exec_lo, s25
	s_or_b32 s21, s25, s21
	s_and_not1_b32 s22, s22, exec_lo
	s_and_b32 s25, s23, exec_lo
	s_delay_alu instid0(SALU_CYCLE_1)
	s_or_b32 s22, s22, s25
	s_and_not1_b32 exec_lo, exec_lo, s21
	s_cbranch_execz .LBB1122_350
.LBB1122_346:                           ; =>This Inner Loop Header: Depth=1
	global_load_u16 v15, v[8:9], off
	global_load_u16 v18, v[10:11], off
	s_mov_b32 s25, -1
	s_mov_b32 s28, 0
	s_mov_b32 s26, -1
	s_mov_b32 s27, exec_lo
	s_waitcnt vmcnt(1)
	v_lshlrev_b32_e32 v15, 16, v15
	s_waitcnt vmcnt(0)
	v_lshlrev_b32_e32 v18, 16, v18
	s_delay_alu instid0(VALU_DEP_1)
	v_cmpx_nlt_f32_e32 v15, v18
; %bb.347:                              ;   in Loop: Header=BB1122_346 Depth=1
	v_cmp_ngt_f32_e32 vcc_lo, v15, v18
	s_and_b32 s24, vcc_lo, s24
	s_and_b32 s28, vcc_lo, exec_lo
	s_or_not1_b32 s26, s24, exec_lo
; %bb.348:                              ;   in Loop: Header=BB1122_346 Depth=1
	s_or_b32 exec_lo, exec_lo, s27
	s_delay_alu instid0(SALU_CYCLE_1) | instskip(SKIP_1) | instid1(SALU_CYCLE_1)
	s_and_not1_b32 s23, s23, exec_lo
	s_and_b32 s24, s26, exec_lo
	s_or_b32 s23, s23, s24
                                        ; implicit-def: $sgpr24
	s_and_saveexec_b32 s27, s28
	s_cbranch_execz .LBB1122_345
; %bb.349:                              ;   in Loop: Header=BB1122_346 Depth=1
	v_add_co_u32 v8, vcc_lo, v8, 2
	s_add_u32 s0, s0, -1
	s_addc_u32 s1, s1, -1
	v_add_co_ci_u32_e32 v9, vcc_lo, 0, v9, vcc_lo
	v_add_co_u32 v10, vcc_lo, v10, 2
	s_cmp_eq_u64 s[0:1], 0
	v_add_co_ci_u32_e32 v11, vcc_lo, 0, v11, vcc_lo
	s_cselect_b32 s25, -1, 0
	s_and_b32 s24, s26, exec_lo
	s_and_not1_b32 s23, s23, exec_lo
	s_or_not1_b32 s25, s25, exec_lo
	s_branch .LBB1122_345
.LBB1122_350:
	s_set_inst_prefetch_distance 0x2
	s_or_b32 exec_lo, exec_lo, s21
	v_cndmask_b32_e64 v9, v7, v16, s22
	v_cndmask_b32_e64 v8, v6, v17, s22
.LBB1122_351:
	s_or_b32 exec_lo, exec_lo, s20
	s_delay_alu instid0(VALU_DEP_1)
	v_dual_mov_b32 v6, v8 :: v_dual_mov_b32 v7, v9
.LBB1122_352:
	s_or_b32 exec_lo, exec_lo, s19
.LBB1122_353:
	s_delay_alu instid0(SALU_CYCLE_1) | instskip(SKIP_4) | instid1(VALU_DEP_2)
	s_or_b32 exec_lo, exec_lo, s17
	v_and_b32_e32 v19, 0xf00, v23
	v_and_b32_e32 v20, 0xfc, v23
	s_mov_b32 s17, exec_lo
	s_barrier
	v_or_b32_e32 v8, 0x80, v19
	v_lshlrev_b32_e32 v18, 3, v19
	buffer_gl0_inv
	ds_store_b128 v14, v[0:3]
	ds_store_b128 v14, v[4:7] offset:16
	s_waitcnt lgkmcnt(0)
	v_min_u32_e32 v9, 0x380, v8
	v_min_u32_e32 v15, 0x400, v8
	s_barrier
	buffer_gl0_inv
	v_add_nc_u32_e32 v16, 0x80, v9
	v_sub_nc_u32_e32 v8, v15, v19
	s_delay_alu instid0(VALU_DEP_2) | instskip(NEXT) | instid1(VALU_DEP_2)
	v_sub_nc_u32_e32 v9, v16, v15
	v_min_u32_e32 v21, v20, v8
	s_delay_alu instid0(VALU_DEP_2) | instskip(NEXT) | instid1(VALU_DEP_1)
	v_sub_nc_u32_e64 v17, v20, v9 clamp
	v_cmpx_lt_u32_e64 v17, v21
	s_cbranch_execz .LBB1122_365
; %bb.354:
	v_lshlrev_b32_e32 v8, 3, v20
	s_lshl_b64 s[0:1], s[8:9], 1
	s_mov_b32 s19, 0
	s_delay_alu instid0(VALU_DEP_1)
	v_lshl_add_u32 v37, v15, 3, v8
	s_branch .LBB1122_357
.LBB1122_355:                           ;   in Loop: Header=BB1122_357 Depth=1
	s_set_inst_prefetch_distance 0x2
	s_or_b32 exec_lo, exec_lo, s23
.LBB1122_356:                           ;   in Loop: Header=BB1122_357 Depth=1
	s_delay_alu instid0(VALU_DEP_1) | instskip(SKIP_1) | instid1(VALU_DEP_2)
	v_add_nc_u32_e32 v8, 1, v38
	v_cndmask_b32_e64 v21, v21, v38, s22
	v_cndmask_b32_e64 v17, v8, v17, s22
	s_delay_alu instid0(VALU_DEP_1) | instskip(SKIP_1) | instid1(SALU_CYCLE_1)
	v_cmp_ge_u32_e32 vcc_lo, v17, v21
	s_or_b32 s19, vcc_lo, s19
	s_and_not1_b32 exec_lo, exec_lo, s19
	s_cbranch_execz .LBB1122_364
.LBB1122_357:                           ; =>This Loop Header: Depth=1
                                        ;     Child Loop BB1122_360 Depth 2
	v_add_nc_u32_e32 v8, v21, v17
	v_cmp_ne_u32_e32 vcc_lo, 1, v36
	s_mov_b32 s22, 0
	s_delay_alu instid0(VALU_DEP_2)
	v_lshrrev_b32_e32 v38, 1, v8
	s_cbranch_vccnz .LBB1122_356
; %bb.358:                              ;   in Loop: Header=BB1122_357 Depth=1
	s_delay_alu instid0(VALU_DEP_1) | instskip(SKIP_3) | instid1(VALU_DEP_2)
	v_not_b32_e32 v8, v38
	v_lshl_add_u32 v9, v38, 3, v18
	s_mov_b32 s23, 0
	s_mov_b64 s[20:21], s[8:9]
                                        ; implicit-def: $sgpr22
                                        ; implicit-def: $sgpr24
                                        ; implicit-def: $sgpr25
	v_lshl_add_u32 v8, v8, 3, v37
	ds_load_b64 v[10:11], v8
	ds_load_b64 v[39:40], v9
	s_waitcnt lgkmcnt(1)
	v_mul_lo_u32 v41, s0, v11
	v_mul_lo_u32 v42, s1, v10
	v_mad_u64_u32 v[8:9], null, s0, v10, s[10:11]
	s_waitcnt lgkmcnt(0)
	v_mul_lo_u32 v40, s0, v40
	v_mul_lo_u32 v43, s1, v39
	v_mad_u64_u32 v[10:11], null, s0, v39, s[10:11]
	s_delay_alu instid0(VALU_DEP_4) | instskip(NEXT) | instid1(VALU_DEP_2)
	v_add3_u32 v9, v42, v9, v41
	v_add3_u32 v11, v43, v11, v40
	s_set_inst_prefetch_distance 0x1
	s_branch .LBB1122_360
	.p2align	6
.LBB1122_359:                           ;   in Loop: Header=BB1122_360 Depth=2
	s_or_b32 exec_lo, exec_lo, s28
	s_delay_alu instid0(SALU_CYCLE_1) | instskip(NEXT) | instid1(SALU_CYCLE_1)
	s_and_b32 s26, exec_lo, s27
	s_or_b32 s23, s26, s23
	s_and_not1_b32 s22, s22, exec_lo
	s_and_b32 s26, s24, exec_lo
	s_delay_alu instid0(SALU_CYCLE_1)
	s_or_b32 s22, s22, s26
	s_and_not1_b32 exec_lo, exec_lo, s23
	s_cbranch_execz .LBB1122_355
.LBB1122_360:                           ;   Parent Loop BB1122_357 Depth=1
                                        ; =>  This Inner Loop Header: Depth=2
	global_load_u16 v39, v[8:9], off
	global_load_u16 v40, v[10:11], off
	s_mov_b32 s27, -1
	s_mov_b32 s29, 0
	s_mov_b32 s26, -1
	s_mov_b32 s28, exec_lo
	s_waitcnt vmcnt(1)
	v_lshlrev_b32_e32 v39, 16, v39
	s_waitcnt vmcnt(0)
	v_lshlrev_b32_e32 v40, 16, v40
	s_delay_alu instid0(VALU_DEP_1)
	v_cmpx_nlt_f32_e32 v39, v40
; %bb.361:                              ;   in Loop: Header=BB1122_360 Depth=2
	v_cmp_ngt_f32_e32 vcc_lo, v39, v40
	s_and_b32 s25, vcc_lo, s25
	s_and_b32 s29, vcc_lo, exec_lo
	s_or_not1_b32 s26, s25, exec_lo
; %bb.362:                              ;   in Loop: Header=BB1122_360 Depth=2
	s_or_b32 exec_lo, exec_lo, s28
	s_delay_alu instid0(SALU_CYCLE_1) | instskip(SKIP_1) | instid1(SALU_CYCLE_1)
	s_and_not1_b32 s24, s24, exec_lo
	s_and_b32 s25, s26, exec_lo
	s_or_b32 s24, s24, s25
                                        ; implicit-def: $sgpr25
	s_and_saveexec_b32 s28, s29
	s_cbranch_execz .LBB1122_359
; %bb.363:                              ;   in Loop: Header=BB1122_360 Depth=2
	v_add_co_u32 v8, vcc_lo, v8, 2
	s_add_u32 s20, s20, -1
	s_addc_u32 s21, s21, -1
	v_add_co_ci_u32_e32 v9, vcc_lo, 0, v9, vcc_lo
	v_add_co_u32 v10, vcc_lo, v10, 2
	s_cmp_eq_u64 s[20:21], 0
	v_add_co_ci_u32_e32 v11, vcc_lo, 0, v11, vcc_lo
	s_cselect_b32 s27, -1, 0
	s_and_not1_b32 s24, s24, exec_lo
	s_and_b32 s25, s26, exec_lo
	s_or_not1_b32 s27, s27, exec_lo
	s_branch .LBB1122_359
.LBB1122_364:
	s_or_b32 exec_lo, exec_lo, s19
.LBB1122_365:
	s_delay_alu instid0(SALU_CYCLE_1) | instskip(SKIP_2) | instid1(VALU_DEP_2)
	s_or_b32 exec_lo, exec_lo, s17
	v_sub_nc_u32_e32 v9, v20, v17
	v_add_nc_u32_e32 v8, v17, v19
	v_add_nc_u32_e32 v9, v9, v15
	s_delay_alu instid0(VALU_DEP_2) | instskip(NEXT) | instid1(VALU_DEP_2)
	v_cmp_le_u32_e32 vcc_lo, v8, v15
	v_cmp_le_u32_e64 s0, v9, v16
	s_delay_alu instid0(VALU_DEP_1) | instskip(NEXT) | instid1(SALU_CYCLE_1)
	s_or_b32 s0, vcc_lo, s0
	s_and_saveexec_b32 s17, s0
	s_cbranch_execz .LBB1122_409
; %bb.366:
	v_cmp_ge_u32_e32 vcc_lo, v8, v15
	s_mov_b32 s1, exec_lo
                                        ; implicit-def: $vgpr0_vgpr1
	v_cmpx_lt_u32_e64 v8, v15
	s_cbranch_execz .LBB1122_368
; %bb.367:
	v_lshl_add_u32 v0, v17, 3, v18
	ds_load_b64 v[0:1], v0
.LBB1122_368:
	s_or_b32 exec_lo, exec_lo, s1
	v_cmp_ge_u32_e64 s0, v9, v16
	s_mov_b32 s19, exec_lo
                                        ; implicit-def: $vgpr4_vgpr5
	v_cmpx_lt_u32_e64 v9, v16
	s_cbranch_execz .LBB1122_370
; %bb.369:
	v_lshlrev_b32_e32 v2, 3, v9
	ds_load_b64 v[4:5], v2
.LBB1122_370:
	s_or_b32 exec_lo, exec_lo, s19
	s_or_b32 s1, vcc_lo, s0
	s_xor_b32 s19, vcc_lo, -1
	s_or_b32 s1, s1, s12
	s_or_b32 s19, s0, s19
	s_xor_b32 s1, s1, -1
	s_delay_alu instid0(SALU_CYCLE_1)
	s_and_saveexec_b32 s20, s1
	s_cbranch_execz .LBB1122_378
; %bb.371:
	s_waitcnt lgkmcnt(0)
	v_mul_lo_u32 v10, v5, s8
	v_mul_lo_u32 v11, v4, s9
	v_mad_u64_u32 v[2:3], null, v4, s8, 0
	v_mul_lo_u32 v17, v1, s8
	v_mul_lo_u32 v18, v0, s9
	v_mad_u64_u32 v[6:7], null, v0, s8, 0
	s_mov_b32 s21, 0
	s_mov_b64 s[0:1], s[8:9]
	s_delay_alu instid0(VALU_DEP_4) | instskip(NEXT) | instid1(VALU_DEP_2)
	v_add3_u32 v3, v3, v11, v10
                                        ; implicit-def: $sgpr22
                                        ; implicit-def: $sgpr23
                                        ; implicit-def: $sgpr24
	v_add3_u32 v7, v7, v18, v17
	s_delay_alu instid0(VALU_DEP_2) | instskip(NEXT) | instid1(VALU_DEP_2)
	v_lshlrev_b64 v[2:3], 1, v[2:3]
	v_lshlrev_b64 v[6:7], 1, v[6:7]
	s_delay_alu instid0(VALU_DEP_2) | instskip(NEXT) | instid1(VALU_DEP_3)
	v_add_co_u32 v2, vcc_lo, s10, v2
	v_add_co_ci_u32_e32 v3, vcc_lo, s11, v3, vcc_lo
	s_delay_alu instid0(VALU_DEP_3) | instskip(NEXT) | instid1(VALU_DEP_4)
	v_add_co_u32 v6, vcc_lo, s10, v6
	v_add_co_ci_u32_e32 v7, vcc_lo, s11, v7, vcc_lo
	s_set_inst_prefetch_distance 0x1
	s_branch .LBB1122_373
	.p2align	6
.LBB1122_372:                           ;   in Loop: Header=BB1122_373 Depth=1
	s_or_b32 exec_lo, exec_lo, s27
	s_delay_alu instid0(SALU_CYCLE_1) | instskip(NEXT) | instid1(SALU_CYCLE_1)
	s_and_b32 s25, exec_lo, s25
	s_or_b32 s21, s25, s21
	s_and_not1_b32 s22, s22, exec_lo
	s_and_b32 s25, s23, exec_lo
	s_delay_alu instid0(SALU_CYCLE_1)
	s_or_b32 s22, s22, s25
	s_and_not1_b32 exec_lo, exec_lo, s21
	s_cbranch_execz .LBB1122_377
.LBB1122_373:                           ; =>This Inner Loop Header: Depth=1
	global_load_u16 v10, v[2:3], off
	global_load_u16 v11, v[6:7], off
	s_mov_b32 s25, -1
	s_mov_b32 s28, 0
	s_mov_b32 s26, -1
	s_mov_b32 s27, exec_lo
	s_waitcnt vmcnt(1)
	v_lshlrev_b32_e32 v10, 16, v10
	s_waitcnt vmcnt(0)
	v_lshlrev_b32_e32 v11, 16, v11
	s_delay_alu instid0(VALU_DEP_1)
	v_cmpx_nlt_f32_e32 v10, v11
; %bb.374:                              ;   in Loop: Header=BB1122_373 Depth=1
	v_cmp_ngt_f32_e32 vcc_lo, v10, v11
	s_and_b32 s24, vcc_lo, s24
	s_and_b32 s28, vcc_lo, exec_lo
	s_or_not1_b32 s26, s24, exec_lo
; %bb.375:                              ;   in Loop: Header=BB1122_373 Depth=1
	s_or_b32 exec_lo, exec_lo, s27
	s_delay_alu instid0(SALU_CYCLE_1) | instskip(SKIP_1) | instid1(SALU_CYCLE_1)
	s_and_not1_b32 s23, s23, exec_lo
	s_and_b32 s24, s26, exec_lo
	s_or_b32 s23, s23, s24
                                        ; implicit-def: $sgpr24
	s_and_saveexec_b32 s27, s28
	s_cbranch_execz .LBB1122_372
; %bb.376:                              ;   in Loop: Header=BB1122_373 Depth=1
	v_add_co_u32 v2, vcc_lo, v2, 2
	s_add_u32 s0, s0, -1
	s_addc_u32 s1, s1, -1
	v_add_co_ci_u32_e32 v3, vcc_lo, 0, v3, vcc_lo
	v_add_co_u32 v6, vcc_lo, v6, 2
	s_cmp_eq_u64 s[0:1], 0
	v_add_co_ci_u32_e32 v7, vcc_lo, 0, v7, vcc_lo
	s_cselect_b32 s25, -1, 0
	s_and_b32 s24, s26, exec_lo
	s_and_not1_b32 s23, s23, exec_lo
	s_or_not1_b32 s25, s25, exec_lo
	s_branch .LBB1122_372
.LBB1122_377:
	s_set_inst_prefetch_distance 0x2
	s_or_b32 exec_lo, exec_lo, s21
	s_xor_b32 s0, s22, -1
	s_and_not1_b32 s1, s19, exec_lo
	s_and_b32 s0, s0, exec_lo
	s_delay_alu instid0(SALU_CYCLE_1)
	s_or_b32 s19, s1, s0
.LBB1122_378:
	s_or_b32 exec_lo, exec_lo, s20
	v_cndmask_b32_e64 v2, v9, v8, s19
	v_cndmask_b32_e64 v3, v16, v15, s19
	s_mov_b32 s20, -1
	s_mov_b32 s21, -1
	s_mov_b32 s22, exec_lo
	v_add_nc_u32_e32 v6, 1, v2
	v_add_nc_u32_e32 v2, -1, v3
	s_delay_alu instid0(VALU_DEP_2) | instskip(NEXT) | instid1(VALU_DEP_2)
	v_cndmask_b32_e64 v9, v6, v9, s19
	v_min_u32_e32 v2, v6, v2
	v_cndmask_b32_e64 v8, v8, v6, s19
	s_delay_alu instid0(VALU_DEP_2)
	v_lshlrev_b32_e32 v2, 3, v2
	ds_load_b64 v[2:3], v2
	s_waitcnt lgkmcnt(0)
	v_cndmask_b32_e64 v10, v3, v5, s19
	v_cndmask_b32_e64 v11, v2, v4, s19
	;; [unrolled: 1-line block ×4, first 2 shown]
	v_cmpx_lt_u32_e64 v9, v16
	s_cbranch_execz .LBB1122_388
; %bb.379:
	v_cmp_lt_u32_e64 s21, v8, v15
	s_xor_b32 s0, s12, -1
	s_delay_alu instid0(VALU_DEP_1) | instid1(SALU_CYCLE_1)
	s_and_b32 s0, s21, s0
	s_delay_alu instid0(SALU_CYCLE_1)
	s_and_saveexec_b32 s23, s0
	s_cbranch_execz .LBB1122_387
; %bb.380:
	v_mul_lo_u32 v19, v10, s8
	v_mul_lo_u32 v20, v11, s9
	v_mad_u64_u32 v[2:3], null, v11, s8, 0
	v_mul_lo_u32 v21, v17, s8
	v_mul_lo_u32 v37, v18, s9
	v_mad_u64_u32 v[6:7], null, v18, s8, 0
	s_mov_b32 s24, 0
	s_mov_b64 s[0:1], s[8:9]
	s_delay_alu instid0(VALU_DEP_4) | instskip(NEXT) | instid1(VALU_DEP_2)
	v_add3_u32 v3, v3, v20, v19
                                        ; implicit-def: $sgpr25
                                        ; implicit-def: $sgpr26
                                        ; implicit-def: $sgpr27
	v_add3_u32 v7, v7, v37, v21
	s_delay_alu instid0(VALU_DEP_2) | instskip(NEXT) | instid1(VALU_DEP_2)
	v_lshlrev_b64 v[2:3], 1, v[2:3]
	v_lshlrev_b64 v[6:7], 1, v[6:7]
	s_delay_alu instid0(VALU_DEP_2) | instskip(NEXT) | instid1(VALU_DEP_3)
	v_add_co_u32 v2, vcc_lo, s10, v2
	v_add_co_ci_u32_e32 v3, vcc_lo, s11, v3, vcc_lo
	s_delay_alu instid0(VALU_DEP_3) | instskip(NEXT) | instid1(VALU_DEP_4)
	v_add_co_u32 v6, vcc_lo, s10, v6
	v_add_co_ci_u32_e32 v7, vcc_lo, s11, v7, vcc_lo
	s_set_inst_prefetch_distance 0x1
	s_branch .LBB1122_382
	.p2align	6
.LBB1122_381:                           ;   in Loop: Header=BB1122_382 Depth=1
	s_or_b32 exec_lo, exec_lo, s30
	s_delay_alu instid0(SALU_CYCLE_1) | instskip(NEXT) | instid1(SALU_CYCLE_1)
	s_and_b32 s28, exec_lo, s28
	s_or_b32 s24, s28, s24
	s_and_not1_b32 s25, s25, exec_lo
	s_and_b32 s28, s26, exec_lo
	s_delay_alu instid0(SALU_CYCLE_1)
	s_or_b32 s25, s25, s28
	s_and_not1_b32 exec_lo, exec_lo, s24
	s_cbranch_execz .LBB1122_386
.LBB1122_382:                           ; =>This Inner Loop Header: Depth=1
	global_load_u16 v19, v[2:3], off
	global_load_u16 v20, v[6:7], off
	s_mov_b32 s28, -1
	s_mov_b32 s31, 0
	s_mov_b32 s29, -1
	s_mov_b32 s30, exec_lo
	s_waitcnt vmcnt(1)
	v_lshlrev_b32_e32 v19, 16, v19
	s_waitcnt vmcnt(0)
	v_lshlrev_b32_e32 v20, 16, v20
	s_delay_alu instid0(VALU_DEP_1)
	v_cmpx_nlt_f32_e32 v19, v20
; %bb.383:                              ;   in Loop: Header=BB1122_382 Depth=1
	v_cmp_ngt_f32_e32 vcc_lo, v19, v20
	s_and_b32 s27, vcc_lo, s27
	s_and_b32 s31, vcc_lo, exec_lo
	s_or_not1_b32 s29, s27, exec_lo
; %bb.384:                              ;   in Loop: Header=BB1122_382 Depth=1
	s_or_b32 exec_lo, exec_lo, s30
	s_delay_alu instid0(SALU_CYCLE_1) | instskip(SKIP_1) | instid1(SALU_CYCLE_1)
	s_and_not1_b32 s26, s26, exec_lo
	s_and_b32 s27, s29, exec_lo
	s_or_b32 s26, s26, s27
                                        ; implicit-def: $sgpr27
	s_and_saveexec_b32 s30, s31
	s_cbranch_execz .LBB1122_381
; %bb.385:                              ;   in Loop: Header=BB1122_382 Depth=1
	v_add_co_u32 v2, vcc_lo, v2, 2
	s_add_u32 s0, s0, -1
	s_addc_u32 s1, s1, -1
	v_add_co_ci_u32_e32 v3, vcc_lo, 0, v3, vcc_lo
	v_add_co_u32 v6, vcc_lo, v6, 2
	s_cmp_eq_u64 s[0:1], 0
	v_add_co_ci_u32_e32 v7, vcc_lo, 0, v7, vcc_lo
	s_cselect_b32 s28, -1, 0
	s_and_b32 s27, s29, exec_lo
	s_and_not1_b32 s26, s26, exec_lo
	s_or_not1_b32 s28, s28, exec_lo
	s_branch .LBB1122_381
.LBB1122_386:
	s_set_inst_prefetch_distance 0x2
	s_or_b32 exec_lo, exec_lo, s24
	s_xor_b32 s0, s25, -1
	s_and_not1_b32 s1, s21, exec_lo
	s_and_b32 s0, s0, exec_lo
	s_delay_alu instid0(SALU_CYCLE_1)
	s_or_b32 s21, s1, s0
.LBB1122_387:
	s_or_b32 exec_lo, exec_lo, s23
	s_delay_alu instid0(SALU_CYCLE_1)
	s_or_not1_b32 s21, s21, exec_lo
.LBB1122_388:
	s_or_b32 exec_lo, exec_lo, s22
	v_cndmask_b32_e64 v2, v9, v8, s21
	v_cndmask_b32_e64 v3, v16, v15, s21
	s_mov_b32 s22, exec_lo
	s_delay_alu instid0(VALU_DEP_2) | instskip(NEXT) | instid1(VALU_DEP_2)
	v_add_nc_u32_e32 v6, 1, v2
	v_add_nc_u32_e32 v2, -1, v3
	s_delay_alu instid0(VALU_DEP_2) | instskip(NEXT) | instid1(VALU_DEP_2)
	v_cndmask_b32_e64 v37, v6, v9, s21
	v_min_u32_e32 v2, v6, v2
	v_cndmask_b32_e64 v19, v8, v6, s21
	s_delay_alu instid0(VALU_DEP_2)
	v_lshlrev_b32_e32 v2, 3, v2
	ds_load_b64 v[2:3], v2
	s_waitcnt lgkmcnt(0)
	v_cndmask_b32_e64 v20, v3, v10, s21
	v_cndmask_b32_e64 v21, v2, v11, s21
	;; [unrolled: 1-line block ×4, first 2 shown]
	v_cmpx_lt_u32_e64 v37, v16
	s_cbranch_execz .LBB1122_398
; %bb.389:
	v_cmp_lt_u32_e64 s20, v19, v15
	s_xor_b32 s0, s12, -1
	s_delay_alu instid0(VALU_DEP_1) | instid1(SALU_CYCLE_1)
	s_and_b32 s0, s20, s0
	s_delay_alu instid0(SALU_CYCLE_1)
	s_and_saveexec_b32 s23, s0
	s_cbranch_execz .LBB1122_397
; %bb.390:
	v_mul_lo_u32 v8, v20, s8
	v_mul_lo_u32 v9, v21, s9
	v_mad_u64_u32 v[2:3], null, v21, s8, 0
	v_mul_lo_u32 v40, v38, s8
	v_mul_lo_u32 v41, v39, s9
	v_mad_u64_u32 v[6:7], null, v39, s8, 0
	s_mov_b32 s24, 0
	s_mov_b64 s[0:1], s[8:9]
	s_delay_alu instid0(VALU_DEP_4) | instskip(NEXT) | instid1(VALU_DEP_2)
	v_add3_u32 v3, v3, v9, v8
                                        ; implicit-def: $sgpr25
                                        ; implicit-def: $sgpr26
                                        ; implicit-def: $sgpr27
	v_add3_u32 v7, v7, v41, v40
	s_delay_alu instid0(VALU_DEP_2) | instskip(NEXT) | instid1(VALU_DEP_2)
	v_lshlrev_b64 v[2:3], 1, v[2:3]
	v_lshlrev_b64 v[6:7], 1, v[6:7]
	s_delay_alu instid0(VALU_DEP_2) | instskip(NEXT) | instid1(VALU_DEP_3)
	v_add_co_u32 v2, vcc_lo, s10, v2
	v_add_co_ci_u32_e32 v3, vcc_lo, s11, v3, vcc_lo
	s_delay_alu instid0(VALU_DEP_3) | instskip(NEXT) | instid1(VALU_DEP_4)
	v_add_co_u32 v6, vcc_lo, s10, v6
	v_add_co_ci_u32_e32 v7, vcc_lo, s11, v7, vcc_lo
	s_set_inst_prefetch_distance 0x1
	s_branch .LBB1122_392
	.p2align	6
.LBB1122_391:                           ;   in Loop: Header=BB1122_392 Depth=1
	s_or_b32 exec_lo, exec_lo, s30
	s_delay_alu instid0(SALU_CYCLE_1) | instskip(NEXT) | instid1(SALU_CYCLE_1)
	s_and_b32 s28, exec_lo, s28
	s_or_b32 s24, s28, s24
	s_and_not1_b32 s25, s25, exec_lo
	s_and_b32 s28, s26, exec_lo
	s_delay_alu instid0(SALU_CYCLE_1)
	s_or_b32 s25, s25, s28
	s_and_not1_b32 exec_lo, exec_lo, s24
	s_cbranch_execz .LBB1122_396
.LBB1122_392:                           ; =>This Inner Loop Header: Depth=1
	global_load_u16 v8, v[2:3], off
	global_load_u16 v9, v[6:7], off
	s_mov_b32 s28, -1
	s_mov_b32 s31, 0
	s_mov_b32 s29, -1
	s_mov_b32 s30, exec_lo
	s_waitcnt vmcnt(1)
	v_lshlrev_b32_e32 v8, 16, v8
	s_waitcnt vmcnt(0)
	v_lshlrev_b32_e32 v9, 16, v9
	s_delay_alu instid0(VALU_DEP_1)
	v_cmpx_nlt_f32_e32 v8, v9
; %bb.393:                              ;   in Loop: Header=BB1122_392 Depth=1
	v_cmp_ngt_f32_e32 vcc_lo, v8, v9
	s_and_b32 s27, vcc_lo, s27
	s_and_b32 s31, vcc_lo, exec_lo
	s_or_not1_b32 s29, s27, exec_lo
; %bb.394:                              ;   in Loop: Header=BB1122_392 Depth=1
	s_or_b32 exec_lo, exec_lo, s30
	s_delay_alu instid0(SALU_CYCLE_1) | instskip(SKIP_1) | instid1(SALU_CYCLE_1)
	s_and_not1_b32 s26, s26, exec_lo
	s_and_b32 s27, s29, exec_lo
	s_or_b32 s26, s26, s27
                                        ; implicit-def: $sgpr27
	s_and_saveexec_b32 s30, s31
	s_cbranch_execz .LBB1122_391
; %bb.395:                              ;   in Loop: Header=BB1122_392 Depth=1
	v_add_co_u32 v2, vcc_lo, v2, 2
	s_add_u32 s0, s0, -1
	s_addc_u32 s1, s1, -1
	v_add_co_ci_u32_e32 v3, vcc_lo, 0, v3, vcc_lo
	v_add_co_u32 v6, vcc_lo, v6, 2
	s_cmp_eq_u64 s[0:1], 0
	v_add_co_ci_u32_e32 v7, vcc_lo, 0, v7, vcc_lo
	s_cselect_b32 s28, -1, 0
	s_and_b32 s27, s29, exec_lo
	s_and_not1_b32 s26, s26, exec_lo
	s_or_not1_b32 s28, s28, exec_lo
	s_branch .LBB1122_391
.LBB1122_396:
	s_set_inst_prefetch_distance 0x2
	s_or_b32 exec_lo, exec_lo, s24
	s_xor_b32 s0, s25, -1
	s_and_not1_b32 s1, s20, exec_lo
	s_and_b32 s0, s0, exec_lo
	s_delay_alu instid0(SALU_CYCLE_1)
	s_or_b32 s20, s1, s0
.LBB1122_397:
	s_or_b32 exec_lo, exec_lo, s23
	s_delay_alu instid0(SALU_CYCLE_1)
	s_or_not1_b32 s20, s20, exec_lo
.LBB1122_398:
	s_or_b32 exec_lo, exec_lo, s22
	v_cndmask_b32_e64 v2, v37, v19, s20
	v_cndmask_b32_e64 v3, v16, v15, s20
	;; [unrolled: 1-line block ×5, first 2 shown]
	v_add_nc_u32_e32 v40, 1, v2
	v_add_nc_u32_e32 v2, -1, v3
	v_cndmask_b32_e64 v3, v10, v17, s21
	v_cndmask_b32_e64 v4, v21, v39, s20
	s_mov_b32 s19, exec_lo
	v_cndmask_b32_e64 v10, v40, v37, s20
	v_min_u32_e32 v2, v40, v2
	s_delay_alu instid0(VALU_DEP_1)
	v_lshlrev_b32_e32 v2, 3, v2
	ds_load_b64 v[8:9], v2
	v_cndmask_b32_e64 v2, v11, v18, s21
	s_waitcnt lgkmcnt(0)
	v_cndmask_b32_e64 v7, v38, v9, s20
	v_cndmask_b32_e64 v6, v39, v8, s20
	v_cmpx_lt_u32_e64 v10, v16
	s_cbranch_execz .LBB1122_408
; %bb.399:
	v_cndmask_b32_e64 v10, v19, v40, s20
	v_cndmask_b32_e64 v16, v9, v20, s20
	;; [unrolled: 1-line block ×3, first 2 shown]
	s_delay_alu instid0(VALU_DEP_3) | instskip(NEXT) | instid1(VALU_DEP_2)
	v_cmp_ge_u32_e32 vcc_lo, v10, v15
	v_dual_cndmask_b32 v9, v7, v16 :: v_dual_cndmask_b32 v8, v6, v17
	s_or_b32 s0, vcc_lo, s12
	s_delay_alu instid0(SALU_CYCLE_1) | instskip(NEXT) | instid1(SALU_CYCLE_1)
	s_xor_b32 s0, s0, -1
	s_and_saveexec_b32 s20, s0
	s_cbranch_execz .LBB1122_407
; %bb.400:
	v_mul_lo_u32 v15, v16, s8
	v_mul_lo_u32 v18, v17, s9
	v_mad_u64_u32 v[8:9], null, v17, s8, 0
	v_mul_lo_u32 v19, v7, s8
	v_mul_lo_u32 v20, v6, s9
	v_mad_u64_u32 v[10:11], null, v6, s8, 0
	s_mov_b32 s21, 0
	s_mov_b64 s[0:1], s[8:9]
	s_delay_alu instid0(VALU_DEP_4) | instskip(NEXT) | instid1(VALU_DEP_2)
	v_add3_u32 v9, v9, v18, v15
                                        ; implicit-def: $sgpr22
                                        ; implicit-def: $sgpr23
                                        ; implicit-def: $sgpr24
	v_add3_u32 v11, v11, v20, v19
	s_delay_alu instid0(VALU_DEP_2) | instskip(NEXT) | instid1(VALU_DEP_2)
	v_lshlrev_b64 v[8:9], 1, v[8:9]
	v_lshlrev_b64 v[10:11], 1, v[10:11]
	s_delay_alu instid0(VALU_DEP_2) | instskip(NEXT) | instid1(VALU_DEP_3)
	v_add_co_u32 v8, vcc_lo, s10, v8
	v_add_co_ci_u32_e32 v9, vcc_lo, s11, v9, vcc_lo
	s_delay_alu instid0(VALU_DEP_3) | instskip(NEXT) | instid1(VALU_DEP_4)
	v_add_co_u32 v10, vcc_lo, s10, v10
	v_add_co_ci_u32_e32 v11, vcc_lo, s11, v11, vcc_lo
	s_set_inst_prefetch_distance 0x1
	s_branch .LBB1122_402
	.p2align	6
.LBB1122_401:                           ;   in Loop: Header=BB1122_402 Depth=1
	s_or_b32 exec_lo, exec_lo, s27
	s_delay_alu instid0(SALU_CYCLE_1) | instskip(NEXT) | instid1(SALU_CYCLE_1)
	s_and_b32 s25, exec_lo, s25
	s_or_b32 s21, s25, s21
	s_and_not1_b32 s22, s22, exec_lo
	s_and_b32 s25, s23, exec_lo
	s_delay_alu instid0(SALU_CYCLE_1)
	s_or_b32 s22, s22, s25
	s_and_not1_b32 exec_lo, exec_lo, s21
	s_cbranch_execz .LBB1122_406
.LBB1122_402:                           ; =>This Inner Loop Header: Depth=1
	global_load_u16 v15, v[8:9], off
	global_load_u16 v18, v[10:11], off
	s_mov_b32 s25, -1
	s_mov_b32 s28, 0
	s_mov_b32 s26, -1
	s_mov_b32 s27, exec_lo
	s_waitcnt vmcnt(1)
	v_lshlrev_b32_e32 v15, 16, v15
	s_waitcnt vmcnt(0)
	v_lshlrev_b32_e32 v18, 16, v18
	s_delay_alu instid0(VALU_DEP_1)
	v_cmpx_nlt_f32_e32 v15, v18
; %bb.403:                              ;   in Loop: Header=BB1122_402 Depth=1
	v_cmp_ngt_f32_e32 vcc_lo, v15, v18
	s_and_b32 s24, vcc_lo, s24
	s_and_b32 s28, vcc_lo, exec_lo
	s_or_not1_b32 s26, s24, exec_lo
; %bb.404:                              ;   in Loop: Header=BB1122_402 Depth=1
	s_or_b32 exec_lo, exec_lo, s27
	s_delay_alu instid0(SALU_CYCLE_1) | instskip(SKIP_1) | instid1(SALU_CYCLE_1)
	s_and_not1_b32 s23, s23, exec_lo
	s_and_b32 s24, s26, exec_lo
	s_or_b32 s23, s23, s24
                                        ; implicit-def: $sgpr24
	s_and_saveexec_b32 s27, s28
	s_cbranch_execz .LBB1122_401
; %bb.405:                              ;   in Loop: Header=BB1122_402 Depth=1
	v_add_co_u32 v8, vcc_lo, v8, 2
	s_add_u32 s0, s0, -1
	s_addc_u32 s1, s1, -1
	v_add_co_ci_u32_e32 v9, vcc_lo, 0, v9, vcc_lo
	v_add_co_u32 v10, vcc_lo, v10, 2
	s_cmp_eq_u64 s[0:1], 0
	v_add_co_ci_u32_e32 v11, vcc_lo, 0, v11, vcc_lo
	s_cselect_b32 s25, -1, 0
	s_and_b32 s24, s26, exec_lo
	s_and_not1_b32 s23, s23, exec_lo
	s_or_not1_b32 s25, s25, exec_lo
	s_branch .LBB1122_401
.LBB1122_406:
	s_set_inst_prefetch_distance 0x2
	s_or_b32 exec_lo, exec_lo, s21
	v_cndmask_b32_e64 v9, v7, v16, s22
	v_cndmask_b32_e64 v8, v6, v17, s22
.LBB1122_407:
	s_or_b32 exec_lo, exec_lo, s20
	s_delay_alu instid0(VALU_DEP_1)
	v_dual_mov_b32 v6, v8 :: v_dual_mov_b32 v7, v9
.LBB1122_408:
	s_or_b32 exec_lo, exec_lo, s19
.LBB1122_409:
	s_delay_alu instid0(SALU_CYCLE_1) | instskip(SKIP_4) | instid1(VALU_DEP_2)
	s_or_b32 exec_lo, exec_lo, s17
	v_and_b32_e32 v19, 0xe00, v23
	v_and_b32_e32 v20, 0x1fc, v23
	s_mov_b32 s17, exec_lo
	s_barrier
	v_or_b32_e32 v8, 0x100, v19
	v_lshlrev_b32_e32 v18, 3, v19
	buffer_gl0_inv
	ds_store_b128 v14, v[0:3]
	ds_store_b128 v14, v[4:7] offset:16
	s_waitcnt lgkmcnt(0)
	v_min_u32_e32 v9, 0x300, v8
	v_min_u32_e32 v15, 0x400, v8
	s_barrier
	buffer_gl0_inv
	v_add_nc_u32_e32 v16, 0x100, v9
	v_sub_nc_u32_e32 v8, v15, v19
	s_delay_alu instid0(VALU_DEP_2) | instskip(NEXT) | instid1(VALU_DEP_2)
	v_sub_nc_u32_e32 v9, v16, v15
	v_min_u32_e32 v21, v20, v8
	s_delay_alu instid0(VALU_DEP_2) | instskip(NEXT) | instid1(VALU_DEP_1)
	v_sub_nc_u32_e64 v17, v20, v9 clamp
	v_cmpx_lt_u32_e64 v17, v21
	s_cbranch_execz .LBB1122_421
; %bb.410:
	v_lshlrev_b32_e32 v8, 3, v20
	s_lshl_b64 s[0:1], s[8:9], 1
	s_mov_b32 s19, 0
	s_delay_alu instid0(VALU_DEP_1)
	v_lshl_add_u32 v37, v15, 3, v8
	s_branch .LBB1122_413
.LBB1122_411:                           ;   in Loop: Header=BB1122_413 Depth=1
	s_set_inst_prefetch_distance 0x2
	s_or_b32 exec_lo, exec_lo, s23
.LBB1122_412:                           ;   in Loop: Header=BB1122_413 Depth=1
	s_delay_alu instid0(VALU_DEP_1) | instskip(SKIP_1) | instid1(VALU_DEP_2)
	v_add_nc_u32_e32 v8, 1, v38
	v_cndmask_b32_e64 v21, v21, v38, s22
	v_cndmask_b32_e64 v17, v8, v17, s22
	s_delay_alu instid0(VALU_DEP_1) | instskip(SKIP_1) | instid1(SALU_CYCLE_1)
	v_cmp_ge_u32_e32 vcc_lo, v17, v21
	s_or_b32 s19, vcc_lo, s19
	s_and_not1_b32 exec_lo, exec_lo, s19
	s_cbranch_execz .LBB1122_420
.LBB1122_413:                           ; =>This Loop Header: Depth=1
                                        ;     Child Loop BB1122_416 Depth 2
	v_add_nc_u32_e32 v8, v21, v17
	v_cmp_ne_u32_e32 vcc_lo, 1, v36
	s_mov_b32 s22, 0
	s_delay_alu instid0(VALU_DEP_2)
	v_lshrrev_b32_e32 v38, 1, v8
	s_cbranch_vccnz .LBB1122_412
; %bb.414:                              ;   in Loop: Header=BB1122_413 Depth=1
	s_delay_alu instid0(VALU_DEP_1) | instskip(SKIP_3) | instid1(VALU_DEP_2)
	v_not_b32_e32 v8, v38
	v_lshl_add_u32 v9, v38, 3, v18
	s_mov_b32 s23, 0
	s_mov_b64 s[20:21], s[8:9]
                                        ; implicit-def: $sgpr22
                                        ; implicit-def: $sgpr24
                                        ; implicit-def: $sgpr25
	v_lshl_add_u32 v8, v8, 3, v37
	ds_load_b64 v[10:11], v8
	ds_load_b64 v[39:40], v9
	s_waitcnt lgkmcnt(1)
	v_mul_lo_u32 v41, s0, v11
	v_mul_lo_u32 v42, s1, v10
	v_mad_u64_u32 v[8:9], null, s0, v10, s[10:11]
	s_waitcnt lgkmcnt(0)
	v_mul_lo_u32 v40, s0, v40
	v_mul_lo_u32 v43, s1, v39
	v_mad_u64_u32 v[10:11], null, s0, v39, s[10:11]
	s_delay_alu instid0(VALU_DEP_4) | instskip(NEXT) | instid1(VALU_DEP_2)
	v_add3_u32 v9, v42, v9, v41
	v_add3_u32 v11, v43, v11, v40
	s_set_inst_prefetch_distance 0x1
	s_branch .LBB1122_416
	.p2align	6
.LBB1122_415:                           ;   in Loop: Header=BB1122_416 Depth=2
	s_or_b32 exec_lo, exec_lo, s28
	s_delay_alu instid0(SALU_CYCLE_1) | instskip(NEXT) | instid1(SALU_CYCLE_1)
	s_and_b32 s26, exec_lo, s27
	s_or_b32 s23, s26, s23
	s_and_not1_b32 s22, s22, exec_lo
	s_and_b32 s26, s24, exec_lo
	s_delay_alu instid0(SALU_CYCLE_1)
	s_or_b32 s22, s22, s26
	s_and_not1_b32 exec_lo, exec_lo, s23
	s_cbranch_execz .LBB1122_411
.LBB1122_416:                           ;   Parent Loop BB1122_413 Depth=1
                                        ; =>  This Inner Loop Header: Depth=2
	global_load_u16 v39, v[8:9], off
	global_load_u16 v40, v[10:11], off
	s_mov_b32 s27, -1
	s_mov_b32 s29, 0
	s_mov_b32 s26, -1
	s_mov_b32 s28, exec_lo
	s_waitcnt vmcnt(1)
	v_lshlrev_b32_e32 v39, 16, v39
	s_waitcnt vmcnt(0)
	v_lshlrev_b32_e32 v40, 16, v40
	s_delay_alu instid0(VALU_DEP_1)
	v_cmpx_nlt_f32_e32 v39, v40
; %bb.417:                              ;   in Loop: Header=BB1122_416 Depth=2
	v_cmp_ngt_f32_e32 vcc_lo, v39, v40
	s_and_b32 s25, vcc_lo, s25
	s_and_b32 s29, vcc_lo, exec_lo
	s_or_not1_b32 s26, s25, exec_lo
; %bb.418:                              ;   in Loop: Header=BB1122_416 Depth=2
	s_or_b32 exec_lo, exec_lo, s28
	s_delay_alu instid0(SALU_CYCLE_1) | instskip(SKIP_1) | instid1(SALU_CYCLE_1)
	s_and_not1_b32 s24, s24, exec_lo
	s_and_b32 s25, s26, exec_lo
	s_or_b32 s24, s24, s25
                                        ; implicit-def: $sgpr25
	s_and_saveexec_b32 s28, s29
	s_cbranch_execz .LBB1122_415
; %bb.419:                              ;   in Loop: Header=BB1122_416 Depth=2
	v_add_co_u32 v8, vcc_lo, v8, 2
	s_add_u32 s20, s20, -1
	s_addc_u32 s21, s21, -1
	v_add_co_ci_u32_e32 v9, vcc_lo, 0, v9, vcc_lo
	v_add_co_u32 v10, vcc_lo, v10, 2
	s_cmp_eq_u64 s[20:21], 0
	v_add_co_ci_u32_e32 v11, vcc_lo, 0, v11, vcc_lo
	s_cselect_b32 s27, -1, 0
	s_and_not1_b32 s24, s24, exec_lo
	s_and_b32 s25, s26, exec_lo
	s_or_not1_b32 s27, s27, exec_lo
	s_branch .LBB1122_415
.LBB1122_420:
	s_or_b32 exec_lo, exec_lo, s19
.LBB1122_421:
	s_delay_alu instid0(SALU_CYCLE_1) | instskip(SKIP_2) | instid1(VALU_DEP_2)
	s_or_b32 exec_lo, exec_lo, s17
	v_sub_nc_u32_e32 v9, v20, v17
	v_add_nc_u32_e32 v8, v17, v19
	v_add_nc_u32_e32 v9, v9, v15
	s_delay_alu instid0(VALU_DEP_2) | instskip(NEXT) | instid1(VALU_DEP_2)
	v_cmp_le_u32_e32 vcc_lo, v8, v15
	v_cmp_le_u32_e64 s0, v9, v16
	s_delay_alu instid0(VALU_DEP_1) | instskip(NEXT) | instid1(SALU_CYCLE_1)
	s_or_b32 s0, vcc_lo, s0
	s_and_saveexec_b32 s17, s0
	s_cbranch_execz .LBB1122_465
; %bb.422:
	v_cmp_ge_u32_e32 vcc_lo, v8, v15
	s_mov_b32 s1, exec_lo
                                        ; implicit-def: $vgpr0_vgpr1
	v_cmpx_lt_u32_e64 v8, v15
	s_cbranch_execz .LBB1122_424
; %bb.423:
	v_lshl_add_u32 v0, v17, 3, v18
	ds_load_b64 v[0:1], v0
.LBB1122_424:
	s_or_b32 exec_lo, exec_lo, s1
	v_cmp_ge_u32_e64 s0, v9, v16
	s_mov_b32 s19, exec_lo
                                        ; implicit-def: $vgpr4_vgpr5
	v_cmpx_lt_u32_e64 v9, v16
	s_cbranch_execz .LBB1122_426
; %bb.425:
	v_lshlrev_b32_e32 v2, 3, v9
	ds_load_b64 v[4:5], v2
.LBB1122_426:
	s_or_b32 exec_lo, exec_lo, s19
	s_or_b32 s1, vcc_lo, s0
	s_xor_b32 s19, vcc_lo, -1
	s_or_b32 s1, s1, s12
	s_or_b32 s19, s0, s19
	s_xor_b32 s1, s1, -1
	s_delay_alu instid0(SALU_CYCLE_1)
	s_and_saveexec_b32 s20, s1
	s_cbranch_execz .LBB1122_434
; %bb.427:
	s_waitcnt lgkmcnt(0)
	v_mul_lo_u32 v10, v5, s8
	v_mul_lo_u32 v11, v4, s9
	v_mad_u64_u32 v[2:3], null, v4, s8, 0
	v_mul_lo_u32 v17, v1, s8
	v_mul_lo_u32 v18, v0, s9
	v_mad_u64_u32 v[6:7], null, v0, s8, 0
	s_mov_b32 s21, 0
	s_mov_b64 s[0:1], s[8:9]
	s_delay_alu instid0(VALU_DEP_4) | instskip(NEXT) | instid1(VALU_DEP_2)
	v_add3_u32 v3, v3, v11, v10
                                        ; implicit-def: $sgpr22
                                        ; implicit-def: $sgpr23
                                        ; implicit-def: $sgpr24
	v_add3_u32 v7, v7, v18, v17
	s_delay_alu instid0(VALU_DEP_2) | instskip(NEXT) | instid1(VALU_DEP_2)
	v_lshlrev_b64 v[2:3], 1, v[2:3]
	v_lshlrev_b64 v[6:7], 1, v[6:7]
	s_delay_alu instid0(VALU_DEP_2) | instskip(NEXT) | instid1(VALU_DEP_3)
	v_add_co_u32 v2, vcc_lo, s10, v2
	v_add_co_ci_u32_e32 v3, vcc_lo, s11, v3, vcc_lo
	s_delay_alu instid0(VALU_DEP_3) | instskip(NEXT) | instid1(VALU_DEP_4)
	v_add_co_u32 v6, vcc_lo, s10, v6
	v_add_co_ci_u32_e32 v7, vcc_lo, s11, v7, vcc_lo
	s_set_inst_prefetch_distance 0x1
	s_branch .LBB1122_429
	.p2align	6
.LBB1122_428:                           ;   in Loop: Header=BB1122_429 Depth=1
	s_or_b32 exec_lo, exec_lo, s27
	s_delay_alu instid0(SALU_CYCLE_1) | instskip(NEXT) | instid1(SALU_CYCLE_1)
	s_and_b32 s25, exec_lo, s25
	s_or_b32 s21, s25, s21
	s_and_not1_b32 s22, s22, exec_lo
	s_and_b32 s25, s23, exec_lo
	s_delay_alu instid0(SALU_CYCLE_1)
	s_or_b32 s22, s22, s25
	s_and_not1_b32 exec_lo, exec_lo, s21
	s_cbranch_execz .LBB1122_433
.LBB1122_429:                           ; =>This Inner Loop Header: Depth=1
	global_load_u16 v10, v[2:3], off
	global_load_u16 v11, v[6:7], off
	s_mov_b32 s25, -1
	s_mov_b32 s28, 0
	s_mov_b32 s26, -1
	s_mov_b32 s27, exec_lo
	s_waitcnt vmcnt(1)
	v_lshlrev_b32_e32 v10, 16, v10
	s_waitcnt vmcnt(0)
	v_lshlrev_b32_e32 v11, 16, v11
	s_delay_alu instid0(VALU_DEP_1)
	v_cmpx_nlt_f32_e32 v10, v11
; %bb.430:                              ;   in Loop: Header=BB1122_429 Depth=1
	v_cmp_ngt_f32_e32 vcc_lo, v10, v11
	s_and_b32 s24, vcc_lo, s24
	s_and_b32 s28, vcc_lo, exec_lo
	s_or_not1_b32 s26, s24, exec_lo
; %bb.431:                              ;   in Loop: Header=BB1122_429 Depth=1
	s_or_b32 exec_lo, exec_lo, s27
	s_delay_alu instid0(SALU_CYCLE_1) | instskip(SKIP_1) | instid1(SALU_CYCLE_1)
	s_and_not1_b32 s23, s23, exec_lo
	s_and_b32 s24, s26, exec_lo
	s_or_b32 s23, s23, s24
                                        ; implicit-def: $sgpr24
	s_and_saveexec_b32 s27, s28
	s_cbranch_execz .LBB1122_428
; %bb.432:                              ;   in Loop: Header=BB1122_429 Depth=1
	v_add_co_u32 v2, vcc_lo, v2, 2
	s_add_u32 s0, s0, -1
	s_addc_u32 s1, s1, -1
	v_add_co_ci_u32_e32 v3, vcc_lo, 0, v3, vcc_lo
	v_add_co_u32 v6, vcc_lo, v6, 2
	s_cmp_eq_u64 s[0:1], 0
	v_add_co_ci_u32_e32 v7, vcc_lo, 0, v7, vcc_lo
	s_cselect_b32 s25, -1, 0
	s_and_b32 s24, s26, exec_lo
	s_and_not1_b32 s23, s23, exec_lo
	s_or_not1_b32 s25, s25, exec_lo
	s_branch .LBB1122_428
.LBB1122_433:
	s_set_inst_prefetch_distance 0x2
	s_or_b32 exec_lo, exec_lo, s21
	s_xor_b32 s0, s22, -1
	s_and_not1_b32 s1, s19, exec_lo
	s_and_b32 s0, s0, exec_lo
	s_delay_alu instid0(SALU_CYCLE_1)
	s_or_b32 s19, s1, s0
.LBB1122_434:
	s_or_b32 exec_lo, exec_lo, s20
	v_cndmask_b32_e64 v2, v9, v8, s19
	v_cndmask_b32_e64 v3, v16, v15, s19
	s_mov_b32 s20, -1
	s_mov_b32 s21, -1
	s_mov_b32 s22, exec_lo
	v_add_nc_u32_e32 v6, 1, v2
	v_add_nc_u32_e32 v2, -1, v3
	s_delay_alu instid0(VALU_DEP_2) | instskip(NEXT) | instid1(VALU_DEP_2)
	v_cndmask_b32_e64 v9, v6, v9, s19
	v_min_u32_e32 v2, v6, v2
	v_cndmask_b32_e64 v8, v8, v6, s19
	s_delay_alu instid0(VALU_DEP_2)
	v_lshlrev_b32_e32 v2, 3, v2
	ds_load_b64 v[2:3], v2
	s_waitcnt lgkmcnt(0)
	v_cndmask_b32_e64 v10, v3, v5, s19
	v_cndmask_b32_e64 v11, v2, v4, s19
	;; [unrolled: 1-line block ×4, first 2 shown]
	v_cmpx_lt_u32_e64 v9, v16
	s_cbranch_execz .LBB1122_444
; %bb.435:
	v_cmp_lt_u32_e64 s21, v8, v15
	s_xor_b32 s0, s12, -1
	s_delay_alu instid0(VALU_DEP_1) | instid1(SALU_CYCLE_1)
	s_and_b32 s0, s21, s0
	s_delay_alu instid0(SALU_CYCLE_1)
	s_and_saveexec_b32 s23, s0
	s_cbranch_execz .LBB1122_443
; %bb.436:
	v_mul_lo_u32 v19, v10, s8
	v_mul_lo_u32 v20, v11, s9
	v_mad_u64_u32 v[2:3], null, v11, s8, 0
	v_mul_lo_u32 v21, v17, s8
	v_mul_lo_u32 v37, v18, s9
	v_mad_u64_u32 v[6:7], null, v18, s8, 0
	s_mov_b32 s24, 0
	s_mov_b64 s[0:1], s[8:9]
	s_delay_alu instid0(VALU_DEP_4) | instskip(NEXT) | instid1(VALU_DEP_2)
	v_add3_u32 v3, v3, v20, v19
                                        ; implicit-def: $sgpr25
                                        ; implicit-def: $sgpr26
                                        ; implicit-def: $sgpr27
	v_add3_u32 v7, v7, v37, v21
	s_delay_alu instid0(VALU_DEP_2) | instskip(NEXT) | instid1(VALU_DEP_2)
	v_lshlrev_b64 v[2:3], 1, v[2:3]
	v_lshlrev_b64 v[6:7], 1, v[6:7]
	s_delay_alu instid0(VALU_DEP_2) | instskip(NEXT) | instid1(VALU_DEP_3)
	v_add_co_u32 v2, vcc_lo, s10, v2
	v_add_co_ci_u32_e32 v3, vcc_lo, s11, v3, vcc_lo
	s_delay_alu instid0(VALU_DEP_3) | instskip(NEXT) | instid1(VALU_DEP_4)
	v_add_co_u32 v6, vcc_lo, s10, v6
	v_add_co_ci_u32_e32 v7, vcc_lo, s11, v7, vcc_lo
	s_set_inst_prefetch_distance 0x1
	s_branch .LBB1122_438
	.p2align	6
.LBB1122_437:                           ;   in Loop: Header=BB1122_438 Depth=1
	s_or_b32 exec_lo, exec_lo, s30
	s_delay_alu instid0(SALU_CYCLE_1) | instskip(NEXT) | instid1(SALU_CYCLE_1)
	s_and_b32 s28, exec_lo, s28
	s_or_b32 s24, s28, s24
	s_and_not1_b32 s25, s25, exec_lo
	s_and_b32 s28, s26, exec_lo
	s_delay_alu instid0(SALU_CYCLE_1)
	s_or_b32 s25, s25, s28
	s_and_not1_b32 exec_lo, exec_lo, s24
	s_cbranch_execz .LBB1122_442
.LBB1122_438:                           ; =>This Inner Loop Header: Depth=1
	global_load_u16 v19, v[2:3], off
	global_load_u16 v20, v[6:7], off
	s_mov_b32 s28, -1
	s_mov_b32 s31, 0
	s_mov_b32 s29, -1
	s_mov_b32 s30, exec_lo
	s_waitcnt vmcnt(1)
	v_lshlrev_b32_e32 v19, 16, v19
	s_waitcnt vmcnt(0)
	v_lshlrev_b32_e32 v20, 16, v20
	s_delay_alu instid0(VALU_DEP_1)
	v_cmpx_nlt_f32_e32 v19, v20
; %bb.439:                              ;   in Loop: Header=BB1122_438 Depth=1
	v_cmp_ngt_f32_e32 vcc_lo, v19, v20
	s_and_b32 s27, vcc_lo, s27
	s_and_b32 s31, vcc_lo, exec_lo
	s_or_not1_b32 s29, s27, exec_lo
; %bb.440:                              ;   in Loop: Header=BB1122_438 Depth=1
	s_or_b32 exec_lo, exec_lo, s30
	s_delay_alu instid0(SALU_CYCLE_1) | instskip(SKIP_1) | instid1(SALU_CYCLE_1)
	s_and_not1_b32 s26, s26, exec_lo
	s_and_b32 s27, s29, exec_lo
	s_or_b32 s26, s26, s27
                                        ; implicit-def: $sgpr27
	s_and_saveexec_b32 s30, s31
	s_cbranch_execz .LBB1122_437
; %bb.441:                              ;   in Loop: Header=BB1122_438 Depth=1
	v_add_co_u32 v2, vcc_lo, v2, 2
	s_add_u32 s0, s0, -1
	s_addc_u32 s1, s1, -1
	v_add_co_ci_u32_e32 v3, vcc_lo, 0, v3, vcc_lo
	v_add_co_u32 v6, vcc_lo, v6, 2
	s_cmp_eq_u64 s[0:1], 0
	v_add_co_ci_u32_e32 v7, vcc_lo, 0, v7, vcc_lo
	s_cselect_b32 s28, -1, 0
	s_and_b32 s27, s29, exec_lo
	s_and_not1_b32 s26, s26, exec_lo
	s_or_not1_b32 s28, s28, exec_lo
	s_branch .LBB1122_437
.LBB1122_442:
	s_set_inst_prefetch_distance 0x2
	s_or_b32 exec_lo, exec_lo, s24
	s_xor_b32 s0, s25, -1
	s_and_not1_b32 s1, s21, exec_lo
	s_and_b32 s0, s0, exec_lo
	s_delay_alu instid0(SALU_CYCLE_1)
	s_or_b32 s21, s1, s0
.LBB1122_443:
	s_or_b32 exec_lo, exec_lo, s23
	s_delay_alu instid0(SALU_CYCLE_1)
	s_or_not1_b32 s21, s21, exec_lo
.LBB1122_444:
	s_or_b32 exec_lo, exec_lo, s22
	v_cndmask_b32_e64 v2, v9, v8, s21
	v_cndmask_b32_e64 v3, v16, v15, s21
	s_mov_b32 s22, exec_lo
	s_delay_alu instid0(VALU_DEP_2) | instskip(NEXT) | instid1(VALU_DEP_2)
	v_add_nc_u32_e32 v6, 1, v2
	v_add_nc_u32_e32 v2, -1, v3
	s_delay_alu instid0(VALU_DEP_2) | instskip(NEXT) | instid1(VALU_DEP_2)
	v_cndmask_b32_e64 v37, v6, v9, s21
	v_min_u32_e32 v2, v6, v2
	v_cndmask_b32_e64 v19, v8, v6, s21
	s_delay_alu instid0(VALU_DEP_2)
	v_lshlrev_b32_e32 v2, 3, v2
	ds_load_b64 v[2:3], v2
	s_waitcnt lgkmcnt(0)
	v_cndmask_b32_e64 v20, v3, v10, s21
	v_cndmask_b32_e64 v21, v2, v11, s21
	;; [unrolled: 1-line block ×4, first 2 shown]
	v_cmpx_lt_u32_e64 v37, v16
	s_cbranch_execz .LBB1122_454
; %bb.445:
	v_cmp_lt_u32_e64 s20, v19, v15
	s_xor_b32 s0, s12, -1
	s_delay_alu instid0(VALU_DEP_1) | instid1(SALU_CYCLE_1)
	s_and_b32 s0, s20, s0
	s_delay_alu instid0(SALU_CYCLE_1)
	s_and_saveexec_b32 s23, s0
	s_cbranch_execz .LBB1122_453
; %bb.446:
	v_mul_lo_u32 v8, v20, s8
	v_mul_lo_u32 v9, v21, s9
	v_mad_u64_u32 v[2:3], null, v21, s8, 0
	v_mul_lo_u32 v40, v38, s8
	v_mul_lo_u32 v41, v39, s9
	v_mad_u64_u32 v[6:7], null, v39, s8, 0
	s_mov_b32 s24, 0
	s_mov_b64 s[0:1], s[8:9]
	s_delay_alu instid0(VALU_DEP_4) | instskip(NEXT) | instid1(VALU_DEP_2)
	v_add3_u32 v3, v3, v9, v8
                                        ; implicit-def: $sgpr25
                                        ; implicit-def: $sgpr26
                                        ; implicit-def: $sgpr27
	v_add3_u32 v7, v7, v41, v40
	s_delay_alu instid0(VALU_DEP_2) | instskip(NEXT) | instid1(VALU_DEP_2)
	v_lshlrev_b64 v[2:3], 1, v[2:3]
	v_lshlrev_b64 v[6:7], 1, v[6:7]
	s_delay_alu instid0(VALU_DEP_2) | instskip(NEXT) | instid1(VALU_DEP_3)
	v_add_co_u32 v2, vcc_lo, s10, v2
	v_add_co_ci_u32_e32 v3, vcc_lo, s11, v3, vcc_lo
	s_delay_alu instid0(VALU_DEP_3) | instskip(NEXT) | instid1(VALU_DEP_4)
	v_add_co_u32 v6, vcc_lo, s10, v6
	v_add_co_ci_u32_e32 v7, vcc_lo, s11, v7, vcc_lo
	s_set_inst_prefetch_distance 0x1
	s_branch .LBB1122_448
	.p2align	6
.LBB1122_447:                           ;   in Loop: Header=BB1122_448 Depth=1
	s_or_b32 exec_lo, exec_lo, s30
	s_delay_alu instid0(SALU_CYCLE_1) | instskip(NEXT) | instid1(SALU_CYCLE_1)
	s_and_b32 s28, exec_lo, s28
	s_or_b32 s24, s28, s24
	s_and_not1_b32 s25, s25, exec_lo
	s_and_b32 s28, s26, exec_lo
	s_delay_alu instid0(SALU_CYCLE_1)
	s_or_b32 s25, s25, s28
	s_and_not1_b32 exec_lo, exec_lo, s24
	s_cbranch_execz .LBB1122_452
.LBB1122_448:                           ; =>This Inner Loop Header: Depth=1
	global_load_u16 v8, v[2:3], off
	global_load_u16 v9, v[6:7], off
	s_mov_b32 s28, -1
	s_mov_b32 s31, 0
	s_mov_b32 s29, -1
	s_mov_b32 s30, exec_lo
	s_waitcnt vmcnt(1)
	v_lshlrev_b32_e32 v8, 16, v8
	s_waitcnt vmcnt(0)
	v_lshlrev_b32_e32 v9, 16, v9
	s_delay_alu instid0(VALU_DEP_1)
	v_cmpx_nlt_f32_e32 v8, v9
; %bb.449:                              ;   in Loop: Header=BB1122_448 Depth=1
	v_cmp_ngt_f32_e32 vcc_lo, v8, v9
	s_and_b32 s27, vcc_lo, s27
	s_and_b32 s31, vcc_lo, exec_lo
	s_or_not1_b32 s29, s27, exec_lo
; %bb.450:                              ;   in Loop: Header=BB1122_448 Depth=1
	s_or_b32 exec_lo, exec_lo, s30
	s_delay_alu instid0(SALU_CYCLE_1) | instskip(SKIP_1) | instid1(SALU_CYCLE_1)
	s_and_not1_b32 s26, s26, exec_lo
	s_and_b32 s27, s29, exec_lo
	s_or_b32 s26, s26, s27
                                        ; implicit-def: $sgpr27
	s_and_saveexec_b32 s30, s31
	s_cbranch_execz .LBB1122_447
; %bb.451:                              ;   in Loop: Header=BB1122_448 Depth=1
	v_add_co_u32 v2, vcc_lo, v2, 2
	s_add_u32 s0, s0, -1
	s_addc_u32 s1, s1, -1
	v_add_co_ci_u32_e32 v3, vcc_lo, 0, v3, vcc_lo
	v_add_co_u32 v6, vcc_lo, v6, 2
	s_cmp_eq_u64 s[0:1], 0
	v_add_co_ci_u32_e32 v7, vcc_lo, 0, v7, vcc_lo
	s_cselect_b32 s28, -1, 0
	s_and_b32 s27, s29, exec_lo
	s_and_not1_b32 s26, s26, exec_lo
	s_or_not1_b32 s28, s28, exec_lo
	s_branch .LBB1122_447
.LBB1122_452:
	s_set_inst_prefetch_distance 0x2
	s_or_b32 exec_lo, exec_lo, s24
	s_xor_b32 s0, s25, -1
	s_and_not1_b32 s1, s20, exec_lo
	s_and_b32 s0, s0, exec_lo
	s_delay_alu instid0(SALU_CYCLE_1)
	s_or_b32 s20, s1, s0
.LBB1122_453:
	s_or_b32 exec_lo, exec_lo, s23
	s_delay_alu instid0(SALU_CYCLE_1)
	s_or_not1_b32 s20, s20, exec_lo
.LBB1122_454:
	s_or_b32 exec_lo, exec_lo, s22
	v_cndmask_b32_e64 v2, v37, v19, s20
	v_cndmask_b32_e64 v3, v16, v15, s20
	;; [unrolled: 1-line block ×5, first 2 shown]
	v_add_nc_u32_e32 v40, 1, v2
	v_add_nc_u32_e32 v2, -1, v3
	v_cndmask_b32_e64 v3, v10, v17, s21
	v_cndmask_b32_e64 v4, v21, v39, s20
	s_mov_b32 s19, exec_lo
	v_cndmask_b32_e64 v10, v40, v37, s20
	v_min_u32_e32 v2, v40, v2
	s_delay_alu instid0(VALU_DEP_1)
	v_lshlrev_b32_e32 v2, 3, v2
	ds_load_b64 v[8:9], v2
	v_cndmask_b32_e64 v2, v11, v18, s21
	s_waitcnt lgkmcnt(0)
	v_cndmask_b32_e64 v7, v38, v9, s20
	v_cndmask_b32_e64 v6, v39, v8, s20
	v_cmpx_lt_u32_e64 v10, v16
	s_cbranch_execz .LBB1122_464
; %bb.455:
	v_cndmask_b32_e64 v10, v19, v40, s20
	v_cndmask_b32_e64 v16, v9, v20, s20
	;; [unrolled: 1-line block ×3, first 2 shown]
	s_delay_alu instid0(VALU_DEP_3) | instskip(NEXT) | instid1(VALU_DEP_2)
	v_cmp_ge_u32_e32 vcc_lo, v10, v15
	v_dual_cndmask_b32 v9, v7, v16 :: v_dual_cndmask_b32 v8, v6, v17
	s_or_b32 s0, vcc_lo, s12
	s_delay_alu instid0(SALU_CYCLE_1) | instskip(NEXT) | instid1(SALU_CYCLE_1)
	s_xor_b32 s0, s0, -1
	s_and_saveexec_b32 s20, s0
	s_cbranch_execz .LBB1122_463
; %bb.456:
	v_mul_lo_u32 v15, v16, s8
	v_mul_lo_u32 v18, v17, s9
	v_mad_u64_u32 v[8:9], null, v17, s8, 0
	v_mul_lo_u32 v19, v7, s8
	v_mul_lo_u32 v20, v6, s9
	v_mad_u64_u32 v[10:11], null, v6, s8, 0
	s_mov_b32 s21, 0
	s_mov_b64 s[0:1], s[8:9]
	s_delay_alu instid0(VALU_DEP_4) | instskip(NEXT) | instid1(VALU_DEP_2)
	v_add3_u32 v9, v9, v18, v15
                                        ; implicit-def: $sgpr22
                                        ; implicit-def: $sgpr23
                                        ; implicit-def: $sgpr24
	v_add3_u32 v11, v11, v20, v19
	s_delay_alu instid0(VALU_DEP_2) | instskip(NEXT) | instid1(VALU_DEP_2)
	v_lshlrev_b64 v[8:9], 1, v[8:9]
	v_lshlrev_b64 v[10:11], 1, v[10:11]
	s_delay_alu instid0(VALU_DEP_2) | instskip(NEXT) | instid1(VALU_DEP_3)
	v_add_co_u32 v8, vcc_lo, s10, v8
	v_add_co_ci_u32_e32 v9, vcc_lo, s11, v9, vcc_lo
	s_delay_alu instid0(VALU_DEP_3) | instskip(NEXT) | instid1(VALU_DEP_4)
	v_add_co_u32 v10, vcc_lo, s10, v10
	v_add_co_ci_u32_e32 v11, vcc_lo, s11, v11, vcc_lo
	s_set_inst_prefetch_distance 0x1
	s_branch .LBB1122_458
	.p2align	6
.LBB1122_457:                           ;   in Loop: Header=BB1122_458 Depth=1
	s_or_b32 exec_lo, exec_lo, s27
	s_delay_alu instid0(SALU_CYCLE_1) | instskip(NEXT) | instid1(SALU_CYCLE_1)
	s_and_b32 s25, exec_lo, s25
	s_or_b32 s21, s25, s21
	s_and_not1_b32 s22, s22, exec_lo
	s_and_b32 s25, s23, exec_lo
	s_delay_alu instid0(SALU_CYCLE_1)
	s_or_b32 s22, s22, s25
	s_and_not1_b32 exec_lo, exec_lo, s21
	s_cbranch_execz .LBB1122_462
.LBB1122_458:                           ; =>This Inner Loop Header: Depth=1
	global_load_u16 v15, v[8:9], off
	global_load_u16 v18, v[10:11], off
	s_mov_b32 s25, -1
	s_mov_b32 s28, 0
	s_mov_b32 s26, -1
	s_mov_b32 s27, exec_lo
	s_waitcnt vmcnt(1)
	v_lshlrev_b32_e32 v15, 16, v15
	s_waitcnt vmcnt(0)
	v_lshlrev_b32_e32 v18, 16, v18
	s_delay_alu instid0(VALU_DEP_1)
	v_cmpx_nlt_f32_e32 v15, v18
; %bb.459:                              ;   in Loop: Header=BB1122_458 Depth=1
	v_cmp_ngt_f32_e32 vcc_lo, v15, v18
	s_and_b32 s24, vcc_lo, s24
	s_and_b32 s28, vcc_lo, exec_lo
	s_or_not1_b32 s26, s24, exec_lo
; %bb.460:                              ;   in Loop: Header=BB1122_458 Depth=1
	s_or_b32 exec_lo, exec_lo, s27
	s_delay_alu instid0(SALU_CYCLE_1) | instskip(SKIP_1) | instid1(SALU_CYCLE_1)
	s_and_not1_b32 s23, s23, exec_lo
	s_and_b32 s24, s26, exec_lo
	s_or_b32 s23, s23, s24
                                        ; implicit-def: $sgpr24
	s_and_saveexec_b32 s27, s28
	s_cbranch_execz .LBB1122_457
; %bb.461:                              ;   in Loop: Header=BB1122_458 Depth=1
	v_add_co_u32 v8, vcc_lo, v8, 2
	s_add_u32 s0, s0, -1
	s_addc_u32 s1, s1, -1
	v_add_co_ci_u32_e32 v9, vcc_lo, 0, v9, vcc_lo
	v_add_co_u32 v10, vcc_lo, v10, 2
	s_cmp_eq_u64 s[0:1], 0
	v_add_co_ci_u32_e32 v11, vcc_lo, 0, v11, vcc_lo
	s_cselect_b32 s25, -1, 0
	s_and_b32 s24, s26, exec_lo
	s_and_not1_b32 s23, s23, exec_lo
	s_or_not1_b32 s25, s25, exec_lo
	s_branch .LBB1122_457
.LBB1122_462:
	s_set_inst_prefetch_distance 0x2
	s_or_b32 exec_lo, exec_lo, s21
	v_cndmask_b32_e64 v9, v7, v16, s22
	v_cndmask_b32_e64 v8, v6, v17, s22
.LBB1122_463:
	s_or_b32 exec_lo, exec_lo, s20
	s_delay_alu instid0(VALU_DEP_1)
	v_dual_mov_b32 v6, v8 :: v_dual_mov_b32 v7, v9
.LBB1122_464:
	s_or_b32 exec_lo, exec_lo, s19
.LBB1122_465:
	s_delay_alu instid0(SALU_CYCLE_1) | instskip(SKIP_4) | instid1(VALU_DEP_2)
	s_or_b32 exec_lo, exec_lo, s17
	v_and_b32_e32 v18, 0xc00, v23
	v_and_b32_e32 v19, 0x3fc, v23
	s_mov_b32 s17, exec_lo
	s_barrier
	v_or_b32_e32 v8, 0x200, v18
	v_lshlrev_b32_e32 v17, 3, v18
	buffer_gl0_inv
	ds_store_b128 v14, v[0:3]
	ds_store_b128 v14, v[4:7] offset:16
	s_waitcnt lgkmcnt(0)
	v_min_u32_e32 v15, 0x400, v8
	s_barrier
	buffer_gl0_inv
	v_sub_nc_u32_e32 v8, 0x400, v15
	v_sub_nc_u32_e32 v9, v15, v18
	s_delay_alu instid0(VALU_DEP_2) | instskip(NEXT) | instid1(VALU_DEP_2)
	v_sub_nc_u32_e64 v16, v19, v8 clamp
	v_min_u32_e32 v20, v19, v9
	s_delay_alu instid0(VALU_DEP_1)
	v_cmpx_lt_u32_e64 v16, v20
	s_cbranch_execz .LBB1122_477
; %bb.466:
	v_lshlrev_b32_e32 v8, 3, v19
	s_lshl_b64 s[0:1], s[8:9], 1
	s_mov_b32 s19, 0
	s_delay_alu instid0(VALU_DEP_1)
	v_lshl_add_u32 v14, v15, 3, v8
	s_branch .LBB1122_469
.LBB1122_467:                           ;   in Loop: Header=BB1122_469 Depth=1
	s_set_inst_prefetch_distance 0x2
	s_or_b32 exec_lo, exec_lo, s23
.LBB1122_468:                           ;   in Loop: Header=BB1122_469 Depth=1
	s_delay_alu instid0(VALU_DEP_1) | instskip(SKIP_1) | instid1(VALU_DEP_2)
	v_add_nc_u32_e32 v8, 1, v21
	v_cndmask_b32_e64 v20, v20, v21, s22
	v_cndmask_b32_e64 v16, v8, v16, s22
	s_delay_alu instid0(VALU_DEP_1) | instskip(SKIP_1) | instid1(SALU_CYCLE_1)
	v_cmp_ge_u32_e32 vcc_lo, v16, v20
	s_or_b32 s19, vcc_lo, s19
	s_and_not1_b32 exec_lo, exec_lo, s19
	s_cbranch_execz .LBB1122_476
.LBB1122_469:                           ; =>This Loop Header: Depth=1
                                        ;     Child Loop BB1122_472 Depth 2
	v_add_nc_u32_e32 v8, v20, v16
	v_cmp_ne_u32_e32 vcc_lo, 1, v36
	s_mov_b32 s22, 0
	s_delay_alu instid0(VALU_DEP_2)
	v_lshrrev_b32_e32 v21, 1, v8
	s_cbranch_vccnz .LBB1122_468
; %bb.470:                              ;   in Loop: Header=BB1122_469 Depth=1
	s_delay_alu instid0(VALU_DEP_1) | instskip(SKIP_3) | instid1(VALU_DEP_2)
	v_not_b32_e32 v8, v21
	v_lshl_add_u32 v9, v21, 3, v17
	s_mov_b32 s23, 0
	s_mov_b64 s[20:21], s[8:9]
                                        ; implicit-def: $sgpr22
                                        ; implicit-def: $sgpr24
                                        ; implicit-def: $sgpr25
	v_lshl_add_u32 v8, v8, 3, v14
	ds_load_b64 v[10:11], v8
	ds_load_b64 v[37:38], v9
	s_waitcnt lgkmcnt(1)
	v_mul_lo_u32 v39, s0, v11
	v_mul_lo_u32 v40, s1, v10
	v_mad_u64_u32 v[8:9], null, s0, v10, s[10:11]
	s_waitcnt lgkmcnt(0)
	v_mul_lo_u32 v38, s0, v38
	v_mul_lo_u32 v41, s1, v37
	v_mad_u64_u32 v[10:11], null, s0, v37, s[10:11]
	s_delay_alu instid0(VALU_DEP_4) | instskip(NEXT) | instid1(VALU_DEP_2)
	v_add3_u32 v9, v40, v9, v39
	v_add3_u32 v11, v41, v11, v38
	s_set_inst_prefetch_distance 0x1
	s_branch .LBB1122_472
	.p2align	6
.LBB1122_471:                           ;   in Loop: Header=BB1122_472 Depth=2
	s_or_b32 exec_lo, exec_lo, s28
	s_delay_alu instid0(SALU_CYCLE_1) | instskip(NEXT) | instid1(SALU_CYCLE_1)
	s_and_b32 s26, exec_lo, s27
	s_or_b32 s23, s26, s23
	s_and_not1_b32 s22, s22, exec_lo
	s_and_b32 s26, s24, exec_lo
	s_delay_alu instid0(SALU_CYCLE_1)
	s_or_b32 s22, s22, s26
	s_and_not1_b32 exec_lo, exec_lo, s23
	s_cbranch_execz .LBB1122_467
.LBB1122_472:                           ;   Parent Loop BB1122_469 Depth=1
                                        ; =>  This Inner Loop Header: Depth=2
	global_load_u16 v37, v[8:9], off
	global_load_u16 v38, v[10:11], off
	s_mov_b32 s27, -1
	s_mov_b32 s29, 0
	s_mov_b32 s26, -1
	s_mov_b32 s28, exec_lo
	s_waitcnt vmcnt(1)
	v_lshlrev_b32_e32 v37, 16, v37
	s_waitcnt vmcnt(0)
	v_lshlrev_b32_e32 v38, 16, v38
	s_delay_alu instid0(VALU_DEP_1)
	v_cmpx_nlt_f32_e32 v37, v38
; %bb.473:                              ;   in Loop: Header=BB1122_472 Depth=2
	v_cmp_ngt_f32_e32 vcc_lo, v37, v38
	s_and_b32 s25, vcc_lo, s25
	s_and_b32 s29, vcc_lo, exec_lo
	s_or_not1_b32 s26, s25, exec_lo
; %bb.474:                              ;   in Loop: Header=BB1122_472 Depth=2
	s_or_b32 exec_lo, exec_lo, s28
	s_delay_alu instid0(SALU_CYCLE_1) | instskip(SKIP_1) | instid1(SALU_CYCLE_1)
	s_and_not1_b32 s24, s24, exec_lo
	s_and_b32 s25, s26, exec_lo
	s_or_b32 s24, s24, s25
                                        ; implicit-def: $sgpr25
	s_and_saveexec_b32 s28, s29
	s_cbranch_execz .LBB1122_471
; %bb.475:                              ;   in Loop: Header=BB1122_472 Depth=2
	v_add_co_u32 v8, vcc_lo, v8, 2
	s_add_u32 s20, s20, -1
	s_addc_u32 s21, s21, -1
	v_add_co_ci_u32_e32 v9, vcc_lo, 0, v9, vcc_lo
	v_add_co_u32 v10, vcc_lo, v10, 2
	s_cmp_eq_u64 s[20:21], 0
	v_add_co_ci_u32_e32 v11, vcc_lo, 0, v11, vcc_lo
	s_cselect_b32 s27, -1, 0
	s_and_not1_b32 s24, s24, exec_lo
	s_and_b32 s25, s26, exec_lo
	s_or_not1_b32 s27, s27, exec_lo
	s_branch .LBB1122_471
.LBB1122_476:
	s_or_b32 exec_lo, exec_lo, s19
.LBB1122_477:
	s_delay_alu instid0(SALU_CYCLE_1) | instskip(SKIP_2) | instid1(VALU_DEP_2)
	s_or_b32 exec_lo, exec_lo, s17
	v_sub_nc_u32_e32 v8, v19, v16
	v_add_nc_u32_e32 v9, v16, v18
	v_add_nc_u32_e32 v10, v8, v15
	s_delay_alu instid0(VALU_DEP_2) | instskip(NEXT) | instid1(VALU_DEP_2)
	v_cmp_le_u32_e32 vcc_lo, v9, v15
	v_cmp_gt_u32_e64 s0, 0x401, v10
	s_delay_alu instid0(VALU_DEP_1) | instskip(NEXT) | instid1(SALU_CYCLE_1)
	s_or_b32 s0, vcc_lo, s0
	s_and_saveexec_b32 s17, s0
	s_cbranch_execz .LBB1122_521
; %bb.478:
	v_cmp_ge_u32_e32 vcc_lo, v9, v15
	s_mov_b32 s1, exec_lo
                                        ; implicit-def: $vgpr0_vgpr1
	v_cmpx_lt_u32_e64 v9, v15
	s_cbranch_execz .LBB1122_480
; %bb.479:
	v_lshl_add_u32 v0, v16, 3, v17
	ds_load_b64 v[0:1], v0
.LBB1122_480:
	s_or_b32 exec_lo, exec_lo, s1
	v_cmp_lt_u32_e64 s0, 0x3ff, v10
	s_mov_b32 s19, exec_lo
                                        ; implicit-def: $vgpr4_vgpr5
	v_cmpx_gt_u32_e32 0x400, v10
	s_cbranch_execz .LBB1122_482
; %bb.481:
	v_lshlrev_b32_e32 v2, 3, v10
	ds_load_b64 v[4:5], v2
.LBB1122_482:
	s_or_b32 exec_lo, exec_lo, s19
	s_or_b32 s1, vcc_lo, s0
	s_xor_b32 s19, vcc_lo, -1
	s_or_b32 s1, s1, s12
	s_or_b32 s19, s0, s19
	s_xor_b32 s1, s1, -1
	s_delay_alu instid0(SALU_CYCLE_1)
	s_and_saveexec_b32 s20, s1
	s_cbranch_execz .LBB1122_490
; %bb.483:
	s_waitcnt lgkmcnt(0)
	v_mul_lo_u32 v8, v5, s8
	v_mul_lo_u32 v11, v4, s9
	v_mad_u64_u32 v[2:3], null, v4, s8, 0
	v_mul_lo_u32 v14, v1, s8
	v_mul_lo_u32 v16, v0, s9
	v_mad_u64_u32 v[6:7], null, v0, s8, 0
	s_mov_b32 s21, 0
	s_mov_b64 s[0:1], s[8:9]
	s_delay_alu instid0(VALU_DEP_4) | instskip(NEXT) | instid1(VALU_DEP_2)
	v_add3_u32 v3, v3, v11, v8
                                        ; implicit-def: $sgpr22
                                        ; implicit-def: $sgpr23
                                        ; implicit-def: $sgpr24
	v_add3_u32 v7, v7, v16, v14
	s_delay_alu instid0(VALU_DEP_2) | instskip(NEXT) | instid1(VALU_DEP_2)
	v_lshlrev_b64 v[2:3], 1, v[2:3]
	v_lshlrev_b64 v[6:7], 1, v[6:7]
	s_delay_alu instid0(VALU_DEP_2) | instskip(NEXT) | instid1(VALU_DEP_3)
	v_add_co_u32 v2, vcc_lo, s10, v2
	v_add_co_ci_u32_e32 v3, vcc_lo, s11, v3, vcc_lo
	s_delay_alu instid0(VALU_DEP_3) | instskip(NEXT) | instid1(VALU_DEP_4)
	v_add_co_u32 v6, vcc_lo, s10, v6
	v_add_co_ci_u32_e32 v7, vcc_lo, s11, v7, vcc_lo
	s_set_inst_prefetch_distance 0x1
	s_branch .LBB1122_485
	.p2align	6
.LBB1122_484:                           ;   in Loop: Header=BB1122_485 Depth=1
	s_or_b32 exec_lo, exec_lo, s27
	s_delay_alu instid0(SALU_CYCLE_1) | instskip(NEXT) | instid1(SALU_CYCLE_1)
	s_and_b32 s25, exec_lo, s25
	s_or_b32 s21, s25, s21
	s_and_not1_b32 s22, s22, exec_lo
	s_and_b32 s25, s23, exec_lo
	s_delay_alu instid0(SALU_CYCLE_1)
	s_or_b32 s22, s22, s25
	s_and_not1_b32 exec_lo, exec_lo, s21
	s_cbranch_execz .LBB1122_489
.LBB1122_485:                           ; =>This Inner Loop Header: Depth=1
	global_load_u16 v8, v[2:3], off
	global_load_u16 v11, v[6:7], off
	s_mov_b32 s25, -1
	s_mov_b32 s28, 0
	s_mov_b32 s26, -1
	s_mov_b32 s27, exec_lo
	s_waitcnt vmcnt(1)
	v_lshlrev_b32_e32 v8, 16, v8
	s_waitcnt vmcnt(0)
	v_lshlrev_b32_e32 v11, 16, v11
	s_delay_alu instid0(VALU_DEP_1)
	v_cmpx_nlt_f32_e32 v8, v11
; %bb.486:                              ;   in Loop: Header=BB1122_485 Depth=1
	v_cmp_ngt_f32_e32 vcc_lo, v8, v11
	s_and_b32 s24, vcc_lo, s24
	s_and_b32 s28, vcc_lo, exec_lo
	s_or_not1_b32 s26, s24, exec_lo
; %bb.487:                              ;   in Loop: Header=BB1122_485 Depth=1
	s_or_b32 exec_lo, exec_lo, s27
	s_delay_alu instid0(SALU_CYCLE_1) | instskip(SKIP_1) | instid1(SALU_CYCLE_1)
	s_and_not1_b32 s23, s23, exec_lo
	s_and_b32 s24, s26, exec_lo
	s_or_b32 s23, s23, s24
                                        ; implicit-def: $sgpr24
	s_and_saveexec_b32 s27, s28
	s_cbranch_execz .LBB1122_484
; %bb.488:                              ;   in Loop: Header=BB1122_485 Depth=1
	v_add_co_u32 v2, vcc_lo, v2, 2
	s_add_u32 s0, s0, -1
	s_addc_u32 s1, s1, -1
	v_add_co_ci_u32_e32 v3, vcc_lo, 0, v3, vcc_lo
	v_add_co_u32 v6, vcc_lo, v6, 2
	s_cmp_eq_u64 s[0:1], 0
	v_add_co_ci_u32_e32 v7, vcc_lo, 0, v7, vcc_lo
	s_cselect_b32 s25, -1, 0
	s_and_b32 s24, s26, exec_lo
	s_and_not1_b32 s23, s23, exec_lo
	s_or_not1_b32 s25, s25, exec_lo
	s_branch .LBB1122_484
.LBB1122_489:
	s_set_inst_prefetch_distance 0x2
	s_or_b32 exec_lo, exec_lo, s21
	s_xor_b32 s0, s22, -1
	s_and_not1_b32 s1, s19, exec_lo
	s_and_b32 s0, s0, exec_lo
	s_delay_alu instid0(SALU_CYCLE_1)
	s_or_b32 s19, s1, s0
.LBB1122_490:
	s_or_b32 exec_lo, exec_lo, s20
	v_cndmask_b32_e64 v2, v10, v9, s19
	v_add_nc_u32_e32 v8, -1, v15
	s_mov_b32 s20, -1
	s_mov_b32 s21, -1
	s_mov_b32 s22, exec_lo
	v_add_nc_u32_e32 v6, 1, v2
	v_cndmask_b32_e64 v2, 0x3ff, v8, s19
	s_delay_alu instid0(VALU_DEP_2) | instskip(NEXT) | instid1(VALU_DEP_2)
	v_cndmask_b32_e64 v17, v6, v10, s19
	v_min_u32_e32 v2, v6, v2
	v_cndmask_b32_e64 v9, v9, v6, s19
	s_delay_alu instid0(VALU_DEP_2)
	v_lshlrev_b32_e32 v2, 3, v2
	ds_load_b64 v[2:3], v2
	s_waitcnt lgkmcnt(0)
	v_cndmask_b32_e64 v10, v3, v5, s19
	v_cndmask_b32_e64 v11, v2, v4, s19
	;; [unrolled: 1-line block ×4, first 2 shown]
	v_cmpx_gt_u32_e32 0x400, v17
	s_cbranch_execz .LBB1122_500
; %bb.491:
	v_cmp_lt_u32_e64 s21, v9, v15
	s_xor_b32 s0, s12, -1
	s_delay_alu instid0(VALU_DEP_1) | instid1(SALU_CYCLE_1)
	s_and_b32 s0, s21, s0
	s_delay_alu instid0(SALU_CYCLE_1)
	s_and_saveexec_b32 s23, s0
	s_cbranch_execz .LBB1122_499
; %bb.492:
	v_mul_lo_u32 v18, v10, s8
	v_mul_lo_u32 v19, v11, s9
	v_mad_u64_u32 v[2:3], null, v11, s8, 0
	v_mul_lo_u32 v20, v14, s8
	v_mul_lo_u32 v21, v16, s9
	v_mad_u64_u32 v[6:7], null, v16, s8, 0
	s_mov_b32 s24, 0
	s_mov_b64 s[0:1], s[8:9]
	s_delay_alu instid0(VALU_DEP_4) | instskip(NEXT) | instid1(VALU_DEP_2)
	v_add3_u32 v3, v3, v19, v18
                                        ; implicit-def: $sgpr25
                                        ; implicit-def: $sgpr26
                                        ; implicit-def: $sgpr27
	v_add3_u32 v7, v7, v21, v20
	s_delay_alu instid0(VALU_DEP_2) | instskip(NEXT) | instid1(VALU_DEP_2)
	v_lshlrev_b64 v[2:3], 1, v[2:3]
	v_lshlrev_b64 v[6:7], 1, v[6:7]
	s_delay_alu instid0(VALU_DEP_2) | instskip(NEXT) | instid1(VALU_DEP_3)
	v_add_co_u32 v2, vcc_lo, s10, v2
	v_add_co_ci_u32_e32 v3, vcc_lo, s11, v3, vcc_lo
	s_delay_alu instid0(VALU_DEP_3) | instskip(NEXT) | instid1(VALU_DEP_4)
	v_add_co_u32 v6, vcc_lo, s10, v6
	v_add_co_ci_u32_e32 v7, vcc_lo, s11, v7, vcc_lo
	s_set_inst_prefetch_distance 0x1
	s_branch .LBB1122_494
	.p2align	6
.LBB1122_493:                           ;   in Loop: Header=BB1122_494 Depth=1
	s_or_b32 exec_lo, exec_lo, s30
	s_delay_alu instid0(SALU_CYCLE_1) | instskip(NEXT) | instid1(SALU_CYCLE_1)
	s_and_b32 s28, exec_lo, s28
	s_or_b32 s24, s28, s24
	s_and_not1_b32 s25, s25, exec_lo
	s_and_b32 s28, s26, exec_lo
	s_delay_alu instid0(SALU_CYCLE_1)
	s_or_b32 s25, s25, s28
	s_and_not1_b32 exec_lo, exec_lo, s24
	s_cbranch_execz .LBB1122_498
.LBB1122_494:                           ; =>This Inner Loop Header: Depth=1
	global_load_u16 v18, v[2:3], off
	global_load_u16 v19, v[6:7], off
	s_mov_b32 s28, -1
	s_mov_b32 s31, 0
	s_mov_b32 s29, -1
	s_mov_b32 s30, exec_lo
	s_waitcnt vmcnt(1)
	v_lshlrev_b32_e32 v18, 16, v18
	s_waitcnt vmcnt(0)
	v_lshlrev_b32_e32 v19, 16, v19
	s_delay_alu instid0(VALU_DEP_1)
	v_cmpx_nlt_f32_e32 v18, v19
; %bb.495:                              ;   in Loop: Header=BB1122_494 Depth=1
	v_cmp_ngt_f32_e32 vcc_lo, v18, v19
	s_and_b32 s27, vcc_lo, s27
	s_and_b32 s31, vcc_lo, exec_lo
	s_or_not1_b32 s29, s27, exec_lo
; %bb.496:                              ;   in Loop: Header=BB1122_494 Depth=1
	s_or_b32 exec_lo, exec_lo, s30
	s_delay_alu instid0(SALU_CYCLE_1) | instskip(SKIP_1) | instid1(SALU_CYCLE_1)
	s_and_not1_b32 s26, s26, exec_lo
	s_and_b32 s27, s29, exec_lo
	s_or_b32 s26, s26, s27
                                        ; implicit-def: $sgpr27
	s_and_saveexec_b32 s30, s31
	s_cbranch_execz .LBB1122_493
; %bb.497:                              ;   in Loop: Header=BB1122_494 Depth=1
	v_add_co_u32 v2, vcc_lo, v2, 2
	s_add_u32 s0, s0, -1
	s_addc_u32 s1, s1, -1
	v_add_co_ci_u32_e32 v3, vcc_lo, 0, v3, vcc_lo
	v_add_co_u32 v6, vcc_lo, v6, 2
	s_cmp_eq_u64 s[0:1], 0
	v_add_co_ci_u32_e32 v7, vcc_lo, 0, v7, vcc_lo
	s_cselect_b32 s28, -1, 0
	s_and_b32 s27, s29, exec_lo
	s_and_not1_b32 s26, s26, exec_lo
	s_or_not1_b32 s28, s28, exec_lo
	s_branch .LBB1122_493
.LBB1122_498:
	s_set_inst_prefetch_distance 0x2
	s_or_b32 exec_lo, exec_lo, s24
	s_xor_b32 s0, s25, -1
	s_and_not1_b32 s1, s21, exec_lo
	s_and_b32 s0, s0, exec_lo
	s_delay_alu instid0(SALU_CYCLE_1)
	s_or_b32 s21, s1, s0
.LBB1122_499:
	s_or_b32 exec_lo, exec_lo, s23
	s_delay_alu instid0(SALU_CYCLE_1)
	s_or_not1_b32 s21, s21, exec_lo
.LBB1122_500:
	s_or_b32 exec_lo, exec_lo, s22
	v_cndmask_b32_e64 v2, v17, v9, s21
	v_cndmask_b32_e64 v3, 0x3ff, v8, s21
	s_mov_b32 s22, exec_lo
	s_delay_alu instid0(VALU_DEP_2) | instskip(NEXT) | instid1(VALU_DEP_1)
	v_add_nc_u32_e32 v6, 1, v2
	v_min_u32_e32 v2, v6, v3
	v_cndmask_b32_e64 v20, v6, v17, s21
	v_cndmask_b32_e64 v17, v9, v6, s21
	s_delay_alu instid0(VALU_DEP_3)
	v_lshlrev_b32_e32 v2, 3, v2
	ds_load_b64 v[2:3], v2
	s_waitcnt lgkmcnt(0)
	v_cndmask_b32_e64 v18, v3, v10, s21
	v_cndmask_b32_e64 v19, v2, v11, s21
	;; [unrolled: 1-line block ×4, first 2 shown]
	v_cmpx_gt_u32_e32 0x400, v20
	s_cbranch_execz .LBB1122_510
; %bb.501:
	v_cmp_lt_u32_e64 s20, v17, v15
	s_xor_b32 s0, s12, -1
	s_delay_alu instid0(VALU_DEP_1) | instid1(SALU_CYCLE_1)
	s_and_b32 s0, s20, s0
	s_delay_alu instid0(SALU_CYCLE_1)
	s_and_saveexec_b32 s23, s0
	s_cbranch_execz .LBB1122_509
; %bb.502:
	v_mul_lo_u32 v9, v18, s8
	v_mul_lo_u32 v37, v19, s9
	v_mad_u64_u32 v[2:3], null, v19, s8, 0
	v_mul_lo_u32 v38, v21, s8
	v_mul_lo_u32 v39, v36, s9
	v_mad_u64_u32 v[6:7], null, v36, s8, 0
	s_mov_b32 s24, 0
	s_mov_b64 s[0:1], s[8:9]
	s_delay_alu instid0(VALU_DEP_4) | instskip(NEXT) | instid1(VALU_DEP_2)
	v_add3_u32 v3, v3, v37, v9
                                        ; implicit-def: $sgpr25
                                        ; implicit-def: $sgpr26
                                        ; implicit-def: $sgpr27
	v_add3_u32 v7, v7, v39, v38
	s_delay_alu instid0(VALU_DEP_2) | instskip(NEXT) | instid1(VALU_DEP_2)
	v_lshlrev_b64 v[2:3], 1, v[2:3]
	v_lshlrev_b64 v[6:7], 1, v[6:7]
	s_delay_alu instid0(VALU_DEP_2) | instskip(NEXT) | instid1(VALU_DEP_3)
	v_add_co_u32 v2, vcc_lo, s10, v2
	v_add_co_ci_u32_e32 v3, vcc_lo, s11, v3, vcc_lo
	s_delay_alu instid0(VALU_DEP_3) | instskip(NEXT) | instid1(VALU_DEP_4)
	v_add_co_u32 v6, vcc_lo, s10, v6
	v_add_co_ci_u32_e32 v7, vcc_lo, s11, v7, vcc_lo
	s_set_inst_prefetch_distance 0x1
	s_branch .LBB1122_504
	.p2align	6
.LBB1122_503:                           ;   in Loop: Header=BB1122_504 Depth=1
	s_or_b32 exec_lo, exec_lo, s30
	s_delay_alu instid0(SALU_CYCLE_1) | instskip(NEXT) | instid1(SALU_CYCLE_1)
	s_and_b32 s28, exec_lo, s28
	s_or_b32 s24, s28, s24
	s_and_not1_b32 s25, s25, exec_lo
	s_and_b32 s28, s26, exec_lo
	s_delay_alu instid0(SALU_CYCLE_1)
	s_or_b32 s25, s25, s28
	s_and_not1_b32 exec_lo, exec_lo, s24
	s_cbranch_execz .LBB1122_508
.LBB1122_504:                           ; =>This Inner Loop Header: Depth=1
	global_load_u16 v9, v[2:3], off
	global_load_u16 v37, v[6:7], off
	s_mov_b32 s28, -1
	s_mov_b32 s31, 0
	s_mov_b32 s29, -1
	s_mov_b32 s30, exec_lo
	s_waitcnt vmcnt(1)
	v_lshlrev_b32_e32 v9, 16, v9
	s_waitcnt vmcnt(0)
	v_lshlrev_b32_e32 v37, 16, v37
	s_delay_alu instid0(VALU_DEP_1)
	v_cmpx_nlt_f32_e32 v9, v37
; %bb.505:                              ;   in Loop: Header=BB1122_504 Depth=1
	v_cmp_ngt_f32_e32 vcc_lo, v9, v37
	s_and_b32 s27, vcc_lo, s27
	s_and_b32 s31, vcc_lo, exec_lo
	s_or_not1_b32 s29, s27, exec_lo
; %bb.506:                              ;   in Loop: Header=BB1122_504 Depth=1
	s_or_b32 exec_lo, exec_lo, s30
	s_delay_alu instid0(SALU_CYCLE_1) | instskip(SKIP_1) | instid1(SALU_CYCLE_1)
	s_and_not1_b32 s26, s26, exec_lo
	s_and_b32 s27, s29, exec_lo
	s_or_b32 s26, s26, s27
                                        ; implicit-def: $sgpr27
	s_and_saveexec_b32 s30, s31
	s_cbranch_execz .LBB1122_503
; %bb.507:                              ;   in Loop: Header=BB1122_504 Depth=1
	v_add_co_u32 v2, vcc_lo, v2, 2
	s_add_u32 s0, s0, -1
	s_addc_u32 s1, s1, -1
	v_add_co_ci_u32_e32 v3, vcc_lo, 0, v3, vcc_lo
	v_add_co_u32 v6, vcc_lo, v6, 2
	s_cmp_eq_u64 s[0:1], 0
	v_add_co_ci_u32_e32 v7, vcc_lo, 0, v7, vcc_lo
	s_cselect_b32 s28, -1, 0
	s_and_b32 s27, s29, exec_lo
	s_and_not1_b32 s26, s26, exec_lo
	s_or_not1_b32 s28, s28, exec_lo
	s_branch .LBB1122_503
.LBB1122_508:
	s_set_inst_prefetch_distance 0x2
	s_or_b32 exec_lo, exec_lo, s24
	s_xor_b32 s0, s25, -1
	s_and_not1_b32 s1, s20, exec_lo
	s_and_b32 s0, s0, exec_lo
	s_delay_alu instid0(SALU_CYCLE_1)
	s_or_b32 s20, s1, s0
.LBB1122_509:
	s_or_b32 exec_lo, exec_lo, s23
	s_delay_alu instid0(SALU_CYCLE_1)
	s_or_not1_b32 s20, s20, exec_lo
.LBB1122_510:
	s_or_b32 exec_lo, exec_lo, s22
	v_cndmask_b32_e64 v2, v20, v17, s20
	v_cndmask_b32_e64 v3, 0x3ff, v8, s20
	;; [unrolled: 1-line block ×5, first 2 shown]
	v_add_nc_u32_e32 v37, 1, v2
	v_cndmask_b32_e64 v4, v19, v36, s20
	s_mov_b32 s19, exec_lo
	s_delay_alu instid0(VALU_DEP_2) | instskip(SKIP_2) | instid1(VALU_DEP_3)
	v_min_u32_e32 v2, v37, v3
	v_cndmask_b32_e64 v3, v10, v14, s21
	v_cndmask_b32_e64 v10, v37, v20, s20
	v_lshlrev_b32_e32 v2, 3, v2
	ds_load_b64 v[8:9], v2
	v_cndmask_b32_e64 v2, v11, v16, s21
	s_waitcnt lgkmcnt(0)
	v_cndmask_b32_e64 v7, v21, v9, s20
	v_cndmask_b32_e64 v6, v36, v8, s20
	v_cmpx_gt_u32_e32 0x400, v10
	s_cbranch_execz .LBB1122_520
; %bb.511:
	v_cndmask_b32_e64 v10, v17, v37, s20
	v_cndmask_b32_e64 v14, v9, v18, s20
	;; [unrolled: 1-line block ×3, first 2 shown]
	s_delay_alu instid0(VALU_DEP_3) | instskip(NEXT) | instid1(VALU_DEP_2)
	v_cmp_ge_u32_e32 vcc_lo, v10, v15
	v_dual_cndmask_b32 v9, v7, v14 :: v_dual_cndmask_b32 v8, v6, v16
	s_or_b32 s0, vcc_lo, s12
	s_delay_alu instid0(SALU_CYCLE_1) | instskip(NEXT) | instid1(SALU_CYCLE_1)
	s_xor_b32 s0, s0, -1
	s_and_saveexec_b32 s12, s0
	s_cbranch_execz .LBB1122_519
; %bb.512:
	v_mul_lo_u32 v15, v14, s8
	v_mul_lo_u32 v17, v16, s9
	v_mad_u64_u32 v[8:9], null, v16, s8, 0
	v_mul_lo_u32 v18, v7, s8
	v_mul_lo_u32 v19, v6, s9
	v_mad_u64_u32 v[10:11], null, v6, s8, 0
	s_mov_b32 s20, 0
	s_mov_b64 s[0:1], s[8:9]
	s_delay_alu instid0(VALU_DEP_4) | instskip(NEXT) | instid1(VALU_DEP_2)
	v_add3_u32 v9, v9, v17, v15
                                        ; implicit-def: $sgpr21
                                        ; implicit-def: $sgpr22
                                        ; implicit-def: $sgpr23
	v_add3_u32 v11, v11, v19, v18
	s_delay_alu instid0(VALU_DEP_2) | instskip(NEXT) | instid1(VALU_DEP_2)
	v_lshlrev_b64 v[8:9], 1, v[8:9]
	v_lshlrev_b64 v[10:11], 1, v[10:11]
	s_delay_alu instid0(VALU_DEP_2) | instskip(NEXT) | instid1(VALU_DEP_3)
	v_add_co_u32 v8, vcc_lo, s10, v8
	v_add_co_ci_u32_e32 v9, vcc_lo, s11, v9, vcc_lo
	s_delay_alu instid0(VALU_DEP_3) | instskip(NEXT) | instid1(VALU_DEP_4)
	v_add_co_u32 v10, vcc_lo, s10, v10
	v_add_co_ci_u32_e32 v11, vcc_lo, s11, v11, vcc_lo
	s_set_inst_prefetch_distance 0x1
	s_branch .LBB1122_514
	.p2align	6
.LBB1122_513:                           ;   in Loop: Header=BB1122_514 Depth=1
	s_or_b32 exec_lo, exec_lo, s26
	s_delay_alu instid0(SALU_CYCLE_1) | instskip(NEXT) | instid1(SALU_CYCLE_1)
	s_and_b32 s24, exec_lo, s24
	s_or_b32 s20, s24, s20
	s_and_not1_b32 s21, s21, exec_lo
	s_and_b32 s24, s22, exec_lo
	s_delay_alu instid0(SALU_CYCLE_1)
	s_or_b32 s21, s21, s24
	s_and_not1_b32 exec_lo, exec_lo, s20
	s_cbranch_execz .LBB1122_518
.LBB1122_514:                           ; =>This Inner Loop Header: Depth=1
	global_load_u16 v15, v[8:9], off
	global_load_u16 v17, v[10:11], off
	s_mov_b32 s24, -1
	s_mov_b32 s27, 0
	s_mov_b32 s25, -1
	s_mov_b32 s26, exec_lo
	s_waitcnt vmcnt(1)
	v_lshlrev_b32_e32 v15, 16, v15
	s_waitcnt vmcnt(0)
	v_lshlrev_b32_e32 v17, 16, v17
	s_delay_alu instid0(VALU_DEP_1)
	v_cmpx_nlt_f32_e32 v15, v17
; %bb.515:                              ;   in Loop: Header=BB1122_514 Depth=1
	v_cmp_ngt_f32_e32 vcc_lo, v15, v17
	s_and_b32 s23, vcc_lo, s23
	s_and_b32 s27, vcc_lo, exec_lo
	s_or_not1_b32 s25, s23, exec_lo
; %bb.516:                              ;   in Loop: Header=BB1122_514 Depth=1
	s_or_b32 exec_lo, exec_lo, s26
	s_delay_alu instid0(SALU_CYCLE_1) | instskip(SKIP_1) | instid1(SALU_CYCLE_1)
	s_and_not1_b32 s22, s22, exec_lo
	s_and_b32 s23, s25, exec_lo
	s_or_b32 s22, s22, s23
                                        ; implicit-def: $sgpr23
	s_and_saveexec_b32 s26, s27
	s_cbranch_execz .LBB1122_513
; %bb.517:                              ;   in Loop: Header=BB1122_514 Depth=1
	v_add_co_u32 v8, vcc_lo, v8, 2
	s_add_u32 s0, s0, -1
	s_addc_u32 s1, s1, -1
	v_add_co_ci_u32_e32 v9, vcc_lo, 0, v9, vcc_lo
	v_add_co_u32 v10, vcc_lo, v10, 2
	s_cmp_eq_u64 s[0:1], 0
	v_add_co_ci_u32_e32 v11, vcc_lo, 0, v11, vcc_lo
	s_cselect_b32 s24, -1, 0
	s_and_b32 s23, s25, exec_lo
	s_and_not1_b32 s22, s22, exec_lo
	s_or_not1_b32 s24, s24, exec_lo
	s_branch .LBB1122_513
.LBB1122_518:
	s_set_inst_prefetch_distance 0x2
	s_or_b32 exec_lo, exec_lo, s20
	v_cndmask_b32_e64 v9, v7, v14, s21
	v_cndmask_b32_e64 v8, v6, v16, s21
.LBB1122_519:
	s_or_b32 exec_lo, exec_lo, s12
	s_delay_alu instid0(VALU_DEP_1)
	v_dual_mov_b32 v6, v8 :: v_dual_mov_b32 v7, v9
.LBB1122_520:
	s_or_b32 exec_lo, exec_lo, s19
.LBB1122_521:
	s_delay_alu instid0(SALU_CYCLE_1)
	s_or_b32 exec_lo, exec_lo, s17
	s_barrier
	buffer_gl0_inv
	s_barrier
	buffer_gl0_inv
	ds_store_2addr_b64 v35, v[0:1], v[2:3] offset1:1
	ds_store_2addr_b64 v35, v[4:5], v[6:7] offset0:2 offset1:3
	s_waitcnt lgkmcnt(0)
	s_barrier
	buffer_gl0_inv
	ds_load_b64 v[2:3], v34 offset:2048
	ds_load_b64 v[4:5], v31
	ds_load_b64 v[6:7], v32 offset:4096
	ds_load_b64 v[0:1], v33 offset:6144
	v_add_co_u32 v8, s0, s6, v22
	s_delay_alu instid0(VALU_DEP_1) | instskip(NEXT) | instid1(VALU_DEP_2)
	v_add_co_ci_u32_e64 v9, null, s7, 0, s0
	v_add_co_u32 v8, vcc_lo, 0x1000, v8
	s_delay_alu instid0(VALU_DEP_2)
	v_add_co_ci_u32_e32 v9, vcc_lo, 0, v9, vcc_lo
	s_mov_b32 s17, -1
	s_waitcnt lgkmcnt(3)
	global_store_b64 v22, v[2:3], s[6:7] offset:2048
	s_waitcnt lgkmcnt(2)
	global_store_b64 v22, v[4:5], s[6:7]
	s_waitcnt lgkmcnt(1)
	global_store_b64 v[8:9], v[6:7], off
	s_branch .LBB1122_878
.LBB1122_522:
	s_lshl_b64 s[0:1], s[2:3], 10
                                        ; implicit-def: $vgpr0_vgpr1_vgpr2_vgpr3_vgpr4_vgpr5_vgpr6_vgpr7
	s_delay_alu instid0(SALU_CYCLE_1) | instskip(NEXT) | instid1(SALU_CYCLE_1)
	s_sub_i32 s18, s18, s0
	v_cmp_gt_u32_e64 s0, s18, v12
	s_delay_alu instid0(VALU_DEP_1)
	s_and_saveexec_b32 s1, s0
	s_cbranch_execnz .LBB1122_534
; %bb.523:
	s_or_b32 exec_lo, exec_lo, s1
	v_cmp_gt_u32_e64 s1, s18, v30
	s_delay_alu instid0(VALU_DEP_1)
	s_and_saveexec_b32 s2, s1
	s_cbranch_execnz .LBB1122_535
.LBB1122_524:
	s_or_b32 exec_lo, exec_lo, s2
	v_cmp_gt_u32_e64 s2, s18, v29
	s_delay_alu instid0(VALU_DEP_1)
	s_and_saveexec_b32 s3, s2
	s_cbranch_execnz .LBB1122_536
.LBB1122_525:
	s_or_b32 exec_lo, exec_lo, s3
	v_cmp_gt_u32_e64 s17, s18, v28
	s_delay_alu instid0(VALU_DEP_1)
	s_and_saveexec_b32 s3, s17
	s_cbranch_execz .LBB1122_527
.LBB1122_526:
	v_lshlrev_b32_e32 v6, 3, v28
	global_load_b64 v[6:7], v6, s[14:15]
.LBB1122_527:
	s_or_b32 exec_lo, exec_lo, s3
	v_lshrrev_b32_e32 v8, 2, v30
	v_lshrrev_b32_e32 v9, 2, v29
	;; [unrolled: 1-line block ×3, first 2 shown]
	v_and_b32_e32 v11, 0xf8, v27
	v_add_lshl_u32 v17, v26, v23, 3
	v_and_b32_e32 v8, 0x1f8, v8
	v_and_b32_e32 v9, 0x1f8, v9
	;; [unrolled: 1-line block ×3, first 2 shown]
	v_cmp_lt_i64_e64 s14, s[8:9], 1
	s_mov_b32 s15, 0
	v_dual_mov_b32 v8, 0 :: v_dual_add_nc_u32 v13, v8, v22
	v_add_nc_u32_e32 v14, v11, v22
	v_add_nc_u32_e32 v15, v9, v22
	;; [unrolled: 1-line block ×3, first 2 shown]
	s_waitcnt vmcnt(0) lgkmcnt(0)
	ds_store_b64 v14, v[0:1]
	ds_store_b64 v13, v[2:3] offset:2048
	ds_store_b64 v15, v[4:5] offset:4096
	;; [unrolled: 1-line block ×3, first 2 shown]
	s_waitcnt lgkmcnt(0)
	s_waitcnt_vscnt null, 0x0
	s_barrier
	buffer_gl0_inv
	ds_load_2addr_b64 v[0:3], v17 offset1:1
	ds_load_2addr_b64 v[4:7], v17 offset0:2 offset1:3
	s_waitcnt lgkmcnt(0)
	s_barrier
	buffer_gl0_inv
	s_load_b32 s3, s[4:5], 0xc
	s_waitcnt lgkmcnt(0)
	s_lshr_b32 s3, s3, 16
	s_cmp_lt_u32 s13, s16
	v_mad_u32_u24 v9, v25, s3, v24
	s_cselect_b32 s12, 12, 18
	v_cmp_gt_i64_e64 s3, s[8:9], 0
	s_add_u32 s4, s4, s12
	s_addc_u32 s5, s5, 0
	global_load_u16 v8, v8, s[4:5]
	s_waitcnt vmcnt(0)
	v_mul_lo_u32 v8, v9, v8
	s_delay_alu instid0(VALU_DEP_1) | instskip(NEXT) | instid1(VALU_DEP_1)
	v_add_lshl_u32 v18, v8, v12, 2
	v_sub_nc_u32_e64 v19, s18, v18 clamp
	s_delay_alu instid0(VALU_DEP_1) | instskip(SKIP_1) | instid1(SALU_CYCLE_1)
	v_cmp_lt_u32_e32 vcc_lo, 1, v19
	s_and_b32 s12, vcc_lo, s3
	s_and_saveexec_b32 s13, s12
	s_cbranch_execz .LBB1122_540
; %bb.528:
	v_mul_lo_u32 v20, v3, s8
	v_mul_lo_u32 v21, v2, s9
	v_mad_u64_u32 v[8:9], null, v2, s8, 0
	v_mul_lo_u32 v24, v1, s8
	v_mul_lo_u32 v25, v0, s9
	v_mad_u64_u32 v[10:11], null, v0, s8, 0
	s_mov_b64 s[4:5], s[8:9]
                                        ; implicit-def: $sgpr16
                                        ; implicit-def: $sgpr19
                                        ; implicit-def: $sgpr20
                                        ; implicit-def: $sgpr21
                                        ; implicit-def: $sgpr22
	s_delay_alu instid0(VALU_DEP_4) | instskip(NEXT) | instid1(VALU_DEP_2)
	v_add3_u32 v9, v9, v21, v20
	v_add3_u32 v11, v11, v25, v24
	s_delay_alu instid0(VALU_DEP_2) | instskip(NEXT) | instid1(VALU_DEP_2)
	v_lshlrev_b64 v[8:9], 1, v[8:9]
	v_lshlrev_b64 v[10:11], 1, v[10:11]
	s_delay_alu instid0(VALU_DEP_2) | instskip(NEXT) | instid1(VALU_DEP_3)
	v_add_co_u32 v8, vcc_lo, s10, v8
	v_add_co_ci_u32_e32 v9, vcc_lo, s11, v9, vcc_lo
	s_delay_alu instid0(VALU_DEP_3) | instskip(NEXT) | instid1(VALU_DEP_4)
	v_add_co_u32 v10, vcc_lo, s10, v10
	v_add_co_ci_u32_e32 v11, vcc_lo, s11, v11, vcc_lo
	s_set_inst_prefetch_distance 0x1
	s_branch .LBB1122_530
	.p2align	6
.LBB1122_529:                           ;   in Loop: Header=BB1122_530 Depth=1
	s_or_b32 exec_lo, exec_lo, s23
	s_delay_alu instid0(SALU_CYCLE_1) | instskip(NEXT) | instid1(SALU_CYCLE_1)
	s_and_b32 s23, exec_lo, s24
	s_or_b32 s15, s23, s15
	s_and_not1_b32 s19, s19, exec_lo
	s_and_b32 s23, s20, exec_lo
	s_and_not1_b32 s16, s16, exec_lo
	s_and_b32 s24, s21, exec_lo
	s_or_b32 s19, s19, s23
	s_or_b32 s16, s16, s24
	s_and_not1_b32 exec_lo, exec_lo, s15
	s_cbranch_execz .LBB1122_537
.LBB1122_530:                           ; =>This Inner Loop Header: Depth=1
	global_load_u16 v20, v[8:9], off
	global_load_u16 v21, v[10:11], off
	s_mov_b32 s25, 0
	s_or_b32 s21, s21, exec_lo
	s_mov_b32 s23, exec_lo
	s_waitcnt vmcnt(1)
	v_lshlrev_b32_e32 v20, 16, v20
	s_waitcnt vmcnt(0)
	v_lshlrev_b32_e32 v21, 16, v21
	s_delay_alu instid0(VALU_DEP_1)
	v_cmpx_nlt_f32_e32 v20, v21
; %bb.531:                              ;   in Loop: Header=BB1122_530 Depth=1
	v_cmp_ngt_f32_e32 vcc_lo, v20, v21
	s_and_not1_b32 s21, s21, exec_lo
	s_and_b32 s22, vcc_lo, s22
	s_and_b32 s25, vcc_lo, exec_lo
	s_and_b32 s22, s22, exec_lo
	s_delay_alu instid0(SALU_CYCLE_1)
	s_or_b32 s21, s21, s22
; %bb.532:                              ;   in Loop: Header=BB1122_530 Depth=1
	s_or_b32 exec_lo, exec_lo, s23
	s_mov_b32 s24, -1
	s_or_b32 s20, s20, exec_lo
                                        ; implicit-def: $sgpr22
	s_and_saveexec_b32 s23, s25
	s_cbranch_execz .LBB1122_529
; %bb.533:                              ;   in Loop: Header=BB1122_530 Depth=1
	v_add_co_u32 v8, vcc_lo, v8, 2
	s_add_u32 s4, s4, -1
	s_addc_u32 s5, s5, -1
	v_add_co_ci_u32_e32 v9, vcc_lo, 0, v9, vcc_lo
	v_add_co_u32 v10, vcc_lo, v10, 2
	s_cmp_eq_u64 s[4:5], 0
	v_add_co_ci_u32_e32 v11, vcc_lo, 0, v11, vcc_lo
	s_cselect_b32 s24, -1, 0
	s_and_b32 s22, s21, exec_lo
	s_and_not1_b32 s20, s20, exec_lo
	s_or_not1_b32 s24, s24, exec_lo
	s_branch .LBB1122_529
.LBB1122_534:
	s_waitcnt lgkmcnt(0)
	global_load_b64 v[0:1], v22, s[14:15]
	s_or_b32 exec_lo, exec_lo, s1
	v_cmp_gt_u32_e64 s1, s18, v30
	s_delay_alu instid0(VALU_DEP_1)
	s_and_saveexec_b32 s2, s1
	s_cbranch_execz .LBB1122_524
.LBB1122_535:
	global_load_b64 v[2:3], v22, s[14:15] offset:2048
	s_or_b32 exec_lo, exec_lo, s2
	v_cmp_gt_u32_e64 s2, s18, v29
	s_delay_alu instid0(VALU_DEP_1)
	s_and_saveexec_b32 s3, s2
	s_cbranch_execz .LBB1122_525
.LBB1122_536:
	v_lshlrev_b32_e32 v4, 3, v29
	global_load_b64 v[4:5], v4, s[14:15]
	s_or_b32 exec_lo, exec_lo, s3
	v_cmp_gt_u32_e64 s17, s18, v28
	s_delay_alu instid0(VALU_DEP_1)
	s_and_saveexec_b32 s3, s17
	s_cbranch_execnz .LBB1122_526
	s_branch .LBB1122_527
.LBB1122_537:
	s_set_inst_prefetch_distance 0x2
	s_or_b32 exec_lo, exec_lo, s15
	s_and_saveexec_b32 s4, s19
	s_delay_alu instid0(SALU_CYCLE_1)
	s_xor_b32 s4, exec_lo, s4
; %bb.538:
	v_cndmask_b32_e64 v24, v0, v2, s16
	v_cndmask_b32_e64 v27, v3, v1, s16
	;; [unrolled: 1-line block ×4, first 2 shown]
	v_dual_mov_b32 v28, v4 :: v_dual_mov_b32 v29, v5
	v_dual_mov_b32 v30, v6 :: v_dual_mov_b32 v31, v7
	s_delay_alu instid0(VALU_DEP_3) | instskip(SKIP_1) | instid1(VALU_DEP_4)
	v_dual_mov_b32 v0, v24 :: v_dual_mov_b32 v1, v25
	v_dual_mov_b32 v2, v26 :: v_dual_mov_b32 v3, v27
	;; [unrolled: 1-line block ×3, first 2 shown]
	s_delay_alu instid0(VALU_DEP_4)
	v_dual_mov_b32 v6, v30 :: v_dual_mov_b32 v7, v31
; %bb.539:
	s_or_b32 exec_lo, exec_lo, s4
.LBB1122_540:
	s_delay_alu instid0(SALU_CYCLE_1) | instskip(SKIP_2) | instid1(SALU_CYCLE_1)
	s_or_b32 exec_lo, exec_lo, s13
	v_cmp_lt_u32_e32 vcc_lo, 3, v19
	s_xor_b32 s15, s14, -1
	s_and_b32 s13, vcc_lo, s15
	s_delay_alu instid0(SALU_CYCLE_1)
	s_and_saveexec_b32 s16, s13
	s_cbranch_execz .LBB1122_550
; %bb.541:
	v_mul_lo_u32 v20, v7, s8
	v_mul_lo_u32 v21, v6, s9
	v_mad_u64_u32 v[8:9], null, v6, s8, 0
	v_mul_lo_u32 v24, v5, s8
	v_mul_lo_u32 v25, v4, s9
	v_mad_u64_u32 v[10:11], null, v4, s8, 0
	s_mov_b32 s20, 0
	s_mov_b64 s[4:5], s[8:9]
	s_delay_alu instid0(VALU_DEP_4) | instskip(NEXT) | instid1(VALU_DEP_2)
	v_add3_u32 v9, v9, v21, v20
                                        ; implicit-def: $sgpr19
                                        ; implicit-def: $sgpr21
                                        ; implicit-def: $sgpr22
                                        ; implicit-def: $sgpr23
                                        ; implicit-def: $sgpr24
	v_add3_u32 v11, v11, v25, v24
	s_delay_alu instid0(VALU_DEP_2) | instskip(NEXT) | instid1(VALU_DEP_2)
	v_lshlrev_b64 v[8:9], 1, v[8:9]
	v_lshlrev_b64 v[10:11], 1, v[10:11]
	s_delay_alu instid0(VALU_DEP_2) | instskip(NEXT) | instid1(VALU_DEP_3)
	v_add_co_u32 v8, vcc_lo, s10, v8
	v_add_co_ci_u32_e32 v9, vcc_lo, s11, v9, vcc_lo
	s_delay_alu instid0(VALU_DEP_3) | instskip(NEXT) | instid1(VALU_DEP_4)
	v_add_co_u32 v10, vcc_lo, s10, v10
	v_add_co_ci_u32_e32 v11, vcc_lo, s11, v11, vcc_lo
	s_set_inst_prefetch_distance 0x1
	s_branch .LBB1122_543
	.p2align	6
.LBB1122_542:                           ;   in Loop: Header=BB1122_543 Depth=1
	s_or_b32 exec_lo, exec_lo, s25
	s_delay_alu instid0(SALU_CYCLE_1) | instskip(NEXT) | instid1(SALU_CYCLE_1)
	s_and_b32 s25, exec_lo, s26
	s_or_b32 s20, s25, s20
	s_and_not1_b32 s21, s21, exec_lo
	s_and_b32 s25, s22, exec_lo
	s_and_not1_b32 s19, s19, exec_lo
	s_and_b32 s26, s23, exec_lo
	s_or_b32 s21, s21, s25
	s_or_b32 s19, s19, s26
	s_and_not1_b32 exec_lo, exec_lo, s20
	s_cbranch_execz .LBB1122_547
.LBB1122_543:                           ; =>This Inner Loop Header: Depth=1
	global_load_u16 v20, v[8:9], off
	global_load_u16 v21, v[10:11], off
	s_or_b32 s23, s23, exec_lo
	s_mov_b32 s27, 0
	s_mov_b32 s25, exec_lo
	s_waitcnt vmcnt(1)
	v_lshlrev_b32_e32 v20, 16, v20
	s_waitcnt vmcnt(0)
	v_lshlrev_b32_e32 v21, 16, v21
	s_delay_alu instid0(VALU_DEP_1)
	v_cmpx_nlt_f32_e32 v20, v21
; %bb.544:                              ;   in Loop: Header=BB1122_543 Depth=1
	v_cmp_ngt_f32_e32 vcc_lo, v20, v21
	s_and_not1_b32 s23, s23, exec_lo
	s_and_b32 s24, vcc_lo, s24
	s_and_b32 s27, vcc_lo, exec_lo
	s_and_b32 s24, s24, exec_lo
	s_delay_alu instid0(SALU_CYCLE_1)
	s_or_b32 s23, s23, s24
; %bb.545:                              ;   in Loop: Header=BB1122_543 Depth=1
	s_or_b32 exec_lo, exec_lo, s25
	s_mov_b32 s26, -1
	s_or_b32 s22, s22, exec_lo
                                        ; implicit-def: $sgpr24
	s_and_saveexec_b32 s25, s27
	s_cbranch_execz .LBB1122_542
; %bb.546:                              ;   in Loop: Header=BB1122_543 Depth=1
	v_add_co_u32 v8, vcc_lo, v8, 2
	s_add_u32 s4, s4, -1
	s_addc_u32 s5, s5, -1
	v_add_co_ci_u32_e32 v9, vcc_lo, 0, v9, vcc_lo
	v_add_co_u32 v10, vcc_lo, v10, 2
	s_cmp_eq_u64 s[4:5], 0
	v_add_co_ci_u32_e32 v11, vcc_lo, 0, v11, vcc_lo
	s_cselect_b32 s26, -1, 0
	s_and_b32 s24, s23, exec_lo
	s_and_not1_b32 s22, s22, exec_lo
	s_or_not1_b32 s26, s26, exec_lo
	s_branch .LBB1122_542
.LBB1122_547:
	s_set_inst_prefetch_distance 0x2
	s_or_b32 exec_lo, exec_lo, s20
	s_and_saveexec_b32 s4, s21
	s_delay_alu instid0(SALU_CYCLE_1)
	s_xor_b32 s4, exec_lo, s4
; %bb.548:
	v_cndmask_b32_e64 v8, v6, v4, s19
	v_cndmask_b32_e64 v9, v7, v5, s19
	;; [unrolled: 1-line block ×4, first 2 shown]
	s_delay_alu instid0(VALU_DEP_3)
	v_dual_mov_b32 v6, v8 :: v_dual_mov_b32 v7, v9
; %bb.549:
	s_or_b32 exec_lo, exec_lo, s4
.LBB1122_550:
	s_delay_alu instid0(SALU_CYCLE_1) | instskip(SKIP_2) | instid1(SALU_CYCLE_1)
	s_or_b32 exec_lo, exec_lo, s16
	v_cmp_lt_u32_e32 vcc_lo, 2, v19
	s_and_b32 s16, vcc_lo, s15
	s_and_saveexec_b32 s4, s16
	s_delay_alu instid0(SALU_CYCLE_1)
	s_xor_b32 s19, exec_lo, s4
	s_cbranch_execnz .LBB1122_554
; %bb.551:
	s_or_b32 exec_lo, exec_lo, s19
	s_and_saveexec_b32 s19, s12
	s_cbranch_execnz .LBB1122_563
.LBB1122_552:
	s_or_b32 exec_lo, exec_lo, s19
	s_and_saveexec_b32 s12, s13
	s_cbranch_execnz .LBB1122_572
.LBB1122_553:
	s_or_b32 exec_lo, exec_lo, s12
	s_and_saveexec_b32 s12, s16
	s_cbranch_execnz .LBB1122_581
	s_branch .LBB1122_590
.LBB1122_554:
	v_mul_lo_u32 v19, v5, s8
	v_mul_lo_u32 v20, v4, s9
	v_mad_u64_u32 v[8:9], null, v4, s8, 0
	v_mul_lo_u32 v21, v3, s8
	v_mul_lo_u32 v24, v2, s9
	v_mad_u64_u32 v[10:11], null, v2, s8, 0
	s_mov_b32 s21, 0
	s_mov_b64 s[4:5], s[8:9]
	s_delay_alu instid0(VALU_DEP_4) | instskip(NEXT) | instid1(VALU_DEP_2)
	v_add3_u32 v9, v9, v20, v19
                                        ; implicit-def: $sgpr20
                                        ; implicit-def: $sgpr22
                                        ; implicit-def: $sgpr23
                                        ; implicit-def: $sgpr24
                                        ; implicit-def: $sgpr25
	v_add3_u32 v11, v11, v24, v21
	s_delay_alu instid0(VALU_DEP_2) | instskip(NEXT) | instid1(VALU_DEP_2)
	v_lshlrev_b64 v[8:9], 1, v[8:9]
	v_lshlrev_b64 v[10:11], 1, v[10:11]
	s_delay_alu instid0(VALU_DEP_2) | instskip(NEXT) | instid1(VALU_DEP_3)
	v_add_co_u32 v8, vcc_lo, s10, v8
	v_add_co_ci_u32_e32 v9, vcc_lo, s11, v9, vcc_lo
	s_delay_alu instid0(VALU_DEP_3) | instskip(NEXT) | instid1(VALU_DEP_4)
	v_add_co_u32 v10, vcc_lo, s10, v10
	v_add_co_ci_u32_e32 v11, vcc_lo, s11, v11, vcc_lo
	s_set_inst_prefetch_distance 0x1
	s_branch .LBB1122_556
	.p2align	6
.LBB1122_555:                           ;   in Loop: Header=BB1122_556 Depth=1
	s_or_b32 exec_lo, exec_lo, s26
	s_delay_alu instid0(SALU_CYCLE_1) | instskip(NEXT) | instid1(SALU_CYCLE_1)
	s_and_b32 s26, exec_lo, s27
	s_or_b32 s21, s26, s21
	s_and_not1_b32 s22, s22, exec_lo
	s_and_b32 s26, s23, exec_lo
	s_and_not1_b32 s20, s20, exec_lo
	s_and_b32 s27, s24, exec_lo
	s_or_b32 s22, s22, s26
	s_or_b32 s20, s20, s27
	s_and_not1_b32 exec_lo, exec_lo, s21
	s_cbranch_execz .LBB1122_560
.LBB1122_556:                           ; =>This Inner Loop Header: Depth=1
	global_load_u16 v19, v[8:9], off
	global_load_u16 v20, v[10:11], off
	s_or_b32 s24, s24, exec_lo
	s_mov_b32 s28, 0
	s_mov_b32 s26, exec_lo
	s_waitcnt vmcnt(1)
	v_lshlrev_b32_e32 v19, 16, v19
	s_waitcnt vmcnt(0)
	v_lshlrev_b32_e32 v20, 16, v20
	s_delay_alu instid0(VALU_DEP_1)
	v_cmpx_nlt_f32_e32 v19, v20
; %bb.557:                              ;   in Loop: Header=BB1122_556 Depth=1
	v_cmp_ngt_f32_e32 vcc_lo, v19, v20
	s_and_not1_b32 s24, s24, exec_lo
	s_and_b32 s25, vcc_lo, s25
	s_and_b32 s28, vcc_lo, exec_lo
	s_and_b32 s25, s25, exec_lo
	s_delay_alu instid0(SALU_CYCLE_1)
	s_or_b32 s24, s24, s25
; %bb.558:                              ;   in Loop: Header=BB1122_556 Depth=1
	s_or_b32 exec_lo, exec_lo, s26
	s_mov_b32 s27, -1
	s_or_b32 s23, s23, exec_lo
                                        ; implicit-def: $sgpr25
	s_and_saveexec_b32 s26, s28
	s_cbranch_execz .LBB1122_555
; %bb.559:                              ;   in Loop: Header=BB1122_556 Depth=1
	v_add_co_u32 v8, vcc_lo, v8, 2
	s_add_u32 s4, s4, -1
	s_addc_u32 s5, s5, -1
	v_add_co_ci_u32_e32 v9, vcc_lo, 0, v9, vcc_lo
	v_add_co_u32 v10, vcc_lo, v10, 2
	s_cmp_eq_u64 s[4:5], 0
	v_add_co_ci_u32_e32 v11, vcc_lo, 0, v11, vcc_lo
	s_cselect_b32 s27, -1, 0
	s_and_b32 s25, s24, exec_lo
	s_and_not1_b32 s23, s23, exec_lo
	s_or_not1_b32 s27, s27, exec_lo
	s_branch .LBB1122_555
.LBB1122_560:
	s_set_inst_prefetch_distance 0x2
	s_or_b32 exec_lo, exec_lo, s21
	s_and_saveexec_b32 s4, s22
	s_delay_alu instid0(SALU_CYCLE_1)
	s_xor_b32 s4, exec_lo, s4
; %bb.561:
	v_cndmask_b32_e64 v8, v4, v2, s20
	v_cndmask_b32_e64 v9, v5, v3, s20
	;; [unrolled: 1-line block ×4, first 2 shown]
	s_delay_alu instid0(VALU_DEP_3)
	v_dual_mov_b32 v4, v8 :: v_dual_mov_b32 v5, v9
; %bb.562:
	s_or_b32 exec_lo, exec_lo, s4
	s_delay_alu instid0(SALU_CYCLE_1)
	s_or_b32 exec_lo, exec_lo, s19
	s_and_saveexec_b32 s19, s12
	s_cbranch_execz .LBB1122_552
.LBB1122_563:
	v_mul_lo_u32 v19, v3, s8
	v_mul_lo_u32 v20, v2, s9
	v_mad_u64_u32 v[8:9], null, v2, s8, 0
	v_mul_lo_u32 v21, v1, s8
	v_mul_lo_u32 v24, v0, s9
	v_mad_u64_u32 v[10:11], null, v0, s8, 0
	s_mov_b32 s20, 0
	s_mov_b64 s[4:5], s[8:9]
	s_delay_alu instid0(VALU_DEP_4) | instskip(NEXT) | instid1(VALU_DEP_2)
	v_add3_u32 v9, v9, v20, v19
                                        ; implicit-def: $sgpr12
                                        ; implicit-def: $sgpr21
                                        ; implicit-def: $sgpr22
                                        ; implicit-def: $sgpr23
                                        ; implicit-def: $sgpr24
	v_add3_u32 v11, v11, v24, v21
	s_delay_alu instid0(VALU_DEP_2) | instskip(NEXT) | instid1(VALU_DEP_2)
	v_lshlrev_b64 v[8:9], 1, v[8:9]
	v_lshlrev_b64 v[10:11], 1, v[10:11]
	s_delay_alu instid0(VALU_DEP_2) | instskip(NEXT) | instid1(VALU_DEP_3)
	v_add_co_u32 v8, vcc_lo, s10, v8
	v_add_co_ci_u32_e32 v9, vcc_lo, s11, v9, vcc_lo
	s_delay_alu instid0(VALU_DEP_3) | instskip(NEXT) | instid1(VALU_DEP_4)
	v_add_co_u32 v10, vcc_lo, s10, v10
	v_add_co_ci_u32_e32 v11, vcc_lo, s11, v11, vcc_lo
	s_set_inst_prefetch_distance 0x1
	s_branch .LBB1122_565
	.p2align	6
.LBB1122_564:                           ;   in Loop: Header=BB1122_565 Depth=1
	s_or_b32 exec_lo, exec_lo, s25
	s_delay_alu instid0(SALU_CYCLE_1) | instskip(NEXT) | instid1(SALU_CYCLE_1)
	s_and_b32 s25, exec_lo, s26
	s_or_b32 s20, s25, s20
	s_and_not1_b32 s21, s21, exec_lo
	s_and_b32 s25, s22, exec_lo
	s_and_not1_b32 s12, s12, exec_lo
	s_and_b32 s26, s23, exec_lo
	s_or_b32 s21, s21, s25
	s_or_b32 s12, s12, s26
	s_and_not1_b32 exec_lo, exec_lo, s20
	s_cbranch_execz .LBB1122_569
.LBB1122_565:                           ; =>This Inner Loop Header: Depth=1
	global_load_u16 v19, v[8:9], off
	global_load_u16 v20, v[10:11], off
	s_or_b32 s23, s23, exec_lo
	s_mov_b32 s27, 0
	s_mov_b32 s25, exec_lo
	s_waitcnt vmcnt(1)
	v_lshlrev_b32_e32 v19, 16, v19
	s_waitcnt vmcnt(0)
	v_lshlrev_b32_e32 v20, 16, v20
	s_delay_alu instid0(VALU_DEP_1)
	v_cmpx_nlt_f32_e32 v19, v20
; %bb.566:                              ;   in Loop: Header=BB1122_565 Depth=1
	v_cmp_ngt_f32_e32 vcc_lo, v19, v20
	s_and_not1_b32 s23, s23, exec_lo
	s_and_b32 s24, vcc_lo, s24
	s_and_b32 s27, vcc_lo, exec_lo
	s_and_b32 s24, s24, exec_lo
	s_delay_alu instid0(SALU_CYCLE_1)
	s_or_b32 s23, s23, s24
; %bb.567:                              ;   in Loop: Header=BB1122_565 Depth=1
	s_or_b32 exec_lo, exec_lo, s25
	s_mov_b32 s26, -1
	s_or_b32 s22, s22, exec_lo
                                        ; implicit-def: $sgpr24
	s_and_saveexec_b32 s25, s27
	s_cbranch_execz .LBB1122_564
; %bb.568:                              ;   in Loop: Header=BB1122_565 Depth=1
	v_add_co_u32 v8, vcc_lo, v8, 2
	s_add_u32 s4, s4, -1
	s_addc_u32 s5, s5, -1
	v_add_co_ci_u32_e32 v9, vcc_lo, 0, v9, vcc_lo
	v_add_co_u32 v10, vcc_lo, v10, 2
	s_cmp_eq_u64 s[4:5], 0
	v_add_co_ci_u32_e32 v11, vcc_lo, 0, v11, vcc_lo
	s_cselect_b32 s26, -1, 0
	s_and_b32 s24, s23, exec_lo
	s_and_not1_b32 s22, s22, exec_lo
	s_or_not1_b32 s26, s26, exec_lo
	s_branch .LBB1122_564
.LBB1122_569:
	s_set_inst_prefetch_distance 0x2
	s_or_b32 exec_lo, exec_lo, s20
	s_and_saveexec_b32 s4, s21
	s_delay_alu instid0(SALU_CYCLE_1)
	s_xor_b32 s4, exec_lo, s4
; %bb.570:
	v_cndmask_b32_e64 v24, v0, v2, s12
	v_cndmask_b32_e64 v27, v3, v1, s12
	;; [unrolled: 1-line block ×4, first 2 shown]
	v_dual_mov_b32 v28, v4 :: v_dual_mov_b32 v29, v5
	v_dual_mov_b32 v30, v6 :: v_dual_mov_b32 v31, v7
	s_delay_alu instid0(VALU_DEP_3) | instskip(SKIP_1) | instid1(VALU_DEP_4)
	v_dual_mov_b32 v0, v24 :: v_dual_mov_b32 v1, v25
	v_dual_mov_b32 v2, v26 :: v_dual_mov_b32 v3, v27
	;; [unrolled: 1-line block ×3, first 2 shown]
	s_delay_alu instid0(VALU_DEP_4)
	v_dual_mov_b32 v6, v30 :: v_dual_mov_b32 v7, v31
; %bb.571:
	s_or_b32 exec_lo, exec_lo, s4
	s_delay_alu instid0(SALU_CYCLE_1)
	s_or_b32 exec_lo, exec_lo, s19
	s_and_saveexec_b32 s12, s13
	s_cbranch_execz .LBB1122_553
.LBB1122_572:
	v_mul_lo_u32 v19, v7, s8
	v_mul_lo_u32 v20, v6, s9
	v_mad_u64_u32 v[8:9], null, v6, s8, 0
	v_mul_lo_u32 v21, v5, s8
	v_mul_lo_u32 v24, v4, s9
	v_mad_u64_u32 v[10:11], null, v4, s8, 0
	s_mov_b32 s19, 0
	s_mov_b64 s[4:5], s[8:9]
	s_delay_alu instid0(VALU_DEP_4) | instskip(NEXT) | instid1(VALU_DEP_2)
	v_add3_u32 v9, v9, v20, v19
                                        ; implicit-def: $sgpr13
                                        ; implicit-def: $sgpr20
                                        ; implicit-def: $sgpr21
                                        ; implicit-def: $sgpr22
                                        ; implicit-def: $sgpr23
	v_add3_u32 v11, v11, v24, v21
	s_delay_alu instid0(VALU_DEP_2) | instskip(NEXT) | instid1(VALU_DEP_2)
	v_lshlrev_b64 v[8:9], 1, v[8:9]
	v_lshlrev_b64 v[10:11], 1, v[10:11]
	s_delay_alu instid0(VALU_DEP_2) | instskip(NEXT) | instid1(VALU_DEP_3)
	v_add_co_u32 v8, vcc_lo, s10, v8
	v_add_co_ci_u32_e32 v9, vcc_lo, s11, v9, vcc_lo
	s_delay_alu instid0(VALU_DEP_3) | instskip(NEXT) | instid1(VALU_DEP_4)
	v_add_co_u32 v10, vcc_lo, s10, v10
	v_add_co_ci_u32_e32 v11, vcc_lo, s11, v11, vcc_lo
	s_set_inst_prefetch_distance 0x1
	s_branch .LBB1122_574
	.p2align	6
.LBB1122_573:                           ;   in Loop: Header=BB1122_574 Depth=1
	s_or_b32 exec_lo, exec_lo, s24
	s_delay_alu instid0(SALU_CYCLE_1) | instskip(NEXT) | instid1(SALU_CYCLE_1)
	s_and_b32 s24, exec_lo, s25
	s_or_b32 s19, s24, s19
	s_and_not1_b32 s20, s20, exec_lo
	s_and_b32 s24, s21, exec_lo
	s_and_not1_b32 s13, s13, exec_lo
	s_and_b32 s25, s22, exec_lo
	s_or_b32 s20, s20, s24
	s_or_b32 s13, s13, s25
	s_and_not1_b32 exec_lo, exec_lo, s19
	s_cbranch_execz .LBB1122_578
.LBB1122_574:                           ; =>This Inner Loop Header: Depth=1
	global_load_u16 v19, v[8:9], off
	global_load_u16 v20, v[10:11], off
	s_or_b32 s22, s22, exec_lo
	s_mov_b32 s26, 0
	s_mov_b32 s24, exec_lo
	s_waitcnt vmcnt(1)
	v_lshlrev_b32_e32 v19, 16, v19
	s_waitcnt vmcnt(0)
	v_lshlrev_b32_e32 v20, 16, v20
	s_delay_alu instid0(VALU_DEP_1)
	v_cmpx_nlt_f32_e32 v19, v20
; %bb.575:                              ;   in Loop: Header=BB1122_574 Depth=1
	v_cmp_ngt_f32_e32 vcc_lo, v19, v20
	s_and_not1_b32 s22, s22, exec_lo
	s_and_b32 s23, vcc_lo, s23
	s_and_b32 s26, vcc_lo, exec_lo
	s_and_b32 s23, s23, exec_lo
	s_delay_alu instid0(SALU_CYCLE_1)
	s_or_b32 s22, s22, s23
; %bb.576:                              ;   in Loop: Header=BB1122_574 Depth=1
	s_or_b32 exec_lo, exec_lo, s24
	s_mov_b32 s25, -1
	s_or_b32 s21, s21, exec_lo
                                        ; implicit-def: $sgpr23
	s_and_saveexec_b32 s24, s26
	s_cbranch_execz .LBB1122_573
; %bb.577:                              ;   in Loop: Header=BB1122_574 Depth=1
	v_add_co_u32 v8, vcc_lo, v8, 2
	s_add_u32 s4, s4, -1
	s_addc_u32 s5, s5, -1
	v_add_co_ci_u32_e32 v9, vcc_lo, 0, v9, vcc_lo
	v_add_co_u32 v10, vcc_lo, v10, 2
	s_cmp_eq_u64 s[4:5], 0
	v_add_co_ci_u32_e32 v11, vcc_lo, 0, v11, vcc_lo
	s_cselect_b32 s25, -1, 0
	s_and_b32 s23, s22, exec_lo
	s_and_not1_b32 s21, s21, exec_lo
	s_or_not1_b32 s25, s25, exec_lo
	s_branch .LBB1122_573
.LBB1122_578:
	s_set_inst_prefetch_distance 0x2
	s_or_b32 exec_lo, exec_lo, s19
	s_and_saveexec_b32 s4, s20
	s_delay_alu instid0(SALU_CYCLE_1)
	s_xor_b32 s4, exec_lo, s4
; %bb.579:
	v_cndmask_b32_e64 v8, v6, v4, s13
	v_cndmask_b32_e64 v9, v7, v5, s13
	;; [unrolled: 1-line block ×4, first 2 shown]
	s_delay_alu instid0(VALU_DEP_3)
	v_dual_mov_b32 v6, v8 :: v_dual_mov_b32 v7, v9
; %bb.580:
	s_or_b32 exec_lo, exec_lo, s4
	s_delay_alu instid0(SALU_CYCLE_1)
	s_or_b32 exec_lo, exec_lo, s12
	s_and_saveexec_b32 s12, s16
	s_cbranch_execz .LBB1122_590
.LBB1122_581:
	v_mul_lo_u32 v19, v5, s8
	v_mul_lo_u32 v20, v4, s9
	v_mad_u64_u32 v[8:9], null, v4, s8, 0
	v_mul_lo_u32 v21, v3, s8
	v_mul_lo_u32 v24, v2, s9
	v_mad_u64_u32 v[10:11], null, v2, s8, 0
	s_mov_b32 s16, 0
	s_mov_b64 s[4:5], s[8:9]
	s_delay_alu instid0(VALU_DEP_4) | instskip(NEXT) | instid1(VALU_DEP_2)
	v_add3_u32 v9, v9, v20, v19
                                        ; implicit-def: $sgpr13
                                        ; implicit-def: $sgpr19
                                        ; implicit-def: $sgpr20
                                        ; implicit-def: $sgpr21
                                        ; implicit-def: $sgpr22
	v_add3_u32 v11, v11, v24, v21
	s_delay_alu instid0(VALU_DEP_2) | instskip(NEXT) | instid1(VALU_DEP_2)
	v_lshlrev_b64 v[8:9], 1, v[8:9]
	v_lshlrev_b64 v[10:11], 1, v[10:11]
	s_delay_alu instid0(VALU_DEP_2) | instskip(NEXT) | instid1(VALU_DEP_3)
	v_add_co_u32 v8, vcc_lo, s10, v8
	v_add_co_ci_u32_e32 v9, vcc_lo, s11, v9, vcc_lo
	s_delay_alu instid0(VALU_DEP_3) | instskip(NEXT) | instid1(VALU_DEP_4)
	v_add_co_u32 v10, vcc_lo, s10, v10
	v_add_co_ci_u32_e32 v11, vcc_lo, s11, v11, vcc_lo
	s_set_inst_prefetch_distance 0x1
	s_branch .LBB1122_583
	.p2align	6
.LBB1122_582:                           ;   in Loop: Header=BB1122_583 Depth=1
	s_or_b32 exec_lo, exec_lo, s23
	s_delay_alu instid0(SALU_CYCLE_1) | instskip(NEXT) | instid1(SALU_CYCLE_1)
	s_and_b32 s23, exec_lo, s24
	s_or_b32 s16, s23, s16
	s_and_not1_b32 s19, s19, exec_lo
	s_and_b32 s23, s20, exec_lo
	s_and_not1_b32 s13, s13, exec_lo
	s_and_b32 s24, s21, exec_lo
	s_or_b32 s19, s19, s23
	s_or_b32 s13, s13, s24
	s_and_not1_b32 exec_lo, exec_lo, s16
	s_cbranch_execz .LBB1122_587
.LBB1122_583:                           ; =>This Inner Loop Header: Depth=1
	global_load_u16 v19, v[8:9], off
	global_load_u16 v20, v[10:11], off
	s_or_b32 s21, s21, exec_lo
	s_mov_b32 s25, 0
	s_mov_b32 s23, exec_lo
	s_waitcnt vmcnt(1)
	v_lshlrev_b32_e32 v19, 16, v19
	s_waitcnt vmcnt(0)
	v_lshlrev_b32_e32 v20, 16, v20
	s_delay_alu instid0(VALU_DEP_1)
	v_cmpx_nlt_f32_e32 v19, v20
; %bb.584:                              ;   in Loop: Header=BB1122_583 Depth=1
	v_cmp_ngt_f32_e32 vcc_lo, v19, v20
	s_and_not1_b32 s21, s21, exec_lo
	s_and_b32 s22, vcc_lo, s22
	s_and_b32 s25, vcc_lo, exec_lo
	s_and_b32 s22, s22, exec_lo
	s_delay_alu instid0(SALU_CYCLE_1)
	s_or_b32 s21, s21, s22
; %bb.585:                              ;   in Loop: Header=BB1122_583 Depth=1
	s_or_b32 exec_lo, exec_lo, s23
	s_mov_b32 s24, -1
	s_or_b32 s20, s20, exec_lo
                                        ; implicit-def: $sgpr22
	s_and_saveexec_b32 s23, s25
	s_cbranch_execz .LBB1122_582
; %bb.586:                              ;   in Loop: Header=BB1122_583 Depth=1
	v_add_co_u32 v8, vcc_lo, v8, 2
	s_add_u32 s4, s4, -1
	s_addc_u32 s5, s5, -1
	v_add_co_ci_u32_e32 v9, vcc_lo, 0, v9, vcc_lo
	v_add_co_u32 v10, vcc_lo, v10, 2
	s_cmp_eq_u64 s[4:5], 0
	v_add_co_ci_u32_e32 v11, vcc_lo, 0, v11, vcc_lo
	s_cselect_b32 s24, -1, 0
	s_and_b32 s22, s21, exec_lo
	s_and_not1_b32 s20, s20, exec_lo
	s_or_not1_b32 s24, s24, exec_lo
	s_branch .LBB1122_582
.LBB1122_587:
	s_set_inst_prefetch_distance 0x2
	s_or_b32 exec_lo, exec_lo, s16
	s_and_saveexec_b32 s4, s19
	s_delay_alu instid0(SALU_CYCLE_1)
	s_xor_b32 s4, exec_lo, s4
; %bb.588:
	v_cndmask_b32_e64 v8, v4, v2, s13
	v_cndmask_b32_e64 v9, v5, v3, s13
	;; [unrolled: 1-line block ×4, first 2 shown]
	s_delay_alu instid0(VALU_DEP_3)
	v_dual_mov_b32 v4, v8 :: v_dual_mov_b32 v5, v9
; %bb.589:
	s_or_b32 exec_lo, exec_lo, s4
.LBB1122_590:
	s_delay_alu instid0(SALU_CYCLE_1)
	s_or_b32 exec_lo, exec_lo, s12
	v_mbcnt_lo_u32_b32 v8, -1, 0
	v_and_b32_e32 v9, 0xffffff80, v18
	v_cndmask_b32_e64 v18, 0, 1, s3
	s_mov_b32 s16, 0
	s_mov_b32 s19, exec_lo
	v_lshlrev_b32_e32 v21, 2, v8
	v_sub_nc_u32_e64 v20, s18, v9 clamp
	v_lshlrev_b32_e32 v19, 3, v9
	s_delay_alu instid0(VALU_DEP_3) | instskip(SKIP_2) | instid1(VALU_DEP_4)
	v_or_b32_e32 v10, 4, v21
	v_and_b32_e32 v11, 4, v21
	v_and_b32_e32 v29, 0x78, v21
	v_lshl_or_b32 v24, v8, 5, v19
	ds_store_b128 v24, v[0:3]
	ds_store_b128 v24, v[4:7] offset:16
	v_min_u32_e32 v25, v20, v10
	v_min_u32_e32 v30, v20, v11
	v_lshl_or_b32 v28, v29, 3, v19
	; wave barrier
	s_delay_alu instid0(VALU_DEP_3) | instskip(NEXT) | instid1(VALU_DEP_1)
	v_add_nc_u32_e32 v10, 4, v25
	v_min_u32_e32 v26, v20, v10
	v_sub_nc_u32_e32 v10, v25, v29
	s_delay_alu instid0(VALU_DEP_2) | instskip(NEXT) | instid1(VALU_DEP_2)
	v_sub_nc_u32_e32 v11, v26, v25
	v_min_u32_e32 v31, v30, v10
	s_delay_alu instid0(VALU_DEP_2) | instskip(NEXT) | instid1(VALU_DEP_1)
	v_sub_nc_u32_e64 v27, v30, v11 clamp
	v_cmpx_lt_u32_e64 v27, v31
	s_cbranch_execz .LBB1122_602
; %bb.591:
	v_lshlrev_b32_e32 v8, 3, v25
	v_lshlrev_b32_e32 v9, 3, v30
	s_lshl_b64 s[4:5], s[8:9], 1
	s_delay_alu instid0(VALU_DEP_1)
	v_add3_u32 v32, v19, v8, v9
	s_branch .LBB1122_594
.LBB1122_592:                           ;   in Loop: Header=BB1122_594 Depth=1
	s_set_inst_prefetch_distance 0x2
	s_or_b32 exec_lo, exec_lo, s21
.LBB1122_593:                           ;   in Loop: Header=BB1122_594 Depth=1
	s_delay_alu instid0(VALU_DEP_1) | instskip(SKIP_1) | instid1(VALU_DEP_2)
	v_add_nc_u32_e32 v8, 1, v33
	v_cndmask_b32_e64 v31, v31, v33, s20
	v_cndmask_b32_e64 v27, v8, v27, s20
	s_delay_alu instid0(VALU_DEP_1) | instskip(SKIP_1) | instid1(SALU_CYCLE_1)
	v_cmp_ge_u32_e32 vcc_lo, v27, v31
	s_or_b32 s16, vcc_lo, s16
	s_and_not1_b32 exec_lo, exec_lo, s16
	s_cbranch_execz .LBB1122_601
.LBB1122_594:                           ; =>This Loop Header: Depth=1
                                        ;     Child Loop BB1122_597 Depth 2
	v_add_nc_u32_e32 v8, v31, v27
	s_and_not1_b32 vcc_lo, exec_lo, s3
	s_mov_b32 s20, 0
	s_delay_alu instid0(VALU_DEP_1)
	v_lshrrev_b32_e32 v33, 1, v8
	s_cbranch_vccnz .LBB1122_593
; %bb.595:                              ;   in Loop: Header=BB1122_594 Depth=1
	s_delay_alu instid0(VALU_DEP_1) | instskip(SKIP_3) | instid1(VALU_DEP_2)
	v_not_b32_e32 v8, v33
	v_lshl_add_u32 v9, v33, 3, v28
	s_mov_b32 s21, 0
	s_mov_b64 s[12:13], s[8:9]
                                        ; implicit-def: $sgpr20
                                        ; implicit-def: $sgpr22
                                        ; implicit-def: $sgpr23
	v_lshl_add_u32 v8, v8, 3, v32
	ds_load_b64 v[10:11], v8
	ds_load_b64 v[34:35], v9
	s_waitcnt lgkmcnt(1)
	v_mul_lo_u32 v36, s4, v11
	v_mul_lo_u32 v37, s5, v10
	v_mad_u64_u32 v[8:9], null, s4, v10, s[10:11]
	s_waitcnt lgkmcnt(0)
	v_mul_lo_u32 v35, s4, v35
	v_mul_lo_u32 v38, s5, v34
	v_mad_u64_u32 v[10:11], null, s4, v34, s[10:11]
	s_delay_alu instid0(VALU_DEP_4) | instskip(NEXT) | instid1(VALU_DEP_2)
	v_add3_u32 v9, v37, v9, v36
	v_add3_u32 v11, v38, v11, v35
	s_set_inst_prefetch_distance 0x1
	s_branch .LBB1122_597
	.p2align	6
.LBB1122_596:                           ;   in Loop: Header=BB1122_597 Depth=2
	s_or_b32 exec_lo, exec_lo, s26
	s_delay_alu instid0(SALU_CYCLE_1) | instskip(NEXT) | instid1(SALU_CYCLE_1)
	s_and_b32 s24, exec_lo, s25
	s_or_b32 s21, s24, s21
	s_and_not1_b32 s20, s20, exec_lo
	s_and_b32 s24, s22, exec_lo
	s_delay_alu instid0(SALU_CYCLE_1)
	s_or_b32 s20, s20, s24
	s_and_not1_b32 exec_lo, exec_lo, s21
	s_cbranch_execz .LBB1122_592
.LBB1122_597:                           ;   Parent Loop BB1122_594 Depth=1
                                        ; =>  This Inner Loop Header: Depth=2
	global_load_u16 v34, v[8:9], off
	global_load_u16 v35, v[10:11], off
	s_mov_b32 s25, -1
	s_mov_b32 s27, 0
	s_mov_b32 s24, -1
	s_mov_b32 s26, exec_lo
	s_waitcnt vmcnt(1)
	v_lshlrev_b32_e32 v34, 16, v34
	s_waitcnt vmcnt(0)
	v_lshlrev_b32_e32 v35, 16, v35
	s_delay_alu instid0(VALU_DEP_1)
	v_cmpx_nlt_f32_e32 v34, v35
; %bb.598:                              ;   in Loop: Header=BB1122_597 Depth=2
	v_cmp_ngt_f32_e32 vcc_lo, v34, v35
	s_and_b32 s23, vcc_lo, s23
	s_and_b32 s27, vcc_lo, exec_lo
	s_or_not1_b32 s24, s23, exec_lo
; %bb.599:                              ;   in Loop: Header=BB1122_597 Depth=2
	s_or_b32 exec_lo, exec_lo, s26
	s_delay_alu instid0(SALU_CYCLE_1) | instskip(SKIP_1) | instid1(SALU_CYCLE_1)
	s_and_not1_b32 s22, s22, exec_lo
	s_and_b32 s23, s24, exec_lo
	s_or_b32 s22, s22, s23
                                        ; implicit-def: $sgpr23
	s_and_saveexec_b32 s26, s27
	s_cbranch_execz .LBB1122_596
; %bb.600:                              ;   in Loop: Header=BB1122_597 Depth=2
	v_add_co_u32 v8, vcc_lo, v8, 2
	s_add_u32 s12, s12, -1
	s_addc_u32 s13, s13, -1
	v_add_co_ci_u32_e32 v9, vcc_lo, 0, v9, vcc_lo
	v_add_co_u32 v10, vcc_lo, v10, 2
	s_cmp_eq_u64 s[12:13], 0
	v_add_co_ci_u32_e32 v11, vcc_lo, 0, v11, vcc_lo
	s_cselect_b32 s25, -1, 0
	s_and_not1_b32 s22, s22, exec_lo
	s_and_b32 s23, s24, exec_lo
	s_or_not1_b32 s25, s25, exec_lo
	s_branch .LBB1122_596
.LBB1122_601:
	s_or_b32 exec_lo, exec_lo, s16
.LBB1122_602:
	s_delay_alu instid0(SALU_CYCLE_1) | instskip(SKIP_2) | instid1(VALU_DEP_2)
	s_or_b32 exec_lo, exec_lo, s19
	v_add_nc_u32_e32 v9, v25, v30
	v_add_nc_u32_e32 v8, v27, v29
	v_sub_nc_u32_e32 v9, v9, v27
	s_delay_alu instid0(VALU_DEP_2) | instskip(NEXT) | instid1(VALU_DEP_2)
	v_cmp_le_u32_e32 vcc_lo, v8, v25
	v_cmp_le_u32_e64 s3, v9, v26
	s_delay_alu instid0(VALU_DEP_1) | instskip(NEXT) | instid1(SALU_CYCLE_1)
	s_or_b32 s3, vcc_lo, s3
	s_and_saveexec_b32 s12, s3
	s_cbranch_execz .LBB1122_646
; %bb.603:
	v_cmp_ge_u32_e32 vcc_lo, v8, v25
	s_mov_b32 s4, exec_lo
                                        ; implicit-def: $vgpr0_vgpr1
	v_cmpx_lt_u32_e64 v8, v25
	s_cbranch_execz .LBB1122_605
; %bb.604:
	v_lshl_add_u32 v0, v27, 3, v28
	ds_load_b64 v[0:1], v0
.LBB1122_605:
	s_or_b32 exec_lo, exec_lo, s4
	v_cmp_ge_u32_e64 s3, v9, v26
	s_mov_b32 s5, exec_lo
                                        ; implicit-def: $vgpr2_vgpr3
	v_cmpx_lt_u32_e64 v9, v26
	s_cbranch_execz .LBB1122_607
; %bb.606:
	v_lshl_add_u32 v2, v9, 3, v19
	ds_load_b64 v[2:3], v2
.LBB1122_607:
	s_or_b32 exec_lo, exec_lo, s5
	s_or_b32 s4, vcc_lo, s3
	s_xor_b32 s5, vcc_lo, -1
	s_or_b32 s4, s4, s14
	s_or_b32 s3, s3, s5
	s_xor_b32 s4, s4, -1
	s_delay_alu instid0(SALU_CYCLE_1)
	s_and_saveexec_b32 s13, s4
	s_cbranch_execz .LBB1122_615
; %bb.608:
	s_waitcnt lgkmcnt(0)
	v_mul_lo_u32 v10, v3, s8
	v_mul_lo_u32 v11, v2, s9
	v_mad_u64_u32 v[4:5], null, v2, s8, 0
	v_mul_lo_u32 v27, v1, s8
	v_mul_lo_u32 v28, v0, s9
	v_mad_u64_u32 v[6:7], null, v0, s8, 0
	s_mov_b32 s16, 0
	s_mov_b64 s[4:5], s[8:9]
	s_delay_alu instid0(VALU_DEP_4) | instskip(NEXT) | instid1(VALU_DEP_2)
	v_add3_u32 v5, v5, v11, v10
                                        ; implicit-def: $sgpr19
                                        ; implicit-def: $sgpr20
                                        ; implicit-def: $sgpr21
	v_add3_u32 v7, v7, v28, v27
	s_delay_alu instid0(VALU_DEP_2) | instskip(NEXT) | instid1(VALU_DEP_2)
	v_lshlrev_b64 v[4:5], 1, v[4:5]
	v_lshlrev_b64 v[6:7], 1, v[6:7]
	s_delay_alu instid0(VALU_DEP_2) | instskip(NEXT) | instid1(VALU_DEP_3)
	v_add_co_u32 v4, vcc_lo, s10, v4
	v_add_co_ci_u32_e32 v5, vcc_lo, s11, v5, vcc_lo
	s_delay_alu instid0(VALU_DEP_3) | instskip(NEXT) | instid1(VALU_DEP_4)
	v_add_co_u32 v6, vcc_lo, s10, v6
	v_add_co_ci_u32_e32 v7, vcc_lo, s11, v7, vcc_lo
	s_set_inst_prefetch_distance 0x1
	s_branch .LBB1122_610
	.p2align	6
.LBB1122_609:                           ;   in Loop: Header=BB1122_610 Depth=1
	s_or_b32 exec_lo, exec_lo, s24
	s_delay_alu instid0(SALU_CYCLE_1) | instskip(NEXT) | instid1(SALU_CYCLE_1)
	s_and_b32 s22, exec_lo, s22
	s_or_b32 s16, s22, s16
	s_and_not1_b32 s19, s19, exec_lo
	s_and_b32 s22, s20, exec_lo
	s_delay_alu instid0(SALU_CYCLE_1)
	s_or_b32 s19, s19, s22
	s_and_not1_b32 exec_lo, exec_lo, s16
	s_cbranch_execz .LBB1122_614
.LBB1122_610:                           ; =>This Inner Loop Header: Depth=1
	global_load_u16 v10, v[4:5], off
	global_load_u16 v11, v[6:7], off
	s_mov_b32 s22, -1
	s_mov_b32 s25, 0
	s_mov_b32 s23, -1
	s_mov_b32 s24, exec_lo
	s_waitcnt vmcnt(1)
	v_lshlrev_b32_e32 v10, 16, v10
	s_waitcnt vmcnt(0)
	v_lshlrev_b32_e32 v11, 16, v11
	s_delay_alu instid0(VALU_DEP_1)
	v_cmpx_nlt_f32_e32 v10, v11
; %bb.611:                              ;   in Loop: Header=BB1122_610 Depth=1
	v_cmp_ngt_f32_e32 vcc_lo, v10, v11
	s_and_b32 s21, vcc_lo, s21
	s_and_b32 s25, vcc_lo, exec_lo
	s_or_not1_b32 s23, s21, exec_lo
; %bb.612:                              ;   in Loop: Header=BB1122_610 Depth=1
	s_or_b32 exec_lo, exec_lo, s24
	s_delay_alu instid0(SALU_CYCLE_1) | instskip(SKIP_1) | instid1(SALU_CYCLE_1)
	s_and_not1_b32 s20, s20, exec_lo
	s_and_b32 s21, s23, exec_lo
	s_or_b32 s20, s20, s21
                                        ; implicit-def: $sgpr21
	s_and_saveexec_b32 s24, s25
	s_cbranch_execz .LBB1122_609
; %bb.613:                              ;   in Loop: Header=BB1122_610 Depth=1
	v_add_co_u32 v4, vcc_lo, v4, 2
	s_add_u32 s4, s4, -1
	s_addc_u32 s5, s5, -1
	v_add_co_ci_u32_e32 v5, vcc_lo, 0, v5, vcc_lo
	v_add_co_u32 v6, vcc_lo, v6, 2
	s_cmp_eq_u64 s[4:5], 0
	v_add_co_ci_u32_e32 v7, vcc_lo, 0, v7, vcc_lo
	s_cselect_b32 s22, -1, 0
	s_and_b32 s21, s23, exec_lo
	s_and_not1_b32 s20, s20, exec_lo
	s_or_not1_b32 s22, s22, exec_lo
	s_branch .LBB1122_609
.LBB1122_614:
	s_set_inst_prefetch_distance 0x2
	s_or_b32 exec_lo, exec_lo, s16
	s_xor_b32 s4, s19, -1
	s_and_not1_b32 s3, s3, exec_lo
	s_and_b32 s4, s4, exec_lo
	s_delay_alu instid0(SALU_CYCLE_1)
	s_or_b32 s3, s3, s4
.LBB1122_615:
	s_or_b32 exec_lo, exec_lo, s13
	v_cndmask_b32_e64 v4, v9, v8, s3
	v_cndmask_b32_e64 v5, v26, v25, s3
	s_mov_b32 s13, -1
	s_mov_b32 s16, -1
	s_mov_b32 s19, exec_lo
	v_add_nc_u32_e32 v6, 1, v4
	v_add_nc_u32_e32 v4, -1, v5
	s_delay_alu instid0(VALU_DEP_2) | instskip(NEXT) | instid1(VALU_DEP_2)
	v_cndmask_b32_e64 v9, v6, v9, s3
	v_min_u32_e32 v4, v6, v4
	v_cndmask_b32_e64 v8, v8, v6, s3
	s_delay_alu instid0(VALU_DEP_2)
	v_lshl_add_u32 v4, v4, 3, v19
	ds_load_b64 v[4:5], v4
	s_waitcnt lgkmcnt(0)
	v_cndmask_b32_e64 v10, v5, v3, s3
	v_cndmask_b32_e64 v11, v4, v2, s3
	;; [unrolled: 1-line block ×4, first 2 shown]
	v_cmpx_lt_u32_e64 v9, v26
	s_cbranch_execz .LBB1122_625
; %bb.616:
	v_cmp_lt_u32_e64 s16, v8, v25
	s_delay_alu instid0(VALU_DEP_1) | instskip(NEXT) | instid1(SALU_CYCLE_1)
	s_and_b32 s4, s16, s15
	s_and_saveexec_b32 s20, s4
	s_cbranch_execz .LBB1122_624
; %bb.617:
	v_mul_lo_u32 v29, v10, s8
	v_mul_lo_u32 v30, v11, s9
	v_mad_u64_u32 v[4:5], null, v11, s8, 0
	v_mul_lo_u32 v31, v27, s8
	v_mul_lo_u32 v32, v28, s9
	v_mad_u64_u32 v[6:7], null, v28, s8, 0
	s_mov_b32 s21, 0
	s_mov_b64 s[4:5], s[8:9]
	s_delay_alu instid0(VALU_DEP_4) | instskip(NEXT) | instid1(VALU_DEP_2)
	v_add3_u32 v5, v5, v30, v29
                                        ; implicit-def: $sgpr22
                                        ; implicit-def: $sgpr23
                                        ; implicit-def: $sgpr24
	v_add3_u32 v7, v7, v32, v31
	s_delay_alu instid0(VALU_DEP_2) | instskip(NEXT) | instid1(VALU_DEP_2)
	v_lshlrev_b64 v[4:5], 1, v[4:5]
	v_lshlrev_b64 v[6:7], 1, v[6:7]
	s_delay_alu instid0(VALU_DEP_2) | instskip(NEXT) | instid1(VALU_DEP_3)
	v_add_co_u32 v4, vcc_lo, s10, v4
	v_add_co_ci_u32_e32 v5, vcc_lo, s11, v5, vcc_lo
	s_delay_alu instid0(VALU_DEP_3) | instskip(NEXT) | instid1(VALU_DEP_4)
	v_add_co_u32 v6, vcc_lo, s10, v6
	v_add_co_ci_u32_e32 v7, vcc_lo, s11, v7, vcc_lo
	s_set_inst_prefetch_distance 0x1
	s_branch .LBB1122_619
	.p2align	6
.LBB1122_618:                           ;   in Loop: Header=BB1122_619 Depth=1
	s_or_b32 exec_lo, exec_lo, s27
	s_delay_alu instid0(SALU_CYCLE_1) | instskip(NEXT) | instid1(SALU_CYCLE_1)
	s_and_b32 s25, exec_lo, s25
	s_or_b32 s21, s25, s21
	s_and_not1_b32 s22, s22, exec_lo
	s_and_b32 s25, s23, exec_lo
	s_delay_alu instid0(SALU_CYCLE_1)
	s_or_b32 s22, s22, s25
	s_and_not1_b32 exec_lo, exec_lo, s21
	s_cbranch_execz .LBB1122_623
.LBB1122_619:                           ; =>This Inner Loop Header: Depth=1
	global_load_u16 v29, v[4:5], off
	global_load_u16 v30, v[6:7], off
	s_mov_b32 s25, -1
	s_mov_b32 s28, 0
	s_mov_b32 s26, -1
	s_mov_b32 s27, exec_lo
	s_waitcnt vmcnt(1)
	v_lshlrev_b32_e32 v29, 16, v29
	s_waitcnt vmcnt(0)
	v_lshlrev_b32_e32 v30, 16, v30
	s_delay_alu instid0(VALU_DEP_1)
	v_cmpx_nlt_f32_e32 v29, v30
; %bb.620:                              ;   in Loop: Header=BB1122_619 Depth=1
	v_cmp_ngt_f32_e32 vcc_lo, v29, v30
	s_and_b32 s24, vcc_lo, s24
	s_and_b32 s28, vcc_lo, exec_lo
	s_or_not1_b32 s26, s24, exec_lo
; %bb.621:                              ;   in Loop: Header=BB1122_619 Depth=1
	s_or_b32 exec_lo, exec_lo, s27
	s_delay_alu instid0(SALU_CYCLE_1) | instskip(SKIP_1) | instid1(SALU_CYCLE_1)
	s_and_not1_b32 s23, s23, exec_lo
	s_and_b32 s24, s26, exec_lo
	s_or_b32 s23, s23, s24
                                        ; implicit-def: $sgpr24
	s_and_saveexec_b32 s27, s28
	s_cbranch_execz .LBB1122_618
; %bb.622:                              ;   in Loop: Header=BB1122_619 Depth=1
	v_add_co_u32 v4, vcc_lo, v4, 2
	s_add_u32 s4, s4, -1
	s_addc_u32 s5, s5, -1
	v_add_co_ci_u32_e32 v5, vcc_lo, 0, v5, vcc_lo
	v_add_co_u32 v6, vcc_lo, v6, 2
	s_cmp_eq_u64 s[4:5], 0
	v_add_co_ci_u32_e32 v7, vcc_lo, 0, v7, vcc_lo
	s_cselect_b32 s25, -1, 0
	s_and_b32 s24, s26, exec_lo
	s_and_not1_b32 s23, s23, exec_lo
	s_or_not1_b32 s25, s25, exec_lo
	s_branch .LBB1122_618
.LBB1122_623:
	s_set_inst_prefetch_distance 0x2
	s_or_b32 exec_lo, exec_lo, s21
	s_xor_b32 s4, s22, -1
	s_and_not1_b32 s5, s16, exec_lo
	s_and_b32 s4, s4, exec_lo
	s_delay_alu instid0(SALU_CYCLE_1)
	s_or_b32 s16, s5, s4
.LBB1122_624:
	s_or_b32 exec_lo, exec_lo, s20
	s_delay_alu instid0(SALU_CYCLE_1)
	s_or_not1_b32 s16, s16, exec_lo
.LBB1122_625:
	s_or_b32 exec_lo, exec_lo, s19
	v_cndmask_b32_e64 v4, v9, v8, s16
	v_cndmask_b32_e64 v5, v26, v25, s16
	s_mov_b32 s19, exec_lo
	s_delay_alu instid0(VALU_DEP_2) | instskip(NEXT) | instid1(VALU_DEP_2)
	v_add_nc_u32_e32 v6, 1, v4
	v_add_nc_u32_e32 v4, -1, v5
	s_delay_alu instid0(VALU_DEP_2) | instskip(NEXT) | instid1(VALU_DEP_2)
	v_cndmask_b32_e64 v9, v6, v9, s16
	v_min_u32_e32 v4, v6, v4
	v_cndmask_b32_e64 v8, v8, v6, s16
	s_delay_alu instid0(VALU_DEP_2)
	v_lshl_add_u32 v4, v4, 3, v19
	ds_load_b64 v[4:5], v4
	s_waitcnt lgkmcnt(0)
	v_cndmask_b32_e64 v29, v5, v10, s16
	v_cndmask_b32_e64 v30, v4, v11, s16
	;; [unrolled: 1-line block ×4, first 2 shown]
	v_cmpx_lt_u32_e64 v9, v26
	s_cbranch_execz .LBB1122_635
; %bb.626:
	v_cmp_lt_u32_e64 s13, v8, v25
	s_delay_alu instid0(VALU_DEP_1) | instskip(NEXT) | instid1(SALU_CYCLE_1)
	s_and_b32 s4, s13, s15
	s_and_saveexec_b32 s20, s4
	s_cbranch_execz .LBB1122_634
; %bb.627:
	v_mul_lo_u32 v33, v29, s8
	v_mul_lo_u32 v34, v30, s9
	v_mad_u64_u32 v[4:5], null, v30, s8, 0
	v_mul_lo_u32 v35, v31, s8
	v_mul_lo_u32 v36, v32, s9
	v_mad_u64_u32 v[6:7], null, v32, s8, 0
	s_mov_b32 s21, 0
	s_mov_b64 s[4:5], s[8:9]
	s_delay_alu instid0(VALU_DEP_4) | instskip(NEXT) | instid1(VALU_DEP_2)
	v_add3_u32 v5, v5, v34, v33
                                        ; implicit-def: $sgpr22
                                        ; implicit-def: $sgpr23
                                        ; implicit-def: $sgpr24
	v_add3_u32 v7, v7, v36, v35
	s_delay_alu instid0(VALU_DEP_2) | instskip(NEXT) | instid1(VALU_DEP_2)
	v_lshlrev_b64 v[4:5], 1, v[4:5]
	v_lshlrev_b64 v[6:7], 1, v[6:7]
	s_delay_alu instid0(VALU_DEP_2) | instskip(NEXT) | instid1(VALU_DEP_3)
	v_add_co_u32 v4, vcc_lo, s10, v4
	v_add_co_ci_u32_e32 v5, vcc_lo, s11, v5, vcc_lo
	s_delay_alu instid0(VALU_DEP_3) | instskip(NEXT) | instid1(VALU_DEP_4)
	v_add_co_u32 v6, vcc_lo, s10, v6
	v_add_co_ci_u32_e32 v7, vcc_lo, s11, v7, vcc_lo
	s_set_inst_prefetch_distance 0x1
	s_branch .LBB1122_629
	.p2align	6
.LBB1122_628:                           ;   in Loop: Header=BB1122_629 Depth=1
	s_or_b32 exec_lo, exec_lo, s27
	s_delay_alu instid0(SALU_CYCLE_1) | instskip(NEXT) | instid1(SALU_CYCLE_1)
	s_and_b32 s25, exec_lo, s25
	s_or_b32 s21, s25, s21
	s_and_not1_b32 s22, s22, exec_lo
	s_and_b32 s25, s23, exec_lo
	s_delay_alu instid0(SALU_CYCLE_1)
	s_or_b32 s22, s22, s25
	s_and_not1_b32 exec_lo, exec_lo, s21
	s_cbranch_execz .LBB1122_633
.LBB1122_629:                           ; =>This Inner Loop Header: Depth=1
	global_load_u16 v33, v[4:5], off
	global_load_u16 v34, v[6:7], off
	s_mov_b32 s25, -1
	s_mov_b32 s28, 0
	s_mov_b32 s26, -1
	s_mov_b32 s27, exec_lo
	s_waitcnt vmcnt(1)
	v_lshlrev_b32_e32 v33, 16, v33
	s_waitcnt vmcnt(0)
	v_lshlrev_b32_e32 v34, 16, v34
	s_delay_alu instid0(VALU_DEP_1)
	v_cmpx_nlt_f32_e32 v33, v34
; %bb.630:                              ;   in Loop: Header=BB1122_629 Depth=1
	v_cmp_ngt_f32_e32 vcc_lo, v33, v34
	s_and_b32 s24, vcc_lo, s24
	s_and_b32 s28, vcc_lo, exec_lo
	s_or_not1_b32 s26, s24, exec_lo
; %bb.631:                              ;   in Loop: Header=BB1122_629 Depth=1
	s_or_b32 exec_lo, exec_lo, s27
	s_delay_alu instid0(SALU_CYCLE_1) | instskip(SKIP_1) | instid1(SALU_CYCLE_1)
	s_and_not1_b32 s23, s23, exec_lo
	s_and_b32 s24, s26, exec_lo
	s_or_b32 s23, s23, s24
                                        ; implicit-def: $sgpr24
	s_and_saveexec_b32 s27, s28
	s_cbranch_execz .LBB1122_628
; %bb.632:                              ;   in Loop: Header=BB1122_629 Depth=1
	v_add_co_u32 v4, vcc_lo, v4, 2
	s_add_u32 s4, s4, -1
	s_addc_u32 s5, s5, -1
	v_add_co_ci_u32_e32 v5, vcc_lo, 0, v5, vcc_lo
	v_add_co_u32 v6, vcc_lo, v6, 2
	s_cmp_eq_u64 s[4:5], 0
	v_add_co_ci_u32_e32 v7, vcc_lo, 0, v7, vcc_lo
	s_cselect_b32 s25, -1, 0
	s_and_b32 s24, s26, exec_lo
	s_and_not1_b32 s23, s23, exec_lo
	s_or_not1_b32 s25, s25, exec_lo
	s_branch .LBB1122_628
.LBB1122_633:
	s_set_inst_prefetch_distance 0x2
	s_or_b32 exec_lo, exec_lo, s21
	s_xor_b32 s4, s22, -1
	s_and_not1_b32 s5, s13, exec_lo
	s_and_b32 s4, s4, exec_lo
	s_delay_alu instid0(SALU_CYCLE_1)
	s_or_b32 s13, s5, s4
.LBB1122_634:
	s_or_b32 exec_lo, exec_lo, s20
	s_delay_alu instid0(SALU_CYCLE_1)
	s_or_not1_b32 s13, s13, exec_lo
.LBB1122_635:
	s_or_b32 exec_lo, exec_lo, s19
	v_cndmask_b32_e64 v4, v9, v8, s13
	v_cndmask_b32_e64 v5, v26, v25, s13
	s_mov_b32 s19, exec_lo
	s_delay_alu instid0(VALU_DEP_2) | instskip(NEXT) | instid1(VALU_DEP_2)
	v_add_nc_u32_e32 v33, 1, v4
	v_add_nc_u32_e32 v4, -1, v5
	s_delay_alu instid0(VALU_DEP_2) | instskip(NEXT) | instid1(VALU_DEP_2)
	v_cndmask_b32_e64 v9, v33, v9, s13
	v_min_u32_e32 v4, v33, v4
	s_delay_alu instid0(VALU_DEP_1)
	v_lshl_add_u32 v4, v4, 3, v19
	ds_load_b64 v[4:5], v4
	s_waitcnt lgkmcnt(0)
	v_cndmask_b32_e64 v7, v31, v5, s13
	v_cndmask_b32_e64 v6, v32, v4, s13
	v_cmpx_lt_u32_e64 v9, v26
	s_cbranch_execz .LBB1122_645
; %bb.636:
	v_cndmask_b32_e64 v8, v8, v33, s13
	v_cndmask_b32_e64 v26, v5, v29, s13
	;; [unrolled: 1-line block ×3, first 2 shown]
	s_delay_alu instid0(VALU_DEP_3) | instskip(NEXT) | instid1(VALU_DEP_2)
	v_cmp_ge_u32_e32 vcc_lo, v8, v25
	v_dual_cndmask_b32 v5, v7, v26 :: v_dual_cndmask_b32 v4, v6, v33
	s_or_b32 s4, vcc_lo, s14
	s_delay_alu instid0(SALU_CYCLE_1) | instskip(NEXT) | instid1(SALU_CYCLE_1)
	s_xor_b32 s4, s4, -1
	s_and_saveexec_b32 s20, s4
	s_cbranch_execz .LBB1122_644
; %bb.637:
	v_mul_lo_u32 v25, v26, s8
	v_mul_lo_u32 v34, v33, s9
	v_mad_u64_u32 v[4:5], null, v33, s8, 0
	v_mul_lo_u32 v35, v7, s8
	v_mul_lo_u32 v36, v6, s9
	v_mad_u64_u32 v[8:9], null, v6, s8, 0
	s_mov_b32 s21, 0
	s_mov_b64 s[4:5], s[8:9]
	s_delay_alu instid0(VALU_DEP_4) | instskip(NEXT) | instid1(VALU_DEP_2)
	v_add3_u32 v5, v5, v34, v25
                                        ; implicit-def: $sgpr22
                                        ; implicit-def: $sgpr23
                                        ; implicit-def: $sgpr24
	v_add3_u32 v9, v9, v36, v35
	s_delay_alu instid0(VALU_DEP_2) | instskip(NEXT) | instid1(VALU_DEP_2)
	v_lshlrev_b64 v[4:5], 1, v[4:5]
	v_lshlrev_b64 v[8:9], 1, v[8:9]
	s_delay_alu instid0(VALU_DEP_2) | instskip(NEXT) | instid1(VALU_DEP_3)
	v_add_co_u32 v4, vcc_lo, s10, v4
	v_add_co_ci_u32_e32 v5, vcc_lo, s11, v5, vcc_lo
	s_delay_alu instid0(VALU_DEP_3) | instskip(NEXT) | instid1(VALU_DEP_4)
	v_add_co_u32 v8, vcc_lo, s10, v8
	v_add_co_ci_u32_e32 v9, vcc_lo, s11, v9, vcc_lo
	s_set_inst_prefetch_distance 0x1
	s_branch .LBB1122_639
	.p2align	6
.LBB1122_638:                           ;   in Loop: Header=BB1122_639 Depth=1
	s_or_b32 exec_lo, exec_lo, s27
	s_delay_alu instid0(SALU_CYCLE_1) | instskip(NEXT) | instid1(SALU_CYCLE_1)
	s_and_b32 s25, exec_lo, s25
	s_or_b32 s21, s25, s21
	s_and_not1_b32 s22, s22, exec_lo
	s_and_b32 s25, s23, exec_lo
	s_delay_alu instid0(SALU_CYCLE_1)
	s_or_b32 s22, s22, s25
	s_and_not1_b32 exec_lo, exec_lo, s21
	s_cbranch_execz .LBB1122_643
.LBB1122_639:                           ; =>This Inner Loop Header: Depth=1
	global_load_u16 v25, v[4:5], off
	global_load_u16 v34, v[8:9], off
	s_mov_b32 s25, -1
	s_mov_b32 s28, 0
	s_mov_b32 s26, -1
	s_mov_b32 s27, exec_lo
	s_waitcnt vmcnt(1)
	v_lshlrev_b32_e32 v25, 16, v25
	s_waitcnt vmcnt(0)
	v_lshlrev_b32_e32 v34, 16, v34
	s_delay_alu instid0(VALU_DEP_1)
	v_cmpx_nlt_f32_e32 v25, v34
; %bb.640:                              ;   in Loop: Header=BB1122_639 Depth=1
	v_cmp_ngt_f32_e32 vcc_lo, v25, v34
	s_and_b32 s24, vcc_lo, s24
	s_and_b32 s28, vcc_lo, exec_lo
	s_or_not1_b32 s26, s24, exec_lo
; %bb.641:                              ;   in Loop: Header=BB1122_639 Depth=1
	s_or_b32 exec_lo, exec_lo, s27
	s_delay_alu instid0(SALU_CYCLE_1) | instskip(SKIP_1) | instid1(SALU_CYCLE_1)
	s_and_not1_b32 s23, s23, exec_lo
	s_and_b32 s24, s26, exec_lo
	s_or_b32 s23, s23, s24
                                        ; implicit-def: $sgpr24
	s_and_saveexec_b32 s27, s28
	s_cbranch_execz .LBB1122_638
; %bb.642:                              ;   in Loop: Header=BB1122_639 Depth=1
	v_add_co_u32 v4, vcc_lo, v4, 2
	s_add_u32 s4, s4, -1
	s_addc_u32 s5, s5, -1
	v_add_co_ci_u32_e32 v5, vcc_lo, 0, v5, vcc_lo
	v_add_co_u32 v8, vcc_lo, v8, 2
	s_cmp_eq_u64 s[4:5], 0
	v_add_co_ci_u32_e32 v9, vcc_lo, 0, v9, vcc_lo
	s_cselect_b32 s25, -1, 0
	s_and_b32 s24, s26, exec_lo
	s_and_not1_b32 s23, s23, exec_lo
	s_or_not1_b32 s25, s25, exec_lo
	s_branch .LBB1122_638
.LBB1122_643:
	s_set_inst_prefetch_distance 0x2
	s_or_b32 exec_lo, exec_lo, s21
	v_cndmask_b32_e64 v5, v7, v26, s22
	v_cndmask_b32_e64 v4, v6, v33, s22
.LBB1122_644:
	s_or_b32 exec_lo, exec_lo, s20
	s_delay_alu instid0(VALU_DEP_1)
	v_dual_mov_b32 v7, v5 :: v_dual_mov_b32 v6, v4
.LBB1122_645:
	s_or_b32 exec_lo, exec_lo, s19
	v_cndmask_b32_e64 v1, v3, v1, s3
	v_cndmask_b32_e64 v0, v2, v0, s3
	v_cndmask_b32_e64 v3, v10, v27, s16
	v_cndmask_b32_e64 v2, v11, v28, s16
	v_cndmask_b32_e64 v5, v29, v31, s13
	v_cndmask_b32_e64 v4, v30, v32, s13
.LBB1122_646:
	s_or_b32 exec_lo, exec_lo, s12
	v_and_b32_e32 v29, 0x70, v21
	v_and_b32_e32 v9, 12, v21
	s_mov_b32 s3, exec_lo
	; wave barrier
	s_delay_alu instid0(VALU_DEP_2) | instskip(NEXT) | instid1(VALU_DEP_2)
	v_or_b32_e32 v8, 8, v29
	v_min_u32_e32 v30, v20, v9
	v_lshl_add_u32 v28, v29, 3, v19
	ds_store_b128 v24, v[0:3]
	ds_store_b128 v24, v[4:7] offset:16
	v_min_u32_e32 v25, v20, v8
	; wave barrier
	s_delay_alu instid0(VALU_DEP_1) | instskip(SKIP_1) | instid1(VALU_DEP_2)
	v_add_nc_u32_e32 v8, 8, v25
	v_sub_nc_u32_e32 v9, v25, v29
	v_min_u32_e32 v26, v20, v8
	s_delay_alu instid0(VALU_DEP_2) | instskip(NEXT) | instid1(VALU_DEP_2)
	v_min_u32_e32 v31, v30, v9
	v_sub_nc_u32_e32 v8, v26, v25
	s_delay_alu instid0(VALU_DEP_1) | instskip(NEXT) | instid1(VALU_DEP_1)
	v_sub_nc_u32_e64 v27, v30, v8 clamp
	v_cmpx_lt_u32_e64 v27, v31
	s_cbranch_execz .LBB1122_658
; %bb.647:
	v_lshlrev_b32_e32 v8, 3, v25
	v_lshlrev_b32_e32 v9, 3, v30
	s_lshl_b64 s[4:5], s[8:9], 1
	s_mov_b32 s16, 0
	s_delay_alu instid0(VALU_DEP_1)
	v_add3_u32 v32, v19, v8, v9
	s_branch .LBB1122_650
.LBB1122_648:                           ;   in Loop: Header=BB1122_650 Depth=1
	s_set_inst_prefetch_distance 0x2
	s_or_b32 exec_lo, exec_lo, s20
.LBB1122_649:                           ;   in Loop: Header=BB1122_650 Depth=1
	s_delay_alu instid0(VALU_DEP_1) | instskip(SKIP_1) | instid1(VALU_DEP_2)
	v_add_nc_u32_e32 v8, 1, v33
	v_cndmask_b32_e64 v31, v31, v33, s19
	v_cndmask_b32_e64 v27, v8, v27, s19
	s_delay_alu instid0(VALU_DEP_1) | instskip(SKIP_1) | instid1(SALU_CYCLE_1)
	v_cmp_ge_u32_e32 vcc_lo, v27, v31
	s_or_b32 s16, vcc_lo, s16
	s_and_not1_b32 exec_lo, exec_lo, s16
	s_cbranch_execz .LBB1122_657
.LBB1122_650:                           ; =>This Loop Header: Depth=1
                                        ;     Child Loop BB1122_653 Depth 2
	v_add_nc_u32_e32 v8, v31, v27
	v_cmp_ne_u32_e32 vcc_lo, 1, v18
	s_mov_b32 s19, 0
	s_delay_alu instid0(VALU_DEP_2)
	v_lshrrev_b32_e32 v33, 1, v8
	s_cbranch_vccnz .LBB1122_649
; %bb.651:                              ;   in Loop: Header=BB1122_650 Depth=1
	s_delay_alu instid0(VALU_DEP_1) | instskip(SKIP_3) | instid1(VALU_DEP_2)
	v_not_b32_e32 v8, v33
	v_lshl_add_u32 v9, v33, 3, v28
	s_mov_b32 s20, 0
	s_mov_b64 s[12:13], s[8:9]
                                        ; implicit-def: $sgpr19
                                        ; implicit-def: $sgpr21
                                        ; implicit-def: $sgpr22
	v_lshl_add_u32 v8, v8, 3, v32
	ds_load_b64 v[10:11], v8
	ds_load_b64 v[34:35], v9
	s_waitcnt lgkmcnt(1)
	v_mul_lo_u32 v36, s4, v11
	v_mul_lo_u32 v37, s5, v10
	v_mad_u64_u32 v[8:9], null, s4, v10, s[10:11]
	s_waitcnt lgkmcnt(0)
	v_mul_lo_u32 v35, s4, v35
	v_mul_lo_u32 v38, s5, v34
	v_mad_u64_u32 v[10:11], null, s4, v34, s[10:11]
	s_delay_alu instid0(VALU_DEP_4) | instskip(NEXT) | instid1(VALU_DEP_2)
	v_add3_u32 v9, v37, v9, v36
	v_add3_u32 v11, v38, v11, v35
	s_set_inst_prefetch_distance 0x1
	s_branch .LBB1122_653
	.p2align	6
.LBB1122_652:                           ;   in Loop: Header=BB1122_653 Depth=2
	s_or_b32 exec_lo, exec_lo, s25
	s_delay_alu instid0(SALU_CYCLE_1) | instskip(NEXT) | instid1(SALU_CYCLE_1)
	s_and_b32 s23, exec_lo, s24
	s_or_b32 s20, s23, s20
	s_and_not1_b32 s19, s19, exec_lo
	s_and_b32 s23, s21, exec_lo
	s_delay_alu instid0(SALU_CYCLE_1)
	s_or_b32 s19, s19, s23
	s_and_not1_b32 exec_lo, exec_lo, s20
	s_cbranch_execz .LBB1122_648
.LBB1122_653:                           ;   Parent Loop BB1122_650 Depth=1
                                        ; =>  This Inner Loop Header: Depth=2
	global_load_u16 v34, v[8:9], off
	global_load_u16 v35, v[10:11], off
	s_mov_b32 s24, -1
	s_mov_b32 s26, 0
	s_mov_b32 s23, -1
	s_mov_b32 s25, exec_lo
	s_waitcnt vmcnt(1)
	v_lshlrev_b32_e32 v34, 16, v34
	s_waitcnt vmcnt(0)
	v_lshlrev_b32_e32 v35, 16, v35
	s_delay_alu instid0(VALU_DEP_1)
	v_cmpx_nlt_f32_e32 v34, v35
; %bb.654:                              ;   in Loop: Header=BB1122_653 Depth=2
	v_cmp_ngt_f32_e32 vcc_lo, v34, v35
	s_and_b32 s22, vcc_lo, s22
	s_and_b32 s26, vcc_lo, exec_lo
	s_or_not1_b32 s23, s22, exec_lo
; %bb.655:                              ;   in Loop: Header=BB1122_653 Depth=2
	s_or_b32 exec_lo, exec_lo, s25
	s_delay_alu instid0(SALU_CYCLE_1) | instskip(SKIP_1) | instid1(SALU_CYCLE_1)
	s_and_not1_b32 s21, s21, exec_lo
	s_and_b32 s22, s23, exec_lo
	s_or_b32 s21, s21, s22
                                        ; implicit-def: $sgpr22
	s_and_saveexec_b32 s25, s26
	s_cbranch_execz .LBB1122_652
; %bb.656:                              ;   in Loop: Header=BB1122_653 Depth=2
	v_add_co_u32 v8, vcc_lo, v8, 2
	s_add_u32 s12, s12, -1
	s_addc_u32 s13, s13, -1
	v_add_co_ci_u32_e32 v9, vcc_lo, 0, v9, vcc_lo
	v_add_co_u32 v10, vcc_lo, v10, 2
	s_cmp_eq_u64 s[12:13], 0
	v_add_co_ci_u32_e32 v11, vcc_lo, 0, v11, vcc_lo
	s_cselect_b32 s24, -1, 0
	s_and_not1_b32 s21, s21, exec_lo
	s_and_b32 s22, s23, exec_lo
	s_or_not1_b32 s24, s24, exec_lo
	s_branch .LBB1122_652
.LBB1122_657:
	s_or_b32 exec_lo, exec_lo, s16
.LBB1122_658:
	s_delay_alu instid0(SALU_CYCLE_1) | instskip(SKIP_2) | instid1(VALU_DEP_2)
	s_or_b32 exec_lo, exec_lo, s3
	v_add_nc_u32_e32 v9, v25, v30
	v_add_nc_u32_e32 v8, v27, v29
	v_sub_nc_u32_e32 v9, v9, v27
	s_delay_alu instid0(VALU_DEP_2) | instskip(NEXT) | instid1(VALU_DEP_2)
	v_cmp_le_u32_e32 vcc_lo, v8, v25
	v_cmp_le_u32_e64 s3, v9, v26
	s_delay_alu instid0(VALU_DEP_1) | instskip(NEXT) | instid1(SALU_CYCLE_1)
	s_or_b32 s3, vcc_lo, s3
	s_and_saveexec_b32 s12, s3
	s_cbranch_execz .LBB1122_702
; %bb.659:
	v_cmp_ge_u32_e32 vcc_lo, v8, v25
	s_mov_b32 s4, exec_lo
                                        ; implicit-def: $vgpr0_vgpr1
	v_cmpx_lt_u32_e64 v8, v25
	s_cbranch_execz .LBB1122_661
; %bb.660:
	v_lshl_add_u32 v0, v27, 3, v28
	ds_load_b64 v[0:1], v0
.LBB1122_661:
	s_or_b32 exec_lo, exec_lo, s4
	v_cmp_ge_u32_e64 s3, v9, v26
	s_mov_b32 s5, exec_lo
                                        ; implicit-def: $vgpr2_vgpr3
	v_cmpx_lt_u32_e64 v9, v26
	s_cbranch_execz .LBB1122_663
; %bb.662:
	v_lshl_add_u32 v2, v9, 3, v19
	ds_load_b64 v[2:3], v2
.LBB1122_663:
	s_or_b32 exec_lo, exec_lo, s5
	s_or_b32 s4, vcc_lo, s3
	s_xor_b32 s5, vcc_lo, -1
	s_or_b32 s4, s4, s14
	s_or_b32 s3, s3, s5
	s_xor_b32 s4, s4, -1
	s_delay_alu instid0(SALU_CYCLE_1)
	s_and_saveexec_b32 s13, s4
	s_cbranch_execz .LBB1122_671
; %bb.664:
	s_waitcnt lgkmcnt(0)
	v_mul_lo_u32 v10, v3, s8
	v_mul_lo_u32 v11, v2, s9
	v_mad_u64_u32 v[4:5], null, v2, s8, 0
	v_mul_lo_u32 v27, v1, s8
	v_mul_lo_u32 v28, v0, s9
	v_mad_u64_u32 v[6:7], null, v0, s8, 0
	s_mov_b32 s16, 0
	s_mov_b64 s[4:5], s[8:9]
	s_delay_alu instid0(VALU_DEP_4) | instskip(NEXT) | instid1(VALU_DEP_2)
	v_add3_u32 v5, v5, v11, v10
                                        ; implicit-def: $sgpr19
                                        ; implicit-def: $sgpr20
                                        ; implicit-def: $sgpr21
	v_add3_u32 v7, v7, v28, v27
	s_delay_alu instid0(VALU_DEP_2) | instskip(NEXT) | instid1(VALU_DEP_2)
	v_lshlrev_b64 v[4:5], 1, v[4:5]
	v_lshlrev_b64 v[6:7], 1, v[6:7]
	s_delay_alu instid0(VALU_DEP_2) | instskip(NEXT) | instid1(VALU_DEP_3)
	v_add_co_u32 v4, vcc_lo, s10, v4
	v_add_co_ci_u32_e32 v5, vcc_lo, s11, v5, vcc_lo
	s_delay_alu instid0(VALU_DEP_3) | instskip(NEXT) | instid1(VALU_DEP_4)
	v_add_co_u32 v6, vcc_lo, s10, v6
	v_add_co_ci_u32_e32 v7, vcc_lo, s11, v7, vcc_lo
	s_set_inst_prefetch_distance 0x1
	s_branch .LBB1122_666
	.p2align	6
.LBB1122_665:                           ;   in Loop: Header=BB1122_666 Depth=1
	s_or_b32 exec_lo, exec_lo, s24
	s_delay_alu instid0(SALU_CYCLE_1) | instskip(NEXT) | instid1(SALU_CYCLE_1)
	s_and_b32 s22, exec_lo, s22
	s_or_b32 s16, s22, s16
	s_and_not1_b32 s19, s19, exec_lo
	s_and_b32 s22, s20, exec_lo
	s_delay_alu instid0(SALU_CYCLE_1)
	s_or_b32 s19, s19, s22
	s_and_not1_b32 exec_lo, exec_lo, s16
	s_cbranch_execz .LBB1122_670
.LBB1122_666:                           ; =>This Inner Loop Header: Depth=1
	global_load_u16 v10, v[4:5], off
	global_load_u16 v11, v[6:7], off
	s_mov_b32 s22, -1
	s_mov_b32 s25, 0
	s_mov_b32 s23, -1
	s_mov_b32 s24, exec_lo
	s_waitcnt vmcnt(1)
	v_lshlrev_b32_e32 v10, 16, v10
	s_waitcnt vmcnt(0)
	v_lshlrev_b32_e32 v11, 16, v11
	s_delay_alu instid0(VALU_DEP_1)
	v_cmpx_nlt_f32_e32 v10, v11
; %bb.667:                              ;   in Loop: Header=BB1122_666 Depth=1
	v_cmp_ngt_f32_e32 vcc_lo, v10, v11
	s_and_b32 s21, vcc_lo, s21
	s_and_b32 s25, vcc_lo, exec_lo
	s_or_not1_b32 s23, s21, exec_lo
; %bb.668:                              ;   in Loop: Header=BB1122_666 Depth=1
	s_or_b32 exec_lo, exec_lo, s24
	s_delay_alu instid0(SALU_CYCLE_1) | instskip(SKIP_1) | instid1(SALU_CYCLE_1)
	s_and_not1_b32 s20, s20, exec_lo
	s_and_b32 s21, s23, exec_lo
	s_or_b32 s20, s20, s21
                                        ; implicit-def: $sgpr21
	s_and_saveexec_b32 s24, s25
	s_cbranch_execz .LBB1122_665
; %bb.669:                              ;   in Loop: Header=BB1122_666 Depth=1
	v_add_co_u32 v4, vcc_lo, v4, 2
	s_add_u32 s4, s4, -1
	s_addc_u32 s5, s5, -1
	v_add_co_ci_u32_e32 v5, vcc_lo, 0, v5, vcc_lo
	v_add_co_u32 v6, vcc_lo, v6, 2
	s_cmp_eq_u64 s[4:5], 0
	v_add_co_ci_u32_e32 v7, vcc_lo, 0, v7, vcc_lo
	s_cselect_b32 s22, -1, 0
	s_and_b32 s21, s23, exec_lo
	s_and_not1_b32 s20, s20, exec_lo
	s_or_not1_b32 s22, s22, exec_lo
	s_branch .LBB1122_665
.LBB1122_670:
	s_set_inst_prefetch_distance 0x2
	s_or_b32 exec_lo, exec_lo, s16
	s_xor_b32 s4, s19, -1
	s_and_not1_b32 s3, s3, exec_lo
	s_and_b32 s4, s4, exec_lo
	s_delay_alu instid0(SALU_CYCLE_1)
	s_or_b32 s3, s3, s4
.LBB1122_671:
	s_or_b32 exec_lo, exec_lo, s13
	v_cndmask_b32_e64 v4, v9, v8, s3
	v_cndmask_b32_e64 v5, v26, v25, s3
	s_mov_b32 s13, -1
	s_mov_b32 s16, -1
	s_mov_b32 s19, exec_lo
	v_add_nc_u32_e32 v6, 1, v4
	v_add_nc_u32_e32 v4, -1, v5
	s_delay_alu instid0(VALU_DEP_2) | instskip(NEXT) | instid1(VALU_DEP_2)
	v_cndmask_b32_e64 v9, v6, v9, s3
	v_min_u32_e32 v4, v6, v4
	v_cndmask_b32_e64 v8, v8, v6, s3
	s_delay_alu instid0(VALU_DEP_2)
	v_lshl_add_u32 v4, v4, 3, v19
	ds_load_b64 v[4:5], v4
	s_waitcnt lgkmcnt(0)
	v_cndmask_b32_e64 v10, v5, v3, s3
	v_cndmask_b32_e64 v11, v4, v2, s3
	;; [unrolled: 1-line block ×4, first 2 shown]
	v_cmpx_lt_u32_e64 v9, v26
	s_cbranch_execz .LBB1122_681
; %bb.672:
	v_cmp_lt_u32_e64 s16, v8, v25
	s_delay_alu instid0(VALU_DEP_1) | instskip(NEXT) | instid1(SALU_CYCLE_1)
	s_and_b32 s4, s16, s15
	s_and_saveexec_b32 s20, s4
	s_cbranch_execz .LBB1122_680
; %bb.673:
	v_mul_lo_u32 v29, v10, s8
	v_mul_lo_u32 v30, v11, s9
	v_mad_u64_u32 v[4:5], null, v11, s8, 0
	v_mul_lo_u32 v31, v27, s8
	v_mul_lo_u32 v32, v28, s9
	v_mad_u64_u32 v[6:7], null, v28, s8, 0
	s_mov_b32 s21, 0
	s_mov_b64 s[4:5], s[8:9]
	s_delay_alu instid0(VALU_DEP_4) | instskip(NEXT) | instid1(VALU_DEP_2)
	v_add3_u32 v5, v5, v30, v29
                                        ; implicit-def: $sgpr22
                                        ; implicit-def: $sgpr23
                                        ; implicit-def: $sgpr24
	v_add3_u32 v7, v7, v32, v31
	s_delay_alu instid0(VALU_DEP_2) | instskip(NEXT) | instid1(VALU_DEP_2)
	v_lshlrev_b64 v[4:5], 1, v[4:5]
	v_lshlrev_b64 v[6:7], 1, v[6:7]
	s_delay_alu instid0(VALU_DEP_2) | instskip(NEXT) | instid1(VALU_DEP_3)
	v_add_co_u32 v4, vcc_lo, s10, v4
	v_add_co_ci_u32_e32 v5, vcc_lo, s11, v5, vcc_lo
	s_delay_alu instid0(VALU_DEP_3) | instskip(NEXT) | instid1(VALU_DEP_4)
	v_add_co_u32 v6, vcc_lo, s10, v6
	v_add_co_ci_u32_e32 v7, vcc_lo, s11, v7, vcc_lo
	s_set_inst_prefetch_distance 0x1
	s_branch .LBB1122_675
	.p2align	6
.LBB1122_674:                           ;   in Loop: Header=BB1122_675 Depth=1
	s_or_b32 exec_lo, exec_lo, s27
	s_delay_alu instid0(SALU_CYCLE_1) | instskip(NEXT) | instid1(SALU_CYCLE_1)
	s_and_b32 s25, exec_lo, s25
	s_or_b32 s21, s25, s21
	s_and_not1_b32 s22, s22, exec_lo
	s_and_b32 s25, s23, exec_lo
	s_delay_alu instid0(SALU_CYCLE_1)
	s_or_b32 s22, s22, s25
	s_and_not1_b32 exec_lo, exec_lo, s21
	s_cbranch_execz .LBB1122_679
.LBB1122_675:                           ; =>This Inner Loop Header: Depth=1
	global_load_u16 v29, v[4:5], off
	global_load_u16 v30, v[6:7], off
	s_mov_b32 s25, -1
	s_mov_b32 s28, 0
	s_mov_b32 s26, -1
	s_mov_b32 s27, exec_lo
	s_waitcnt vmcnt(1)
	v_lshlrev_b32_e32 v29, 16, v29
	s_waitcnt vmcnt(0)
	v_lshlrev_b32_e32 v30, 16, v30
	s_delay_alu instid0(VALU_DEP_1)
	v_cmpx_nlt_f32_e32 v29, v30
; %bb.676:                              ;   in Loop: Header=BB1122_675 Depth=1
	v_cmp_ngt_f32_e32 vcc_lo, v29, v30
	s_and_b32 s24, vcc_lo, s24
	s_and_b32 s28, vcc_lo, exec_lo
	s_or_not1_b32 s26, s24, exec_lo
; %bb.677:                              ;   in Loop: Header=BB1122_675 Depth=1
	s_or_b32 exec_lo, exec_lo, s27
	s_delay_alu instid0(SALU_CYCLE_1) | instskip(SKIP_1) | instid1(SALU_CYCLE_1)
	s_and_not1_b32 s23, s23, exec_lo
	s_and_b32 s24, s26, exec_lo
	s_or_b32 s23, s23, s24
                                        ; implicit-def: $sgpr24
	s_and_saveexec_b32 s27, s28
	s_cbranch_execz .LBB1122_674
; %bb.678:                              ;   in Loop: Header=BB1122_675 Depth=1
	v_add_co_u32 v4, vcc_lo, v4, 2
	s_add_u32 s4, s4, -1
	s_addc_u32 s5, s5, -1
	v_add_co_ci_u32_e32 v5, vcc_lo, 0, v5, vcc_lo
	v_add_co_u32 v6, vcc_lo, v6, 2
	s_cmp_eq_u64 s[4:5], 0
	v_add_co_ci_u32_e32 v7, vcc_lo, 0, v7, vcc_lo
	s_cselect_b32 s25, -1, 0
	s_and_b32 s24, s26, exec_lo
	s_and_not1_b32 s23, s23, exec_lo
	s_or_not1_b32 s25, s25, exec_lo
	s_branch .LBB1122_674
.LBB1122_679:
	s_set_inst_prefetch_distance 0x2
	s_or_b32 exec_lo, exec_lo, s21
	s_xor_b32 s4, s22, -1
	s_and_not1_b32 s5, s16, exec_lo
	s_and_b32 s4, s4, exec_lo
	s_delay_alu instid0(SALU_CYCLE_1)
	s_or_b32 s16, s5, s4
.LBB1122_680:
	s_or_b32 exec_lo, exec_lo, s20
	s_delay_alu instid0(SALU_CYCLE_1)
	s_or_not1_b32 s16, s16, exec_lo
.LBB1122_681:
	s_or_b32 exec_lo, exec_lo, s19
	v_cndmask_b32_e64 v4, v9, v8, s16
	v_cndmask_b32_e64 v5, v26, v25, s16
	s_mov_b32 s19, exec_lo
	s_delay_alu instid0(VALU_DEP_2) | instskip(NEXT) | instid1(VALU_DEP_2)
	v_add_nc_u32_e32 v6, 1, v4
	v_add_nc_u32_e32 v4, -1, v5
	s_delay_alu instid0(VALU_DEP_2) | instskip(NEXT) | instid1(VALU_DEP_2)
	v_cndmask_b32_e64 v9, v6, v9, s16
	v_min_u32_e32 v4, v6, v4
	v_cndmask_b32_e64 v8, v8, v6, s16
	s_delay_alu instid0(VALU_DEP_2)
	v_lshl_add_u32 v4, v4, 3, v19
	ds_load_b64 v[4:5], v4
	s_waitcnt lgkmcnt(0)
	v_cndmask_b32_e64 v29, v5, v10, s16
	v_cndmask_b32_e64 v30, v4, v11, s16
	;; [unrolled: 1-line block ×4, first 2 shown]
	v_cmpx_lt_u32_e64 v9, v26
	s_cbranch_execz .LBB1122_691
; %bb.682:
	v_cmp_lt_u32_e64 s13, v8, v25
	s_delay_alu instid0(VALU_DEP_1) | instskip(NEXT) | instid1(SALU_CYCLE_1)
	s_and_b32 s4, s13, s15
	s_and_saveexec_b32 s20, s4
	s_cbranch_execz .LBB1122_690
; %bb.683:
	v_mul_lo_u32 v33, v29, s8
	v_mul_lo_u32 v34, v30, s9
	v_mad_u64_u32 v[4:5], null, v30, s8, 0
	v_mul_lo_u32 v35, v31, s8
	v_mul_lo_u32 v36, v32, s9
	v_mad_u64_u32 v[6:7], null, v32, s8, 0
	s_mov_b32 s21, 0
	s_mov_b64 s[4:5], s[8:9]
	s_delay_alu instid0(VALU_DEP_4) | instskip(NEXT) | instid1(VALU_DEP_2)
	v_add3_u32 v5, v5, v34, v33
                                        ; implicit-def: $sgpr22
                                        ; implicit-def: $sgpr23
                                        ; implicit-def: $sgpr24
	v_add3_u32 v7, v7, v36, v35
	s_delay_alu instid0(VALU_DEP_2) | instskip(NEXT) | instid1(VALU_DEP_2)
	v_lshlrev_b64 v[4:5], 1, v[4:5]
	v_lshlrev_b64 v[6:7], 1, v[6:7]
	s_delay_alu instid0(VALU_DEP_2) | instskip(NEXT) | instid1(VALU_DEP_3)
	v_add_co_u32 v4, vcc_lo, s10, v4
	v_add_co_ci_u32_e32 v5, vcc_lo, s11, v5, vcc_lo
	s_delay_alu instid0(VALU_DEP_3) | instskip(NEXT) | instid1(VALU_DEP_4)
	v_add_co_u32 v6, vcc_lo, s10, v6
	v_add_co_ci_u32_e32 v7, vcc_lo, s11, v7, vcc_lo
	s_set_inst_prefetch_distance 0x1
	s_branch .LBB1122_685
	.p2align	6
.LBB1122_684:                           ;   in Loop: Header=BB1122_685 Depth=1
	s_or_b32 exec_lo, exec_lo, s27
	s_delay_alu instid0(SALU_CYCLE_1) | instskip(NEXT) | instid1(SALU_CYCLE_1)
	s_and_b32 s25, exec_lo, s25
	s_or_b32 s21, s25, s21
	s_and_not1_b32 s22, s22, exec_lo
	s_and_b32 s25, s23, exec_lo
	s_delay_alu instid0(SALU_CYCLE_1)
	s_or_b32 s22, s22, s25
	s_and_not1_b32 exec_lo, exec_lo, s21
	s_cbranch_execz .LBB1122_689
.LBB1122_685:                           ; =>This Inner Loop Header: Depth=1
	global_load_u16 v33, v[4:5], off
	global_load_u16 v34, v[6:7], off
	s_mov_b32 s25, -1
	s_mov_b32 s28, 0
	s_mov_b32 s26, -1
	s_mov_b32 s27, exec_lo
	s_waitcnt vmcnt(1)
	v_lshlrev_b32_e32 v33, 16, v33
	s_waitcnt vmcnt(0)
	v_lshlrev_b32_e32 v34, 16, v34
	s_delay_alu instid0(VALU_DEP_1)
	v_cmpx_nlt_f32_e32 v33, v34
; %bb.686:                              ;   in Loop: Header=BB1122_685 Depth=1
	v_cmp_ngt_f32_e32 vcc_lo, v33, v34
	s_and_b32 s24, vcc_lo, s24
	s_and_b32 s28, vcc_lo, exec_lo
	s_or_not1_b32 s26, s24, exec_lo
; %bb.687:                              ;   in Loop: Header=BB1122_685 Depth=1
	s_or_b32 exec_lo, exec_lo, s27
	s_delay_alu instid0(SALU_CYCLE_1) | instskip(SKIP_1) | instid1(SALU_CYCLE_1)
	s_and_not1_b32 s23, s23, exec_lo
	s_and_b32 s24, s26, exec_lo
	s_or_b32 s23, s23, s24
                                        ; implicit-def: $sgpr24
	s_and_saveexec_b32 s27, s28
	s_cbranch_execz .LBB1122_684
; %bb.688:                              ;   in Loop: Header=BB1122_685 Depth=1
	v_add_co_u32 v4, vcc_lo, v4, 2
	s_add_u32 s4, s4, -1
	s_addc_u32 s5, s5, -1
	v_add_co_ci_u32_e32 v5, vcc_lo, 0, v5, vcc_lo
	v_add_co_u32 v6, vcc_lo, v6, 2
	s_cmp_eq_u64 s[4:5], 0
	v_add_co_ci_u32_e32 v7, vcc_lo, 0, v7, vcc_lo
	s_cselect_b32 s25, -1, 0
	s_and_b32 s24, s26, exec_lo
	s_and_not1_b32 s23, s23, exec_lo
	s_or_not1_b32 s25, s25, exec_lo
	s_branch .LBB1122_684
.LBB1122_689:
	s_set_inst_prefetch_distance 0x2
	s_or_b32 exec_lo, exec_lo, s21
	s_xor_b32 s4, s22, -1
	s_and_not1_b32 s5, s13, exec_lo
	s_and_b32 s4, s4, exec_lo
	s_delay_alu instid0(SALU_CYCLE_1)
	s_or_b32 s13, s5, s4
.LBB1122_690:
	s_or_b32 exec_lo, exec_lo, s20
	s_delay_alu instid0(SALU_CYCLE_1)
	s_or_not1_b32 s13, s13, exec_lo
.LBB1122_691:
	s_or_b32 exec_lo, exec_lo, s19
	v_cndmask_b32_e64 v4, v9, v8, s13
	v_cndmask_b32_e64 v5, v26, v25, s13
	s_mov_b32 s19, exec_lo
	s_delay_alu instid0(VALU_DEP_2) | instskip(NEXT) | instid1(VALU_DEP_2)
	v_add_nc_u32_e32 v33, 1, v4
	v_add_nc_u32_e32 v4, -1, v5
	s_delay_alu instid0(VALU_DEP_2) | instskip(NEXT) | instid1(VALU_DEP_2)
	v_cndmask_b32_e64 v9, v33, v9, s13
	v_min_u32_e32 v4, v33, v4
	s_delay_alu instid0(VALU_DEP_1)
	v_lshl_add_u32 v4, v4, 3, v19
	ds_load_b64 v[4:5], v4
	s_waitcnt lgkmcnt(0)
	v_cndmask_b32_e64 v7, v31, v5, s13
	v_cndmask_b32_e64 v6, v32, v4, s13
	v_cmpx_lt_u32_e64 v9, v26
	s_cbranch_execz .LBB1122_701
; %bb.692:
	v_cndmask_b32_e64 v8, v8, v33, s13
	v_cndmask_b32_e64 v26, v5, v29, s13
	;; [unrolled: 1-line block ×3, first 2 shown]
	s_delay_alu instid0(VALU_DEP_3) | instskip(NEXT) | instid1(VALU_DEP_2)
	v_cmp_ge_u32_e32 vcc_lo, v8, v25
	v_dual_cndmask_b32 v5, v7, v26 :: v_dual_cndmask_b32 v4, v6, v33
	s_or_b32 s4, vcc_lo, s14
	s_delay_alu instid0(SALU_CYCLE_1) | instskip(NEXT) | instid1(SALU_CYCLE_1)
	s_xor_b32 s4, s4, -1
	s_and_saveexec_b32 s20, s4
	s_cbranch_execz .LBB1122_700
; %bb.693:
	v_mul_lo_u32 v25, v26, s8
	v_mul_lo_u32 v34, v33, s9
	v_mad_u64_u32 v[4:5], null, v33, s8, 0
	v_mul_lo_u32 v35, v7, s8
	v_mul_lo_u32 v36, v6, s9
	v_mad_u64_u32 v[8:9], null, v6, s8, 0
	s_mov_b32 s21, 0
	s_mov_b64 s[4:5], s[8:9]
	s_delay_alu instid0(VALU_DEP_4) | instskip(NEXT) | instid1(VALU_DEP_2)
	v_add3_u32 v5, v5, v34, v25
                                        ; implicit-def: $sgpr22
                                        ; implicit-def: $sgpr23
                                        ; implicit-def: $sgpr24
	v_add3_u32 v9, v9, v36, v35
	s_delay_alu instid0(VALU_DEP_2) | instskip(NEXT) | instid1(VALU_DEP_2)
	v_lshlrev_b64 v[4:5], 1, v[4:5]
	v_lshlrev_b64 v[8:9], 1, v[8:9]
	s_delay_alu instid0(VALU_DEP_2) | instskip(NEXT) | instid1(VALU_DEP_3)
	v_add_co_u32 v4, vcc_lo, s10, v4
	v_add_co_ci_u32_e32 v5, vcc_lo, s11, v5, vcc_lo
	s_delay_alu instid0(VALU_DEP_3) | instskip(NEXT) | instid1(VALU_DEP_4)
	v_add_co_u32 v8, vcc_lo, s10, v8
	v_add_co_ci_u32_e32 v9, vcc_lo, s11, v9, vcc_lo
	s_set_inst_prefetch_distance 0x1
	s_branch .LBB1122_695
	.p2align	6
.LBB1122_694:                           ;   in Loop: Header=BB1122_695 Depth=1
	s_or_b32 exec_lo, exec_lo, s27
	s_delay_alu instid0(SALU_CYCLE_1) | instskip(NEXT) | instid1(SALU_CYCLE_1)
	s_and_b32 s25, exec_lo, s25
	s_or_b32 s21, s25, s21
	s_and_not1_b32 s22, s22, exec_lo
	s_and_b32 s25, s23, exec_lo
	s_delay_alu instid0(SALU_CYCLE_1)
	s_or_b32 s22, s22, s25
	s_and_not1_b32 exec_lo, exec_lo, s21
	s_cbranch_execz .LBB1122_699
.LBB1122_695:                           ; =>This Inner Loop Header: Depth=1
	global_load_u16 v25, v[4:5], off
	global_load_u16 v34, v[8:9], off
	s_mov_b32 s25, -1
	s_mov_b32 s28, 0
	s_mov_b32 s26, -1
	s_mov_b32 s27, exec_lo
	s_waitcnt vmcnt(1)
	v_lshlrev_b32_e32 v25, 16, v25
	s_waitcnt vmcnt(0)
	v_lshlrev_b32_e32 v34, 16, v34
	s_delay_alu instid0(VALU_DEP_1)
	v_cmpx_nlt_f32_e32 v25, v34
; %bb.696:                              ;   in Loop: Header=BB1122_695 Depth=1
	v_cmp_ngt_f32_e32 vcc_lo, v25, v34
	s_and_b32 s24, vcc_lo, s24
	s_and_b32 s28, vcc_lo, exec_lo
	s_or_not1_b32 s26, s24, exec_lo
; %bb.697:                              ;   in Loop: Header=BB1122_695 Depth=1
	s_or_b32 exec_lo, exec_lo, s27
	s_delay_alu instid0(SALU_CYCLE_1) | instskip(SKIP_1) | instid1(SALU_CYCLE_1)
	s_and_not1_b32 s23, s23, exec_lo
	s_and_b32 s24, s26, exec_lo
	s_or_b32 s23, s23, s24
                                        ; implicit-def: $sgpr24
	s_and_saveexec_b32 s27, s28
	s_cbranch_execz .LBB1122_694
; %bb.698:                              ;   in Loop: Header=BB1122_695 Depth=1
	v_add_co_u32 v4, vcc_lo, v4, 2
	s_add_u32 s4, s4, -1
	s_addc_u32 s5, s5, -1
	v_add_co_ci_u32_e32 v5, vcc_lo, 0, v5, vcc_lo
	v_add_co_u32 v8, vcc_lo, v8, 2
	s_cmp_eq_u64 s[4:5], 0
	v_add_co_ci_u32_e32 v9, vcc_lo, 0, v9, vcc_lo
	s_cselect_b32 s25, -1, 0
	s_and_b32 s24, s26, exec_lo
	s_and_not1_b32 s23, s23, exec_lo
	s_or_not1_b32 s25, s25, exec_lo
	s_branch .LBB1122_694
.LBB1122_699:
	s_set_inst_prefetch_distance 0x2
	s_or_b32 exec_lo, exec_lo, s21
	v_cndmask_b32_e64 v5, v7, v26, s22
	v_cndmask_b32_e64 v4, v6, v33, s22
.LBB1122_700:
	s_or_b32 exec_lo, exec_lo, s20
	s_delay_alu instid0(VALU_DEP_1)
	v_dual_mov_b32 v7, v5 :: v_dual_mov_b32 v6, v4
.LBB1122_701:
	s_or_b32 exec_lo, exec_lo, s19
	v_cndmask_b32_e64 v1, v3, v1, s3
	v_cndmask_b32_e64 v0, v2, v0, s3
	;; [unrolled: 1-line block ×6, first 2 shown]
.LBB1122_702:
	s_or_b32 exec_lo, exec_lo, s12
	v_and_b32_e32 v29, 0x60, v21
	v_and_b32_e32 v9, 28, v21
	s_mov_b32 s3, exec_lo
	; wave barrier
	s_delay_alu instid0(VALU_DEP_2) | instskip(NEXT) | instid1(VALU_DEP_2)
	v_or_b32_e32 v8, 16, v29
	v_min_u32_e32 v30, v20, v9
	v_lshl_add_u32 v28, v29, 3, v19
	ds_store_b128 v24, v[0:3]
	ds_store_b128 v24, v[4:7] offset:16
	v_min_u32_e32 v25, v20, v8
	; wave barrier
	s_delay_alu instid0(VALU_DEP_1) | instskip(SKIP_1) | instid1(VALU_DEP_2)
	v_add_nc_u32_e32 v8, 16, v25
	v_sub_nc_u32_e32 v9, v25, v29
	v_min_u32_e32 v26, v20, v8
	s_delay_alu instid0(VALU_DEP_2) | instskip(NEXT) | instid1(VALU_DEP_2)
	v_min_u32_e32 v31, v30, v9
	v_sub_nc_u32_e32 v8, v26, v25
	s_delay_alu instid0(VALU_DEP_1) | instskip(NEXT) | instid1(VALU_DEP_1)
	v_sub_nc_u32_e64 v27, v30, v8 clamp
	v_cmpx_lt_u32_e64 v27, v31
	s_cbranch_execz .LBB1122_714
; %bb.703:
	v_lshlrev_b32_e32 v8, 3, v25
	v_lshlrev_b32_e32 v9, 3, v30
	s_lshl_b64 s[4:5], s[8:9], 1
	s_mov_b32 s16, 0
	s_delay_alu instid0(VALU_DEP_1)
	v_add3_u32 v32, v19, v8, v9
	s_branch .LBB1122_706
.LBB1122_704:                           ;   in Loop: Header=BB1122_706 Depth=1
	s_set_inst_prefetch_distance 0x2
	s_or_b32 exec_lo, exec_lo, s20
.LBB1122_705:                           ;   in Loop: Header=BB1122_706 Depth=1
	s_delay_alu instid0(VALU_DEP_1) | instskip(SKIP_1) | instid1(VALU_DEP_2)
	v_add_nc_u32_e32 v8, 1, v33
	v_cndmask_b32_e64 v31, v31, v33, s19
	v_cndmask_b32_e64 v27, v8, v27, s19
	s_delay_alu instid0(VALU_DEP_1) | instskip(SKIP_1) | instid1(SALU_CYCLE_1)
	v_cmp_ge_u32_e32 vcc_lo, v27, v31
	s_or_b32 s16, vcc_lo, s16
	s_and_not1_b32 exec_lo, exec_lo, s16
	s_cbranch_execz .LBB1122_713
.LBB1122_706:                           ; =>This Loop Header: Depth=1
                                        ;     Child Loop BB1122_709 Depth 2
	v_add_nc_u32_e32 v8, v31, v27
	v_cmp_ne_u32_e32 vcc_lo, 1, v18
	s_mov_b32 s19, 0
	s_delay_alu instid0(VALU_DEP_2)
	v_lshrrev_b32_e32 v33, 1, v8
	s_cbranch_vccnz .LBB1122_705
; %bb.707:                              ;   in Loop: Header=BB1122_706 Depth=1
	s_delay_alu instid0(VALU_DEP_1) | instskip(SKIP_3) | instid1(VALU_DEP_2)
	v_not_b32_e32 v8, v33
	v_lshl_add_u32 v9, v33, 3, v28
	s_mov_b32 s20, 0
	s_mov_b64 s[12:13], s[8:9]
                                        ; implicit-def: $sgpr19
                                        ; implicit-def: $sgpr21
                                        ; implicit-def: $sgpr22
	v_lshl_add_u32 v8, v8, 3, v32
	ds_load_b64 v[10:11], v8
	ds_load_b64 v[34:35], v9
	s_waitcnt lgkmcnt(1)
	v_mul_lo_u32 v36, s4, v11
	v_mul_lo_u32 v37, s5, v10
	v_mad_u64_u32 v[8:9], null, s4, v10, s[10:11]
	s_waitcnt lgkmcnt(0)
	v_mul_lo_u32 v35, s4, v35
	v_mul_lo_u32 v38, s5, v34
	v_mad_u64_u32 v[10:11], null, s4, v34, s[10:11]
	s_delay_alu instid0(VALU_DEP_4) | instskip(NEXT) | instid1(VALU_DEP_2)
	v_add3_u32 v9, v37, v9, v36
	v_add3_u32 v11, v38, v11, v35
	s_set_inst_prefetch_distance 0x1
	s_branch .LBB1122_709
	.p2align	6
.LBB1122_708:                           ;   in Loop: Header=BB1122_709 Depth=2
	s_or_b32 exec_lo, exec_lo, s25
	s_delay_alu instid0(SALU_CYCLE_1) | instskip(NEXT) | instid1(SALU_CYCLE_1)
	s_and_b32 s23, exec_lo, s24
	s_or_b32 s20, s23, s20
	s_and_not1_b32 s19, s19, exec_lo
	s_and_b32 s23, s21, exec_lo
	s_delay_alu instid0(SALU_CYCLE_1)
	s_or_b32 s19, s19, s23
	s_and_not1_b32 exec_lo, exec_lo, s20
	s_cbranch_execz .LBB1122_704
.LBB1122_709:                           ;   Parent Loop BB1122_706 Depth=1
                                        ; =>  This Inner Loop Header: Depth=2
	global_load_u16 v34, v[8:9], off
	global_load_u16 v35, v[10:11], off
	s_mov_b32 s24, -1
	s_mov_b32 s26, 0
	s_mov_b32 s23, -1
	s_mov_b32 s25, exec_lo
	s_waitcnt vmcnt(1)
	v_lshlrev_b32_e32 v34, 16, v34
	s_waitcnt vmcnt(0)
	v_lshlrev_b32_e32 v35, 16, v35
	s_delay_alu instid0(VALU_DEP_1)
	v_cmpx_nlt_f32_e32 v34, v35
; %bb.710:                              ;   in Loop: Header=BB1122_709 Depth=2
	v_cmp_ngt_f32_e32 vcc_lo, v34, v35
	s_and_b32 s22, vcc_lo, s22
	s_and_b32 s26, vcc_lo, exec_lo
	s_or_not1_b32 s23, s22, exec_lo
; %bb.711:                              ;   in Loop: Header=BB1122_709 Depth=2
	s_or_b32 exec_lo, exec_lo, s25
	s_delay_alu instid0(SALU_CYCLE_1) | instskip(SKIP_1) | instid1(SALU_CYCLE_1)
	s_and_not1_b32 s21, s21, exec_lo
	s_and_b32 s22, s23, exec_lo
	s_or_b32 s21, s21, s22
                                        ; implicit-def: $sgpr22
	s_and_saveexec_b32 s25, s26
	s_cbranch_execz .LBB1122_708
; %bb.712:                              ;   in Loop: Header=BB1122_709 Depth=2
	v_add_co_u32 v8, vcc_lo, v8, 2
	s_add_u32 s12, s12, -1
	s_addc_u32 s13, s13, -1
	v_add_co_ci_u32_e32 v9, vcc_lo, 0, v9, vcc_lo
	v_add_co_u32 v10, vcc_lo, v10, 2
	s_cmp_eq_u64 s[12:13], 0
	v_add_co_ci_u32_e32 v11, vcc_lo, 0, v11, vcc_lo
	s_cselect_b32 s24, -1, 0
	s_and_not1_b32 s21, s21, exec_lo
	s_and_b32 s22, s23, exec_lo
	s_or_not1_b32 s24, s24, exec_lo
	s_branch .LBB1122_708
.LBB1122_713:
	s_or_b32 exec_lo, exec_lo, s16
.LBB1122_714:
	s_delay_alu instid0(SALU_CYCLE_1) | instskip(SKIP_2) | instid1(VALU_DEP_2)
	s_or_b32 exec_lo, exec_lo, s3
	v_add_nc_u32_e32 v9, v25, v30
	v_add_nc_u32_e32 v8, v27, v29
	v_sub_nc_u32_e32 v9, v9, v27
	s_delay_alu instid0(VALU_DEP_2) | instskip(NEXT) | instid1(VALU_DEP_2)
	v_cmp_le_u32_e32 vcc_lo, v8, v25
	v_cmp_le_u32_e64 s3, v9, v26
	s_delay_alu instid0(VALU_DEP_1) | instskip(NEXT) | instid1(SALU_CYCLE_1)
	s_or_b32 s3, vcc_lo, s3
	s_and_saveexec_b32 s12, s3
	s_cbranch_execz .LBB1122_758
; %bb.715:
	v_cmp_ge_u32_e32 vcc_lo, v8, v25
	s_mov_b32 s4, exec_lo
                                        ; implicit-def: $vgpr0_vgpr1
	v_cmpx_lt_u32_e64 v8, v25
	s_cbranch_execz .LBB1122_717
; %bb.716:
	v_lshl_add_u32 v0, v27, 3, v28
	ds_load_b64 v[0:1], v0
.LBB1122_717:
	s_or_b32 exec_lo, exec_lo, s4
	v_cmp_ge_u32_e64 s3, v9, v26
	s_mov_b32 s5, exec_lo
                                        ; implicit-def: $vgpr2_vgpr3
	v_cmpx_lt_u32_e64 v9, v26
	s_cbranch_execz .LBB1122_719
; %bb.718:
	v_lshl_add_u32 v2, v9, 3, v19
	ds_load_b64 v[2:3], v2
.LBB1122_719:
	s_or_b32 exec_lo, exec_lo, s5
	s_or_b32 s4, vcc_lo, s3
	s_xor_b32 s5, vcc_lo, -1
	s_or_b32 s4, s4, s14
	s_or_b32 s3, s3, s5
	s_xor_b32 s4, s4, -1
	s_delay_alu instid0(SALU_CYCLE_1)
	s_and_saveexec_b32 s13, s4
	s_cbranch_execz .LBB1122_727
; %bb.720:
	s_waitcnt lgkmcnt(0)
	v_mul_lo_u32 v10, v3, s8
	v_mul_lo_u32 v11, v2, s9
	v_mad_u64_u32 v[4:5], null, v2, s8, 0
	v_mul_lo_u32 v27, v1, s8
	v_mul_lo_u32 v28, v0, s9
	v_mad_u64_u32 v[6:7], null, v0, s8, 0
	s_mov_b32 s16, 0
	s_mov_b64 s[4:5], s[8:9]
	s_delay_alu instid0(VALU_DEP_4) | instskip(NEXT) | instid1(VALU_DEP_2)
	v_add3_u32 v5, v5, v11, v10
                                        ; implicit-def: $sgpr19
                                        ; implicit-def: $sgpr20
                                        ; implicit-def: $sgpr21
	v_add3_u32 v7, v7, v28, v27
	s_delay_alu instid0(VALU_DEP_2) | instskip(NEXT) | instid1(VALU_DEP_2)
	v_lshlrev_b64 v[4:5], 1, v[4:5]
	v_lshlrev_b64 v[6:7], 1, v[6:7]
	s_delay_alu instid0(VALU_DEP_2) | instskip(NEXT) | instid1(VALU_DEP_3)
	v_add_co_u32 v4, vcc_lo, s10, v4
	v_add_co_ci_u32_e32 v5, vcc_lo, s11, v5, vcc_lo
	s_delay_alu instid0(VALU_DEP_3) | instskip(NEXT) | instid1(VALU_DEP_4)
	v_add_co_u32 v6, vcc_lo, s10, v6
	v_add_co_ci_u32_e32 v7, vcc_lo, s11, v7, vcc_lo
	s_set_inst_prefetch_distance 0x1
	s_branch .LBB1122_722
	.p2align	6
.LBB1122_721:                           ;   in Loop: Header=BB1122_722 Depth=1
	s_or_b32 exec_lo, exec_lo, s24
	s_delay_alu instid0(SALU_CYCLE_1) | instskip(NEXT) | instid1(SALU_CYCLE_1)
	s_and_b32 s22, exec_lo, s22
	s_or_b32 s16, s22, s16
	s_and_not1_b32 s19, s19, exec_lo
	s_and_b32 s22, s20, exec_lo
	s_delay_alu instid0(SALU_CYCLE_1)
	s_or_b32 s19, s19, s22
	s_and_not1_b32 exec_lo, exec_lo, s16
	s_cbranch_execz .LBB1122_726
.LBB1122_722:                           ; =>This Inner Loop Header: Depth=1
	global_load_u16 v10, v[4:5], off
	global_load_u16 v11, v[6:7], off
	s_mov_b32 s22, -1
	s_mov_b32 s25, 0
	s_mov_b32 s23, -1
	s_mov_b32 s24, exec_lo
	s_waitcnt vmcnt(1)
	v_lshlrev_b32_e32 v10, 16, v10
	s_waitcnt vmcnt(0)
	v_lshlrev_b32_e32 v11, 16, v11
	s_delay_alu instid0(VALU_DEP_1)
	v_cmpx_nlt_f32_e32 v10, v11
; %bb.723:                              ;   in Loop: Header=BB1122_722 Depth=1
	v_cmp_ngt_f32_e32 vcc_lo, v10, v11
	s_and_b32 s21, vcc_lo, s21
	s_and_b32 s25, vcc_lo, exec_lo
	s_or_not1_b32 s23, s21, exec_lo
; %bb.724:                              ;   in Loop: Header=BB1122_722 Depth=1
	s_or_b32 exec_lo, exec_lo, s24
	s_delay_alu instid0(SALU_CYCLE_1) | instskip(SKIP_1) | instid1(SALU_CYCLE_1)
	s_and_not1_b32 s20, s20, exec_lo
	s_and_b32 s21, s23, exec_lo
	s_or_b32 s20, s20, s21
                                        ; implicit-def: $sgpr21
	s_and_saveexec_b32 s24, s25
	s_cbranch_execz .LBB1122_721
; %bb.725:                              ;   in Loop: Header=BB1122_722 Depth=1
	v_add_co_u32 v4, vcc_lo, v4, 2
	s_add_u32 s4, s4, -1
	s_addc_u32 s5, s5, -1
	v_add_co_ci_u32_e32 v5, vcc_lo, 0, v5, vcc_lo
	v_add_co_u32 v6, vcc_lo, v6, 2
	s_cmp_eq_u64 s[4:5], 0
	v_add_co_ci_u32_e32 v7, vcc_lo, 0, v7, vcc_lo
	s_cselect_b32 s22, -1, 0
	s_and_b32 s21, s23, exec_lo
	s_and_not1_b32 s20, s20, exec_lo
	s_or_not1_b32 s22, s22, exec_lo
	s_branch .LBB1122_721
.LBB1122_726:
	s_set_inst_prefetch_distance 0x2
	s_or_b32 exec_lo, exec_lo, s16
	s_xor_b32 s4, s19, -1
	s_and_not1_b32 s3, s3, exec_lo
	s_and_b32 s4, s4, exec_lo
	s_delay_alu instid0(SALU_CYCLE_1)
	s_or_b32 s3, s3, s4
.LBB1122_727:
	s_or_b32 exec_lo, exec_lo, s13
	v_cndmask_b32_e64 v4, v9, v8, s3
	v_cndmask_b32_e64 v5, v26, v25, s3
	s_mov_b32 s13, -1
	s_mov_b32 s16, -1
	s_mov_b32 s19, exec_lo
	v_add_nc_u32_e32 v6, 1, v4
	v_add_nc_u32_e32 v4, -1, v5
	s_delay_alu instid0(VALU_DEP_2) | instskip(NEXT) | instid1(VALU_DEP_2)
	v_cndmask_b32_e64 v9, v6, v9, s3
	v_min_u32_e32 v4, v6, v4
	v_cndmask_b32_e64 v8, v8, v6, s3
	s_delay_alu instid0(VALU_DEP_2)
	v_lshl_add_u32 v4, v4, 3, v19
	ds_load_b64 v[4:5], v4
	s_waitcnt lgkmcnt(0)
	v_cndmask_b32_e64 v10, v5, v3, s3
	v_cndmask_b32_e64 v11, v4, v2, s3
	v_cndmask_b32_e64 v27, v1, v5, s3
	v_cndmask_b32_e64 v28, v0, v4, s3
	v_cmpx_lt_u32_e64 v9, v26
	s_cbranch_execz .LBB1122_737
; %bb.728:
	v_cmp_lt_u32_e64 s16, v8, v25
	s_delay_alu instid0(VALU_DEP_1) | instskip(NEXT) | instid1(SALU_CYCLE_1)
	s_and_b32 s4, s16, s15
	s_and_saveexec_b32 s20, s4
	s_cbranch_execz .LBB1122_736
; %bb.729:
	v_mul_lo_u32 v29, v10, s8
	v_mul_lo_u32 v30, v11, s9
	v_mad_u64_u32 v[4:5], null, v11, s8, 0
	v_mul_lo_u32 v31, v27, s8
	v_mul_lo_u32 v32, v28, s9
	v_mad_u64_u32 v[6:7], null, v28, s8, 0
	s_mov_b32 s21, 0
	s_mov_b64 s[4:5], s[8:9]
	s_delay_alu instid0(VALU_DEP_4) | instskip(NEXT) | instid1(VALU_DEP_2)
	v_add3_u32 v5, v5, v30, v29
                                        ; implicit-def: $sgpr22
                                        ; implicit-def: $sgpr23
                                        ; implicit-def: $sgpr24
	v_add3_u32 v7, v7, v32, v31
	s_delay_alu instid0(VALU_DEP_2) | instskip(NEXT) | instid1(VALU_DEP_2)
	v_lshlrev_b64 v[4:5], 1, v[4:5]
	v_lshlrev_b64 v[6:7], 1, v[6:7]
	s_delay_alu instid0(VALU_DEP_2) | instskip(NEXT) | instid1(VALU_DEP_3)
	v_add_co_u32 v4, vcc_lo, s10, v4
	v_add_co_ci_u32_e32 v5, vcc_lo, s11, v5, vcc_lo
	s_delay_alu instid0(VALU_DEP_3) | instskip(NEXT) | instid1(VALU_DEP_4)
	v_add_co_u32 v6, vcc_lo, s10, v6
	v_add_co_ci_u32_e32 v7, vcc_lo, s11, v7, vcc_lo
	s_set_inst_prefetch_distance 0x1
	s_branch .LBB1122_731
	.p2align	6
.LBB1122_730:                           ;   in Loop: Header=BB1122_731 Depth=1
	s_or_b32 exec_lo, exec_lo, s27
	s_delay_alu instid0(SALU_CYCLE_1) | instskip(NEXT) | instid1(SALU_CYCLE_1)
	s_and_b32 s25, exec_lo, s25
	s_or_b32 s21, s25, s21
	s_and_not1_b32 s22, s22, exec_lo
	s_and_b32 s25, s23, exec_lo
	s_delay_alu instid0(SALU_CYCLE_1)
	s_or_b32 s22, s22, s25
	s_and_not1_b32 exec_lo, exec_lo, s21
	s_cbranch_execz .LBB1122_735
.LBB1122_731:                           ; =>This Inner Loop Header: Depth=1
	global_load_u16 v29, v[4:5], off
	global_load_u16 v30, v[6:7], off
	s_mov_b32 s25, -1
	s_mov_b32 s28, 0
	s_mov_b32 s26, -1
	s_mov_b32 s27, exec_lo
	s_waitcnt vmcnt(1)
	v_lshlrev_b32_e32 v29, 16, v29
	s_waitcnt vmcnt(0)
	v_lshlrev_b32_e32 v30, 16, v30
	s_delay_alu instid0(VALU_DEP_1)
	v_cmpx_nlt_f32_e32 v29, v30
; %bb.732:                              ;   in Loop: Header=BB1122_731 Depth=1
	v_cmp_ngt_f32_e32 vcc_lo, v29, v30
	s_and_b32 s24, vcc_lo, s24
	s_and_b32 s28, vcc_lo, exec_lo
	s_or_not1_b32 s26, s24, exec_lo
; %bb.733:                              ;   in Loop: Header=BB1122_731 Depth=1
	s_or_b32 exec_lo, exec_lo, s27
	s_delay_alu instid0(SALU_CYCLE_1) | instskip(SKIP_1) | instid1(SALU_CYCLE_1)
	s_and_not1_b32 s23, s23, exec_lo
	s_and_b32 s24, s26, exec_lo
	s_or_b32 s23, s23, s24
                                        ; implicit-def: $sgpr24
	s_and_saveexec_b32 s27, s28
	s_cbranch_execz .LBB1122_730
; %bb.734:                              ;   in Loop: Header=BB1122_731 Depth=1
	v_add_co_u32 v4, vcc_lo, v4, 2
	s_add_u32 s4, s4, -1
	s_addc_u32 s5, s5, -1
	v_add_co_ci_u32_e32 v5, vcc_lo, 0, v5, vcc_lo
	v_add_co_u32 v6, vcc_lo, v6, 2
	s_cmp_eq_u64 s[4:5], 0
	v_add_co_ci_u32_e32 v7, vcc_lo, 0, v7, vcc_lo
	s_cselect_b32 s25, -1, 0
	s_and_b32 s24, s26, exec_lo
	s_and_not1_b32 s23, s23, exec_lo
	s_or_not1_b32 s25, s25, exec_lo
	s_branch .LBB1122_730
.LBB1122_735:
	s_set_inst_prefetch_distance 0x2
	s_or_b32 exec_lo, exec_lo, s21
	s_xor_b32 s4, s22, -1
	s_and_not1_b32 s5, s16, exec_lo
	s_and_b32 s4, s4, exec_lo
	s_delay_alu instid0(SALU_CYCLE_1)
	s_or_b32 s16, s5, s4
.LBB1122_736:
	s_or_b32 exec_lo, exec_lo, s20
	s_delay_alu instid0(SALU_CYCLE_1)
	s_or_not1_b32 s16, s16, exec_lo
.LBB1122_737:
	s_or_b32 exec_lo, exec_lo, s19
	v_cndmask_b32_e64 v4, v9, v8, s16
	v_cndmask_b32_e64 v5, v26, v25, s16
	s_mov_b32 s19, exec_lo
	s_delay_alu instid0(VALU_DEP_2) | instskip(NEXT) | instid1(VALU_DEP_2)
	v_add_nc_u32_e32 v6, 1, v4
	v_add_nc_u32_e32 v4, -1, v5
	s_delay_alu instid0(VALU_DEP_2) | instskip(NEXT) | instid1(VALU_DEP_2)
	v_cndmask_b32_e64 v9, v6, v9, s16
	v_min_u32_e32 v4, v6, v4
	v_cndmask_b32_e64 v8, v8, v6, s16
	s_delay_alu instid0(VALU_DEP_2)
	v_lshl_add_u32 v4, v4, 3, v19
	ds_load_b64 v[4:5], v4
	s_waitcnt lgkmcnt(0)
	v_cndmask_b32_e64 v29, v5, v10, s16
	v_cndmask_b32_e64 v30, v4, v11, s16
	;; [unrolled: 1-line block ×4, first 2 shown]
	v_cmpx_lt_u32_e64 v9, v26
	s_cbranch_execz .LBB1122_747
; %bb.738:
	v_cmp_lt_u32_e64 s13, v8, v25
	s_delay_alu instid0(VALU_DEP_1) | instskip(NEXT) | instid1(SALU_CYCLE_1)
	s_and_b32 s4, s13, s15
	s_and_saveexec_b32 s20, s4
	s_cbranch_execz .LBB1122_746
; %bb.739:
	v_mul_lo_u32 v33, v29, s8
	v_mul_lo_u32 v34, v30, s9
	v_mad_u64_u32 v[4:5], null, v30, s8, 0
	v_mul_lo_u32 v35, v31, s8
	v_mul_lo_u32 v36, v32, s9
	v_mad_u64_u32 v[6:7], null, v32, s8, 0
	s_mov_b32 s21, 0
	s_mov_b64 s[4:5], s[8:9]
	s_delay_alu instid0(VALU_DEP_4) | instskip(NEXT) | instid1(VALU_DEP_2)
	v_add3_u32 v5, v5, v34, v33
                                        ; implicit-def: $sgpr22
                                        ; implicit-def: $sgpr23
                                        ; implicit-def: $sgpr24
	v_add3_u32 v7, v7, v36, v35
	s_delay_alu instid0(VALU_DEP_2) | instskip(NEXT) | instid1(VALU_DEP_2)
	v_lshlrev_b64 v[4:5], 1, v[4:5]
	v_lshlrev_b64 v[6:7], 1, v[6:7]
	s_delay_alu instid0(VALU_DEP_2) | instskip(NEXT) | instid1(VALU_DEP_3)
	v_add_co_u32 v4, vcc_lo, s10, v4
	v_add_co_ci_u32_e32 v5, vcc_lo, s11, v5, vcc_lo
	s_delay_alu instid0(VALU_DEP_3) | instskip(NEXT) | instid1(VALU_DEP_4)
	v_add_co_u32 v6, vcc_lo, s10, v6
	v_add_co_ci_u32_e32 v7, vcc_lo, s11, v7, vcc_lo
	s_set_inst_prefetch_distance 0x1
	s_branch .LBB1122_741
	.p2align	6
.LBB1122_740:                           ;   in Loop: Header=BB1122_741 Depth=1
	s_or_b32 exec_lo, exec_lo, s27
	s_delay_alu instid0(SALU_CYCLE_1) | instskip(NEXT) | instid1(SALU_CYCLE_1)
	s_and_b32 s25, exec_lo, s25
	s_or_b32 s21, s25, s21
	s_and_not1_b32 s22, s22, exec_lo
	s_and_b32 s25, s23, exec_lo
	s_delay_alu instid0(SALU_CYCLE_1)
	s_or_b32 s22, s22, s25
	s_and_not1_b32 exec_lo, exec_lo, s21
	s_cbranch_execz .LBB1122_745
.LBB1122_741:                           ; =>This Inner Loop Header: Depth=1
	global_load_u16 v33, v[4:5], off
	global_load_u16 v34, v[6:7], off
	s_mov_b32 s25, -1
	s_mov_b32 s28, 0
	s_mov_b32 s26, -1
	s_mov_b32 s27, exec_lo
	s_waitcnt vmcnt(1)
	v_lshlrev_b32_e32 v33, 16, v33
	s_waitcnt vmcnt(0)
	v_lshlrev_b32_e32 v34, 16, v34
	s_delay_alu instid0(VALU_DEP_1)
	v_cmpx_nlt_f32_e32 v33, v34
; %bb.742:                              ;   in Loop: Header=BB1122_741 Depth=1
	v_cmp_ngt_f32_e32 vcc_lo, v33, v34
	s_and_b32 s24, vcc_lo, s24
	s_and_b32 s28, vcc_lo, exec_lo
	s_or_not1_b32 s26, s24, exec_lo
; %bb.743:                              ;   in Loop: Header=BB1122_741 Depth=1
	s_or_b32 exec_lo, exec_lo, s27
	s_delay_alu instid0(SALU_CYCLE_1) | instskip(SKIP_1) | instid1(SALU_CYCLE_1)
	s_and_not1_b32 s23, s23, exec_lo
	s_and_b32 s24, s26, exec_lo
	s_or_b32 s23, s23, s24
                                        ; implicit-def: $sgpr24
	s_and_saveexec_b32 s27, s28
	s_cbranch_execz .LBB1122_740
; %bb.744:                              ;   in Loop: Header=BB1122_741 Depth=1
	v_add_co_u32 v4, vcc_lo, v4, 2
	s_add_u32 s4, s4, -1
	s_addc_u32 s5, s5, -1
	v_add_co_ci_u32_e32 v5, vcc_lo, 0, v5, vcc_lo
	v_add_co_u32 v6, vcc_lo, v6, 2
	s_cmp_eq_u64 s[4:5], 0
	v_add_co_ci_u32_e32 v7, vcc_lo, 0, v7, vcc_lo
	s_cselect_b32 s25, -1, 0
	s_and_b32 s24, s26, exec_lo
	s_and_not1_b32 s23, s23, exec_lo
	s_or_not1_b32 s25, s25, exec_lo
	s_branch .LBB1122_740
.LBB1122_745:
	s_set_inst_prefetch_distance 0x2
	s_or_b32 exec_lo, exec_lo, s21
	s_xor_b32 s4, s22, -1
	s_and_not1_b32 s5, s13, exec_lo
	s_and_b32 s4, s4, exec_lo
	s_delay_alu instid0(SALU_CYCLE_1)
	s_or_b32 s13, s5, s4
.LBB1122_746:
	s_or_b32 exec_lo, exec_lo, s20
	s_delay_alu instid0(SALU_CYCLE_1)
	s_or_not1_b32 s13, s13, exec_lo
.LBB1122_747:
	s_or_b32 exec_lo, exec_lo, s19
	v_cndmask_b32_e64 v4, v9, v8, s13
	v_cndmask_b32_e64 v5, v26, v25, s13
	s_mov_b32 s19, exec_lo
	s_delay_alu instid0(VALU_DEP_2) | instskip(NEXT) | instid1(VALU_DEP_2)
	v_add_nc_u32_e32 v33, 1, v4
	v_add_nc_u32_e32 v4, -1, v5
	s_delay_alu instid0(VALU_DEP_2) | instskip(NEXT) | instid1(VALU_DEP_2)
	v_cndmask_b32_e64 v9, v33, v9, s13
	v_min_u32_e32 v4, v33, v4
	s_delay_alu instid0(VALU_DEP_1)
	v_lshl_add_u32 v4, v4, 3, v19
	ds_load_b64 v[4:5], v4
	s_waitcnt lgkmcnt(0)
	v_cndmask_b32_e64 v7, v31, v5, s13
	v_cndmask_b32_e64 v6, v32, v4, s13
	v_cmpx_lt_u32_e64 v9, v26
	s_cbranch_execz .LBB1122_757
; %bb.748:
	v_cndmask_b32_e64 v8, v8, v33, s13
	v_cndmask_b32_e64 v26, v5, v29, s13
	;; [unrolled: 1-line block ×3, first 2 shown]
	s_delay_alu instid0(VALU_DEP_3) | instskip(NEXT) | instid1(VALU_DEP_2)
	v_cmp_ge_u32_e32 vcc_lo, v8, v25
	v_dual_cndmask_b32 v5, v7, v26 :: v_dual_cndmask_b32 v4, v6, v33
	s_or_b32 s4, vcc_lo, s14
	s_delay_alu instid0(SALU_CYCLE_1) | instskip(NEXT) | instid1(SALU_CYCLE_1)
	s_xor_b32 s4, s4, -1
	s_and_saveexec_b32 s20, s4
	s_cbranch_execz .LBB1122_756
; %bb.749:
	v_mul_lo_u32 v25, v26, s8
	v_mul_lo_u32 v34, v33, s9
	v_mad_u64_u32 v[4:5], null, v33, s8, 0
	v_mul_lo_u32 v35, v7, s8
	v_mul_lo_u32 v36, v6, s9
	v_mad_u64_u32 v[8:9], null, v6, s8, 0
	s_mov_b32 s21, 0
	s_mov_b64 s[4:5], s[8:9]
	s_delay_alu instid0(VALU_DEP_4) | instskip(NEXT) | instid1(VALU_DEP_2)
	v_add3_u32 v5, v5, v34, v25
                                        ; implicit-def: $sgpr22
                                        ; implicit-def: $sgpr23
                                        ; implicit-def: $sgpr24
	v_add3_u32 v9, v9, v36, v35
	s_delay_alu instid0(VALU_DEP_2) | instskip(NEXT) | instid1(VALU_DEP_2)
	v_lshlrev_b64 v[4:5], 1, v[4:5]
	v_lshlrev_b64 v[8:9], 1, v[8:9]
	s_delay_alu instid0(VALU_DEP_2) | instskip(NEXT) | instid1(VALU_DEP_3)
	v_add_co_u32 v4, vcc_lo, s10, v4
	v_add_co_ci_u32_e32 v5, vcc_lo, s11, v5, vcc_lo
	s_delay_alu instid0(VALU_DEP_3) | instskip(NEXT) | instid1(VALU_DEP_4)
	v_add_co_u32 v8, vcc_lo, s10, v8
	v_add_co_ci_u32_e32 v9, vcc_lo, s11, v9, vcc_lo
	s_set_inst_prefetch_distance 0x1
	s_branch .LBB1122_751
	.p2align	6
.LBB1122_750:                           ;   in Loop: Header=BB1122_751 Depth=1
	s_or_b32 exec_lo, exec_lo, s27
	s_delay_alu instid0(SALU_CYCLE_1) | instskip(NEXT) | instid1(SALU_CYCLE_1)
	s_and_b32 s25, exec_lo, s25
	s_or_b32 s21, s25, s21
	s_and_not1_b32 s22, s22, exec_lo
	s_and_b32 s25, s23, exec_lo
	s_delay_alu instid0(SALU_CYCLE_1)
	s_or_b32 s22, s22, s25
	s_and_not1_b32 exec_lo, exec_lo, s21
	s_cbranch_execz .LBB1122_755
.LBB1122_751:                           ; =>This Inner Loop Header: Depth=1
	global_load_u16 v25, v[4:5], off
	global_load_u16 v34, v[8:9], off
	s_mov_b32 s25, -1
	s_mov_b32 s28, 0
	s_mov_b32 s26, -1
	s_mov_b32 s27, exec_lo
	s_waitcnt vmcnt(1)
	v_lshlrev_b32_e32 v25, 16, v25
	s_waitcnt vmcnt(0)
	v_lshlrev_b32_e32 v34, 16, v34
	s_delay_alu instid0(VALU_DEP_1)
	v_cmpx_nlt_f32_e32 v25, v34
; %bb.752:                              ;   in Loop: Header=BB1122_751 Depth=1
	v_cmp_ngt_f32_e32 vcc_lo, v25, v34
	s_and_b32 s24, vcc_lo, s24
	s_and_b32 s28, vcc_lo, exec_lo
	s_or_not1_b32 s26, s24, exec_lo
; %bb.753:                              ;   in Loop: Header=BB1122_751 Depth=1
	s_or_b32 exec_lo, exec_lo, s27
	s_delay_alu instid0(SALU_CYCLE_1) | instskip(SKIP_1) | instid1(SALU_CYCLE_1)
	s_and_not1_b32 s23, s23, exec_lo
	s_and_b32 s24, s26, exec_lo
	s_or_b32 s23, s23, s24
                                        ; implicit-def: $sgpr24
	s_and_saveexec_b32 s27, s28
	s_cbranch_execz .LBB1122_750
; %bb.754:                              ;   in Loop: Header=BB1122_751 Depth=1
	v_add_co_u32 v4, vcc_lo, v4, 2
	s_add_u32 s4, s4, -1
	s_addc_u32 s5, s5, -1
	v_add_co_ci_u32_e32 v5, vcc_lo, 0, v5, vcc_lo
	v_add_co_u32 v8, vcc_lo, v8, 2
	s_cmp_eq_u64 s[4:5], 0
	v_add_co_ci_u32_e32 v9, vcc_lo, 0, v9, vcc_lo
	s_cselect_b32 s25, -1, 0
	s_and_b32 s24, s26, exec_lo
	s_and_not1_b32 s23, s23, exec_lo
	s_or_not1_b32 s25, s25, exec_lo
	s_branch .LBB1122_750
.LBB1122_755:
	s_set_inst_prefetch_distance 0x2
	s_or_b32 exec_lo, exec_lo, s21
	v_cndmask_b32_e64 v5, v7, v26, s22
	v_cndmask_b32_e64 v4, v6, v33, s22
.LBB1122_756:
	s_or_b32 exec_lo, exec_lo, s20
	s_delay_alu instid0(VALU_DEP_1)
	v_dual_mov_b32 v7, v5 :: v_dual_mov_b32 v6, v4
.LBB1122_757:
	s_or_b32 exec_lo, exec_lo, s19
	v_cndmask_b32_e64 v1, v3, v1, s3
	v_cndmask_b32_e64 v0, v2, v0, s3
	;; [unrolled: 1-line block ×6, first 2 shown]
.LBB1122_758:
	s_or_b32 exec_lo, exec_lo, s12
	v_and_b32_e32 v27, 64, v21
	v_and_b32_e32 v9, 60, v21
	s_mov_b32 s3, exec_lo
	; wave barrier
	s_delay_alu instid0(VALU_DEP_2) | instskip(NEXT) | instid1(VALU_DEP_2)
	v_or_b32_e32 v8, 32, v27
	v_min_u32_e32 v28, v20, v9
	v_lshl_add_u32 v26, v27, 3, v19
	ds_store_b128 v24, v[0:3]
	ds_store_b128 v24, v[4:7] offset:16
	v_min_u32_e32 v25, v20, v8
	; wave barrier
	s_delay_alu instid0(VALU_DEP_1) | instskip(SKIP_1) | instid1(VALU_DEP_2)
	v_add_nc_u32_e32 v8, 32, v25
	v_sub_nc_u32_e32 v9, v25, v27
	v_min_u32_e32 v21, v20, v8
	s_delay_alu instid0(VALU_DEP_2) | instskip(NEXT) | instid1(VALU_DEP_2)
	v_min_u32_e32 v29, v28, v9
	v_sub_nc_u32_e32 v8, v21, v25
	s_delay_alu instid0(VALU_DEP_1) | instskip(NEXT) | instid1(VALU_DEP_1)
	v_sub_nc_u32_e64 v20, v28, v8 clamp
	v_cmpx_lt_u32_e64 v20, v29
	s_cbranch_execz .LBB1122_770
; %bb.759:
	v_lshlrev_b32_e32 v8, 3, v25
	v_lshlrev_b32_e32 v9, 3, v28
	s_lshl_b64 s[4:5], s[8:9], 1
	s_mov_b32 s16, 0
	s_delay_alu instid0(VALU_DEP_1)
	v_add3_u32 v24, v19, v8, v9
	s_branch .LBB1122_762
.LBB1122_760:                           ;   in Loop: Header=BB1122_762 Depth=1
	s_set_inst_prefetch_distance 0x2
	s_or_b32 exec_lo, exec_lo, s20
.LBB1122_761:                           ;   in Loop: Header=BB1122_762 Depth=1
	s_delay_alu instid0(VALU_DEP_1) | instskip(SKIP_1) | instid1(VALU_DEP_2)
	v_add_nc_u32_e32 v8, 1, v30
	v_cndmask_b32_e64 v29, v29, v30, s19
	v_cndmask_b32_e64 v20, v8, v20, s19
	s_delay_alu instid0(VALU_DEP_1) | instskip(SKIP_1) | instid1(SALU_CYCLE_1)
	v_cmp_ge_u32_e32 vcc_lo, v20, v29
	s_or_b32 s16, vcc_lo, s16
	s_and_not1_b32 exec_lo, exec_lo, s16
	s_cbranch_execz .LBB1122_769
.LBB1122_762:                           ; =>This Loop Header: Depth=1
                                        ;     Child Loop BB1122_765 Depth 2
	v_add_nc_u32_e32 v8, v29, v20
	v_cmp_ne_u32_e32 vcc_lo, 1, v18
	s_mov_b32 s19, 0
	s_delay_alu instid0(VALU_DEP_2)
	v_lshrrev_b32_e32 v30, 1, v8
	s_cbranch_vccnz .LBB1122_761
; %bb.763:                              ;   in Loop: Header=BB1122_762 Depth=1
	s_delay_alu instid0(VALU_DEP_1) | instskip(SKIP_3) | instid1(VALU_DEP_2)
	v_not_b32_e32 v8, v30
	v_lshl_add_u32 v9, v30, 3, v26
	s_mov_b32 s20, 0
	s_mov_b64 s[12:13], s[8:9]
                                        ; implicit-def: $sgpr19
                                        ; implicit-def: $sgpr21
                                        ; implicit-def: $sgpr22
	v_lshl_add_u32 v8, v8, 3, v24
	ds_load_b64 v[10:11], v8
	ds_load_b64 v[31:32], v9
	s_waitcnt lgkmcnt(1)
	v_mul_lo_u32 v33, s4, v11
	v_mul_lo_u32 v34, s5, v10
	v_mad_u64_u32 v[8:9], null, s4, v10, s[10:11]
	s_waitcnt lgkmcnt(0)
	v_mul_lo_u32 v32, s4, v32
	v_mul_lo_u32 v35, s5, v31
	v_mad_u64_u32 v[10:11], null, s4, v31, s[10:11]
	s_delay_alu instid0(VALU_DEP_4) | instskip(NEXT) | instid1(VALU_DEP_2)
	v_add3_u32 v9, v34, v9, v33
	v_add3_u32 v11, v35, v11, v32
	s_set_inst_prefetch_distance 0x1
	s_branch .LBB1122_765
	.p2align	6
.LBB1122_764:                           ;   in Loop: Header=BB1122_765 Depth=2
	s_or_b32 exec_lo, exec_lo, s25
	s_delay_alu instid0(SALU_CYCLE_1) | instskip(NEXT) | instid1(SALU_CYCLE_1)
	s_and_b32 s23, exec_lo, s24
	s_or_b32 s20, s23, s20
	s_and_not1_b32 s19, s19, exec_lo
	s_and_b32 s23, s21, exec_lo
	s_delay_alu instid0(SALU_CYCLE_1)
	s_or_b32 s19, s19, s23
	s_and_not1_b32 exec_lo, exec_lo, s20
	s_cbranch_execz .LBB1122_760
.LBB1122_765:                           ;   Parent Loop BB1122_762 Depth=1
                                        ; =>  This Inner Loop Header: Depth=2
	global_load_u16 v31, v[8:9], off
	global_load_u16 v32, v[10:11], off
	s_mov_b32 s24, -1
	s_mov_b32 s26, 0
	s_mov_b32 s23, -1
	s_mov_b32 s25, exec_lo
	s_waitcnt vmcnt(1)
	v_lshlrev_b32_e32 v31, 16, v31
	s_waitcnt vmcnt(0)
	v_lshlrev_b32_e32 v32, 16, v32
	s_delay_alu instid0(VALU_DEP_1)
	v_cmpx_nlt_f32_e32 v31, v32
; %bb.766:                              ;   in Loop: Header=BB1122_765 Depth=2
	v_cmp_ngt_f32_e32 vcc_lo, v31, v32
	s_and_b32 s22, vcc_lo, s22
	s_and_b32 s26, vcc_lo, exec_lo
	s_or_not1_b32 s23, s22, exec_lo
; %bb.767:                              ;   in Loop: Header=BB1122_765 Depth=2
	s_or_b32 exec_lo, exec_lo, s25
	s_delay_alu instid0(SALU_CYCLE_1) | instskip(SKIP_1) | instid1(SALU_CYCLE_1)
	s_and_not1_b32 s21, s21, exec_lo
	s_and_b32 s22, s23, exec_lo
	s_or_b32 s21, s21, s22
                                        ; implicit-def: $sgpr22
	s_and_saveexec_b32 s25, s26
	s_cbranch_execz .LBB1122_764
; %bb.768:                              ;   in Loop: Header=BB1122_765 Depth=2
	v_add_co_u32 v8, vcc_lo, v8, 2
	s_add_u32 s12, s12, -1
	s_addc_u32 s13, s13, -1
	v_add_co_ci_u32_e32 v9, vcc_lo, 0, v9, vcc_lo
	v_add_co_u32 v10, vcc_lo, v10, 2
	s_cmp_eq_u64 s[12:13], 0
	v_add_co_ci_u32_e32 v11, vcc_lo, 0, v11, vcc_lo
	s_cselect_b32 s24, -1, 0
	s_and_not1_b32 s21, s21, exec_lo
	s_and_b32 s22, s23, exec_lo
	s_or_not1_b32 s24, s24, exec_lo
	s_branch .LBB1122_764
.LBB1122_769:
	s_or_b32 exec_lo, exec_lo, s16
.LBB1122_770:
	s_delay_alu instid0(SALU_CYCLE_1) | instskip(SKIP_2) | instid1(VALU_DEP_2)
	s_or_b32 exec_lo, exec_lo, s3
	v_add_nc_u32_e32 v9, v25, v28
	v_add_nc_u32_e32 v8, v20, v27
	v_sub_nc_u32_e32 v9, v9, v20
	s_delay_alu instid0(VALU_DEP_2) | instskip(NEXT) | instid1(VALU_DEP_2)
	v_cmp_le_u32_e32 vcc_lo, v8, v25
	v_cmp_le_u32_e64 s3, v9, v21
	s_delay_alu instid0(VALU_DEP_1) | instskip(NEXT) | instid1(SALU_CYCLE_1)
	s_or_b32 s3, vcc_lo, s3
	s_and_saveexec_b32 s12, s3
	s_cbranch_execz .LBB1122_814
; %bb.771:
	v_cmp_ge_u32_e32 vcc_lo, v8, v25
	s_mov_b32 s4, exec_lo
                                        ; implicit-def: $vgpr0_vgpr1
	v_cmpx_lt_u32_e64 v8, v25
	s_cbranch_execz .LBB1122_773
; %bb.772:
	v_lshl_add_u32 v0, v20, 3, v26
	ds_load_b64 v[0:1], v0
.LBB1122_773:
	s_or_b32 exec_lo, exec_lo, s4
	v_cmp_ge_u32_e64 s3, v9, v21
	s_mov_b32 s5, exec_lo
                                        ; implicit-def: $vgpr2_vgpr3
	v_cmpx_lt_u32_e64 v9, v21
	s_cbranch_execz .LBB1122_775
; %bb.774:
	v_lshl_add_u32 v2, v9, 3, v19
	ds_load_b64 v[2:3], v2
.LBB1122_775:
	s_or_b32 exec_lo, exec_lo, s5
	s_or_b32 s4, vcc_lo, s3
	s_xor_b32 s5, vcc_lo, -1
	s_or_b32 s4, s4, s14
	s_or_b32 s3, s3, s5
	s_xor_b32 s4, s4, -1
	s_delay_alu instid0(SALU_CYCLE_1)
	s_and_saveexec_b32 s13, s4
	s_cbranch_execz .LBB1122_783
; %bb.776:
	s_waitcnt lgkmcnt(0)
	v_mul_lo_u32 v10, v3, s8
	v_mul_lo_u32 v11, v2, s9
	v_mad_u64_u32 v[4:5], null, v2, s8, 0
	v_mul_lo_u32 v20, v1, s8
	v_mul_lo_u32 v24, v0, s9
	v_mad_u64_u32 v[6:7], null, v0, s8, 0
	s_mov_b32 s16, 0
	s_mov_b64 s[4:5], s[8:9]
	s_delay_alu instid0(VALU_DEP_4) | instskip(NEXT) | instid1(VALU_DEP_2)
	v_add3_u32 v5, v5, v11, v10
                                        ; implicit-def: $sgpr19
                                        ; implicit-def: $sgpr20
                                        ; implicit-def: $sgpr21
	v_add3_u32 v7, v7, v24, v20
	s_delay_alu instid0(VALU_DEP_2) | instskip(NEXT) | instid1(VALU_DEP_2)
	v_lshlrev_b64 v[4:5], 1, v[4:5]
	v_lshlrev_b64 v[6:7], 1, v[6:7]
	s_delay_alu instid0(VALU_DEP_2) | instskip(NEXT) | instid1(VALU_DEP_3)
	v_add_co_u32 v4, vcc_lo, s10, v4
	v_add_co_ci_u32_e32 v5, vcc_lo, s11, v5, vcc_lo
	s_delay_alu instid0(VALU_DEP_3) | instskip(NEXT) | instid1(VALU_DEP_4)
	v_add_co_u32 v6, vcc_lo, s10, v6
	v_add_co_ci_u32_e32 v7, vcc_lo, s11, v7, vcc_lo
	s_set_inst_prefetch_distance 0x1
	s_branch .LBB1122_778
	.p2align	6
.LBB1122_777:                           ;   in Loop: Header=BB1122_778 Depth=1
	s_or_b32 exec_lo, exec_lo, s24
	s_delay_alu instid0(SALU_CYCLE_1) | instskip(NEXT) | instid1(SALU_CYCLE_1)
	s_and_b32 s22, exec_lo, s22
	s_or_b32 s16, s22, s16
	s_and_not1_b32 s19, s19, exec_lo
	s_and_b32 s22, s20, exec_lo
	s_delay_alu instid0(SALU_CYCLE_1)
	s_or_b32 s19, s19, s22
	s_and_not1_b32 exec_lo, exec_lo, s16
	s_cbranch_execz .LBB1122_782
.LBB1122_778:                           ; =>This Inner Loop Header: Depth=1
	global_load_u16 v10, v[4:5], off
	global_load_u16 v11, v[6:7], off
	s_mov_b32 s22, -1
	s_mov_b32 s25, 0
	s_mov_b32 s23, -1
	s_mov_b32 s24, exec_lo
	s_waitcnt vmcnt(1)
	v_lshlrev_b32_e32 v10, 16, v10
	s_waitcnt vmcnt(0)
	v_lshlrev_b32_e32 v11, 16, v11
	s_delay_alu instid0(VALU_DEP_1)
	v_cmpx_nlt_f32_e32 v10, v11
; %bb.779:                              ;   in Loop: Header=BB1122_778 Depth=1
	v_cmp_ngt_f32_e32 vcc_lo, v10, v11
	s_and_b32 s21, vcc_lo, s21
	s_and_b32 s25, vcc_lo, exec_lo
	s_or_not1_b32 s23, s21, exec_lo
; %bb.780:                              ;   in Loop: Header=BB1122_778 Depth=1
	s_or_b32 exec_lo, exec_lo, s24
	s_delay_alu instid0(SALU_CYCLE_1) | instskip(SKIP_1) | instid1(SALU_CYCLE_1)
	s_and_not1_b32 s20, s20, exec_lo
	s_and_b32 s21, s23, exec_lo
	s_or_b32 s20, s20, s21
                                        ; implicit-def: $sgpr21
	s_and_saveexec_b32 s24, s25
	s_cbranch_execz .LBB1122_777
; %bb.781:                              ;   in Loop: Header=BB1122_778 Depth=1
	v_add_co_u32 v4, vcc_lo, v4, 2
	s_add_u32 s4, s4, -1
	s_addc_u32 s5, s5, -1
	v_add_co_ci_u32_e32 v5, vcc_lo, 0, v5, vcc_lo
	v_add_co_u32 v6, vcc_lo, v6, 2
	s_cmp_eq_u64 s[4:5], 0
	v_add_co_ci_u32_e32 v7, vcc_lo, 0, v7, vcc_lo
	s_cselect_b32 s22, -1, 0
	s_and_b32 s21, s23, exec_lo
	s_and_not1_b32 s20, s20, exec_lo
	s_or_not1_b32 s22, s22, exec_lo
	s_branch .LBB1122_777
.LBB1122_782:
	s_set_inst_prefetch_distance 0x2
	s_or_b32 exec_lo, exec_lo, s16
	s_xor_b32 s4, s19, -1
	s_and_not1_b32 s3, s3, exec_lo
	s_and_b32 s4, s4, exec_lo
	s_delay_alu instid0(SALU_CYCLE_1)
	s_or_b32 s3, s3, s4
.LBB1122_783:
	s_or_b32 exec_lo, exec_lo, s13
	v_cndmask_b32_e64 v4, v9, v8, s3
	v_cndmask_b32_e64 v5, v21, v25, s3
	s_mov_b32 s13, -1
	s_mov_b32 s16, -1
	s_mov_b32 s19, exec_lo
	v_add_nc_u32_e32 v6, 1, v4
	v_add_nc_u32_e32 v4, -1, v5
	s_delay_alu instid0(VALU_DEP_2) | instskip(NEXT) | instid1(VALU_DEP_2)
	v_cndmask_b32_e64 v9, v6, v9, s3
	v_min_u32_e32 v4, v6, v4
	v_cndmask_b32_e64 v8, v8, v6, s3
	s_delay_alu instid0(VALU_DEP_2)
	v_lshl_add_u32 v4, v4, 3, v19
	ds_load_b64 v[4:5], v4
	s_waitcnt lgkmcnt(0)
	v_cndmask_b32_e64 v10, v5, v3, s3
	v_cndmask_b32_e64 v11, v4, v2, s3
	;; [unrolled: 1-line block ×4, first 2 shown]
	v_cmpx_lt_u32_e64 v9, v21
	s_cbranch_execz .LBB1122_793
; %bb.784:
	v_cmp_lt_u32_e64 s16, v8, v25
	s_delay_alu instid0(VALU_DEP_1) | instskip(NEXT) | instid1(SALU_CYCLE_1)
	s_and_b32 s4, s16, s15
	s_and_saveexec_b32 s20, s4
	s_cbranch_execz .LBB1122_792
; %bb.785:
	v_mul_lo_u32 v26, v10, s8
	v_mul_lo_u32 v27, v11, s9
	v_mad_u64_u32 v[4:5], null, v11, s8, 0
	v_mul_lo_u32 v28, v20, s8
	v_mul_lo_u32 v29, v24, s9
	v_mad_u64_u32 v[6:7], null, v24, s8, 0
	s_mov_b32 s21, 0
	s_mov_b64 s[4:5], s[8:9]
	s_delay_alu instid0(VALU_DEP_4) | instskip(NEXT) | instid1(VALU_DEP_2)
	v_add3_u32 v5, v5, v27, v26
                                        ; implicit-def: $sgpr22
                                        ; implicit-def: $sgpr23
                                        ; implicit-def: $sgpr24
	v_add3_u32 v7, v7, v29, v28
	s_delay_alu instid0(VALU_DEP_2) | instskip(NEXT) | instid1(VALU_DEP_2)
	v_lshlrev_b64 v[4:5], 1, v[4:5]
	v_lshlrev_b64 v[6:7], 1, v[6:7]
	s_delay_alu instid0(VALU_DEP_2) | instskip(NEXT) | instid1(VALU_DEP_3)
	v_add_co_u32 v4, vcc_lo, s10, v4
	v_add_co_ci_u32_e32 v5, vcc_lo, s11, v5, vcc_lo
	s_delay_alu instid0(VALU_DEP_3) | instskip(NEXT) | instid1(VALU_DEP_4)
	v_add_co_u32 v6, vcc_lo, s10, v6
	v_add_co_ci_u32_e32 v7, vcc_lo, s11, v7, vcc_lo
	s_set_inst_prefetch_distance 0x1
	s_branch .LBB1122_787
	.p2align	6
.LBB1122_786:                           ;   in Loop: Header=BB1122_787 Depth=1
	s_or_b32 exec_lo, exec_lo, s27
	s_delay_alu instid0(SALU_CYCLE_1) | instskip(NEXT) | instid1(SALU_CYCLE_1)
	s_and_b32 s25, exec_lo, s25
	s_or_b32 s21, s25, s21
	s_and_not1_b32 s22, s22, exec_lo
	s_and_b32 s25, s23, exec_lo
	s_delay_alu instid0(SALU_CYCLE_1)
	s_or_b32 s22, s22, s25
	s_and_not1_b32 exec_lo, exec_lo, s21
	s_cbranch_execz .LBB1122_791
.LBB1122_787:                           ; =>This Inner Loop Header: Depth=1
	global_load_u16 v26, v[4:5], off
	global_load_u16 v27, v[6:7], off
	s_mov_b32 s25, -1
	s_mov_b32 s28, 0
	s_mov_b32 s26, -1
	s_mov_b32 s27, exec_lo
	s_waitcnt vmcnt(1)
	v_lshlrev_b32_e32 v26, 16, v26
	s_waitcnt vmcnt(0)
	v_lshlrev_b32_e32 v27, 16, v27
	s_delay_alu instid0(VALU_DEP_1)
	v_cmpx_nlt_f32_e32 v26, v27
; %bb.788:                              ;   in Loop: Header=BB1122_787 Depth=1
	v_cmp_ngt_f32_e32 vcc_lo, v26, v27
	s_and_b32 s24, vcc_lo, s24
	s_and_b32 s28, vcc_lo, exec_lo
	s_or_not1_b32 s26, s24, exec_lo
; %bb.789:                              ;   in Loop: Header=BB1122_787 Depth=1
	s_or_b32 exec_lo, exec_lo, s27
	s_delay_alu instid0(SALU_CYCLE_1) | instskip(SKIP_1) | instid1(SALU_CYCLE_1)
	s_and_not1_b32 s23, s23, exec_lo
	s_and_b32 s24, s26, exec_lo
	s_or_b32 s23, s23, s24
                                        ; implicit-def: $sgpr24
	s_and_saveexec_b32 s27, s28
	s_cbranch_execz .LBB1122_786
; %bb.790:                              ;   in Loop: Header=BB1122_787 Depth=1
	v_add_co_u32 v4, vcc_lo, v4, 2
	s_add_u32 s4, s4, -1
	s_addc_u32 s5, s5, -1
	v_add_co_ci_u32_e32 v5, vcc_lo, 0, v5, vcc_lo
	v_add_co_u32 v6, vcc_lo, v6, 2
	s_cmp_eq_u64 s[4:5], 0
	v_add_co_ci_u32_e32 v7, vcc_lo, 0, v7, vcc_lo
	s_cselect_b32 s25, -1, 0
	s_and_b32 s24, s26, exec_lo
	s_and_not1_b32 s23, s23, exec_lo
	s_or_not1_b32 s25, s25, exec_lo
	s_branch .LBB1122_786
.LBB1122_791:
	s_set_inst_prefetch_distance 0x2
	s_or_b32 exec_lo, exec_lo, s21
	s_xor_b32 s4, s22, -1
	s_and_not1_b32 s5, s16, exec_lo
	s_and_b32 s4, s4, exec_lo
	s_delay_alu instid0(SALU_CYCLE_1)
	s_or_b32 s16, s5, s4
.LBB1122_792:
	s_or_b32 exec_lo, exec_lo, s20
	s_delay_alu instid0(SALU_CYCLE_1)
	s_or_not1_b32 s16, s16, exec_lo
.LBB1122_793:
	s_or_b32 exec_lo, exec_lo, s19
	v_cndmask_b32_e64 v4, v9, v8, s16
	v_cndmask_b32_e64 v5, v21, v25, s16
	s_mov_b32 s19, exec_lo
	s_delay_alu instid0(VALU_DEP_2) | instskip(NEXT) | instid1(VALU_DEP_2)
	v_add_nc_u32_e32 v6, 1, v4
	v_add_nc_u32_e32 v4, -1, v5
	s_delay_alu instid0(VALU_DEP_2) | instskip(NEXT) | instid1(VALU_DEP_2)
	v_cndmask_b32_e64 v9, v6, v9, s16
	v_min_u32_e32 v4, v6, v4
	v_cndmask_b32_e64 v8, v8, v6, s16
	s_delay_alu instid0(VALU_DEP_2)
	v_lshl_add_u32 v4, v4, 3, v19
	ds_load_b64 v[4:5], v4
	s_waitcnt lgkmcnt(0)
	v_cndmask_b32_e64 v26, v5, v10, s16
	v_cndmask_b32_e64 v27, v4, v11, s16
	;; [unrolled: 1-line block ×4, first 2 shown]
	v_cmpx_lt_u32_e64 v9, v21
	s_cbranch_execz .LBB1122_803
; %bb.794:
	v_cmp_lt_u32_e64 s13, v8, v25
	s_delay_alu instid0(VALU_DEP_1) | instskip(NEXT) | instid1(SALU_CYCLE_1)
	s_and_b32 s4, s13, s15
	s_and_saveexec_b32 s20, s4
	s_cbranch_execz .LBB1122_802
; %bb.795:
	v_mul_lo_u32 v30, v26, s8
	v_mul_lo_u32 v31, v27, s9
	v_mad_u64_u32 v[4:5], null, v27, s8, 0
	v_mul_lo_u32 v32, v28, s8
	v_mul_lo_u32 v33, v29, s9
	v_mad_u64_u32 v[6:7], null, v29, s8, 0
	s_mov_b32 s21, 0
	s_mov_b64 s[4:5], s[8:9]
	s_delay_alu instid0(VALU_DEP_4) | instskip(NEXT) | instid1(VALU_DEP_2)
	v_add3_u32 v5, v5, v31, v30
                                        ; implicit-def: $sgpr22
                                        ; implicit-def: $sgpr23
                                        ; implicit-def: $sgpr24
	v_add3_u32 v7, v7, v33, v32
	s_delay_alu instid0(VALU_DEP_2) | instskip(NEXT) | instid1(VALU_DEP_2)
	v_lshlrev_b64 v[4:5], 1, v[4:5]
	v_lshlrev_b64 v[6:7], 1, v[6:7]
	s_delay_alu instid0(VALU_DEP_2) | instskip(NEXT) | instid1(VALU_DEP_3)
	v_add_co_u32 v4, vcc_lo, s10, v4
	v_add_co_ci_u32_e32 v5, vcc_lo, s11, v5, vcc_lo
	s_delay_alu instid0(VALU_DEP_3) | instskip(NEXT) | instid1(VALU_DEP_4)
	v_add_co_u32 v6, vcc_lo, s10, v6
	v_add_co_ci_u32_e32 v7, vcc_lo, s11, v7, vcc_lo
	s_set_inst_prefetch_distance 0x1
	s_branch .LBB1122_797
	.p2align	6
.LBB1122_796:                           ;   in Loop: Header=BB1122_797 Depth=1
	s_or_b32 exec_lo, exec_lo, s27
	s_delay_alu instid0(SALU_CYCLE_1) | instskip(NEXT) | instid1(SALU_CYCLE_1)
	s_and_b32 s25, exec_lo, s25
	s_or_b32 s21, s25, s21
	s_and_not1_b32 s22, s22, exec_lo
	s_and_b32 s25, s23, exec_lo
	s_delay_alu instid0(SALU_CYCLE_1)
	s_or_b32 s22, s22, s25
	s_and_not1_b32 exec_lo, exec_lo, s21
	s_cbranch_execz .LBB1122_801
.LBB1122_797:                           ; =>This Inner Loop Header: Depth=1
	global_load_u16 v30, v[4:5], off
	global_load_u16 v31, v[6:7], off
	s_mov_b32 s25, -1
	s_mov_b32 s28, 0
	s_mov_b32 s26, -1
	s_mov_b32 s27, exec_lo
	s_waitcnt vmcnt(1)
	v_lshlrev_b32_e32 v30, 16, v30
	s_waitcnt vmcnt(0)
	v_lshlrev_b32_e32 v31, 16, v31
	s_delay_alu instid0(VALU_DEP_1)
	v_cmpx_nlt_f32_e32 v30, v31
; %bb.798:                              ;   in Loop: Header=BB1122_797 Depth=1
	v_cmp_ngt_f32_e32 vcc_lo, v30, v31
	s_and_b32 s24, vcc_lo, s24
	s_and_b32 s28, vcc_lo, exec_lo
	s_or_not1_b32 s26, s24, exec_lo
; %bb.799:                              ;   in Loop: Header=BB1122_797 Depth=1
	s_or_b32 exec_lo, exec_lo, s27
	s_delay_alu instid0(SALU_CYCLE_1) | instskip(SKIP_1) | instid1(SALU_CYCLE_1)
	s_and_not1_b32 s23, s23, exec_lo
	s_and_b32 s24, s26, exec_lo
	s_or_b32 s23, s23, s24
                                        ; implicit-def: $sgpr24
	s_and_saveexec_b32 s27, s28
	s_cbranch_execz .LBB1122_796
; %bb.800:                              ;   in Loop: Header=BB1122_797 Depth=1
	v_add_co_u32 v4, vcc_lo, v4, 2
	s_add_u32 s4, s4, -1
	s_addc_u32 s5, s5, -1
	v_add_co_ci_u32_e32 v5, vcc_lo, 0, v5, vcc_lo
	v_add_co_u32 v6, vcc_lo, v6, 2
	s_cmp_eq_u64 s[4:5], 0
	v_add_co_ci_u32_e32 v7, vcc_lo, 0, v7, vcc_lo
	s_cselect_b32 s25, -1, 0
	s_and_b32 s24, s26, exec_lo
	s_and_not1_b32 s23, s23, exec_lo
	s_or_not1_b32 s25, s25, exec_lo
	s_branch .LBB1122_796
.LBB1122_801:
	s_set_inst_prefetch_distance 0x2
	s_or_b32 exec_lo, exec_lo, s21
	s_xor_b32 s4, s22, -1
	s_and_not1_b32 s5, s13, exec_lo
	s_and_b32 s4, s4, exec_lo
	s_delay_alu instid0(SALU_CYCLE_1)
	s_or_b32 s13, s5, s4
.LBB1122_802:
	s_or_b32 exec_lo, exec_lo, s20
	s_delay_alu instid0(SALU_CYCLE_1)
	s_or_not1_b32 s13, s13, exec_lo
.LBB1122_803:
	s_or_b32 exec_lo, exec_lo, s19
	v_cndmask_b32_e64 v4, v9, v8, s13
	v_cndmask_b32_e64 v5, v21, v25, s13
	s_mov_b32 s19, exec_lo
	s_delay_alu instid0(VALU_DEP_2) | instskip(NEXT) | instid1(VALU_DEP_2)
	v_add_nc_u32_e32 v30, 1, v4
	v_add_nc_u32_e32 v4, -1, v5
	s_delay_alu instid0(VALU_DEP_2) | instskip(NEXT) | instid1(VALU_DEP_2)
	v_cndmask_b32_e64 v9, v30, v9, s13
	v_min_u32_e32 v4, v30, v4
	s_delay_alu instid0(VALU_DEP_1)
	v_lshl_add_u32 v4, v4, 3, v19
	ds_load_b64 v[4:5], v4
	s_waitcnt lgkmcnt(0)
	v_cndmask_b32_e64 v7, v28, v5, s13
	v_cndmask_b32_e64 v6, v29, v4, s13
	v_cmpx_lt_u32_e64 v9, v21
	s_cbranch_execz .LBB1122_813
; %bb.804:
	v_cndmask_b32_e64 v8, v8, v30, s13
	v_cndmask_b32_e64 v19, v5, v26, s13
	;; [unrolled: 1-line block ×3, first 2 shown]
	s_delay_alu instid0(VALU_DEP_3) | instskip(NEXT) | instid1(VALU_DEP_2)
	v_cmp_ge_u32_e32 vcc_lo, v8, v25
	v_dual_cndmask_b32 v5, v7, v19 :: v_dual_cndmask_b32 v4, v6, v21
	s_or_b32 s4, vcc_lo, s14
	s_delay_alu instid0(SALU_CYCLE_1) | instskip(NEXT) | instid1(SALU_CYCLE_1)
	s_xor_b32 s4, s4, -1
	s_and_saveexec_b32 s20, s4
	s_cbranch_execz .LBB1122_812
; %bb.805:
	v_mul_lo_u32 v25, v19, s8
	v_mul_lo_u32 v30, v21, s9
	v_mad_u64_u32 v[4:5], null, v21, s8, 0
	v_mul_lo_u32 v31, v7, s8
	v_mul_lo_u32 v32, v6, s9
	v_mad_u64_u32 v[8:9], null, v6, s8, 0
	s_mov_b32 s21, 0
	s_mov_b64 s[4:5], s[8:9]
	s_delay_alu instid0(VALU_DEP_4) | instskip(NEXT) | instid1(VALU_DEP_2)
	v_add3_u32 v5, v5, v30, v25
                                        ; implicit-def: $sgpr22
                                        ; implicit-def: $sgpr23
                                        ; implicit-def: $sgpr24
	v_add3_u32 v9, v9, v32, v31
	s_delay_alu instid0(VALU_DEP_2) | instskip(NEXT) | instid1(VALU_DEP_2)
	v_lshlrev_b64 v[4:5], 1, v[4:5]
	v_lshlrev_b64 v[8:9], 1, v[8:9]
	s_delay_alu instid0(VALU_DEP_2) | instskip(NEXT) | instid1(VALU_DEP_3)
	v_add_co_u32 v4, vcc_lo, s10, v4
	v_add_co_ci_u32_e32 v5, vcc_lo, s11, v5, vcc_lo
	s_delay_alu instid0(VALU_DEP_3) | instskip(NEXT) | instid1(VALU_DEP_4)
	v_add_co_u32 v8, vcc_lo, s10, v8
	v_add_co_ci_u32_e32 v9, vcc_lo, s11, v9, vcc_lo
	s_set_inst_prefetch_distance 0x1
	s_branch .LBB1122_807
	.p2align	6
.LBB1122_806:                           ;   in Loop: Header=BB1122_807 Depth=1
	s_or_b32 exec_lo, exec_lo, s27
	s_delay_alu instid0(SALU_CYCLE_1) | instskip(NEXT) | instid1(SALU_CYCLE_1)
	s_and_b32 s25, exec_lo, s25
	s_or_b32 s21, s25, s21
	s_and_not1_b32 s22, s22, exec_lo
	s_and_b32 s25, s23, exec_lo
	s_delay_alu instid0(SALU_CYCLE_1)
	s_or_b32 s22, s22, s25
	s_and_not1_b32 exec_lo, exec_lo, s21
	s_cbranch_execz .LBB1122_811
.LBB1122_807:                           ; =>This Inner Loop Header: Depth=1
	global_load_u16 v25, v[4:5], off
	global_load_u16 v30, v[8:9], off
	s_mov_b32 s25, -1
	s_mov_b32 s28, 0
	s_mov_b32 s26, -1
	s_mov_b32 s27, exec_lo
	s_waitcnt vmcnt(1)
	v_lshlrev_b32_e32 v25, 16, v25
	s_waitcnt vmcnt(0)
	v_lshlrev_b32_e32 v30, 16, v30
	s_delay_alu instid0(VALU_DEP_1)
	v_cmpx_nlt_f32_e32 v25, v30
; %bb.808:                              ;   in Loop: Header=BB1122_807 Depth=1
	v_cmp_ngt_f32_e32 vcc_lo, v25, v30
	s_and_b32 s24, vcc_lo, s24
	s_and_b32 s28, vcc_lo, exec_lo
	s_or_not1_b32 s26, s24, exec_lo
; %bb.809:                              ;   in Loop: Header=BB1122_807 Depth=1
	s_or_b32 exec_lo, exec_lo, s27
	s_delay_alu instid0(SALU_CYCLE_1) | instskip(SKIP_1) | instid1(SALU_CYCLE_1)
	s_and_not1_b32 s23, s23, exec_lo
	s_and_b32 s24, s26, exec_lo
	s_or_b32 s23, s23, s24
                                        ; implicit-def: $sgpr24
	s_and_saveexec_b32 s27, s28
	s_cbranch_execz .LBB1122_806
; %bb.810:                              ;   in Loop: Header=BB1122_807 Depth=1
	v_add_co_u32 v4, vcc_lo, v4, 2
	s_add_u32 s4, s4, -1
	s_addc_u32 s5, s5, -1
	v_add_co_ci_u32_e32 v5, vcc_lo, 0, v5, vcc_lo
	v_add_co_u32 v8, vcc_lo, v8, 2
	s_cmp_eq_u64 s[4:5], 0
	v_add_co_ci_u32_e32 v9, vcc_lo, 0, v9, vcc_lo
	s_cselect_b32 s25, -1, 0
	s_and_b32 s24, s26, exec_lo
	s_and_not1_b32 s23, s23, exec_lo
	s_or_not1_b32 s25, s25, exec_lo
	s_branch .LBB1122_806
.LBB1122_811:
	s_set_inst_prefetch_distance 0x2
	s_or_b32 exec_lo, exec_lo, s21
	v_cndmask_b32_e64 v5, v7, v19, s22
	v_cndmask_b32_e64 v4, v6, v21, s22
.LBB1122_812:
	s_or_b32 exec_lo, exec_lo, s20
	s_delay_alu instid0(VALU_DEP_1)
	v_dual_mov_b32 v7, v5 :: v_dual_mov_b32 v6, v4
.LBB1122_813:
	s_or_b32 exec_lo, exec_lo, s19
	v_cndmask_b32_e64 v1, v3, v1, s3
	v_cndmask_b32_e64 v0, v2, v0, s3
	v_cndmask_b32_e64 v3, v10, v20, s16
	v_cndmask_b32_e64 v2, v11, v24, s16
	v_cndmask_b32_e64 v5, v26, v28, s13
	v_cndmask_b32_e64 v4, v27, v29, s13
.LBB1122_814:
	s_or_b32 exec_lo, exec_lo, s12
	s_cmpk_lt_u32 s18, 0x41
	; wave barrier
	s_waitcnt lgkmcnt(0)
	s_barrier
	buffer_gl0_inv
	s_cbranch_scc1 .LBB1122_873
; %bb.815:
	v_lshlrev_b32_e32 v19, 3, v23
	s_lshl_b64 s[12:13], s[8:9], 1
	s_mov_b32 s16, 64
	s_branch .LBB1122_820
.LBB1122_816:                           ;   in Loop: Header=BB1122_820 Depth=1
	s_set_inst_prefetch_distance 0x2
	s_or_b32 exec_lo, exec_lo, s24
	v_cndmask_b32_e64 v5, v7, v21, s25
	v_cndmask_b32_e64 v4, v6, v30, s25
.LBB1122_817:                           ;   in Loop: Header=BB1122_820 Depth=1
	s_or_b32 exec_lo, exec_lo, s23
	s_delay_alu instid0(VALU_DEP_1)
	v_dual_mov_b32 v7, v5 :: v_dual_mov_b32 v6, v4
.LBB1122_818:                           ;   in Loop: Header=BB1122_820 Depth=1
	s_or_b32 exec_lo, exec_lo, s22
	v_cndmask_b32_e64 v1, v3, v1, s3
	v_cndmask_b32_e64 v0, v2, v0, s3
	;; [unrolled: 1-line block ×6, first 2 shown]
.LBB1122_819:                           ;   in Loop: Header=BB1122_820 Depth=1
	s_or_b32 exec_lo, exec_lo, s19
	s_cmp_lt_u32 s16, s18
	s_barrier
	buffer_gl0_inv
	s_cbranch_scc0 .LBB1122_873
.LBB1122_820:                           ; =>This Loop Header: Depth=1
                                        ;     Child Loop BB1122_824 Depth 2
                                        ;       Child Loop BB1122_827 Depth 3
                                        ;     Child Loop BB1122_840 Depth 2
                                        ;     Child Loop BB1122_849 Depth 2
	;; [unrolled: 1-line block ×4, first 2 shown]
	s_mov_b32 s3, s16
	s_lshl_b32 s16, s16, 1
	ds_store_b128 v19, v[0:3]
	ds_store_b128 v19, v[4:7] offset:16
	s_sub_i32 s4, 0, s16
	s_waitcnt lgkmcnt(0)
	v_and_b32_e32 v26, s4, v23
	s_barrier
	buffer_gl0_inv
	v_add_nc_u32_e32 v8, s3, v26
	v_lshlrev_b32_e32 v25, 3, v26
	s_delay_alu instid0(VALU_DEP_2) | instskip(NEXT) | instid1(VALU_DEP_1)
	v_min_u32_e32 v20, s18, v8
	v_add_nc_u32_e32 v8, s3, v20
	s_add_i32 s3, s16, -1
	s_delay_alu instid0(SALU_CYCLE_1) | instskip(SKIP_1) | instid1(VALU_DEP_2)
	v_and_b32_e32 v9, s3, v23
	s_mov_b32 s3, exec_lo
	v_min_u32_e32 v21, s18, v8
	v_sub_nc_u32_e32 v8, v20, v26
	s_delay_alu instid0(VALU_DEP_3) | instskip(NEXT) | instid1(VALU_DEP_3)
	v_min_u32_e32 v27, s18, v9
	v_sub_nc_u32_e32 v9, v21, v20
	s_delay_alu instid0(VALU_DEP_2) | instskip(NEXT) | instid1(VALU_DEP_2)
	v_min_u32_e32 v28, v27, v8
	v_sub_nc_u32_e64 v24, v27, v9 clamp
	s_delay_alu instid0(VALU_DEP_1)
	v_cmpx_lt_u32_e64 v24, v28
	s_cbranch_execz .LBB1122_832
; %bb.821:                              ;   in Loop: Header=BB1122_820 Depth=1
	v_lshlrev_b32_e32 v8, 3, v27
	s_mov_b32 s19, 0
	s_delay_alu instid0(VALU_DEP_1)
	v_lshl_add_u32 v29, v20, 3, v8
	s_branch .LBB1122_824
.LBB1122_822:                           ;   in Loop: Header=BB1122_824 Depth=2
	s_set_inst_prefetch_distance 0x2
	s_or_b32 exec_lo, exec_lo, s21
.LBB1122_823:                           ;   in Loop: Header=BB1122_824 Depth=2
	s_delay_alu instid0(VALU_DEP_1) | instskip(SKIP_1) | instid1(VALU_DEP_2)
	v_add_nc_u32_e32 v8, 1, v30
	v_cndmask_b32_e64 v28, v28, v30, s20
	v_cndmask_b32_e64 v24, v8, v24, s20
	s_delay_alu instid0(VALU_DEP_1) | instskip(SKIP_1) | instid1(SALU_CYCLE_1)
	v_cmp_ge_u32_e32 vcc_lo, v24, v28
	s_or_b32 s19, vcc_lo, s19
	s_and_not1_b32 exec_lo, exec_lo, s19
	s_cbranch_execz .LBB1122_831
.LBB1122_824:                           ;   Parent Loop BB1122_820 Depth=1
                                        ; =>  This Loop Header: Depth=2
                                        ;       Child Loop BB1122_827 Depth 3
	v_add_nc_u32_e32 v8, v28, v24
	v_cmp_ne_u32_e32 vcc_lo, 1, v18
	s_mov_b32 s20, 0
	s_delay_alu instid0(VALU_DEP_2)
	v_lshrrev_b32_e32 v30, 1, v8
	s_cbranch_vccnz .LBB1122_823
; %bb.825:                              ;   in Loop: Header=BB1122_824 Depth=2
	s_delay_alu instid0(VALU_DEP_1) | instskip(SKIP_3) | instid1(VALU_DEP_2)
	v_not_b32_e32 v8, v30
	v_lshl_add_u32 v9, v30, 3, v25
	s_mov_b32 s21, 0
	s_mov_b64 s[4:5], s[8:9]
                                        ; implicit-def: $sgpr20
                                        ; implicit-def: $sgpr22
                                        ; implicit-def: $sgpr23
	v_lshl_add_u32 v8, v8, 3, v29
	ds_load_b64 v[10:11], v8
	ds_load_b64 v[31:32], v9
	s_waitcnt lgkmcnt(1)
	v_mul_lo_u32 v33, s12, v11
	v_mul_lo_u32 v34, s13, v10
	v_mad_u64_u32 v[8:9], null, s12, v10, s[10:11]
	s_waitcnt lgkmcnt(0)
	v_mul_lo_u32 v32, s12, v32
	v_mul_lo_u32 v35, s13, v31
	v_mad_u64_u32 v[10:11], null, s12, v31, s[10:11]
	s_delay_alu instid0(VALU_DEP_4) | instskip(NEXT) | instid1(VALU_DEP_2)
	v_add3_u32 v9, v34, v9, v33
	v_add3_u32 v11, v35, v11, v32
	s_set_inst_prefetch_distance 0x1
	s_branch .LBB1122_827
	.p2align	6
.LBB1122_826:                           ;   in Loop: Header=BB1122_827 Depth=3
	s_or_b32 exec_lo, exec_lo, s26
	s_delay_alu instid0(SALU_CYCLE_1) | instskip(NEXT) | instid1(SALU_CYCLE_1)
	s_and_b32 s24, exec_lo, s25
	s_or_b32 s21, s24, s21
	s_and_not1_b32 s20, s20, exec_lo
	s_and_b32 s24, s22, exec_lo
	s_delay_alu instid0(SALU_CYCLE_1)
	s_or_b32 s20, s20, s24
	s_and_not1_b32 exec_lo, exec_lo, s21
	s_cbranch_execz .LBB1122_822
.LBB1122_827:                           ;   Parent Loop BB1122_820 Depth=1
                                        ;     Parent Loop BB1122_824 Depth=2
                                        ; =>    This Inner Loop Header: Depth=3
	global_load_u16 v31, v[8:9], off
	global_load_u16 v32, v[10:11], off
	s_mov_b32 s25, -1
	s_mov_b32 s27, 0
	s_mov_b32 s24, -1
	s_mov_b32 s26, exec_lo
	s_waitcnt vmcnt(1)
	v_lshlrev_b32_e32 v31, 16, v31
	s_waitcnt vmcnt(0)
	v_lshlrev_b32_e32 v32, 16, v32
	s_delay_alu instid0(VALU_DEP_1)
	v_cmpx_nlt_f32_e32 v31, v32
; %bb.828:                              ;   in Loop: Header=BB1122_827 Depth=3
	v_cmp_ngt_f32_e32 vcc_lo, v31, v32
	s_and_b32 s23, vcc_lo, s23
	s_and_b32 s27, vcc_lo, exec_lo
	s_or_not1_b32 s24, s23, exec_lo
; %bb.829:                              ;   in Loop: Header=BB1122_827 Depth=3
	s_or_b32 exec_lo, exec_lo, s26
	s_delay_alu instid0(SALU_CYCLE_1) | instskip(SKIP_1) | instid1(SALU_CYCLE_1)
	s_and_not1_b32 s22, s22, exec_lo
	s_and_b32 s23, s24, exec_lo
	s_or_b32 s22, s22, s23
                                        ; implicit-def: $sgpr23
	s_and_saveexec_b32 s26, s27
	s_cbranch_execz .LBB1122_826
; %bb.830:                              ;   in Loop: Header=BB1122_827 Depth=3
	v_add_co_u32 v8, vcc_lo, v8, 2
	s_add_u32 s4, s4, -1
	s_addc_u32 s5, s5, -1
	v_add_co_ci_u32_e32 v9, vcc_lo, 0, v9, vcc_lo
	v_add_co_u32 v10, vcc_lo, v10, 2
	s_cmp_eq_u64 s[4:5], 0
	v_add_co_ci_u32_e32 v11, vcc_lo, 0, v11, vcc_lo
	s_cselect_b32 s25, -1, 0
	s_and_not1_b32 s22, s22, exec_lo
	s_and_b32 s23, s24, exec_lo
	s_or_not1_b32 s25, s25, exec_lo
	s_branch .LBB1122_826
.LBB1122_831:                           ;   in Loop: Header=BB1122_820 Depth=1
	s_or_b32 exec_lo, exec_lo, s19
.LBB1122_832:                           ;   in Loop: Header=BB1122_820 Depth=1
	s_delay_alu instid0(SALU_CYCLE_1) | instskip(SKIP_2) | instid1(VALU_DEP_2)
	s_or_b32 exec_lo, exec_lo, s3
	v_sub_nc_u32_e32 v9, v27, v24
	v_add_nc_u32_e32 v8, v24, v26
	v_add_nc_u32_e32 v9, v9, v20
	s_delay_alu instid0(VALU_DEP_2) | instskip(NEXT) | instid1(VALU_DEP_2)
	v_cmp_le_u32_e32 vcc_lo, v8, v20
	v_cmp_le_u32_e64 s3, v9, v21
	s_delay_alu instid0(VALU_DEP_1) | instskip(NEXT) | instid1(SALU_CYCLE_1)
	s_or_b32 s3, vcc_lo, s3
	s_and_saveexec_b32 s19, s3
	s_cbranch_execz .LBB1122_819
; %bb.833:                              ;   in Loop: Header=BB1122_820 Depth=1
	v_cmp_ge_u32_e32 vcc_lo, v8, v20
	s_mov_b32 s4, exec_lo
                                        ; implicit-def: $vgpr0_vgpr1
	v_cmpx_lt_u32_e64 v8, v20
	s_cbranch_execz .LBB1122_835
; %bb.834:                              ;   in Loop: Header=BB1122_820 Depth=1
	v_lshl_add_u32 v0, v24, 3, v25
	ds_load_b64 v[0:1], v0
.LBB1122_835:                           ;   in Loop: Header=BB1122_820 Depth=1
	s_or_b32 exec_lo, exec_lo, s4
	v_cmp_ge_u32_e64 s3, v9, v21
	s_mov_b32 s5, exec_lo
                                        ; implicit-def: $vgpr2_vgpr3
	v_cmpx_lt_u32_e64 v9, v21
	s_cbranch_execz .LBB1122_837
; %bb.836:                              ;   in Loop: Header=BB1122_820 Depth=1
	v_lshlrev_b32_e32 v2, 3, v9
	ds_load_b64 v[2:3], v2
.LBB1122_837:                           ;   in Loop: Header=BB1122_820 Depth=1
	s_or_b32 exec_lo, exec_lo, s5
	s_or_b32 s4, vcc_lo, s3
	s_xor_b32 s5, vcc_lo, -1
	s_or_b32 s4, s4, s14
	s_or_b32 s3, s3, s5
	s_xor_b32 s4, s4, -1
	s_delay_alu instid0(SALU_CYCLE_1)
	s_and_saveexec_b32 s20, s4
	s_cbranch_execz .LBB1122_845
; %bb.838:                              ;   in Loop: Header=BB1122_820 Depth=1
	s_waitcnt lgkmcnt(0)
	v_mad_u64_u32 v[4:5], null, s12, v2, s[10:11]
	v_mul_lo_u32 v10, s12, v3
	v_mul_lo_u32 v11, s13, v2
	v_mad_u64_u32 v[6:7], null, s12, v0, s[10:11]
	v_mul_lo_u32 v24, s12, v1
	v_mul_lo_u32 v25, s13, v0
	s_mov_b32 s21, 0
	s_mov_b64 s[4:5], s[8:9]
                                        ; implicit-def: $sgpr22
                                        ; implicit-def: $sgpr23
                                        ; implicit-def: $sgpr24
	s_delay_alu instid0(VALU_DEP_4) | instskip(NEXT) | instid1(VALU_DEP_2)
	v_add3_u32 v5, v11, v5, v10
	v_add3_u32 v7, v25, v7, v24
	s_set_inst_prefetch_distance 0x1
	s_branch .LBB1122_840
	.p2align	6
.LBB1122_839:                           ;   in Loop: Header=BB1122_840 Depth=2
	s_or_b32 exec_lo, exec_lo, s27
	s_delay_alu instid0(SALU_CYCLE_1) | instskip(NEXT) | instid1(SALU_CYCLE_1)
	s_and_b32 s25, exec_lo, s25
	s_or_b32 s21, s25, s21
	s_and_not1_b32 s22, s22, exec_lo
	s_and_b32 s25, s23, exec_lo
	s_delay_alu instid0(SALU_CYCLE_1)
	s_or_b32 s22, s22, s25
	s_and_not1_b32 exec_lo, exec_lo, s21
	s_cbranch_execz .LBB1122_844
.LBB1122_840:                           ;   Parent Loop BB1122_820 Depth=1
                                        ; =>  This Inner Loop Header: Depth=2
	global_load_u16 v10, v[4:5], off
	global_load_u16 v11, v[6:7], off
	s_mov_b32 s25, -1
	s_mov_b32 s28, 0
	s_mov_b32 s26, -1
	s_mov_b32 s27, exec_lo
	s_waitcnt vmcnt(1)
	v_lshlrev_b32_e32 v10, 16, v10
	s_waitcnt vmcnt(0)
	v_lshlrev_b32_e32 v11, 16, v11
	s_delay_alu instid0(VALU_DEP_1)
	v_cmpx_nlt_f32_e32 v10, v11
; %bb.841:                              ;   in Loop: Header=BB1122_840 Depth=2
	v_cmp_ngt_f32_e32 vcc_lo, v10, v11
	s_and_b32 s24, vcc_lo, s24
	s_and_b32 s28, vcc_lo, exec_lo
	s_or_not1_b32 s26, s24, exec_lo
; %bb.842:                              ;   in Loop: Header=BB1122_840 Depth=2
	s_or_b32 exec_lo, exec_lo, s27
	s_delay_alu instid0(SALU_CYCLE_1) | instskip(SKIP_1) | instid1(SALU_CYCLE_1)
	s_and_not1_b32 s23, s23, exec_lo
	s_and_b32 s24, s26, exec_lo
	s_or_b32 s23, s23, s24
                                        ; implicit-def: $sgpr24
	s_and_saveexec_b32 s27, s28
	s_cbranch_execz .LBB1122_839
; %bb.843:                              ;   in Loop: Header=BB1122_840 Depth=2
	v_add_co_u32 v4, vcc_lo, v4, 2
	s_add_u32 s4, s4, -1
	s_addc_u32 s5, s5, -1
	v_add_co_ci_u32_e32 v5, vcc_lo, 0, v5, vcc_lo
	v_add_co_u32 v6, vcc_lo, v6, 2
	s_cmp_eq_u64 s[4:5], 0
	v_add_co_ci_u32_e32 v7, vcc_lo, 0, v7, vcc_lo
	s_cselect_b32 s25, -1, 0
	s_and_b32 s24, s26, exec_lo
	s_and_not1_b32 s23, s23, exec_lo
	s_or_not1_b32 s25, s25, exec_lo
	s_branch .LBB1122_839
.LBB1122_844:                           ;   in Loop: Header=BB1122_820 Depth=1
	s_set_inst_prefetch_distance 0x2
	s_or_b32 exec_lo, exec_lo, s21
	s_xor_b32 s4, s22, -1
	s_and_not1_b32 s3, s3, exec_lo
	s_and_b32 s4, s4, exec_lo
	s_delay_alu instid0(SALU_CYCLE_1)
	s_or_b32 s3, s3, s4
.LBB1122_845:                           ;   in Loop: Header=BB1122_820 Depth=1
	s_or_b32 exec_lo, exec_lo, s20
	v_cndmask_b32_e64 v4, v9, v8, s3
	v_cndmask_b32_e64 v5, v21, v20, s3
	s_mov_b32 s20, -1
	s_mov_b32 s21, -1
	s_mov_b32 s22, exec_lo
	v_add_nc_u32_e32 v6, 1, v4
	v_add_nc_u32_e32 v4, -1, v5
	s_delay_alu instid0(VALU_DEP_2) | instskip(NEXT) | instid1(VALU_DEP_2)
	v_cndmask_b32_e64 v9, v6, v9, s3
	v_min_u32_e32 v4, v6, v4
	v_cndmask_b32_e64 v8, v8, v6, s3
	s_delay_alu instid0(VALU_DEP_2)
	v_lshlrev_b32_e32 v4, 3, v4
	ds_load_b64 v[4:5], v4
	s_waitcnt lgkmcnt(0)
	v_cndmask_b32_e64 v10, v5, v3, s3
	v_cndmask_b32_e64 v11, v4, v2, s3
	;; [unrolled: 1-line block ×4, first 2 shown]
	v_cmpx_lt_u32_e64 v9, v21
	s_cbranch_execz .LBB1122_855
; %bb.846:                              ;   in Loop: Header=BB1122_820 Depth=1
	v_cmp_lt_u32_e64 s21, v8, v20
	s_delay_alu instid0(VALU_DEP_1) | instskip(NEXT) | instid1(SALU_CYCLE_1)
	s_and_b32 s4, s21, s15
	s_and_saveexec_b32 s23, s4
	s_cbranch_execz .LBB1122_854
; %bb.847:                              ;   in Loop: Header=BB1122_820 Depth=1
	v_mad_u64_u32 v[4:5], null, s12, v11, s[10:11]
	v_mul_lo_u32 v26, s12, v10
	v_mul_lo_u32 v27, s13, v11
	v_mad_u64_u32 v[6:7], null, s12, v25, s[10:11]
	v_mul_lo_u32 v28, s12, v24
	v_mul_lo_u32 v29, s13, v25
	s_mov_b32 s24, 0
	s_mov_b64 s[4:5], s[8:9]
                                        ; implicit-def: $sgpr25
                                        ; implicit-def: $sgpr26
                                        ; implicit-def: $sgpr27
	s_delay_alu instid0(VALU_DEP_4) | instskip(NEXT) | instid1(VALU_DEP_2)
	v_add3_u32 v5, v27, v5, v26
	v_add3_u32 v7, v29, v7, v28
	s_set_inst_prefetch_distance 0x1
	s_branch .LBB1122_849
	.p2align	6
.LBB1122_848:                           ;   in Loop: Header=BB1122_849 Depth=2
	s_or_b32 exec_lo, exec_lo, s30
	s_delay_alu instid0(SALU_CYCLE_1) | instskip(NEXT) | instid1(SALU_CYCLE_1)
	s_and_b32 s28, exec_lo, s28
	s_or_b32 s24, s28, s24
	s_and_not1_b32 s25, s25, exec_lo
	s_and_b32 s28, s26, exec_lo
	s_delay_alu instid0(SALU_CYCLE_1)
	s_or_b32 s25, s25, s28
	s_and_not1_b32 exec_lo, exec_lo, s24
	s_cbranch_execz .LBB1122_853
.LBB1122_849:                           ;   Parent Loop BB1122_820 Depth=1
                                        ; =>  This Inner Loop Header: Depth=2
	global_load_u16 v26, v[4:5], off
	global_load_u16 v27, v[6:7], off
	s_mov_b32 s28, -1
	s_mov_b32 s31, 0
	s_mov_b32 s29, -1
	s_mov_b32 s30, exec_lo
	s_waitcnt vmcnt(1)
	v_lshlrev_b32_e32 v26, 16, v26
	s_waitcnt vmcnt(0)
	v_lshlrev_b32_e32 v27, 16, v27
	s_delay_alu instid0(VALU_DEP_1)
	v_cmpx_nlt_f32_e32 v26, v27
; %bb.850:                              ;   in Loop: Header=BB1122_849 Depth=2
	v_cmp_ngt_f32_e32 vcc_lo, v26, v27
	s_and_b32 s27, vcc_lo, s27
	s_and_b32 s31, vcc_lo, exec_lo
	s_or_not1_b32 s29, s27, exec_lo
; %bb.851:                              ;   in Loop: Header=BB1122_849 Depth=2
	s_or_b32 exec_lo, exec_lo, s30
	s_delay_alu instid0(SALU_CYCLE_1) | instskip(SKIP_1) | instid1(SALU_CYCLE_1)
	s_and_not1_b32 s26, s26, exec_lo
	s_and_b32 s27, s29, exec_lo
	s_or_b32 s26, s26, s27
                                        ; implicit-def: $sgpr27
	s_and_saveexec_b32 s30, s31
	s_cbranch_execz .LBB1122_848
; %bb.852:                              ;   in Loop: Header=BB1122_849 Depth=2
	v_add_co_u32 v4, vcc_lo, v4, 2
	s_add_u32 s4, s4, -1
	s_addc_u32 s5, s5, -1
	v_add_co_ci_u32_e32 v5, vcc_lo, 0, v5, vcc_lo
	v_add_co_u32 v6, vcc_lo, v6, 2
	s_cmp_eq_u64 s[4:5], 0
	v_add_co_ci_u32_e32 v7, vcc_lo, 0, v7, vcc_lo
	s_cselect_b32 s28, -1, 0
	s_and_b32 s27, s29, exec_lo
	s_and_not1_b32 s26, s26, exec_lo
	s_or_not1_b32 s28, s28, exec_lo
	s_branch .LBB1122_848
.LBB1122_853:                           ;   in Loop: Header=BB1122_820 Depth=1
	s_set_inst_prefetch_distance 0x2
	s_or_b32 exec_lo, exec_lo, s24
	s_xor_b32 s4, s25, -1
	s_and_not1_b32 s5, s21, exec_lo
	s_and_b32 s4, s4, exec_lo
	s_delay_alu instid0(SALU_CYCLE_1)
	s_or_b32 s21, s5, s4
.LBB1122_854:                           ;   in Loop: Header=BB1122_820 Depth=1
	s_or_b32 exec_lo, exec_lo, s23
	s_delay_alu instid0(SALU_CYCLE_1)
	s_or_not1_b32 s21, s21, exec_lo
.LBB1122_855:                           ;   in Loop: Header=BB1122_820 Depth=1
	s_or_b32 exec_lo, exec_lo, s22
	v_cndmask_b32_e64 v4, v9, v8, s21
	v_cndmask_b32_e64 v5, v21, v20, s21
	s_mov_b32 s22, exec_lo
	s_delay_alu instid0(VALU_DEP_2) | instskip(NEXT) | instid1(VALU_DEP_2)
	v_add_nc_u32_e32 v6, 1, v4
	v_add_nc_u32_e32 v4, -1, v5
	s_delay_alu instid0(VALU_DEP_2) | instskip(NEXT) | instid1(VALU_DEP_2)
	v_cndmask_b32_e64 v9, v6, v9, s21
	v_min_u32_e32 v4, v6, v4
	v_cndmask_b32_e64 v8, v8, v6, s21
	s_delay_alu instid0(VALU_DEP_2)
	v_lshlrev_b32_e32 v4, 3, v4
	ds_load_b64 v[4:5], v4
	s_waitcnt lgkmcnt(0)
	v_cndmask_b32_e64 v26, v5, v10, s21
	v_cndmask_b32_e64 v27, v4, v11, s21
	;; [unrolled: 1-line block ×4, first 2 shown]
	v_cmpx_lt_u32_e64 v9, v21
	s_cbranch_execz .LBB1122_865
; %bb.856:                              ;   in Loop: Header=BB1122_820 Depth=1
	v_cmp_lt_u32_e64 s20, v8, v20
	s_delay_alu instid0(VALU_DEP_1) | instskip(NEXT) | instid1(SALU_CYCLE_1)
	s_and_b32 s4, s20, s15
	s_and_saveexec_b32 s23, s4
	s_cbranch_execz .LBB1122_864
; %bb.857:                              ;   in Loop: Header=BB1122_820 Depth=1
	v_mad_u64_u32 v[4:5], null, s12, v27, s[10:11]
	v_mul_lo_u32 v30, s12, v26
	v_mul_lo_u32 v31, s13, v27
	v_mad_u64_u32 v[6:7], null, s12, v29, s[10:11]
	v_mul_lo_u32 v32, s12, v28
	v_mul_lo_u32 v33, s13, v29
	s_mov_b32 s24, 0
	s_mov_b64 s[4:5], s[8:9]
                                        ; implicit-def: $sgpr25
                                        ; implicit-def: $sgpr26
                                        ; implicit-def: $sgpr27
	s_delay_alu instid0(VALU_DEP_4) | instskip(NEXT) | instid1(VALU_DEP_2)
	v_add3_u32 v5, v31, v5, v30
	v_add3_u32 v7, v33, v7, v32
	s_set_inst_prefetch_distance 0x1
	s_branch .LBB1122_859
	.p2align	6
.LBB1122_858:                           ;   in Loop: Header=BB1122_859 Depth=2
	s_or_b32 exec_lo, exec_lo, s30
	s_delay_alu instid0(SALU_CYCLE_1) | instskip(NEXT) | instid1(SALU_CYCLE_1)
	s_and_b32 s28, exec_lo, s28
	s_or_b32 s24, s28, s24
	s_and_not1_b32 s25, s25, exec_lo
	s_and_b32 s28, s26, exec_lo
	s_delay_alu instid0(SALU_CYCLE_1)
	s_or_b32 s25, s25, s28
	s_and_not1_b32 exec_lo, exec_lo, s24
	s_cbranch_execz .LBB1122_863
.LBB1122_859:                           ;   Parent Loop BB1122_820 Depth=1
                                        ; =>  This Inner Loop Header: Depth=2
	global_load_u16 v30, v[4:5], off
	global_load_u16 v31, v[6:7], off
	s_mov_b32 s28, -1
	s_mov_b32 s31, 0
	s_mov_b32 s29, -1
	s_mov_b32 s30, exec_lo
	s_waitcnt vmcnt(1)
	v_lshlrev_b32_e32 v30, 16, v30
	s_waitcnt vmcnt(0)
	v_lshlrev_b32_e32 v31, 16, v31
	s_delay_alu instid0(VALU_DEP_1)
	v_cmpx_nlt_f32_e32 v30, v31
; %bb.860:                              ;   in Loop: Header=BB1122_859 Depth=2
	v_cmp_ngt_f32_e32 vcc_lo, v30, v31
	s_and_b32 s27, vcc_lo, s27
	s_and_b32 s31, vcc_lo, exec_lo
	s_or_not1_b32 s29, s27, exec_lo
; %bb.861:                              ;   in Loop: Header=BB1122_859 Depth=2
	s_or_b32 exec_lo, exec_lo, s30
	s_delay_alu instid0(SALU_CYCLE_1) | instskip(SKIP_1) | instid1(SALU_CYCLE_1)
	s_and_not1_b32 s26, s26, exec_lo
	s_and_b32 s27, s29, exec_lo
	s_or_b32 s26, s26, s27
                                        ; implicit-def: $sgpr27
	s_and_saveexec_b32 s30, s31
	s_cbranch_execz .LBB1122_858
; %bb.862:                              ;   in Loop: Header=BB1122_859 Depth=2
	v_add_co_u32 v4, vcc_lo, v4, 2
	s_add_u32 s4, s4, -1
	s_addc_u32 s5, s5, -1
	v_add_co_ci_u32_e32 v5, vcc_lo, 0, v5, vcc_lo
	v_add_co_u32 v6, vcc_lo, v6, 2
	s_cmp_eq_u64 s[4:5], 0
	v_add_co_ci_u32_e32 v7, vcc_lo, 0, v7, vcc_lo
	s_cselect_b32 s28, -1, 0
	s_and_b32 s27, s29, exec_lo
	s_and_not1_b32 s26, s26, exec_lo
	s_or_not1_b32 s28, s28, exec_lo
	s_branch .LBB1122_858
.LBB1122_863:                           ;   in Loop: Header=BB1122_820 Depth=1
	s_set_inst_prefetch_distance 0x2
	s_or_b32 exec_lo, exec_lo, s24
	s_xor_b32 s4, s25, -1
	s_and_not1_b32 s5, s20, exec_lo
	s_and_b32 s4, s4, exec_lo
	s_delay_alu instid0(SALU_CYCLE_1)
	s_or_b32 s20, s5, s4
.LBB1122_864:                           ;   in Loop: Header=BB1122_820 Depth=1
	s_or_b32 exec_lo, exec_lo, s23
	s_delay_alu instid0(SALU_CYCLE_1)
	s_or_not1_b32 s20, s20, exec_lo
.LBB1122_865:                           ;   in Loop: Header=BB1122_820 Depth=1
	s_or_b32 exec_lo, exec_lo, s22
	v_cndmask_b32_e64 v4, v9, v8, s20
	v_cndmask_b32_e64 v5, v21, v20, s20
	s_mov_b32 s22, exec_lo
	s_delay_alu instid0(VALU_DEP_2) | instskip(NEXT) | instid1(VALU_DEP_2)
	v_add_nc_u32_e32 v30, 1, v4
	v_add_nc_u32_e32 v4, -1, v5
	s_delay_alu instid0(VALU_DEP_2) | instskip(NEXT) | instid1(VALU_DEP_2)
	v_cndmask_b32_e64 v9, v30, v9, s20
	v_min_u32_e32 v4, v30, v4
	s_delay_alu instid0(VALU_DEP_1)
	v_lshlrev_b32_e32 v4, 3, v4
	ds_load_b64 v[4:5], v4
	s_waitcnt lgkmcnt(0)
	v_cndmask_b32_e64 v7, v28, v5, s20
	v_cndmask_b32_e64 v6, v29, v4, s20
	v_cmpx_lt_u32_e64 v9, v21
	s_cbranch_execz .LBB1122_818
; %bb.866:                              ;   in Loop: Header=BB1122_820 Depth=1
	v_cndmask_b32_e64 v8, v8, v30, s20
	v_cndmask_b32_e64 v21, v5, v26, s20
	;; [unrolled: 1-line block ×3, first 2 shown]
	s_delay_alu instid0(VALU_DEP_3) | instskip(NEXT) | instid1(VALU_DEP_2)
	v_cmp_ge_u32_e32 vcc_lo, v8, v20
	v_dual_cndmask_b32 v5, v7, v21 :: v_dual_cndmask_b32 v4, v6, v30
	s_or_b32 s4, vcc_lo, s14
	s_delay_alu instid0(SALU_CYCLE_1) | instskip(NEXT) | instid1(SALU_CYCLE_1)
	s_xor_b32 s4, s4, -1
	s_and_saveexec_b32 s23, s4
	s_cbranch_execz .LBB1122_817
; %bb.867:                              ;   in Loop: Header=BB1122_820 Depth=1
	v_mad_u64_u32 v[4:5], null, s12, v30, s[10:11]
	v_mul_lo_u32 v20, s12, v21
	v_mul_lo_u32 v31, s13, v30
	v_mad_u64_u32 v[8:9], null, s12, v6, s[10:11]
	v_mul_lo_u32 v32, s12, v7
	v_mul_lo_u32 v33, s13, v6
	s_mov_b32 s24, 0
	s_mov_b64 s[4:5], s[8:9]
                                        ; implicit-def: $sgpr25
                                        ; implicit-def: $sgpr26
                                        ; implicit-def: $sgpr27
	s_delay_alu instid0(VALU_DEP_4) | instskip(NEXT) | instid1(VALU_DEP_2)
	v_add3_u32 v5, v31, v5, v20
	v_add3_u32 v9, v33, v9, v32
	s_set_inst_prefetch_distance 0x1
	s_branch .LBB1122_869
	.p2align	6
.LBB1122_868:                           ;   in Loop: Header=BB1122_869 Depth=2
	s_or_b32 exec_lo, exec_lo, s30
	s_delay_alu instid0(SALU_CYCLE_1) | instskip(NEXT) | instid1(SALU_CYCLE_1)
	s_and_b32 s28, exec_lo, s28
	s_or_b32 s24, s28, s24
	s_and_not1_b32 s25, s25, exec_lo
	s_and_b32 s28, s26, exec_lo
	s_delay_alu instid0(SALU_CYCLE_1)
	s_or_b32 s25, s25, s28
	s_and_not1_b32 exec_lo, exec_lo, s24
	s_cbranch_execz .LBB1122_816
.LBB1122_869:                           ;   Parent Loop BB1122_820 Depth=1
                                        ; =>  This Inner Loop Header: Depth=2
	global_load_u16 v20, v[4:5], off
	global_load_u16 v31, v[8:9], off
	s_mov_b32 s28, -1
	s_mov_b32 s31, 0
	s_mov_b32 s29, -1
	s_mov_b32 s30, exec_lo
	s_waitcnt vmcnt(1)
	v_lshlrev_b32_e32 v20, 16, v20
	s_waitcnt vmcnt(0)
	v_lshlrev_b32_e32 v31, 16, v31
	s_delay_alu instid0(VALU_DEP_1)
	v_cmpx_nlt_f32_e32 v20, v31
; %bb.870:                              ;   in Loop: Header=BB1122_869 Depth=2
	v_cmp_ngt_f32_e32 vcc_lo, v20, v31
	s_and_b32 s27, vcc_lo, s27
	s_and_b32 s31, vcc_lo, exec_lo
	s_or_not1_b32 s29, s27, exec_lo
; %bb.871:                              ;   in Loop: Header=BB1122_869 Depth=2
	s_or_b32 exec_lo, exec_lo, s30
	s_delay_alu instid0(SALU_CYCLE_1) | instskip(SKIP_1) | instid1(SALU_CYCLE_1)
	s_and_not1_b32 s26, s26, exec_lo
	s_and_b32 s27, s29, exec_lo
	s_or_b32 s26, s26, s27
                                        ; implicit-def: $sgpr27
	s_and_saveexec_b32 s30, s31
	s_cbranch_execz .LBB1122_868
; %bb.872:                              ;   in Loop: Header=BB1122_869 Depth=2
	v_add_co_u32 v4, vcc_lo, v4, 2
	s_add_u32 s4, s4, -1
	s_addc_u32 s5, s5, -1
	v_add_co_ci_u32_e32 v5, vcc_lo, 0, v5, vcc_lo
	v_add_co_u32 v8, vcc_lo, v8, 2
	s_cmp_eq_u64 s[4:5], 0
	v_add_co_ci_u32_e32 v9, vcc_lo, 0, v9, vcc_lo
	s_cselect_b32 s28, -1, 0
	s_and_b32 s27, s29, exec_lo
	s_and_not1_b32 s26, s26, exec_lo
	s_or_not1_b32 s28, s28, exec_lo
	s_branch .LBB1122_868
.LBB1122_873:
	s_barrier
	buffer_gl0_inv
	ds_store_2addr_b64 v17, v[0:1], v[2:3] offset1:1
	ds_store_2addr_b64 v17, v[4:5], v[6:7] offset0:2 offset1:3
	s_waitcnt lgkmcnt(0)
	s_barrier
	buffer_gl0_inv
	ds_load_b64 v[6:7], v13 offset:2048
	ds_load_b64 v[2:3], v15 offset:4096
	;; [unrolled: 1-line block ×3, first 2 shown]
	v_add_co_u32 v4, s3, s6, v22
	v_mov_b32_e32 v13, 0
	v_add_co_ci_u32_e64 v5, null, s7, 0, s3
	s_and_saveexec_b32 s3, s0
	s_cbranch_execnz .LBB1122_881
; %bb.874:
	s_or_b32 exec_lo, exec_lo, s3
	s_and_saveexec_b32 s0, s1
	s_cbranch_execnz .LBB1122_882
.LBB1122_875:
	s_or_b32 exec_lo, exec_lo, s0
	s_and_saveexec_b32 s0, s2
	s_cbranch_execz .LBB1122_877
.LBB1122_876:
	v_add_co_u32 v4, vcc_lo, 0x1000, v4
	v_add_co_ci_u32_e32 v5, vcc_lo, 0, v5, vcc_lo
	s_waitcnt lgkmcnt(1)
	global_store_b64 v[4:5], v[2:3], off
.LBB1122_877:
	s_or_b32 exec_lo, exec_lo, s0
.LBB1122_878:
	s_and_saveexec_b32 s0, s17
	s_cbranch_execz .LBB1122_880
; %bb.879:
	s_waitcnt lgkmcnt(1)
	v_lshlrev_b64 v[2:3], 3, v[12:13]
	s_delay_alu instid0(VALU_DEP_1) | instskip(NEXT) | instid1(VALU_DEP_2)
	v_add_co_u32 v2, vcc_lo, s6, v2
	v_add_co_ci_u32_e32 v3, vcc_lo, s7, v3, vcc_lo
	s_delay_alu instid0(VALU_DEP_2) | instskip(NEXT) | instid1(VALU_DEP_2)
	v_add_co_u32 v2, vcc_lo, 0x1000, v2
	v_add_co_ci_u32_e32 v3, vcc_lo, 0, v3, vcc_lo
	s_waitcnt lgkmcnt(0)
	global_store_b64 v[2:3], v[0:1], off offset:2048
.LBB1122_880:
	s_nop 0
	s_sendmsg sendmsg(MSG_DEALLOC_VGPRS)
	s_endpgm
.LBB1122_881:
	ds_load_b64 v[8:9], v14
	s_waitcnt lgkmcnt(0)
	global_store_b64 v[4:5], v[8:9], off
	s_or_b32 exec_lo, exec_lo, s3
	s_and_saveexec_b32 s0, s1
	s_cbranch_execz .LBB1122_875
.LBB1122_882:
	s_waitcnt lgkmcnt(2)
	global_store_b64 v[4:5], v[6:7], off offset:2048
	s_or_b32 exec_lo, exec_lo, s0
	s_and_saveexec_b32 s0, s2
	s_cbranch_execnz .LBB1122_876
	s_branch .LBB1122_877
	.section	.rodata,"a",@progbits
	.p2align	6, 0x0
	.amdhsa_kernel _ZN7rocprim17ROCPRIM_400000_NS6detail17trampoline_kernelINS0_14default_configENS1_37merge_sort_block_sort_config_selectorIlNS0_10empty_typeEEEZNS1_21merge_sort_block_sortIS3_PlS8_PS5_S9_ZN2at6native12_GLOBAL__N_124unique_dim_cuda_templateIN3c108BFloat16EEESt5tupleIJNSA_6TensorESH_SH_EERKSH_lbbbEUlllE_EE10hipError_tT0_T1_T2_T3_mRjT4_P12ihipStream_tbNS1_7vsmem_tEEUlT_E_NS1_11comp_targetILNS1_3genE9ELNS1_11target_archE1100ELNS1_3gpuE3ELNS1_3repE0EEENS1_30default_config_static_selectorELNS0_4arch9wavefront6targetE0EEEvSO_
		.amdhsa_group_segment_fixed_size 8448
		.amdhsa_private_segment_fixed_size 0
		.amdhsa_kernarg_size 328
		.amdhsa_user_sgpr_count 13
		.amdhsa_user_sgpr_dispatch_ptr 0
		.amdhsa_user_sgpr_queue_ptr 0
		.amdhsa_user_sgpr_kernarg_segment_ptr 1
		.amdhsa_user_sgpr_dispatch_id 0
		.amdhsa_user_sgpr_private_segment_size 0
		.amdhsa_wavefront_size32 1
		.amdhsa_uses_dynamic_stack 0
		.amdhsa_enable_private_segment 0
		.amdhsa_system_sgpr_workgroup_id_x 1
		.amdhsa_system_sgpr_workgroup_id_y 1
		.amdhsa_system_sgpr_workgroup_id_z 1
		.amdhsa_system_sgpr_workgroup_info 0
		.amdhsa_system_vgpr_workitem_id 2
		.amdhsa_next_free_vgpr 47
		.amdhsa_next_free_sgpr 32
		.amdhsa_reserve_vcc 1
		.amdhsa_float_round_mode_32 0
		.amdhsa_float_round_mode_16_64 0
		.amdhsa_float_denorm_mode_32 3
		.amdhsa_float_denorm_mode_16_64 3
		.amdhsa_dx10_clamp 1
		.amdhsa_ieee_mode 1
		.amdhsa_fp16_overflow 0
		.amdhsa_workgroup_processor_mode 1
		.amdhsa_memory_ordered 1
		.amdhsa_forward_progress 0
		.amdhsa_shared_vgpr_count 0
		.amdhsa_exception_fp_ieee_invalid_op 0
		.amdhsa_exception_fp_denorm_src 0
		.amdhsa_exception_fp_ieee_div_zero 0
		.amdhsa_exception_fp_ieee_overflow 0
		.amdhsa_exception_fp_ieee_underflow 0
		.amdhsa_exception_fp_ieee_inexact 0
		.amdhsa_exception_int_div_zero 0
	.end_amdhsa_kernel
	.section	.text._ZN7rocprim17ROCPRIM_400000_NS6detail17trampoline_kernelINS0_14default_configENS1_37merge_sort_block_sort_config_selectorIlNS0_10empty_typeEEEZNS1_21merge_sort_block_sortIS3_PlS8_PS5_S9_ZN2at6native12_GLOBAL__N_124unique_dim_cuda_templateIN3c108BFloat16EEESt5tupleIJNSA_6TensorESH_SH_EERKSH_lbbbEUlllE_EE10hipError_tT0_T1_T2_T3_mRjT4_P12ihipStream_tbNS1_7vsmem_tEEUlT_E_NS1_11comp_targetILNS1_3genE9ELNS1_11target_archE1100ELNS1_3gpuE3ELNS1_3repE0EEENS1_30default_config_static_selectorELNS0_4arch9wavefront6targetE0EEEvSO_,"axG",@progbits,_ZN7rocprim17ROCPRIM_400000_NS6detail17trampoline_kernelINS0_14default_configENS1_37merge_sort_block_sort_config_selectorIlNS0_10empty_typeEEEZNS1_21merge_sort_block_sortIS3_PlS8_PS5_S9_ZN2at6native12_GLOBAL__N_124unique_dim_cuda_templateIN3c108BFloat16EEESt5tupleIJNSA_6TensorESH_SH_EERKSH_lbbbEUlllE_EE10hipError_tT0_T1_T2_T3_mRjT4_P12ihipStream_tbNS1_7vsmem_tEEUlT_E_NS1_11comp_targetILNS1_3genE9ELNS1_11target_archE1100ELNS1_3gpuE3ELNS1_3repE0EEENS1_30default_config_static_selectorELNS0_4arch9wavefront6targetE0EEEvSO_,comdat
.Lfunc_end1122:
	.size	_ZN7rocprim17ROCPRIM_400000_NS6detail17trampoline_kernelINS0_14default_configENS1_37merge_sort_block_sort_config_selectorIlNS0_10empty_typeEEEZNS1_21merge_sort_block_sortIS3_PlS8_PS5_S9_ZN2at6native12_GLOBAL__N_124unique_dim_cuda_templateIN3c108BFloat16EEESt5tupleIJNSA_6TensorESH_SH_EERKSH_lbbbEUlllE_EE10hipError_tT0_T1_T2_T3_mRjT4_P12ihipStream_tbNS1_7vsmem_tEEUlT_E_NS1_11comp_targetILNS1_3genE9ELNS1_11target_archE1100ELNS1_3gpuE3ELNS1_3repE0EEENS1_30default_config_static_selectorELNS0_4arch9wavefront6targetE0EEEvSO_, .Lfunc_end1122-_ZN7rocprim17ROCPRIM_400000_NS6detail17trampoline_kernelINS0_14default_configENS1_37merge_sort_block_sort_config_selectorIlNS0_10empty_typeEEEZNS1_21merge_sort_block_sortIS3_PlS8_PS5_S9_ZN2at6native12_GLOBAL__N_124unique_dim_cuda_templateIN3c108BFloat16EEESt5tupleIJNSA_6TensorESH_SH_EERKSH_lbbbEUlllE_EE10hipError_tT0_T1_T2_T3_mRjT4_P12ihipStream_tbNS1_7vsmem_tEEUlT_E_NS1_11comp_targetILNS1_3genE9ELNS1_11target_archE1100ELNS1_3gpuE3ELNS1_3repE0EEENS1_30default_config_static_selectorELNS0_4arch9wavefront6targetE0EEEvSO_
                                        ; -- End function
	.section	.AMDGPU.csdata,"",@progbits
; Kernel info:
; codeLenInByte = 42404
; NumSgprs: 34
; NumVgprs: 47
; ScratchSize: 0
; MemoryBound: 0
; FloatMode: 240
; IeeeMode: 1
; LDSByteSize: 8448 bytes/workgroup (compile time only)
; SGPRBlocks: 4
; VGPRBlocks: 5
; NumSGPRsForWavesPerEU: 34
; NumVGPRsForWavesPerEU: 47
; Occupancy: 16
; WaveLimiterHint : 1
; COMPUTE_PGM_RSRC2:SCRATCH_EN: 0
; COMPUTE_PGM_RSRC2:USER_SGPR: 13
; COMPUTE_PGM_RSRC2:TRAP_HANDLER: 0
; COMPUTE_PGM_RSRC2:TGID_X_EN: 1
; COMPUTE_PGM_RSRC2:TGID_Y_EN: 1
; COMPUTE_PGM_RSRC2:TGID_Z_EN: 1
; COMPUTE_PGM_RSRC2:TIDIG_COMP_CNT: 2
	.section	.text._ZN7rocprim17ROCPRIM_400000_NS6detail17trampoline_kernelINS0_14default_configENS1_37merge_sort_block_sort_config_selectorIlNS0_10empty_typeEEEZNS1_21merge_sort_block_sortIS3_PlS8_PS5_S9_ZN2at6native12_GLOBAL__N_124unique_dim_cuda_templateIN3c108BFloat16EEESt5tupleIJNSA_6TensorESH_SH_EERKSH_lbbbEUlllE_EE10hipError_tT0_T1_T2_T3_mRjT4_P12ihipStream_tbNS1_7vsmem_tEEUlT_E_NS1_11comp_targetILNS1_3genE8ELNS1_11target_archE1030ELNS1_3gpuE2ELNS1_3repE0EEENS1_30default_config_static_selectorELNS0_4arch9wavefront6targetE0EEEvSO_,"axG",@progbits,_ZN7rocprim17ROCPRIM_400000_NS6detail17trampoline_kernelINS0_14default_configENS1_37merge_sort_block_sort_config_selectorIlNS0_10empty_typeEEEZNS1_21merge_sort_block_sortIS3_PlS8_PS5_S9_ZN2at6native12_GLOBAL__N_124unique_dim_cuda_templateIN3c108BFloat16EEESt5tupleIJNSA_6TensorESH_SH_EERKSH_lbbbEUlllE_EE10hipError_tT0_T1_T2_T3_mRjT4_P12ihipStream_tbNS1_7vsmem_tEEUlT_E_NS1_11comp_targetILNS1_3genE8ELNS1_11target_archE1030ELNS1_3gpuE2ELNS1_3repE0EEENS1_30default_config_static_selectorELNS0_4arch9wavefront6targetE0EEEvSO_,comdat
	.globl	_ZN7rocprim17ROCPRIM_400000_NS6detail17trampoline_kernelINS0_14default_configENS1_37merge_sort_block_sort_config_selectorIlNS0_10empty_typeEEEZNS1_21merge_sort_block_sortIS3_PlS8_PS5_S9_ZN2at6native12_GLOBAL__N_124unique_dim_cuda_templateIN3c108BFloat16EEESt5tupleIJNSA_6TensorESH_SH_EERKSH_lbbbEUlllE_EE10hipError_tT0_T1_T2_T3_mRjT4_P12ihipStream_tbNS1_7vsmem_tEEUlT_E_NS1_11comp_targetILNS1_3genE8ELNS1_11target_archE1030ELNS1_3gpuE2ELNS1_3repE0EEENS1_30default_config_static_selectorELNS0_4arch9wavefront6targetE0EEEvSO_ ; -- Begin function _ZN7rocprim17ROCPRIM_400000_NS6detail17trampoline_kernelINS0_14default_configENS1_37merge_sort_block_sort_config_selectorIlNS0_10empty_typeEEEZNS1_21merge_sort_block_sortIS3_PlS8_PS5_S9_ZN2at6native12_GLOBAL__N_124unique_dim_cuda_templateIN3c108BFloat16EEESt5tupleIJNSA_6TensorESH_SH_EERKSH_lbbbEUlllE_EE10hipError_tT0_T1_T2_T3_mRjT4_P12ihipStream_tbNS1_7vsmem_tEEUlT_E_NS1_11comp_targetILNS1_3genE8ELNS1_11target_archE1030ELNS1_3gpuE2ELNS1_3repE0EEENS1_30default_config_static_selectorELNS0_4arch9wavefront6targetE0EEEvSO_
	.p2align	8
	.type	_ZN7rocprim17ROCPRIM_400000_NS6detail17trampoline_kernelINS0_14default_configENS1_37merge_sort_block_sort_config_selectorIlNS0_10empty_typeEEEZNS1_21merge_sort_block_sortIS3_PlS8_PS5_S9_ZN2at6native12_GLOBAL__N_124unique_dim_cuda_templateIN3c108BFloat16EEESt5tupleIJNSA_6TensorESH_SH_EERKSH_lbbbEUlllE_EE10hipError_tT0_T1_T2_T3_mRjT4_P12ihipStream_tbNS1_7vsmem_tEEUlT_E_NS1_11comp_targetILNS1_3genE8ELNS1_11target_archE1030ELNS1_3gpuE2ELNS1_3repE0EEENS1_30default_config_static_selectorELNS0_4arch9wavefront6targetE0EEEvSO_,@function
_ZN7rocprim17ROCPRIM_400000_NS6detail17trampoline_kernelINS0_14default_configENS1_37merge_sort_block_sort_config_selectorIlNS0_10empty_typeEEEZNS1_21merge_sort_block_sortIS3_PlS8_PS5_S9_ZN2at6native12_GLOBAL__N_124unique_dim_cuda_templateIN3c108BFloat16EEESt5tupleIJNSA_6TensorESH_SH_EERKSH_lbbbEUlllE_EE10hipError_tT0_T1_T2_T3_mRjT4_P12ihipStream_tbNS1_7vsmem_tEEUlT_E_NS1_11comp_targetILNS1_3genE8ELNS1_11target_archE1030ELNS1_3gpuE2ELNS1_3repE0EEENS1_30default_config_static_selectorELNS0_4arch9wavefront6targetE0EEEvSO_: ; @_ZN7rocprim17ROCPRIM_400000_NS6detail17trampoline_kernelINS0_14default_configENS1_37merge_sort_block_sort_config_selectorIlNS0_10empty_typeEEEZNS1_21merge_sort_block_sortIS3_PlS8_PS5_S9_ZN2at6native12_GLOBAL__N_124unique_dim_cuda_templateIN3c108BFloat16EEESt5tupleIJNSA_6TensorESH_SH_EERKSH_lbbbEUlllE_EE10hipError_tT0_T1_T2_T3_mRjT4_P12ihipStream_tbNS1_7vsmem_tEEUlT_E_NS1_11comp_targetILNS1_3genE8ELNS1_11target_archE1030ELNS1_3gpuE2ELNS1_3repE0EEENS1_30default_config_static_selectorELNS0_4arch9wavefront6targetE0EEEvSO_
; %bb.0:
	.section	.rodata,"a",@progbits
	.p2align	6, 0x0
	.amdhsa_kernel _ZN7rocprim17ROCPRIM_400000_NS6detail17trampoline_kernelINS0_14default_configENS1_37merge_sort_block_sort_config_selectorIlNS0_10empty_typeEEEZNS1_21merge_sort_block_sortIS3_PlS8_PS5_S9_ZN2at6native12_GLOBAL__N_124unique_dim_cuda_templateIN3c108BFloat16EEESt5tupleIJNSA_6TensorESH_SH_EERKSH_lbbbEUlllE_EE10hipError_tT0_T1_T2_T3_mRjT4_P12ihipStream_tbNS1_7vsmem_tEEUlT_E_NS1_11comp_targetILNS1_3genE8ELNS1_11target_archE1030ELNS1_3gpuE2ELNS1_3repE0EEENS1_30default_config_static_selectorELNS0_4arch9wavefront6targetE0EEEvSO_
		.amdhsa_group_segment_fixed_size 0
		.amdhsa_private_segment_fixed_size 0
		.amdhsa_kernarg_size 72
		.amdhsa_user_sgpr_count 15
		.amdhsa_user_sgpr_dispatch_ptr 0
		.amdhsa_user_sgpr_queue_ptr 0
		.amdhsa_user_sgpr_kernarg_segment_ptr 1
		.amdhsa_user_sgpr_dispatch_id 0
		.amdhsa_user_sgpr_private_segment_size 0
		.amdhsa_wavefront_size32 1
		.amdhsa_uses_dynamic_stack 0
		.amdhsa_enable_private_segment 0
		.amdhsa_system_sgpr_workgroup_id_x 1
		.amdhsa_system_sgpr_workgroup_id_y 0
		.amdhsa_system_sgpr_workgroup_id_z 0
		.amdhsa_system_sgpr_workgroup_info 0
		.amdhsa_system_vgpr_workitem_id 0
		.amdhsa_next_free_vgpr 1
		.amdhsa_next_free_sgpr 1
		.amdhsa_reserve_vcc 0
		.amdhsa_float_round_mode_32 0
		.amdhsa_float_round_mode_16_64 0
		.amdhsa_float_denorm_mode_32 3
		.amdhsa_float_denorm_mode_16_64 3
		.amdhsa_dx10_clamp 1
		.amdhsa_ieee_mode 1
		.amdhsa_fp16_overflow 0
		.amdhsa_workgroup_processor_mode 1
		.amdhsa_memory_ordered 1
		.amdhsa_forward_progress 0
		.amdhsa_shared_vgpr_count 0
		.amdhsa_exception_fp_ieee_invalid_op 0
		.amdhsa_exception_fp_denorm_src 0
		.amdhsa_exception_fp_ieee_div_zero 0
		.amdhsa_exception_fp_ieee_overflow 0
		.amdhsa_exception_fp_ieee_underflow 0
		.amdhsa_exception_fp_ieee_inexact 0
		.amdhsa_exception_int_div_zero 0
	.end_amdhsa_kernel
	.section	.text._ZN7rocprim17ROCPRIM_400000_NS6detail17trampoline_kernelINS0_14default_configENS1_37merge_sort_block_sort_config_selectorIlNS0_10empty_typeEEEZNS1_21merge_sort_block_sortIS3_PlS8_PS5_S9_ZN2at6native12_GLOBAL__N_124unique_dim_cuda_templateIN3c108BFloat16EEESt5tupleIJNSA_6TensorESH_SH_EERKSH_lbbbEUlllE_EE10hipError_tT0_T1_T2_T3_mRjT4_P12ihipStream_tbNS1_7vsmem_tEEUlT_E_NS1_11comp_targetILNS1_3genE8ELNS1_11target_archE1030ELNS1_3gpuE2ELNS1_3repE0EEENS1_30default_config_static_selectorELNS0_4arch9wavefront6targetE0EEEvSO_,"axG",@progbits,_ZN7rocprim17ROCPRIM_400000_NS6detail17trampoline_kernelINS0_14default_configENS1_37merge_sort_block_sort_config_selectorIlNS0_10empty_typeEEEZNS1_21merge_sort_block_sortIS3_PlS8_PS5_S9_ZN2at6native12_GLOBAL__N_124unique_dim_cuda_templateIN3c108BFloat16EEESt5tupleIJNSA_6TensorESH_SH_EERKSH_lbbbEUlllE_EE10hipError_tT0_T1_T2_T3_mRjT4_P12ihipStream_tbNS1_7vsmem_tEEUlT_E_NS1_11comp_targetILNS1_3genE8ELNS1_11target_archE1030ELNS1_3gpuE2ELNS1_3repE0EEENS1_30default_config_static_selectorELNS0_4arch9wavefront6targetE0EEEvSO_,comdat
.Lfunc_end1123:
	.size	_ZN7rocprim17ROCPRIM_400000_NS6detail17trampoline_kernelINS0_14default_configENS1_37merge_sort_block_sort_config_selectorIlNS0_10empty_typeEEEZNS1_21merge_sort_block_sortIS3_PlS8_PS5_S9_ZN2at6native12_GLOBAL__N_124unique_dim_cuda_templateIN3c108BFloat16EEESt5tupleIJNSA_6TensorESH_SH_EERKSH_lbbbEUlllE_EE10hipError_tT0_T1_T2_T3_mRjT4_P12ihipStream_tbNS1_7vsmem_tEEUlT_E_NS1_11comp_targetILNS1_3genE8ELNS1_11target_archE1030ELNS1_3gpuE2ELNS1_3repE0EEENS1_30default_config_static_selectorELNS0_4arch9wavefront6targetE0EEEvSO_, .Lfunc_end1123-_ZN7rocprim17ROCPRIM_400000_NS6detail17trampoline_kernelINS0_14default_configENS1_37merge_sort_block_sort_config_selectorIlNS0_10empty_typeEEEZNS1_21merge_sort_block_sortIS3_PlS8_PS5_S9_ZN2at6native12_GLOBAL__N_124unique_dim_cuda_templateIN3c108BFloat16EEESt5tupleIJNSA_6TensorESH_SH_EERKSH_lbbbEUlllE_EE10hipError_tT0_T1_T2_T3_mRjT4_P12ihipStream_tbNS1_7vsmem_tEEUlT_E_NS1_11comp_targetILNS1_3genE8ELNS1_11target_archE1030ELNS1_3gpuE2ELNS1_3repE0EEENS1_30default_config_static_selectorELNS0_4arch9wavefront6targetE0EEEvSO_
                                        ; -- End function
	.section	.AMDGPU.csdata,"",@progbits
; Kernel info:
; codeLenInByte = 0
; NumSgprs: 0
; NumVgprs: 0
; ScratchSize: 0
; MemoryBound: 0
; FloatMode: 240
; IeeeMode: 1
; LDSByteSize: 0 bytes/workgroup (compile time only)
; SGPRBlocks: 0
; VGPRBlocks: 0
; NumSGPRsForWavesPerEU: 1
; NumVGPRsForWavesPerEU: 1
; Occupancy: 16
; WaveLimiterHint : 0
; COMPUTE_PGM_RSRC2:SCRATCH_EN: 0
; COMPUTE_PGM_RSRC2:USER_SGPR: 15
; COMPUTE_PGM_RSRC2:TRAP_HANDLER: 0
; COMPUTE_PGM_RSRC2:TGID_X_EN: 1
; COMPUTE_PGM_RSRC2:TGID_Y_EN: 0
; COMPUTE_PGM_RSRC2:TGID_Z_EN: 0
; COMPUTE_PGM_RSRC2:TIDIG_COMP_CNT: 0
	.section	.text._ZN7rocprim17ROCPRIM_400000_NS6detail17trampoline_kernelINS0_14default_configENS1_38merge_sort_block_merge_config_selectorIlNS0_10empty_typeEEEZZNS1_27merge_sort_block_merge_implIS3_PlPS5_mZN2at6native12_GLOBAL__N_124unique_dim_cuda_templateIN3c108BFloat16EEESt5tupleIJNSA_6TensorESH_SH_EERKSH_lbbbEUlllE_EE10hipError_tT0_T1_T2_jT3_P12ihipStream_tbPNSt15iterator_traitsISN_E10value_typeEPNST_ISO_E10value_typeEPSP_NS1_7vsmem_tEENKUlT_SN_SO_SP_E_clIS8_S8_S9_S9_EESM_S12_SN_SO_SP_EUlS12_E_NS1_11comp_targetILNS1_3genE0ELNS1_11target_archE4294967295ELNS1_3gpuE0ELNS1_3repE0EEENS1_48merge_mergepath_partition_config_static_selectorELNS0_4arch9wavefront6targetE0EEEvSO_,"axG",@progbits,_ZN7rocprim17ROCPRIM_400000_NS6detail17trampoline_kernelINS0_14default_configENS1_38merge_sort_block_merge_config_selectorIlNS0_10empty_typeEEEZZNS1_27merge_sort_block_merge_implIS3_PlPS5_mZN2at6native12_GLOBAL__N_124unique_dim_cuda_templateIN3c108BFloat16EEESt5tupleIJNSA_6TensorESH_SH_EERKSH_lbbbEUlllE_EE10hipError_tT0_T1_T2_jT3_P12ihipStream_tbPNSt15iterator_traitsISN_E10value_typeEPNST_ISO_E10value_typeEPSP_NS1_7vsmem_tEENKUlT_SN_SO_SP_E_clIS8_S8_S9_S9_EESM_S12_SN_SO_SP_EUlS12_E_NS1_11comp_targetILNS1_3genE0ELNS1_11target_archE4294967295ELNS1_3gpuE0ELNS1_3repE0EEENS1_48merge_mergepath_partition_config_static_selectorELNS0_4arch9wavefront6targetE0EEEvSO_,comdat
	.globl	_ZN7rocprim17ROCPRIM_400000_NS6detail17trampoline_kernelINS0_14default_configENS1_38merge_sort_block_merge_config_selectorIlNS0_10empty_typeEEEZZNS1_27merge_sort_block_merge_implIS3_PlPS5_mZN2at6native12_GLOBAL__N_124unique_dim_cuda_templateIN3c108BFloat16EEESt5tupleIJNSA_6TensorESH_SH_EERKSH_lbbbEUlllE_EE10hipError_tT0_T1_T2_jT3_P12ihipStream_tbPNSt15iterator_traitsISN_E10value_typeEPNST_ISO_E10value_typeEPSP_NS1_7vsmem_tEENKUlT_SN_SO_SP_E_clIS8_S8_S9_S9_EESM_S12_SN_SO_SP_EUlS12_E_NS1_11comp_targetILNS1_3genE0ELNS1_11target_archE4294967295ELNS1_3gpuE0ELNS1_3repE0EEENS1_48merge_mergepath_partition_config_static_selectorELNS0_4arch9wavefront6targetE0EEEvSO_ ; -- Begin function _ZN7rocprim17ROCPRIM_400000_NS6detail17trampoline_kernelINS0_14default_configENS1_38merge_sort_block_merge_config_selectorIlNS0_10empty_typeEEEZZNS1_27merge_sort_block_merge_implIS3_PlPS5_mZN2at6native12_GLOBAL__N_124unique_dim_cuda_templateIN3c108BFloat16EEESt5tupleIJNSA_6TensorESH_SH_EERKSH_lbbbEUlllE_EE10hipError_tT0_T1_T2_jT3_P12ihipStream_tbPNSt15iterator_traitsISN_E10value_typeEPNST_ISO_E10value_typeEPSP_NS1_7vsmem_tEENKUlT_SN_SO_SP_E_clIS8_S8_S9_S9_EESM_S12_SN_SO_SP_EUlS12_E_NS1_11comp_targetILNS1_3genE0ELNS1_11target_archE4294967295ELNS1_3gpuE0ELNS1_3repE0EEENS1_48merge_mergepath_partition_config_static_selectorELNS0_4arch9wavefront6targetE0EEEvSO_
	.p2align	8
	.type	_ZN7rocprim17ROCPRIM_400000_NS6detail17trampoline_kernelINS0_14default_configENS1_38merge_sort_block_merge_config_selectorIlNS0_10empty_typeEEEZZNS1_27merge_sort_block_merge_implIS3_PlPS5_mZN2at6native12_GLOBAL__N_124unique_dim_cuda_templateIN3c108BFloat16EEESt5tupleIJNSA_6TensorESH_SH_EERKSH_lbbbEUlllE_EE10hipError_tT0_T1_T2_jT3_P12ihipStream_tbPNSt15iterator_traitsISN_E10value_typeEPNST_ISO_E10value_typeEPSP_NS1_7vsmem_tEENKUlT_SN_SO_SP_E_clIS8_S8_S9_S9_EESM_S12_SN_SO_SP_EUlS12_E_NS1_11comp_targetILNS1_3genE0ELNS1_11target_archE4294967295ELNS1_3gpuE0ELNS1_3repE0EEENS1_48merge_mergepath_partition_config_static_selectorELNS0_4arch9wavefront6targetE0EEEvSO_,@function
_ZN7rocprim17ROCPRIM_400000_NS6detail17trampoline_kernelINS0_14default_configENS1_38merge_sort_block_merge_config_selectorIlNS0_10empty_typeEEEZZNS1_27merge_sort_block_merge_implIS3_PlPS5_mZN2at6native12_GLOBAL__N_124unique_dim_cuda_templateIN3c108BFloat16EEESt5tupleIJNSA_6TensorESH_SH_EERKSH_lbbbEUlllE_EE10hipError_tT0_T1_T2_jT3_P12ihipStream_tbPNSt15iterator_traitsISN_E10value_typeEPNST_ISO_E10value_typeEPSP_NS1_7vsmem_tEENKUlT_SN_SO_SP_E_clIS8_S8_S9_S9_EESM_S12_SN_SO_SP_EUlS12_E_NS1_11comp_targetILNS1_3genE0ELNS1_11target_archE4294967295ELNS1_3gpuE0ELNS1_3repE0EEENS1_48merge_mergepath_partition_config_static_selectorELNS0_4arch9wavefront6targetE0EEEvSO_: ; @_ZN7rocprim17ROCPRIM_400000_NS6detail17trampoline_kernelINS0_14default_configENS1_38merge_sort_block_merge_config_selectorIlNS0_10empty_typeEEEZZNS1_27merge_sort_block_merge_implIS3_PlPS5_mZN2at6native12_GLOBAL__N_124unique_dim_cuda_templateIN3c108BFloat16EEESt5tupleIJNSA_6TensorESH_SH_EERKSH_lbbbEUlllE_EE10hipError_tT0_T1_T2_jT3_P12ihipStream_tbPNSt15iterator_traitsISN_E10value_typeEPNST_ISO_E10value_typeEPSP_NS1_7vsmem_tEENKUlT_SN_SO_SP_E_clIS8_S8_S9_S9_EESM_S12_SN_SO_SP_EUlS12_E_NS1_11comp_targetILNS1_3genE0ELNS1_11target_archE4294967295ELNS1_3gpuE0ELNS1_3repE0EEENS1_48merge_mergepath_partition_config_static_selectorELNS0_4arch9wavefront6targetE0EEEvSO_
; %bb.0:
	.section	.rodata,"a",@progbits
	.p2align	6, 0x0
	.amdhsa_kernel _ZN7rocprim17ROCPRIM_400000_NS6detail17trampoline_kernelINS0_14default_configENS1_38merge_sort_block_merge_config_selectorIlNS0_10empty_typeEEEZZNS1_27merge_sort_block_merge_implIS3_PlPS5_mZN2at6native12_GLOBAL__N_124unique_dim_cuda_templateIN3c108BFloat16EEESt5tupleIJNSA_6TensorESH_SH_EERKSH_lbbbEUlllE_EE10hipError_tT0_T1_T2_jT3_P12ihipStream_tbPNSt15iterator_traitsISN_E10value_typeEPNST_ISO_E10value_typeEPSP_NS1_7vsmem_tEENKUlT_SN_SO_SP_E_clIS8_S8_S9_S9_EESM_S12_SN_SO_SP_EUlS12_E_NS1_11comp_targetILNS1_3genE0ELNS1_11target_archE4294967295ELNS1_3gpuE0ELNS1_3repE0EEENS1_48merge_mergepath_partition_config_static_selectorELNS0_4arch9wavefront6targetE0EEEvSO_
		.amdhsa_group_segment_fixed_size 0
		.amdhsa_private_segment_fixed_size 0
		.amdhsa_kernarg_size 56
		.amdhsa_user_sgpr_count 15
		.amdhsa_user_sgpr_dispatch_ptr 0
		.amdhsa_user_sgpr_queue_ptr 0
		.amdhsa_user_sgpr_kernarg_segment_ptr 1
		.amdhsa_user_sgpr_dispatch_id 0
		.amdhsa_user_sgpr_private_segment_size 0
		.amdhsa_wavefront_size32 1
		.amdhsa_uses_dynamic_stack 0
		.amdhsa_enable_private_segment 0
		.amdhsa_system_sgpr_workgroup_id_x 1
		.amdhsa_system_sgpr_workgroup_id_y 0
		.amdhsa_system_sgpr_workgroup_id_z 0
		.amdhsa_system_sgpr_workgroup_info 0
		.amdhsa_system_vgpr_workitem_id 0
		.amdhsa_next_free_vgpr 1
		.amdhsa_next_free_sgpr 1
		.amdhsa_reserve_vcc 0
		.amdhsa_float_round_mode_32 0
		.amdhsa_float_round_mode_16_64 0
		.amdhsa_float_denorm_mode_32 3
		.amdhsa_float_denorm_mode_16_64 3
		.amdhsa_dx10_clamp 1
		.amdhsa_ieee_mode 1
		.amdhsa_fp16_overflow 0
		.amdhsa_workgroup_processor_mode 1
		.amdhsa_memory_ordered 1
		.amdhsa_forward_progress 0
		.amdhsa_shared_vgpr_count 0
		.amdhsa_exception_fp_ieee_invalid_op 0
		.amdhsa_exception_fp_denorm_src 0
		.amdhsa_exception_fp_ieee_div_zero 0
		.amdhsa_exception_fp_ieee_overflow 0
		.amdhsa_exception_fp_ieee_underflow 0
		.amdhsa_exception_fp_ieee_inexact 0
		.amdhsa_exception_int_div_zero 0
	.end_amdhsa_kernel
	.section	.text._ZN7rocprim17ROCPRIM_400000_NS6detail17trampoline_kernelINS0_14default_configENS1_38merge_sort_block_merge_config_selectorIlNS0_10empty_typeEEEZZNS1_27merge_sort_block_merge_implIS3_PlPS5_mZN2at6native12_GLOBAL__N_124unique_dim_cuda_templateIN3c108BFloat16EEESt5tupleIJNSA_6TensorESH_SH_EERKSH_lbbbEUlllE_EE10hipError_tT0_T1_T2_jT3_P12ihipStream_tbPNSt15iterator_traitsISN_E10value_typeEPNST_ISO_E10value_typeEPSP_NS1_7vsmem_tEENKUlT_SN_SO_SP_E_clIS8_S8_S9_S9_EESM_S12_SN_SO_SP_EUlS12_E_NS1_11comp_targetILNS1_3genE0ELNS1_11target_archE4294967295ELNS1_3gpuE0ELNS1_3repE0EEENS1_48merge_mergepath_partition_config_static_selectorELNS0_4arch9wavefront6targetE0EEEvSO_,"axG",@progbits,_ZN7rocprim17ROCPRIM_400000_NS6detail17trampoline_kernelINS0_14default_configENS1_38merge_sort_block_merge_config_selectorIlNS0_10empty_typeEEEZZNS1_27merge_sort_block_merge_implIS3_PlPS5_mZN2at6native12_GLOBAL__N_124unique_dim_cuda_templateIN3c108BFloat16EEESt5tupleIJNSA_6TensorESH_SH_EERKSH_lbbbEUlllE_EE10hipError_tT0_T1_T2_jT3_P12ihipStream_tbPNSt15iterator_traitsISN_E10value_typeEPNST_ISO_E10value_typeEPSP_NS1_7vsmem_tEENKUlT_SN_SO_SP_E_clIS8_S8_S9_S9_EESM_S12_SN_SO_SP_EUlS12_E_NS1_11comp_targetILNS1_3genE0ELNS1_11target_archE4294967295ELNS1_3gpuE0ELNS1_3repE0EEENS1_48merge_mergepath_partition_config_static_selectorELNS0_4arch9wavefront6targetE0EEEvSO_,comdat
.Lfunc_end1124:
	.size	_ZN7rocprim17ROCPRIM_400000_NS6detail17trampoline_kernelINS0_14default_configENS1_38merge_sort_block_merge_config_selectorIlNS0_10empty_typeEEEZZNS1_27merge_sort_block_merge_implIS3_PlPS5_mZN2at6native12_GLOBAL__N_124unique_dim_cuda_templateIN3c108BFloat16EEESt5tupleIJNSA_6TensorESH_SH_EERKSH_lbbbEUlllE_EE10hipError_tT0_T1_T2_jT3_P12ihipStream_tbPNSt15iterator_traitsISN_E10value_typeEPNST_ISO_E10value_typeEPSP_NS1_7vsmem_tEENKUlT_SN_SO_SP_E_clIS8_S8_S9_S9_EESM_S12_SN_SO_SP_EUlS12_E_NS1_11comp_targetILNS1_3genE0ELNS1_11target_archE4294967295ELNS1_3gpuE0ELNS1_3repE0EEENS1_48merge_mergepath_partition_config_static_selectorELNS0_4arch9wavefront6targetE0EEEvSO_, .Lfunc_end1124-_ZN7rocprim17ROCPRIM_400000_NS6detail17trampoline_kernelINS0_14default_configENS1_38merge_sort_block_merge_config_selectorIlNS0_10empty_typeEEEZZNS1_27merge_sort_block_merge_implIS3_PlPS5_mZN2at6native12_GLOBAL__N_124unique_dim_cuda_templateIN3c108BFloat16EEESt5tupleIJNSA_6TensorESH_SH_EERKSH_lbbbEUlllE_EE10hipError_tT0_T1_T2_jT3_P12ihipStream_tbPNSt15iterator_traitsISN_E10value_typeEPNST_ISO_E10value_typeEPSP_NS1_7vsmem_tEENKUlT_SN_SO_SP_E_clIS8_S8_S9_S9_EESM_S12_SN_SO_SP_EUlS12_E_NS1_11comp_targetILNS1_3genE0ELNS1_11target_archE4294967295ELNS1_3gpuE0ELNS1_3repE0EEENS1_48merge_mergepath_partition_config_static_selectorELNS0_4arch9wavefront6targetE0EEEvSO_
                                        ; -- End function
	.section	.AMDGPU.csdata,"",@progbits
; Kernel info:
; codeLenInByte = 0
; NumSgprs: 0
; NumVgprs: 0
; ScratchSize: 0
; MemoryBound: 0
; FloatMode: 240
; IeeeMode: 1
; LDSByteSize: 0 bytes/workgroup (compile time only)
; SGPRBlocks: 0
; VGPRBlocks: 0
; NumSGPRsForWavesPerEU: 1
; NumVGPRsForWavesPerEU: 1
; Occupancy: 16
; WaveLimiterHint : 0
; COMPUTE_PGM_RSRC2:SCRATCH_EN: 0
; COMPUTE_PGM_RSRC2:USER_SGPR: 15
; COMPUTE_PGM_RSRC2:TRAP_HANDLER: 0
; COMPUTE_PGM_RSRC2:TGID_X_EN: 1
; COMPUTE_PGM_RSRC2:TGID_Y_EN: 0
; COMPUTE_PGM_RSRC2:TGID_Z_EN: 0
; COMPUTE_PGM_RSRC2:TIDIG_COMP_CNT: 0
	.section	.text._ZN7rocprim17ROCPRIM_400000_NS6detail17trampoline_kernelINS0_14default_configENS1_38merge_sort_block_merge_config_selectorIlNS0_10empty_typeEEEZZNS1_27merge_sort_block_merge_implIS3_PlPS5_mZN2at6native12_GLOBAL__N_124unique_dim_cuda_templateIN3c108BFloat16EEESt5tupleIJNSA_6TensorESH_SH_EERKSH_lbbbEUlllE_EE10hipError_tT0_T1_T2_jT3_P12ihipStream_tbPNSt15iterator_traitsISN_E10value_typeEPNST_ISO_E10value_typeEPSP_NS1_7vsmem_tEENKUlT_SN_SO_SP_E_clIS8_S8_S9_S9_EESM_S12_SN_SO_SP_EUlS12_E_NS1_11comp_targetILNS1_3genE10ELNS1_11target_archE1201ELNS1_3gpuE5ELNS1_3repE0EEENS1_48merge_mergepath_partition_config_static_selectorELNS0_4arch9wavefront6targetE0EEEvSO_,"axG",@progbits,_ZN7rocprim17ROCPRIM_400000_NS6detail17trampoline_kernelINS0_14default_configENS1_38merge_sort_block_merge_config_selectorIlNS0_10empty_typeEEEZZNS1_27merge_sort_block_merge_implIS3_PlPS5_mZN2at6native12_GLOBAL__N_124unique_dim_cuda_templateIN3c108BFloat16EEESt5tupleIJNSA_6TensorESH_SH_EERKSH_lbbbEUlllE_EE10hipError_tT0_T1_T2_jT3_P12ihipStream_tbPNSt15iterator_traitsISN_E10value_typeEPNST_ISO_E10value_typeEPSP_NS1_7vsmem_tEENKUlT_SN_SO_SP_E_clIS8_S8_S9_S9_EESM_S12_SN_SO_SP_EUlS12_E_NS1_11comp_targetILNS1_3genE10ELNS1_11target_archE1201ELNS1_3gpuE5ELNS1_3repE0EEENS1_48merge_mergepath_partition_config_static_selectorELNS0_4arch9wavefront6targetE0EEEvSO_,comdat
	.globl	_ZN7rocprim17ROCPRIM_400000_NS6detail17trampoline_kernelINS0_14default_configENS1_38merge_sort_block_merge_config_selectorIlNS0_10empty_typeEEEZZNS1_27merge_sort_block_merge_implIS3_PlPS5_mZN2at6native12_GLOBAL__N_124unique_dim_cuda_templateIN3c108BFloat16EEESt5tupleIJNSA_6TensorESH_SH_EERKSH_lbbbEUlllE_EE10hipError_tT0_T1_T2_jT3_P12ihipStream_tbPNSt15iterator_traitsISN_E10value_typeEPNST_ISO_E10value_typeEPSP_NS1_7vsmem_tEENKUlT_SN_SO_SP_E_clIS8_S8_S9_S9_EESM_S12_SN_SO_SP_EUlS12_E_NS1_11comp_targetILNS1_3genE10ELNS1_11target_archE1201ELNS1_3gpuE5ELNS1_3repE0EEENS1_48merge_mergepath_partition_config_static_selectorELNS0_4arch9wavefront6targetE0EEEvSO_ ; -- Begin function _ZN7rocprim17ROCPRIM_400000_NS6detail17trampoline_kernelINS0_14default_configENS1_38merge_sort_block_merge_config_selectorIlNS0_10empty_typeEEEZZNS1_27merge_sort_block_merge_implIS3_PlPS5_mZN2at6native12_GLOBAL__N_124unique_dim_cuda_templateIN3c108BFloat16EEESt5tupleIJNSA_6TensorESH_SH_EERKSH_lbbbEUlllE_EE10hipError_tT0_T1_T2_jT3_P12ihipStream_tbPNSt15iterator_traitsISN_E10value_typeEPNST_ISO_E10value_typeEPSP_NS1_7vsmem_tEENKUlT_SN_SO_SP_E_clIS8_S8_S9_S9_EESM_S12_SN_SO_SP_EUlS12_E_NS1_11comp_targetILNS1_3genE10ELNS1_11target_archE1201ELNS1_3gpuE5ELNS1_3repE0EEENS1_48merge_mergepath_partition_config_static_selectorELNS0_4arch9wavefront6targetE0EEEvSO_
	.p2align	8
	.type	_ZN7rocprim17ROCPRIM_400000_NS6detail17trampoline_kernelINS0_14default_configENS1_38merge_sort_block_merge_config_selectorIlNS0_10empty_typeEEEZZNS1_27merge_sort_block_merge_implIS3_PlPS5_mZN2at6native12_GLOBAL__N_124unique_dim_cuda_templateIN3c108BFloat16EEESt5tupleIJNSA_6TensorESH_SH_EERKSH_lbbbEUlllE_EE10hipError_tT0_T1_T2_jT3_P12ihipStream_tbPNSt15iterator_traitsISN_E10value_typeEPNST_ISO_E10value_typeEPSP_NS1_7vsmem_tEENKUlT_SN_SO_SP_E_clIS8_S8_S9_S9_EESM_S12_SN_SO_SP_EUlS12_E_NS1_11comp_targetILNS1_3genE10ELNS1_11target_archE1201ELNS1_3gpuE5ELNS1_3repE0EEENS1_48merge_mergepath_partition_config_static_selectorELNS0_4arch9wavefront6targetE0EEEvSO_,@function
_ZN7rocprim17ROCPRIM_400000_NS6detail17trampoline_kernelINS0_14default_configENS1_38merge_sort_block_merge_config_selectorIlNS0_10empty_typeEEEZZNS1_27merge_sort_block_merge_implIS3_PlPS5_mZN2at6native12_GLOBAL__N_124unique_dim_cuda_templateIN3c108BFloat16EEESt5tupleIJNSA_6TensorESH_SH_EERKSH_lbbbEUlllE_EE10hipError_tT0_T1_T2_jT3_P12ihipStream_tbPNSt15iterator_traitsISN_E10value_typeEPNST_ISO_E10value_typeEPSP_NS1_7vsmem_tEENKUlT_SN_SO_SP_E_clIS8_S8_S9_S9_EESM_S12_SN_SO_SP_EUlS12_E_NS1_11comp_targetILNS1_3genE10ELNS1_11target_archE1201ELNS1_3gpuE5ELNS1_3repE0EEENS1_48merge_mergepath_partition_config_static_selectorELNS0_4arch9wavefront6targetE0EEEvSO_: ; @_ZN7rocprim17ROCPRIM_400000_NS6detail17trampoline_kernelINS0_14default_configENS1_38merge_sort_block_merge_config_selectorIlNS0_10empty_typeEEEZZNS1_27merge_sort_block_merge_implIS3_PlPS5_mZN2at6native12_GLOBAL__N_124unique_dim_cuda_templateIN3c108BFloat16EEESt5tupleIJNSA_6TensorESH_SH_EERKSH_lbbbEUlllE_EE10hipError_tT0_T1_T2_jT3_P12ihipStream_tbPNSt15iterator_traitsISN_E10value_typeEPNST_ISO_E10value_typeEPSP_NS1_7vsmem_tEENKUlT_SN_SO_SP_E_clIS8_S8_S9_S9_EESM_S12_SN_SO_SP_EUlS12_E_NS1_11comp_targetILNS1_3genE10ELNS1_11target_archE1201ELNS1_3gpuE5ELNS1_3repE0EEENS1_48merge_mergepath_partition_config_static_selectorELNS0_4arch9wavefront6targetE0EEEvSO_
; %bb.0:
	.section	.rodata,"a",@progbits
	.p2align	6, 0x0
	.amdhsa_kernel _ZN7rocprim17ROCPRIM_400000_NS6detail17trampoline_kernelINS0_14default_configENS1_38merge_sort_block_merge_config_selectorIlNS0_10empty_typeEEEZZNS1_27merge_sort_block_merge_implIS3_PlPS5_mZN2at6native12_GLOBAL__N_124unique_dim_cuda_templateIN3c108BFloat16EEESt5tupleIJNSA_6TensorESH_SH_EERKSH_lbbbEUlllE_EE10hipError_tT0_T1_T2_jT3_P12ihipStream_tbPNSt15iterator_traitsISN_E10value_typeEPNST_ISO_E10value_typeEPSP_NS1_7vsmem_tEENKUlT_SN_SO_SP_E_clIS8_S8_S9_S9_EESM_S12_SN_SO_SP_EUlS12_E_NS1_11comp_targetILNS1_3genE10ELNS1_11target_archE1201ELNS1_3gpuE5ELNS1_3repE0EEENS1_48merge_mergepath_partition_config_static_selectorELNS0_4arch9wavefront6targetE0EEEvSO_
		.amdhsa_group_segment_fixed_size 0
		.amdhsa_private_segment_fixed_size 0
		.amdhsa_kernarg_size 56
		.amdhsa_user_sgpr_count 15
		.amdhsa_user_sgpr_dispatch_ptr 0
		.amdhsa_user_sgpr_queue_ptr 0
		.amdhsa_user_sgpr_kernarg_segment_ptr 1
		.amdhsa_user_sgpr_dispatch_id 0
		.amdhsa_user_sgpr_private_segment_size 0
		.amdhsa_wavefront_size32 1
		.amdhsa_uses_dynamic_stack 0
		.amdhsa_enable_private_segment 0
		.amdhsa_system_sgpr_workgroup_id_x 1
		.amdhsa_system_sgpr_workgroup_id_y 0
		.amdhsa_system_sgpr_workgroup_id_z 0
		.amdhsa_system_sgpr_workgroup_info 0
		.amdhsa_system_vgpr_workitem_id 0
		.amdhsa_next_free_vgpr 1
		.amdhsa_next_free_sgpr 1
		.amdhsa_reserve_vcc 0
		.amdhsa_float_round_mode_32 0
		.amdhsa_float_round_mode_16_64 0
		.amdhsa_float_denorm_mode_32 3
		.amdhsa_float_denorm_mode_16_64 3
		.amdhsa_dx10_clamp 1
		.amdhsa_ieee_mode 1
		.amdhsa_fp16_overflow 0
		.amdhsa_workgroup_processor_mode 1
		.amdhsa_memory_ordered 1
		.amdhsa_forward_progress 0
		.amdhsa_shared_vgpr_count 0
		.amdhsa_exception_fp_ieee_invalid_op 0
		.amdhsa_exception_fp_denorm_src 0
		.amdhsa_exception_fp_ieee_div_zero 0
		.amdhsa_exception_fp_ieee_overflow 0
		.amdhsa_exception_fp_ieee_underflow 0
		.amdhsa_exception_fp_ieee_inexact 0
		.amdhsa_exception_int_div_zero 0
	.end_amdhsa_kernel
	.section	.text._ZN7rocprim17ROCPRIM_400000_NS6detail17trampoline_kernelINS0_14default_configENS1_38merge_sort_block_merge_config_selectorIlNS0_10empty_typeEEEZZNS1_27merge_sort_block_merge_implIS3_PlPS5_mZN2at6native12_GLOBAL__N_124unique_dim_cuda_templateIN3c108BFloat16EEESt5tupleIJNSA_6TensorESH_SH_EERKSH_lbbbEUlllE_EE10hipError_tT0_T1_T2_jT3_P12ihipStream_tbPNSt15iterator_traitsISN_E10value_typeEPNST_ISO_E10value_typeEPSP_NS1_7vsmem_tEENKUlT_SN_SO_SP_E_clIS8_S8_S9_S9_EESM_S12_SN_SO_SP_EUlS12_E_NS1_11comp_targetILNS1_3genE10ELNS1_11target_archE1201ELNS1_3gpuE5ELNS1_3repE0EEENS1_48merge_mergepath_partition_config_static_selectorELNS0_4arch9wavefront6targetE0EEEvSO_,"axG",@progbits,_ZN7rocprim17ROCPRIM_400000_NS6detail17trampoline_kernelINS0_14default_configENS1_38merge_sort_block_merge_config_selectorIlNS0_10empty_typeEEEZZNS1_27merge_sort_block_merge_implIS3_PlPS5_mZN2at6native12_GLOBAL__N_124unique_dim_cuda_templateIN3c108BFloat16EEESt5tupleIJNSA_6TensorESH_SH_EERKSH_lbbbEUlllE_EE10hipError_tT0_T1_T2_jT3_P12ihipStream_tbPNSt15iterator_traitsISN_E10value_typeEPNST_ISO_E10value_typeEPSP_NS1_7vsmem_tEENKUlT_SN_SO_SP_E_clIS8_S8_S9_S9_EESM_S12_SN_SO_SP_EUlS12_E_NS1_11comp_targetILNS1_3genE10ELNS1_11target_archE1201ELNS1_3gpuE5ELNS1_3repE0EEENS1_48merge_mergepath_partition_config_static_selectorELNS0_4arch9wavefront6targetE0EEEvSO_,comdat
.Lfunc_end1125:
	.size	_ZN7rocprim17ROCPRIM_400000_NS6detail17trampoline_kernelINS0_14default_configENS1_38merge_sort_block_merge_config_selectorIlNS0_10empty_typeEEEZZNS1_27merge_sort_block_merge_implIS3_PlPS5_mZN2at6native12_GLOBAL__N_124unique_dim_cuda_templateIN3c108BFloat16EEESt5tupleIJNSA_6TensorESH_SH_EERKSH_lbbbEUlllE_EE10hipError_tT0_T1_T2_jT3_P12ihipStream_tbPNSt15iterator_traitsISN_E10value_typeEPNST_ISO_E10value_typeEPSP_NS1_7vsmem_tEENKUlT_SN_SO_SP_E_clIS8_S8_S9_S9_EESM_S12_SN_SO_SP_EUlS12_E_NS1_11comp_targetILNS1_3genE10ELNS1_11target_archE1201ELNS1_3gpuE5ELNS1_3repE0EEENS1_48merge_mergepath_partition_config_static_selectorELNS0_4arch9wavefront6targetE0EEEvSO_, .Lfunc_end1125-_ZN7rocprim17ROCPRIM_400000_NS6detail17trampoline_kernelINS0_14default_configENS1_38merge_sort_block_merge_config_selectorIlNS0_10empty_typeEEEZZNS1_27merge_sort_block_merge_implIS3_PlPS5_mZN2at6native12_GLOBAL__N_124unique_dim_cuda_templateIN3c108BFloat16EEESt5tupleIJNSA_6TensorESH_SH_EERKSH_lbbbEUlllE_EE10hipError_tT0_T1_T2_jT3_P12ihipStream_tbPNSt15iterator_traitsISN_E10value_typeEPNST_ISO_E10value_typeEPSP_NS1_7vsmem_tEENKUlT_SN_SO_SP_E_clIS8_S8_S9_S9_EESM_S12_SN_SO_SP_EUlS12_E_NS1_11comp_targetILNS1_3genE10ELNS1_11target_archE1201ELNS1_3gpuE5ELNS1_3repE0EEENS1_48merge_mergepath_partition_config_static_selectorELNS0_4arch9wavefront6targetE0EEEvSO_
                                        ; -- End function
	.section	.AMDGPU.csdata,"",@progbits
; Kernel info:
; codeLenInByte = 0
; NumSgprs: 0
; NumVgprs: 0
; ScratchSize: 0
; MemoryBound: 0
; FloatMode: 240
; IeeeMode: 1
; LDSByteSize: 0 bytes/workgroup (compile time only)
; SGPRBlocks: 0
; VGPRBlocks: 0
; NumSGPRsForWavesPerEU: 1
; NumVGPRsForWavesPerEU: 1
; Occupancy: 16
; WaveLimiterHint : 0
; COMPUTE_PGM_RSRC2:SCRATCH_EN: 0
; COMPUTE_PGM_RSRC2:USER_SGPR: 15
; COMPUTE_PGM_RSRC2:TRAP_HANDLER: 0
; COMPUTE_PGM_RSRC2:TGID_X_EN: 1
; COMPUTE_PGM_RSRC2:TGID_Y_EN: 0
; COMPUTE_PGM_RSRC2:TGID_Z_EN: 0
; COMPUTE_PGM_RSRC2:TIDIG_COMP_CNT: 0
	.section	.text._ZN7rocprim17ROCPRIM_400000_NS6detail17trampoline_kernelINS0_14default_configENS1_38merge_sort_block_merge_config_selectorIlNS0_10empty_typeEEEZZNS1_27merge_sort_block_merge_implIS3_PlPS5_mZN2at6native12_GLOBAL__N_124unique_dim_cuda_templateIN3c108BFloat16EEESt5tupleIJNSA_6TensorESH_SH_EERKSH_lbbbEUlllE_EE10hipError_tT0_T1_T2_jT3_P12ihipStream_tbPNSt15iterator_traitsISN_E10value_typeEPNST_ISO_E10value_typeEPSP_NS1_7vsmem_tEENKUlT_SN_SO_SP_E_clIS8_S8_S9_S9_EESM_S12_SN_SO_SP_EUlS12_E_NS1_11comp_targetILNS1_3genE5ELNS1_11target_archE942ELNS1_3gpuE9ELNS1_3repE0EEENS1_48merge_mergepath_partition_config_static_selectorELNS0_4arch9wavefront6targetE0EEEvSO_,"axG",@progbits,_ZN7rocprim17ROCPRIM_400000_NS6detail17trampoline_kernelINS0_14default_configENS1_38merge_sort_block_merge_config_selectorIlNS0_10empty_typeEEEZZNS1_27merge_sort_block_merge_implIS3_PlPS5_mZN2at6native12_GLOBAL__N_124unique_dim_cuda_templateIN3c108BFloat16EEESt5tupleIJNSA_6TensorESH_SH_EERKSH_lbbbEUlllE_EE10hipError_tT0_T1_T2_jT3_P12ihipStream_tbPNSt15iterator_traitsISN_E10value_typeEPNST_ISO_E10value_typeEPSP_NS1_7vsmem_tEENKUlT_SN_SO_SP_E_clIS8_S8_S9_S9_EESM_S12_SN_SO_SP_EUlS12_E_NS1_11comp_targetILNS1_3genE5ELNS1_11target_archE942ELNS1_3gpuE9ELNS1_3repE0EEENS1_48merge_mergepath_partition_config_static_selectorELNS0_4arch9wavefront6targetE0EEEvSO_,comdat
	.globl	_ZN7rocprim17ROCPRIM_400000_NS6detail17trampoline_kernelINS0_14default_configENS1_38merge_sort_block_merge_config_selectorIlNS0_10empty_typeEEEZZNS1_27merge_sort_block_merge_implIS3_PlPS5_mZN2at6native12_GLOBAL__N_124unique_dim_cuda_templateIN3c108BFloat16EEESt5tupleIJNSA_6TensorESH_SH_EERKSH_lbbbEUlllE_EE10hipError_tT0_T1_T2_jT3_P12ihipStream_tbPNSt15iterator_traitsISN_E10value_typeEPNST_ISO_E10value_typeEPSP_NS1_7vsmem_tEENKUlT_SN_SO_SP_E_clIS8_S8_S9_S9_EESM_S12_SN_SO_SP_EUlS12_E_NS1_11comp_targetILNS1_3genE5ELNS1_11target_archE942ELNS1_3gpuE9ELNS1_3repE0EEENS1_48merge_mergepath_partition_config_static_selectorELNS0_4arch9wavefront6targetE0EEEvSO_ ; -- Begin function _ZN7rocprim17ROCPRIM_400000_NS6detail17trampoline_kernelINS0_14default_configENS1_38merge_sort_block_merge_config_selectorIlNS0_10empty_typeEEEZZNS1_27merge_sort_block_merge_implIS3_PlPS5_mZN2at6native12_GLOBAL__N_124unique_dim_cuda_templateIN3c108BFloat16EEESt5tupleIJNSA_6TensorESH_SH_EERKSH_lbbbEUlllE_EE10hipError_tT0_T1_T2_jT3_P12ihipStream_tbPNSt15iterator_traitsISN_E10value_typeEPNST_ISO_E10value_typeEPSP_NS1_7vsmem_tEENKUlT_SN_SO_SP_E_clIS8_S8_S9_S9_EESM_S12_SN_SO_SP_EUlS12_E_NS1_11comp_targetILNS1_3genE5ELNS1_11target_archE942ELNS1_3gpuE9ELNS1_3repE0EEENS1_48merge_mergepath_partition_config_static_selectorELNS0_4arch9wavefront6targetE0EEEvSO_
	.p2align	8
	.type	_ZN7rocprim17ROCPRIM_400000_NS6detail17trampoline_kernelINS0_14default_configENS1_38merge_sort_block_merge_config_selectorIlNS0_10empty_typeEEEZZNS1_27merge_sort_block_merge_implIS3_PlPS5_mZN2at6native12_GLOBAL__N_124unique_dim_cuda_templateIN3c108BFloat16EEESt5tupleIJNSA_6TensorESH_SH_EERKSH_lbbbEUlllE_EE10hipError_tT0_T1_T2_jT3_P12ihipStream_tbPNSt15iterator_traitsISN_E10value_typeEPNST_ISO_E10value_typeEPSP_NS1_7vsmem_tEENKUlT_SN_SO_SP_E_clIS8_S8_S9_S9_EESM_S12_SN_SO_SP_EUlS12_E_NS1_11comp_targetILNS1_3genE5ELNS1_11target_archE942ELNS1_3gpuE9ELNS1_3repE0EEENS1_48merge_mergepath_partition_config_static_selectorELNS0_4arch9wavefront6targetE0EEEvSO_,@function
_ZN7rocprim17ROCPRIM_400000_NS6detail17trampoline_kernelINS0_14default_configENS1_38merge_sort_block_merge_config_selectorIlNS0_10empty_typeEEEZZNS1_27merge_sort_block_merge_implIS3_PlPS5_mZN2at6native12_GLOBAL__N_124unique_dim_cuda_templateIN3c108BFloat16EEESt5tupleIJNSA_6TensorESH_SH_EERKSH_lbbbEUlllE_EE10hipError_tT0_T1_T2_jT3_P12ihipStream_tbPNSt15iterator_traitsISN_E10value_typeEPNST_ISO_E10value_typeEPSP_NS1_7vsmem_tEENKUlT_SN_SO_SP_E_clIS8_S8_S9_S9_EESM_S12_SN_SO_SP_EUlS12_E_NS1_11comp_targetILNS1_3genE5ELNS1_11target_archE942ELNS1_3gpuE9ELNS1_3repE0EEENS1_48merge_mergepath_partition_config_static_selectorELNS0_4arch9wavefront6targetE0EEEvSO_: ; @_ZN7rocprim17ROCPRIM_400000_NS6detail17trampoline_kernelINS0_14default_configENS1_38merge_sort_block_merge_config_selectorIlNS0_10empty_typeEEEZZNS1_27merge_sort_block_merge_implIS3_PlPS5_mZN2at6native12_GLOBAL__N_124unique_dim_cuda_templateIN3c108BFloat16EEESt5tupleIJNSA_6TensorESH_SH_EERKSH_lbbbEUlllE_EE10hipError_tT0_T1_T2_jT3_P12ihipStream_tbPNSt15iterator_traitsISN_E10value_typeEPNST_ISO_E10value_typeEPSP_NS1_7vsmem_tEENKUlT_SN_SO_SP_E_clIS8_S8_S9_S9_EESM_S12_SN_SO_SP_EUlS12_E_NS1_11comp_targetILNS1_3genE5ELNS1_11target_archE942ELNS1_3gpuE9ELNS1_3repE0EEENS1_48merge_mergepath_partition_config_static_selectorELNS0_4arch9wavefront6targetE0EEEvSO_
; %bb.0:
	.section	.rodata,"a",@progbits
	.p2align	6, 0x0
	.amdhsa_kernel _ZN7rocprim17ROCPRIM_400000_NS6detail17trampoline_kernelINS0_14default_configENS1_38merge_sort_block_merge_config_selectorIlNS0_10empty_typeEEEZZNS1_27merge_sort_block_merge_implIS3_PlPS5_mZN2at6native12_GLOBAL__N_124unique_dim_cuda_templateIN3c108BFloat16EEESt5tupleIJNSA_6TensorESH_SH_EERKSH_lbbbEUlllE_EE10hipError_tT0_T1_T2_jT3_P12ihipStream_tbPNSt15iterator_traitsISN_E10value_typeEPNST_ISO_E10value_typeEPSP_NS1_7vsmem_tEENKUlT_SN_SO_SP_E_clIS8_S8_S9_S9_EESM_S12_SN_SO_SP_EUlS12_E_NS1_11comp_targetILNS1_3genE5ELNS1_11target_archE942ELNS1_3gpuE9ELNS1_3repE0EEENS1_48merge_mergepath_partition_config_static_selectorELNS0_4arch9wavefront6targetE0EEEvSO_
		.amdhsa_group_segment_fixed_size 0
		.amdhsa_private_segment_fixed_size 0
		.amdhsa_kernarg_size 56
		.amdhsa_user_sgpr_count 15
		.amdhsa_user_sgpr_dispatch_ptr 0
		.amdhsa_user_sgpr_queue_ptr 0
		.amdhsa_user_sgpr_kernarg_segment_ptr 1
		.amdhsa_user_sgpr_dispatch_id 0
		.amdhsa_user_sgpr_private_segment_size 0
		.amdhsa_wavefront_size32 1
		.amdhsa_uses_dynamic_stack 0
		.amdhsa_enable_private_segment 0
		.amdhsa_system_sgpr_workgroup_id_x 1
		.amdhsa_system_sgpr_workgroup_id_y 0
		.amdhsa_system_sgpr_workgroup_id_z 0
		.amdhsa_system_sgpr_workgroup_info 0
		.amdhsa_system_vgpr_workitem_id 0
		.amdhsa_next_free_vgpr 1
		.amdhsa_next_free_sgpr 1
		.amdhsa_reserve_vcc 0
		.amdhsa_float_round_mode_32 0
		.amdhsa_float_round_mode_16_64 0
		.amdhsa_float_denorm_mode_32 3
		.amdhsa_float_denorm_mode_16_64 3
		.amdhsa_dx10_clamp 1
		.amdhsa_ieee_mode 1
		.amdhsa_fp16_overflow 0
		.amdhsa_workgroup_processor_mode 1
		.amdhsa_memory_ordered 1
		.amdhsa_forward_progress 0
		.amdhsa_shared_vgpr_count 0
		.amdhsa_exception_fp_ieee_invalid_op 0
		.amdhsa_exception_fp_denorm_src 0
		.amdhsa_exception_fp_ieee_div_zero 0
		.amdhsa_exception_fp_ieee_overflow 0
		.amdhsa_exception_fp_ieee_underflow 0
		.amdhsa_exception_fp_ieee_inexact 0
		.amdhsa_exception_int_div_zero 0
	.end_amdhsa_kernel
	.section	.text._ZN7rocprim17ROCPRIM_400000_NS6detail17trampoline_kernelINS0_14default_configENS1_38merge_sort_block_merge_config_selectorIlNS0_10empty_typeEEEZZNS1_27merge_sort_block_merge_implIS3_PlPS5_mZN2at6native12_GLOBAL__N_124unique_dim_cuda_templateIN3c108BFloat16EEESt5tupleIJNSA_6TensorESH_SH_EERKSH_lbbbEUlllE_EE10hipError_tT0_T1_T2_jT3_P12ihipStream_tbPNSt15iterator_traitsISN_E10value_typeEPNST_ISO_E10value_typeEPSP_NS1_7vsmem_tEENKUlT_SN_SO_SP_E_clIS8_S8_S9_S9_EESM_S12_SN_SO_SP_EUlS12_E_NS1_11comp_targetILNS1_3genE5ELNS1_11target_archE942ELNS1_3gpuE9ELNS1_3repE0EEENS1_48merge_mergepath_partition_config_static_selectorELNS0_4arch9wavefront6targetE0EEEvSO_,"axG",@progbits,_ZN7rocprim17ROCPRIM_400000_NS6detail17trampoline_kernelINS0_14default_configENS1_38merge_sort_block_merge_config_selectorIlNS0_10empty_typeEEEZZNS1_27merge_sort_block_merge_implIS3_PlPS5_mZN2at6native12_GLOBAL__N_124unique_dim_cuda_templateIN3c108BFloat16EEESt5tupleIJNSA_6TensorESH_SH_EERKSH_lbbbEUlllE_EE10hipError_tT0_T1_T2_jT3_P12ihipStream_tbPNSt15iterator_traitsISN_E10value_typeEPNST_ISO_E10value_typeEPSP_NS1_7vsmem_tEENKUlT_SN_SO_SP_E_clIS8_S8_S9_S9_EESM_S12_SN_SO_SP_EUlS12_E_NS1_11comp_targetILNS1_3genE5ELNS1_11target_archE942ELNS1_3gpuE9ELNS1_3repE0EEENS1_48merge_mergepath_partition_config_static_selectorELNS0_4arch9wavefront6targetE0EEEvSO_,comdat
.Lfunc_end1126:
	.size	_ZN7rocprim17ROCPRIM_400000_NS6detail17trampoline_kernelINS0_14default_configENS1_38merge_sort_block_merge_config_selectorIlNS0_10empty_typeEEEZZNS1_27merge_sort_block_merge_implIS3_PlPS5_mZN2at6native12_GLOBAL__N_124unique_dim_cuda_templateIN3c108BFloat16EEESt5tupleIJNSA_6TensorESH_SH_EERKSH_lbbbEUlllE_EE10hipError_tT0_T1_T2_jT3_P12ihipStream_tbPNSt15iterator_traitsISN_E10value_typeEPNST_ISO_E10value_typeEPSP_NS1_7vsmem_tEENKUlT_SN_SO_SP_E_clIS8_S8_S9_S9_EESM_S12_SN_SO_SP_EUlS12_E_NS1_11comp_targetILNS1_3genE5ELNS1_11target_archE942ELNS1_3gpuE9ELNS1_3repE0EEENS1_48merge_mergepath_partition_config_static_selectorELNS0_4arch9wavefront6targetE0EEEvSO_, .Lfunc_end1126-_ZN7rocprim17ROCPRIM_400000_NS6detail17trampoline_kernelINS0_14default_configENS1_38merge_sort_block_merge_config_selectorIlNS0_10empty_typeEEEZZNS1_27merge_sort_block_merge_implIS3_PlPS5_mZN2at6native12_GLOBAL__N_124unique_dim_cuda_templateIN3c108BFloat16EEESt5tupleIJNSA_6TensorESH_SH_EERKSH_lbbbEUlllE_EE10hipError_tT0_T1_T2_jT3_P12ihipStream_tbPNSt15iterator_traitsISN_E10value_typeEPNST_ISO_E10value_typeEPSP_NS1_7vsmem_tEENKUlT_SN_SO_SP_E_clIS8_S8_S9_S9_EESM_S12_SN_SO_SP_EUlS12_E_NS1_11comp_targetILNS1_3genE5ELNS1_11target_archE942ELNS1_3gpuE9ELNS1_3repE0EEENS1_48merge_mergepath_partition_config_static_selectorELNS0_4arch9wavefront6targetE0EEEvSO_
                                        ; -- End function
	.section	.AMDGPU.csdata,"",@progbits
; Kernel info:
; codeLenInByte = 0
; NumSgprs: 0
; NumVgprs: 0
; ScratchSize: 0
; MemoryBound: 0
; FloatMode: 240
; IeeeMode: 1
; LDSByteSize: 0 bytes/workgroup (compile time only)
; SGPRBlocks: 0
; VGPRBlocks: 0
; NumSGPRsForWavesPerEU: 1
; NumVGPRsForWavesPerEU: 1
; Occupancy: 16
; WaveLimiterHint : 0
; COMPUTE_PGM_RSRC2:SCRATCH_EN: 0
; COMPUTE_PGM_RSRC2:USER_SGPR: 15
; COMPUTE_PGM_RSRC2:TRAP_HANDLER: 0
; COMPUTE_PGM_RSRC2:TGID_X_EN: 1
; COMPUTE_PGM_RSRC2:TGID_Y_EN: 0
; COMPUTE_PGM_RSRC2:TGID_Z_EN: 0
; COMPUTE_PGM_RSRC2:TIDIG_COMP_CNT: 0
	.section	.text._ZN7rocprim17ROCPRIM_400000_NS6detail17trampoline_kernelINS0_14default_configENS1_38merge_sort_block_merge_config_selectorIlNS0_10empty_typeEEEZZNS1_27merge_sort_block_merge_implIS3_PlPS5_mZN2at6native12_GLOBAL__N_124unique_dim_cuda_templateIN3c108BFloat16EEESt5tupleIJNSA_6TensorESH_SH_EERKSH_lbbbEUlllE_EE10hipError_tT0_T1_T2_jT3_P12ihipStream_tbPNSt15iterator_traitsISN_E10value_typeEPNST_ISO_E10value_typeEPSP_NS1_7vsmem_tEENKUlT_SN_SO_SP_E_clIS8_S8_S9_S9_EESM_S12_SN_SO_SP_EUlS12_E_NS1_11comp_targetILNS1_3genE4ELNS1_11target_archE910ELNS1_3gpuE8ELNS1_3repE0EEENS1_48merge_mergepath_partition_config_static_selectorELNS0_4arch9wavefront6targetE0EEEvSO_,"axG",@progbits,_ZN7rocprim17ROCPRIM_400000_NS6detail17trampoline_kernelINS0_14default_configENS1_38merge_sort_block_merge_config_selectorIlNS0_10empty_typeEEEZZNS1_27merge_sort_block_merge_implIS3_PlPS5_mZN2at6native12_GLOBAL__N_124unique_dim_cuda_templateIN3c108BFloat16EEESt5tupleIJNSA_6TensorESH_SH_EERKSH_lbbbEUlllE_EE10hipError_tT0_T1_T2_jT3_P12ihipStream_tbPNSt15iterator_traitsISN_E10value_typeEPNST_ISO_E10value_typeEPSP_NS1_7vsmem_tEENKUlT_SN_SO_SP_E_clIS8_S8_S9_S9_EESM_S12_SN_SO_SP_EUlS12_E_NS1_11comp_targetILNS1_3genE4ELNS1_11target_archE910ELNS1_3gpuE8ELNS1_3repE0EEENS1_48merge_mergepath_partition_config_static_selectorELNS0_4arch9wavefront6targetE0EEEvSO_,comdat
	.globl	_ZN7rocprim17ROCPRIM_400000_NS6detail17trampoline_kernelINS0_14default_configENS1_38merge_sort_block_merge_config_selectorIlNS0_10empty_typeEEEZZNS1_27merge_sort_block_merge_implIS3_PlPS5_mZN2at6native12_GLOBAL__N_124unique_dim_cuda_templateIN3c108BFloat16EEESt5tupleIJNSA_6TensorESH_SH_EERKSH_lbbbEUlllE_EE10hipError_tT0_T1_T2_jT3_P12ihipStream_tbPNSt15iterator_traitsISN_E10value_typeEPNST_ISO_E10value_typeEPSP_NS1_7vsmem_tEENKUlT_SN_SO_SP_E_clIS8_S8_S9_S9_EESM_S12_SN_SO_SP_EUlS12_E_NS1_11comp_targetILNS1_3genE4ELNS1_11target_archE910ELNS1_3gpuE8ELNS1_3repE0EEENS1_48merge_mergepath_partition_config_static_selectorELNS0_4arch9wavefront6targetE0EEEvSO_ ; -- Begin function _ZN7rocprim17ROCPRIM_400000_NS6detail17trampoline_kernelINS0_14default_configENS1_38merge_sort_block_merge_config_selectorIlNS0_10empty_typeEEEZZNS1_27merge_sort_block_merge_implIS3_PlPS5_mZN2at6native12_GLOBAL__N_124unique_dim_cuda_templateIN3c108BFloat16EEESt5tupleIJNSA_6TensorESH_SH_EERKSH_lbbbEUlllE_EE10hipError_tT0_T1_T2_jT3_P12ihipStream_tbPNSt15iterator_traitsISN_E10value_typeEPNST_ISO_E10value_typeEPSP_NS1_7vsmem_tEENKUlT_SN_SO_SP_E_clIS8_S8_S9_S9_EESM_S12_SN_SO_SP_EUlS12_E_NS1_11comp_targetILNS1_3genE4ELNS1_11target_archE910ELNS1_3gpuE8ELNS1_3repE0EEENS1_48merge_mergepath_partition_config_static_selectorELNS0_4arch9wavefront6targetE0EEEvSO_
	.p2align	8
	.type	_ZN7rocprim17ROCPRIM_400000_NS6detail17trampoline_kernelINS0_14default_configENS1_38merge_sort_block_merge_config_selectorIlNS0_10empty_typeEEEZZNS1_27merge_sort_block_merge_implIS3_PlPS5_mZN2at6native12_GLOBAL__N_124unique_dim_cuda_templateIN3c108BFloat16EEESt5tupleIJNSA_6TensorESH_SH_EERKSH_lbbbEUlllE_EE10hipError_tT0_T1_T2_jT3_P12ihipStream_tbPNSt15iterator_traitsISN_E10value_typeEPNST_ISO_E10value_typeEPSP_NS1_7vsmem_tEENKUlT_SN_SO_SP_E_clIS8_S8_S9_S9_EESM_S12_SN_SO_SP_EUlS12_E_NS1_11comp_targetILNS1_3genE4ELNS1_11target_archE910ELNS1_3gpuE8ELNS1_3repE0EEENS1_48merge_mergepath_partition_config_static_selectorELNS0_4arch9wavefront6targetE0EEEvSO_,@function
_ZN7rocprim17ROCPRIM_400000_NS6detail17trampoline_kernelINS0_14default_configENS1_38merge_sort_block_merge_config_selectorIlNS0_10empty_typeEEEZZNS1_27merge_sort_block_merge_implIS3_PlPS5_mZN2at6native12_GLOBAL__N_124unique_dim_cuda_templateIN3c108BFloat16EEESt5tupleIJNSA_6TensorESH_SH_EERKSH_lbbbEUlllE_EE10hipError_tT0_T1_T2_jT3_P12ihipStream_tbPNSt15iterator_traitsISN_E10value_typeEPNST_ISO_E10value_typeEPSP_NS1_7vsmem_tEENKUlT_SN_SO_SP_E_clIS8_S8_S9_S9_EESM_S12_SN_SO_SP_EUlS12_E_NS1_11comp_targetILNS1_3genE4ELNS1_11target_archE910ELNS1_3gpuE8ELNS1_3repE0EEENS1_48merge_mergepath_partition_config_static_selectorELNS0_4arch9wavefront6targetE0EEEvSO_: ; @_ZN7rocprim17ROCPRIM_400000_NS6detail17trampoline_kernelINS0_14default_configENS1_38merge_sort_block_merge_config_selectorIlNS0_10empty_typeEEEZZNS1_27merge_sort_block_merge_implIS3_PlPS5_mZN2at6native12_GLOBAL__N_124unique_dim_cuda_templateIN3c108BFloat16EEESt5tupleIJNSA_6TensorESH_SH_EERKSH_lbbbEUlllE_EE10hipError_tT0_T1_T2_jT3_P12ihipStream_tbPNSt15iterator_traitsISN_E10value_typeEPNST_ISO_E10value_typeEPSP_NS1_7vsmem_tEENKUlT_SN_SO_SP_E_clIS8_S8_S9_S9_EESM_S12_SN_SO_SP_EUlS12_E_NS1_11comp_targetILNS1_3genE4ELNS1_11target_archE910ELNS1_3gpuE8ELNS1_3repE0EEENS1_48merge_mergepath_partition_config_static_selectorELNS0_4arch9wavefront6targetE0EEEvSO_
; %bb.0:
	.section	.rodata,"a",@progbits
	.p2align	6, 0x0
	.amdhsa_kernel _ZN7rocprim17ROCPRIM_400000_NS6detail17trampoline_kernelINS0_14default_configENS1_38merge_sort_block_merge_config_selectorIlNS0_10empty_typeEEEZZNS1_27merge_sort_block_merge_implIS3_PlPS5_mZN2at6native12_GLOBAL__N_124unique_dim_cuda_templateIN3c108BFloat16EEESt5tupleIJNSA_6TensorESH_SH_EERKSH_lbbbEUlllE_EE10hipError_tT0_T1_T2_jT3_P12ihipStream_tbPNSt15iterator_traitsISN_E10value_typeEPNST_ISO_E10value_typeEPSP_NS1_7vsmem_tEENKUlT_SN_SO_SP_E_clIS8_S8_S9_S9_EESM_S12_SN_SO_SP_EUlS12_E_NS1_11comp_targetILNS1_3genE4ELNS1_11target_archE910ELNS1_3gpuE8ELNS1_3repE0EEENS1_48merge_mergepath_partition_config_static_selectorELNS0_4arch9wavefront6targetE0EEEvSO_
		.amdhsa_group_segment_fixed_size 0
		.amdhsa_private_segment_fixed_size 0
		.amdhsa_kernarg_size 56
		.amdhsa_user_sgpr_count 15
		.amdhsa_user_sgpr_dispatch_ptr 0
		.amdhsa_user_sgpr_queue_ptr 0
		.amdhsa_user_sgpr_kernarg_segment_ptr 1
		.amdhsa_user_sgpr_dispatch_id 0
		.amdhsa_user_sgpr_private_segment_size 0
		.amdhsa_wavefront_size32 1
		.amdhsa_uses_dynamic_stack 0
		.amdhsa_enable_private_segment 0
		.amdhsa_system_sgpr_workgroup_id_x 1
		.amdhsa_system_sgpr_workgroup_id_y 0
		.amdhsa_system_sgpr_workgroup_id_z 0
		.amdhsa_system_sgpr_workgroup_info 0
		.amdhsa_system_vgpr_workitem_id 0
		.amdhsa_next_free_vgpr 1
		.amdhsa_next_free_sgpr 1
		.amdhsa_reserve_vcc 0
		.amdhsa_float_round_mode_32 0
		.amdhsa_float_round_mode_16_64 0
		.amdhsa_float_denorm_mode_32 3
		.amdhsa_float_denorm_mode_16_64 3
		.amdhsa_dx10_clamp 1
		.amdhsa_ieee_mode 1
		.amdhsa_fp16_overflow 0
		.amdhsa_workgroup_processor_mode 1
		.amdhsa_memory_ordered 1
		.amdhsa_forward_progress 0
		.amdhsa_shared_vgpr_count 0
		.amdhsa_exception_fp_ieee_invalid_op 0
		.amdhsa_exception_fp_denorm_src 0
		.amdhsa_exception_fp_ieee_div_zero 0
		.amdhsa_exception_fp_ieee_overflow 0
		.amdhsa_exception_fp_ieee_underflow 0
		.amdhsa_exception_fp_ieee_inexact 0
		.amdhsa_exception_int_div_zero 0
	.end_amdhsa_kernel
	.section	.text._ZN7rocprim17ROCPRIM_400000_NS6detail17trampoline_kernelINS0_14default_configENS1_38merge_sort_block_merge_config_selectorIlNS0_10empty_typeEEEZZNS1_27merge_sort_block_merge_implIS3_PlPS5_mZN2at6native12_GLOBAL__N_124unique_dim_cuda_templateIN3c108BFloat16EEESt5tupleIJNSA_6TensorESH_SH_EERKSH_lbbbEUlllE_EE10hipError_tT0_T1_T2_jT3_P12ihipStream_tbPNSt15iterator_traitsISN_E10value_typeEPNST_ISO_E10value_typeEPSP_NS1_7vsmem_tEENKUlT_SN_SO_SP_E_clIS8_S8_S9_S9_EESM_S12_SN_SO_SP_EUlS12_E_NS1_11comp_targetILNS1_3genE4ELNS1_11target_archE910ELNS1_3gpuE8ELNS1_3repE0EEENS1_48merge_mergepath_partition_config_static_selectorELNS0_4arch9wavefront6targetE0EEEvSO_,"axG",@progbits,_ZN7rocprim17ROCPRIM_400000_NS6detail17trampoline_kernelINS0_14default_configENS1_38merge_sort_block_merge_config_selectorIlNS0_10empty_typeEEEZZNS1_27merge_sort_block_merge_implIS3_PlPS5_mZN2at6native12_GLOBAL__N_124unique_dim_cuda_templateIN3c108BFloat16EEESt5tupleIJNSA_6TensorESH_SH_EERKSH_lbbbEUlllE_EE10hipError_tT0_T1_T2_jT3_P12ihipStream_tbPNSt15iterator_traitsISN_E10value_typeEPNST_ISO_E10value_typeEPSP_NS1_7vsmem_tEENKUlT_SN_SO_SP_E_clIS8_S8_S9_S9_EESM_S12_SN_SO_SP_EUlS12_E_NS1_11comp_targetILNS1_3genE4ELNS1_11target_archE910ELNS1_3gpuE8ELNS1_3repE0EEENS1_48merge_mergepath_partition_config_static_selectorELNS0_4arch9wavefront6targetE0EEEvSO_,comdat
.Lfunc_end1127:
	.size	_ZN7rocprim17ROCPRIM_400000_NS6detail17trampoline_kernelINS0_14default_configENS1_38merge_sort_block_merge_config_selectorIlNS0_10empty_typeEEEZZNS1_27merge_sort_block_merge_implIS3_PlPS5_mZN2at6native12_GLOBAL__N_124unique_dim_cuda_templateIN3c108BFloat16EEESt5tupleIJNSA_6TensorESH_SH_EERKSH_lbbbEUlllE_EE10hipError_tT0_T1_T2_jT3_P12ihipStream_tbPNSt15iterator_traitsISN_E10value_typeEPNST_ISO_E10value_typeEPSP_NS1_7vsmem_tEENKUlT_SN_SO_SP_E_clIS8_S8_S9_S9_EESM_S12_SN_SO_SP_EUlS12_E_NS1_11comp_targetILNS1_3genE4ELNS1_11target_archE910ELNS1_3gpuE8ELNS1_3repE0EEENS1_48merge_mergepath_partition_config_static_selectorELNS0_4arch9wavefront6targetE0EEEvSO_, .Lfunc_end1127-_ZN7rocprim17ROCPRIM_400000_NS6detail17trampoline_kernelINS0_14default_configENS1_38merge_sort_block_merge_config_selectorIlNS0_10empty_typeEEEZZNS1_27merge_sort_block_merge_implIS3_PlPS5_mZN2at6native12_GLOBAL__N_124unique_dim_cuda_templateIN3c108BFloat16EEESt5tupleIJNSA_6TensorESH_SH_EERKSH_lbbbEUlllE_EE10hipError_tT0_T1_T2_jT3_P12ihipStream_tbPNSt15iterator_traitsISN_E10value_typeEPNST_ISO_E10value_typeEPSP_NS1_7vsmem_tEENKUlT_SN_SO_SP_E_clIS8_S8_S9_S9_EESM_S12_SN_SO_SP_EUlS12_E_NS1_11comp_targetILNS1_3genE4ELNS1_11target_archE910ELNS1_3gpuE8ELNS1_3repE0EEENS1_48merge_mergepath_partition_config_static_selectorELNS0_4arch9wavefront6targetE0EEEvSO_
                                        ; -- End function
	.section	.AMDGPU.csdata,"",@progbits
; Kernel info:
; codeLenInByte = 0
; NumSgprs: 0
; NumVgprs: 0
; ScratchSize: 0
; MemoryBound: 0
; FloatMode: 240
; IeeeMode: 1
; LDSByteSize: 0 bytes/workgroup (compile time only)
; SGPRBlocks: 0
; VGPRBlocks: 0
; NumSGPRsForWavesPerEU: 1
; NumVGPRsForWavesPerEU: 1
; Occupancy: 16
; WaveLimiterHint : 0
; COMPUTE_PGM_RSRC2:SCRATCH_EN: 0
; COMPUTE_PGM_RSRC2:USER_SGPR: 15
; COMPUTE_PGM_RSRC2:TRAP_HANDLER: 0
; COMPUTE_PGM_RSRC2:TGID_X_EN: 1
; COMPUTE_PGM_RSRC2:TGID_Y_EN: 0
; COMPUTE_PGM_RSRC2:TGID_Z_EN: 0
; COMPUTE_PGM_RSRC2:TIDIG_COMP_CNT: 0
	.section	.text._ZN7rocprim17ROCPRIM_400000_NS6detail17trampoline_kernelINS0_14default_configENS1_38merge_sort_block_merge_config_selectorIlNS0_10empty_typeEEEZZNS1_27merge_sort_block_merge_implIS3_PlPS5_mZN2at6native12_GLOBAL__N_124unique_dim_cuda_templateIN3c108BFloat16EEESt5tupleIJNSA_6TensorESH_SH_EERKSH_lbbbEUlllE_EE10hipError_tT0_T1_T2_jT3_P12ihipStream_tbPNSt15iterator_traitsISN_E10value_typeEPNST_ISO_E10value_typeEPSP_NS1_7vsmem_tEENKUlT_SN_SO_SP_E_clIS8_S8_S9_S9_EESM_S12_SN_SO_SP_EUlS12_E_NS1_11comp_targetILNS1_3genE3ELNS1_11target_archE908ELNS1_3gpuE7ELNS1_3repE0EEENS1_48merge_mergepath_partition_config_static_selectorELNS0_4arch9wavefront6targetE0EEEvSO_,"axG",@progbits,_ZN7rocprim17ROCPRIM_400000_NS6detail17trampoline_kernelINS0_14default_configENS1_38merge_sort_block_merge_config_selectorIlNS0_10empty_typeEEEZZNS1_27merge_sort_block_merge_implIS3_PlPS5_mZN2at6native12_GLOBAL__N_124unique_dim_cuda_templateIN3c108BFloat16EEESt5tupleIJNSA_6TensorESH_SH_EERKSH_lbbbEUlllE_EE10hipError_tT0_T1_T2_jT3_P12ihipStream_tbPNSt15iterator_traitsISN_E10value_typeEPNST_ISO_E10value_typeEPSP_NS1_7vsmem_tEENKUlT_SN_SO_SP_E_clIS8_S8_S9_S9_EESM_S12_SN_SO_SP_EUlS12_E_NS1_11comp_targetILNS1_3genE3ELNS1_11target_archE908ELNS1_3gpuE7ELNS1_3repE0EEENS1_48merge_mergepath_partition_config_static_selectorELNS0_4arch9wavefront6targetE0EEEvSO_,comdat
	.globl	_ZN7rocprim17ROCPRIM_400000_NS6detail17trampoline_kernelINS0_14default_configENS1_38merge_sort_block_merge_config_selectorIlNS0_10empty_typeEEEZZNS1_27merge_sort_block_merge_implIS3_PlPS5_mZN2at6native12_GLOBAL__N_124unique_dim_cuda_templateIN3c108BFloat16EEESt5tupleIJNSA_6TensorESH_SH_EERKSH_lbbbEUlllE_EE10hipError_tT0_T1_T2_jT3_P12ihipStream_tbPNSt15iterator_traitsISN_E10value_typeEPNST_ISO_E10value_typeEPSP_NS1_7vsmem_tEENKUlT_SN_SO_SP_E_clIS8_S8_S9_S9_EESM_S12_SN_SO_SP_EUlS12_E_NS1_11comp_targetILNS1_3genE3ELNS1_11target_archE908ELNS1_3gpuE7ELNS1_3repE0EEENS1_48merge_mergepath_partition_config_static_selectorELNS0_4arch9wavefront6targetE0EEEvSO_ ; -- Begin function _ZN7rocprim17ROCPRIM_400000_NS6detail17trampoline_kernelINS0_14default_configENS1_38merge_sort_block_merge_config_selectorIlNS0_10empty_typeEEEZZNS1_27merge_sort_block_merge_implIS3_PlPS5_mZN2at6native12_GLOBAL__N_124unique_dim_cuda_templateIN3c108BFloat16EEESt5tupleIJNSA_6TensorESH_SH_EERKSH_lbbbEUlllE_EE10hipError_tT0_T1_T2_jT3_P12ihipStream_tbPNSt15iterator_traitsISN_E10value_typeEPNST_ISO_E10value_typeEPSP_NS1_7vsmem_tEENKUlT_SN_SO_SP_E_clIS8_S8_S9_S9_EESM_S12_SN_SO_SP_EUlS12_E_NS1_11comp_targetILNS1_3genE3ELNS1_11target_archE908ELNS1_3gpuE7ELNS1_3repE0EEENS1_48merge_mergepath_partition_config_static_selectorELNS0_4arch9wavefront6targetE0EEEvSO_
	.p2align	8
	.type	_ZN7rocprim17ROCPRIM_400000_NS6detail17trampoline_kernelINS0_14default_configENS1_38merge_sort_block_merge_config_selectorIlNS0_10empty_typeEEEZZNS1_27merge_sort_block_merge_implIS3_PlPS5_mZN2at6native12_GLOBAL__N_124unique_dim_cuda_templateIN3c108BFloat16EEESt5tupleIJNSA_6TensorESH_SH_EERKSH_lbbbEUlllE_EE10hipError_tT0_T1_T2_jT3_P12ihipStream_tbPNSt15iterator_traitsISN_E10value_typeEPNST_ISO_E10value_typeEPSP_NS1_7vsmem_tEENKUlT_SN_SO_SP_E_clIS8_S8_S9_S9_EESM_S12_SN_SO_SP_EUlS12_E_NS1_11comp_targetILNS1_3genE3ELNS1_11target_archE908ELNS1_3gpuE7ELNS1_3repE0EEENS1_48merge_mergepath_partition_config_static_selectorELNS0_4arch9wavefront6targetE0EEEvSO_,@function
_ZN7rocprim17ROCPRIM_400000_NS6detail17trampoline_kernelINS0_14default_configENS1_38merge_sort_block_merge_config_selectorIlNS0_10empty_typeEEEZZNS1_27merge_sort_block_merge_implIS3_PlPS5_mZN2at6native12_GLOBAL__N_124unique_dim_cuda_templateIN3c108BFloat16EEESt5tupleIJNSA_6TensorESH_SH_EERKSH_lbbbEUlllE_EE10hipError_tT0_T1_T2_jT3_P12ihipStream_tbPNSt15iterator_traitsISN_E10value_typeEPNST_ISO_E10value_typeEPSP_NS1_7vsmem_tEENKUlT_SN_SO_SP_E_clIS8_S8_S9_S9_EESM_S12_SN_SO_SP_EUlS12_E_NS1_11comp_targetILNS1_3genE3ELNS1_11target_archE908ELNS1_3gpuE7ELNS1_3repE0EEENS1_48merge_mergepath_partition_config_static_selectorELNS0_4arch9wavefront6targetE0EEEvSO_: ; @_ZN7rocprim17ROCPRIM_400000_NS6detail17trampoline_kernelINS0_14default_configENS1_38merge_sort_block_merge_config_selectorIlNS0_10empty_typeEEEZZNS1_27merge_sort_block_merge_implIS3_PlPS5_mZN2at6native12_GLOBAL__N_124unique_dim_cuda_templateIN3c108BFloat16EEESt5tupleIJNSA_6TensorESH_SH_EERKSH_lbbbEUlllE_EE10hipError_tT0_T1_T2_jT3_P12ihipStream_tbPNSt15iterator_traitsISN_E10value_typeEPNST_ISO_E10value_typeEPSP_NS1_7vsmem_tEENKUlT_SN_SO_SP_E_clIS8_S8_S9_S9_EESM_S12_SN_SO_SP_EUlS12_E_NS1_11comp_targetILNS1_3genE3ELNS1_11target_archE908ELNS1_3gpuE7ELNS1_3repE0EEENS1_48merge_mergepath_partition_config_static_selectorELNS0_4arch9wavefront6targetE0EEEvSO_
; %bb.0:
	.section	.rodata,"a",@progbits
	.p2align	6, 0x0
	.amdhsa_kernel _ZN7rocprim17ROCPRIM_400000_NS6detail17trampoline_kernelINS0_14default_configENS1_38merge_sort_block_merge_config_selectorIlNS0_10empty_typeEEEZZNS1_27merge_sort_block_merge_implIS3_PlPS5_mZN2at6native12_GLOBAL__N_124unique_dim_cuda_templateIN3c108BFloat16EEESt5tupleIJNSA_6TensorESH_SH_EERKSH_lbbbEUlllE_EE10hipError_tT0_T1_T2_jT3_P12ihipStream_tbPNSt15iterator_traitsISN_E10value_typeEPNST_ISO_E10value_typeEPSP_NS1_7vsmem_tEENKUlT_SN_SO_SP_E_clIS8_S8_S9_S9_EESM_S12_SN_SO_SP_EUlS12_E_NS1_11comp_targetILNS1_3genE3ELNS1_11target_archE908ELNS1_3gpuE7ELNS1_3repE0EEENS1_48merge_mergepath_partition_config_static_selectorELNS0_4arch9wavefront6targetE0EEEvSO_
		.amdhsa_group_segment_fixed_size 0
		.amdhsa_private_segment_fixed_size 0
		.amdhsa_kernarg_size 56
		.amdhsa_user_sgpr_count 15
		.amdhsa_user_sgpr_dispatch_ptr 0
		.amdhsa_user_sgpr_queue_ptr 0
		.amdhsa_user_sgpr_kernarg_segment_ptr 1
		.amdhsa_user_sgpr_dispatch_id 0
		.amdhsa_user_sgpr_private_segment_size 0
		.amdhsa_wavefront_size32 1
		.amdhsa_uses_dynamic_stack 0
		.amdhsa_enable_private_segment 0
		.amdhsa_system_sgpr_workgroup_id_x 1
		.amdhsa_system_sgpr_workgroup_id_y 0
		.amdhsa_system_sgpr_workgroup_id_z 0
		.amdhsa_system_sgpr_workgroup_info 0
		.amdhsa_system_vgpr_workitem_id 0
		.amdhsa_next_free_vgpr 1
		.amdhsa_next_free_sgpr 1
		.amdhsa_reserve_vcc 0
		.amdhsa_float_round_mode_32 0
		.amdhsa_float_round_mode_16_64 0
		.amdhsa_float_denorm_mode_32 3
		.amdhsa_float_denorm_mode_16_64 3
		.amdhsa_dx10_clamp 1
		.amdhsa_ieee_mode 1
		.amdhsa_fp16_overflow 0
		.amdhsa_workgroup_processor_mode 1
		.amdhsa_memory_ordered 1
		.amdhsa_forward_progress 0
		.amdhsa_shared_vgpr_count 0
		.amdhsa_exception_fp_ieee_invalid_op 0
		.amdhsa_exception_fp_denorm_src 0
		.amdhsa_exception_fp_ieee_div_zero 0
		.amdhsa_exception_fp_ieee_overflow 0
		.amdhsa_exception_fp_ieee_underflow 0
		.amdhsa_exception_fp_ieee_inexact 0
		.amdhsa_exception_int_div_zero 0
	.end_amdhsa_kernel
	.section	.text._ZN7rocprim17ROCPRIM_400000_NS6detail17trampoline_kernelINS0_14default_configENS1_38merge_sort_block_merge_config_selectorIlNS0_10empty_typeEEEZZNS1_27merge_sort_block_merge_implIS3_PlPS5_mZN2at6native12_GLOBAL__N_124unique_dim_cuda_templateIN3c108BFloat16EEESt5tupleIJNSA_6TensorESH_SH_EERKSH_lbbbEUlllE_EE10hipError_tT0_T1_T2_jT3_P12ihipStream_tbPNSt15iterator_traitsISN_E10value_typeEPNST_ISO_E10value_typeEPSP_NS1_7vsmem_tEENKUlT_SN_SO_SP_E_clIS8_S8_S9_S9_EESM_S12_SN_SO_SP_EUlS12_E_NS1_11comp_targetILNS1_3genE3ELNS1_11target_archE908ELNS1_3gpuE7ELNS1_3repE0EEENS1_48merge_mergepath_partition_config_static_selectorELNS0_4arch9wavefront6targetE0EEEvSO_,"axG",@progbits,_ZN7rocprim17ROCPRIM_400000_NS6detail17trampoline_kernelINS0_14default_configENS1_38merge_sort_block_merge_config_selectorIlNS0_10empty_typeEEEZZNS1_27merge_sort_block_merge_implIS3_PlPS5_mZN2at6native12_GLOBAL__N_124unique_dim_cuda_templateIN3c108BFloat16EEESt5tupleIJNSA_6TensorESH_SH_EERKSH_lbbbEUlllE_EE10hipError_tT0_T1_T2_jT3_P12ihipStream_tbPNSt15iterator_traitsISN_E10value_typeEPNST_ISO_E10value_typeEPSP_NS1_7vsmem_tEENKUlT_SN_SO_SP_E_clIS8_S8_S9_S9_EESM_S12_SN_SO_SP_EUlS12_E_NS1_11comp_targetILNS1_3genE3ELNS1_11target_archE908ELNS1_3gpuE7ELNS1_3repE0EEENS1_48merge_mergepath_partition_config_static_selectorELNS0_4arch9wavefront6targetE0EEEvSO_,comdat
.Lfunc_end1128:
	.size	_ZN7rocprim17ROCPRIM_400000_NS6detail17trampoline_kernelINS0_14default_configENS1_38merge_sort_block_merge_config_selectorIlNS0_10empty_typeEEEZZNS1_27merge_sort_block_merge_implIS3_PlPS5_mZN2at6native12_GLOBAL__N_124unique_dim_cuda_templateIN3c108BFloat16EEESt5tupleIJNSA_6TensorESH_SH_EERKSH_lbbbEUlllE_EE10hipError_tT0_T1_T2_jT3_P12ihipStream_tbPNSt15iterator_traitsISN_E10value_typeEPNST_ISO_E10value_typeEPSP_NS1_7vsmem_tEENKUlT_SN_SO_SP_E_clIS8_S8_S9_S9_EESM_S12_SN_SO_SP_EUlS12_E_NS1_11comp_targetILNS1_3genE3ELNS1_11target_archE908ELNS1_3gpuE7ELNS1_3repE0EEENS1_48merge_mergepath_partition_config_static_selectorELNS0_4arch9wavefront6targetE0EEEvSO_, .Lfunc_end1128-_ZN7rocprim17ROCPRIM_400000_NS6detail17trampoline_kernelINS0_14default_configENS1_38merge_sort_block_merge_config_selectorIlNS0_10empty_typeEEEZZNS1_27merge_sort_block_merge_implIS3_PlPS5_mZN2at6native12_GLOBAL__N_124unique_dim_cuda_templateIN3c108BFloat16EEESt5tupleIJNSA_6TensorESH_SH_EERKSH_lbbbEUlllE_EE10hipError_tT0_T1_T2_jT3_P12ihipStream_tbPNSt15iterator_traitsISN_E10value_typeEPNST_ISO_E10value_typeEPSP_NS1_7vsmem_tEENKUlT_SN_SO_SP_E_clIS8_S8_S9_S9_EESM_S12_SN_SO_SP_EUlS12_E_NS1_11comp_targetILNS1_3genE3ELNS1_11target_archE908ELNS1_3gpuE7ELNS1_3repE0EEENS1_48merge_mergepath_partition_config_static_selectorELNS0_4arch9wavefront6targetE0EEEvSO_
                                        ; -- End function
	.section	.AMDGPU.csdata,"",@progbits
; Kernel info:
; codeLenInByte = 0
; NumSgprs: 0
; NumVgprs: 0
; ScratchSize: 0
; MemoryBound: 0
; FloatMode: 240
; IeeeMode: 1
; LDSByteSize: 0 bytes/workgroup (compile time only)
; SGPRBlocks: 0
; VGPRBlocks: 0
; NumSGPRsForWavesPerEU: 1
; NumVGPRsForWavesPerEU: 1
; Occupancy: 16
; WaveLimiterHint : 0
; COMPUTE_PGM_RSRC2:SCRATCH_EN: 0
; COMPUTE_PGM_RSRC2:USER_SGPR: 15
; COMPUTE_PGM_RSRC2:TRAP_HANDLER: 0
; COMPUTE_PGM_RSRC2:TGID_X_EN: 1
; COMPUTE_PGM_RSRC2:TGID_Y_EN: 0
; COMPUTE_PGM_RSRC2:TGID_Z_EN: 0
; COMPUTE_PGM_RSRC2:TIDIG_COMP_CNT: 0
	.section	.text._ZN7rocprim17ROCPRIM_400000_NS6detail17trampoline_kernelINS0_14default_configENS1_38merge_sort_block_merge_config_selectorIlNS0_10empty_typeEEEZZNS1_27merge_sort_block_merge_implIS3_PlPS5_mZN2at6native12_GLOBAL__N_124unique_dim_cuda_templateIN3c108BFloat16EEESt5tupleIJNSA_6TensorESH_SH_EERKSH_lbbbEUlllE_EE10hipError_tT0_T1_T2_jT3_P12ihipStream_tbPNSt15iterator_traitsISN_E10value_typeEPNST_ISO_E10value_typeEPSP_NS1_7vsmem_tEENKUlT_SN_SO_SP_E_clIS8_S8_S9_S9_EESM_S12_SN_SO_SP_EUlS12_E_NS1_11comp_targetILNS1_3genE2ELNS1_11target_archE906ELNS1_3gpuE6ELNS1_3repE0EEENS1_48merge_mergepath_partition_config_static_selectorELNS0_4arch9wavefront6targetE0EEEvSO_,"axG",@progbits,_ZN7rocprim17ROCPRIM_400000_NS6detail17trampoline_kernelINS0_14default_configENS1_38merge_sort_block_merge_config_selectorIlNS0_10empty_typeEEEZZNS1_27merge_sort_block_merge_implIS3_PlPS5_mZN2at6native12_GLOBAL__N_124unique_dim_cuda_templateIN3c108BFloat16EEESt5tupleIJNSA_6TensorESH_SH_EERKSH_lbbbEUlllE_EE10hipError_tT0_T1_T2_jT3_P12ihipStream_tbPNSt15iterator_traitsISN_E10value_typeEPNST_ISO_E10value_typeEPSP_NS1_7vsmem_tEENKUlT_SN_SO_SP_E_clIS8_S8_S9_S9_EESM_S12_SN_SO_SP_EUlS12_E_NS1_11comp_targetILNS1_3genE2ELNS1_11target_archE906ELNS1_3gpuE6ELNS1_3repE0EEENS1_48merge_mergepath_partition_config_static_selectorELNS0_4arch9wavefront6targetE0EEEvSO_,comdat
	.globl	_ZN7rocprim17ROCPRIM_400000_NS6detail17trampoline_kernelINS0_14default_configENS1_38merge_sort_block_merge_config_selectorIlNS0_10empty_typeEEEZZNS1_27merge_sort_block_merge_implIS3_PlPS5_mZN2at6native12_GLOBAL__N_124unique_dim_cuda_templateIN3c108BFloat16EEESt5tupleIJNSA_6TensorESH_SH_EERKSH_lbbbEUlllE_EE10hipError_tT0_T1_T2_jT3_P12ihipStream_tbPNSt15iterator_traitsISN_E10value_typeEPNST_ISO_E10value_typeEPSP_NS1_7vsmem_tEENKUlT_SN_SO_SP_E_clIS8_S8_S9_S9_EESM_S12_SN_SO_SP_EUlS12_E_NS1_11comp_targetILNS1_3genE2ELNS1_11target_archE906ELNS1_3gpuE6ELNS1_3repE0EEENS1_48merge_mergepath_partition_config_static_selectorELNS0_4arch9wavefront6targetE0EEEvSO_ ; -- Begin function _ZN7rocprim17ROCPRIM_400000_NS6detail17trampoline_kernelINS0_14default_configENS1_38merge_sort_block_merge_config_selectorIlNS0_10empty_typeEEEZZNS1_27merge_sort_block_merge_implIS3_PlPS5_mZN2at6native12_GLOBAL__N_124unique_dim_cuda_templateIN3c108BFloat16EEESt5tupleIJNSA_6TensorESH_SH_EERKSH_lbbbEUlllE_EE10hipError_tT0_T1_T2_jT3_P12ihipStream_tbPNSt15iterator_traitsISN_E10value_typeEPNST_ISO_E10value_typeEPSP_NS1_7vsmem_tEENKUlT_SN_SO_SP_E_clIS8_S8_S9_S9_EESM_S12_SN_SO_SP_EUlS12_E_NS1_11comp_targetILNS1_3genE2ELNS1_11target_archE906ELNS1_3gpuE6ELNS1_3repE0EEENS1_48merge_mergepath_partition_config_static_selectorELNS0_4arch9wavefront6targetE0EEEvSO_
	.p2align	8
	.type	_ZN7rocprim17ROCPRIM_400000_NS6detail17trampoline_kernelINS0_14default_configENS1_38merge_sort_block_merge_config_selectorIlNS0_10empty_typeEEEZZNS1_27merge_sort_block_merge_implIS3_PlPS5_mZN2at6native12_GLOBAL__N_124unique_dim_cuda_templateIN3c108BFloat16EEESt5tupleIJNSA_6TensorESH_SH_EERKSH_lbbbEUlllE_EE10hipError_tT0_T1_T2_jT3_P12ihipStream_tbPNSt15iterator_traitsISN_E10value_typeEPNST_ISO_E10value_typeEPSP_NS1_7vsmem_tEENKUlT_SN_SO_SP_E_clIS8_S8_S9_S9_EESM_S12_SN_SO_SP_EUlS12_E_NS1_11comp_targetILNS1_3genE2ELNS1_11target_archE906ELNS1_3gpuE6ELNS1_3repE0EEENS1_48merge_mergepath_partition_config_static_selectorELNS0_4arch9wavefront6targetE0EEEvSO_,@function
_ZN7rocprim17ROCPRIM_400000_NS6detail17trampoline_kernelINS0_14default_configENS1_38merge_sort_block_merge_config_selectorIlNS0_10empty_typeEEEZZNS1_27merge_sort_block_merge_implIS3_PlPS5_mZN2at6native12_GLOBAL__N_124unique_dim_cuda_templateIN3c108BFloat16EEESt5tupleIJNSA_6TensorESH_SH_EERKSH_lbbbEUlllE_EE10hipError_tT0_T1_T2_jT3_P12ihipStream_tbPNSt15iterator_traitsISN_E10value_typeEPNST_ISO_E10value_typeEPSP_NS1_7vsmem_tEENKUlT_SN_SO_SP_E_clIS8_S8_S9_S9_EESM_S12_SN_SO_SP_EUlS12_E_NS1_11comp_targetILNS1_3genE2ELNS1_11target_archE906ELNS1_3gpuE6ELNS1_3repE0EEENS1_48merge_mergepath_partition_config_static_selectorELNS0_4arch9wavefront6targetE0EEEvSO_: ; @_ZN7rocprim17ROCPRIM_400000_NS6detail17trampoline_kernelINS0_14default_configENS1_38merge_sort_block_merge_config_selectorIlNS0_10empty_typeEEEZZNS1_27merge_sort_block_merge_implIS3_PlPS5_mZN2at6native12_GLOBAL__N_124unique_dim_cuda_templateIN3c108BFloat16EEESt5tupleIJNSA_6TensorESH_SH_EERKSH_lbbbEUlllE_EE10hipError_tT0_T1_T2_jT3_P12ihipStream_tbPNSt15iterator_traitsISN_E10value_typeEPNST_ISO_E10value_typeEPSP_NS1_7vsmem_tEENKUlT_SN_SO_SP_E_clIS8_S8_S9_S9_EESM_S12_SN_SO_SP_EUlS12_E_NS1_11comp_targetILNS1_3genE2ELNS1_11target_archE906ELNS1_3gpuE6ELNS1_3repE0EEENS1_48merge_mergepath_partition_config_static_selectorELNS0_4arch9wavefront6targetE0EEEvSO_
; %bb.0:
	.section	.rodata,"a",@progbits
	.p2align	6, 0x0
	.amdhsa_kernel _ZN7rocprim17ROCPRIM_400000_NS6detail17trampoline_kernelINS0_14default_configENS1_38merge_sort_block_merge_config_selectorIlNS0_10empty_typeEEEZZNS1_27merge_sort_block_merge_implIS3_PlPS5_mZN2at6native12_GLOBAL__N_124unique_dim_cuda_templateIN3c108BFloat16EEESt5tupleIJNSA_6TensorESH_SH_EERKSH_lbbbEUlllE_EE10hipError_tT0_T1_T2_jT3_P12ihipStream_tbPNSt15iterator_traitsISN_E10value_typeEPNST_ISO_E10value_typeEPSP_NS1_7vsmem_tEENKUlT_SN_SO_SP_E_clIS8_S8_S9_S9_EESM_S12_SN_SO_SP_EUlS12_E_NS1_11comp_targetILNS1_3genE2ELNS1_11target_archE906ELNS1_3gpuE6ELNS1_3repE0EEENS1_48merge_mergepath_partition_config_static_selectorELNS0_4arch9wavefront6targetE0EEEvSO_
		.amdhsa_group_segment_fixed_size 0
		.amdhsa_private_segment_fixed_size 0
		.amdhsa_kernarg_size 56
		.amdhsa_user_sgpr_count 15
		.amdhsa_user_sgpr_dispatch_ptr 0
		.amdhsa_user_sgpr_queue_ptr 0
		.amdhsa_user_sgpr_kernarg_segment_ptr 1
		.amdhsa_user_sgpr_dispatch_id 0
		.amdhsa_user_sgpr_private_segment_size 0
		.amdhsa_wavefront_size32 1
		.amdhsa_uses_dynamic_stack 0
		.amdhsa_enable_private_segment 0
		.amdhsa_system_sgpr_workgroup_id_x 1
		.amdhsa_system_sgpr_workgroup_id_y 0
		.amdhsa_system_sgpr_workgroup_id_z 0
		.amdhsa_system_sgpr_workgroup_info 0
		.amdhsa_system_vgpr_workitem_id 0
		.amdhsa_next_free_vgpr 1
		.amdhsa_next_free_sgpr 1
		.amdhsa_reserve_vcc 0
		.amdhsa_float_round_mode_32 0
		.amdhsa_float_round_mode_16_64 0
		.amdhsa_float_denorm_mode_32 3
		.amdhsa_float_denorm_mode_16_64 3
		.amdhsa_dx10_clamp 1
		.amdhsa_ieee_mode 1
		.amdhsa_fp16_overflow 0
		.amdhsa_workgroup_processor_mode 1
		.amdhsa_memory_ordered 1
		.amdhsa_forward_progress 0
		.amdhsa_shared_vgpr_count 0
		.amdhsa_exception_fp_ieee_invalid_op 0
		.amdhsa_exception_fp_denorm_src 0
		.amdhsa_exception_fp_ieee_div_zero 0
		.amdhsa_exception_fp_ieee_overflow 0
		.amdhsa_exception_fp_ieee_underflow 0
		.amdhsa_exception_fp_ieee_inexact 0
		.amdhsa_exception_int_div_zero 0
	.end_amdhsa_kernel
	.section	.text._ZN7rocprim17ROCPRIM_400000_NS6detail17trampoline_kernelINS0_14default_configENS1_38merge_sort_block_merge_config_selectorIlNS0_10empty_typeEEEZZNS1_27merge_sort_block_merge_implIS3_PlPS5_mZN2at6native12_GLOBAL__N_124unique_dim_cuda_templateIN3c108BFloat16EEESt5tupleIJNSA_6TensorESH_SH_EERKSH_lbbbEUlllE_EE10hipError_tT0_T1_T2_jT3_P12ihipStream_tbPNSt15iterator_traitsISN_E10value_typeEPNST_ISO_E10value_typeEPSP_NS1_7vsmem_tEENKUlT_SN_SO_SP_E_clIS8_S8_S9_S9_EESM_S12_SN_SO_SP_EUlS12_E_NS1_11comp_targetILNS1_3genE2ELNS1_11target_archE906ELNS1_3gpuE6ELNS1_3repE0EEENS1_48merge_mergepath_partition_config_static_selectorELNS0_4arch9wavefront6targetE0EEEvSO_,"axG",@progbits,_ZN7rocprim17ROCPRIM_400000_NS6detail17trampoline_kernelINS0_14default_configENS1_38merge_sort_block_merge_config_selectorIlNS0_10empty_typeEEEZZNS1_27merge_sort_block_merge_implIS3_PlPS5_mZN2at6native12_GLOBAL__N_124unique_dim_cuda_templateIN3c108BFloat16EEESt5tupleIJNSA_6TensorESH_SH_EERKSH_lbbbEUlllE_EE10hipError_tT0_T1_T2_jT3_P12ihipStream_tbPNSt15iterator_traitsISN_E10value_typeEPNST_ISO_E10value_typeEPSP_NS1_7vsmem_tEENKUlT_SN_SO_SP_E_clIS8_S8_S9_S9_EESM_S12_SN_SO_SP_EUlS12_E_NS1_11comp_targetILNS1_3genE2ELNS1_11target_archE906ELNS1_3gpuE6ELNS1_3repE0EEENS1_48merge_mergepath_partition_config_static_selectorELNS0_4arch9wavefront6targetE0EEEvSO_,comdat
.Lfunc_end1129:
	.size	_ZN7rocprim17ROCPRIM_400000_NS6detail17trampoline_kernelINS0_14default_configENS1_38merge_sort_block_merge_config_selectorIlNS0_10empty_typeEEEZZNS1_27merge_sort_block_merge_implIS3_PlPS5_mZN2at6native12_GLOBAL__N_124unique_dim_cuda_templateIN3c108BFloat16EEESt5tupleIJNSA_6TensorESH_SH_EERKSH_lbbbEUlllE_EE10hipError_tT0_T1_T2_jT3_P12ihipStream_tbPNSt15iterator_traitsISN_E10value_typeEPNST_ISO_E10value_typeEPSP_NS1_7vsmem_tEENKUlT_SN_SO_SP_E_clIS8_S8_S9_S9_EESM_S12_SN_SO_SP_EUlS12_E_NS1_11comp_targetILNS1_3genE2ELNS1_11target_archE906ELNS1_3gpuE6ELNS1_3repE0EEENS1_48merge_mergepath_partition_config_static_selectorELNS0_4arch9wavefront6targetE0EEEvSO_, .Lfunc_end1129-_ZN7rocprim17ROCPRIM_400000_NS6detail17trampoline_kernelINS0_14default_configENS1_38merge_sort_block_merge_config_selectorIlNS0_10empty_typeEEEZZNS1_27merge_sort_block_merge_implIS3_PlPS5_mZN2at6native12_GLOBAL__N_124unique_dim_cuda_templateIN3c108BFloat16EEESt5tupleIJNSA_6TensorESH_SH_EERKSH_lbbbEUlllE_EE10hipError_tT0_T1_T2_jT3_P12ihipStream_tbPNSt15iterator_traitsISN_E10value_typeEPNST_ISO_E10value_typeEPSP_NS1_7vsmem_tEENKUlT_SN_SO_SP_E_clIS8_S8_S9_S9_EESM_S12_SN_SO_SP_EUlS12_E_NS1_11comp_targetILNS1_3genE2ELNS1_11target_archE906ELNS1_3gpuE6ELNS1_3repE0EEENS1_48merge_mergepath_partition_config_static_selectorELNS0_4arch9wavefront6targetE0EEEvSO_
                                        ; -- End function
	.section	.AMDGPU.csdata,"",@progbits
; Kernel info:
; codeLenInByte = 0
; NumSgprs: 0
; NumVgprs: 0
; ScratchSize: 0
; MemoryBound: 0
; FloatMode: 240
; IeeeMode: 1
; LDSByteSize: 0 bytes/workgroup (compile time only)
; SGPRBlocks: 0
; VGPRBlocks: 0
; NumSGPRsForWavesPerEU: 1
; NumVGPRsForWavesPerEU: 1
; Occupancy: 16
; WaveLimiterHint : 0
; COMPUTE_PGM_RSRC2:SCRATCH_EN: 0
; COMPUTE_PGM_RSRC2:USER_SGPR: 15
; COMPUTE_PGM_RSRC2:TRAP_HANDLER: 0
; COMPUTE_PGM_RSRC2:TGID_X_EN: 1
; COMPUTE_PGM_RSRC2:TGID_Y_EN: 0
; COMPUTE_PGM_RSRC2:TGID_Z_EN: 0
; COMPUTE_PGM_RSRC2:TIDIG_COMP_CNT: 0
	.section	.text._ZN7rocprim17ROCPRIM_400000_NS6detail17trampoline_kernelINS0_14default_configENS1_38merge_sort_block_merge_config_selectorIlNS0_10empty_typeEEEZZNS1_27merge_sort_block_merge_implIS3_PlPS5_mZN2at6native12_GLOBAL__N_124unique_dim_cuda_templateIN3c108BFloat16EEESt5tupleIJNSA_6TensorESH_SH_EERKSH_lbbbEUlllE_EE10hipError_tT0_T1_T2_jT3_P12ihipStream_tbPNSt15iterator_traitsISN_E10value_typeEPNST_ISO_E10value_typeEPSP_NS1_7vsmem_tEENKUlT_SN_SO_SP_E_clIS8_S8_S9_S9_EESM_S12_SN_SO_SP_EUlS12_E_NS1_11comp_targetILNS1_3genE9ELNS1_11target_archE1100ELNS1_3gpuE3ELNS1_3repE0EEENS1_48merge_mergepath_partition_config_static_selectorELNS0_4arch9wavefront6targetE0EEEvSO_,"axG",@progbits,_ZN7rocprim17ROCPRIM_400000_NS6detail17trampoline_kernelINS0_14default_configENS1_38merge_sort_block_merge_config_selectorIlNS0_10empty_typeEEEZZNS1_27merge_sort_block_merge_implIS3_PlPS5_mZN2at6native12_GLOBAL__N_124unique_dim_cuda_templateIN3c108BFloat16EEESt5tupleIJNSA_6TensorESH_SH_EERKSH_lbbbEUlllE_EE10hipError_tT0_T1_T2_jT3_P12ihipStream_tbPNSt15iterator_traitsISN_E10value_typeEPNST_ISO_E10value_typeEPSP_NS1_7vsmem_tEENKUlT_SN_SO_SP_E_clIS8_S8_S9_S9_EESM_S12_SN_SO_SP_EUlS12_E_NS1_11comp_targetILNS1_3genE9ELNS1_11target_archE1100ELNS1_3gpuE3ELNS1_3repE0EEENS1_48merge_mergepath_partition_config_static_selectorELNS0_4arch9wavefront6targetE0EEEvSO_,comdat
	.globl	_ZN7rocprim17ROCPRIM_400000_NS6detail17trampoline_kernelINS0_14default_configENS1_38merge_sort_block_merge_config_selectorIlNS0_10empty_typeEEEZZNS1_27merge_sort_block_merge_implIS3_PlPS5_mZN2at6native12_GLOBAL__N_124unique_dim_cuda_templateIN3c108BFloat16EEESt5tupleIJNSA_6TensorESH_SH_EERKSH_lbbbEUlllE_EE10hipError_tT0_T1_T2_jT3_P12ihipStream_tbPNSt15iterator_traitsISN_E10value_typeEPNST_ISO_E10value_typeEPSP_NS1_7vsmem_tEENKUlT_SN_SO_SP_E_clIS8_S8_S9_S9_EESM_S12_SN_SO_SP_EUlS12_E_NS1_11comp_targetILNS1_3genE9ELNS1_11target_archE1100ELNS1_3gpuE3ELNS1_3repE0EEENS1_48merge_mergepath_partition_config_static_selectorELNS0_4arch9wavefront6targetE0EEEvSO_ ; -- Begin function _ZN7rocprim17ROCPRIM_400000_NS6detail17trampoline_kernelINS0_14default_configENS1_38merge_sort_block_merge_config_selectorIlNS0_10empty_typeEEEZZNS1_27merge_sort_block_merge_implIS3_PlPS5_mZN2at6native12_GLOBAL__N_124unique_dim_cuda_templateIN3c108BFloat16EEESt5tupleIJNSA_6TensorESH_SH_EERKSH_lbbbEUlllE_EE10hipError_tT0_T1_T2_jT3_P12ihipStream_tbPNSt15iterator_traitsISN_E10value_typeEPNST_ISO_E10value_typeEPSP_NS1_7vsmem_tEENKUlT_SN_SO_SP_E_clIS8_S8_S9_S9_EESM_S12_SN_SO_SP_EUlS12_E_NS1_11comp_targetILNS1_3genE9ELNS1_11target_archE1100ELNS1_3gpuE3ELNS1_3repE0EEENS1_48merge_mergepath_partition_config_static_selectorELNS0_4arch9wavefront6targetE0EEEvSO_
	.p2align	8
	.type	_ZN7rocprim17ROCPRIM_400000_NS6detail17trampoline_kernelINS0_14default_configENS1_38merge_sort_block_merge_config_selectorIlNS0_10empty_typeEEEZZNS1_27merge_sort_block_merge_implIS3_PlPS5_mZN2at6native12_GLOBAL__N_124unique_dim_cuda_templateIN3c108BFloat16EEESt5tupleIJNSA_6TensorESH_SH_EERKSH_lbbbEUlllE_EE10hipError_tT0_T1_T2_jT3_P12ihipStream_tbPNSt15iterator_traitsISN_E10value_typeEPNST_ISO_E10value_typeEPSP_NS1_7vsmem_tEENKUlT_SN_SO_SP_E_clIS8_S8_S9_S9_EESM_S12_SN_SO_SP_EUlS12_E_NS1_11comp_targetILNS1_3genE9ELNS1_11target_archE1100ELNS1_3gpuE3ELNS1_3repE0EEENS1_48merge_mergepath_partition_config_static_selectorELNS0_4arch9wavefront6targetE0EEEvSO_,@function
_ZN7rocprim17ROCPRIM_400000_NS6detail17trampoline_kernelINS0_14default_configENS1_38merge_sort_block_merge_config_selectorIlNS0_10empty_typeEEEZZNS1_27merge_sort_block_merge_implIS3_PlPS5_mZN2at6native12_GLOBAL__N_124unique_dim_cuda_templateIN3c108BFloat16EEESt5tupleIJNSA_6TensorESH_SH_EERKSH_lbbbEUlllE_EE10hipError_tT0_T1_T2_jT3_P12ihipStream_tbPNSt15iterator_traitsISN_E10value_typeEPNST_ISO_E10value_typeEPSP_NS1_7vsmem_tEENKUlT_SN_SO_SP_E_clIS8_S8_S9_S9_EESM_S12_SN_SO_SP_EUlS12_E_NS1_11comp_targetILNS1_3genE9ELNS1_11target_archE1100ELNS1_3gpuE3ELNS1_3repE0EEENS1_48merge_mergepath_partition_config_static_selectorELNS0_4arch9wavefront6targetE0EEEvSO_: ; @_ZN7rocprim17ROCPRIM_400000_NS6detail17trampoline_kernelINS0_14default_configENS1_38merge_sort_block_merge_config_selectorIlNS0_10empty_typeEEEZZNS1_27merge_sort_block_merge_implIS3_PlPS5_mZN2at6native12_GLOBAL__N_124unique_dim_cuda_templateIN3c108BFloat16EEESt5tupleIJNSA_6TensorESH_SH_EERKSH_lbbbEUlllE_EE10hipError_tT0_T1_T2_jT3_P12ihipStream_tbPNSt15iterator_traitsISN_E10value_typeEPNST_ISO_E10value_typeEPSP_NS1_7vsmem_tEENKUlT_SN_SO_SP_E_clIS8_S8_S9_S9_EESM_S12_SN_SO_SP_EUlS12_E_NS1_11comp_targetILNS1_3genE9ELNS1_11target_archE1100ELNS1_3gpuE3ELNS1_3repE0EEENS1_48merge_mergepath_partition_config_static_selectorELNS0_4arch9wavefront6targetE0EEEvSO_
; %bb.0:
	s_load_b32 s2, s[0:1], 0x0
	v_lshl_or_b32 v0, s15, 7, v0
	s_waitcnt lgkmcnt(0)
	s_delay_alu instid0(VALU_DEP_1)
	v_cmp_gt_u32_e32 vcc_lo, s2, v0
	s_and_saveexec_b32 s2, vcc_lo
	s_cbranch_execz .LBB1130_15
; %bb.1:
	s_load_b128 s[4:7], s[0:1], 0x8
	s_mov_b32 s13, 0
	s_mov_b32 s12, exec_lo
	v_mov_b32_e32 v2, 0
	s_waitcnt lgkmcnt(0)
	v_alignbit_b32 v1, s5, s4, 9
	s_delay_alu instid0(VALU_DEP_1) | instskip(NEXT) | instid1(VALU_DEP_1)
	v_and_b32_e32 v3, -2, v1
	v_sub_nc_u32_e32 v1, 0, v3
	s_delay_alu instid0(VALU_DEP_1) | instskip(NEXT) | instid1(VALU_DEP_1)
	v_and_b32_e32 v1, v0, v1
	v_lshlrev_b64 v[4:5], 10, v[1:2]
	v_add_nc_u32_e32 v1, -1, v3
	s_delay_alu instid0(VALU_DEP_1) | instskip(NEXT) | instid1(VALU_DEP_3)
	v_dual_mov_b32 v11, v2 :: v_dual_and_b32 v10, v1, v0
	v_add_co_u32 v6, vcc_lo, v4, s4
	s_delay_alu instid0(VALU_DEP_4) | instskip(NEXT) | instid1(VALU_DEP_1)
	v_add_co_ci_u32_e32 v7, vcc_lo, s5, v5, vcc_lo
	v_cmp_lt_u64_e32 vcc_lo, s[6:7], v[6:7]
	v_cndmask_b32_e64 v8, v6, s6, vcc_lo
	v_cndmask_b32_e64 v9, v7, s7, vcc_lo
	s_delay_alu instid0(VALU_DEP_2) | instskip(NEXT) | instid1(VALU_DEP_2)
	v_add_co_u32 v6, vcc_lo, v8, s4
	v_add_co_ci_u32_e32 v7, vcc_lo, s5, v9, vcc_lo
	v_cmp_lt_u64_e32 vcc_lo, s[6:7], v[4:5]
	s_delay_alu instid0(VALU_DEP_2) | instskip(SKIP_3) | instid1(VALU_DEP_4)
	v_cmp_lt_u64_e64 s2, s[6:7], v[6:7]
	v_cndmask_b32_e64 v2, v4, s6, vcc_lo
	v_cndmask_b32_e64 v3, v5, s7, vcc_lo
	v_lshlrev_b64 v[4:5], 10, v[10:11]
	v_cndmask_b32_e64 v12, v6, s6, s2
	v_cndmask_b32_e64 v1, v7, s7, s2
	s_load_b256 s[4:11], s[0:1], 0x18
	s_delay_alu instid0(VALU_DEP_2) | instskip(NEXT) | instid1(VALU_DEP_2)
	v_sub_co_u32 v6, vcc_lo, v12, v2
	v_sub_co_ci_u32_e32 v7, vcc_lo, v1, v3, vcc_lo
	s_delay_alu instid0(VALU_DEP_1) | instskip(SKIP_3) | instid1(VALU_DEP_2)
	v_cmp_lt_u64_e32 vcc_lo, v[6:7], v[4:5]
	v_dual_cndmask_b32 v11, v5, v7 :: v_dual_cndmask_b32 v10, v4, v6
	v_sub_co_u32 v4, vcc_lo, v8, v12
	v_sub_co_ci_u32_e32 v1, vcc_lo, v9, v1, vcc_lo
	v_add_co_u32 v4, vcc_lo, v10, v4
	s_delay_alu instid0(VALU_DEP_2) | instskip(SKIP_2) | instid1(VALU_DEP_3)
	v_add_co_ci_u32_e32 v5, vcc_lo, v11, v1, vcc_lo
	v_sub_co_u32 v6, vcc_lo, v8, v2
	v_sub_co_ci_u32_e32 v7, vcc_lo, v9, v3, vcc_lo
	v_cmp_gt_u64_e32 vcc_lo, v[4:5], v[10:11]
	s_delay_alu instid0(VALU_DEP_2) | instskip(SKIP_2) | instid1(VALU_DEP_3)
	v_cmp_lt_u64_e64 s0, v[10:11], v[6:7]
	v_cndmask_b32_e64 v5, v5, 0, vcc_lo
	v_cndmask_b32_e64 v4, v4, 0, vcc_lo
	v_cndmask_b32_e64 v7, v7, v11, s0
	v_cndmask_b32_e64 v6, v6, v10, s0
	s_delay_alu instid0(VALU_DEP_1)
	v_cmpx_lt_u64_e64 v[4:5], v[6:7]
	s_cbranch_execz .LBB1130_14
; %bb.2:
	v_lshlrev_b64 v[8:9], 3, v[8:9]
	v_lshlrev_b64 v[12:13], 3, v[2:3]
	;; [unrolled: 1-line block ×3, first 2 shown]
	s_waitcnt lgkmcnt(0)
	s_lshl_b64 s[0:1], s[6:7], 1
	s_delay_alu instid0(VALU_DEP_3) | instskip(SKIP_3) | instid1(VALU_DEP_4)
	v_add_co_u32 v8, vcc_lo, s4, v8
	v_add_co_ci_u32_e32 v9, vcc_lo, s5, v9, vcc_lo
	v_add_co_u32 v1, vcc_lo, s4, v12
	v_add_co_ci_u32_e32 v14, vcc_lo, s5, v13, vcc_lo
	v_add_co_u32 v15, vcc_lo, v8, v10
	v_cmp_gt_i64_e64 s4, s[6:7], 0
	v_add_co_ci_u32_e32 v16, vcc_lo, v9, v11, vcc_lo
	s_branch .LBB1130_5
.LBB1130_3:                             ;   in Loop: Header=BB1130_5 Depth=1
	s_set_inst_prefetch_distance 0x2
	s_or_b32 exec_lo, exec_lo, s14
.LBB1130_4:                             ;   in Loop: Header=BB1130_5 Depth=1
	s_delay_alu instid0(VALU_DEP_1) | instskip(NEXT) | instid1(VALU_DEP_2)
	v_add_co_u32 v10, vcc_lo, v8, 1
	v_add_co_ci_u32_e32 v11, vcc_lo, 0, v9, vcc_lo
	v_cndmask_b32_e64 v7, v7, v9, s5
	v_cndmask_b32_e64 v6, v6, v8, s5
	s_delay_alu instid0(VALU_DEP_4) | instskip(NEXT) | instid1(VALU_DEP_4)
	v_cndmask_b32_e64 v4, v10, v4, s5
	v_cndmask_b32_e64 v5, v11, v5, s5
	s_delay_alu instid0(VALU_DEP_1) | instskip(SKIP_1) | instid1(SALU_CYCLE_1)
	v_cmp_ge_u64_e32 vcc_lo, v[4:5], v[6:7]
	s_or_b32 s13, vcc_lo, s13
	s_and_not1_b32 exec_lo, exec_lo, s13
	s_cbranch_execz .LBB1130_13
.LBB1130_5:                             ; =>This Loop Header: Depth=1
                                        ;     Child Loop BB1130_8 Depth 2
	v_add_co_u32 v8, vcc_lo, v6, v4
	v_add_co_ci_u32_e32 v9, vcc_lo, v7, v5, vcc_lo
	s_delay_alu instid0(VALU_DEP_4) | instskip(NEXT) | instid1(VALU_DEP_1)
	s_and_not1_b32 vcc_lo, exec_lo, s4
	v_lshrrev_b64 v[8:9], 1, v[8:9]
	s_cbranch_vccnz .LBB1130_12
; %bb.6:                                ;   in Loop: Header=BB1130_5 Depth=1
	s_delay_alu instid0(VALU_DEP_1) | instskip(NEXT) | instid1(VALU_DEP_2)
	v_not_b32_e32 v11, v9
	v_not_b32_e32 v10, v8
	v_lshlrev_b64 v[12:13], 3, v[8:9]
	s_mov_b32 s14, 0
	s_mov_b64 s[2:3], s[6:7]
                                        ; implicit-def: $sgpr5
                                        ; implicit-def: $sgpr15
                                        ; implicit-def: $sgpr16
	s_delay_alu instid0(VALU_DEP_2) | instskip(NEXT) | instid1(VALU_DEP_1)
	v_lshlrev_b64 v[10:11], 3, v[10:11]
	v_add_co_u32 v10, vcc_lo, v15, v10
	s_delay_alu instid0(VALU_DEP_2)
	v_add_co_ci_u32_e32 v11, vcc_lo, v16, v11, vcc_lo
	v_add_co_u32 v12, vcc_lo, v1, v12
	v_add_co_ci_u32_e32 v13, vcc_lo, v14, v13, vcc_lo
	s_clause 0x1
	global_load_b64 v[17:18], v[10:11], off
	global_load_b64 v[19:20], v[12:13], off
	s_waitcnt vmcnt(1)
	v_mul_lo_u32 v18, s0, v18
	v_mul_lo_u32 v21, s1, v17
	v_mad_u64_u32 v[10:11], null, s0, v17, s[8:9]
	s_waitcnt vmcnt(0)
	v_mul_lo_u32 v17, s0, v20
	v_mul_lo_u32 v20, s1, v19
	v_mad_u64_u32 v[12:13], null, s0, v19, s[8:9]
	s_delay_alu instid0(VALU_DEP_4) | instskip(NEXT) | instid1(VALU_DEP_2)
	v_add3_u32 v11, v21, v11, v18
	v_add3_u32 v13, v20, v13, v17
	s_set_inst_prefetch_distance 0x1
	s_branch .LBB1130_8
	.p2align	6
.LBB1130_7:                             ;   in Loop: Header=BB1130_8 Depth=2
	s_or_b32 exec_lo, exec_lo, s19
	s_delay_alu instid0(SALU_CYCLE_1) | instskip(NEXT) | instid1(SALU_CYCLE_1)
	s_and_b32 s17, exec_lo, s18
	s_or_b32 s14, s17, s14
	s_and_not1_b32 s5, s5, exec_lo
	s_and_b32 s17, s15, exec_lo
	s_delay_alu instid0(SALU_CYCLE_1)
	s_or_b32 s5, s5, s17
	s_and_not1_b32 exec_lo, exec_lo, s14
	s_cbranch_execz .LBB1130_3
.LBB1130_8:                             ;   Parent Loop BB1130_5 Depth=1
                                        ; =>  This Inner Loop Header: Depth=2
	global_load_u16 v17, v[10:11], off
	global_load_u16 v18, v[12:13], off
	s_mov_b32 s18, -1
	s_mov_b32 s20, 0
	s_mov_b32 s17, -1
	s_mov_b32 s19, exec_lo
	s_waitcnt vmcnt(1)
	v_lshlrev_b32_e32 v17, 16, v17
	s_waitcnt vmcnt(0)
	v_lshlrev_b32_e32 v18, 16, v18
	s_delay_alu instid0(VALU_DEP_1)
	v_cmpx_nlt_f32_e32 v17, v18
; %bb.9:                                ;   in Loop: Header=BB1130_8 Depth=2
	v_cmp_ngt_f32_e32 vcc_lo, v17, v18
	s_and_b32 s16, vcc_lo, s16
	s_and_b32 s20, vcc_lo, exec_lo
	s_or_not1_b32 s17, s16, exec_lo
; %bb.10:                               ;   in Loop: Header=BB1130_8 Depth=2
	s_or_b32 exec_lo, exec_lo, s19
	s_delay_alu instid0(SALU_CYCLE_1) | instskip(SKIP_1) | instid1(SALU_CYCLE_1)
	s_and_not1_b32 s15, s15, exec_lo
	s_and_b32 s16, s17, exec_lo
	s_or_b32 s15, s15, s16
                                        ; implicit-def: $sgpr16
	s_and_saveexec_b32 s19, s20
	s_cbranch_execz .LBB1130_7
; %bb.11:                               ;   in Loop: Header=BB1130_8 Depth=2
	s_add_u32 s2, s2, -1
	s_addc_u32 s3, s3, -1
	v_add_co_u32 v10, vcc_lo, v10, 2
	s_cmp_eq_u64 s[2:3], 0
	v_add_co_ci_u32_e32 v11, vcc_lo, 0, v11, vcc_lo
	v_add_co_u32 v12, vcc_lo, v12, 2
	s_cselect_b32 s18, -1, 0
	v_add_co_ci_u32_e32 v13, vcc_lo, 0, v13, vcc_lo
	s_and_not1_b32 s15, s15, exec_lo
	s_and_b32 s16, s17, exec_lo
	s_or_not1_b32 s18, s18, exec_lo
	s_branch .LBB1130_7
.LBB1130_12:                            ;   in Loop: Header=BB1130_5 Depth=1
	s_mov_b32 s5, 0
	s_branch .LBB1130_4
.LBB1130_13:
	s_or_b32 exec_lo, exec_lo, s13
.LBB1130_14:
	s_delay_alu instid0(SALU_CYCLE_1) | instskip(SKIP_3) | instid1(VALU_DEP_3)
	s_or_b32 exec_lo, exec_lo, s12
	v_mov_b32_e32 v1, 0
	v_add_co_u32 v2, vcc_lo, v4, v2
	v_add_co_ci_u32_e32 v3, vcc_lo, v5, v3, vcc_lo
	v_lshlrev_b64 v[0:1], 3, v[0:1]
	s_waitcnt lgkmcnt(0)
	s_delay_alu instid0(VALU_DEP_1) | instskip(NEXT) | instid1(VALU_DEP_2)
	v_add_co_u32 v0, vcc_lo, s10, v0
	v_add_co_ci_u32_e32 v1, vcc_lo, s11, v1, vcc_lo
	global_store_b64 v[0:1], v[2:3], off
.LBB1130_15:
	s_nop 0
	s_sendmsg sendmsg(MSG_DEALLOC_VGPRS)
	s_endpgm
	.section	.rodata,"a",@progbits
	.p2align	6, 0x0
	.amdhsa_kernel _ZN7rocprim17ROCPRIM_400000_NS6detail17trampoline_kernelINS0_14default_configENS1_38merge_sort_block_merge_config_selectorIlNS0_10empty_typeEEEZZNS1_27merge_sort_block_merge_implIS3_PlPS5_mZN2at6native12_GLOBAL__N_124unique_dim_cuda_templateIN3c108BFloat16EEESt5tupleIJNSA_6TensorESH_SH_EERKSH_lbbbEUlllE_EE10hipError_tT0_T1_T2_jT3_P12ihipStream_tbPNSt15iterator_traitsISN_E10value_typeEPNST_ISO_E10value_typeEPSP_NS1_7vsmem_tEENKUlT_SN_SO_SP_E_clIS8_S8_S9_S9_EESM_S12_SN_SO_SP_EUlS12_E_NS1_11comp_targetILNS1_3genE9ELNS1_11target_archE1100ELNS1_3gpuE3ELNS1_3repE0EEENS1_48merge_mergepath_partition_config_static_selectorELNS0_4arch9wavefront6targetE0EEEvSO_
		.amdhsa_group_segment_fixed_size 0
		.amdhsa_private_segment_fixed_size 0
		.amdhsa_kernarg_size 56
		.amdhsa_user_sgpr_count 15
		.amdhsa_user_sgpr_dispatch_ptr 0
		.amdhsa_user_sgpr_queue_ptr 0
		.amdhsa_user_sgpr_kernarg_segment_ptr 1
		.amdhsa_user_sgpr_dispatch_id 0
		.amdhsa_user_sgpr_private_segment_size 0
		.amdhsa_wavefront_size32 1
		.amdhsa_uses_dynamic_stack 0
		.amdhsa_enable_private_segment 0
		.amdhsa_system_sgpr_workgroup_id_x 1
		.amdhsa_system_sgpr_workgroup_id_y 0
		.amdhsa_system_sgpr_workgroup_id_z 0
		.amdhsa_system_sgpr_workgroup_info 0
		.amdhsa_system_vgpr_workitem_id 0
		.amdhsa_next_free_vgpr 22
		.amdhsa_next_free_sgpr 21
		.amdhsa_reserve_vcc 1
		.amdhsa_float_round_mode_32 0
		.amdhsa_float_round_mode_16_64 0
		.amdhsa_float_denorm_mode_32 3
		.amdhsa_float_denorm_mode_16_64 3
		.amdhsa_dx10_clamp 1
		.amdhsa_ieee_mode 1
		.amdhsa_fp16_overflow 0
		.amdhsa_workgroup_processor_mode 1
		.amdhsa_memory_ordered 1
		.amdhsa_forward_progress 0
		.amdhsa_shared_vgpr_count 0
		.amdhsa_exception_fp_ieee_invalid_op 0
		.amdhsa_exception_fp_denorm_src 0
		.amdhsa_exception_fp_ieee_div_zero 0
		.amdhsa_exception_fp_ieee_overflow 0
		.amdhsa_exception_fp_ieee_underflow 0
		.amdhsa_exception_fp_ieee_inexact 0
		.amdhsa_exception_int_div_zero 0
	.end_amdhsa_kernel
	.section	.text._ZN7rocprim17ROCPRIM_400000_NS6detail17trampoline_kernelINS0_14default_configENS1_38merge_sort_block_merge_config_selectorIlNS0_10empty_typeEEEZZNS1_27merge_sort_block_merge_implIS3_PlPS5_mZN2at6native12_GLOBAL__N_124unique_dim_cuda_templateIN3c108BFloat16EEESt5tupleIJNSA_6TensorESH_SH_EERKSH_lbbbEUlllE_EE10hipError_tT0_T1_T2_jT3_P12ihipStream_tbPNSt15iterator_traitsISN_E10value_typeEPNST_ISO_E10value_typeEPSP_NS1_7vsmem_tEENKUlT_SN_SO_SP_E_clIS8_S8_S9_S9_EESM_S12_SN_SO_SP_EUlS12_E_NS1_11comp_targetILNS1_3genE9ELNS1_11target_archE1100ELNS1_3gpuE3ELNS1_3repE0EEENS1_48merge_mergepath_partition_config_static_selectorELNS0_4arch9wavefront6targetE0EEEvSO_,"axG",@progbits,_ZN7rocprim17ROCPRIM_400000_NS6detail17trampoline_kernelINS0_14default_configENS1_38merge_sort_block_merge_config_selectorIlNS0_10empty_typeEEEZZNS1_27merge_sort_block_merge_implIS3_PlPS5_mZN2at6native12_GLOBAL__N_124unique_dim_cuda_templateIN3c108BFloat16EEESt5tupleIJNSA_6TensorESH_SH_EERKSH_lbbbEUlllE_EE10hipError_tT0_T1_T2_jT3_P12ihipStream_tbPNSt15iterator_traitsISN_E10value_typeEPNST_ISO_E10value_typeEPSP_NS1_7vsmem_tEENKUlT_SN_SO_SP_E_clIS8_S8_S9_S9_EESM_S12_SN_SO_SP_EUlS12_E_NS1_11comp_targetILNS1_3genE9ELNS1_11target_archE1100ELNS1_3gpuE3ELNS1_3repE0EEENS1_48merge_mergepath_partition_config_static_selectorELNS0_4arch9wavefront6targetE0EEEvSO_,comdat
.Lfunc_end1130:
	.size	_ZN7rocprim17ROCPRIM_400000_NS6detail17trampoline_kernelINS0_14default_configENS1_38merge_sort_block_merge_config_selectorIlNS0_10empty_typeEEEZZNS1_27merge_sort_block_merge_implIS3_PlPS5_mZN2at6native12_GLOBAL__N_124unique_dim_cuda_templateIN3c108BFloat16EEESt5tupleIJNSA_6TensorESH_SH_EERKSH_lbbbEUlllE_EE10hipError_tT0_T1_T2_jT3_P12ihipStream_tbPNSt15iterator_traitsISN_E10value_typeEPNST_ISO_E10value_typeEPSP_NS1_7vsmem_tEENKUlT_SN_SO_SP_E_clIS8_S8_S9_S9_EESM_S12_SN_SO_SP_EUlS12_E_NS1_11comp_targetILNS1_3genE9ELNS1_11target_archE1100ELNS1_3gpuE3ELNS1_3repE0EEENS1_48merge_mergepath_partition_config_static_selectorELNS0_4arch9wavefront6targetE0EEEvSO_, .Lfunc_end1130-_ZN7rocprim17ROCPRIM_400000_NS6detail17trampoline_kernelINS0_14default_configENS1_38merge_sort_block_merge_config_selectorIlNS0_10empty_typeEEEZZNS1_27merge_sort_block_merge_implIS3_PlPS5_mZN2at6native12_GLOBAL__N_124unique_dim_cuda_templateIN3c108BFloat16EEESt5tupleIJNSA_6TensorESH_SH_EERKSH_lbbbEUlllE_EE10hipError_tT0_T1_T2_jT3_P12ihipStream_tbPNSt15iterator_traitsISN_E10value_typeEPNST_ISO_E10value_typeEPSP_NS1_7vsmem_tEENKUlT_SN_SO_SP_E_clIS8_S8_S9_S9_EESM_S12_SN_SO_SP_EUlS12_E_NS1_11comp_targetILNS1_3genE9ELNS1_11target_archE1100ELNS1_3gpuE3ELNS1_3repE0EEENS1_48merge_mergepath_partition_config_static_selectorELNS0_4arch9wavefront6targetE0EEEvSO_
                                        ; -- End function
	.section	.AMDGPU.csdata,"",@progbits
; Kernel info:
; codeLenInByte = 1012
; NumSgprs: 23
; NumVgprs: 22
; ScratchSize: 0
; MemoryBound: 0
; FloatMode: 240
; IeeeMode: 1
; LDSByteSize: 0 bytes/workgroup (compile time only)
; SGPRBlocks: 2
; VGPRBlocks: 2
; NumSGPRsForWavesPerEU: 23
; NumVGPRsForWavesPerEU: 22
; Occupancy: 16
; WaveLimiterHint : 0
; COMPUTE_PGM_RSRC2:SCRATCH_EN: 0
; COMPUTE_PGM_RSRC2:USER_SGPR: 15
; COMPUTE_PGM_RSRC2:TRAP_HANDLER: 0
; COMPUTE_PGM_RSRC2:TGID_X_EN: 1
; COMPUTE_PGM_RSRC2:TGID_Y_EN: 0
; COMPUTE_PGM_RSRC2:TGID_Z_EN: 0
; COMPUTE_PGM_RSRC2:TIDIG_COMP_CNT: 0
	.section	.text._ZN7rocprim17ROCPRIM_400000_NS6detail17trampoline_kernelINS0_14default_configENS1_38merge_sort_block_merge_config_selectorIlNS0_10empty_typeEEEZZNS1_27merge_sort_block_merge_implIS3_PlPS5_mZN2at6native12_GLOBAL__N_124unique_dim_cuda_templateIN3c108BFloat16EEESt5tupleIJNSA_6TensorESH_SH_EERKSH_lbbbEUlllE_EE10hipError_tT0_T1_T2_jT3_P12ihipStream_tbPNSt15iterator_traitsISN_E10value_typeEPNST_ISO_E10value_typeEPSP_NS1_7vsmem_tEENKUlT_SN_SO_SP_E_clIS8_S8_S9_S9_EESM_S12_SN_SO_SP_EUlS12_E_NS1_11comp_targetILNS1_3genE8ELNS1_11target_archE1030ELNS1_3gpuE2ELNS1_3repE0EEENS1_48merge_mergepath_partition_config_static_selectorELNS0_4arch9wavefront6targetE0EEEvSO_,"axG",@progbits,_ZN7rocprim17ROCPRIM_400000_NS6detail17trampoline_kernelINS0_14default_configENS1_38merge_sort_block_merge_config_selectorIlNS0_10empty_typeEEEZZNS1_27merge_sort_block_merge_implIS3_PlPS5_mZN2at6native12_GLOBAL__N_124unique_dim_cuda_templateIN3c108BFloat16EEESt5tupleIJNSA_6TensorESH_SH_EERKSH_lbbbEUlllE_EE10hipError_tT0_T1_T2_jT3_P12ihipStream_tbPNSt15iterator_traitsISN_E10value_typeEPNST_ISO_E10value_typeEPSP_NS1_7vsmem_tEENKUlT_SN_SO_SP_E_clIS8_S8_S9_S9_EESM_S12_SN_SO_SP_EUlS12_E_NS1_11comp_targetILNS1_3genE8ELNS1_11target_archE1030ELNS1_3gpuE2ELNS1_3repE0EEENS1_48merge_mergepath_partition_config_static_selectorELNS0_4arch9wavefront6targetE0EEEvSO_,comdat
	.globl	_ZN7rocprim17ROCPRIM_400000_NS6detail17trampoline_kernelINS0_14default_configENS1_38merge_sort_block_merge_config_selectorIlNS0_10empty_typeEEEZZNS1_27merge_sort_block_merge_implIS3_PlPS5_mZN2at6native12_GLOBAL__N_124unique_dim_cuda_templateIN3c108BFloat16EEESt5tupleIJNSA_6TensorESH_SH_EERKSH_lbbbEUlllE_EE10hipError_tT0_T1_T2_jT3_P12ihipStream_tbPNSt15iterator_traitsISN_E10value_typeEPNST_ISO_E10value_typeEPSP_NS1_7vsmem_tEENKUlT_SN_SO_SP_E_clIS8_S8_S9_S9_EESM_S12_SN_SO_SP_EUlS12_E_NS1_11comp_targetILNS1_3genE8ELNS1_11target_archE1030ELNS1_3gpuE2ELNS1_3repE0EEENS1_48merge_mergepath_partition_config_static_selectorELNS0_4arch9wavefront6targetE0EEEvSO_ ; -- Begin function _ZN7rocprim17ROCPRIM_400000_NS6detail17trampoline_kernelINS0_14default_configENS1_38merge_sort_block_merge_config_selectorIlNS0_10empty_typeEEEZZNS1_27merge_sort_block_merge_implIS3_PlPS5_mZN2at6native12_GLOBAL__N_124unique_dim_cuda_templateIN3c108BFloat16EEESt5tupleIJNSA_6TensorESH_SH_EERKSH_lbbbEUlllE_EE10hipError_tT0_T1_T2_jT3_P12ihipStream_tbPNSt15iterator_traitsISN_E10value_typeEPNST_ISO_E10value_typeEPSP_NS1_7vsmem_tEENKUlT_SN_SO_SP_E_clIS8_S8_S9_S9_EESM_S12_SN_SO_SP_EUlS12_E_NS1_11comp_targetILNS1_3genE8ELNS1_11target_archE1030ELNS1_3gpuE2ELNS1_3repE0EEENS1_48merge_mergepath_partition_config_static_selectorELNS0_4arch9wavefront6targetE0EEEvSO_
	.p2align	8
	.type	_ZN7rocprim17ROCPRIM_400000_NS6detail17trampoline_kernelINS0_14default_configENS1_38merge_sort_block_merge_config_selectorIlNS0_10empty_typeEEEZZNS1_27merge_sort_block_merge_implIS3_PlPS5_mZN2at6native12_GLOBAL__N_124unique_dim_cuda_templateIN3c108BFloat16EEESt5tupleIJNSA_6TensorESH_SH_EERKSH_lbbbEUlllE_EE10hipError_tT0_T1_T2_jT3_P12ihipStream_tbPNSt15iterator_traitsISN_E10value_typeEPNST_ISO_E10value_typeEPSP_NS1_7vsmem_tEENKUlT_SN_SO_SP_E_clIS8_S8_S9_S9_EESM_S12_SN_SO_SP_EUlS12_E_NS1_11comp_targetILNS1_3genE8ELNS1_11target_archE1030ELNS1_3gpuE2ELNS1_3repE0EEENS1_48merge_mergepath_partition_config_static_selectorELNS0_4arch9wavefront6targetE0EEEvSO_,@function
_ZN7rocprim17ROCPRIM_400000_NS6detail17trampoline_kernelINS0_14default_configENS1_38merge_sort_block_merge_config_selectorIlNS0_10empty_typeEEEZZNS1_27merge_sort_block_merge_implIS3_PlPS5_mZN2at6native12_GLOBAL__N_124unique_dim_cuda_templateIN3c108BFloat16EEESt5tupleIJNSA_6TensorESH_SH_EERKSH_lbbbEUlllE_EE10hipError_tT0_T1_T2_jT3_P12ihipStream_tbPNSt15iterator_traitsISN_E10value_typeEPNST_ISO_E10value_typeEPSP_NS1_7vsmem_tEENKUlT_SN_SO_SP_E_clIS8_S8_S9_S9_EESM_S12_SN_SO_SP_EUlS12_E_NS1_11comp_targetILNS1_3genE8ELNS1_11target_archE1030ELNS1_3gpuE2ELNS1_3repE0EEENS1_48merge_mergepath_partition_config_static_selectorELNS0_4arch9wavefront6targetE0EEEvSO_: ; @_ZN7rocprim17ROCPRIM_400000_NS6detail17trampoline_kernelINS0_14default_configENS1_38merge_sort_block_merge_config_selectorIlNS0_10empty_typeEEEZZNS1_27merge_sort_block_merge_implIS3_PlPS5_mZN2at6native12_GLOBAL__N_124unique_dim_cuda_templateIN3c108BFloat16EEESt5tupleIJNSA_6TensorESH_SH_EERKSH_lbbbEUlllE_EE10hipError_tT0_T1_T2_jT3_P12ihipStream_tbPNSt15iterator_traitsISN_E10value_typeEPNST_ISO_E10value_typeEPSP_NS1_7vsmem_tEENKUlT_SN_SO_SP_E_clIS8_S8_S9_S9_EESM_S12_SN_SO_SP_EUlS12_E_NS1_11comp_targetILNS1_3genE8ELNS1_11target_archE1030ELNS1_3gpuE2ELNS1_3repE0EEENS1_48merge_mergepath_partition_config_static_selectorELNS0_4arch9wavefront6targetE0EEEvSO_
; %bb.0:
	.section	.rodata,"a",@progbits
	.p2align	6, 0x0
	.amdhsa_kernel _ZN7rocprim17ROCPRIM_400000_NS6detail17trampoline_kernelINS0_14default_configENS1_38merge_sort_block_merge_config_selectorIlNS0_10empty_typeEEEZZNS1_27merge_sort_block_merge_implIS3_PlPS5_mZN2at6native12_GLOBAL__N_124unique_dim_cuda_templateIN3c108BFloat16EEESt5tupleIJNSA_6TensorESH_SH_EERKSH_lbbbEUlllE_EE10hipError_tT0_T1_T2_jT3_P12ihipStream_tbPNSt15iterator_traitsISN_E10value_typeEPNST_ISO_E10value_typeEPSP_NS1_7vsmem_tEENKUlT_SN_SO_SP_E_clIS8_S8_S9_S9_EESM_S12_SN_SO_SP_EUlS12_E_NS1_11comp_targetILNS1_3genE8ELNS1_11target_archE1030ELNS1_3gpuE2ELNS1_3repE0EEENS1_48merge_mergepath_partition_config_static_selectorELNS0_4arch9wavefront6targetE0EEEvSO_
		.amdhsa_group_segment_fixed_size 0
		.amdhsa_private_segment_fixed_size 0
		.amdhsa_kernarg_size 56
		.amdhsa_user_sgpr_count 15
		.amdhsa_user_sgpr_dispatch_ptr 0
		.amdhsa_user_sgpr_queue_ptr 0
		.amdhsa_user_sgpr_kernarg_segment_ptr 1
		.amdhsa_user_sgpr_dispatch_id 0
		.amdhsa_user_sgpr_private_segment_size 0
		.amdhsa_wavefront_size32 1
		.amdhsa_uses_dynamic_stack 0
		.amdhsa_enable_private_segment 0
		.amdhsa_system_sgpr_workgroup_id_x 1
		.amdhsa_system_sgpr_workgroup_id_y 0
		.amdhsa_system_sgpr_workgroup_id_z 0
		.amdhsa_system_sgpr_workgroup_info 0
		.amdhsa_system_vgpr_workitem_id 0
		.amdhsa_next_free_vgpr 1
		.amdhsa_next_free_sgpr 1
		.amdhsa_reserve_vcc 0
		.amdhsa_float_round_mode_32 0
		.amdhsa_float_round_mode_16_64 0
		.amdhsa_float_denorm_mode_32 3
		.amdhsa_float_denorm_mode_16_64 3
		.amdhsa_dx10_clamp 1
		.amdhsa_ieee_mode 1
		.amdhsa_fp16_overflow 0
		.amdhsa_workgroup_processor_mode 1
		.amdhsa_memory_ordered 1
		.amdhsa_forward_progress 0
		.amdhsa_shared_vgpr_count 0
		.amdhsa_exception_fp_ieee_invalid_op 0
		.amdhsa_exception_fp_denorm_src 0
		.amdhsa_exception_fp_ieee_div_zero 0
		.amdhsa_exception_fp_ieee_overflow 0
		.amdhsa_exception_fp_ieee_underflow 0
		.amdhsa_exception_fp_ieee_inexact 0
		.amdhsa_exception_int_div_zero 0
	.end_amdhsa_kernel
	.section	.text._ZN7rocprim17ROCPRIM_400000_NS6detail17trampoline_kernelINS0_14default_configENS1_38merge_sort_block_merge_config_selectorIlNS0_10empty_typeEEEZZNS1_27merge_sort_block_merge_implIS3_PlPS5_mZN2at6native12_GLOBAL__N_124unique_dim_cuda_templateIN3c108BFloat16EEESt5tupleIJNSA_6TensorESH_SH_EERKSH_lbbbEUlllE_EE10hipError_tT0_T1_T2_jT3_P12ihipStream_tbPNSt15iterator_traitsISN_E10value_typeEPNST_ISO_E10value_typeEPSP_NS1_7vsmem_tEENKUlT_SN_SO_SP_E_clIS8_S8_S9_S9_EESM_S12_SN_SO_SP_EUlS12_E_NS1_11comp_targetILNS1_3genE8ELNS1_11target_archE1030ELNS1_3gpuE2ELNS1_3repE0EEENS1_48merge_mergepath_partition_config_static_selectorELNS0_4arch9wavefront6targetE0EEEvSO_,"axG",@progbits,_ZN7rocprim17ROCPRIM_400000_NS6detail17trampoline_kernelINS0_14default_configENS1_38merge_sort_block_merge_config_selectorIlNS0_10empty_typeEEEZZNS1_27merge_sort_block_merge_implIS3_PlPS5_mZN2at6native12_GLOBAL__N_124unique_dim_cuda_templateIN3c108BFloat16EEESt5tupleIJNSA_6TensorESH_SH_EERKSH_lbbbEUlllE_EE10hipError_tT0_T1_T2_jT3_P12ihipStream_tbPNSt15iterator_traitsISN_E10value_typeEPNST_ISO_E10value_typeEPSP_NS1_7vsmem_tEENKUlT_SN_SO_SP_E_clIS8_S8_S9_S9_EESM_S12_SN_SO_SP_EUlS12_E_NS1_11comp_targetILNS1_3genE8ELNS1_11target_archE1030ELNS1_3gpuE2ELNS1_3repE0EEENS1_48merge_mergepath_partition_config_static_selectorELNS0_4arch9wavefront6targetE0EEEvSO_,comdat
.Lfunc_end1131:
	.size	_ZN7rocprim17ROCPRIM_400000_NS6detail17trampoline_kernelINS0_14default_configENS1_38merge_sort_block_merge_config_selectorIlNS0_10empty_typeEEEZZNS1_27merge_sort_block_merge_implIS3_PlPS5_mZN2at6native12_GLOBAL__N_124unique_dim_cuda_templateIN3c108BFloat16EEESt5tupleIJNSA_6TensorESH_SH_EERKSH_lbbbEUlllE_EE10hipError_tT0_T1_T2_jT3_P12ihipStream_tbPNSt15iterator_traitsISN_E10value_typeEPNST_ISO_E10value_typeEPSP_NS1_7vsmem_tEENKUlT_SN_SO_SP_E_clIS8_S8_S9_S9_EESM_S12_SN_SO_SP_EUlS12_E_NS1_11comp_targetILNS1_3genE8ELNS1_11target_archE1030ELNS1_3gpuE2ELNS1_3repE0EEENS1_48merge_mergepath_partition_config_static_selectorELNS0_4arch9wavefront6targetE0EEEvSO_, .Lfunc_end1131-_ZN7rocprim17ROCPRIM_400000_NS6detail17trampoline_kernelINS0_14default_configENS1_38merge_sort_block_merge_config_selectorIlNS0_10empty_typeEEEZZNS1_27merge_sort_block_merge_implIS3_PlPS5_mZN2at6native12_GLOBAL__N_124unique_dim_cuda_templateIN3c108BFloat16EEESt5tupleIJNSA_6TensorESH_SH_EERKSH_lbbbEUlllE_EE10hipError_tT0_T1_T2_jT3_P12ihipStream_tbPNSt15iterator_traitsISN_E10value_typeEPNST_ISO_E10value_typeEPSP_NS1_7vsmem_tEENKUlT_SN_SO_SP_E_clIS8_S8_S9_S9_EESM_S12_SN_SO_SP_EUlS12_E_NS1_11comp_targetILNS1_3genE8ELNS1_11target_archE1030ELNS1_3gpuE2ELNS1_3repE0EEENS1_48merge_mergepath_partition_config_static_selectorELNS0_4arch9wavefront6targetE0EEEvSO_
                                        ; -- End function
	.section	.AMDGPU.csdata,"",@progbits
; Kernel info:
; codeLenInByte = 0
; NumSgprs: 0
; NumVgprs: 0
; ScratchSize: 0
; MemoryBound: 0
; FloatMode: 240
; IeeeMode: 1
; LDSByteSize: 0 bytes/workgroup (compile time only)
; SGPRBlocks: 0
; VGPRBlocks: 0
; NumSGPRsForWavesPerEU: 1
; NumVGPRsForWavesPerEU: 1
; Occupancy: 16
; WaveLimiterHint : 0
; COMPUTE_PGM_RSRC2:SCRATCH_EN: 0
; COMPUTE_PGM_RSRC2:USER_SGPR: 15
; COMPUTE_PGM_RSRC2:TRAP_HANDLER: 0
; COMPUTE_PGM_RSRC2:TGID_X_EN: 1
; COMPUTE_PGM_RSRC2:TGID_Y_EN: 0
; COMPUTE_PGM_RSRC2:TGID_Z_EN: 0
; COMPUTE_PGM_RSRC2:TIDIG_COMP_CNT: 0
	.section	.text._ZN7rocprim17ROCPRIM_400000_NS6detail17trampoline_kernelINS0_14default_configENS1_38merge_sort_block_merge_config_selectorIlNS0_10empty_typeEEEZZNS1_27merge_sort_block_merge_implIS3_PlPS5_mZN2at6native12_GLOBAL__N_124unique_dim_cuda_templateIN3c108BFloat16EEESt5tupleIJNSA_6TensorESH_SH_EERKSH_lbbbEUlllE_EE10hipError_tT0_T1_T2_jT3_P12ihipStream_tbPNSt15iterator_traitsISN_E10value_typeEPNST_ISO_E10value_typeEPSP_NS1_7vsmem_tEENKUlT_SN_SO_SP_E_clIS8_S8_S9_S9_EESM_S12_SN_SO_SP_EUlS12_E0_NS1_11comp_targetILNS1_3genE0ELNS1_11target_archE4294967295ELNS1_3gpuE0ELNS1_3repE0EEENS1_38merge_mergepath_config_static_selectorELNS0_4arch9wavefront6targetE0EEEvSO_,"axG",@progbits,_ZN7rocprim17ROCPRIM_400000_NS6detail17trampoline_kernelINS0_14default_configENS1_38merge_sort_block_merge_config_selectorIlNS0_10empty_typeEEEZZNS1_27merge_sort_block_merge_implIS3_PlPS5_mZN2at6native12_GLOBAL__N_124unique_dim_cuda_templateIN3c108BFloat16EEESt5tupleIJNSA_6TensorESH_SH_EERKSH_lbbbEUlllE_EE10hipError_tT0_T1_T2_jT3_P12ihipStream_tbPNSt15iterator_traitsISN_E10value_typeEPNST_ISO_E10value_typeEPSP_NS1_7vsmem_tEENKUlT_SN_SO_SP_E_clIS8_S8_S9_S9_EESM_S12_SN_SO_SP_EUlS12_E0_NS1_11comp_targetILNS1_3genE0ELNS1_11target_archE4294967295ELNS1_3gpuE0ELNS1_3repE0EEENS1_38merge_mergepath_config_static_selectorELNS0_4arch9wavefront6targetE0EEEvSO_,comdat
	.globl	_ZN7rocprim17ROCPRIM_400000_NS6detail17trampoline_kernelINS0_14default_configENS1_38merge_sort_block_merge_config_selectorIlNS0_10empty_typeEEEZZNS1_27merge_sort_block_merge_implIS3_PlPS5_mZN2at6native12_GLOBAL__N_124unique_dim_cuda_templateIN3c108BFloat16EEESt5tupleIJNSA_6TensorESH_SH_EERKSH_lbbbEUlllE_EE10hipError_tT0_T1_T2_jT3_P12ihipStream_tbPNSt15iterator_traitsISN_E10value_typeEPNST_ISO_E10value_typeEPSP_NS1_7vsmem_tEENKUlT_SN_SO_SP_E_clIS8_S8_S9_S9_EESM_S12_SN_SO_SP_EUlS12_E0_NS1_11comp_targetILNS1_3genE0ELNS1_11target_archE4294967295ELNS1_3gpuE0ELNS1_3repE0EEENS1_38merge_mergepath_config_static_selectorELNS0_4arch9wavefront6targetE0EEEvSO_ ; -- Begin function _ZN7rocprim17ROCPRIM_400000_NS6detail17trampoline_kernelINS0_14default_configENS1_38merge_sort_block_merge_config_selectorIlNS0_10empty_typeEEEZZNS1_27merge_sort_block_merge_implIS3_PlPS5_mZN2at6native12_GLOBAL__N_124unique_dim_cuda_templateIN3c108BFloat16EEESt5tupleIJNSA_6TensorESH_SH_EERKSH_lbbbEUlllE_EE10hipError_tT0_T1_T2_jT3_P12ihipStream_tbPNSt15iterator_traitsISN_E10value_typeEPNST_ISO_E10value_typeEPSP_NS1_7vsmem_tEENKUlT_SN_SO_SP_E_clIS8_S8_S9_S9_EESM_S12_SN_SO_SP_EUlS12_E0_NS1_11comp_targetILNS1_3genE0ELNS1_11target_archE4294967295ELNS1_3gpuE0ELNS1_3repE0EEENS1_38merge_mergepath_config_static_selectorELNS0_4arch9wavefront6targetE0EEEvSO_
	.p2align	8
	.type	_ZN7rocprim17ROCPRIM_400000_NS6detail17trampoline_kernelINS0_14default_configENS1_38merge_sort_block_merge_config_selectorIlNS0_10empty_typeEEEZZNS1_27merge_sort_block_merge_implIS3_PlPS5_mZN2at6native12_GLOBAL__N_124unique_dim_cuda_templateIN3c108BFloat16EEESt5tupleIJNSA_6TensorESH_SH_EERKSH_lbbbEUlllE_EE10hipError_tT0_T1_T2_jT3_P12ihipStream_tbPNSt15iterator_traitsISN_E10value_typeEPNST_ISO_E10value_typeEPSP_NS1_7vsmem_tEENKUlT_SN_SO_SP_E_clIS8_S8_S9_S9_EESM_S12_SN_SO_SP_EUlS12_E0_NS1_11comp_targetILNS1_3genE0ELNS1_11target_archE4294967295ELNS1_3gpuE0ELNS1_3repE0EEENS1_38merge_mergepath_config_static_selectorELNS0_4arch9wavefront6targetE0EEEvSO_,@function
_ZN7rocprim17ROCPRIM_400000_NS6detail17trampoline_kernelINS0_14default_configENS1_38merge_sort_block_merge_config_selectorIlNS0_10empty_typeEEEZZNS1_27merge_sort_block_merge_implIS3_PlPS5_mZN2at6native12_GLOBAL__N_124unique_dim_cuda_templateIN3c108BFloat16EEESt5tupleIJNSA_6TensorESH_SH_EERKSH_lbbbEUlllE_EE10hipError_tT0_T1_T2_jT3_P12ihipStream_tbPNSt15iterator_traitsISN_E10value_typeEPNST_ISO_E10value_typeEPSP_NS1_7vsmem_tEENKUlT_SN_SO_SP_E_clIS8_S8_S9_S9_EESM_S12_SN_SO_SP_EUlS12_E0_NS1_11comp_targetILNS1_3genE0ELNS1_11target_archE4294967295ELNS1_3gpuE0ELNS1_3repE0EEENS1_38merge_mergepath_config_static_selectorELNS0_4arch9wavefront6targetE0EEEvSO_: ; @_ZN7rocprim17ROCPRIM_400000_NS6detail17trampoline_kernelINS0_14default_configENS1_38merge_sort_block_merge_config_selectorIlNS0_10empty_typeEEEZZNS1_27merge_sort_block_merge_implIS3_PlPS5_mZN2at6native12_GLOBAL__N_124unique_dim_cuda_templateIN3c108BFloat16EEESt5tupleIJNSA_6TensorESH_SH_EERKSH_lbbbEUlllE_EE10hipError_tT0_T1_T2_jT3_P12ihipStream_tbPNSt15iterator_traitsISN_E10value_typeEPNST_ISO_E10value_typeEPSP_NS1_7vsmem_tEENKUlT_SN_SO_SP_E_clIS8_S8_S9_S9_EESM_S12_SN_SO_SP_EUlS12_E0_NS1_11comp_targetILNS1_3genE0ELNS1_11target_archE4294967295ELNS1_3gpuE0ELNS1_3repE0EEENS1_38merge_mergepath_config_static_selectorELNS0_4arch9wavefront6targetE0EEEvSO_
; %bb.0:
	.section	.rodata,"a",@progbits
	.p2align	6, 0x0
	.amdhsa_kernel _ZN7rocprim17ROCPRIM_400000_NS6detail17trampoline_kernelINS0_14default_configENS1_38merge_sort_block_merge_config_selectorIlNS0_10empty_typeEEEZZNS1_27merge_sort_block_merge_implIS3_PlPS5_mZN2at6native12_GLOBAL__N_124unique_dim_cuda_templateIN3c108BFloat16EEESt5tupleIJNSA_6TensorESH_SH_EERKSH_lbbbEUlllE_EE10hipError_tT0_T1_T2_jT3_P12ihipStream_tbPNSt15iterator_traitsISN_E10value_typeEPNST_ISO_E10value_typeEPSP_NS1_7vsmem_tEENKUlT_SN_SO_SP_E_clIS8_S8_S9_S9_EESM_S12_SN_SO_SP_EUlS12_E0_NS1_11comp_targetILNS1_3genE0ELNS1_11target_archE4294967295ELNS1_3gpuE0ELNS1_3repE0EEENS1_38merge_mergepath_config_static_selectorELNS0_4arch9wavefront6targetE0EEEvSO_
		.amdhsa_group_segment_fixed_size 0
		.amdhsa_private_segment_fixed_size 0
		.amdhsa_kernarg_size 88
		.amdhsa_user_sgpr_count 15
		.amdhsa_user_sgpr_dispatch_ptr 0
		.amdhsa_user_sgpr_queue_ptr 0
		.amdhsa_user_sgpr_kernarg_segment_ptr 1
		.amdhsa_user_sgpr_dispatch_id 0
		.amdhsa_user_sgpr_private_segment_size 0
		.amdhsa_wavefront_size32 1
		.amdhsa_uses_dynamic_stack 0
		.amdhsa_enable_private_segment 0
		.amdhsa_system_sgpr_workgroup_id_x 1
		.amdhsa_system_sgpr_workgroup_id_y 0
		.amdhsa_system_sgpr_workgroup_id_z 0
		.amdhsa_system_sgpr_workgroup_info 0
		.amdhsa_system_vgpr_workitem_id 0
		.amdhsa_next_free_vgpr 1
		.amdhsa_next_free_sgpr 1
		.amdhsa_reserve_vcc 0
		.amdhsa_float_round_mode_32 0
		.amdhsa_float_round_mode_16_64 0
		.amdhsa_float_denorm_mode_32 3
		.amdhsa_float_denorm_mode_16_64 3
		.amdhsa_dx10_clamp 1
		.amdhsa_ieee_mode 1
		.amdhsa_fp16_overflow 0
		.amdhsa_workgroup_processor_mode 1
		.amdhsa_memory_ordered 1
		.amdhsa_forward_progress 0
		.amdhsa_shared_vgpr_count 0
		.amdhsa_exception_fp_ieee_invalid_op 0
		.amdhsa_exception_fp_denorm_src 0
		.amdhsa_exception_fp_ieee_div_zero 0
		.amdhsa_exception_fp_ieee_overflow 0
		.amdhsa_exception_fp_ieee_underflow 0
		.amdhsa_exception_fp_ieee_inexact 0
		.amdhsa_exception_int_div_zero 0
	.end_amdhsa_kernel
	.section	.text._ZN7rocprim17ROCPRIM_400000_NS6detail17trampoline_kernelINS0_14default_configENS1_38merge_sort_block_merge_config_selectorIlNS0_10empty_typeEEEZZNS1_27merge_sort_block_merge_implIS3_PlPS5_mZN2at6native12_GLOBAL__N_124unique_dim_cuda_templateIN3c108BFloat16EEESt5tupleIJNSA_6TensorESH_SH_EERKSH_lbbbEUlllE_EE10hipError_tT0_T1_T2_jT3_P12ihipStream_tbPNSt15iterator_traitsISN_E10value_typeEPNST_ISO_E10value_typeEPSP_NS1_7vsmem_tEENKUlT_SN_SO_SP_E_clIS8_S8_S9_S9_EESM_S12_SN_SO_SP_EUlS12_E0_NS1_11comp_targetILNS1_3genE0ELNS1_11target_archE4294967295ELNS1_3gpuE0ELNS1_3repE0EEENS1_38merge_mergepath_config_static_selectorELNS0_4arch9wavefront6targetE0EEEvSO_,"axG",@progbits,_ZN7rocprim17ROCPRIM_400000_NS6detail17trampoline_kernelINS0_14default_configENS1_38merge_sort_block_merge_config_selectorIlNS0_10empty_typeEEEZZNS1_27merge_sort_block_merge_implIS3_PlPS5_mZN2at6native12_GLOBAL__N_124unique_dim_cuda_templateIN3c108BFloat16EEESt5tupleIJNSA_6TensorESH_SH_EERKSH_lbbbEUlllE_EE10hipError_tT0_T1_T2_jT3_P12ihipStream_tbPNSt15iterator_traitsISN_E10value_typeEPNST_ISO_E10value_typeEPSP_NS1_7vsmem_tEENKUlT_SN_SO_SP_E_clIS8_S8_S9_S9_EESM_S12_SN_SO_SP_EUlS12_E0_NS1_11comp_targetILNS1_3genE0ELNS1_11target_archE4294967295ELNS1_3gpuE0ELNS1_3repE0EEENS1_38merge_mergepath_config_static_selectorELNS0_4arch9wavefront6targetE0EEEvSO_,comdat
.Lfunc_end1132:
	.size	_ZN7rocprim17ROCPRIM_400000_NS6detail17trampoline_kernelINS0_14default_configENS1_38merge_sort_block_merge_config_selectorIlNS0_10empty_typeEEEZZNS1_27merge_sort_block_merge_implIS3_PlPS5_mZN2at6native12_GLOBAL__N_124unique_dim_cuda_templateIN3c108BFloat16EEESt5tupleIJNSA_6TensorESH_SH_EERKSH_lbbbEUlllE_EE10hipError_tT0_T1_T2_jT3_P12ihipStream_tbPNSt15iterator_traitsISN_E10value_typeEPNST_ISO_E10value_typeEPSP_NS1_7vsmem_tEENKUlT_SN_SO_SP_E_clIS8_S8_S9_S9_EESM_S12_SN_SO_SP_EUlS12_E0_NS1_11comp_targetILNS1_3genE0ELNS1_11target_archE4294967295ELNS1_3gpuE0ELNS1_3repE0EEENS1_38merge_mergepath_config_static_selectorELNS0_4arch9wavefront6targetE0EEEvSO_, .Lfunc_end1132-_ZN7rocprim17ROCPRIM_400000_NS6detail17trampoline_kernelINS0_14default_configENS1_38merge_sort_block_merge_config_selectorIlNS0_10empty_typeEEEZZNS1_27merge_sort_block_merge_implIS3_PlPS5_mZN2at6native12_GLOBAL__N_124unique_dim_cuda_templateIN3c108BFloat16EEESt5tupleIJNSA_6TensorESH_SH_EERKSH_lbbbEUlllE_EE10hipError_tT0_T1_T2_jT3_P12ihipStream_tbPNSt15iterator_traitsISN_E10value_typeEPNST_ISO_E10value_typeEPSP_NS1_7vsmem_tEENKUlT_SN_SO_SP_E_clIS8_S8_S9_S9_EESM_S12_SN_SO_SP_EUlS12_E0_NS1_11comp_targetILNS1_3genE0ELNS1_11target_archE4294967295ELNS1_3gpuE0ELNS1_3repE0EEENS1_38merge_mergepath_config_static_selectorELNS0_4arch9wavefront6targetE0EEEvSO_
                                        ; -- End function
	.section	.AMDGPU.csdata,"",@progbits
; Kernel info:
; codeLenInByte = 0
; NumSgprs: 0
; NumVgprs: 0
; ScratchSize: 0
; MemoryBound: 0
; FloatMode: 240
; IeeeMode: 1
; LDSByteSize: 0 bytes/workgroup (compile time only)
; SGPRBlocks: 0
; VGPRBlocks: 0
; NumSGPRsForWavesPerEU: 1
; NumVGPRsForWavesPerEU: 1
; Occupancy: 16
; WaveLimiterHint : 0
; COMPUTE_PGM_RSRC2:SCRATCH_EN: 0
; COMPUTE_PGM_RSRC2:USER_SGPR: 15
; COMPUTE_PGM_RSRC2:TRAP_HANDLER: 0
; COMPUTE_PGM_RSRC2:TGID_X_EN: 1
; COMPUTE_PGM_RSRC2:TGID_Y_EN: 0
; COMPUTE_PGM_RSRC2:TGID_Z_EN: 0
; COMPUTE_PGM_RSRC2:TIDIG_COMP_CNT: 0
	.section	.text._ZN7rocprim17ROCPRIM_400000_NS6detail17trampoline_kernelINS0_14default_configENS1_38merge_sort_block_merge_config_selectorIlNS0_10empty_typeEEEZZNS1_27merge_sort_block_merge_implIS3_PlPS5_mZN2at6native12_GLOBAL__N_124unique_dim_cuda_templateIN3c108BFloat16EEESt5tupleIJNSA_6TensorESH_SH_EERKSH_lbbbEUlllE_EE10hipError_tT0_T1_T2_jT3_P12ihipStream_tbPNSt15iterator_traitsISN_E10value_typeEPNST_ISO_E10value_typeEPSP_NS1_7vsmem_tEENKUlT_SN_SO_SP_E_clIS8_S8_S9_S9_EESM_S12_SN_SO_SP_EUlS12_E0_NS1_11comp_targetILNS1_3genE10ELNS1_11target_archE1201ELNS1_3gpuE5ELNS1_3repE0EEENS1_38merge_mergepath_config_static_selectorELNS0_4arch9wavefront6targetE0EEEvSO_,"axG",@progbits,_ZN7rocprim17ROCPRIM_400000_NS6detail17trampoline_kernelINS0_14default_configENS1_38merge_sort_block_merge_config_selectorIlNS0_10empty_typeEEEZZNS1_27merge_sort_block_merge_implIS3_PlPS5_mZN2at6native12_GLOBAL__N_124unique_dim_cuda_templateIN3c108BFloat16EEESt5tupleIJNSA_6TensorESH_SH_EERKSH_lbbbEUlllE_EE10hipError_tT0_T1_T2_jT3_P12ihipStream_tbPNSt15iterator_traitsISN_E10value_typeEPNST_ISO_E10value_typeEPSP_NS1_7vsmem_tEENKUlT_SN_SO_SP_E_clIS8_S8_S9_S9_EESM_S12_SN_SO_SP_EUlS12_E0_NS1_11comp_targetILNS1_3genE10ELNS1_11target_archE1201ELNS1_3gpuE5ELNS1_3repE0EEENS1_38merge_mergepath_config_static_selectorELNS0_4arch9wavefront6targetE0EEEvSO_,comdat
	.globl	_ZN7rocprim17ROCPRIM_400000_NS6detail17trampoline_kernelINS0_14default_configENS1_38merge_sort_block_merge_config_selectorIlNS0_10empty_typeEEEZZNS1_27merge_sort_block_merge_implIS3_PlPS5_mZN2at6native12_GLOBAL__N_124unique_dim_cuda_templateIN3c108BFloat16EEESt5tupleIJNSA_6TensorESH_SH_EERKSH_lbbbEUlllE_EE10hipError_tT0_T1_T2_jT3_P12ihipStream_tbPNSt15iterator_traitsISN_E10value_typeEPNST_ISO_E10value_typeEPSP_NS1_7vsmem_tEENKUlT_SN_SO_SP_E_clIS8_S8_S9_S9_EESM_S12_SN_SO_SP_EUlS12_E0_NS1_11comp_targetILNS1_3genE10ELNS1_11target_archE1201ELNS1_3gpuE5ELNS1_3repE0EEENS1_38merge_mergepath_config_static_selectorELNS0_4arch9wavefront6targetE0EEEvSO_ ; -- Begin function _ZN7rocprim17ROCPRIM_400000_NS6detail17trampoline_kernelINS0_14default_configENS1_38merge_sort_block_merge_config_selectorIlNS0_10empty_typeEEEZZNS1_27merge_sort_block_merge_implIS3_PlPS5_mZN2at6native12_GLOBAL__N_124unique_dim_cuda_templateIN3c108BFloat16EEESt5tupleIJNSA_6TensorESH_SH_EERKSH_lbbbEUlllE_EE10hipError_tT0_T1_T2_jT3_P12ihipStream_tbPNSt15iterator_traitsISN_E10value_typeEPNST_ISO_E10value_typeEPSP_NS1_7vsmem_tEENKUlT_SN_SO_SP_E_clIS8_S8_S9_S9_EESM_S12_SN_SO_SP_EUlS12_E0_NS1_11comp_targetILNS1_3genE10ELNS1_11target_archE1201ELNS1_3gpuE5ELNS1_3repE0EEENS1_38merge_mergepath_config_static_selectorELNS0_4arch9wavefront6targetE0EEEvSO_
	.p2align	8
	.type	_ZN7rocprim17ROCPRIM_400000_NS6detail17trampoline_kernelINS0_14default_configENS1_38merge_sort_block_merge_config_selectorIlNS0_10empty_typeEEEZZNS1_27merge_sort_block_merge_implIS3_PlPS5_mZN2at6native12_GLOBAL__N_124unique_dim_cuda_templateIN3c108BFloat16EEESt5tupleIJNSA_6TensorESH_SH_EERKSH_lbbbEUlllE_EE10hipError_tT0_T1_T2_jT3_P12ihipStream_tbPNSt15iterator_traitsISN_E10value_typeEPNST_ISO_E10value_typeEPSP_NS1_7vsmem_tEENKUlT_SN_SO_SP_E_clIS8_S8_S9_S9_EESM_S12_SN_SO_SP_EUlS12_E0_NS1_11comp_targetILNS1_3genE10ELNS1_11target_archE1201ELNS1_3gpuE5ELNS1_3repE0EEENS1_38merge_mergepath_config_static_selectorELNS0_4arch9wavefront6targetE0EEEvSO_,@function
_ZN7rocprim17ROCPRIM_400000_NS6detail17trampoline_kernelINS0_14default_configENS1_38merge_sort_block_merge_config_selectorIlNS0_10empty_typeEEEZZNS1_27merge_sort_block_merge_implIS3_PlPS5_mZN2at6native12_GLOBAL__N_124unique_dim_cuda_templateIN3c108BFloat16EEESt5tupleIJNSA_6TensorESH_SH_EERKSH_lbbbEUlllE_EE10hipError_tT0_T1_T2_jT3_P12ihipStream_tbPNSt15iterator_traitsISN_E10value_typeEPNST_ISO_E10value_typeEPSP_NS1_7vsmem_tEENKUlT_SN_SO_SP_E_clIS8_S8_S9_S9_EESM_S12_SN_SO_SP_EUlS12_E0_NS1_11comp_targetILNS1_3genE10ELNS1_11target_archE1201ELNS1_3gpuE5ELNS1_3repE0EEENS1_38merge_mergepath_config_static_selectorELNS0_4arch9wavefront6targetE0EEEvSO_: ; @_ZN7rocprim17ROCPRIM_400000_NS6detail17trampoline_kernelINS0_14default_configENS1_38merge_sort_block_merge_config_selectorIlNS0_10empty_typeEEEZZNS1_27merge_sort_block_merge_implIS3_PlPS5_mZN2at6native12_GLOBAL__N_124unique_dim_cuda_templateIN3c108BFloat16EEESt5tupleIJNSA_6TensorESH_SH_EERKSH_lbbbEUlllE_EE10hipError_tT0_T1_T2_jT3_P12ihipStream_tbPNSt15iterator_traitsISN_E10value_typeEPNST_ISO_E10value_typeEPSP_NS1_7vsmem_tEENKUlT_SN_SO_SP_E_clIS8_S8_S9_S9_EESM_S12_SN_SO_SP_EUlS12_E0_NS1_11comp_targetILNS1_3genE10ELNS1_11target_archE1201ELNS1_3gpuE5ELNS1_3repE0EEENS1_38merge_mergepath_config_static_selectorELNS0_4arch9wavefront6targetE0EEEvSO_
; %bb.0:
	.section	.rodata,"a",@progbits
	.p2align	6, 0x0
	.amdhsa_kernel _ZN7rocprim17ROCPRIM_400000_NS6detail17trampoline_kernelINS0_14default_configENS1_38merge_sort_block_merge_config_selectorIlNS0_10empty_typeEEEZZNS1_27merge_sort_block_merge_implIS3_PlPS5_mZN2at6native12_GLOBAL__N_124unique_dim_cuda_templateIN3c108BFloat16EEESt5tupleIJNSA_6TensorESH_SH_EERKSH_lbbbEUlllE_EE10hipError_tT0_T1_T2_jT3_P12ihipStream_tbPNSt15iterator_traitsISN_E10value_typeEPNST_ISO_E10value_typeEPSP_NS1_7vsmem_tEENKUlT_SN_SO_SP_E_clIS8_S8_S9_S9_EESM_S12_SN_SO_SP_EUlS12_E0_NS1_11comp_targetILNS1_3genE10ELNS1_11target_archE1201ELNS1_3gpuE5ELNS1_3repE0EEENS1_38merge_mergepath_config_static_selectorELNS0_4arch9wavefront6targetE0EEEvSO_
		.amdhsa_group_segment_fixed_size 0
		.amdhsa_private_segment_fixed_size 0
		.amdhsa_kernarg_size 88
		.amdhsa_user_sgpr_count 15
		.amdhsa_user_sgpr_dispatch_ptr 0
		.amdhsa_user_sgpr_queue_ptr 0
		.amdhsa_user_sgpr_kernarg_segment_ptr 1
		.amdhsa_user_sgpr_dispatch_id 0
		.amdhsa_user_sgpr_private_segment_size 0
		.amdhsa_wavefront_size32 1
		.amdhsa_uses_dynamic_stack 0
		.amdhsa_enable_private_segment 0
		.amdhsa_system_sgpr_workgroup_id_x 1
		.amdhsa_system_sgpr_workgroup_id_y 0
		.amdhsa_system_sgpr_workgroup_id_z 0
		.amdhsa_system_sgpr_workgroup_info 0
		.amdhsa_system_vgpr_workitem_id 0
		.amdhsa_next_free_vgpr 1
		.amdhsa_next_free_sgpr 1
		.amdhsa_reserve_vcc 0
		.amdhsa_float_round_mode_32 0
		.amdhsa_float_round_mode_16_64 0
		.amdhsa_float_denorm_mode_32 3
		.amdhsa_float_denorm_mode_16_64 3
		.amdhsa_dx10_clamp 1
		.amdhsa_ieee_mode 1
		.amdhsa_fp16_overflow 0
		.amdhsa_workgroup_processor_mode 1
		.amdhsa_memory_ordered 1
		.amdhsa_forward_progress 0
		.amdhsa_shared_vgpr_count 0
		.amdhsa_exception_fp_ieee_invalid_op 0
		.amdhsa_exception_fp_denorm_src 0
		.amdhsa_exception_fp_ieee_div_zero 0
		.amdhsa_exception_fp_ieee_overflow 0
		.amdhsa_exception_fp_ieee_underflow 0
		.amdhsa_exception_fp_ieee_inexact 0
		.amdhsa_exception_int_div_zero 0
	.end_amdhsa_kernel
	.section	.text._ZN7rocprim17ROCPRIM_400000_NS6detail17trampoline_kernelINS0_14default_configENS1_38merge_sort_block_merge_config_selectorIlNS0_10empty_typeEEEZZNS1_27merge_sort_block_merge_implIS3_PlPS5_mZN2at6native12_GLOBAL__N_124unique_dim_cuda_templateIN3c108BFloat16EEESt5tupleIJNSA_6TensorESH_SH_EERKSH_lbbbEUlllE_EE10hipError_tT0_T1_T2_jT3_P12ihipStream_tbPNSt15iterator_traitsISN_E10value_typeEPNST_ISO_E10value_typeEPSP_NS1_7vsmem_tEENKUlT_SN_SO_SP_E_clIS8_S8_S9_S9_EESM_S12_SN_SO_SP_EUlS12_E0_NS1_11comp_targetILNS1_3genE10ELNS1_11target_archE1201ELNS1_3gpuE5ELNS1_3repE0EEENS1_38merge_mergepath_config_static_selectorELNS0_4arch9wavefront6targetE0EEEvSO_,"axG",@progbits,_ZN7rocprim17ROCPRIM_400000_NS6detail17trampoline_kernelINS0_14default_configENS1_38merge_sort_block_merge_config_selectorIlNS0_10empty_typeEEEZZNS1_27merge_sort_block_merge_implIS3_PlPS5_mZN2at6native12_GLOBAL__N_124unique_dim_cuda_templateIN3c108BFloat16EEESt5tupleIJNSA_6TensorESH_SH_EERKSH_lbbbEUlllE_EE10hipError_tT0_T1_T2_jT3_P12ihipStream_tbPNSt15iterator_traitsISN_E10value_typeEPNST_ISO_E10value_typeEPSP_NS1_7vsmem_tEENKUlT_SN_SO_SP_E_clIS8_S8_S9_S9_EESM_S12_SN_SO_SP_EUlS12_E0_NS1_11comp_targetILNS1_3genE10ELNS1_11target_archE1201ELNS1_3gpuE5ELNS1_3repE0EEENS1_38merge_mergepath_config_static_selectorELNS0_4arch9wavefront6targetE0EEEvSO_,comdat
.Lfunc_end1133:
	.size	_ZN7rocprim17ROCPRIM_400000_NS6detail17trampoline_kernelINS0_14default_configENS1_38merge_sort_block_merge_config_selectorIlNS0_10empty_typeEEEZZNS1_27merge_sort_block_merge_implIS3_PlPS5_mZN2at6native12_GLOBAL__N_124unique_dim_cuda_templateIN3c108BFloat16EEESt5tupleIJNSA_6TensorESH_SH_EERKSH_lbbbEUlllE_EE10hipError_tT0_T1_T2_jT3_P12ihipStream_tbPNSt15iterator_traitsISN_E10value_typeEPNST_ISO_E10value_typeEPSP_NS1_7vsmem_tEENKUlT_SN_SO_SP_E_clIS8_S8_S9_S9_EESM_S12_SN_SO_SP_EUlS12_E0_NS1_11comp_targetILNS1_3genE10ELNS1_11target_archE1201ELNS1_3gpuE5ELNS1_3repE0EEENS1_38merge_mergepath_config_static_selectorELNS0_4arch9wavefront6targetE0EEEvSO_, .Lfunc_end1133-_ZN7rocprim17ROCPRIM_400000_NS6detail17trampoline_kernelINS0_14default_configENS1_38merge_sort_block_merge_config_selectorIlNS0_10empty_typeEEEZZNS1_27merge_sort_block_merge_implIS3_PlPS5_mZN2at6native12_GLOBAL__N_124unique_dim_cuda_templateIN3c108BFloat16EEESt5tupleIJNSA_6TensorESH_SH_EERKSH_lbbbEUlllE_EE10hipError_tT0_T1_T2_jT3_P12ihipStream_tbPNSt15iterator_traitsISN_E10value_typeEPNST_ISO_E10value_typeEPSP_NS1_7vsmem_tEENKUlT_SN_SO_SP_E_clIS8_S8_S9_S9_EESM_S12_SN_SO_SP_EUlS12_E0_NS1_11comp_targetILNS1_3genE10ELNS1_11target_archE1201ELNS1_3gpuE5ELNS1_3repE0EEENS1_38merge_mergepath_config_static_selectorELNS0_4arch9wavefront6targetE0EEEvSO_
                                        ; -- End function
	.section	.AMDGPU.csdata,"",@progbits
; Kernel info:
; codeLenInByte = 0
; NumSgprs: 0
; NumVgprs: 0
; ScratchSize: 0
; MemoryBound: 0
; FloatMode: 240
; IeeeMode: 1
; LDSByteSize: 0 bytes/workgroup (compile time only)
; SGPRBlocks: 0
; VGPRBlocks: 0
; NumSGPRsForWavesPerEU: 1
; NumVGPRsForWavesPerEU: 1
; Occupancy: 16
; WaveLimiterHint : 0
; COMPUTE_PGM_RSRC2:SCRATCH_EN: 0
; COMPUTE_PGM_RSRC2:USER_SGPR: 15
; COMPUTE_PGM_RSRC2:TRAP_HANDLER: 0
; COMPUTE_PGM_RSRC2:TGID_X_EN: 1
; COMPUTE_PGM_RSRC2:TGID_Y_EN: 0
; COMPUTE_PGM_RSRC2:TGID_Z_EN: 0
; COMPUTE_PGM_RSRC2:TIDIG_COMP_CNT: 0
	.section	.text._ZN7rocprim17ROCPRIM_400000_NS6detail17trampoline_kernelINS0_14default_configENS1_38merge_sort_block_merge_config_selectorIlNS0_10empty_typeEEEZZNS1_27merge_sort_block_merge_implIS3_PlPS5_mZN2at6native12_GLOBAL__N_124unique_dim_cuda_templateIN3c108BFloat16EEESt5tupleIJNSA_6TensorESH_SH_EERKSH_lbbbEUlllE_EE10hipError_tT0_T1_T2_jT3_P12ihipStream_tbPNSt15iterator_traitsISN_E10value_typeEPNST_ISO_E10value_typeEPSP_NS1_7vsmem_tEENKUlT_SN_SO_SP_E_clIS8_S8_S9_S9_EESM_S12_SN_SO_SP_EUlS12_E0_NS1_11comp_targetILNS1_3genE5ELNS1_11target_archE942ELNS1_3gpuE9ELNS1_3repE0EEENS1_38merge_mergepath_config_static_selectorELNS0_4arch9wavefront6targetE0EEEvSO_,"axG",@progbits,_ZN7rocprim17ROCPRIM_400000_NS6detail17trampoline_kernelINS0_14default_configENS1_38merge_sort_block_merge_config_selectorIlNS0_10empty_typeEEEZZNS1_27merge_sort_block_merge_implIS3_PlPS5_mZN2at6native12_GLOBAL__N_124unique_dim_cuda_templateIN3c108BFloat16EEESt5tupleIJNSA_6TensorESH_SH_EERKSH_lbbbEUlllE_EE10hipError_tT0_T1_T2_jT3_P12ihipStream_tbPNSt15iterator_traitsISN_E10value_typeEPNST_ISO_E10value_typeEPSP_NS1_7vsmem_tEENKUlT_SN_SO_SP_E_clIS8_S8_S9_S9_EESM_S12_SN_SO_SP_EUlS12_E0_NS1_11comp_targetILNS1_3genE5ELNS1_11target_archE942ELNS1_3gpuE9ELNS1_3repE0EEENS1_38merge_mergepath_config_static_selectorELNS0_4arch9wavefront6targetE0EEEvSO_,comdat
	.globl	_ZN7rocprim17ROCPRIM_400000_NS6detail17trampoline_kernelINS0_14default_configENS1_38merge_sort_block_merge_config_selectorIlNS0_10empty_typeEEEZZNS1_27merge_sort_block_merge_implIS3_PlPS5_mZN2at6native12_GLOBAL__N_124unique_dim_cuda_templateIN3c108BFloat16EEESt5tupleIJNSA_6TensorESH_SH_EERKSH_lbbbEUlllE_EE10hipError_tT0_T1_T2_jT3_P12ihipStream_tbPNSt15iterator_traitsISN_E10value_typeEPNST_ISO_E10value_typeEPSP_NS1_7vsmem_tEENKUlT_SN_SO_SP_E_clIS8_S8_S9_S9_EESM_S12_SN_SO_SP_EUlS12_E0_NS1_11comp_targetILNS1_3genE5ELNS1_11target_archE942ELNS1_3gpuE9ELNS1_3repE0EEENS1_38merge_mergepath_config_static_selectorELNS0_4arch9wavefront6targetE0EEEvSO_ ; -- Begin function _ZN7rocprim17ROCPRIM_400000_NS6detail17trampoline_kernelINS0_14default_configENS1_38merge_sort_block_merge_config_selectorIlNS0_10empty_typeEEEZZNS1_27merge_sort_block_merge_implIS3_PlPS5_mZN2at6native12_GLOBAL__N_124unique_dim_cuda_templateIN3c108BFloat16EEESt5tupleIJNSA_6TensorESH_SH_EERKSH_lbbbEUlllE_EE10hipError_tT0_T1_T2_jT3_P12ihipStream_tbPNSt15iterator_traitsISN_E10value_typeEPNST_ISO_E10value_typeEPSP_NS1_7vsmem_tEENKUlT_SN_SO_SP_E_clIS8_S8_S9_S9_EESM_S12_SN_SO_SP_EUlS12_E0_NS1_11comp_targetILNS1_3genE5ELNS1_11target_archE942ELNS1_3gpuE9ELNS1_3repE0EEENS1_38merge_mergepath_config_static_selectorELNS0_4arch9wavefront6targetE0EEEvSO_
	.p2align	8
	.type	_ZN7rocprim17ROCPRIM_400000_NS6detail17trampoline_kernelINS0_14default_configENS1_38merge_sort_block_merge_config_selectorIlNS0_10empty_typeEEEZZNS1_27merge_sort_block_merge_implIS3_PlPS5_mZN2at6native12_GLOBAL__N_124unique_dim_cuda_templateIN3c108BFloat16EEESt5tupleIJNSA_6TensorESH_SH_EERKSH_lbbbEUlllE_EE10hipError_tT0_T1_T2_jT3_P12ihipStream_tbPNSt15iterator_traitsISN_E10value_typeEPNST_ISO_E10value_typeEPSP_NS1_7vsmem_tEENKUlT_SN_SO_SP_E_clIS8_S8_S9_S9_EESM_S12_SN_SO_SP_EUlS12_E0_NS1_11comp_targetILNS1_3genE5ELNS1_11target_archE942ELNS1_3gpuE9ELNS1_3repE0EEENS1_38merge_mergepath_config_static_selectorELNS0_4arch9wavefront6targetE0EEEvSO_,@function
_ZN7rocprim17ROCPRIM_400000_NS6detail17trampoline_kernelINS0_14default_configENS1_38merge_sort_block_merge_config_selectorIlNS0_10empty_typeEEEZZNS1_27merge_sort_block_merge_implIS3_PlPS5_mZN2at6native12_GLOBAL__N_124unique_dim_cuda_templateIN3c108BFloat16EEESt5tupleIJNSA_6TensorESH_SH_EERKSH_lbbbEUlllE_EE10hipError_tT0_T1_T2_jT3_P12ihipStream_tbPNSt15iterator_traitsISN_E10value_typeEPNST_ISO_E10value_typeEPSP_NS1_7vsmem_tEENKUlT_SN_SO_SP_E_clIS8_S8_S9_S9_EESM_S12_SN_SO_SP_EUlS12_E0_NS1_11comp_targetILNS1_3genE5ELNS1_11target_archE942ELNS1_3gpuE9ELNS1_3repE0EEENS1_38merge_mergepath_config_static_selectorELNS0_4arch9wavefront6targetE0EEEvSO_: ; @_ZN7rocprim17ROCPRIM_400000_NS6detail17trampoline_kernelINS0_14default_configENS1_38merge_sort_block_merge_config_selectorIlNS0_10empty_typeEEEZZNS1_27merge_sort_block_merge_implIS3_PlPS5_mZN2at6native12_GLOBAL__N_124unique_dim_cuda_templateIN3c108BFloat16EEESt5tupleIJNSA_6TensorESH_SH_EERKSH_lbbbEUlllE_EE10hipError_tT0_T1_T2_jT3_P12ihipStream_tbPNSt15iterator_traitsISN_E10value_typeEPNST_ISO_E10value_typeEPSP_NS1_7vsmem_tEENKUlT_SN_SO_SP_E_clIS8_S8_S9_S9_EESM_S12_SN_SO_SP_EUlS12_E0_NS1_11comp_targetILNS1_3genE5ELNS1_11target_archE942ELNS1_3gpuE9ELNS1_3repE0EEENS1_38merge_mergepath_config_static_selectorELNS0_4arch9wavefront6targetE0EEEvSO_
; %bb.0:
	.section	.rodata,"a",@progbits
	.p2align	6, 0x0
	.amdhsa_kernel _ZN7rocprim17ROCPRIM_400000_NS6detail17trampoline_kernelINS0_14default_configENS1_38merge_sort_block_merge_config_selectorIlNS0_10empty_typeEEEZZNS1_27merge_sort_block_merge_implIS3_PlPS5_mZN2at6native12_GLOBAL__N_124unique_dim_cuda_templateIN3c108BFloat16EEESt5tupleIJNSA_6TensorESH_SH_EERKSH_lbbbEUlllE_EE10hipError_tT0_T1_T2_jT3_P12ihipStream_tbPNSt15iterator_traitsISN_E10value_typeEPNST_ISO_E10value_typeEPSP_NS1_7vsmem_tEENKUlT_SN_SO_SP_E_clIS8_S8_S9_S9_EESM_S12_SN_SO_SP_EUlS12_E0_NS1_11comp_targetILNS1_3genE5ELNS1_11target_archE942ELNS1_3gpuE9ELNS1_3repE0EEENS1_38merge_mergepath_config_static_selectorELNS0_4arch9wavefront6targetE0EEEvSO_
		.amdhsa_group_segment_fixed_size 0
		.amdhsa_private_segment_fixed_size 0
		.amdhsa_kernarg_size 88
		.amdhsa_user_sgpr_count 15
		.amdhsa_user_sgpr_dispatch_ptr 0
		.amdhsa_user_sgpr_queue_ptr 0
		.amdhsa_user_sgpr_kernarg_segment_ptr 1
		.amdhsa_user_sgpr_dispatch_id 0
		.amdhsa_user_sgpr_private_segment_size 0
		.amdhsa_wavefront_size32 1
		.amdhsa_uses_dynamic_stack 0
		.amdhsa_enable_private_segment 0
		.amdhsa_system_sgpr_workgroup_id_x 1
		.amdhsa_system_sgpr_workgroup_id_y 0
		.amdhsa_system_sgpr_workgroup_id_z 0
		.amdhsa_system_sgpr_workgroup_info 0
		.amdhsa_system_vgpr_workitem_id 0
		.amdhsa_next_free_vgpr 1
		.amdhsa_next_free_sgpr 1
		.amdhsa_reserve_vcc 0
		.amdhsa_float_round_mode_32 0
		.amdhsa_float_round_mode_16_64 0
		.amdhsa_float_denorm_mode_32 3
		.amdhsa_float_denorm_mode_16_64 3
		.amdhsa_dx10_clamp 1
		.amdhsa_ieee_mode 1
		.amdhsa_fp16_overflow 0
		.amdhsa_workgroup_processor_mode 1
		.amdhsa_memory_ordered 1
		.amdhsa_forward_progress 0
		.amdhsa_shared_vgpr_count 0
		.amdhsa_exception_fp_ieee_invalid_op 0
		.amdhsa_exception_fp_denorm_src 0
		.amdhsa_exception_fp_ieee_div_zero 0
		.amdhsa_exception_fp_ieee_overflow 0
		.amdhsa_exception_fp_ieee_underflow 0
		.amdhsa_exception_fp_ieee_inexact 0
		.amdhsa_exception_int_div_zero 0
	.end_amdhsa_kernel
	.section	.text._ZN7rocprim17ROCPRIM_400000_NS6detail17trampoline_kernelINS0_14default_configENS1_38merge_sort_block_merge_config_selectorIlNS0_10empty_typeEEEZZNS1_27merge_sort_block_merge_implIS3_PlPS5_mZN2at6native12_GLOBAL__N_124unique_dim_cuda_templateIN3c108BFloat16EEESt5tupleIJNSA_6TensorESH_SH_EERKSH_lbbbEUlllE_EE10hipError_tT0_T1_T2_jT3_P12ihipStream_tbPNSt15iterator_traitsISN_E10value_typeEPNST_ISO_E10value_typeEPSP_NS1_7vsmem_tEENKUlT_SN_SO_SP_E_clIS8_S8_S9_S9_EESM_S12_SN_SO_SP_EUlS12_E0_NS1_11comp_targetILNS1_3genE5ELNS1_11target_archE942ELNS1_3gpuE9ELNS1_3repE0EEENS1_38merge_mergepath_config_static_selectorELNS0_4arch9wavefront6targetE0EEEvSO_,"axG",@progbits,_ZN7rocprim17ROCPRIM_400000_NS6detail17trampoline_kernelINS0_14default_configENS1_38merge_sort_block_merge_config_selectorIlNS0_10empty_typeEEEZZNS1_27merge_sort_block_merge_implIS3_PlPS5_mZN2at6native12_GLOBAL__N_124unique_dim_cuda_templateIN3c108BFloat16EEESt5tupleIJNSA_6TensorESH_SH_EERKSH_lbbbEUlllE_EE10hipError_tT0_T1_T2_jT3_P12ihipStream_tbPNSt15iterator_traitsISN_E10value_typeEPNST_ISO_E10value_typeEPSP_NS1_7vsmem_tEENKUlT_SN_SO_SP_E_clIS8_S8_S9_S9_EESM_S12_SN_SO_SP_EUlS12_E0_NS1_11comp_targetILNS1_3genE5ELNS1_11target_archE942ELNS1_3gpuE9ELNS1_3repE0EEENS1_38merge_mergepath_config_static_selectorELNS0_4arch9wavefront6targetE0EEEvSO_,comdat
.Lfunc_end1134:
	.size	_ZN7rocprim17ROCPRIM_400000_NS6detail17trampoline_kernelINS0_14default_configENS1_38merge_sort_block_merge_config_selectorIlNS0_10empty_typeEEEZZNS1_27merge_sort_block_merge_implIS3_PlPS5_mZN2at6native12_GLOBAL__N_124unique_dim_cuda_templateIN3c108BFloat16EEESt5tupleIJNSA_6TensorESH_SH_EERKSH_lbbbEUlllE_EE10hipError_tT0_T1_T2_jT3_P12ihipStream_tbPNSt15iterator_traitsISN_E10value_typeEPNST_ISO_E10value_typeEPSP_NS1_7vsmem_tEENKUlT_SN_SO_SP_E_clIS8_S8_S9_S9_EESM_S12_SN_SO_SP_EUlS12_E0_NS1_11comp_targetILNS1_3genE5ELNS1_11target_archE942ELNS1_3gpuE9ELNS1_3repE0EEENS1_38merge_mergepath_config_static_selectorELNS0_4arch9wavefront6targetE0EEEvSO_, .Lfunc_end1134-_ZN7rocprim17ROCPRIM_400000_NS6detail17trampoline_kernelINS0_14default_configENS1_38merge_sort_block_merge_config_selectorIlNS0_10empty_typeEEEZZNS1_27merge_sort_block_merge_implIS3_PlPS5_mZN2at6native12_GLOBAL__N_124unique_dim_cuda_templateIN3c108BFloat16EEESt5tupleIJNSA_6TensorESH_SH_EERKSH_lbbbEUlllE_EE10hipError_tT0_T1_T2_jT3_P12ihipStream_tbPNSt15iterator_traitsISN_E10value_typeEPNST_ISO_E10value_typeEPSP_NS1_7vsmem_tEENKUlT_SN_SO_SP_E_clIS8_S8_S9_S9_EESM_S12_SN_SO_SP_EUlS12_E0_NS1_11comp_targetILNS1_3genE5ELNS1_11target_archE942ELNS1_3gpuE9ELNS1_3repE0EEENS1_38merge_mergepath_config_static_selectorELNS0_4arch9wavefront6targetE0EEEvSO_
                                        ; -- End function
	.section	.AMDGPU.csdata,"",@progbits
; Kernel info:
; codeLenInByte = 0
; NumSgprs: 0
; NumVgprs: 0
; ScratchSize: 0
; MemoryBound: 0
; FloatMode: 240
; IeeeMode: 1
; LDSByteSize: 0 bytes/workgroup (compile time only)
; SGPRBlocks: 0
; VGPRBlocks: 0
; NumSGPRsForWavesPerEU: 1
; NumVGPRsForWavesPerEU: 1
; Occupancy: 16
; WaveLimiterHint : 0
; COMPUTE_PGM_RSRC2:SCRATCH_EN: 0
; COMPUTE_PGM_RSRC2:USER_SGPR: 15
; COMPUTE_PGM_RSRC2:TRAP_HANDLER: 0
; COMPUTE_PGM_RSRC2:TGID_X_EN: 1
; COMPUTE_PGM_RSRC2:TGID_Y_EN: 0
; COMPUTE_PGM_RSRC2:TGID_Z_EN: 0
; COMPUTE_PGM_RSRC2:TIDIG_COMP_CNT: 0
	.section	.text._ZN7rocprim17ROCPRIM_400000_NS6detail17trampoline_kernelINS0_14default_configENS1_38merge_sort_block_merge_config_selectorIlNS0_10empty_typeEEEZZNS1_27merge_sort_block_merge_implIS3_PlPS5_mZN2at6native12_GLOBAL__N_124unique_dim_cuda_templateIN3c108BFloat16EEESt5tupleIJNSA_6TensorESH_SH_EERKSH_lbbbEUlllE_EE10hipError_tT0_T1_T2_jT3_P12ihipStream_tbPNSt15iterator_traitsISN_E10value_typeEPNST_ISO_E10value_typeEPSP_NS1_7vsmem_tEENKUlT_SN_SO_SP_E_clIS8_S8_S9_S9_EESM_S12_SN_SO_SP_EUlS12_E0_NS1_11comp_targetILNS1_3genE4ELNS1_11target_archE910ELNS1_3gpuE8ELNS1_3repE0EEENS1_38merge_mergepath_config_static_selectorELNS0_4arch9wavefront6targetE0EEEvSO_,"axG",@progbits,_ZN7rocprim17ROCPRIM_400000_NS6detail17trampoline_kernelINS0_14default_configENS1_38merge_sort_block_merge_config_selectorIlNS0_10empty_typeEEEZZNS1_27merge_sort_block_merge_implIS3_PlPS5_mZN2at6native12_GLOBAL__N_124unique_dim_cuda_templateIN3c108BFloat16EEESt5tupleIJNSA_6TensorESH_SH_EERKSH_lbbbEUlllE_EE10hipError_tT0_T1_T2_jT3_P12ihipStream_tbPNSt15iterator_traitsISN_E10value_typeEPNST_ISO_E10value_typeEPSP_NS1_7vsmem_tEENKUlT_SN_SO_SP_E_clIS8_S8_S9_S9_EESM_S12_SN_SO_SP_EUlS12_E0_NS1_11comp_targetILNS1_3genE4ELNS1_11target_archE910ELNS1_3gpuE8ELNS1_3repE0EEENS1_38merge_mergepath_config_static_selectorELNS0_4arch9wavefront6targetE0EEEvSO_,comdat
	.globl	_ZN7rocprim17ROCPRIM_400000_NS6detail17trampoline_kernelINS0_14default_configENS1_38merge_sort_block_merge_config_selectorIlNS0_10empty_typeEEEZZNS1_27merge_sort_block_merge_implIS3_PlPS5_mZN2at6native12_GLOBAL__N_124unique_dim_cuda_templateIN3c108BFloat16EEESt5tupleIJNSA_6TensorESH_SH_EERKSH_lbbbEUlllE_EE10hipError_tT0_T1_T2_jT3_P12ihipStream_tbPNSt15iterator_traitsISN_E10value_typeEPNST_ISO_E10value_typeEPSP_NS1_7vsmem_tEENKUlT_SN_SO_SP_E_clIS8_S8_S9_S9_EESM_S12_SN_SO_SP_EUlS12_E0_NS1_11comp_targetILNS1_3genE4ELNS1_11target_archE910ELNS1_3gpuE8ELNS1_3repE0EEENS1_38merge_mergepath_config_static_selectorELNS0_4arch9wavefront6targetE0EEEvSO_ ; -- Begin function _ZN7rocprim17ROCPRIM_400000_NS6detail17trampoline_kernelINS0_14default_configENS1_38merge_sort_block_merge_config_selectorIlNS0_10empty_typeEEEZZNS1_27merge_sort_block_merge_implIS3_PlPS5_mZN2at6native12_GLOBAL__N_124unique_dim_cuda_templateIN3c108BFloat16EEESt5tupleIJNSA_6TensorESH_SH_EERKSH_lbbbEUlllE_EE10hipError_tT0_T1_T2_jT3_P12ihipStream_tbPNSt15iterator_traitsISN_E10value_typeEPNST_ISO_E10value_typeEPSP_NS1_7vsmem_tEENKUlT_SN_SO_SP_E_clIS8_S8_S9_S9_EESM_S12_SN_SO_SP_EUlS12_E0_NS1_11comp_targetILNS1_3genE4ELNS1_11target_archE910ELNS1_3gpuE8ELNS1_3repE0EEENS1_38merge_mergepath_config_static_selectorELNS0_4arch9wavefront6targetE0EEEvSO_
	.p2align	8
	.type	_ZN7rocprim17ROCPRIM_400000_NS6detail17trampoline_kernelINS0_14default_configENS1_38merge_sort_block_merge_config_selectorIlNS0_10empty_typeEEEZZNS1_27merge_sort_block_merge_implIS3_PlPS5_mZN2at6native12_GLOBAL__N_124unique_dim_cuda_templateIN3c108BFloat16EEESt5tupleIJNSA_6TensorESH_SH_EERKSH_lbbbEUlllE_EE10hipError_tT0_T1_T2_jT3_P12ihipStream_tbPNSt15iterator_traitsISN_E10value_typeEPNST_ISO_E10value_typeEPSP_NS1_7vsmem_tEENKUlT_SN_SO_SP_E_clIS8_S8_S9_S9_EESM_S12_SN_SO_SP_EUlS12_E0_NS1_11comp_targetILNS1_3genE4ELNS1_11target_archE910ELNS1_3gpuE8ELNS1_3repE0EEENS1_38merge_mergepath_config_static_selectorELNS0_4arch9wavefront6targetE0EEEvSO_,@function
_ZN7rocprim17ROCPRIM_400000_NS6detail17trampoline_kernelINS0_14default_configENS1_38merge_sort_block_merge_config_selectorIlNS0_10empty_typeEEEZZNS1_27merge_sort_block_merge_implIS3_PlPS5_mZN2at6native12_GLOBAL__N_124unique_dim_cuda_templateIN3c108BFloat16EEESt5tupleIJNSA_6TensorESH_SH_EERKSH_lbbbEUlllE_EE10hipError_tT0_T1_T2_jT3_P12ihipStream_tbPNSt15iterator_traitsISN_E10value_typeEPNST_ISO_E10value_typeEPSP_NS1_7vsmem_tEENKUlT_SN_SO_SP_E_clIS8_S8_S9_S9_EESM_S12_SN_SO_SP_EUlS12_E0_NS1_11comp_targetILNS1_3genE4ELNS1_11target_archE910ELNS1_3gpuE8ELNS1_3repE0EEENS1_38merge_mergepath_config_static_selectorELNS0_4arch9wavefront6targetE0EEEvSO_: ; @_ZN7rocprim17ROCPRIM_400000_NS6detail17trampoline_kernelINS0_14default_configENS1_38merge_sort_block_merge_config_selectorIlNS0_10empty_typeEEEZZNS1_27merge_sort_block_merge_implIS3_PlPS5_mZN2at6native12_GLOBAL__N_124unique_dim_cuda_templateIN3c108BFloat16EEESt5tupleIJNSA_6TensorESH_SH_EERKSH_lbbbEUlllE_EE10hipError_tT0_T1_T2_jT3_P12ihipStream_tbPNSt15iterator_traitsISN_E10value_typeEPNST_ISO_E10value_typeEPSP_NS1_7vsmem_tEENKUlT_SN_SO_SP_E_clIS8_S8_S9_S9_EESM_S12_SN_SO_SP_EUlS12_E0_NS1_11comp_targetILNS1_3genE4ELNS1_11target_archE910ELNS1_3gpuE8ELNS1_3repE0EEENS1_38merge_mergepath_config_static_selectorELNS0_4arch9wavefront6targetE0EEEvSO_
; %bb.0:
	.section	.rodata,"a",@progbits
	.p2align	6, 0x0
	.amdhsa_kernel _ZN7rocprim17ROCPRIM_400000_NS6detail17trampoline_kernelINS0_14default_configENS1_38merge_sort_block_merge_config_selectorIlNS0_10empty_typeEEEZZNS1_27merge_sort_block_merge_implIS3_PlPS5_mZN2at6native12_GLOBAL__N_124unique_dim_cuda_templateIN3c108BFloat16EEESt5tupleIJNSA_6TensorESH_SH_EERKSH_lbbbEUlllE_EE10hipError_tT0_T1_T2_jT3_P12ihipStream_tbPNSt15iterator_traitsISN_E10value_typeEPNST_ISO_E10value_typeEPSP_NS1_7vsmem_tEENKUlT_SN_SO_SP_E_clIS8_S8_S9_S9_EESM_S12_SN_SO_SP_EUlS12_E0_NS1_11comp_targetILNS1_3genE4ELNS1_11target_archE910ELNS1_3gpuE8ELNS1_3repE0EEENS1_38merge_mergepath_config_static_selectorELNS0_4arch9wavefront6targetE0EEEvSO_
		.amdhsa_group_segment_fixed_size 0
		.amdhsa_private_segment_fixed_size 0
		.amdhsa_kernarg_size 88
		.amdhsa_user_sgpr_count 15
		.amdhsa_user_sgpr_dispatch_ptr 0
		.amdhsa_user_sgpr_queue_ptr 0
		.amdhsa_user_sgpr_kernarg_segment_ptr 1
		.amdhsa_user_sgpr_dispatch_id 0
		.amdhsa_user_sgpr_private_segment_size 0
		.amdhsa_wavefront_size32 1
		.amdhsa_uses_dynamic_stack 0
		.amdhsa_enable_private_segment 0
		.amdhsa_system_sgpr_workgroup_id_x 1
		.amdhsa_system_sgpr_workgroup_id_y 0
		.amdhsa_system_sgpr_workgroup_id_z 0
		.amdhsa_system_sgpr_workgroup_info 0
		.amdhsa_system_vgpr_workitem_id 0
		.amdhsa_next_free_vgpr 1
		.amdhsa_next_free_sgpr 1
		.amdhsa_reserve_vcc 0
		.amdhsa_float_round_mode_32 0
		.amdhsa_float_round_mode_16_64 0
		.amdhsa_float_denorm_mode_32 3
		.amdhsa_float_denorm_mode_16_64 3
		.amdhsa_dx10_clamp 1
		.amdhsa_ieee_mode 1
		.amdhsa_fp16_overflow 0
		.amdhsa_workgroup_processor_mode 1
		.amdhsa_memory_ordered 1
		.amdhsa_forward_progress 0
		.amdhsa_shared_vgpr_count 0
		.amdhsa_exception_fp_ieee_invalid_op 0
		.amdhsa_exception_fp_denorm_src 0
		.amdhsa_exception_fp_ieee_div_zero 0
		.amdhsa_exception_fp_ieee_overflow 0
		.amdhsa_exception_fp_ieee_underflow 0
		.amdhsa_exception_fp_ieee_inexact 0
		.amdhsa_exception_int_div_zero 0
	.end_amdhsa_kernel
	.section	.text._ZN7rocprim17ROCPRIM_400000_NS6detail17trampoline_kernelINS0_14default_configENS1_38merge_sort_block_merge_config_selectorIlNS0_10empty_typeEEEZZNS1_27merge_sort_block_merge_implIS3_PlPS5_mZN2at6native12_GLOBAL__N_124unique_dim_cuda_templateIN3c108BFloat16EEESt5tupleIJNSA_6TensorESH_SH_EERKSH_lbbbEUlllE_EE10hipError_tT0_T1_T2_jT3_P12ihipStream_tbPNSt15iterator_traitsISN_E10value_typeEPNST_ISO_E10value_typeEPSP_NS1_7vsmem_tEENKUlT_SN_SO_SP_E_clIS8_S8_S9_S9_EESM_S12_SN_SO_SP_EUlS12_E0_NS1_11comp_targetILNS1_3genE4ELNS1_11target_archE910ELNS1_3gpuE8ELNS1_3repE0EEENS1_38merge_mergepath_config_static_selectorELNS0_4arch9wavefront6targetE0EEEvSO_,"axG",@progbits,_ZN7rocprim17ROCPRIM_400000_NS6detail17trampoline_kernelINS0_14default_configENS1_38merge_sort_block_merge_config_selectorIlNS0_10empty_typeEEEZZNS1_27merge_sort_block_merge_implIS3_PlPS5_mZN2at6native12_GLOBAL__N_124unique_dim_cuda_templateIN3c108BFloat16EEESt5tupleIJNSA_6TensorESH_SH_EERKSH_lbbbEUlllE_EE10hipError_tT0_T1_T2_jT3_P12ihipStream_tbPNSt15iterator_traitsISN_E10value_typeEPNST_ISO_E10value_typeEPSP_NS1_7vsmem_tEENKUlT_SN_SO_SP_E_clIS8_S8_S9_S9_EESM_S12_SN_SO_SP_EUlS12_E0_NS1_11comp_targetILNS1_3genE4ELNS1_11target_archE910ELNS1_3gpuE8ELNS1_3repE0EEENS1_38merge_mergepath_config_static_selectorELNS0_4arch9wavefront6targetE0EEEvSO_,comdat
.Lfunc_end1135:
	.size	_ZN7rocprim17ROCPRIM_400000_NS6detail17trampoline_kernelINS0_14default_configENS1_38merge_sort_block_merge_config_selectorIlNS0_10empty_typeEEEZZNS1_27merge_sort_block_merge_implIS3_PlPS5_mZN2at6native12_GLOBAL__N_124unique_dim_cuda_templateIN3c108BFloat16EEESt5tupleIJNSA_6TensorESH_SH_EERKSH_lbbbEUlllE_EE10hipError_tT0_T1_T2_jT3_P12ihipStream_tbPNSt15iterator_traitsISN_E10value_typeEPNST_ISO_E10value_typeEPSP_NS1_7vsmem_tEENKUlT_SN_SO_SP_E_clIS8_S8_S9_S9_EESM_S12_SN_SO_SP_EUlS12_E0_NS1_11comp_targetILNS1_3genE4ELNS1_11target_archE910ELNS1_3gpuE8ELNS1_3repE0EEENS1_38merge_mergepath_config_static_selectorELNS0_4arch9wavefront6targetE0EEEvSO_, .Lfunc_end1135-_ZN7rocprim17ROCPRIM_400000_NS6detail17trampoline_kernelINS0_14default_configENS1_38merge_sort_block_merge_config_selectorIlNS0_10empty_typeEEEZZNS1_27merge_sort_block_merge_implIS3_PlPS5_mZN2at6native12_GLOBAL__N_124unique_dim_cuda_templateIN3c108BFloat16EEESt5tupleIJNSA_6TensorESH_SH_EERKSH_lbbbEUlllE_EE10hipError_tT0_T1_T2_jT3_P12ihipStream_tbPNSt15iterator_traitsISN_E10value_typeEPNST_ISO_E10value_typeEPSP_NS1_7vsmem_tEENKUlT_SN_SO_SP_E_clIS8_S8_S9_S9_EESM_S12_SN_SO_SP_EUlS12_E0_NS1_11comp_targetILNS1_3genE4ELNS1_11target_archE910ELNS1_3gpuE8ELNS1_3repE0EEENS1_38merge_mergepath_config_static_selectorELNS0_4arch9wavefront6targetE0EEEvSO_
                                        ; -- End function
	.section	.AMDGPU.csdata,"",@progbits
; Kernel info:
; codeLenInByte = 0
; NumSgprs: 0
; NumVgprs: 0
; ScratchSize: 0
; MemoryBound: 0
; FloatMode: 240
; IeeeMode: 1
; LDSByteSize: 0 bytes/workgroup (compile time only)
; SGPRBlocks: 0
; VGPRBlocks: 0
; NumSGPRsForWavesPerEU: 1
; NumVGPRsForWavesPerEU: 1
; Occupancy: 16
; WaveLimiterHint : 0
; COMPUTE_PGM_RSRC2:SCRATCH_EN: 0
; COMPUTE_PGM_RSRC2:USER_SGPR: 15
; COMPUTE_PGM_RSRC2:TRAP_HANDLER: 0
; COMPUTE_PGM_RSRC2:TGID_X_EN: 1
; COMPUTE_PGM_RSRC2:TGID_Y_EN: 0
; COMPUTE_PGM_RSRC2:TGID_Z_EN: 0
; COMPUTE_PGM_RSRC2:TIDIG_COMP_CNT: 0
	.section	.text._ZN7rocprim17ROCPRIM_400000_NS6detail17trampoline_kernelINS0_14default_configENS1_38merge_sort_block_merge_config_selectorIlNS0_10empty_typeEEEZZNS1_27merge_sort_block_merge_implIS3_PlPS5_mZN2at6native12_GLOBAL__N_124unique_dim_cuda_templateIN3c108BFloat16EEESt5tupleIJNSA_6TensorESH_SH_EERKSH_lbbbEUlllE_EE10hipError_tT0_T1_T2_jT3_P12ihipStream_tbPNSt15iterator_traitsISN_E10value_typeEPNST_ISO_E10value_typeEPSP_NS1_7vsmem_tEENKUlT_SN_SO_SP_E_clIS8_S8_S9_S9_EESM_S12_SN_SO_SP_EUlS12_E0_NS1_11comp_targetILNS1_3genE3ELNS1_11target_archE908ELNS1_3gpuE7ELNS1_3repE0EEENS1_38merge_mergepath_config_static_selectorELNS0_4arch9wavefront6targetE0EEEvSO_,"axG",@progbits,_ZN7rocprim17ROCPRIM_400000_NS6detail17trampoline_kernelINS0_14default_configENS1_38merge_sort_block_merge_config_selectorIlNS0_10empty_typeEEEZZNS1_27merge_sort_block_merge_implIS3_PlPS5_mZN2at6native12_GLOBAL__N_124unique_dim_cuda_templateIN3c108BFloat16EEESt5tupleIJNSA_6TensorESH_SH_EERKSH_lbbbEUlllE_EE10hipError_tT0_T1_T2_jT3_P12ihipStream_tbPNSt15iterator_traitsISN_E10value_typeEPNST_ISO_E10value_typeEPSP_NS1_7vsmem_tEENKUlT_SN_SO_SP_E_clIS8_S8_S9_S9_EESM_S12_SN_SO_SP_EUlS12_E0_NS1_11comp_targetILNS1_3genE3ELNS1_11target_archE908ELNS1_3gpuE7ELNS1_3repE0EEENS1_38merge_mergepath_config_static_selectorELNS0_4arch9wavefront6targetE0EEEvSO_,comdat
	.globl	_ZN7rocprim17ROCPRIM_400000_NS6detail17trampoline_kernelINS0_14default_configENS1_38merge_sort_block_merge_config_selectorIlNS0_10empty_typeEEEZZNS1_27merge_sort_block_merge_implIS3_PlPS5_mZN2at6native12_GLOBAL__N_124unique_dim_cuda_templateIN3c108BFloat16EEESt5tupleIJNSA_6TensorESH_SH_EERKSH_lbbbEUlllE_EE10hipError_tT0_T1_T2_jT3_P12ihipStream_tbPNSt15iterator_traitsISN_E10value_typeEPNST_ISO_E10value_typeEPSP_NS1_7vsmem_tEENKUlT_SN_SO_SP_E_clIS8_S8_S9_S9_EESM_S12_SN_SO_SP_EUlS12_E0_NS1_11comp_targetILNS1_3genE3ELNS1_11target_archE908ELNS1_3gpuE7ELNS1_3repE0EEENS1_38merge_mergepath_config_static_selectorELNS0_4arch9wavefront6targetE0EEEvSO_ ; -- Begin function _ZN7rocprim17ROCPRIM_400000_NS6detail17trampoline_kernelINS0_14default_configENS1_38merge_sort_block_merge_config_selectorIlNS0_10empty_typeEEEZZNS1_27merge_sort_block_merge_implIS3_PlPS5_mZN2at6native12_GLOBAL__N_124unique_dim_cuda_templateIN3c108BFloat16EEESt5tupleIJNSA_6TensorESH_SH_EERKSH_lbbbEUlllE_EE10hipError_tT0_T1_T2_jT3_P12ihipStream_tbPNSt15iterator_traitsISN_E10value_typeEPNST_ISO_E10value_typeEPSP_NS1_7vsmem_tEENKUlT_SN_SO_SP_E_clIS8_S8_S9_S9_EESM_S12_SN_SO_SP_EUlS12_E0_NS1_11comp_targetILNS1_3genE3ELNS1_11target_archE908ELNS1_3gpuE7ELNS1_3repE0EEENS1_38merge_mergepath_config_static_selectorELNS0_4arch9wavefront6targetE0EEEvSO_
	.p2align	8
	.type	_ZN7rocprim17ROCPRIM_400000_NS6detail17trampoline_kernelINS0_14default_configENS1_38merge_sort_block_merge_config_selectorIlNS0_10empty_typeEEEZZNS1_27merge_sort_block_merge_implIS3_PlPS5_mZN2at6native12_GLOBAL__N_124unique_dim_cuda_templateIN3c108BFloat16EEESt5tupleIJNSA_6TensorESH_SH_EERKSH_lbbbEUlllE_EE10hipError_tT0_T1_T2_jT3_P12ihipStream_tbPNSt15iterator_traitsISN_E10value_typeEPNST_ISO_E10value_typeEPSP_NS1_7vsmem_tEENKUlT_SN_SO_SP_E_clIS8_S8_S9_S9_EESM_S12_SN_SO_SP_EUlS12_E0_NS1_11comp_targetILNS1_3genE3ELNS1_11target_archE908ELNS1_3gpuE7ELNS1_3repE0EEENS1_38merge_mergepath_config_static_selectorELNS0_4arch9wavefront6targetE0EEEvSO_,@function
_ZN7rocprim17ROCPRIM_400000_NS6detail17trampoline_kernelINS0_14default_configENS1_38merge_sort_block_merge_config_selectorIlNS0_10empty_typeEEEZZNS1_27merge_sort_block_merge_implIS3_PlPS5_mZN2at6native12_GLOBAL__N_124unique_dim_cuda_templateIN3c108BFloat16EEESt5tupleIJNSA_6TensorESH_SH_EERKSH_lbbbEUlllE_EE10hipError_tT0_T1_T2_jT3_P12ihipStream_tbPNSt15iterator_traitsISN_E10value_typeEPNST_ISO_E10value_typeEPSP_NS1_7vsmem_tEENKUlT_SN_SO_SP_E_clIS8_S8_S9_S9_EESM_S12_SN_SO_SP_EUlS12_E0_NS1_11comp_targetILNS1_3genE3ELNS1_11target_archE908ELNS1_3gpuE7ELNS1_3repE0EEENS1_38merge_mergepath_config_static_selectorELNS0_4arch9wavefront6targetE0EEEvSO_: ; @_ZN7rocprim17ROCPRIM_400000_NS6detail17trampoline_kernelINS0_14default_configENS1_38merge_sort_block_merge_config_selectorIlNS0_10empty_typeEEEZZNS1_27merge_sort_block_merge_implIS3_PlPS5_mZN2at6native12_GLOBAL__N_124unique_dim_cuda_templateIN3c108BFloat16EEESt5tupleIJNSA_6TensorESH_SH_EERKSH_lbbbEUlllE_EE10hipError_tT0_T1_T2_jT3_P12ihipStream_tbPNSt15iterator_traitsISN_E10value_typeEPNST_ISO_E10value_typeEPSP_NS1_7vsmem_tEENKUlT_SN_SO_SP_E_clIS8_S8_S9_S9_EESM_S12_SN_SO_SP_EUlS12_E0_NS1_11comp_targetILNS1_3genE3ELNS1_11target_archE908ELNS1_3gpuE7ELNS1_3repE0EEENS1_38merge_mergepath_config_static_selectorELNS0_4arch9wavefront6targetE0EEEvSO_
; %bb.0:
	.section	.rodata,"a",@progbits
	.p2align	6, 0x0
	.amdhsa_kernel _ZN7rocprim17ROCPRIM_400000_NS6detail17trampoline_kernelINS0_14default_configENS1_38merge_sort_block_merge_config_selectorIlNS0_10empty_typeEEEZZNS1_27merge_sort_block_merge_implIS3_PlPS5_mZN2at6native12_GLOBAL__N_124unique_dim_cuda_templateIN3c108BFloat16EEESt5tupleIJNSA_6TensorESH_SH_EERKSH_lbbbEUlllE_EE10hipError_tT0_T1_T2_jT3_P12ihipStream_tbPNSt15iterator_traitsISN_E10value_typeEPNST_ISO_E10value_typeEPSP_NS1_7vsmem_tEENKUlT_SN_SO_SP_E_clIS8_S8_S9_S9_EESM_S12_SN_SO_SP_EUlS12_E0_NS1_11comp_targetILNS1_3genE3ELNS1_11target_archE908ELNS1_3gpuE7ELNS1_3repE0EEENS1_38merge_mergepath_config_static_selectorELNS0_4arch9wavefront6targetE0EEEvSO_
		.amdhsa_group_segment_fixed_size 0
		.amdhsa_private_segment_fixed_size 0
		.amdhsa_kernarg_size 88
		.amdhsa_user_sgpr_count 15
		.amdhsa_user_sgpr_dispatch_ptr 0
		.amdhsa_user_sgpr_queue_ptr 0
		.amdhsa_user_sgpr_kernarg_segment_ptr 1
		.amdhsa_user_sgpr_dispatch_id 0
		.amdhsa_user_sgpr_private_segment_size 0
		.amdhsa_wavefront_size32 1
		.amdhsa_uses_dynamic_stack 0
		.amdhsa_enable_private_segment 0
		.amdhsa_system_sgpr_workgroup_id_x 1
		.amdhsa_system_sgpr_workgroup_id_y 0
		.amdhsa_system_sgpr_workgroup_id_z 0
		.amdhsa_system_sgpr_workgroup_info 0
		.amdhsa_system_vgpr_workitem_id 0
		.amdhsa_next_free_vgpr 1
		.amdhsa_next_free_sgpr 1
		.amdhsa_reserve_vcc 0
		.amdhsa_float_round_mode_32 0
		.amdhsa_float_round_mode_16_64 0
		.amdhsa_float_denorm_mode_32 3
		.amdhsa_float_denorm_mode_16_64 3
		.amdhsa_dx10_clamp 1
		.amdhsa_ieee_mode 1
		.amdhsa_fp16_overflow 0
		.amdhsa_workgroup_processor_mode 1
		.amdhsa_memory_ordered 1
		.amdhsa_forward_progress 0
		.amdhsa_shared_vgpr_count 0
		.amdhsa_exception_fp_ieee_invalid_op 0
		.amdhsa_exception_fp_denorm_src 0
		.amdhsa_exception_fp_ieee_div_zero 0
		.amdhsa_exception_fp_ieee_overflow 0
		.amdhsa_exception_fp_ieee_underflow 0
		.amdhsa_exception_fp_ieee_inexact 0
		.amdhsa_exception_int_div_zero 0
	.end_amdhsa_kernel
	.section	.text._ZN7rocprim17ROCPRIM_400000_NS6detail17trampoline_kernelINS0_14default_configENS1_38merge_sort_block_merge_config_selectorIlNS0_10empty_typeEEEZZNS1_27merge_sort_block_merge_implIS3_PlPS5_mZN2at6native12_GLOBAL__N_124unique_dim_cuda_templateIN3c108BFloat16EEESt5tupleIJNSA_6TensorESH_SH_EERKSH_lbbbEUlllE_EE10hipError_tT0_T1_T2_jT3_P12ihipStream_tbPNSt15iterator_traitsISN_E10value_typeEPNST_ISO_E10value_typeEPSP_NS1_7vsmem_tEENKUlT_SN_SO_SP_E_clIS8_S8_S9_S9_EESM_S12_SN_SO_SP_EUlS12_E0_NS1_11comp_targetILNS1_3genE3ELNS1_11target_archE908ELNS1_3gpuE7ELNS1_3repE0EEENS1_38merge_mergepath_config_static_selectorELNS0_4arch9wavefront6targetE0EEEvSO_,"axG",@progbits,_ZN7rocprim17ROCPRIM_400000_NS6detail17trampoline_kernelINS0_14default_configENS1_38merge_sort_block_merge_config_selectorIlNS0_10empty_typeEEEZZNS1_27merge_sort_block_merge_implIS3_PlPS5_mZN2at6native12_GLOBAL__N_124unique_dim_cuda_templateIN3c108BFloat16EEESt5tupleIJNSA_6TensorESH_SH_EERKSH_lbbbEUlllE_EE10hipError_tT0_T1_T2_jT3_P12ihipStream_tbPNSt15iterator_traitsISN_E10value_typeEPNST_ISO_E10value_typeEPSP_NS1_7vsmem_tEENKUlT_SN_SO_SP_E_clIS8_S8_S9_S9_EESM_S12_SN_SO_SP_EUlS12_E0_NS1_11comp_targetILNS1_3genE3ELNS1_11target_archE908ELNS1_3gpuE7ELNS1_3repE0EEENS1_38merge_mergepath_config_static_selectorELNS0_4arch9wavefront6targetE0EEEvSO_,comdat
.Lfunc_end1136:
	.size	_ZN7rocprim17ROCPRIM_400000_NS6detail17trampoline_kernelINS0_14default_configENS1_38merge_sort_block_merge_config_selectorIlNS0_10empty_typeEEEZZNS1_27merge_sort_block_merge_implIS3_PlPS5_mZN2at6native12_GLOBAL__N_124unique_dim_cuda_templateIN3c108BFloat16EEESt5tupleIJNSA_6TensorESH_SH_EERKSH_lbbbEUlllE_EE10hipError_tT0_T1_T2_jT3_P12ihipStream_tbPNSt15iterator_traitsISN_E10value_typeEPNST_ISO_E10value_typeEPSP_NS1_7vsmem_tEENKUlT_SN_SO_SP_E_clIS8_S8_S9_S9_EESM_S12_SN_SO_SP_EUlS12_E0_NS1_11comp_targetILNS1_3genE3ELNS1_11target_archE908ELNS1_3gpuE7ELNS1_3repE0EEENS1_38merge_mergepath_config_static_selectorELNS0_4arch9wavefront6targetE0EEEvSO_, .Lfunc_end1136-_ZN7rocprim17ROCPRIM_400000_NS6detail17trampoline_kernelINS0_14default_configENS1_38merge_sort_block_merge_config_selectorIlNS0_10empty_typeEEEZZNS1_27merge_sort_block_merge_implIS3_PlPS5_mZN2at6native12_GLOBAL__N_124unique_dim_cuda_templateIN3c108BFloat16EEESt5tupleIJNSA_6TensorESH_SH_EERKSH_lbbbEUlllE_EE10hipError_tT0_T1_T2_jT3_P12ihipStream_tbPNSt15iterator_traitsISN_E10value_typeEPNST_ISO_E10value_typeEPSP_NS1_7vsmem_tEENKUlT_SN_SO_SP_E_clIS8_S8_S9_S9_EESM_S12_SN_SO_SP_EUlS12_E0_NS1_11comp_targetILNS1_3genE3ELNS1_11target_archE908ELNS1_3gpuE7ELNS1_3repE0EEENS1_38merge_mergepath_config_static_selectorELNS0_4arch9wavefront6targetE0EEEvSO_
                                        ; -- End function
	.section	.AMDGPU.csdata,"",@progbits
; Kernel info:
; codeLenInByte = 0
; NumSgprs: 0
; NumVgprs: 0
; ScratchSize: 0
; MemoryBound: 0
; FloatMode: 240
; IeeeMode: 1
; LDSByteSize: 0 bytes/workgroup (compile time only)
; SGPRBlocks: 0
; VGPRBlocks: 0
; NumSGPRsForWavesPerEU: 1
; NumVGPRsForWavesPerEU: 1
; Occupancy: 16
; WaveLimiterHint : 0
; COMPUTE_PGM_RSRC2:SCRATCH_EN: 0
; COMPUTE_PGM_RSRC2:USER_SGPR: 15
; COMPUTE_PGM_RSRC2:TRAP_HANDLER: 0
; COMPUTE_PGM_RSRC2:TGID_X_EN: 1
; COMPUTE_PGM_RSRC2:TGID_Y_EN: 0
; COMPUTE_PGM_RSRC2:TGID_Z_EN: 0
; COMPUTE_PGM_RSRC2:TIDIG_COMP_CNT: 0
	.section	.text._ZN7rocprim17ROCPRIM_400000_NS6detail17trampoline_kernelINS0_14default_configENS1_38merge_sort_block_merge_config_selectorIlNS0_10empty_typeEEEZZNS1_27merge_sort_block_merge_implIS3_PlPS5_mZN2at6native12_GLOBAL__N_124unique_dim_cuda_templateIN3c108BFloat16EEESt5tupleIJNSA_6TensorESH_SH_EERKSH_lbbbEUlllE_EE10hipError_tT0_T1_T2_jT3_P12ihipStream_tbPNSt15iterator_traitsISN_E10value_typeEPNST_ISO_E10value_typeEPSP_NS1_7vsmem_tEENKUlT_SN_SO_SP_E_clIS8_S8_S9_S9_EESM_S12_SN_SO_SP_EUlS12_E0_NS1_11comp_targetILNS1_3genE2ELNS1_11target_archE906ELNS1_3gpuE6ELNS1_3repE0EEENS1_38merge_mergepath_config_static_selectorELNS0_4arch9wavefront6targetE0EEEvSO_,"axG",@progbits,_ZN7rocprim17ROCPRIM_400000_NS6detail17trampoline_kernelINS0_14default_configENS1_38merge_sort_block_merge_config_selectorIlNS0_10empty_typeEEEZZNS1_27merge_sort_block_merge_implIS3_PlPS5_mZN2at6native12_GLOBAL__N_124unique_dim_cuda_templateIN3c108BFloat16EEESt5tupleIJNSA_6TensorESH_SH_EERKSH_lbbbEUlllE_EE10hipError_tT0_T1_T2_jT3_P12ihipStream_tbPNSt15iterator_traitsISN_E10value_typeEPNST_ISO_E10value_typeEPSP_NS1_7vsmem_tEENKUlT_SN_SO_SP_E_clIS8_S8_S9_S9_EESM_S12_SN_SO_SP_EUlS12_E0_NS1_11comp_targetILNS1_3genE2ELNS1_11target_archE906ELNS1_3gpuE6ELNS1_3repE0EEENS1_38merge_mergepath_config_static_selectorELNS0_4arch9wavefront6targetE0EEEvSO_,comdat
	.globl	_ZN7rocprim17ROCPRIM_400000_NS6detail17trampoline_kernelINS0_14default_configENS1_38merge_sort_block_merge_config_selectorIlNS0_10empty_typeEEEZZNS1_27merge_sort_block_merge_implIS3_PlPS5_mZN2at6native12_GLOBAL__N_124unique_dim_cuda_templateIN3c108BFloat16EEESt5tupleIJNSA_6TensorESH_SH_EERKSH_lbbbEUlllE_EE10hipError_tT0_T1_T2_jT3_P12ihipStream_tbPNSt15iterator_traitsISN_E10value_typeEPNST_ISO_E10value_typeEPSP_NS1_7vsmem_tEENKUlT_SN_SO_SP_E_clIS8_S8_S9_S9_EESM_S12_SN_SO_SP_EUlS12_E0_NS1_11comp_targetILNS1_3genE2ELNS1_11target_archE906ELNS1_3gpuE6ELNS1_3repE0EEENS1_38merge_mergepath_config_static_selectorELNS0_4arch9wavefront6targetE0EEEvSO_ ; -- Begin function _ZN7rocprim17ROCPRIM_400000_NS6detail17trampoline_kernelINS0_14default_configENS1_38merge_sort_block_merge_config_selectorIlNS0_10empty_typeEEEZZNS1_27merge_sort_block_merge_implIS3_PlPS5_mZN2at6native12_GLOBAL__N_124unique_dim_cuda_templateIN3c108BFloat16EEESt5tupleIJNSA_6TensorESH_SH_EERKSH_lbbbEUlllE_EE10hipError_tT0_T1_T2_jT3_P12ihipStream_tbPNSt15iterator_traitsISN_E10value_typeEPNST_ISO_E10value_typeEPSP_NS1_7vsmem_tEENKUlT_SN_SO_SP_E_clIS8_S8_S9_S9_EESM_S12_SN_SO_SP_EUlS12_E0_NS1_11comp_targetILNS1_3genE2ELNS1_11target_archE906ELNS1_3gpuE6ELNS1_3repE0EEENS1_38merge_mergepath_config_static_selectorELNS0_4arch9wavefront6targetE0EEEvSO_
	.p2align	8
	.type	_ZN7rocprim17ROCPRIM_400000_NS6detail17trampoline_kernelINS0_14default_configENS1_38merge_sort_block_merge_config_selectorIlNS0_10empty_typeEEEZZNS1_27merge_sort_block_merge_implIS3_PlPS5_mZN2at6native12_GLOBAL__N_124unique_dim_cuda_templateIN3c108BFloat16EEESt5tupleIJNSA_6TensorESH_SH_EERKSH_lbbbEUlllE_EE10hipError_tT0_T1_T2_jT3_P12ihipStream_tbPNSt15iterator_traitsISN_E10value_typeEPNST_ISO_E10value_typeEPSP_NS1_7vsmem_tEENKUlT_SN_SO_SP_E_clIS8_S8_S9_S9_EESM_S12_SN_SO_SP_EUlS12_E0_NS1_11comp_targetILNS1_3genE2ELNS1_11target_archE906ELNS1_3gpuE6ELNS1_3repE0EEENS1_38merge_mergepath_config_static_selectorELNS0_4arch9wavefront6targetE0EEEvSO_,@function
_ZN7rocprim17ROCPRIM_400000_NS6detail17trampoline_kernelINS0_14default_configENS1_38merge_sort_block_merge_config_selectorIlNS0_10empty_typeEEEZZNS1_27merge_sort_block_merge_implIS3_PlPS5_mZN2at6native12_GLOBAL__N_124unique_dim_cuda_templateIN3c108BFloat16EEESt5tupleIJNSA_6TensorESH_SH_EERKSH_lbbbEUlllE_EE10hipError_tT0_T1_T2_jT3_P12ihipStream_tbPNSt15iterator_traitsISN_E10value_typeEPNST_ISO_E10value_typeEPSP_NS1_7vsmem_tEENKUlT_SN_SO_SP_E_clIS8_S8_S9_S9_EESM_S12_SN_SO_SP_EUlS12_E0_NS1_11comp_targetILNS1_3genE2ELNS1_11target_archE906ELNS1_3gpuE6ELNS1_3repE0EEENS1_38merge_mergepath_config_static_selectorELNS0_4arch9wavefront6targetE0EEEvSO_: ; @_ZN7rocprim17ROCPRIM_400000_NS6detail17trampoline_kernelINS0_14default_configENS1_38merge_sort_block_merge_config_selectorIlNS0_10empty_typeEEEZZNS1_27merge_sort_block_merge_implIS3_PlPS5_mZN2at6native12_GLOBAL__N_124unique_dim_cuda_templateIN3c108BFloat16EEESt5tupleIJNSA_6TensorESH_SH_EERKSH_lbbbEUlllE_EE10hipError_tT0_T1_T2_jT3_P12ihipStream_tbPNSt15iterator_traitsISN_E10value_typeEPNST_ISO_E10value_typeEPSP_NS1_7vsmem_tEENKUlT_SN_SO_SP_E_clIS8_S8_S9_S9_EESM_S12_SN_SO_SP_EUlS12_E0_NS1_11comp_targetILNS1_3genE2ELNS1_11target_archE906ELNS1_3gpuE6ELNS1_3repE0EEENS1_38merge_mergepath_config_static_selectorELNS0_4arch9wavefront6targetE0EEEvSO_
; %bb.0:
	.section	.rodata,"a",@progbits
	.p2align	6, 0x0
	.amdhsa_kernel _ZN7rocprim17ROCPRIM_400000_NS6detail17trampoline_kernelINS0_14default_configENS1_38merge_sort_block_merge_config_selectorIlNS0_10empty_typeEEEZZNS1_27merge_sort_block_merge_implIS3_PlPS5_mZN2at6native12_GLOBAL__N_124unique_dim_cuda_templateIN3c108BFloat16EEESt5tupleIJNSA_6TensorESH_SH_EERKSH_lbbbEUlllE_EE10hipError_tT0_T1_T2_jT3_P12ihipStream_tbPNSt15iterator_traitsISN_E10value_typeEPNST_ISO_E10value_typeEPSP_NS1_7vsmem_tEENKUlT_SN_SO_SP_E_clIS8_S8_S9_S9_EESM_S12_SN_SO_SP_EUlS12_E0_NS1_11comp_targetILNS1_3genE2ELNS1_11target_archE906ELNS1_3gpuE6ELNS1_3repE0EEENS1_38merge_mergepath_config_static_selectorELNS0_4arch9wavefront6targetE0EEEvSO_
		.amdhsa_group_segment_fixed_size 0
		.amdhsa_private_segment_fixed_size 0
		.amdhsa_kernarg_size 88
		.amdhsa_user_sgpr_count 15
		.amdhsa_user_sgpr_dispatch_ptr 0
		.amdhsa_user_sgpr_queue_ptr 0
		.amdhsa_user_sgpr_kernarg_segment_ptr 1
		.amdhsa_user_sgpr_dispatch_id 0
		.amdhsa_user_sgpr_private_segment_size 0
		.amdhsa_wavefront_size32 1
		.amdhsa_uses_dynamic_stack 0
		.amdhsa_enable_private_segment 0
		.amdhsa_system_sgpr_workgroup_id_x 1
		.amdhsa_system_sgpr_workgroup_id_y 0
		.amdhsa_system_sgpr_workgroup_id_z 0
		.amdhsa_system_sgpr_workgroup_info 0
		.amdhsa_system_vgpr_workitem_id 0
		.amdhsa_next_free_vgpr 1
		.amdhsa_next_free_sgpr 1
		.amdhsa_reserve_vcc 0
		.amdhsa_float_round_mode_32 0
		.amdhsa_float_round_mode_16_64 0
		.amdhsa_float_denorm_mode_32 3
		.amdhsa_float_denorm_mode_16_64 3
		.amdhsa_dx10_clamp 1
		.amdhsa_ieee_mode 1
		.amdhsa_fp16_overflow 0
		.amdhsa_workgroup_processor_mode 1
		.amdhsa_memory_ordered 1
		.amdhsa_forward_progress 0
		.amdhsa_shared_vgpr_count 0
		.amdhsa_exception_fp_ieee_invalid_op 0
		.amdhsa_exception_fp_denorm_src 0
		.amdhsa_exception_fp_ieee_div_zero 0
		.amdhsa_exception_fp_ieee_overflow 0
		.amdhsa_exception_fp_ieee_underflow 0
		.amdhsa_exception_fp_ieee_inexact 0
		.amdhsa_exception_int_div_zero 0
	.end_amdhsa_kernel
	.section	.text._ZN7rocprim17ROCPRIM_400000_NS6detail17trampoline_kernelINS0_14default_configENS1_38merge_sort_block_merge_config_selectorIlNS0_10empty_typeEEEZZNS1_27merge_sort_block_merge_implIS3_PlPS5_mZN2at6native12_GLOBAL__N_124unique_dim_cuda_templateIN3c108BFloat16EEESt5tupleIJNSA_6TensorESH_SH_EERKSH_lbbbEUlllE_EE10hipError_tT0_T1_T2_jT3_P12ihipStream_tbPNSt15iterator_traitsISN_E10value_typeEPNST_ISO_E10value_typeEPSP_NS1_7vsmem_tEENKUlT_SN_SO_SP_E_clIS8_S8_S9_S9_EESM_S12_SN_SO_SP_EUlS12_E0_NS1_11comp_targetILNS1_3genE2ELNS1_11target_archE906ELNS1_3gpuE6ELNS1_3repE0EEENS1_38merge_mergepath_config_static_selectorELNS0_4arch9wavefront6targetE0EEEvSO_,"axG",@progbits,_ZN7rocprim17ROCPRIM_400000_NS6detail17trampoline_kernelINS0_14default_configENS1_38merge_sort_block_merge_config_selectorIlNS0_10empty_typeEEEZZNS1_27merge_sort_block_merge_implIS3_PlPS5_mZN2at6native12_GLOBAL__N_124unique_dim_cuda_templateIN3c108BFloat16EEESt5tupleIJNSA_6TensorESH_SH_EERKSH_lbbbEUlllE_EE10hipError_tT0_T1_T2_jT3_P12ihipStream_tbPNSt15iterator_traitsISN_E10value_typeEPNST_ISO_E10value_typeEPSP_NS1_7vsmem_tEENKUlT_SN_SO_SP_E_clIS8_S8_S9_S9_EESM_S12_SN_SO_SP_EUlS12_E0_NS1_11comp_targetILNS1_3genE2ELNS1_11target_archE906ELNS1_3gpuE6ELNS1_3repE0EEENS1_38merge_mergepath_config_static_selectorELNS0_4arch9wavefront6targetE0EEEvSO_,comdat
.Lfunc_end1137:
	.size	_ZN7rocprim17ROCPRIM_400000_NS6detail17trampoline_kernelINS0_14default_configENS1_38merge_sort_block_merge_config_selectorIlNS0_10empty_typeEEEZZNS1_27merge_sort_block_merge_implIS3_PlPS5_mZN2at6native12_GLOBAL__N_124unique_dim_cuda_templateIN3c108BFloat16EEESt5tupleIJNSA_6TensorESH_SH_EERKSH_lbbbEUlllE_EE10hipError_tT0_T1_T2_jT3_P12ihipStream_tbPNSt15iterator_traitsISN_E10value_typeEPNST_ISO_E10value_typeEPSP_NS1_7vsmem_tEENKUlT_SN_SO_SP_E_clIS8_S8_S9_S9_EESM_S12_SN_SO_SP_EUlS12_E0_NS1_11comp_targetILNS1_3genE2ELNS1_11target_archE906ELNS1_3gpuE6ELNS1_3repE0EEENS1_38merge_mergepath_config_static_selectorELNS0_4arch9wavefront6targetE0EEEvSO_, .Lfunc_end1137-_ZN7rocprim17ROCPRIM_400000_NS6detail17trampoline_kernelINS0_14default_configENS1_38merge_sort_block_merge_config_selectorIlNS0_10empty_typeEEEZZNS1_27merge_sort_block_merge_implIS3_PlPS5_mZN2at6native12_GLOBAL__N_124unique_dim_cuda_templateIN3c108BFloat16EEESt5tupleIJNSA_6TensorESH_SH_EERKSH_lbbbEUlllE_EE10hipError_tT0_T1_T2_jT3_P12ihipStream_tbPNSt15iterator_traitsISN_E10value_typeEPNST_ISO_E10value_typeEPSP_NS1_7vsmem_tEENKUlT_SN_SO_SP_E_clIS8_S8_S9_S9_EESM_S12_SN_SO_SP_EUlS12_E0_NS1_11comp_targetILNS1_3genE2ELNS1_11target_archE906ELNS1_3gpuE6ELNS1_3repE0EEENS1_38merge_mergepath_config_static_selectorELNS0_4arch9wavefront6targetE0EEEvSO_
                                        ; -- End function
	.section	.AMDGPU.csdata,"",@progbits
; Kernel info:
; codeLenInByte = 0
; NumSgprs: 0
; NumVgprs: 0
; ScratchSize: 0
; MemoryBound: 0
; FloatMode: 240
; IeeeMode: 1
; LDSByteSize: 0 bytes/workgroup (compile time only)
; SGPRBlocks: 0
; VGPRBlocks: 0
; NumSGPRsForWavesPerEU: 1
; NumVGPRsForWavesPerEU: 1
; Occupancy: 16
; WaveLimiterHint : 0
; COMPUTE_PGM_RSRC2:SCRATCH_EN: 0
; COMPUTE_PGM_RSRC2:USER_SGPR: 15
; COMPUTE_PGM_RSRC2:TRAP_HANDLER: 0
; COMPUTE_PGM_RSRC2:TGID_X_EN: 1
; COMPUTE_PGM_RSRC2:TGID_Y_EN: 0
; COMPUTE_PGM_RSRC2:TGID_Z_EN: 0
; COMPUTE_PGM_RSRC2:TIDIG_COMP_CNT: 0
	.section	.text._ZN7rocprim17ROCPRIM_400000_NS6detail17trampoline_kernelINS0_14default_configENS1_38merge_sort_block_merge_config_selectorIlNS0_10empty_typeEEEZZNS1_27merge_sort_block_merge_implIS3_PlPS5_mZN2at6native12_GLOBAL__N_124unique_dim_cuda_templateIN3c108BFloat16EEESt5tupleIJNSA_6TensorESH_SH_EERKSH_lbbbEUlllE_EE10hipError_tT0_T1_T2_jT3_P12ihipStream_tbPNSt15iterator_traitsISN_E10value_typeEPNST_ISO_E10value_typeEPSP_NS1_7vsmem_tEENKUlT_SN_SO_SP_E_clIS8_S8_S9_S9_EESM_S12_SN_SO_SP_EUlS12_E0_NS1_11comp_targetILNS1_3genE9ELNS1_11target_archE1100ELNS1_3gpuE3ELNS1_3repE0EEENS1_38merge_mergepath_config_static_selectorELNS0_4arch9wavefront6targetE0EEEvSO_,"axG",@progbits,_ZN7rocprim17ROCPRIM_400000_NS6detail17trampoline_kernelINS0_14default_configENS1_38merge_sort_block_merge_config_selectorIlNS0_10empty_typeEEEZZNS1_27merge_sort_block_merge_implIS3_PlPS5_mZN2at6native12_GLOBAL__N_124unique_dim_cuda_templateIN3c108BFloat16EEESt5tupleIJNSA_6TensorESH_SH_EERKSH_lbbbEUlllE_EE10hipError_tT0_T1_T2_jT3_P12ihipStream_tbPNSt15iterator_traitsISN_E10value_typeEPNST_ISO_E10value_typeEPSP_NS1_7vsmem_tEENKUlT_SN_SO_SP_E_clIS8_S8_S9_S9_EESM_S12_SN_SO_SP_EUlS12_E0_NS1_11comp_targetILNS1_3genE9ELNS1_11target_archE1100ELNS1_3gpuE3ELNS1_3repE0EEENS1_38merge_mergepath_config_static_selectorELNS0_4arch9wavefront6targetE0EEEvSO_,comdat
	.globl	_ZN7rocprim17ROCPRIM_400000_NS6detail17trampoline_kernelINS0_14default_configENS1_38merge_sort_block_merge_config_selectorIlNS0_10empty_typeEEEZZNS1_27merge_sort_block_merge_implIS3_PlPS5_mZN2at6native12_GLOBAL__N_124unique_dim_cuda_templateIN3c108BFloat16EEESt5tupleIJNSA_6TensorESH_SH_EERKSH_lbbbEUlllE_EE10hipError_tT0_T1_T2_jT3_P12ihipStream_tbPNSt15iterator_traitsISN_E10value_typeEPNST_ISO_E10value_typeEPSP_NS1_7vsmem_tEENKUlT_SN_SO_SP_E_clIS8_S8_S9_S9_EESM_S12_SN_SO_SP_EUlS12_E0_NS1_11comp_targetILNS1_3genE9ELNS1_11target_archE1100ELNS1_3gpuE3ELNS1_3repE0EEENS1_38merge_mergepath_config_static_selectorELNS0_4arch9wavefront6targetE0EEEvSO_ ; -- Begin function _ZN7rocprim17ROCPRIM_400000_NS6detail17trampoline_kernelINS0_14default_configENS1_38merge_sort_block_merge_config_selectorIlNS0_10empty_typeEEEZZNS1_27merge_sort_block_merge_implIS3_PlPS5_mZN2at6native12_GLOBAL__N_124unique_dim_cuda_templateIN3c108BFloat16EEESt5tupleIJNSA_6TensorESH_SH_EERKSH_lbbbEUlllE_EE10hipError_tT0_T1_T2_jT3_P12ihipStream_tbPNSt15iterator_traitsISN_E10value_typeEPNST_ISO_E10value_typeEPSP_NS1_7vsmem_tEENKUlT_SN_SO_SP_E_clIS8_S8_S9_S9_EESM_S12_SN_SO_SP_EUlS12_E0_NS1_11comp_targetILNS1_3genE9ELNS1_11target_archE1100ELNS1_3gpuE3ELNS1_3repE0EEENS1_38merge_mergepath_config_static_selectorELNS0_4arch9wavefront6targetE0EEEvSO_
	.p2align	8
	.type	_ZN7rocprim17ROCPRIM_400000_NS6detail17trampoline_kernelINS0_14default_configENS1_38merge_sort_block_merge_config_selectorIlNS0_10empty_typeEEEZZNS1_27merge_sort_block_merge_implIS3_PlPS5_mZN2at6native12_GLOBAL__N_124unique_dim_cuda_templateIN3c108BFloat16EEESt5tupleIJNSA_6TensorESH_SH_EERKSH_lbbbEUlllE_EE10hipError_tT0_T1_T2_jT3_P12ihipStream_tbPNSt15iterator_traitsISN_E10value_typeEPNST_ISO_E10value_typeEPSP_NS1_7vsmem_tEENKUlT_SN_SO_SP_E_clIS8_S8_S9_S9_EESM_S12_SN_SO_SP_EUlS12_E0_NS1_11comp_targetILNS1_3genE9ELNS1_11target_archE1100ELNS1_3gpuE3ELNS1_3repE0EEENS1_38merge_mergepath_config_static_selectorELNS0_4arch9wavefront6targetE0EEEvSO_,@function
_ZN7rocprim17ROCPRIM_400000_NS6detail17trampoline_kernelINS0_14default_configENS1_38merge_sort_block_merge_config_selectorIlNS0_10empty_typeEEEZZNS1_27merge_sort_block_merge_implIS3_PlPS5_mZN2at6native12_GLOBAL__N_124unique_dim_cuda_templateIN3c108BFloat16EEESt5tupleIJNSA_6TensorESH_SH_EERKSH_lbbbEUlllE_EE10hipError_tT0_T1_T2_jT3_P12ihipStream_tbPNSt15iterator_traitsISN_E10value_typeEPNST_ISO_E10value_typeEPSP_NS1_7vsmem_tEENKUlT_SN_SO_SP_E_clIS8_S8_S9_S9_EESM_S12_SN_SO_SP_EUlS12_E0_NS1_11comp_targetILNS1_3genE9ELNS1_11target_archE1100ELNS1_3gpuE3ELNS1_3repE0EEENS1_38merge_mergepath_config_static_selectorELNS0_4arch9wavefront6targetE0EEEvSO_: ; @_ZN7rocprim17ROCPRIM_400000_NS6detail17trampoline_kernelINS0_14default_configENS1_38merge_sort_block_merge_config_selectorIlNS0_10empty_typeEEEZZNS1_27merge_sort_block_merge_implIS3_PlPS5_mZN2at6native12_GLOBAL__N_124unique_dim_cuda_templateIN3c108BFloat16EEESt5tupleIJNSA_6TensorESH_SH_EERKSH_lbbbEUlllE_EE10hipError_tT0_T1_T2_jT3_P12ihipStream_tbPNSt15iterator_traitsISN_E10value_typeEPNST_ISO_E10value_typeEPSP_NS1_7vsmem_tEENKUlT_SN_SO_SP_E_clIS8_S8_S9_S9_EESM_S12_SN_SO_SP_EUlS12_E0_NS1_11comp_targetILNS1_3genE9ELNS1_11target_archE1100ELNS1_3gpuE3ELNS1_3repE0EEENS1_38merge_mergepath_config_static_selectorELNS0_4arch9wavefront6targetE0EEEvSO_
; %bb.0:
	s_clause 0x1
	s_load_b64 s[24:25], s[0:1], 0x58
	s_load_b32 s3, s[0:1], 0x38
	s_add_u32 s22, s0, 0x58
	s_addc_u32 s23, s1, 0
	s_waitcnt lgkmcnt(0)
	s_mul_i32 s2, s25, s15
	s_delay_alu instid0(SALU_CYCLE_1) | instskip(NEXT) | instid1(SALU_CYCLE_1)
	s_add_i32 s2, s2, s14
	s_mul_i32 s2, s2, s24
	s_delay_alu instid0(SALU_CYCLE_1) | instskip(NEXT) | instid1(SALU_CYCLE_1)
	s_add_i32 s2, s2, s13
	s_cmp_ge_u32 s2, s3
	s_cbranch_scc1 .LBB1138_55
; %bb.1:
	s_clause 0x1
	s_load_b128 s[4:7], s[0:1], 0x28
	s_load_b64 s[8:9], s[0:1], 0x50
	s_mov_b32 s3, 0
	s_delay_alu instid0(SALU_CYCLE_1)
	s_lshl_b64 s[10:11], s[2:3], 3
	s_waitcnt lgkmcnt(0)
	v_alignbit_b32 v1, s7, s6, 9
	s_add_u32 s8, s8, s10
	s_addc_u32 s9, s9, s11
	s_lshl_b64 s[20:21], s[2:3], 10
	s_load_b128 s[16:19], s[8:9], 0x0
	v_readfirstlane_b32 s10, v1
	s_mov_b32 s9, s3
	s_delay_alu instid0(VALU_DEP_1) | instskip(NEXT) | instid1(SALU_CYCLE_1)
	s_and_b32 s8, s10, -2
	s_sub_i32 s33, 0, s8
	s_delay_alu instid0(SALU_CYCLE_1) | instskip(NEXT) | instid1(SALU_CYCLE_1)
	s_and_b32 s8, s2, s33
	s_lshl_b64 s[14:15], s[8:9], 10
	s_delay_alu instid0(SALU_CYCLE_1)
	s_sub_u32 s12, s20, s14
	s_subb_u32 s25, s21, s15
	s_lshl_b64 s[28:29], s[8:9], 11
	s_load_b128 s[8:11], s[0:1], 0x8
	s_add_u32 s27, s28, s6
	s_addc_u32 s28, s29, s7
	s_add_u32 s12, s27, s12
	s_addc_u32 s25, s28, s25
	s_waitcnt lgkmcnt(0)
	s_sub_u32 s26, s12, s18
	s_subb_u32 s19, s25, s19
	s_add_u32 s30, s26, 0x400
	s_addc_u32 s31, s19, 0
	s_delay_alu instid0(SALU_CYCLE_1) | instskip(NEXT) | instid1(VALU_DEP_1)
	v_cmp_lt_u64_e64 s19, s[4:5], s[30:31]
	s_and_b32 s19, s19, exec_lo
	s_cselect_b32 s26, s4, s30
	s_or_b32 s19, s2, s33
	s_delay_alu instid0(SALU_CYCLE_1)
	s_cmp_lg_u32 s19, -1
	s_mov_b32 s19, -1
	s_cbranch_scc1 .LBB1138_3
; %bb.2:
	s_sub_u32 s14, s27, s14
	s_subb_u32 s15, s28, s15
	s_delay_alu instid0(SALU_CYCLE_1) | instskip(NEXT) | instid1(VALU_DEP_1)
	v_cmp_lt_u64_e64 s18, s[4:5], s[14:15]
	s_and_b32 s18, s18, exec_lo
	s_cselect_b32 s18, s4, s14
	s_add_u32 s6, s14, s6
	s_addc_u32 s7, s15, s7
	s_delay_alu instid0(SALU_CYCLE_1) | instskip(NEXT) | instid1(VALU_DEP_1)
	v_cmp_lt_u64_e64 s7, s[4:5], s[6:7]
	s_and_b32 s7, s7, exec_lo
	s_cselect_b32 s26, s4, s6
.LBB1138_3:
	v_mov_b32_e32 v2, 0
	s_lshr_b64 s[28:29], s[4:5], 10
	v_lshlrev_b32_e32 v9, 3, v0
	s_cmp_lg_u64 s[28:29], s[2:3]
	s_cselect_b32 s6, -1, 0
	global_load_b32 v1, v2, s[22:23] offset:14
	s_sub_u32 s14, s12, s16
	s_subb_u32 s15, s25, s17
	s_delay_alu instid0(SALU_CYCLE_1) | instskip(NEXT) | instid1(VALU_DEP_1)
	v_cmp_lt_u64_e64 s7, s[4:5], s[14:15]
	s_and_b32 s7, s7, exec_lo
	s_cselect_b32 s30, s4, s14
	s_cselect_b32 s31, s5, s15
	s_lshl_b64 s[14:15], s[16:17], 3
	s_sub_i32 s5, s18, s16
	s_sub_i32 s16, s26, s30
	s_add_u32 s12, s8, s14
	s_addc_u32 s14, s9, s15
	s_lshl_b64 s[26:27], s[30:31], 3
	s_delay_alu instid0(SALU_CYCLE_1) | instskip(SKIP_3) | instid1(SALU_CYCLE_1)
	s_add_u32 s8, s8, s26
	s_addc_u32 s9, s9, s27
	s_cmp_lt_u32 s13, s24
	s_cselect_b32 s7, 12, 18
	s_add_u32 s22, s22, s7
	s_addc_u32 s23, s23, 0
	s_cmp_eq_u64 s[28:29], s[2:3]
	s_waitcnt vmcnt(0)
	v_lshrrev_b32_e32 v4, 16, v1
	v_and_b32_e32 v1, 0xffff, v1
	global_load_u16 v3, v2, s[22:23]
	v_mul_lo_u32 v1, v1, v4
	s_waitcnt vmcnt(0)
	s_delay_alu instid0(VALU_DEP_1)
	v_mul_lo_u32 v7, v1, v3
	s_cbranch_scc1 .LBB1138_5
; %bb.4:
	v_subrev_nc_u32_e32 v1, s5, v0
	v_add_co_u32 v8, s2, s12, v9
	s_delay_alu instid0(VALU_DEP_1) | instskip(NEXT) | instid1(VALU_DEP_3)
	v_add_co_ci_u32_e64 v10, null, s14, 0, s2
	v_lshlrev_b64 v[3:4], 3, v[1:2]
	v_add_nc_u32_e32 v1, v7, v0
	s_add_i32 s7, s5, s16
	s_delay_alu instid0(VALU_DEP_1) | instskip(NEXT) | instid1(VALU_DEP_3)
	v_lshlrev_b64 v[5:6], 3, v[1:2]
	v_add_co_u32 v3, s2, s8, v3
	s_delay_alu instid0(VALU_DEP_1) | instskip(SKIP_1) | instid1(VALU_DEP_4)
	v_add_co_ci_u32_e64 v4, s2, s9, v4, s2
	v_cmp_gt_u32_e64 s2, s5, v0
	v_add_co_u32 v5, vcc_lo, s12, v5
	v_add_co_ci_u32_e32 v6, vcc_lo, s14, v6, vcc_lo
	v_cmp_gt_u32_e32 vcc_lo, s5, v1
	v_subrev_nc_u32_e32 v1, s5, v1
	s_delay_alu instid0(VALU_DEP_1) | instskip(NEXT) | instid1(VALU_DEP_1)
	v_lshlrev_b64 v[1:2], 3, v[1:2]
	v_add_co_u32 v11, s3, s8, v1
	s_delay_alu instid0(VALU_DEP_1) | instskip(SKIP_2) | instid1(VALU_DEP_3)
	v_add_co_ci_u32_e64 v12, s3, s9, v2, s3
	v_cndmask_b32_e64 v2, v4, v10, s2
	v_cndmask_b32_e64 v1, v3, v8, s2
	v_dual_cndmask_b32 v3, v11, v5 :: v_dual_cndmask_b32 v4, v12, v6
	global_load_b64 v[1:2], v[1:2], off
	global_load_b64 v[5:6], v[3:4], off
	s_cbranch_execz .LBB1138_6
	s_branch .LBB1138_11
.LBB1138_5:
                                        ; implicit-def: $vgpr5_vgpr6
                                        ; implicit-def: $sgpr7
                                        ; implicit-def: $vgpr1_vgpr2_vgpr3_vgpr4
	s_and_not1_b32 vcc_lo, exec_lo, s19
	s_cbranch_vccnz .LBB1138_11
.LBB1138_6:
	s_add_i32 s7, s5, s16
	s_mov_b32 s2, exec_lo
                                        ; implicit-def: $vgpr1_vgpr2
	v_cmpx_gt_u32_e64 s7, v0
	s_cbranch_execz .LBB1138_8
; %bb.7:
	s_waitcnt vmcnt(1)
	v_subrev_nc_u32_e32 v1, s5, v0
	v_add_co_u32 v3, s3, s12, v9
	v_mov_b32_e32 v2, 0
	v_add_co_ci_u32_e64 v4, null, s14, 0, s3
	s_delay_alu instid0(VALU_DEP_2) | instskip(NEXT) | instid1(VALU_DEP_1)
	v_lshlrev_b64 v[1:2], 3, v[1:2]
	v_add_co_u32 v1, vcc_lo, s8, v1
	s_delay_alu instid0(VALU_DEP_2) | instskip(SKIP_1) | instid1(VALU_DEP_2)
	v_add_co_ci_u32_e32 v2, vcc_lo, s9, v2, vcc_lo
	v_cmp_gt_u32_e32 vcc_lo, s5, v0
	v_dual_cndmask_b32 v1, v1, v3 :: v_dual_cndmask_b32 v2, v2, v4
	global_load_b64 v[1:2], v[1:2], off
.LBB1138_8:
	s_or_b32 exec_lo, exec_lo, s2
	v_add_nc_u32_e32 v7, v7, v0
	s_mov_b32 s3, exec_lo
	s_delay_alu instid0(VALU_DEP_1)
	v_cmpx_gt_u32_e64 s7, v7
                                        ; implicit-def: $vgpr3_vgpr4_vgpr5_vgpr6
	s_cbranch_execz .LBB1138_10
; %bb.9:
	v_mov_b32_e32 v8, 0
	s_delay_alu instid0(VALU_DEP_1) | instskip(SKIP_1) | instid1(VALU_DEP_1)
	v_lshlrev_b64 v[3:4], 3, v[7:8]
	s_waitcnt vmcnt(0)
	v_add_co_u32 v5, vcc_lo, s12, v3
	s_delay_alu instid0(VALU_DEP_2) | instskip(SKIP_2) | instid1(VALU_DEP_1)
	v_add_co_ci_u32_e32 v6, vcc_lo, s14, v4, vcc_lo
	v_cmp_gt_u32_e32 vcc_lo, s5, v7
	v_subrev_nc_u32_e32 v7, s5, v7
	v_lshlrev_b64 v[3:4], 3, v[7:8]
	s_delay_alu instid0(VALU_DEP_1) | instskip(NEXT) | instid1(VALU_DEP_1)
	v_add_co_u32 v3, s2, s8, v3
	v_add_co_ci_u32_e64 v4, s2, s9, v4, s2
	s_delay_alu instid0(VALU_DEP_1)
	v_dual_cndmask_b32 v3, v3, v5 :: v_dual_cndmask_b32 v4, v4, v6
	global_load_b64 v[5:6], v[3:4], off
.LBB1138_10:
	s_or_b32 exec_lo, exec_lo, s3
.LBB1138_11:
	s_load_b128 s[12:15], s[0:1], 0x40
	v_lshlrev_b32_e32 v10, 1, v0
	s_mov_b32 s8, exec_lo
	s_waitcnt vmcnt(0)
	ds_store_2addr_stride64_b64 v9, v[1:2], v[5:6] offset1:8
	s_waitcnt lgkmcnt(0)
	s_barrier
	v_min_u32_e32 v12, s7, v10
	buffer_gl0_inv
	v_sub_nc_u32_e64 v11, v12, s16 clamp
	v_min_u32_e32 v13, s5, v12
	s_delay_alu instid0(VALU_DEP_1)
	v_cmpx_lt_u32_e64 v11, v13
	s_cbranch_execz .LBB1138_23
; %bb.12:
	v_lshlrev_b32_e32 v3, 3, v12
	v_cmp_gt_i64_e64 s9, s[12:13], 0
	s_lshl_b64 s[0:1], s[12:13], 1
	s_mov_b32 s16, 0
	s_delay_alu instid0(VALU_DEP_2)
	v_lshl_add_u32 v14, s5, 3, v3
	s_branch .LBB1138_15
.LBB1138_13:                            ;   in Loop: Header=BB1138_15 Depth=1
	s_set_inst_prefetch_distance 0x2
	s_or_b32 exec_lo, exec_lo, s18
.LBB1138_14:                            ;   in Loop: Header=BB1138_15 Depth=1
	s_delay_alu instid0(VALU_DEP_1) | instskip(SKIP_1) | instid1(VALU_DEP_2)
	v_add_nc_u32_e32 v3, 1, v15
	v_cndmask_b32_e64 v13, v13, v15, s17
	v_cndmask_b32_e64 v11, v3, v11, s17
	s_delay_alu instid0(VALU_DEP_1) | instskip(SKIP_1) | instid1(SALU_CYCLE_1)
	v_cmp_ge_u32_e32 vcc_lo, v11, v13
	s_or_b32 s16, vcc_lo, s16
	s_and_not1_b32 exec_lo, exec_lo, s16
	s_cbranch_execz .LBB1138_22
.LBB1138_15:                            ; =>This Loop Header: Depth=1
                                        ;     Child Loop BB1138_18 Depth 2
	v_add_nc_u32_e32 v3, v13, v11
	s_and_not1_b32 vcc_lo, exec_lo, s9
	s_mov_b32 s17, 0
	s_delay_alu instid0(VALU_DEP_1)
	v_lshrrev_b32_e32 v15, 1, v3
	s_cbranch_vccnz .LBB1138_14
; %bb.16:                               ;   in Loop: Header=BB1138_15 Depth=1
	s_delay_alu instid0(VALU_DEP_1) | instskip(SKIP_3) | instid1(VALU_DEP_2)
	v_not_b32_e32 v3, v15
	v_lshlrev_b32_e32 v4, 3, v15
	s_mov_b32 s18, 0
	s_mov_b64 s[2:3], s[12:13]
                                        ; implicit-def: $sgpr17
                                        ; implicit-def: $sgpr19
                                        ; implicit-def: $sgpr22
	v_lshl_add_u32 v3, v3, 3, v14
	ds_load_b64 v[7:8], v3
	ds_load_b64 v[16:17], v4
	s_waitcnt lgkmcnt(1)
	v_mul_lo_u32 v18, s0, v8
	v_mul_lo_u32 v19, s1, v7
	v_mad_u64_u32 v[3:4], null, s0, v7, s[14:15]
	s_waitcnt lgkmcnt(0)
	v_mul_lo_u32 v17, s0, v17
	v_mul_lo_u32 v20, s1, v16
	v_mad_u64_u32 v[7:8], null, s0, v16, s[14:15]
	s_delay_alu instid0(VALU_DEP_4) | instskip(NEXT) | instid1(VALU_DEP_2)
	v_add3_u32 v4, v19, v4, v18
	v_add3_u32 v8, v20, v8, v17
	s_set_inst_prefetch_distance 0x1
	s_branch .LBB1138_18
	.p2align	6
.LBB1138_17:                            ;   in Loop: Header=BB1138_18 Depth=2
	s_or_b32 exec_lo, exec_lo, s25
	s_delay_alu instid0(SALU_CYCLE_1) | instskip(NEXT) | instid1(SALU_CYCLE_1)
	s_and_b32 s23, exec_lo, s24
	s_or_b32 s18, s23, s18
	s_and_not1_b32 s17, s17, exec_lo
	s_and_b32 s23, s19, exec_lo
	s_delay_alu instid0(SALU_CYCLE_1)
	s_or_b32 s17, s17, s23
	s_and_not1_b32 exec_lo, exec_lo, s18
	s_cbranch_execz .LBB1138_13
.LBB1138_18:                            ;   Parent Loop BB1138_15 Depth=1
                                        ; =>  This Inner Loop Header: Depth=2
	global_load_u16 v16, v[3:4], off
	global_load_u16 v17, v[7:8], off
	s_mov_b32 s24, -1
	s_mov_b32 s26, 0
	s_mov_b32 s23, -1
	s_mov_b32 s25, exec_lo
	s_waitcnt vmcnt(1)
	v_lshlrev_b32_e32 v16, 16, v16
	s_waitcnt vmcnt(0)
	v_lshlrev_b32_e32 v17, 16, v17
	s_delay_alu instid0(VALU_DEP_1)
	v_cmpx_nlt_f32_e32 v16, v17
; %bb.19:                               ;   in Loop: Header=BB1138_18 Depth=2
	v_cmp_ngt_f32_e32 vcc_lo, v16, v17
	s_and_b32 s22, vcc_lo, s22
	s_and_b32 s26, vcc_lo, exec_lo
	s_or_not1_b32 s23, s22, exec_lo
; %bb.20:                               ;   in Loop: Header=BB1138_18 Depth=2
	s_or_b32 exec_lo, exec_lo, s25
	s_delay_alu instid0(SALU_CYCLE_1) | instskip(SKIP_1) | instid1(SALU_CYCLE_1)
	s_and_not1_b32 s19, s19, exec_lo
	s_and_b32 s22, s23, exec_lo
	s_or_b32 s19, s19, s22
                                        ; implicit-def: $sgpr22
	s_and_saveexec_b32 s25, s26
	s_cbranch_execz .LBB1138_17
; %bb.21:                               ;   in Loop: Header=BB1138_18 Depth=2
	v_add_co_u32 v3, vcc_lo, v3, 2
	s_add_u32 s2, s2, -1
	s_addc_u32 s3, s3, -1
	v_add_co_ci_u32_e32 v4, vcc_lo, 0, v4, vcc_lo
	v_add_co_u32 v7, vcc_lo, v7, 2
	s_cmp_eq_u64 s[2:3], 0
	v_add_co_ci_u32_e32 v8, vcc_lo, 0, v8, vcc_lo
	s_cselect_b32 s24, -1, 0
	s_and_not1_b32 s19, s19, exec_lo
	s_and_b32 s22, s23, exec_lo
	s_or_not1_b32 s24, s24, exec_lo
	s_branch .LBB1138_17
.LBB1138_22:
	s_or_b32 exec_lo, exec_lo, s16
.LBB1138_23:
	s_delay_alu instid0(SALU_CYCLE_1) | instskip(SKIP_2) | instid1(VALU_DEP_2)
	s_or_b32 exec_lo, exec_lo, s8
	v_sub_nc_u32_e32 v3, v12, v11
	v_cmp_ge_u32_e32 vcc_lo, s5, v11
	v_add_nc_u32_e32 v12, s5, v3
	s_delay_alu instid0(VALU_DEP_1) | instskip(NEXT) | instid1(VALU_DEP_1)
	v_cmp_ge_u32_e64 s0, s7, v12
	s_or_b32 s0, vcc_lo, s0
	s_delay_alu instid0(SALU_CYCLE_1)
	s_and_saveexec_b32 s2, s0
	s_cbranch_execz .LBB1138_47
; %bb.24:
	v_cmp_le_u32_e32 vcc_lo, s5, v11
	s_mov_b32 s1, exec_lo
                                        ; implicit-def: $vgpr1_vgpr2
	v_cmpx_gt_u32_e64 s5, v11
	s_cbranch_execz .LBB1138_26
; %bb.25:
	v_lshlrev_b32_e32 v1, 3, v11
	ds_load_b64 v[1:2], v1
.LBB1138_26:
	s_or_b32 exec_lo, exec_lo, s1
	v_cmp_le_u32_e64 s0, s7, v12
	s_mov_b32 s3, exec_lo
                                        ; implicit-def: $vgpr3_vgpr4
	v_cmpx_gt_u32_e64 s7, v12
	s_cbranch_execz .LBB1138_28
; %bb.27:
	v_lshlrev_b32_e32 v3, 3, v12
	ds_load_b64 v[3:4], v3
.LBB1138_28:
	s_or_b32 exec_lo, exec_lo, s3
	v_cmp_lt_i64_e64 s8, s[12:13], 1
	s_or_b32 s1, vcc_lo, s0
	s_xor_b32 s3, vcc_lo, -1
	s_delay_alu instid0(SALU_CYCLE_1) | instskip(NEXT) | instid1(VALU_DEP_1)
	s_or_b32 s3, s0, s3
	s_or_b32 s1, s1, s8
	s_delay_alu instid0(SALU_CYCLE_1) | instskip(NEXT) | instid1(SALU_CYCLE_1)
	s_xor_b32 s1, s1, -1
	s_and_saveexec_b32 s9, s1
	s_cbranch_execz .LBB1138_36
; %bb.29:
	s_waitcnt lgkmcnt(0)
	v_mul_lo_u32 v13, v4, s12
	v_mul_lo_u32 v14, v3, s13
	v_mad_u64_u32 v[5:6], null, v3, s12, 0
	v_mul_lo_u32 v15, v2, s12
	v_mul_lo_u32 v16, v1, s13
	v_mad_u64_u32 v[7:8], null, v1, s12, 0
	s_mov_b32 s16, 0
	s_mov_b64 s[0:1], s[12:13]
	s_delay_alu instid0(VALU_DEP_4) | instskip(NEXT) | instid1(VALU_DEP_2)
	v_add3_u32 v6, v6, v14, v13
                                        ; implicit-def: $sgpr17
                                        ; implicit-def: $sgpr18
                                        ; implicit-def: $sgpr19
	v_add3_u32 v8, v8, v16, v15
	s_delay_alu instid0(VALU_DEP_2) | instskip(NEXT) | instid1(VALU_DEP_2)
	v_lshlrev_b64 v[5:6], 1, v[5:6]
	v_lshlrev_b64 v[7:8], 1, v[7:8]
	s_delay_alu instid0(VALU_DEP_2) | instskip(NEXT) | instid1(VALU_DEP_3)
	v_add_co_u32 v5, vcc_lo, s14, v5
	v_add_co_ci_u32_e32 v6, vcc_lo, s15, v6, vcc_lo
	s_delay_alu instid0(VALU_DEP_3) | instskip(NEXT) | instid1(VALU_DEP_4)
	v_add_co_u32 v7, vcc_lo, s14, v7
	v_add_co_ci_u32_e32 v8, vcc_lo, s15, v8, vcc_lo
	s_set_inst_prefetch_distance 0x1
	s_branch .LBB1138_31
	.p2align	6
.LBB1138_30:                            ;   in Loop: Header=BB1138_31 Depth=1
	s_or_b32 exec_lo, exec_lo, s24
	s_delay_alu instid0(SALU_CYCLE_1) | instskip(NEXT) | instid1(SALU_CYCLE_1)
	s_and_b32 s22, exec_lo, s22
	s_or_b32 s16, s22, s16
	s_and_not1_b32 s17, s17, exec_lo
	s_and_b32 s22, s18, exec_lo
	s_delay_alu instid0(SALU_CYCLE_1)
	s_or_b32 s17, s17, s22
	s_and_not1_b32 exec_lo, exec_lo, s16
	s_cbranch_execz .LBB1138_35
.LBB1138_31:                            ; =>This Inner Loop Header: Depth=1
	global_load_u16 v13, v[5:6], off
	global_load_u16 v14, v[7:8], off
	s_mov_b32 s22, -1
	s_mov_b32 s25, 0
	s_mov_b32 s23, -1
	s_mov_b32 s24, exec_lo
	s_waitcnt vmcnt(1)
	v_lshlrev_b32_e32 v13, 16, v13
	s_waitcnt vmcnt(0)
	v_lshlrev_b32_e32 v14, 16, v14
	s_delay_alu instid0(VALU_DEP_1)
	v_cmpx_nlt_f32_e32 v13, v14
; %bb.32:                               ;   in Loop: Header=BB1138_31 Depth=1
	v_cmp_ngt_f32_e32 vcc_lo, v13, v14
	s_and_b32 s19, vcc_lo, s19
	s_and_b32 s25, vcc_lo, exec_lo
	s_or_not1_b32 s23, s19, exec_lo
; %bb.33:                               ;   in Loop: Header=BB1138_31 Depth=1
	s_or_b32 exec_lo, exec_lo, s24
	s_delay_alu instid0(SALU_CYCLE_1) | instskip(SKIP_1) | instid1(SALU_CYCLE_1)
	s_and_not1_b32 s18, s18, exec_lo
	s_and_b32 s19, s23, exec_lo
	s_or_b32 s18, s18, s19
                                        ; implicit-def: $sgpr19
	s_and_saveexec_b32 s24, s25
	s_cbranch_execz .LBB1138_30
; %bb.34:                               ;   in Loop: Header=BB1138_31 Depth=1
	v_add_co_u32 v5, vcc_lo, v5, 2
	s_add_u32 s0, s0, -1
	s_addc_u32 s1, s1, -1
	v_add_co_ci_u32_e32 v6, vcc_lo, 0, v6, vcc_lo
	v_add_co_u32 v7, vcc_lo, v7, 2
	s_cmp_eq_u64 s[0:1], 0
	v_add_co_ci_u32_e32 v8, vcc_lo, 0, v8, vcc_lo
	s_cselect_b32 s22, -1, 0
	s_and_b32 s19, s23, exec_lo
	s_and_not1_b32 s18, s18, exec_lo
	s_or_not1_b32 s22, s22, exec_lo
	s_branch .LBB1138_30
.LBB1138_35:
	s_set_inst_prefetch_distance 0x2
	s_or_b32 exec_lo, exec_lo, s16
	s_xor_b32 s0, s17, -1
	s_and_not1_b32 s1, s3, exec_lo
	s_and_b32 s0, s0, exec_lo
	s_delay_alu instid0(SALU_CYCLE_1)
	s_or_b32 s3, s1, s0
.LBB1138_36:
	s_or_b32 exec_lo, exec_lo, s9
	v_mov_b32_e32 v5, s5
	v_cndmask_b32_e64 v6, v12, v11, s3
	s_mov_b32 s1, -1
	s_mov_b32 s0, exec_lo
	s_delay_alu instid0(VALU_DEP_2) | instskip(NEXT) | instid1(VALU_DEP_2)
	v_cndmask_b32_e64 v7, s7, v5, s3
	v_add_nc_u32_e32 v5, 1, v6
	s_delay_alu instid0(VALU_DEP_2) | instskip(NEXT) | instid1(VALU_DEP_2)
	v_add_nc_u32_e32 v6, -1, v7
	v_cndmask_b32_e64 v8, v5, v12, s3
	s_delay_alu instid0(VALU_DEP_2) | instskip(NEXT) | instid1(VALU_DEP_1)
	v_min_u32_e32 v6, v5, v6
	v_lshlrev_b32_e32 v6, 3, v6
	ds_load_b64 v[6:7], v6
	s_waitcnt lgkmcnt(0)
	v_cndmask_b32_e64 v12, v7, v4, s3
	v_cndmask_b32_e64 v13, v6, v3, s3
	v_cndmask_b32_e64 v14, v2, v7, s3
	v_cndmask_b32_e64 v15, v1, v6, s3
	v_cmpx_gt_u32_e64 s7, v8
	s_cbranch_execz .LBB1138_46
; %bb.37:
	v_cndmask_b32_e64 v5, v11, v5, s3
	s_delay_alu instid0(VALU_DEP_1)
	v_cmp_gt_u32_e64 s1, s5, v5
	s_xor_b32 s5, s8, -1
	s_delay_alu instid0(VALU_DEP_1) | instid1(SALU_CYCLE_1)
	s_and_b32 s7, s1, s5
	s_delay_alu instid0(SALU_CYCLE_1)
	s_and_saveexec_b32 s5, s7
	s_cbranch_execz .LBB1138_45
; %bb.38:
	v_mul_lo_u32 v11, v12, s12
	v_mul_lo_u32 v16, v13, s13
	v_mad_u64_u32 v[5:6], null, v13, s12, 0
	v_mul_lo_u32 v17, v14, s12
	v_mul_lo_u32 v18, v15, s13
	v_mad_u64_u32 v[7:8], null, v15, s12, 0
	s_mov_b32 s7, 0
                                        ; implicit-def: $sgpr8
                                        ; implicit-def: $sgpr9
	s_delay_alu instid0(VALU_DEP_4) | instskip(NEXT) | instid1(VALU_DEP_2)
	v_add3_u32 v6, v6, v16, v11
	v_add3_u32 v8, v8, v18, v17
	s_delay_alu instid0(VALU_DEP_2) | instskip(NEXT) | instid1(VALU_DEP_2)
	v_lshlrev_b64 v[5:6], 1, v[5:6]
	v_lshlrev_b64 v[7:8], 1, v[7:8]
	s_delay_alu instid0(VALU_DEP_2) | instskip(NEXT) | instid1(VALU_DEP_3)
	v_add_co_u32 v5, vcc_lo, s14, v5
	v_add_co_ci_u32_e32 v6, vcc_lo, s15, v6, vcc_lo
	s_delay_alu instid0(VALU_DEP_3) | instskip(NEXT) | instid1(VALU_DEP_4)
	v_add_co_u32 v7, vcc_lo, s14, v7
	v_add_co_ci_u32_e32 v8, vcc_lo, s15, v8, vcc_lo
                                        ; implicit-def: $sgpr14
	s_set_inst_prefetch_distance 0x1
	s_branch .LBB1138_40
	.p2align	6
.LBB1138_39:                            ;   in Loop: Header=BB1138_40 Depth=1
	s_or_b32 exec_lo, exec_lo, s17
	s_delay_alu instid0(SALU_CYCLE_1) | instskip(NEXT) | instid1(SALU_CYCLE_1)
	s_and_b32 s15, exec_lo, s15
	s_or_b32 s7, s15, s7
	s_and_not1_b32 s8, s8, exec_lo
	s_and_b32 s15, s9, exec_lo
	s_delay_alu instid0(SALU_CYCLE_1)
	s_or_b32 s8, s8, s15
	s_and_not1_b32 exec_lo, exec_lo, s7
	s_cbranch_execz .LBB1138_44
.LBB1138_40:                            ; =>This Inner Loop Header: Depth=1
	global_load_u16 v11, v[5:6], off
	global_load_u16 v16, v[7:8], off
	s_mov_b32 s15, -1
	s_mov_b32 s18, 0
	s_mov_b32 s16, -1
	s_mov_b32 s17, exec_lo
	s_waitcnt vmcnt(1)
	v_lshlrev_b32_e32 v11, 16, v11
	s_waitcnt vmcnt(0)
	v_lshlrev_b32_e32 v16, 16, v16
	s_delay_alu instid0(VALU_DEP_1)
	v_cmpx_nlt_f32_e32 v11, v16
; %bb.41:                               ;   in Loop: Header=BB1138_40 Depth=1
	v_cmp_ngt_f32_e32 vcc_lo, v11, v16
	s_and_b32 s14, vcc_lo, s14
	s_and_b32 s18, vcc_lo, exec_lo
	s_or_not1_b32 s16, s14, exec_lo
; %bb.42:                               ;   in Loop: Header=BB1138_40 Depth=1
	s_or_b32 exec_lo, exec_lo, s17
	s_delay_alu instid0(SALU_CYCLE_1) | instskip(SKIP_1) | instid1(SALU_CYCLE_1)
	s_and_not1_b32 s9, s9, exec_lo
	s_and_b32 s14, s16, exec_lo
	s_or_b32 s9, s9, s14
                                        ; implicit-def: $sgpr14
	s_and_saveexec_b32 s17, s18
	s_cbranch_execz .LBB1138_39
; %bb.43:                               ;   in Loop: Header=BB1138_40 Depth=1
	v_add_co_u32 v5, vcc_lo, v5, 2
	s_add_u32 s12, s12, -1
	s_addc_u32 s13, s13, -1
	v_add_co_ci_u32_e32 v6, vcc_lo, 0, v6, vcc_lo
	v_add_co_u32 v7, vcc_lo, v7, 2
	s_cmp_eq_u64 s[12:13], 0
	v_add_co_ci_u32_e32 v8, vcc_lo, 0, v8, vcc_lo
	s_cselect_b32 s15, -1, 0
	s_and_b32 s14, s16, exec_lo
	s_and_not1_b32 s9, s9, exec_lo
	s_or_not1_b32 s15, s15, exec_lo
	s_branch .LBB1138_39
.LBB1138_44:
	s_set_inst_prefetch_distance 0x2
	s_or_b32 exec_lo, exec_lo, s7
	s_xor_b32 s7, s8, -1
	s_and_not1_b32 s1, s1, exec_lo
	s_and_b32 s7, s7, exec_lo
	s_delay_alu instid0(SALU_CYCLE_1)
	s_or_b32 s1, s1, s7
.LBB1138_45:
	s_or_b32 exec_lo, exec_lo, s5
	s_delay_alu instid0(SALU_CYCLE_1)
	s_or_not1_b32 s1, s1, exec_lo
.LBB1138_46:
	s_or_b32 exec_lo, exec_lo, s0
	v_cndmask_b32_e64 v2, v4, v2, s3
	v_cndmask_b32_e64 v1, v3, v1, s3
	;; [unrolled: 1-line block ×4, first 2 shown]
.LBB1138_47:
	s_or_b32 exec_lo, exec_lo, s2
	v_lshrrev_b32_e32 v3, 1, v0
	v_or_b32_e32 v7, 0x200, v0
	v_lshrrev_b32_e32 v4, 2, v0
	s_lshl_b64 s[0:1], s[20:21], 3
	s_delay_alu instid0(VALU_DEP_3) | instskip(NEXT) | instid1(VALU_DEP_3)
	v_and_b32_e32 v3, 0xf8, v3
	v_lshrrev_b32_e32 v8, 2, v7
	s_delay_alu instid0(VALU_DEP_3)
	v_and_b32_e32 v4, 0x78, v4
	s_add_u32 s0, s10, s0
	s_barrier
	v_lshl_add_u32 v3, v10, 3, v3
	v_and_b32_e32 v8, 0xf8, v8
	buffer_gl0_inv
	s_barrier
	buffer_gl0_inv
	s_addc_u32 s1, s11, s1
	ds_store_2addr_b64 v3, v[1:2], v[5:6] offset1:1
	v_add_co_u32 v1, s0, s0, v9
	v_add_nc_u32_e32 v5, v9, v4
	v_add_nc_u32_e32 v6, v9, v8
	v_add_co_ci_u32_e64 v2, null, s1, 0, s0
	s_and_b32 vcc_lo, exec_lo, s6
	s_mov_b32 s0, 0
	s_waitcnt lgkmcnt(0)
	s_cbranch_vccz .LBB1138_49
; %bb.48:
	s_barrier
	buffer_gl0_inv
	ds_load_b64 v[8:9], v5
	ds_load_b64 v[3:4], v6 offset:4096
	s_mov_b32 s0, -1
	s_waitcnt lgkmcnt(1)
	global_store_b64 v[1:2], v[8:9], off
	s_cbranch_execz .LBB1138_50
	s_branch .LBB1138_53
.LBB1138_49:
                                        ; implicit-def: $vgpr3_vgpr4
.LBB1138_50:
	s_waitcnt lgkmcnt(0)
	s_waitcnt_vscnt null, 0x0
	s_barrier
	buffer_gl0_inv
	ds_load_b64 v[3:4], v6 offset:4096
	s_sub_i32 s0, s4, s20
	s_mov_b32 s1, exec_lo
	v_cmpx_gt_u32_e64 s0, v0
	s_cbranch_execz .LBB1138_52
; %bb.51:
	ds_load_b64 v[5:6], v5
	s_waitcnt lgkmcnt(0)
	global_store_b64 v[1:2], v[5:6], off
.LBB1138_52:
	s_or_b32 exec_lo, exec_lo, s1
	v_cmp_gt_u32_e64 s0, s0, v7
.LBB1138_53:
	s_delay_alu instid0(VALU_DEP_1)
	s_and_saveexec_b32 s1, s0
	s_cbranch_execz .LBB1138_55
; %bb.54:
	v_add_co_u32 v0, vcc_lo, 0x1000, v1
	v_add_co_ci_u32_e32 v1, vcc_lo, 0, v2, vcc_lo
	s_waitcnt lgkmcnt(0)
	global_store_b64 v[0:1], v[3:4], off
.LBB1138_55:
	s_nop 0
	s_sendmsg sendmsg(MSG_DEALLOC_VGPRS)
	s_endpgm
	.section	.rodata,"a",@progbits
	.p2align	6, 0x0
	.amdhsa_kernel _ZN7rocprim17ROCPRIM_400000_NS6detail17trampoline_kernelINS0_14default_configENS1_38merge_sort_block_merge_config_selectorIlNS0_10empty_typeEEEZZNS1_27merge_sort_block_merge_implIS3_PlPS5_mZN2at6native12_GLOBAL__N_124unique_dim_cuda_templateIN3c108BFloat16EEESt5tupleIJNSA_6TensorESH_SH_EERKSH_lbbbEUlllE_EE10hipError_tT0_T1_T2_jT3_P12ihipStream_tbPNSt15iterator_traitsISN_E10value_typeEPNST_ISO_E10value_typeEPSP_NS1_7vsmem_tEENKUlT_SN_SO_SP_E_clIS8_S8_S9_S9_EESM_S12_SN_SO_SP_EUlS12_E0_NS1_11comp_targetILNS1_3genE9ELNS1_11target_archE1100ELNS1_3gpuE3ELNS1_3repE0EEENS1_38merge_mergepath_config_static_selectorELNS0_4arch9wavefront6targetE0EEEvSO_
		.amdhsa_group_segment_fixed_size 8448
		.amdhsa_private_segment_fixed_size 0
		.amdhsa_kernarg_size 344
		.amdhsa_user_sgpr_count 13
		.amdhsa_user_sgpr_dispatch_ptr 0
		.amdhsa_user_sgpr_queue_ptr 0
		.amdhsa_user_sgpr_kernarg_segment_ptr 1
		.amdhsa_user_sgpr_dispatch_id 0
		.amdhsa_user_sgpr_private_segment_size 0
		.amdhsa_wavefront_size32 1
		.amdhsa_uses_dynamic_stack 0
		.amdhsa_enable_private_segment 0
		.amdhsa_system_sgpr_workgroup_id_x 1
		.amdhsa_system_sgpr_workgroup_id_y 1
		.amdhsa_system_sgpr_workgroup_id_z 1
		.amdhsa_system_sgpr_workgroup_info 0
		.amdhsa_system_vgpr_workitem_id 0
		.amdhsa_next_free_vgpr 21
		.amdhsa_next_free_sgpr 34
		.amdhsa_reserve_vcc 1
		.amdhsa_float_round_mode_32 0
		.amdhsa_float_round_mode_16_64 0
		.amdhsa_float_denorm_mode_32 3
		.amdhsa_float_denorm_mode_16_64 3
		.amdhsa_dx10_clamp 1
		.amdhsa_ieee_mode 1
		.amdhsa_fp16_overflow 0
		.amdhsa_workgroup_processor_mode 1
		.amdhsa_memory_ordered 1
		.amdhsa_forward_progress 0
		.amdhsa_shared_vgpr_count 0
		.amdhsa_exception_fp_ieee_invalid_op 0
		.amdhsa_exception_fp_denorm_src 0
		.amdhsa_exception_fp_ieee_div_zero 0
		.amdhsa_exception_fp_ieee_overflow 0
		.amdhsa_exception_fp_ieee_underflow 0
		.amdhsa_exception_fp_ieee_inexact 0
		.amdhsa_exception_int_div_zero 0
	.end_amdhsa_kernel
	.section	.text._ZN7rocprim17ROCPRIM_400000_NS6detail17trampoline_kernelINS0_14default_configENS1_38merge_sort_block_merge_config_selectorIlNS0_10empty_typeEEEZZNS1_27merge_sort_block_merge_implIS3_PlPS5_mZN2at6native12_GLOBAL__N_124unique_dim_cuda_templateIN3c108BFloat16EEESt5tupleIJNSA_6TensorESH_SH_EERKSH_lbbbEUlllE_EE10hipError_tT0_T1_T2_jT3_P12ihipStream_tbPNSt15iterator_traitsISN_E10value_typeEPNST_ISO_E10value_typeEPSP_NS1_7vsmem_tEENKUlT_SN_SO_SP_E_clIS8_S8_S9_S9_EESM_S12_SN_SO_SP_EUlS12_E0_NS1_11comp_targetILNS1_3genE9ELNS1_11target_archE1100ELNS1_3gpuE3ELNS1_3repE0EEENS1_38merge_mergepath_config_static_selectorELNS0_4arch9wavefront6targetE0EEEvSO_,"axG",@progbits,_ZN7rocprim17ROCPRIM_400000_NS6detail17trampoline_kernelINS0_14default_configENS1_38merge_sort_block_merge_config_selectorIlNS0_10empty_typeEEEZZNS1_27merge_sort_block_merge_implIS3_PlPS5_mZN2at6native12_GLOBAL__N_124unique_dim_cuda_templateIN3c108BFloat16EEESt5tupleIJNSA_6TensorESH_SH_EERKSH_lbbbEUlllE_EE10hipError_tT0_T1_T2_jT3_P12ihipStream_tbPNSt15iterator_traitsISN_E10value_typeEPNST_ISO_E10value_typeEPSP_NS1_7vsmem_tEENKUlT_SN_SO_SP_E_clIS8_S8_S9_S9_EESM_S12_SN_SO_SP_EUlS12_E0_NS1_11comp_targetILNS1_3genE9ELNS1_11target_archE1100ELNS1_3gpuE3ELNS1_3repE0EEENS1_38merge_mergepath_config_static_selectorELNS0_4arch9wavefront6targetE0EEEvSO_,comdat
.Lfunc_end1138:
	.size	_ZN7rocprim17ROCPRIM_400000_NS6detail17trampoline_kernelINS0_14default_configENS1_38merge_sort_block_merge_config_selectorIlNS0_10empty_typeEEEZZNS1_27merge_sort_block_merge_implIS3_PlPS5_mZN2at6native12_GLOBAL__N_124unique_dim_cuda_templateIN3c108BFloat16EEESt5tupleIJNSA_6TensorESH_SH_EERKSH_lbbbEUlllE_EE10hipError_tT0_T1_T2_jT3_P12ihipStream_tbPNSt15iterator_traitsISN_E10value_typeEPNST_ISO_E10value_typeEPSP_NS1_7vsmem_tEENKUlT_SN_SO_SP_E_clIS8_S8_S9_S9_EESM_S12_SN_SO_SP_EUlS12_E0_NS1_11comp_targetILNS1_3genE9ELNS1_11target_archE1100ELNS1_3gpuE3ELNS1_3repE0EEENS1_38merge_mergepath_config_static_selectorELNS0_4arch9wavefront6targetE0EEEvSO_, .Lfunc_end1138-_ZN7rocprim17ROCPRIM_400000_NS6detail17trampoline_kernelINS0_14default_configENS1_38merge_sort_block_merge_config_selectorIlNS0_10empty_typeEEEZZNS1_27merge_sort_block_merge_implIS3_PlPS5_mZN2at6native12_GLOBAL__N_124unique_dim_cuda_templateIN3c108BFloat16EEESt5tupleIJNSA_6TensorESH_SH_EERKSH_lbbbEUlllE_EE10hipError_tT0_T1_T2_jT3_P12ihipStream_tbPNSt15iterator_traitsISN_E10value_typeEPNST_ISO_E10value_typeEPSP_NS1_7vsmem_tEENKUlT_SN_SO_SP_E_clIS8_S8_S9_S9_EESM_S12_SN_SO_SP_EUlS12_E0_NS1_11comp_targetILNS1_3genE9ELNS1_11target_archE1100ELNS1_3gpuE3ELNS1_3repE0EEENS1_38merge_mergepath_config_static_selectorELNS0_4arch9wavefront6targetE0EEEvSO_
                                        ; -- End function
	.section	.AMDGPU.csdata,"",@progbits
; Kernel info:
; codeLenInByte = 2852
; NumSgprs: 36
; NumVgprs: 21
; ScratchSize: 0
; MemoryBound: 0
; FloatMode: 240
; IeeeMode: 1
; LDSByteSize: 8448 bytes/workgroup (compile time only)
; SGPRBlocks: 4
; VGPRBlocks: 2
; NumSGPRsForWavesPerEU: 36
; NumVGPRsForWavesPerEU: 21
; Occupancy: 16
; WaveLimiterHint : 1
; COMPUTE_PGM_RSRC2:SCRATCH_EN: 0
; COMPUTE_PGM_RSRC2:USER_SGPR: 13
; COMPUTE_PGM_RSRC2:TRAP_HANDLER: 0
; COMPUTE_PGM_RSRC2:TGID_X_EN: 1
; COMPUTE_PGM_RSRC2:TGID_Y_EN: 1
; COMPUTE_PGM_RSRC2:TGID_Z_EN: 1
; COMPUTE_PGM_RSRC2:TIDIG_COMP_CNT: 0
	.section	.text._ZN7rocprim17ROCPRIM_400000_NS6detail17trampoline_kernelINS0_14default_configENS1_38merge_sort_block_merge_config_selectorIlNS0_10empty_typeEEEZZNS1_27merge_sort_block_merge_implIS3_PlPS5_mZN2at6native12_GLOBAL__N_124unique_dim_cuda_templateIN3c108BFloat16EEESt5tupleIJNSA_6TensorESH_SH_EERKSH_lbbbEUlllE_EE10hipError_tT0_T1_T2_jT3_P12ihipStream_tbPNSt15iterator_traitsISN_E10value_typeEPNST_ISO_E10value_typeEPSP_NS1_7vsmem_tEENKUlT_SN_SO_SP_E_clIS8_S8_S9_S9_EESM_S12_SN_SO_SP_EUlS12_E0_NS1_11comp_targetILNS1_3genE8ELNS1_11target_archE1030ELNS1_3gpuE2ELNS1_3repE0EEENS1_38merge_mergepath_config_static_selectorELNS0_4arch9wavefront6targetE0EEEvSO_,"axG",@progbits,_ZN7rocprim17ROCPRIM_400000_NS6detail17trampoline_kernelINS0_14default_configENS1_38merge_sort_block_merge_config_selectorIlNS0_10empty_typeEEEZZNS1_27merge_sort_block_merge_implIS3_PlPS5_mZN2at6native12_GLOBAL__N_124unique_dim_cuda_templateIN3c108BFloat16EEESt5tupleIJNSA_6TensorESH_SH_EERKSH_lbbbEUlllE_EE10hipError_tT0_T1_T2_jT3_P12ihipStream_tbPNSt15iterator_traitsISN_E10value_typeEPNST_ISO_E10value_typeEPSP_NS1_7vsmem_tEENKUlT_SN_SO_SP_E_clIS8_S8_S9_S9_EESM_S12_SN_SO_SP_EUlS12_E0_NS1_11comp_targetILNS1_3genE8ELNS1_11target_archE1030ELNS1_3gpuE2ELNS1_3repE0EEENS1_38merge_mergepath_config_static_selectorELNS0_4arch9wavefront6targetE0EEEvSO_,comdat
	.globl	_ZN7rocprim17ROCPRIM_400000_NS6detail17trampoline_kernelINS0_14default_configENS1_38merge_sort_block_merge_config_selectorIlNS0_10empty_typeEEEZZNS1_27merge_sort_block_merge_implIS3_PlPS5_mZN2at6native12_GLOBAL__N_124unique_dim_cuda_templateIN3c108BFloat16EEESt5tupleIJNSA_6TensorESH_SH_EERKSH_lbbbEUlllE_EE10hipError_tT0_T1_T2_jT3_P12ihipStream_tbPNSt15iterator_traitsISN_E10value_typeEPNST_ISO_E10value_typeEPSP_NS1_7vsmem_tEENKUlT_SN_SO_SP_E_clIS8_S8_S9_S9_EESM_S12_SN_SO_SP_EUlS12_E0_NS1_11comp_targetILNS1_3genE8ELNS1_11target_archE1030ELNS1_3gpuE2ELNS1_3repE0EEENS1_38merge_mergepath_config_static_selectorELNS0_4arch9wavefront6targetE0EEEvSO_ ; -- Begin function _ZN7rocprim17ROCPRIM_400000_NS6detail17trampoline_kernelINS0_14default_configENS1_38merge_sort_block_merge_config_selectorIlNS0_10empty_typeEEEZZNS1_27merge_sort_block_merge_implIS3_PlPS5_mZN2at6native12_GLOBAL__N_124unique_dim_cuda_templateIN3c108BFloat16EEESt5tupleIJNSA_6TensorESH_SH_EERKSH_lbbbEUlllE_EE10hipError_tT0_T1_T2_jT3_P12ihipStream_tbPNSt15iterator_traitsISN_E10value_typeEPNST_ISO_E10value_typeEPSP_NS1_7vsmem_tEENKUlT_SN_SO_SP_E_clIS8_S8_S9_S9_EESM_S12_SN_SO_SP_EUlS12_E0_NS1_11comp_targetILNS1_3genE8ELNS1_11target_archE1030ELNS1_3gpuE2ELNS1_3repE0EEENS1_38merge_mergepath_config_static_selectorELNS0_4arch9wavefront6targetE0EEEvSO_
	.p2align	8
	.type	_ZN7rocprim17ROCPRIM_400000_NS6detail17trampoline_kernelINS0_14default_configENS1_38merge_sort_block_merge_config_selectorIlNS0_10empty_typeEEEZZNS1_27merge_sort_block_merge_implIS3_PlPS5_mZN2at6native12_GLOBAL__N_124unique_dim_cuda_templateIN3c108BFloat16EEESt5tupleIJNSA_6TensorESH_SH_EERKSH_lbbbEUlllE_EE10hipError_tT0_T1_T2_jT3_P12ihipStream_tbPNSt15iterator_traitsISN_E10value_typeEPNST_ISO_E10value_typeEPSP_NS1_7vsmem_tEENKUlT_SN_SO_SP_E_clIS8_S8_S9_S9_EESM_S12_SN_SO_SP_EUlS12_E0_NS1_11comp_targetILNS1_3genE8ELNS1_11target_archE1030ELNS1_3gpuE2ELNS1_3repE0EEENS1_38merge_mergepath_config_static_selectorELNS0_4arch9wavefront6targetE0EEEvSO_,@function
_ZN7rocprim17ROCPRIM_400000_NS6detail17trampoline_kernelINS0_14default_configENS1_38merge_sort_block_merge_config_selectorIlNS0_10empty_typeEEEZZNS1_27merge_sort_block_merge_implIS3_PlPS5_mZN2at6native12_GLOBAL__N_124unique_dim_cuda_templateIN3c108BFloat16EEESt5tupleIJNSA_6TensorESH_SH_EERKSH_lbbbEUlllE_EE10hipError_tT0_T1_T2_jT3_P12ihipStream_tbPNSt15iterator_traitsISN_E10value_typeEPNST_ISO_E10value_typeEPSP_NS1_7vsmem_tEENKUlT_SN_SO_SP_E_clIS8_S8_S9_S9_EESM_S12_SN_SO_SP_EUlS12_E0_NS1_11comp_targetILNS1_3genE8ELNS1_11target_archE1030ELNS1_3gpuE2ELNS1_3repE0EEENS1_38merge_mergepath_config_static_selectorELNS0_4arch9wavefront6targetE0EEEvSO_: ; @_ZN7rocprim17ROCPRIM_400000_NS6detail17trampoline_kernelINS0_14default_configENS1_38merge_sort_block_merge_config_selectorIlNS0_10empty_typeEEEZZNS1_27merge_sort_block_merge_implIS3_PlPS5_mZN2at6native12_GLOBAL__N_124unique_dim_cuda_templateIN3c108BFloat16EEESt5tupleIJNSA_6TensorESH_SH_EERKSH_lbbbEUlllE_EE10hipError_tT0_T1_T2_jT3_P12ihipStream_tbPNSt15iterator_traitsISN_E10value_typeEPNST_ISO_E10value_typeEPSP_NS1_7vsmem_tEENKUlT_SN_SO_SP_E_clIS8_S8_S9_S9_EESM_S12_SN_SO_SP_EUlS12_E0_NS1_11comp_targetILNS1_3genE8ELNS1_11target_archE1030ELNS1_3gpuE2ELNS1_3repE0EEENS1_38merge_mergepath_config_static_selectorELNS0_4arch9wavefront6targetE0EEEvSO_
; %bb.0:
	.section	.rodata,"a",@progbits
	.p2align	6, 0x0
	.amdhsa_kernel _ZN7rocprim17ROCPRIM_400000_NS6detail17trampoline_kernelINS0_14default_configENS1_38merge_sort_block_merge_config_selectorIlNS0_10empty_typeEEEZZNS1_27merge_sort_block_merge_implIS3_PlPS5_mZN2at6native12_GLOBAL__N_124unique_dim_cuda_templateIN3c108BFloat16EEESt5tupleIJNSA_6TensorESH_SH_EERKSH_lbbbEUlllE_EE10hipError_tT0_T1_T2_jT3_P12ihipStream_tbPNSt15iterator_traitsISN_E10value_typeEPNST_ISO_E10value_typeEPSP_NS1_7vsmem_tEENKUlT_SN_SO_SP_E_clIS8_S8_S9_S9_EESM_S12_SN_SO_SP_EUlS12_E0_NS1_11comp_targetILNS1_3genE8ELNS1_11target_archE1030ELNS1_3gpuE2ELNS1_3repE0EEENS1_38merge_mergepath_config_static_selectorELNS0_4arch9wavefront6targetE0EEEvSO_
		.amdhsa_group_segment_fixed_size 0
		.amdhsa_private_segment_fixed_size 0
		.amdhsa_kernarg_size 88
		.amdhsa_user_sgpr_count 15
		.amdhsa_user_sgpr_dispatch_ptr 0
		.amdhsa_user_sgpr_queue_ptr 0
		.amdhsa_user_sgpr_kernarg_segment_ptr 1
		.amdhsa_user_sgpr_dispatch_id 0
		.amdhsa_user_sgpr_private_segment_size 0
		.amdhsa_wavefront_size32 1
		.amdhsa_uses_dynamic_stack 0
		.amdhsa_enable_private_segment 0
		.amdhsa_system_sgpr_workgroup_id_x 1
		.amdhsa_system_sgpr_workgroup_id_y 0
		.amdhsa_system_sgpr_workgroup_id_z 0
		.amdhsa_system_sgpr_workgroup_info 0
		.amdhsa_system_vgpr_workitem_id 0
		.amdhsa_next_free_vgpr 1
		.amdhsa_next_free_sgpr 1
		.amdhsa_reserve_vcc 0
		.amdhsa_float_round_mode_32 0
		.amdhsa_float_round_mode_16_64 0
		.amdhsa_float_denorm_mode_32 3
		.amdhsa_float_denorm_mode_16_64 3
		.amdhsa_dx10_clamp 1
		.amdhsa_ieee_mode 1
		.amdhsa_fp16_overflow 0
		.amdhsa_workgroup_processor_mode 1
		.amdhsa_memory_ordered 1
		.amdhsa_forward_progress 0
		.amdhsa_shared_vgpr_count 0
		.amdhsa_exception_fp_ieee_invalid_op 0
		.amdhsa_exception_fp_denorm_src 0
		.amdhsa_exception_fp_ieee_div_zero 0
		.amdhsa_exception_fp_ieee_overflow 0
		.amdhsa_exception_fp_ieee_underflow 0
		.amdhsa_exception_fp_ieee_inexact 0
		.amdhsa_exception_int_div_zero 0
	.end_amdhsa_kernel
	.section	.text._ZN7rocprim17ROCPRIM_400000_NS6detail17trampoline_kernelINS0_14default_configENS1_38merge_sort_block_merge_config_selectorIlNS0_10empty_typeEEEZZNS1_27merge_sort_block_merge_implIS3_PlPS5_mZN2at6native12_GLOBAL__N_124unique_dim_cuda_templateIN3c108BFloat16EEESt5tupleIJNSA_6TensorESH_SH_EERKSH_lbbbEUlllE_EE10hipError_tT0_T1_T2_jT3_P12ihipStream_tbPNSt15iterator_traitsISN_E10value_typeEPNST_ISO_E10value_typeEPSP_NS1_7vsmem_tEENKUlT_SN_SO_SP_E_clIS8_S8_S9_S9_EESM_S12_SN_SO_SP_EUlS12_E0_NS1_11comp_targetILNS1_3genE8ELNS1_11target_archE1030ELNS1_3gpuE2ELNS1_3repE0EEENS1_38merge_mergepath_config_static_selectorELNS0_4arch9wavefront6targetE0EEEvSO_,"axG",@progbits,_ZN7rocprim17ROCPRIM_400000_NS6detail17trampoline_kernelINS0_14default_configENS1_38merge_sort_block_merge_config_selectorIlNS0_10empty_typeEEEZZNS1_27merge_sort_block_merge_implIS3_PlPS5_mZN2at6native12_GLOBAL__N_124unique_dim_cuda_templateIN3c108BFloat16EEESt5tupleIJNSA_6TensorESH_SH_EERKSH_lbbbEUlllE_EE10hipError_tT0_T1_T2_jT3_P12ihipStream_tbPNSt15iterator_traitsISN_E10value_typeEPNST_ISO_E10value_typeEPSP_NS1_7vsmem_tEENKUlT_SN_SO_SP_E_clIS8_S8_S9_S9_EESM_S12_SN_SO_SP_EUlS12_E0_NS1_11comp_targetILNS1_3genE8ELNS1_11target_archE1030ELNS1_3gpuE2ELNS1_3repE0EEENS1_38merge_mergepath_config_static_selectorELNS0_4arch9wavefront6targetE0EEEvSO_,comdat
.Lfunc_end1139:
	.size	_ZN7rocprim17ROCPRIM_400000_NS6detail17trampoline_kernelINS0_14default_configENS1_38merge_sort_block_merge_config_selectorIlNS0_10empty_typeEEEZZNS1_27merge_sort_block_merge_implIS3_PlPS5_mZN2at6native12_GLOBAL__N_124unique_dim_cuda_templateIN3c108BFloat16EEESt5tupleIJNSA_6TensorESH_SH_EERKSH_lbbbEUlllE_EE10hipError_tT0_T1_T2_jT3_P12ihipStream_tbPNSt15iterator_traitsISN_E10value_typeEPNST_ISO_E10value_typeEPSP_NS1_7vsmem_tEENKUlT_SN_SO_SP_E_clIS8_S8_S9_S9_EESM_S12_SN_SO_SP_EUlS12_E0_NS1_11comp_targetILNS1_3genE8ELNS1_11target_archE1030ELNS1_3gpuE2ELNS1_3repE0EEENS1_38merge_mergepath_config_static_selectorELNS0_4arch9wavefront6targetE0EEEvSO_, .Lfunc_end1139-_ZN7rocprim17ROCPRIM_400000_NS6detail17trampoline_kernelINS0_14default_configENS1_38merge_sort_block_merge_config_selectorIlNS0_10empty_typeEEEZZNS1_27merge_sort_block_merge_implIS3_PlPS5_mZN2at6native12_GLOBAL__N_124unique_dim_cuda_templateIN3c108BFloat16EEESt5tupleIJNSA_6TensorESH_SH_EERKSH_lbbbEUlllE_EE10hipError_tT0_T1_T2_jT3_P12ihipStream_tbPNSt15iterator_traitsISN_E10value_typeEPNST_ISO_E10value_typeEPSP_NS1_7vsmem_tEENKUlT_SN_SO_SP_E_clIS8_S8_S9_S9_EESM_S12_SN_SO_SP_EUlS12_E0_NS1_11comp_targetILNS1_3genE8ELNS1_11target_archE1030ELNS1_3gpuE2ELNS1_3repE0EEENS1_38merge_mergepath_config_static_selectorELNS0_4arch9wavefront6targetE0EEEvSO_
                                        ; -- End function
	.section	.AMDGPU.csdata,"",@progbits
; Kernel info:
; codeLenInByte = 0
; NumSgprs: 0
; NumVgprs: 0
; ScratchSize: 0
; MemoryBound: 0
; FloatMode: 240
; IeeeMode: 1
; LDSByteSize: 0 bytes/workgroup (compile time only)
; SGPRBlocks: 0
; VGPRBlocks: 0
; NumSGPRsForWavesPerEU: 1
; NumVGPRsForWavesPerEU: 1
; Occupancy: 16
; WaveLimiterHint : 0
; COMPUTE_PGM_RSRC2:SCRATCH_EN: 0
; COMPUTE_PGM_RSRC2:USER_SGPR: 15
; COMPUTE_PGM_RSRC2:TRAP_HANDLER: 0
; COMPUTE_PGM_RSRC2:TGID_X_EN: 1
; COMPUTE_PGM_RSRC2:TGID_Y_EN: 0
; COMPUTE_PGM_RSRC2:TGID_Z_EN: 0
; COMPUTE_PGM_RSRC2:TIDIG_COMP_CNT: 0
	.section	.text._ZN7rocprim17ROCPRIM_400000_NS6detail17trampoline_kernelINS0_14default_configENS1_38merge_sort_block_merge_config_selectorIlNS0_10empty_typeEEEZZNS1_27merge_sort_block_merge_implIS3_PlPS5_mZN2at6native12_GLOBAL__N_124unique_dim_cuda_templateIN3c108BFloat16EEESt5tupleIJNSA_6TensorESH_SH_EERKSH_lbbbEUlllE_EE10hipError_tT0_T1_T2_jT3_P12ihipStream_tbPNSt15iterator_traitsISN_E10value_typeEPNST_ISO_E10value_typeEPSP_NS1_7vsmem_tEENKUlT_SN_SO_SP_E_clIS8_S8_S9_S9_EESM_S12_SN_SO_SP_EUlS12_E1_NS1_11comp_targetILNS1_3genE0ELNS1_11target_archE4294967295ELNS1_3gpuE0ELNS1_3repE0EEENS1_36merge_oddeven_config_static_selectorELNS0_4arch9wavefront6targetE0EEEvSO_,"axG",@progbits,_ZN7rocprim17ROCPRIM_400000_NS6detail17trampoline_kernelINS0_14default_configENS1_38merge_sort_block_merge_config_selectorIlNS0_10empty_typeEEEZZNS1_27merge_sort_block_merge_implIS3_PlPS5_mZN2at6native12_GLOBAL__N_124unique_dim_cuda_templateIN3c108BFloat16EEESt5tupleIJNSA_6TensorESH_SH_EERKSH_lbbbEUlllE_EE10hipError_tT0_T1_T2_jT3_P12ihipStream_tbPNSt15iterator_traitsISN_E10value_typeEPNST_ISO_E10value_typeEPSP_NS1_7vsmem_tEENKUlT_SN_SO_SP_E_clIS8_S8_S9_S9_EESM_S12_SN_SO_SP_EUlS12_E1_NS1_11comp_targetILNS1_3genE0ELNS1_11target_archE4294967295ELNS1_3gpuE0ELNS1_3repE0EEENS1_36merge_oddeven_config_static_selectorELNS0_4arch9wavefront6targetE0EEEvSO_,comdat
	.globl	_ZN7rocprim17ROCPRIM_400000_NS6detail17trampoline_kernelINS0_14default_configENS1_38merge_sort_block_merge_config_selectorIlNS0_10empty_typeEEEZZNS1_27merge_sort_block_merge_implIS3_PlPS5_mZN2at6native12_GLOBAL__N_124unique_dim_cuda_templateIN3c108BFloat16EEESt5tupleIJNSA_6TensorESH_SH_EERKSH_lbbbEUlllE_EE10hipError_tT0_T1_T2_jT3_P12ihipStream_tbPNSt15iterator_traitsISN_E10value_typeEPNST_ISO_E10value_typeEPSP_NS1_7vsmem_tEENKUlT_SN_SO_SP_E_clIS8_S8_S9_S9_EESM_S12_SN_SO_SP_EUlS12_E1_NS1_11comp_targetILNS1_3genE0ELNS1_11target_archE4294967295ELNS1_3gpuE0ELNS1_3repE0EEENS1_36merge_oddeven_config_static_selectorELNS0_4arch9wavefront6targetE0EEEvSO_ ; -- Begin function _ZN7rocprim17ROCPRIM_400000_NS6detail17trampoline_kernelINS0_14default_configENS1_38merge_sort_block_merge_config_selectorIlNS0_10empty_typeEEEZZNS1_27merge_sort_block_merge_implIS3_PlPS5_mZN2at6native12_GLOBAL__N_124unique_dim_cuda_templateIN3c108BFloat16EEESt5tupleIJNSA_6TensorESH_SH_EERKSH_lbbbEUlllE_EE10hipError_tT0_T1_T2_jT3_P12ihipStream_tbPNSt15iterator_traitsISN_E10value_typeEPNST_ISO_E10value_typeEPSP_NS1_7vsmem_tEENKUlT_SN_SO_SP_E_clIS8_S8_S9_S9_EESM_S12_SN_SO_SP_EUlS12_E1_NS1_11comp_targetILNS1_3genE0ELNS1_11target_archE4294967295ELNS1_3gpuE0ELNS1_3repE0EEENS1_36merge_oddeven_config_static_selectorELNS0_4arch9wavefront6targetE0EEEvSO_
	.p2align	8
	.type	_ZN7rocprim17ROCPRIM_400000_NS6detail17trampoline_kernelINS0_14default_configENS1_38merge_sort_block_merge_config_selectorIlNS0_10empty_typeEEEZZNS1_27merge_sort_block_merge_implIS3_PlPS5_mZN2at6native12_GLOBAL__N_124unique_dim_cuda_templateIN3c108BFloat16EEESt5tupleIJNSA_6TensorESH_SH_EERKSH_lbbbEUlllE_EE10hipError_tT0_T1_T2_jT3_P12ihipStream_tbPNSt15iterator_traitsISN_E10value_typeEPNST_ISO_E10value_typeEPSP_NS1_7vsmem_tEENKUlT_SN_SO_SP_E_clIS8_S8_S9_S9_EESM_S12_SN_SO_SP_EUlS12_E1_NS1_11comp_targetILNS1_3genE0ELNS1_11target_archE4294967295ELNS1_3gpuE0ELNS1_3repE0EEENS1_36merge_oddeven_config_static_selectorELNS0_4arch9wavefront6targetE0EEEvSO_,@function
_ZN7rocprim17ROCPRIM_400000_NS6detail17trampoline_kernelINS0_14default_configENS1_38merge_sort_block_merge_config_selectorIlNS0_10empty_typeEEEZZNS1_27merge_sort_block_merge_implIS3_PlPS5_mZN2at6native12_GLOBAL__N_124unique_dim_cuda_templateIN3c108BFloat16EEESt5tupleIJNSA_6TensorESH_SH_EERKSH_lbbbEUlllE_EE10hipError_tT0_T1_T2_jT3_P12ihipStream_tbPNSt15iterator_traitsISN_E10value_typeEPNST_ISO_E10value_typeEPSP_NS1_7vsmem_tEENKUlT_SN_SO_SP_E_clIS8_S8_S9_S9_EESM_S12_SN_SO_SP_EUlS12_E1_NS1_11comp_targetILNS1_3genE0ELNS1_11target_archE4294967295ELNS1_3gpuE0ELNS1_3repE0EEENS1_36merge_oddeven_config_static_selectorELNS0_4arch9wavefront6targetE0EEEvSO_: ; @_ZN7rocprim17ROCPRIM_400000_NS6detail17trampoline_kernelINS0_14default_configENS1_38merge_sort_block_merge_config_selectorIlNS0_10empty_typeEEEZZNS1_27merge_sort_block_merge_implIS3_PlPS5_mZN2at6native12_GLOBAL__N_124unique_dim_cuda_templateIN3c108BFloat16EEESt5tupleIJNSA_6TensorESH_SH_EERKSH_lbbbEUlllE_EE10hipError_tT0_T1_T2_jT3_P12ihipStream_tbPNSt15iterator_traitsISN_E10value_typeEPNST_ISO_E10value_typeEPSP_NS1_7vsmem_tEENKUlT_SN_SO_SP_E_clIS8_S8_S9_S9_EESM_S12_SN_SO_SP_EUlS12_E1_NS1_11comp_targetILNS1_3genE0ELNS1_11target_archE4294967295ELNS1_3gpuE0ELNS1_3repE0EEENS1_36merge_oddeven_config_static_selectorELNS0_4arch9wavefront6targetE0EEEvSO_
; %bb.0:
	.section	.rodata,"a",@progbits
	.p2align	6, 0x0
	.amdhsa_kernel _ZN7rocprim17ROCPRIM_400000_NS6detail17trampoline_kernelINS0_14default_configENS1_38merge_sort_block_merge_config_selectorIlNS0_10empty_typeEEEZZNS1_27merge_sort_block_merge_implIS3_PlPS5_mZN2at6native12_GLOBAL__N_124unique_dim_cuda_templateIN3c108BFloat16EEESt5tupleIJNSA_6TensorESH_SH_EERKSH_lbbbEUlllE_EE10hipError_tT0_T1_T2_jT3_P12ihipStream_tbPNSt15iterator_traitsISN_E10value_typeEPNST_ISO_E10value_typeEPSP_NS1_7vsmem_tEENKUlT_SN_SO_SP_E_clIS8_S8_S9_S9_EESM_S12_SN_SO_SP_EUlS12_E1_NS1_11comp_targetILNS1_3genE0ELNS1_11target_archE4294967295ELNS1_3gpuE0ELNS1_3repE0EEENS1_36merge_oddeven_config_static_selectorELNS0_4arch9wavefront6targetE0EEEvSO_
		.amdhsa_group_segment_fixed_size 0
		.amdhsa_private_segment_fixed_size 0
		.amdhsa_kernarg_size 64
		.amdhsa_user_sgpr_count 15
		.amdhsa_user_sgpr_dispatch_ptr 0
		.amdhsa_user_sgpr_queue_ptr 0
		.amdhsa_user_sgpr_kernarg_segment_ptr 1
		.amdhsa_user_sgpr_dispatch_id 0
		.amdhsa_user_sgpr_private_segment_size 0
		.amdhsa_wavefront_size32 1
		.amdhsa_uses_dynamic_stack 0
		.amdhsa_enable_private_segment 0
		.amdhsa_system_sgpr_workgroup_id_x 1
		.amdhsa_system_sgpr_workgroup_id_y 0
		.amdhsa_system_sgpr_workgroup_id_z 0
		.amdhsa_system_sgpr_workgroup_info 0
		.amdhsa_system_vgpr_workitem_id 0
		.amdhsa_next_free_vgpr 1
		.amdhsa_next_free_sgpr 1
		.amdhsa_reserve_vcc 0
		.amdhsa_float_round_mode_32 0
		.amdhsa_float_round_mode_16_64 0
		.amdhsa_float_denorm_mode_32 3
		.amdhsa_float_denorm_mode_16_64 3
		.amdhsa_dx10_clamp 1
		.amdhsa_ieee_mode 1
		.amdhsa_fp16_overflow 0
		.amdhsa_workgroup_processor_mode 1
		.amdhsa_memory_ordered 1
		.amdhsa_forward_progress 0
		.amdhsa_shared_vgpr_count 0
		.amdhsa_exception_fp_ieee_invalid_op 0
		.amdhsa_exception_fp_denorm_src 0
		.amdhsa_exception_fp_ieee_div_zero 0
		.amdhsa_exception_fp_ieee_overflow 0
		.amdhsa_exception_fp_ieee_underflow 0
		.amdhsa_exception_fp_ieee_inexact 0
		.amdhsa_exception_int_div_zero 0
	.end_amdhsa_kernel
	.section	.text._ZN7rocprim17ROCPRIM_400000_NS6detail17trampoline_kernelINS0_14default_configENS1_38merge_sort_block_merge_config_selectorIlNS0_10empty_typeEEEZZNS1_27merge_sort_block_merge_implIS3_PlPS5_mZN2at6native12_GLOBAL__N_124unique_dim_cuda_templateIN3c108BFloat16EEESt5tupleIJNSA_6TensorESH_SH_EERKSH_lbbbEUlllE_EE10hipError_tT0_T1_T2_jT3_P12ihipStream_tbPNSt15iterator_traitsISN_E10value_typeEPNST_ISO_E10value_typeEPSP_NS1_7vsmem_tEENKUlT_SN_SO_SP_E_clIS8_S8_S9_S9_EESM_S12_SN_SO_SP_EUlS12_E1_NS1_11comp_targetILNS1_3genE0ELNS1_11target_archE4294967295ELNS1_3gpuE0ELNS1_3repE0EEENS1_36merge_oddeven_config_static_selectorELNS0_4arch9wavefront6targetE0EEEvSO_,"axG",@progbits,_ZN7rocprim17ROCPRIM_400000_NS6detail17trampoline_kernelINS0_14default_configENS1_38merge_sort_block_merge_config_selectorIlNS0_10empty_typeEEEZZNS1_27merge_sort_block_merge_implIS3_PlPS5_mZN2at6native12_GLOBAL__N_124unique_dim_cuda_templateIN3c108BFloat16EEESt5tupleIJNSA_6TensorESH_SH_EERKSH_lbbbEUlllE_EE10hipError_tT0_T1_T2_jT3_P12ihipStream_tbPNSt15iterator_traitsISN_E10value_typeEPNST_ISO_E10value_typeEPSP_NS1_7vsmem_tEENKUlT_SN_SO_SP_E_clIS8_S8_S9_S9_EESM_S12_SN_SO_SP_EUlS12_E1_NS1_11comp_targetILNS1_3genE0ELNS1_11target_archE4294967295ELNS1_3gpuE0ELNS1_3repE0EEENS1_36merge_oddeven_config_static_selectorELNS0_4arch9wavefront6targetE0EEEvSO_,comdat
.Lfunc_end1140:
	.size	_ZN7rocprim17ROCPRIM_400000_NS6detail17trampoline_kernelINS0_14default_configENS1_38merge_sort_block_merge_config_selectorIlNS0_10empty_typeEEEZZNS1_27merge_sort_block_merge_implIS3_PlPS5_mZN2at6native12_GLOBAL__N_124unique_dim_cuda_templateIN3c108BFloat16EEESt5tupleIJNSA_6TensorESH_SH_EERKSH_lbbbEUlllE_EE10hipError_tT0_T1_T2_jT3_P12ihipStream_tbPNSt15iterator_traitsISN_E10value_typeEPNST_ISO_E10value_typeEPSP_NS1_7vsmem_tEENKUlT_SN_SO_SP_E_clIS8_S8_S9_S9_EESM_S12_SN_SO_SP_EUlS12_E1_NS1_11comp_targetILNS1_3genE0ELNS1_11target_archE4294967295ELNS1_3gpuE0ELNS1_3repE0EEENS1_36merge_oddeven_config_static_selectorELNS0_4arch9wavefront6targetE0EEEvSO_, .Lfunc_end1140-_ZN7rocprim17ROCPRIM_400000_NS6detail17trampoline_kernelINS0_14default_configENS1_38merge_sort_block_merge_config_selectorIlNS0_10empty_typeEEEZZNS1_27merge_sort_block_merge_implIS3_PlPS5_mZN2at6native12_GLOBAL__N_124unique_dim_cuda_templateIN3c108BFloat16EEESt5tupleIJNSA_6TensorESH_SH_EERKSH_lbbbEUlllE_EE10hipError_tT0_T1_T2_jT3_P12ihipStream_tbPNSt15iterator_traitsISN_E10value_typeEPNST_ISO_E10value_typeEPSP_NS1_7vsmem_tEENKUlT_SN_SO_SP_E_clIS8_S8_S9_S9_EESM_S12_SN_SO_SP_EUlS12_E1_NS1_11comp_targetILNS1_3genE0ELNS1_11target_archE4294967295ELNS1_3gpuE0ELNS1_3repE0EEENS1_36merge_oddeven_config_static_selectorELNS0_4arch9wavefront6targetE0EEEvSO_
                                        ; -- End function
	.section	.AMDGPU.csdata,"",@progbits
; Kernel info:
; codeLenInByte = 0
; NumSgprs: 0
; NumVgprs: 0
; ScratchSize: 0
; MemoryBound: 0
; FloatMode: 240
; IeeeMode: 1
; LDSByteSize: 0 bytes/workgroup (compile time only)
; SGPRBlocks: 0
; VGPRBlocks: 0
; NumSGPRsForWavesPerEU: 1
; NumVGPRsForWavesPerEU: 1
; Occupancy: 16
; WaveLimiterHint : 0
; COMPUTE_PGM_RSRC2:SCRATCH_EN: 0
; COMPUTE_PGM_RSRC2:USER_SGPR: 15
; COMPUTE_PGM_RSRC2:TRAP_HANDLER: 0
; COMPUTE_PGM_RSRC2:TGID_X_EN: 1
; COMPUTE_PGM_RSRC2:TGID_Y_EN: 0
; COMPUTE_PGM_RSRC2:TGID_Z_EN: 0
; COMPUTE_PGM_RSRC2:TIDIG_COMP_CNT: 0
	.section	.text._ZN7rocprim17ROCPRIM_400000_NS6detail17trampoline_kernelINS0_14default_configENS1_38merge_sort_block_merge_config_selectorIlNS0_10empty_typeEEEZZNS1_27merge_sort_block_merge_implIS3_PlPS5_mZN2at6native12_GLOBAL__N_124unique_dim_cuda_templateIN3c108BFloat16EEESt5tupleIJNSA_6TensorESH_SH_EERKSH_lbbbEUlllE_EE10hipError_tT0_T1_T2_jT3_P12ihipStream_tbPNSt15iterator_traitsISN_E10value_typeEPNST_ISO_E10value_typeEPSP_NS1_7vsmem_tEENKUlT_SN_SO_SP_E_clIS8_S8_S9_S9_EESM_S12_SN_SO_SP_EUlS12_E1_NS1_11comp_targetILNS1_3genE10ELNS1_11target_archE1201ELNS1_3gpuE5ELNS1_3repE0EEENS1_36merge_oddeven_config_static_selectorELNS0_4arch9wavefront6targetE0EEEvSO_,"axG",@progbits,_ZN7rocprim17ROCPRIM_400000_NS6detail17trampoline_kernelINS0_14default_configENS1_38merge_sort_block_merge_config_selectorIlNS0_10empty_typeEEEZZNS1_27merge_sort_block_merge_implIS3_PlPS5_mZN2at6native12_GLOBAL__N_124unique_dim_cuda_templateIN3c108BFloat16EEESt5tupleIJNSA_6TensorESH_SH_EERKSH_lbbbEUlllE_EE10hipError_tT0_T1_T2_jT3_P12ihipStream_tbPNSt15iterator_traitsISN_E10value_typeEPNST_ISO_E10value_typeEPSP_NS1_7vsmem_tEENKUlT_SN_SO_SP_E_clIS8_S8_S9_S9_EESM_S12_SN_SO_SP_EUlS12_E1_NS1_11comp_targetILNS1_3genE10ELNS1_11target_archE1201ELNS1_3gpuE5ELNS1_3repE0EEENS1_36merge_oddeven_config_static_selectorELNS0_4arch9wavefront6targetE0EEEvSO_,comdat
	.globl	_ZN7rocprim17ROCPRIM_400000_NS6detail17trampoline_kernelINS0_14default_configENS1_38merge_sort_block_merge_config_selectorIlNS0_10empty_typeEEEZZNS1_27merge_sort_block_merge_implIS3_PlPS5_mZN2at6native12_GLOBAL__N_124unique_dim_cuda_templateIN3c108BFloat16EEESt5tupleIJNSA_6TensorESH_SH_EERKSH_lbbbEUlllE_EE10hipError_tT0_T1_T2_jT3_P12ihipStream_tbPNSt15iterator_traitsISN_E10value_typeEPNST_ISO_E10value_typeEPSP_NS1_7vsmem_tEENKUlT_SN_SO_SP_E_clIS8_S8_S9_S9_EESM_S12_SN_SO_SP_EUlS12_E1_NS1_11comp_targetILNS1_3genE10ELNS1_11target_archE1201ELNS1_3gpuE5ELNS1_3repE0EEENS1_36merge_oddeven_config_static_selectorELNS0_4arch9wavefront6targetE0EEEvSO_ ; -- Begin function _ZN7rocprim17ROCPRIM_400000_NS6detail17trampoline_kernelINS0_14default_configENS1_38merge_sort_block_merge_config_selectorIlNS0_10empty_typeEEEZZNS1_27merge_sort_block_merge_implIS3_PlPS5_mZN2at6native12_GLOBAL__N_124unique_dim_cuda_templateIN3c108BFloat16EEESt5tupleIJNSA_6TensorESH_SH_EERKSH_lbbbEUlllE_EE10hipError_tT0_T1_T2_jT3_P12ihipStream_tbPNSt15iterator_traitsISN_E10value_typeEPNST_ISO_E10value_typeEPSP_NS1_7vsmem_tEENKUlT_SN_SO_SP_E_clIS8_S8_S9_S9_EESM_S12_SN_SO_SP_EUlS12_E1_NS1_11comp_targetILNS1_3genE10ELNS1_11target_archE1201ELNS1_3gpuE5ELNS1_3repE0EEENS1_36merge_oddeven_config_static_selectorELNS0_4arch9wavefront6targetE0EEEvSO_
	.p2align	8
	.type	_ZN7rocprim17ROCPRIM_400000_NS6detail17trampoline_kernelINS0_14default_configENS1_38merge_sort_block_merge_config_selectorIlNS0_10empty_typeEEEZZNS1_27merge_sort_block_merge_implIS3_PlPS5_mZN2at6native12_GLOBAL__N_124unique_dim_cuda_templateIN3c108BFloat16EEESt5tupleIJNSA_6TensorESH_SH_EERKSH_lbbbEUlllE_EE10hipError_tT0_T1_T2_jT3_P12ihipStream_tbPNSt15iterator_traitsISN_E10value_typeEPNST_ISO_E10value_typeEPSP_NS1_7vsmem_tEENKUlT_SN_SO_SP_E_clIS8_S8_S9_S9_EESM_S12_SN_SO_SP_EUlS12_E1_NS1_11comp_targetILNS1_3genE10ELNS1_11target_archE1201ELNS1_3gpuE5ELNS1_3repE0EEENS1_36merge_oddeven_config_static_selectorELNS0_4arch9wavefront6targetE0EEEvSO_,@function
_ZN7rocprim17ROCPRIM_400000_NS6detail17trampoline_kernelINS0_14default_configENS1_38merge_sort_block_merge_config_selectorIlNS0_10empty_typeEEEZZNS1_27merge_sort_block_merge_implIS3_PlPS5_mZN2at6native12_GLOBAL__N_124unique_dim_cuda_templateIN3c108BFloat16EEESt5tupleIJNSA_6TensorESH_SH_EERKSH_lbbbEUlllE_EE10hipError_tT0_T1_T2_jT3_P12ihipStream_tbPNSt15iterator_traitsISN_E10value_typeEPNST_ISO_E10value_typeEPSP_NS1_7vsmem_tEENKUlT_SN_SO_SP_E_clIS8_S8_S9_S9_EESM_S12_SN_SO_SP_EUlS12_E1_NS1_11comp_targetILNS1_3genE10ELNS1_11target_archE1201ELNS1_3gpuE5ELNS1_3repE0EEENS1_36merge_oddeven_config_static_selectorELNS0_4arch9wavefront6targetE0EEEvSO_: ; @_ZN7rocprim17ROCPRIM_400000_NS6detail17trampoline_kernelINS0_14default_configENS1_38merge_sort_block_merge_config_selectorIlNS0_10empty_typeEEEZZNS1_27merge_sort_block_merge_implIS3_PlPS5_mZN2at6native12_GLOBAL__N_124unique_dim_cuda_templateIN3c108BFloat16EEESt5tupleIJNSA_6TensorESH_SH_EERKSH_lbbbEUlllE_EE10hipError_tT0_T1_T2_jT3_P12ihipStream_tbPNSt15iterator_traitsISN_E10value_typeEPNST_ISO_E10value_typeEPSP_NS1_7vsmem_tEENKUlT_SN_SO_SP_E_clIS8_S8_S9_S9_EESM_S12_SN_SO_SP_EUlS12_E1_NS1_11comp_targetILNS1_3genE10ELNS1_11target_archE1201ELNS1_3gpuE5ELNS1_3repE0EEENS1_36merge_oddeven_config_static_selectorELNS0_4arch9wavefront6targetE0EEEvSO_
; %bb.0:
	.section	.rodata,"a",@progbits
	.p2align	6, 0x0
	.amdhsa_kernel _ZN7rocprim17ROCPRIM_400000_NS6detail17trampoline_kernelINS0_14default_configENS1_38merge_sort_block_merge_config_selectorIlNS0_10empty_typeEEEZZNS1_27merge_sort_block_merge_implIS3_PlPS5_mZN2at6native12_GLOBAL__N_124unique_dim_cuda_templateIN3c108BFloat16EEESt5tupleIJNSA_6TensorESH_SH_EERKSH_lbbbEUlllE_EE10hipError_tT0_T1_T2_jT3_P12ihipStream_tbPNSt15iterator_traitsISN_E10value_typeEPNST_ISO_E10value_typeEPSP_NS1_7vsmem_tEENKUlT_SN_SO_SP_E_clIS8_S8_S9_S9_EESM_S12_SN_SO_SP_EUlS12_E1_NS1_11comp_targetILNS1_3genE10ELNS1_11target_archE1201ELNS1_3gpuE5ELNS1_3repE0EEENS1_36merge_oddeven_config_static_selectorELNS0_4arch9wavefront6targetE0EEEvSO_
		.amdhsa_group_segment_fixed_size 0
		.amdhsa_private_segment_fixed_size 0
		.amdhsa_kernarg_size 64
		.amdhsa_user_sgpr_count 15
		.amdhsa_user_sgpr_dispatch_ptr 0
		.amdhsa_user_sgpr_queue_ptr 0
		.amdhsa_user_sgpr_kernarg_segment_ptr 1
		.amdhsa_user_sgpr_dispatch_id 0
		.amdhsa_user_sgpr_private_segment_size 0
		.amdhsa_wavefront_size32 1
		.amdhsa_uses_dynamic_stack 0
		.amdhsa_enable_private_segment 0
		.amdhsa_system_sgpr_workgroup_id_x 1
		.amdhsa_system_sgpr_workgroup_id_y 0
		.amdhsa_system_sgpr_workgroup_id_z 0
		.amdhsa_system_sgpr_workgroup_info 0
		.amdhsa_system_vgpr_workitem_id 0
		.amdhsa_next_free_vgpr 1
		.amdhsa_next_free_sgpr 1
		.amdhsa_reserve_vcc 0
		.amdhsa_float_round_mode_32 0
		.amdhsa_float_round_mode_16_64 0
		.amdhsa_float_denorm_mode_32 3
		.amdhsa_float_denorm_mode_16_64 3
		.amdhsa_dx10_clamp 1
		.amdhsa_ieee_mode 1
		.amdhsa_fp16_overflow 0
		.amdhsa_workgroup_processor_mode 1
		.amdhsa_memory_ordered 1
		.amdhsa_forward_progress 0
		.amdhsa_shared_vgpr_count 0
		.amdhsa_exception_fp_ieee_invalid_op 0
		.amdhsa_exception_fp_denorm_src 0
		.amdhsa_exception_fp_ieee_div_zero 0
		.amdhsa_exception_fp_ieee_overflow 0
		.amdhsa_exception_fp_ieee_underflow 0
		.amdhsa_exception_fp_ieee_inexact 0
		.amdhsa_exception_int_div_zero 0
	.end_amdhsa_kernel
	.section	.text._ZN7rocprim17ROCPRIM_400000_NS6detail17trampoline_kernelINS0_14default_configENS1_38merge_sort_block_merge_config_selectorIlNS0_10empty_typeEEEZZNS1_27merge_sort_block_merge_implIS3_PlPS5_mZN2at6native12_GLOBAL__N_124unique_dim_cuda_templateIN3c108BFloat16EEESt5tupleIJNSA_6TensorESH_SH_EERKSH_lbbbEUlllE_EE10hipError_tT0_T1_T2_jT3_P12ihipStream_tbPNSt15iterator_traitsISN_E10value_typeEPNST_ISO_E10value_typeEPSP_NS1_7vsmem_tEENKUlT_SN_SO_SP_E_clIS8_S8_S9_S9_EESM_S12_SN_SO_SP_EUlS12_E1_NS1_11comp_targetILNS1_3genE10ELNS1_11target_archE1201ELNS1_3gpuE5ELNS1_3repE0EEENS1_36merge_oddeven_config_static_selectorELNS0_4arch9wavefront6targetE0EEEvSO_,"axG",@progbits,_ZN7rocprim17ROCPRIM_400000_NS6detail17trampoline_kernelINS0_14default_configENS1_38merge_sort_block_merge_config_selectorIlNS0_10empty_typeEEEZZNS1_27merge_sort_block_merge_implIS3_PlPS5_mZN2at6native12_GLOBAL__N_124unique_dim_cuda_templateIN3c108BFloat16EEESt5tupleIJNSA_6TensorESH_SH_EERKSH_lbbbEUlllE_EE10hipError_tT0_T1_T2_jT3_P12ihipStream_tbPNSt15iterator_traitsISN_E10value_typeEPNST_ISO_E10value_typeEPSP_NS1_7vsmem_tEENKUlT_SN_SO_SP_E_clIS8_S8_S9_S9_EESM_S12_SN_SO_SP_EUlS12_E1_NS1_11comp_targetILNS1_3genE10ELNS1_11target_archE1201ELNS1_3gpuE5ELNS1_3repE0EEENS1_36merge_oddeven_config_static_selectorELNS0_4arch9wavefront6targetE0EEEvSO_,comdat
.Lfunc_end1141:
	.size	_ZN7rocprim17ROCPRIM_400000_NS6detail17trampoline_kernelINS0_14default_configENS1_38merge_sort_block_merge_config_selectorIlNS0_10empty_typeEEEZZNS1_27merge_sort_block_merge_implIS3_PlPS5_mZN2at6native12_GLOBAL__N_124unique_dim_cuda_templateIN3c108BFloat16EEESt5tupleIJNSA_6TensorESH_SH_EERKSH_lbbbEUlllE_EE10hipError_tT0_T1_T2_jT3_P12ihipStream_tbPNSt15iterator_traitsISN_E10value_typeEPNST_ISO_E10value_typeEPSP_NS1_7vsmem_tEENKUlT_SN_SO_SP_E_clIS8_S8_S9_S9_EESM_S12_SN_SO_SP_EUlS12_E1_NS1_11comp_targetILNS1_3genE10ELNS1_11target_archE1201ELNS1_3gpuE5ELNS1_3repE0EEENS1_36merge_oddeven_config_static_selectorELNS0_4arch9wavefront6targetE0EEEvSO_, .Lfunc_end1141-_ZN7rocprim17ROCPRIM_400000_NS6detail17trampoline_kernelINS0_14default_configENS1_38merge_sort_block_merge_config_selectorIlNS0_10empty_typeEEEZZNS1_27merge_sort_block_merge_implIS3_PlPS5_mZN2at6native12_GLOBAL__N_124unique_dim_cuda_templateIN3c108BFloat16EEESt5tupleIJNSA_6TensorESH_SH_EERKSH_lbbbEUlllE_EE10hipError_tT0_T1_T2_jT3_P12ihipStream_tbPNSt15iterator_traitsISN_E10value_typeEPNST_ISO_E10value_typeEPSP_NS1_7vsmem_tEENKUlT_SN_SO_SP_E_clIS8_S8_S9_S9_EESM_S12_SN_SO_SP_EUlS12_E1_NS1_11comp_targetILNS1_3genE10ELNS1_11target_archE1201ELNS1_3gpuE5ELNS1_3repE0EEENS1_36merge_oddeven_config_static_selectorELNS0_4arch9wavefront6targetE0EEEvSO_
                                        ; -- End function
	.section	.AMDGPU.csdata,"",@progbits
; Kernel info:
; codeLenInByte = 0
; NumSgprs: 0
; NumVgprs: 0
; ScratchSize: 0
; MemoryBound: 0
; FloatMode: 240
; IeeeMode: 1
; LDSByteSize: 0 bytes/workgroup (compile time only)
; SGPRBlocks: 0
; VGPRBlocks: 0
; NumSGPRsForWavesPerEU: 1
; NumVGPRsForWavesPerEU: 1
; Occupancy: 16
; WaveLimiterHint : 0
; COMPUTE_PGM_RSRC2:SCRATCH_EN: 0
; COMPUTE_PGM_RSRC2:USER_SGPR: 15
; COMPUTE_PGM_RSRC2:TRAP_HANDLER: 0
; COMPUTE_PGM_RSRC2:TGID_X_EN: 1
; COMPUTE_PGM_RSRC2:TGID_Y_EN: 0
; COMPUTE_PGM_RSRC2:TGID_Z_EN: 0
; COMPUTE_PGM_RSRC2:TIDIG_COMP_CNT: 0
	.section	.text._ZN7rocprim17ROCPRIM_400000_NS6detail17trampoline_kernelINS0_14default_configENS1_38merge_sort_block_merge_config_selectorIlNS0_10empty_typeEEEZZNS1_27merge_sort_block_merge_implIS3_PlPS5_mZN2at6native12_GLOBAL__N_124unique_dim_cuda_templateIN3c108BFloat16EEESt5tupleIJNSA_6TensorESH_SH_EERKSH_lbbbEUlllE_EE10hipError_tT0_T1_T2_jT3_P12ihipStream_tbPNSt15iterator_traitsISN_E10value_typeEPNST_ISO_E10value_typeEPSP_NS1_7vsmem_tEENKUlT_SN_SO_SP_E_clIS8_S8_S9_S9_EESM_S12_SN_SO_SP_EUlS12_E1_NS1_11comp_targetILNS1_3genE5ELNS1_11target_archE942ELNS1_3gpuE9ELNS1_3repE0EEENS1_36merge_oddeven_config_static_selectorELNS0_4arch9wavefront6targetE0EEEvSO_,"axG",@progbits,_ZN7rocprim17ROCPRIM_400000_NS6detail17trampoline_kernelINS0_14default_configENS1_38merge_sort_block_merge_config_selectorIlNS0_10empty_typeEEEZZNS1_27merge_sort_block_merge_implIS3_PlPS5_mZN2at6native12_GLOBAL__N_124unique_dim_cuda_templateIN3c108BFloat16EEESt5tupleIJNSA_6TensorESH_SH_EERKSH_lbbbEUlllE_EE10hipError_tT0_T1_T2_jT3_P12ihipStream_tbPNSt15iterator_traitsISN_E10value_typeEPNST_ISO_E10value_typeEPSP_NS1_7vsmem_tEENKUlT_SN_SO_SP_E_clIS8_S8_S9_S9_EESM_S12_SN_SO_SP_EUlS12_E1_NS1_11comp_targetILNS1_3genE5ELNS1_11target_archE942ELNS1_3gpuE9ELNS1_3repE0EEENS1_36merge_oddeven_config_static_selectorELNS0_4arch9wavefront6targetE0EEEvSO_,comdat
	.globl	_ZN7rocprim17ROCPRIM_400000_NS6detail17trampoline_kernelINS0_14default_configENS1_38merge_sort_block_merge_config_selectorIlNS0_10empty_typeEEEZZNS1_27merge_sort_block_merge_implIS3_PlPS5_mZN2at6native12_GLOBAL__N_124unique_dim_cuda_templateIN3c108BFloat16EEESt5tupleIJNSA_6TensorESH_SH_EERKSH_lbbbEUlllE_EE10hipError_tT0_T1_T2_jT3_P12ihipStream_tbPNSt15iterator_traitsISN_E10value_typeEPNST_ISO_E10value_typeEPSP_NS1_7vsmem_tEENKUlT_SN_SO_SP_E_clIS8_S8_S9_S9_EESM_S12_SN_SO_SP_EUlS12_E1_NS1_11comp_targetILNS1_3genE5ELNS1_11target_archE942ELNS1_3gpuE9ELNS1_3repE0EEENS1_36merge_oddeven_config_static_selectorELNS0_4arch9wavefront6targetE0EEEvSO_ ; -- Begin function _ZN7rocprim17ROCPRIM_400000_NS6detail17trampoline_kernelINS0_14default_configENS1_38merge_sort_block_merge_config_selectorIlNS0_10empty_typeEEEZZNS1_27merge_sort_block_merge_implIS3_PlPS5_mZN2at6native12_GLOBAL__N_124unique_dim_cuda_templateIN3c108BFloat16EEESt5tupleIJNSA_6TensorESH_SH_EERKSH_lbbbEUlllE_EE10hipError_tT0_T1_T2_jT3_P12ihipStream_tbPNSt15iterator_traitsISN_E10value_typeEPNST_ISO_E10value_typeEPSP_NS1_7vsmem_tEENKUlT_SN_SO_SP_E_clIS8_S8_S9_S9_EESM_S12_SN_SO_SP_EUlS12_E1_NS1_11comp_targetILNS1_3genE5ELNS1_11target_archE942ELNS1_3gpuE9ELNS1_3repE0EEENS1_36merge_oddeven_config_static_selectorELNS0_4arch9wavefront6targetE0EEEvSO_
	.p2align	8
	.type	_ZN7rocprim17ROCPRIM_400000_NS6detail17trampoline_kernelINS0_14default_configENS1_38merge_sort_block_merge_config_selectorIlNS0_10empty_typeEEEZZNS1_27merge_sort_block_merge_implIS3_PlPS5_mZN2at6native12_GLOBAL__N_124unique_dim_cuda_templateIN3c108BFloat16EEESt5tupleIJNSA_6TensorESH_SH_EERKSH_lbbbEUlllE_EE10hipError_tT0_T1_T2_jT3_P12ihipStream_tbPNSt15iterator_traitsISN_E10value_typeEPNST_ISO_E10value_typeEPSP_NS1_7vsmem_tEENKUlT_SN_SO_SP_E_clIS8_S8_S9_S9_EESM_S12_SN_SO_SP_EUlS12_E1_NS1_11comp_targetILNS1_3genE5ELNS1_11target_archE942ELNS1_3gpuE9ELNS1_3repE0EEENS1_36merge_oddeven_config_static_selectorELNS0_4arch9wavefront6targetE0EEEvSO_,@function
_ZN7rocprim17ROCPRIM_400000_NS6detail17trampoline_kernelINS0_14default_configENS1_38merge_sort_block_merge_config_selectorIlNS0_10empty_typeEEEZZNS1_27merge_sort_block_merge_implIS3_PlPS5_mZN2at6native12_GLOBAL__N_124unique_dim_cuda_templateIN3c108BFloat16EEESt5tupleIJNSA_6TensorESH_SH_EERKSH_lbbbEUlllE_EE10hipError_tT0_T1_T2_jT3_P12ihipStream_tbPNSt15iterator_traitsISN_E10value_typeEPNST_ISO_E10value_typeEPSP_NS1_7vsmem_tEENKUlT_SN_SO_SP_E_clIS8_S8_S9_S9_EESM_S12_SN_SO_SP_EUlS12_E1_NS1_11comp_targetILNS1_3genE5ELNS1_11target_archE942ELNS1_3gpuE9ELNS1_3repE0EEENS1_36merge_oddeven_config_static_selectorELNS0_4arch9wavefront6targetE0EEEvSO_: ; @_ZN7rocprim17ROCPRIM_400000_NS6detail17trampoline_kernelINS0_14default_configENS1_38merge_sort_block_merge_config_selectorIlNS0_10empty_typeEEEZZNS1_27merge_sort_block_merge_implIS3_PlPS5_mZN2at6native12_GLOBAL__N_124unique_dim_cuda_templateIN3c108BFloat16EEESt5tupleIJNSA_6TensorESH_SH_EERKSH_lbbbEUlllE_EE10hipError_tT0_T1_T2_jT3_P12ihipStream_tbPNSt15iterator_traitsISN_E10value_typeEPNST_ISO_E10value_typeEPSP_NS1_7vsmem_tEENKUlT_SN_SO_SP_E_clIS8_S8_S9_S9_EESM_S12_SN_SO_SP_EUlS12_E1_NS1_11comp_targetILNS1_3genE5ELNS1_11target_archE942ELNS1_3gpuE9ELNS1_3repE0EEENS1_36merge_oddeven_config_static_selectorELNS0_4arch9wavefront6targetE0EEEvSO_
; %bb.0:
	.section	.rodata,"a",@progbits
	.p2align	6, 0x0
	.amdhsa_kernel _ZN7rocprim17ROCPRIM_400000_NS6detail17trampoline_kernelINS0_14default_configENS1_38merge_sort_block_merge_config_selectorIlNS0_10empty_typeEEEZZNS1_27merge_sort_block_merge_implIS3_PlPS5_mZN2at6native12_GLOBAL__N_124unique_dim_cuda_templateIN3c108BFloat16EEESt5tupleIJNSA_6TensorESH_SH_EERKSH_lbbbEUlllE_EE10hipError_tT0_T1_T2_jT3_P12ihipStream_tbPNSt15iterator_traitsISN_E10value_typeEPNST_ISO_E10value_typeEPSP_NS1_7vsmem_tEENKUlT_SN_SO_SP_E_clIS8_S8_S9_S9_EESM_S12_SN_SO_SP_EUlS12_E1_NS1_11comp_targetILNS1_3genE5ELNS1_11target_archE942ELNS1_3gpuE9ELNS1_3repE0EEENS1_36merge_oddeven_config_static_selectorELNS0_4arch9wavefront6targetE0EEEvSO_
		.amdhsa_group_segment_fixed_size 0
		.amdhsa_private_segment_fixed_size 0
		.amdhsa_kernarg_size 64
		.amdhsa_user_sgpr_count 15
		.amdhsa_user_sgpr_dispatch_ptr 0
		.amdhsa_user_sgpr_queue_ptr 0
		.amdhsa_user_sgpr_kernarg_segment_ptr 1
		.amdhsa_user_sgpr_dispatch_id 0
		.amdhsa_user_sgpr_private_segment_size 0
		.amdhsa_wavefront_size32 1
		.amdhsa_uses_dynamic_stack 0
		.amdhsa_enable_private_segment 0
		.amdhsa_system_sgpr_workgroup_id_x 1
		.amdhsa_system_sgpr_workgroup_id_y 0
		.amdhsa_system_sgpr_workgroup_id_z 0
		.amdhsa_system_sgpr_workgroup_info 0
		.amdhsa_system_vgpr_workitem_id 0
		.amdhsa_next_free_vgpr 1
		.amdhsa_next_free_sgpr 1
		.amdhsa_reserve_vcc 0
		.amdhsa_float_round_mode_32 0
		.amdhsa_float_round_mode_16_64 0
		.amdhsa_float_denorm_mode_32 3
		.amdhsa_float_denorm_mode_16_64 3
		.amdhsa_dx10_clamp 1
		.amdhsa_ieee_mode 1
		.amdhsa_fp16_overflow 0
		.amdhsa_workgroup_processor_mode 1
		.amdhsa_memory_ordered 1
		.amdhsa_forward_progress 0
		.amdhsa_shared_vgpr_count 0
		.amdhsa_exception_fp_ieee_invalid_op 0
		.amdhsa_exception_fp_denorm_src 0
		.amdhsa_exception_fp_ieee_div_zero 0
		.amdhsa_exception_fp_ieee_overflow 0
		.amdhsa_exception_fp_ieee_underflow 0
		.amdhsa_exception_fp_ieee_inexact 0
		.amdhsa_exception_int_div_zero 0
	.end_amdhsa_kernel
	.section	.text._ZN7rocprim17ROCPRIM_400000_NS6detail17trampoline_kernelINS0_14default_configENS1_38merge_sort_block_merge_config_selectorIlNS0_10empty_typeEEEZZNS1_27merge_sort_block_merge_implIS3_PlPS5_mZN2at6native12_GLOBAL__N_124unique_dim_cuda_templateIN3c108BFloat16EEESt5tupleIJNSA_6TensorESH_SH_EERKSH_lbbbEUlllE_EE10hipError_tT0_T1_T2_jT3_P12ihipStream_tbPNSt15iterator_traitsISN_E10value_typeEPNST_ISO_E10value_typeEPSP_NS1_7vsmem_tEENKUlT_SN_SO_SP_E_clIS8_S8_S9_S9_EESM_S12_SN_SO_SP_EUlS12_E1_NS1_11comp_targetILNS1_3genE5ELNS1_11target_archE942ELNS1_3gpuE9ELNS1_3repE0EEENS1_36merge_oddeven_config_static_selectorELNS0_4arch9wavefront6targetE0EEEvSO_,"axG",@progbits,_ZN7rocprim17ROCPRIM_400000_NS6detail17trampoline_kernelINS0_14default_configENS1_38merge_sort_block_merge_config_selectorIlNS0_10empty_typeEEEZZNS1_27merge_sort_block_merge_implIS3_PlPS5_mZN2at6native12_GLOBAL__N_124unique_dim_cuda_templateIN3c108BFloat16EEESt5tupleIJNSA_6TensorESH_SH_EERKSH_lbbbEUlllE_EE10hipError_tT0_T1_T2_jT3_P12ihipStream_tbPNSt15iterator_traitsISN_E10value_typeEPNST_ISO_E10value_typeEPSP_NS1_7vsmem_tEENKUlT_SN_SO_SP_E_clIS8_S8_S9_S9_EESM_S12_SN_SO_SP_EUlS12_E1_NS1_11comp_targetILNS1_3genE5ELNS1_11target_archE942ELNS1_3gpuE9ELNS1_3repE0EEENS1_36merge_oddeven_config_static_selectorELNS0_4arch9wavefront6targetE0EEEvSO_,comdat
.Lfunc_end1142:
	.size	_ZN7rocprim17ROCPRIM_400000_NS6detail17trampoline_kernelINS0_14default_configENS1_38merge_sort_block_merge_config_selectorIlNS0_10empty_typeEEEZZNS1_27merge_sort_block_merge_implIS3_PlPS5_mZN2at6native12_GLOBAL__N_124unique_dim_cuda_templateIN3c108BFloat16EEESt5tupleIJNSA_6TensorESH_SH_EERKSH_lbbbEUlllE_EE10hipError_tT0_T1_T2_jT3_P12ihipStream_tbPNSt15iterator_traitsISN_E10value_typeEPNST_ISO_E10value_typeEPSP_NS1_7vsmem_tEENKUlT_SN_SO_SP_E_clIS8_S8_S9_S9_EESM_S12_SN_SO_SP_EUlS12_E1_NS1_11comp_targetILNS1_3genE5ELNS1_11target_archE942ELNS1_3gpuE9ELNS1_3repE0EEENS1_36merge_oddeven_config_static_selectorELNS0_4arch9wavefront6targetE0EEEvSO_, .Lfunc_end1142-_ZN7rocprim17ROCPRIM_400000_NS6detail17trampoline_kernelINS0_14default_configENS1_38merge_sort_block_merge_config_selectorIlNS0_10empty_typeEEEZZNS1_27merge_sort_block_merge_implIS3_PlPS5_mZN2at6native12_GLOBAL__N_124unique_dim_cuda_templateIN3c108BFloat16EEESt5tupleIJNSA_6TensorESH_SH_EERKSH_lbbbEUlllE_EE10hipError_tT0_T1_T2_jT3_P12ihipStream_tbPNSt15iterator_traitsISN_E10value_typeEPNST_ISO_E10value_typeEPSP_NS1_7vsmem_tEENKUlT_SN_SO_SP_E_clIS8_S8_S9_S9_EESM_S12_SN_SO_SP_EUlS12_E1_NS1_11comp_targetILNS1_3genE5ELNS1_11target_archE942ELNS1_3gpuE9ELNS1_3repE0EEENS1_36merge_oddeven_config_static_selectorELNS0_4arch9wavefront6targetE0EEEvSO_
                                        ; -- End function
	.section	.AMDGPU.csdata,"",@progbits
; Kernel info:
; codeLenInByte = 0
; NumSgprs: 0
; NumVgprs: 0
; ScratchSize: 0
; MemoryBound: 0
; FloatMode: 240
; IeeeMode: 1
; LDSByteSize: 0 bytes/workgroup (compile time only)
; SGPRBlocks: 0
; VGPRBlocks: 0
; NumSGPRsForWavesPerEU: 1
; NumVGPRsForWavesPerEU: 1
; Occupancy: 16
; WaveLimiterHint : 0
; COMPUTE_PGM_RSRC2:SCRATCH_EN: 0
; COMPUTE_PGM_RSRC2:USER_SGPR: 15
; COMPUTE_PGM_RSRC2:TRAP_HANDLER: 0
; COMPUTE_PGM_RSRC2:TGID_X_EN: 1
; COMPUTE_PGM_RSRC2:TGID_Y_EN: 0
; COMPUTE_PGM_RSRC2:TGID_Z_EN: 0
; COMPUTE_PGM_RSRC2:TIDIG_COMP_CNT: 0
	.section	.text._ZN7rocprim17ROCPRIM_400000_NS6detail17trampoline_kernelINS0_14default_configENS1_38merge_sort_block_merge_config_selectorIlNS0_10empty_typeEEEZZNS1_27merge_sort_block_merge_implIS3_PlPS5_mZN2at6native12_GLOBAL__N_124unique_dim_cuda_templateIN3c108BFloat16EEESt5tupleIJNSA_6TensorESH_SH_EERKSH_lbbbEUlllE_EE10hipError_tT0_T1_T2_jT3_P12ihipStream_tbPNSt15iterator_traitsISN_E10value_typeEPNST_ISO_E10value_typeEPSP_NS1_7vsmem_tEENKUlT_SN_SO_SP_E_clIS8_S8_S9_S9_EESM_S12_SN_SO_SP_EUlS12_E1_NS1_11comp_targetILNS1_3genE4ELNS1_11target_archE910ELNS1_3gpuE8ELNS1_3repE0EEENS1_36merge_oddeven_config_static_selectorELNS0_4arch9wavefront6targetE0EEEvSO_,"axG",@progbits,_ZN7rocprim17ROCPRIM_400000_NS6detail17trampoline_kernelINS0_14default_configENS1_38merge_sort_block_merge_config_selectorIlNS0_10empty_typeEEEZZNS1_27merge_sort_block_merge_implIS3_PlPS5_mZN2at6native12_GLOBAL__N_124unique_dim_cuda_templateIN3c108BFloat16EEESt5tupleIJNSA_6TensorESH_SH_EERKSH_lbbbEUlllE_EE10hipError_tT0_T1_T2_jT3_P12ihipStream_tbPNSt15iterator_traitsISN_E10value_typeEPNST_ISO_E10value_typeEPSP_NS1_7vsmem_tEENKUlT_SN_SO_SP_E_clIS8_S8_S9_S9_EESM_S12_SN_SO_SP_EUlS12_E1_NS1_11comp_targetILNS1_3genE4ELNS1_11target_archE910ELNS1_3gpuE8ELNS1_3repE0EEENS1_36merge_oddeven_config_static_selectorELNS0_4arch9wavefront6targetE0EEEvSO_,comdat
	.globl	_ZN7rocprim17ROCPRIM_400000_NS6detail17trampoline_kernelINS0_14default_configENS1_38merge_sort_block_merge_config_selectorIlNS0_10empty_typeEEEZZNS1_27merge_sort_block_merge_implIS3_PlPS5_mZN2at6native12_GLOBAL__N_124unique_dim_cuda_templateIN3c108BFloat16EEESt5tupleIJNSA_6TensorESH_SH_EERKSH_lbbbEUlllE_EE10hipError_tT0_T1_T2_jT3_P12ihipStream_tbPNSt15iterator_traitsISN_E10value_typeEPNST_ISO_E10value_typeEPSP_NS1_7vsmem_tEENKUlT_SN_SO_SP_E_clIS8_S8_S9_S9_EESM_S12_SN_SO_SP_EUlS12_E1_NS1_11comp_targetILNS1_3genE4ELNS1_11target_archE910ELNS1_3gpuE8ELNS1_3repE0EEENS1_36merge_oddeven_config_static_selectorELNS0_4arch9wavefront6targetE0EEEvSO_ ; -- Begin function _ZN7rocprim17ROCPRIM_400000_NS6detail17trampoline_kernelINS0_14default_configENS1_38merge_sort_block_merge_config_selectorIlNS0_10empty_typeEEEZZNS1_27merge_sort_block_merge_implIS3_PlPS5_mZN2at6native12_GLOBAL__N_124unique_dim_cuda_templateIN3c108BFloat16EEESt5tupleIJNSA_6TensorESH_SH_EERKSH_lbbbEUlllE_EE10hipError_tT0_T1_T2_jT3_P12ihipStream_tbPNSt15iterator_traitsISN_E10value_typeEPNST_ISO_E10value_typeEPSP_NS1_7vsmem_tEENKUlT_SN_SO_SP_E_clIS8_S8_S9_S9_EESM_S12_SN_SO_SP_EUlS12_E1_NS1_11comp_targetILNS1_3genE4ELNS1_11target_archE910ELNS1_3gpuE8ELNS1_3repE0EEENS1_36merge_oddeven_config_static_selectorELNS0_4arch9wavefront6targetE0EEEvSO_
	.p2align	8
	.type	_ZN7rocprim17ROCPRIM_400000_NS6detail17trampoline_kernelINS0_14default_configENS1_38merge_sort_block_merge_config_selectorIlNS0_10empty_typeEEEZZNS1_27merge_sort_block_merge_implIS3_PlPS5_mZN2at6native12_GLOBAL__N_124unique_dim_cuda_templateIN3c108BFloat16EEESt5tupleIJNSA_6TensorESH_SH_EERKSH_lbbbEUlllE_EE10hipError_tT0_T1_T2_jT3_P12ihipStream_tbPNSt15iterator_traitsISN_E10value_typeEPNST_ISO_E10value_typeEPSP_NS1_7vsmem_tEENKUlT_SN_SO_SP_E_clIS8_S8_S9_S9_EESM_S12_SN_SO_SP_EUlS12_E1_NS1_11comp_targetILNS1_3genE4ELNS1_11target_archE910ELNS1_3gpuE8ELNS1_3repE0EEENS1_36merge_oddeven_config_static_selectorELNS0_4arch9wavefront6targetE0EEEvSO_,@function
_ZN7rocprim17ROCPRIM_400000_NS6detail17trampoline_kernelINS0_14default_configENS1_38merge_sort_block_merge_config_selectorIlNS0_10empty_typeEEEZZNS1_27merge_sort_block_merge_implIS3_PlPS5_mZN2at6native12_GLOBAL__N_124unique_dim_cuda_templateIN3c108BFloat16EEESt5tupleIJNSA_6TensorESH_SH_EERKSH_lbbbEUlllE_EE10hipError_tT0_T1_T2_jT3_P12ihipStream_tbPNSt15iterator_traitsISN_E10value_typeEPNST_ISO_E10value_typeEPSP_NS1_7vsmem_tEENKUlT_SN_SO_SP_E_clIS8_S8_S9_S9_EESM_S12_SN_SO_SP_EUlS12_E1_NS1_11comp_targetILNS1_3genE4ELNS1_11target_archE910ELNS1_3gpuE8ELNS1_3repE0EEENS1_36merge_oddeven_config_static_selectorELNS0_4arch9wavefront6targetE0EEEvSO_: ; @_ZN7rocprim17ROCPRIM_400000_NS6detail17trampoline_kernelINS0_14default_configENS1_38merge_sort_block_merge_config_selectorIlNS0_10empty_typeEEEZZNS1_27merge_sort_block_merge_implIS3_PlPS5_mZN2at6native12_GLOBAL__N_124unique_dim_cuda_templateIN3c108BFloat16EEESt5tupleIJNSA_6TensorESH_SH_EERKSH_lbbbEUlllE_EE10hipError_tT0_T1_T2_jT3_P12ihipStream_tbPNSt15iterator_traitsISN_E10value_typeEPNST_ISO_E10value_typeEPSP_NS1_7vsmem_tEENKUlT_SN_SO_SP_E_clIS8_S8_S9_S9_EESM_S12_SN_SO_SP_EUlS12_E1_NS1_11comp_targetILNS1_3genE4ELNS1_11target_archE910ELNS1_3gpuE8ELNS1_3repE0EEENS1_36merge_oddeven_config_static_selectorELNS0_4arch9wavefront6targetE0EEEvSO_
; %bb.0:
	.section	.rodata,"a",@progbits
	.p2align	6, 0x0
	.amdhsa_kernel _ZN7rocprim17ROCPRIM_400000_NS6detail17trampoline_kernelINS0_14default_configENS1_38merge_sort_block_merge_config_selectorIlNS0_10empty_typeEEEZZNS1_27merge_sort_block_merge_implIS3_PlPS5_mZN2at6native12_GLOBAL__N_124unique_dim_cuda_templateIN3c108BFloat16EEESt5tupleIJNSA_6TensorESH_SH_EERKSH_lbbbEUlllE_EE10hipError_tT0_T1_T2_jT3_P12ihipStream_tbPNSt15iterator_traitsISN_E10value_typeEPNST_ISO_E10value_typeEPSP_NS1_7vsmem_tEENKUlT_SN_SO_SP_E_clIS8_S8_S9_S9_EESM_S12_SN_SO_SP_EUlS12_E1_NS1_11comp_targetILNS1_3genE4ELNS1_11target_archE910ELNS1_3gpuE8ELNS1_3repE0EEENS1_36merge_oddeven_config_static_selectorELNS0_4arch9wavefront6targetE0EEEvSO_
		.amdhsa_group_segment_fixed_size 0
		.amdhsa_private_segment_fixed_size 0
		.amdhsa_kernarg_size 64
		.amdhsa_user_sgpr_count 15
		.amdhsa_user_sgpr_dispatch_ptr 0
		.amdhsa_user_sgpr_queue_ptr 0
		.amdhsa_user_sgpr_kernarg_segment_ptr 1
		.amdhsa_user_sgpr_dispatch_id 0
		.amdhsa_user_sgpr_private_segment_size 0
		.amdhsa_wavefront_size32 1
		.amdhsa_uses_dynamic_stack 0
		.amdhsa_enable_private_segment 0
		.amdhsa_system_sgpr_workgroup_id_x 1
		.amdhsa_system_sgpr_workgroup_id_y 0
		.amdhsa_system_sgpr_workgroup_id_z 0
		.amdhsa_system_sgpr_workgroup_info 0
		.amdhsa_system_vgpr_workitem_id 0
		.amdhsa_next_free_vgpr 1
		.amdhsa_next_free_sgpr 1
		.amdhsa_reserve_vcc 0
		.amdhsa_float_round_mode_32 0
		.amdhsa_float_round_mode_16_64 0
		.amdhsa_float_denorm_mode_32 3
		.amdhsa_float_denorm_mode_16_64 3
		.amdhsa_dx10_clamp 1
		.amdhsa_ieee_mode 1
		.amdhsa_fp16_overflow 0
		.amdhsa_workgroup_processor_mode 1
		.amdhsa_memory_ordered 1
		.amdhsa_forward_progress 0
		.amdhsa_shared_vgpr_count 0
		.amdhsa_exception_fp_ieee_invalid_op 0
		.amdhsa_exception_fp_denorm_src 0
		.amdhsa_exception_fp_ieee_div_zero 0
		.amdhsa_exception_fp_ieee_overflow 0
		.amdhsa_exception_fp_ieee_underflow 0
		.amdhsa_exception_fp_ieee_inexact 0
		.amdhsa_exception_int_div_zero 0
	.end_amdhsa_kernel
	.section	.text._ZN7rocprim17ROCPRIM_400000_NS6detail17trampoline_kernelINS0_14default_configENS1_38merge_sort_block_merge_config_selectorIlNS0_10empty_typeEEEZZNS1_27merge_sort_block_merge_implIS3_PlPS5_mZN2at6native12_GLOBAL__N_124unique_dim_cuda_templateIN3c108BFloat16EEESt5tupleIJNSA_6TensorESH_SH_EERKSH_lbbbEUlllE_EE10hipError_tT0_T1_T2_jT3_P12ihipStream_tbPNSt15iterator_traitsISN_E10value_typeEPNST_ISO_E10value_typeEPSP_NS1_7vsmem_tEENKUlT_SN_SO_SP_E_clIS8_S8_S9_S9_EESM_S12_SN_SO_SP_EUlS12_E1_NS1_11comp_targetILNS1_3genE4ELNS1_11target_archE910ELNS1_3gpuE8ELNS1_3repE0EEENS1_36merge_oddeven_config_static_selectorELNS0_4arch9wavefront6targetE0EEEvSO_,"axG",@progbits,_ZN7rocprim17ROCPRIM_400000_NS6detail17trampoline_kernelINS0_14default_configENS1_38merge_sort_block_merge_config_selectorIlNS0_10empty_typeEEEZZNS1_27merge_sort_block_merge_implIS3_PlPS5_mZN2at6native12_GLOBAL__N_124unique_dim_cuda_templateIN3c108BFloat16EEESt5tupleIJNSA_6TensorESH_SH_EERKSH_lbbbEUlllE_EE10hipError_tT0_T1_T2_jT3_P12ihipStream_tbPNSt15iterator_traitsISN_E10value_typeEPNST_ISO_E10value_typeEPSP_NS1_7vsmem_tEENKUlT_SN_SO_SP_E_clIS8_S8_S9_S9_EESM_S12_SN_SO_SP_EUlS12_E1_NS1_11comp_targetILNS1_3genE4ELNS1_11target_archE910ELNS1_3gpuE8ELNS1_3repE0EEENS1_36merge_oddeven_config_static_selectorELNS0_4arch9wavefront6targetE0EEEvSO_,comdat
.Lfunc_end1143:
	.size	_ZN7rocprim17ROCPRIM_400000_NS6detail17trampoline_kernelINS0_14default_configENS1_38merge_sort_block_merge_config_selectorIlNS0_10empty_typeEEEZZNS1_27merge_sort_block_merge_implIS3_PlPS5_mZN2at6native12_GLOBAL__N_124unique_dim_cuda_templateIN3c108BFloat16EEESt5tupleIJNSA_6TensorESH_SH_EERKSH_lbbbEUlllE_EE10hipError_tT0_T1_T2_jT3_P12ihipStream_tbPNSt15iterator_traitsISN_E10value_typeEPNST_ISO_E10value_typeEPSP_NS1_7vsmem_tEENKUlT_SN_SO_SP_E_clIS8_S8_S9_S9_EESM_S12_SN_SO_SP_EUlS12_E1_NS1_11comp_targetILNS1_3genE4ELNS1_11target_archE910ELNS1_3gpuE8ELNS1_3repE0EEENS1_36merge_oddeven_config_static_selectorELNS0_4arch9wavefront6targetE0EEEvSO_, .Lfunc_end1143-_ZN7rocprim17ROCPRIM_400000_NS6detail17trampoline_kernelINS0_14default_configENS1_38merge_sort_block_merge_config_selectorIlNS0_10empty_typeEEEZZNS1_27merge_sort_block_merge_implIS3_PlPS5_mZN2at6native12_GLOBAL__N_124unique_dim_cuda_templateIN3c108BFloat16EEESt5tupleIJNSA_6TensorESH_SH_EERKSH_lbbbEUlllE_EE10hipError_tT0_T1_T2_jT3_P12ihipStream_tbPNSt15iterator_traitsISN_E10value_typeEPNST_ISO_E10value_typeEPSP_NS1_7vsmem_tEENKUlT_SN_SO_SP_E_clIS8_S8_S9_S9_EESM_S12_SN_SO_SP_EUlS12_E1_NS1_11comp_targetILNS1_3genE4ELNS1_11target_archE910ELNS1_3gpuE8ELNS1_3repE0EEENS1_36merge_oddeven_config_static_selectorELNS0_4arch9wavefront6targetE0EEEvSO_
                                        ; -- End function
	.section	.AMDGPU.csdata,"",@progbits
; Kernel info:
; codeLenInByte = 0
; NumSgprs: 0
; NumVgprs: 0
; ScratchSize: 0
; MemoryBound: 0
; FloatMode: 240
; IeeeMode: 1
; LDSByteSize: 0 bytes/workgroup (compile time only)
; SGPRBlocks: 0
; VGPRBlocks: 0
; NumSGPRsForWavesPerEU: 1
; NumVGPRsForWavesPerEU: 1
; Occupancy: 16
; WaveLimiterHint : 0
; COMPUTE_PGM_RSRC2:SCRATCH_EN: 0
; COMPUTE_PGM_RSRC2:USER_SGPR: 15
; COMPUTE_PGM_RSRC2:TRAP_HANDLER: 0
; COMPUTE_PGM_RSRC2:TGID_X_EN: 1
; COMPUTE_PGM_RSRC2:TGID_Y_EN: 0
; COMPUTE_PGM_RSRC2:TGID_Z_EN: 0
; COMPUTE_PGM_RSRC2:TIDIG_COMP_CNT: 0
	.section	.text._ZN7rocprim17ROCPRIM_400000_NS6detail17trampoline_kernelINS0_14default_configENS1_38merge_sort_block_merge_config_selectorIlNS0_10empty_typeEEEZZNS1_27merge_sort_block_merge_implIS3_PlPS5_mZN2at6native12_GLOBAL__N_124unique_dim_cuda_templateIN3c108BFloat16EEESt5tupleIJNSA_6TensorESH_SH_EERKSH_lbbbEUlllE_EE10hipError_tT0_T1_T2_jT3_P12ihipStream_tbPNSt15iterator_traitsISN_E10value_typeEPNST_ISO_E10value_typeEPSP_NS1_7vsmem_tEENKUlT_SN_SO_SP_E_clIS8_S8_S9_S9_EESM_S12_SN_SO_SP_EUlS12_E1_NS1_11comp_targetILNS1_3genE3ELNS1_11target_archE908ELNS1_3gpuE7ELNS1_3repE0EEENS1_36merge_oddeven_config_static_selectorELNS0_4arch9wavefront6targetE0EEEvSO_,"axG",@progbits,_ZN7rocprim17ROCPRIM_400000_NS6detail17trampoline_kernelINS0_14default_configENS1_38merge_sort_block_merge_config_selectorIlNS0_10empty_typeEEEZZNS1_27merge_sort_block_merge_implIS3_PlPS5_mZN2at6native12_GLOBAL__N_124unique_dim_cuda_templateIN3c108BFloat16EEESt5tupleIJNSA_6TensorESH_SH_EERKSH_lbbbEUlllE_EE10hipError_tT0_T1_T2_jT3_P12ihipStream_tbPNSt15iterator_traitsISN_E10value_typeEPNST_ISO_E10value_typeEPSP_NS1_7vsmem_tEENKUlT_SN_SO_SP_E_clIS8_S8_S9_S9_EESM_S12_SN_SO_SP_EUlS12_E1_NS1_11comp_targetILNS1_3genE3ELNS1_11target_archE908ELNS1_3gpuE7ELNS1_3repE0EEENS1_36merge_oddeven_config_static_selectorELNS0_4arch9wavefront6targetE0EEEvSO_,comdat
	.globl	_ZN7rocprim17ROCPRIM_400000_NS6detail17trampoline_kernelINS0_14default_configENS1_38merge_sort_block_merge_config_selectorIlNS0_10empty_typeEEEZZNS1_27merge_sort_block_merge_implIS3_PlPS5_mZN2at6native12_GLOBAL__N_124unique_dim_cuda_templateIN3c108BFloat16EEESt5tupleIJNSA_6TensorESH_SH_EERKSH_lbbbEUlllE_EE10hipError_tT0_T1_T2_jT3_P12ihipStream_tbPNSt15iterator_traitsISN_E10value_typeEPNST_ISO_E10value_typeEPSP_NS1_7vsmem_tEENKUlT_SN_SO_SP_E_clIS8_S8_S9_S9_EESM_S12_SN_SO_SP_EUlS12_E1_NS1_11comp_targetILNS1_3genE3ELNS1_11target_archE908ELNS1_3gpuE7ELNS1_3repE0EEENS1_36merge_oddeven_config_static_selectorELNS0_4arch9wavefront6targetE0EEEvSO_ ; -- Begin function _ZN7rocprim17ROCPRIM_400000_NS6detail17trampoline_kernelINS0_14default_configENS1_38merge_sort_block_merge_config_selectorIlNS0_10empty_typeEEEZZNS1_27merge_sort_block_merge_implIS3_PlPS5_mZN2at6native12_GLOBAL__N_124unique_dim_cuda_templateIN3c108BFloat16EEESt5tupleIJNSA_6TensorESH_SH_EERKSH_lbbbEUlllE_EE10hipError_tT0_T1_T2_jT3_P12ihipStream_tbPNSt15iterator_traitsISN_E10value_typeEPNST_ISO_E10value_typeEPSP_NS1_7vsmem_tEENKUlT_SN_SO_SP_E_clIS8_S8_S9_S9_EESM_S12_SN_SO_SP_EUlS12_E1_NS1_11comp_targetILNS1_3genE3ELNS1_11target_archE908ELNS1_3gpuE7ELNS1_3repE0EEENS1_36merge_oddeven_config_static_selectorELNS0_4arch9wavefront6targetE0EEEvSO_
	.p2align	8
	.type	_ZN7rocprim17ROCPRIM_400000_NS6detail17trampoline_kernelINS0_14default_configENS1_38merge_sort_block_merge_config_selectorIlNS0_10empty_typeEEEZZNS1_27merge_sort_block_merge_implIS3_PlPS5_mZN2at6native12_GLOBAL__N_124unique_dim_cuda_templateIN3c108BFloat16EEESt5tupleIJNSA_6TensorESH_SH_EERKSH_lbbbEUlllE_EE10hipError_tT0_T1_T2_jT3_P12ihipStream_tbPNSt15iterator_traitsISN_E10value_typeEPNST_ISO_E10value_typeEPSP_NS1_7vsmem_tEENKUlT_SN_SO_SP_E_clIS8_S8_S9_S9_EESM_S12_SN_SO_SP_EUlS12_E1_NS1_11comp_targetILNS1_3genE3ELNS1_11target_archE908ELNS1_3gpuE7ELNS1_3repE0EEENS1_36merge_oddeven_config_static_selectorELNS0_4arch9wavefront6targetE0EEEvSO_,@function
_ZN7rocprim17ROCPRIM_400000_NS6detail17trampoline_kernelINS0_14default_configENS1_38merge_sort_block_merge_config_selectorIlNS0_10empty_typeEEEZZNS1_27merge_sort_block_merge_implIS3_PlPS5_mZN2at6native12_GLOBAL__N_124unique_dim_cuda_templateIN3c108BFloat16EEESt5tupleIJNSA_6TensorESH_SH_EERKSH_lbbbEUlllE_EE10hipError_tT0_T1_T2_jT3_P12ihipStream_tbPNSt15iterator_traitsISN_E10value_typeEPNST_ISO_E10value_typeEPSP_NS1_7vsmem_tEENKUlT_SN_SO_SP_E_clIS8_S8_S9_S9_EESM_S12_SN_SO_SP_EUlS12_E1_NS1_11comp_targetILNS1_3genE3ELNS1_11target_archE908ELNS1_3gpuE7ELNS1_3repE0EEENS1_36merge_oddeven_config_static_selectorELNS0_4arch9wavefront6targetE0EEEvSO_: ; @_ZN7rocprim17ROCPRIM_400000_NS6detail17trampoline_kernelINS0_14default_configENS1_38merge_sort_block_merge_config_selectorIlNS0_10empty_typeEEEZZNS1_27merge_sort_block_merge_implIS3_PlPS5_mZN2at6native12_GLOBAL__N_124unique_dim_cuda_templateIN3c108BFloat16EEESt5tupleIJNSA_6TensorESH_SH_EERKSH_lbbbEUlllE_EE10hipError_tT0_T1_T2_jT3_P12ihipStream_tbPNSt15iterator_traitsISN_E10value_typeEPNST_ISO_E10value_typeEPSP_NS1_7vsmem_tEENKUlT_SN_SO_SP_E_clIS8_S8_S9_S9_EESM_S12_SN_SO_SP_EUlS12_E1_NS1_11comp_targetILNS1_3genE3ELNS1_11target_archE908ELNS1_3gpuE7ELNS1_3repE0EEENS1_36merge_oddeven_config_static_selectorELNS0_4arch9wavefront6targetE0EEEvSO_
; %bb.0:
	.section	.rodata,"a",@progbits
	.p2align	6, 0x0
	.amdhsa_kernel _ZN7rocprim17ROCPRIM_400000_NS6detail17trampoline_kernelINS0_14default_configENS1_38merge_sort_block_merge_config_selectorIlNS0_10empty_typeEEEZZNS1_27merge_sort_block_merge_implIS3_PlPS5_mZN2at6native12_GLOBAL__N_124unique_dim_cuda_templateIN3c108BFloat16EEESt5tupleIJNSA_6TensorESH_SH_EERKSH_lbbbEUlllE_EE10hipError_tT0_T1_T2_jT3_P12ihipStream_tbPNSt15iterator_traitsISN_E10value_typeEPNST_ISO_E10value_typeEPSP_NS1_7vsmem_tEENKUlT_SN_SO_SP_E_clIS8_S8_S9_S9_EESM_S12_SN_SO_SP_EUlS12_E1_NS1_11comp_targetILNS1_3genE3ELNS1_11target_archE908ELNS1_3gpuE7ELNS1_3repE0EEENS1_36merge_oddeven_config_static_selectorELNS0_4arch9wavefront6targetE0EEEvSO_
		.amdhsa_group_segment_fixed_size 0
		.amdhsa_private_segment_fixed_size 0
		.amdhsa_kernarg_size 64
		.amdhsa_user_sgpr_count 15
		.amdhsa_user_sgpr_dispatch_ptr 0
		.amdhsa_user_sgpr_queue_ptr 0
		.amdhsa_user_sgpr_kernarg_segment_ptr 1
		.amdhsa_user_sgpr_dispatch_id 0
		.amdhsa_user_sgpr_private_segment_size 0
		.amdhsa_wavefront_size32 1
		.amdhsa_uses_dynamic_stack 0
		.amdhsa_enable_private_segment 0
		.amdhsa_system_sgpr_workgroup_id_x 1
		.amdhsa_system_sgpr_workgroup_id_y 0
		.amdhsa_system_sgpr_workgroup_id_z 0
		.amdhsa_system_sgpr_workgroup_info 0
		.amdhsa_system_vgpr_workitem_id 0
		.amdhsa_next_free_vgpr 1
		.amdhsa_next_free_sgpr 1
		.amdhsa_reserve_vcc 0
		.amdhsa_float_round_mode_32 0
		.amdhsa_float_round_mode_16_64 0
		.amdhsa_float_denorm_mode_32 3
		.amdhsa_float_denorm_mode_16_64 3
		.amdhsa_dx10_clamp 1
		.amdhsa_ieee_mode 1
		.amdhsa_fp16_overflow 0
		.amdhsa_workgroup_processor_mode 1
		.amdhsa_memory_ordered 1
		.amdhsa_forward_progress 0
		.amdhsa_shared_vgpr_count 0
		.amdhsa_exception_fp_ieee_invalid_op 0
		.amdhsa_exception_fp_denorm_src 0
		.amdhsa_exception_fp_ieee_div_zero 0
		.amdhsa_exception_fp_ieee_overflow 0
		.amdhsa_exception_fp_ieee_underflow 0
		.amdhsa_exception_fp_ieee_inexact 0
		.amdhsa_exception_int_div_zero 0
	.end_amdhsa_kernel
	.section	.text._ZN7rocprim17ROCPRIM_400000_NS6detail17trampoline_kernelINS0_14default_configENS1_38merge_sort_block_merge_config_selectorIlNS0_10empty_typeEEEZZNS1_27merge_sort_block_merge_implIS3_PlPS5_mZN2at6native12_GLOBAL__N_124unique_dim_cuda_templateIN3c108BFloat16EEESt5tupleIJNSA_6TensorESH_SH_EERKSH_lbbbEUlllE_EE10hipError_tT0_T1_T2_jT3_P12ihipStream_tbPNSt15iterator_traitsISN_E10value_typeEPNST_ISO_E10value_typeEPSP_NS1_7vsmem_tEENKUlT_SN_SO_SP_E_clIS8_S8_S9_S9_EESM_S12_SN_SO_SP_EUlS12_E1_NS1_11comp_targetILNS1_3genE3ELNS1_11target_archE908ELNS1_3gpuE7ELNS1_3repE0EEENS1_36merge_oddeven_config_static_selectorELNS0_4arch9wavefront6targetE0EEEvSO_,"axG",@progbits,_ZN7rocprim17ROCPRIM_400000_NS6detail17trampoline_kernelINS0_14default_configENS1_38merge_sort_block_merge_config_selectorIlNS0_10empty_typeEEEZZNS1_27merge_sort_block_merge_implIS3_PlPS5_mZN2at6native12_GLOBAL__N_124unique_dim_cuda_templateIN3c108BFloat16EEESt5tupleIJNSA_6TensorESH_SH_EERKSH_lbbbEUlllE_EE10hipError_tT0_T1_T2_jT3_P12ihipStream_tbPNSt15iterator_traitsISN_E10value_typeEPNST_ISO_E10value_typeEPSP_NS1_7vsmem_tEENKUlT_SN_SO_SP_E_clIS8_S8_S9_S9_EESM_S12_SN_SO_SP_EUlS12_E1_NS1_11comp_targetILNS1_3genE3ELNS1_11target_archE908ELNS1_3gpuE7ELNS1_3repE0EEENS1_36merge_oddeven_config_static_selectorELNS0_4arch9wavefront6targetE0EEEvSO_,comdat
.Lfunc_end1144:
	.size	_ZN7rocprim17ROCPRIM_400000_NS6detail17trampoline_kernelINS0_14default_configENS1_38merge_sort_block_merge_config_selectorIlNS0_10empty_typeEEEZZNS1_27merge_sort_block_merge_implIS3_PlPS5_mZN2at6native12_GLOBAL__N_124unique_dim_cuda_templateIN3c108BFloat16EEESt5tupleIJNSA_6TensorESH_SH_EERKSH_lbbbEUlllE_EE10hipError_tT0_T1_T2_jT3_P12ihipStream_tbPNSt15iterator_traitsISN_E10value_typeEPNST_ISO_E10value_typeEPSP_NS1_7vsmem_tEENKUlT_SN_SO_SP_E_clIS8_S8_S9_S9_EESM_S12_SN_SO_SP_EUlS12_E1_NS1_11comp_targetILNS1_3genE3ELNS1_11target_archE908ELNS1_3gpuE7ELNS1_3repE0EEENS1_36merge_oddeven_config_static_selectorELNS0_4arch9wavefront6targetE0EEEvSO_, .Lfunc_end1144-_ZN7rocprim17ROCPRIM_400000_NS6detail17trampoline_kernelINS0_14default_configENS1_38merge_sort_block_merge_config_selectorIlNS0_10empty_typeEEEZZNS1_27merge_sort_block_merge_implIS3_PlPS5_mZN2at6native12_GLOBAL__N_124unique_dim_cuda_templateIN3c108BFloat16EEESt5tupleIJNSA_6TensorESH_SH_EERKSH_lbbbEUlllE_EE10hipError_tT0_T1_T2_jT3_P12ihipStream_tbPNSt15iterator_traitsISN_E10value_typeEPNST_ISO_E10value_typeEPSP_NS1_7vsmem_tEENKUlT_SN_SO_SP_E_clIS8_S8_S9_S9_EESM_S12_SN_SO_SP_EUlS12_E1_NS1_11comp_targetILNS1_3genE3ELNS1_11target_archE908ELNS1_3gpuE7ELNS1_3repE0EEENS1_36merge_oddeven_config_static_selectorELNS0_4arch9wavefront6targetE0EEEvSO_
                                        ; -- End function
	.section	.AMDGPU.csdata,"",@progbits
; Kernel info:
; codeLenInByte = 0
; NumSgprs: 0
; NumVgprs: 0
; ScratchSize: 0
; MemoryBound: 0
; FloatMode: 240
; IeeeMode: 1
; LDSByteSize: 0 bytes/workgroup (compile time only)
; SGPRBlocks: 0
; VGPRBlocks: 0
; NumSGPRsForWavesPerEU: 1
; NumVGPRsForWavesPerEU: 1
; Occupancy: 16
; WaveLimiterHint : 0
; COMPUTE_PGM_RSRC2:SCRATCH_EN: 0
; COMPUTE_PGM_RSRC2:USER_SGPR: 15
; COMPUTE_PGM_RSRC2:TRAP_HANDLER: 0
; COMPUTE_PGM_RSRC2:TGID_X_EN: 1
; COMPUTE_PGM_RSRC2:TGID_Y_EN: 0
; COMPUTE_PGM_RSRC2:TGID_Z_EN: 0
; COMPUTE_PGM_RSRC2:TIDIG_COMP_CNT: 0
	.section	.text._ZN7rocprim17ROCPRIM_400000_NS6detail17trampoline_kernelINS0_14default_configENS1_38merge_sort_block_merge_config_selectorIlNS0_10empty_typeEEEZZNS1_27merge_sort_block_merge_implIS3_PlPS5_mZN2at6native12_GLOBAL__N_124unique_dim_cuda_templateIN3c108BFloat16EEESt5tupleIJNSA_6TensorESH_SH_EERKSH_lbbbEUlllE_EE10hipError_tT0_T1_T2_jT3_P12ihipStream_tbPNSt15iterator_traitsISN_E10value_typeEPNST_ISO_E10value_typeEPSP_NS1_7vsmem_tEENKUlT_SN_SO_SP_E_clIS8_S8_S9_S9_EESM_S12_SN_SO_SP_EUlS12_E1_NS1_11comp_targetILNS1_3genE2ELNS1_11target_archE906ELNS1_3gpuE6ELNS1_3repE0EEENS1_36merge_oddeven_config_static_selectorELNS0_4arch9wavefront6targetE0EEEvSO_,"axG",@progbits,_ZN7rocprim17ROCPRIM_400000_NS6detail17trampoline_kernelINS0_14default_configENS1_38merge_sort_block_merge_config_selectorIlNS0_10empty_typeEEEZZNS1_27merge_sort_block_merge_implIS3_PlPS5_mZN2at6native12_GLOBAL__N_124unique_dim_cuda_templateIN3c108BFloat16EEESt5tupleIJNSA_6TensorESH_SH_EERKSH_lbbbEUlllE_EE10hipError_tT0_T1_T2_jT3_P12ihipStream_tbPNSt15iterator_traitsISN_E10value_typeEPNST_ISO_E10value_typeEPSP_NS1_7vsmem_tEENKUlT_SN_SO_SP_E_clIS8_S8_S9_S9_EESM_S12_SN_SO_SP_EUlS12_E1_NS1_11comp_targetILNS1_3genE2ELNS1_11target_archE906ELNS1_3gpuE6ELNS1_3repE0EEENS1_36merge_oddeven_config_static_selectorELNS0_4arch9wavefront6targetE0EEEvSO_,comdat
	.globl	_ZN7rocprim17ROCPRIM_400000_NS6detail17trampoline_kernelINS0_14default_configENS1_38merge_sort_block_merge_config_selectorIlNS0_10empty_typeEEEZZNS1_27merge_sort_block_merge_implIS3_PlPS5_mZN2at6native12_GLOBAL__N_124unique_dim_cuda_templateIN3c108BFloat16EEESt5tupleIJNSA_6TensorESH_SH_EERKSH_lbbbEUlllE_EE10hipError_tT0_T1_T2_jT3_P12ihipStream_tbPNSt15iterator_traitsISN_E10value_typeEPNST_ISO_E10value_typeEPSP_NS1_7vsmem_tEENKUlT_SN_SO_SP_E_clIS8_S8_S9_S9_EESM_S12_SN_SO_SP_EUlS12_E1_NS1_11comp_targetILNS1_3genE2ELNS1_11target_archE906ELNS1_3gpuE6ELNS1_3repE0EEENS1_36merge_oddeven_config_static_selectorELNS0_4arch9wavefront6targetE0EEEvSO_ ; -- Begin function _ZN7rocprim17ROCPRIM_400000_NS6detail17trampoline_kernelINS0_14default_configENS1_38merge_sort_block_merge_config_selectorIlNS0_10empty_typeEEEZZNS1_27merge_sort_block_merge_implIS3_PlPS5_mZN2at6native12_GLOBAL__N_124unique_dim_cuda_templateIN3c108BFloat16EEESt5tupleIJNSA_6TensorESH_SH_EERKSH_lbbbEUlllE_EE10hipError_tT0_T1_T2_jT3_P12ihipStream_tbPNSt15iterator_traitsISN_E10value_typeEPNST_ISO_E10value_typeEPSP_NS1_7vsmem_tEENKUlT_SN_SO_SP_E_clIS8_S8_S9_S9_EESM_S12_SN_SO_SP_EUlS12_E1_NS1_11comp_targetILNS1_3genE2ELNS1_11target_archE906ELNS1_3gpuE6ELNS1_3repE0EEENS1_36merge_oddeven_config_static_selectorELNS0_4arch9wavefront6targetE0EEEvSO_
	.p2align	8
	.type	_ZN7rocprim17ROCPRIM_400000_NS6detail17trampoline_kernelINS0_14default_configENS1_38merge_sort_block_merge_config_selectorIlNS0_10empty_typeEEEZZNS1_27merge_sort_block_merge_implIS3_PlPS5_mZN2at6native12_GLOBAL__N_124unique_dim_cuda_templateIN3c108BFloat16EEESt5tupleIJNSA_6TensorESH_SH_EERKSH_lbbbEUlllE_EE10hipError_tT0_T1_T2_jT3_P12ihipStream_tbPNSt15iterator_traitsISN_E10value_typeEPNST_ISO_E10value_typeEPSP_NS1_7vsmem_tEENKUlT_SN_SO_SP_E_clIS8_S8_S9_S9_EESM_S12_SN_SO_SP_EUlS12_E1_NS1_11comp_targetILNS1_3genE2ELNS1_11target_archE906ELNS1_3gpuE6ELNS1_3repE0EEENS1_36merge_oddeven_config_static_selectorELNS0_4arch9wavefront6targetE0EEEvSO_,@function
_ZN7rocprim17ROCPRIM_400000_NS6detail17trampoline_kernelINS0_14default_configENS1_38merge_sort_block_merge_config_selectorIlNS0_10empty_typeEEEZZNS1_27merge_sort_block_merge_implIS3_PlPS5_mZN2at6native12_GLOBAL__N_124unique_dim_cuda_templateIN3c108BFloat16EEESt5tupleIJNSA_6TensorESH_SH_EERKSH_lbbbEUlllE_EE10hipError_tT0_T1_T2_jT3_P12ihipStream_tbPNSt15iterator_traitsISN_E10value_typeEPNST_ISO_E10value_typeEPSP_NS1_7vsmem_tEENKUlT_SN_SO_SP_E_clIS8_S8_S9_S9_EESM_S12_SN_SO_SP_EUlS12_E1_NS1_11comp_targetILNS1_3genE2ELNS1_11target_archE906ELNS1_3gpuE6ELNS1_3repE0EEENS1_36merge_oddeven_config_static_selectorELNS0_4arch9wavefront6targetE0EEEvSO_: ; @_ZN7rocprim17ROCPRIM_400000_NS6detail17trampoline_kernelINS0_14default_configENS1_38merge_sort_block_merge_config_selectorIlNS0_10empty_typeEEEZZNS1_27merge_sort_block_merge_implIS3_PlPS5_mZN2at6native12_GLOBAL__N_124unique_dim_cuda_templateIN3c108BFloat16EEESt5tupleIJNSA_6TensorESH_SH_EERKSH_lbbbEUlllE_EE10hipError_tT0_T1_T2_jT3_P12ihipStream_tbPNSt15iterator_traitsISN_E10value_typeEPNST_ISO_E10value_typeEPSP_NS1_7vsmem_tEENKUlT_SN_SO_SP_E_clIS8_S8_S9_S9_EESM_S12_SN_SO_SP_EUlS12_E1_NS1_11comp_targetILNS1_3genE2ELNS1_11target_archE906ELNS1_3gpuE6ELNS1_3repE0EEENS1_36merge_oddeven_config_static_selectorELNS0_4arch9wavefront6targetE0EEEvSO_
; %bb.0:
	.section	.rodata,"a",@progbits
	.p2align	6, 0x0
	.amdhsa_kernel _ZN7rocprim17ROCPRIM_400000_NS6detail17trampoline_kernelINS0_14default_configENS1_38merge_sort_block_merge_config_selectorIlNS0_10empty_typeEEEZZNS1_27merge_sort_block_merge_implIS3_PlPS5_mZN2at6native12_GLOBAL__N_124unique_dim_cuda_templateIN3c108BFloat16EEESt5tupleIJNSA_6TensorESH_SH_EERKSH_lbbbEUlllE_EE10hipError_tT0_T1_T2_jT3_P12ihipStream_tbPNSt15iterator_traitsISN_E10value_typeEPNST_ISO_E10value_typeEPSP_NS1_7vsmem_tEENKUlT_SN_SO_SP_E_clIS8_S8_S9_S9_EESM_S12_SN_SO_SP_EUlS12_E1_NS1_11comp_targetILNS1_3genE2ELNS1_11target_archE906ELNS1_3gpuE6ELNS1_3repE0EEENS1_36merge_oddeven_config_static_selectorELNS0_4arch9wavefront6targetE0EEEvSO_
		.amdhsa_group_segment_fixed_size 0
		.amdhsa_private_segment_fixed_size 0
		.amdhsa_kernarg_size 64
		.amdhsa_user_sgpr_count 15
		.amdhsa_user_sgpr_dispatch_ptr 0
		.amdhsa_user_sgpr_queue_ptr 0
		.amdhsa_user_sgpr_kernarg_segment_ptr 1
		.amdhsa_user_sgpr_dispatch_id 0
		.amdhsa_user_sgpr_private_segment_size 0
		.amdhsa_wavefront_size32 1
		.amdhsa_uses_dynamic_stack 0
		.amdhsa_enable_private_segment 0
		.amdhsa_system_sgpr_workgroup_id_x 1
		.amdhsa_system_sgpr_workgroup_id_y 0
		.amdhsa_system_sgpr_workgroup_id_z 0
		.amdhsa_system_sgpr_workgroup_info 0
		.amdhsa_system_vgpr_workitem_id 0
		.amdhsa_next_free_vgpr 1
		.amdhsa_next_free_sgpr 1
		.amdhsa_reserve_vcc 0
		.amdhsa_float_round_mode_32 0
		.amdhsa_float_round_mode_16_64 0
		.amdhsa_float_denorm_mode_32 3
		.amdhsa_float_denorm_mode_16_64 3
		.amdhsa_dx10_clamp 1
		.amdhsa_ieee_mode 1
		.amdhsa_fp16_overflow 0
		.amdhsa_workgroup_processor_mode 1
		.amdhsa_memory_ordered 1
		.amdhsa_forward_progress 0
		.amdhsa_shared_vgpr_count 0
		.amdhsa_exception_fp_ieee_invalid_op 0
		.amdhsa_exception_fp_denorm_src 0
		.amdhsa_exception_fp_ieee_div_zero 0
		.amdhsa_exception_fp_ieee_overflow 0
		.amdhsa_exception_fp_ieee_underflow 0
		.amdhsa_exception_fp_ieee_inexact 0
		.amdhsa_exception_int_div_zero 0
	.end_amdhsa_kernel
	.section	.text._ZN7rocprim17ROCPRIM_400000_NS6detail17trampoline_kernelINS0_14default_configENS1_38merge_sort_block_merge_config_selectorIlNS0_10empty_typeEEEZZNS1_27merge_sort_block_merge_implIS3_PlPS5_mZN2at6native12_GLOBAL__N_124unique_dim_cuda_templateIN3c108BFloat16EEESt5tupleIJNSA_6TensorESH_SH_EERKSH_lbbbEUlllE_EE10hipError_tT0_T1_T2_jT3_P12ihipStream_tbPNSt15iterator_traitsISN_E10value_typeEPNST_ISO_E10value_typeEPSP_NS1_7vsmem_tEENKUlT_SN_SO_SP_E_clIS8_S8_S9_S9_EESM_S12_SN_SO_SP_EUlS12_E1_NS1_11comp_targetILNS1_3genE2ELNS1_11target_archE906ELNS1_3gpuE6ELNS1_3repE0EEENS1_36merge_oddeven_config_static_selectorELNS0_4arch9wavefront6targetE0EEEvSO_,"axG",@progbits,_ZN7rocprim17ROCPRIM_400000_NS6detail17trampoline_kernelINS0_14default_configENS1_38merge_sort_block_merge_config_selectorIlNS0_10empty_typeEEEZZNS1_27merge_sort_block_merge_implIS3_PlPS5_mZN2at6native12_GLOBAL__N_124unique_dim_cuda_templateIN3c108BFloat16EEESt5tupleIJNSA_6TensorESH_SH_EERKSH_lbbbEUlllE_EE10hipError_tT0_T1_T2_jT3_P12ihipStream_tbPNSt15iterator_traitsISN_E10value_typeEPNST_ISO_E10value_typeEPSP_NS1_7vsmem_tEENKUlT_SN_SO_SP_E_clIS8_S8_S9_S9_EESM_S12_SN_SO_SP_EUlS12_E1_NS1_11comp_targetILNS1_3genE2ELNS1_11target_archE906ELNS1_3gpuE6ELNS1_3repE0EEENS1_36merge_oddeven_config_static_selectorELNS0_4arch9wavefront6targetE0EEEvSO_,comdat
.Lfunc_end1145:
	.size	_ZN7rocprim17ROCPRIM_400000_NS6detail17trampoline_kernelINS0_14default_configENS1_38merge_sort_block_merge_config_selectorIlNS0_10empty_typeEEEZZNS1_27merge_sort_block_merge_implIS3_PlPS5_mZN2at6native12_GLOBAL__N_124unique_dim_cuda_templateIN3c108BFloat16EEESt5tupleIJNSA_6TensorESH_SH_EERKSH_lbbbEUlllE_EE10hipError_tT0_T1_T2_jT3_P12ihipStream_tbPNSt15iterator_traitsISN_E10value_typeEPNST_ISO_E10value_typeEPSP_NS1_7vsmem_tEENKUlT_SN_SO_SP_E_clIS8_S8_S9_S9_EESM_S12_SN_SO_SP_EUlS12_E1_NS1_11comp_targetILNS1_3genE2ELNS1_11target_archE906ELNS1_3gpuE6ELNS1_3repE0EEENS1_36merge_oddeven_config_static_selectorELNS0_4arch9wavefront6targetE0EEEvSO_, .Lfunc_end1145-_ZN7rocprim17ROCPRIM_400000_NS6detail17trampoline_kernelINS0_14default_configENS1_38merge_sort_block_merge_config_selectorIlNS0_10empty_typeEEEZZNS1_27merge_sort_block_merge_implIS3_PlPS5_mZN2at6native12_GLOBAL__N_124unique_dim_cuda_templateIN3c108BFloat16EEESt5tupleIJNSA_6TensorESH_SH_EERKSH_lbbbEUlllE_EE10hipError_tT0_T1_T2_jT3_P12ihipStream_tbPNSt15iterator_traitsISN_E10value_typeEPNST_ISO_E10value_typeEPSP_NS1_7vsmem_tEENKUlT_SN_SO_SP_E_clIS8_S8_S9_S9_EESM_S12_SN_SO_SP_EUlS12_E1_NS1_11comp_targetILNS1_3genE2ELNS1_11target_archE906ELNS1_3gpuE6ELNS1_3repE0EEENS1_36merge_oddeven_config_static_selectorELNS0_4arch9wavefront6targetE0EEEvSO_
                                        ; -- End function
	.section	.AMDGPU.csdata,"",@progbits
; Kernel info:
; codeLenInByte = 0
; NumSgprs: 0
; NumVgprs: 0
; ScratchSize: 0
; MemoryBound: 0
; FloatMode: 240
; IeeeMode: 1
; LDSByteSize: 0 bytes/workgroup (compile time only)
; SGPRBlocks: 0
; VGPRBlocks: 0
; NumSGPRsForWavesPerEU: 1
; NumVGPRsForWavesPerEU: 1
; Occupancy: 16
; WaveLimiterHint : 0
; COMPUTE_PGM_RSRC2:SCRATCH_EN: 0
; COMPUTE_PGM_RSRC2:USER_SGPR: 15
; COMPUTE_PGM_RSRC2:TRAP_HANDLER: 0
; COMPUTE_PGM_RSRC2:TGID_X_EN: 1
; COMPUTE_PGM_RSRC2:TGID_Y_EN: 0
; COMPUTE_PGM_RSRC2:TGID_Z_EN: 0
; COMPUTE_PGM_RSRC2:TIDIG_COMP_CNT: 0
	.section	.text._ZN7rocprim17ROCPRIM_400000_NS6detail17trampoline_kernelINS0_14default_configENS1_38merge_sort_block_merge_config_selectorIlNS0_10empty_typeEEEZZNS1_27merge_sort_block_merge_implIS3_PlPS5_mZN2at6native12_GLOBAL__N_124unique_dim_cuda_templateIN3c108BFloat16EEESt5tupleIJNSA_6TensorESH_SH_EERKSH_lbbbEUlllE_EE10hipError_tT0_T1_T2_jT3_P12ihipStream_tbPNSt15iterator_traitsISN_E10value_typeEPNST_ISO_E10value_typeEPSP_NS1_7vsmem_tEENKUlT_SN_SO_SP_E_clIS8_S8_S9_S9_EESM_S12_SN_SO_SP_EUlS12_E1_NS1_11comp_targetILNS1_3genE9ELNS1_11target_archE1100ELNS1_3gpuE3ELNS1_3repE0EEENS1_36merge_oddeven_config_static_selectorELNS0_4arch9wavefront6targetE0EEEvSO_,"axG",@progbits,_ZN7rocprim17ROCPRIM_400000_NS6detail17trampoline_kernelINS0_14default_configENS1_38merge_sort_block_merge_config_selectorIlNS0_10empty_typeEEEZZNS1_27merge_sort_block_merge_implIS3_PlPS5_mZN2at6native12_GLOBAL__N_124unique_dim_cuda_templateIN3c108BFloat16EEESt5tupleIJNSA_6TensorESH_SH_EERKSH_lbbbEUlllE_EE10hipError_tT0_T1_T2_jT3_P12ihipStream_tbPNSt15iterator_traitsISN_E10value_typeEPNST_ISO_E10value_typeEPSP_NS1_7vsmem_tEENKUlT_SN_SO_SP_E_clIS8_S8_S9_S9_EESM_S12_SN_SO_SP_EUlS12_E1_NS1_11comp_targetILNS1_3genE9ELNS1_11target_archE1100ELNS1_3gpuE3ELNS1_3repE0EEENS1_36merge_oddeven_config_static_selectorELNS0_4arch9wavefront6targetE0EEEvSO_,comdat
	.globl	_ZN7rocprim17ROCPRIM_400000_NS6detail17trampoline_kernelINS0_14default_configENS1_38merge_sort_block_merge_config_selectorIlNS0_10empty_typeEEEZZNS1_27merge_sort_block_merge_implIS3_PlPS5_mZN2at6native12_GLOBAL__N_124unique_dim_cuda_templateIN3c108BFloat16EEESt5tupleIJNSA_6TensorESH_SH_EERKSH_lbbbEUlllE_EE10hipError_tT0_T1_T2_jT3_P12ihipStream_tbPNSt15iterator_traitsISN_E10value_typeEPNST_ISO_E10value_typeEPSP_NS1_7vsmem_tEENKUlT_SN_SO_SP_E_clIS8_S8_S9_S9_EESM_S12_SN_SO_SP_EUlS12_E1_NS1_11comp_targetILNS1_3genE9ELNS1_11target_archE1100ELNS1_3gpuE3ELNS1_3repE0EEENS1_36merge_oddeven_config_static_selectorELNS0_4arch9wavefront6targetE0EEEvSO_ ; -- Begin function _ZN7rocprim17ROCPRIM_400000_NS6detail17trampoline_kernelINS0_14default_configENS1_38merge_sort_block_merge_config_selectorIlNS0_10empty_typeEEEZZNS1_27merge_sort_block_merge_implIS3_PlPS5_mZN2at6native12_GLOBAL__N_124unique_dim_cuda_templateIN3c108BFloat16EEESt5tupleIJNSA_6TensorESH_SH_EERKSH_lbbbEUlllE_EE10hipError_tT0_T1_T2_jT3_P12ihipStream_tbPNSt15iterator_traitsISN_E10value_typeEPNST_ISO_E10value_typeEPSP_NS1_7vsmem_tEENKUlT_SN_SO_SP_E_clIS8_S8_S9_S9_EESM_S12_SN_SO_SP_EUlS12_E1_NS1_11comp_targetILNS1_3genE9ELNS1_11target_archE1100ELNS1_3gpuE3ELNS1_3repE0EEENS1_36merge_oddeven_config_static_selectorELNS0_4arch9wavefront6targetE0EEEvSO_
	.p2align	8
	.type	_ZN7rocprim17ROCPRIM_400000_NS6detail17trampoline_kernelINS0_14default_configENS1_38merge_sort_block_merge_config_selectorIlNS0_10empty_typeEEEZZNS1_27merge_sort_block_merge_implIS3_PlPS5_mZN2at6native12_GLOBAL__N_124unique_dim_cuda_templateIN3c108BFloat16EEESt5tupleIJNSA_6TensorESH_SH_EERKSH_lbbbEUlllE_EE10hipError_tT0_T1_T2_jT3_P12ihipStream_tbPNSt15iterator_traitsISN_E10value_typeEPNST_ISO_E10value_typeEPSP_NS1_7vsmem_tEENKUlT_SN_SO_SP_E_clIS8_S8_S9_S9_EESM_S12_SN_SO_SP_EUlS12_E1_NS1_11comp_targetILNS1_3genE9ELNS1_11target_archE1100ELNS1_3gpuE3ELNS1_3repE0EEENS1_36merge_oddeven_config_static_selectorELNS0_4arch9wavefront6targetE0EEEvSO_,@function
_ZN7rocprim17ROCPRIM_400000_NS6detail17trampoline_kernelINS0_14default_configENS1_38merge_sort_block_merge_config_selectorIlNS0_10empty_typeEEEZZNS1_27merge_sort_block_merge_implIS3_PlPS5_mZN2at6native12_GLOBAL__N_124unique_dim_cuda_templateIN3c108BFloat16EEESt5tupleIJNSA_6TensorESH_SH_EERKSH_lbbbEUlllE_EE10hipError_tT0_T1_T2_jT3_P12ihipStream_tbPNSt15iterator_traitsISN_E10value_typeEPNST_ISO_E10value_typeEPSP_NS1_7vsmem_tEENKUlT_SN_SO_SP_E_clIS8_S8_S9_S9_EESM_S12_SN_SO_SP_EUlS12_E1_NS1_11comp_targetILNS1_3genE9ELNS1_11target_archE1100ELNS1_3gpuE3ELNS1_3repE0EEENS1_36merge_oddeven_config_static_selectorELNS0_4arch9wavefront6targetE0EEEvSO_: ; @_ZN7rocprim17ROCPRIM_400000_NS6detail17trampoline_kernelINS0_14default_configENS1_38merge_sort_block_merge_config_selectorIlNS0_10empty_typeEEEZZNS1_27merge_sort_block_merge_implIS3_PlPS5_mZN2at6native12_GLOBAL__N_124unique_dim_cuda_templateIN3c108BFloat16EEESt5tupleIJNSA_6TensorESH_SH_EERKSH_lbbbEUlllE_EE10hipError_tT0_T1_T2_jT3_P12ihipStream_tbPNSt15iterator_traitsISN_E10value_typeEPNST_ISO_E10value_typeEPSP_NS1_7vsmem_tEENKUlT_SN_SO_SP_E_clIS8_S8_S9_S9_EESM_S12_SN_SO_SP_EUlS12_E1_NS1_11comp_targetILNS1_3genE9ELNS1_11target_archE1100ELNS1_3gpuE3ELNS1_3repE0EEENS1_36merge_oddeven_config_static_selectorELNS0_4arch9wavefront6targetE0EEEvSO_
; %bb.0:
	s_load_b32 s3, s[0:1], 0x20
	s_waitcnt lgkmcnt(0)
	s_lshr_b32 s2, s3, 8
	s_delay_alu instid0(SALU_CYCLE_1) | instskip(SKIP_4) | instid1(SALU_CYCLE_1)
	s_cmp_lg_u32 s15, s2
	s_cselect_b32 s8, -1, 0
	s_cmp_eq_u32 s15, s2
	s_cselect_b32 s16, -1, 0
	s_lshl_b32 s12, s15, 8
	s_sub_i32 s2, s3, s12
	s_delay_alu instid0(SALU_CYCLE_1) | instskip(NEXT) | instid1(VALU_DEP_1)
	v_cmp_gt_u32_e64 s2, s2, v0
	s_or_b32 s4, s8, s2
	s_delay_alu instid0(SALU_CYCLE_1)
	s_and_saveexec_b32 s5, s4
	s_cbranch_execz .LBB1146_62
; %bb.1:
	s_clause 0x1
	s_load_b128 s[4:7], s[0:1], 0x0
	s_load_b32 s17, s[0:1], 0x28
	s_mov_b32 s13, 0
	v_lshlrev_b32_e32 v1, 3, v0
	s_lshl_b64 s[10:11], s[12:13], 3
	s_waitcnt lgkmcnt(0)
	s_add_u32 s10, s4, s10
	s_addc_u32 s11, s5, s11
	s_lshr_b32 s9, s17, 8
	global_load_b64 v[1:2], v1, s[10:11]
	s_sub_i32 s10, 0, s9
	s_delay_alu instid0(SALU_CYCLE_1) | instskip(NEXT) | instid1(SALU_CYCLE_1)
	s_and_b32 s10, s15, s10
	s_and_b32 s9, s10, s9
	s_delay_alu instid0(SALU_CYCLE_1)
	s_cmp_lg_u32 s9, 0
	s_cselect_b32 s14, -1, 0
	s_lshl_b32 s18, s10, 8
	s_sub_i32 s10, 0, s17
	s_cmp_eq_u32 s9, 0
	s_cselect_b32 s15, s17, s10
	s_delay_alu instid0(SALU_CYCLE_1) | instskip(NEXT) | instid1(SALU_CYCLE_1)
	s_add_i32 s15, s15, s18
	s_cmp_lt_u32 s15, s3
	s_cbranch_scc1 .LBB1146_3
; %bb.2:
	v_add_nc_u32_e32 v3, s12, v0
	s_delay_alu instid0(VALU_DEP_1) | instskip(SKIP_1) | instid1(SALU_CYCLE_1)
	v_cmp_gt_u32_e32 vcc_lo, s3, v3
	s_or_b32 s9, vcc_lo, s8
	s_and_b32 s13, s9, exec_lo
	s_cbranch_execz .LBB1146_4
	s_branch .LBB1146_60
.LBB1146_3:
                                        ; implicit-def: $vgpr3
.LBB1146_4:
	s_load_b128 s[8:11], s[0:1], 0x30
	v_add_nc_u32_e32 v0, s12, v0
	s_min_u32 s12, s15, s3
	s_and_b32 vcc_lo, exec_lo, s16
	s_add_i32 s0, s18, s12
	s_add_i32 s1, s12, s17
	v_subrev_nc_u32_e32 v0, s0, v0
	s_min_u32 s0, s18, s12
	s_min_u32 s16, s1, s3
	s_delay_alu instid0(VALU_DEP_1)
	v_add_nc_u32_e32 v0, s0, v0
	s_cbranch_vccz .LBB1146_30
; %bb.5:
                                        ; implicit-def: $vgpr3
	s_and_saveexec_b32 s17, s2
	s_cbranch_execz .LBB1146_33
; %bb.6:
	v_mov_b32_e32 v13, s12
	s_cmp_ge_u32 s15, s16
	s_cbranch_scc1 .LBB1146_32
; %bb.7:
	s_waitcnt vmcnt(0) lgkmcnt(0)
	v_mul_lo_u32 v5, v2, s8
	v_mul_lo_u32 v6, v1, s9
	v_mad_u64_u32 v[3:4], null, v1, s8, 0
	v_cmp_gt_i64_e64 s18, s[8:9], 0
	v_dual_mov_b32 v14, s16 :: v_dual_mov_b32 v13, s12
	s_lshl_b64 s[0:1], s[8:9], 1
	s_mov_b32 s19, 0
	s_delay_alu instid0(VALU_DEP_3) | instskip(NEXT) | instid1(VALU_DEP_1)
	v_add3_u32 v4, v4, v6, v5
	v_lshlrev_b64 v[5:6], 1, v[3:4]
	v_mov_b32_e32 v4, 0
	s_delay_alu instid0(VALU_DEP_2) | instskip(NEXT) | instid1(VALU_DEP_3)
	v_add_co_u32 v5, vcc_lo, s10, v5
	v_add_co_ci_u32_e32 v6, vcc_lo, s11, v6, vcc_lo
	s_branch .LBB1146_10
.LBB1146_8:                             ;   in Loop: Header=BB1146_10 Depth=1
	s_set_inst_prefetch_distance 0x2
	s_or_b32 exec_lo, exec_lo, s21
.LBB1146_9:                             ;   in Loop: Header=BB1146_10 Depth=1
	s_waitcnt vmcnt(0)
	v_add_nc_u32_e32 v7, 1, v3
	v_cndmask_b32_e64 v14, v3, v14, s20
	s_delay_alu instid0(VALU_DEP_2) | instskip(NEXT) | instid1(VALU_DEP_1)
	v_cndmask_b32_e64 v13, v13, v7, s20
	v_cmp_ge_u32_e32 vcc_lo, v13, v14
	s_or_b32 s19, vcc_lo, s19
	s_delay_alu instid0(SALU_CYCLE_1)
	s_and_not1_b32 exec_lo, exec_lo, s19
	s_cbranch_execz .LBB1146_31
.LBB1146_10:                            ; =>This Loop Header: Depth=1
                                        ;     Child Loop BB1146_14 Depth 2
                                        ;     Child Loop BB1146_25 Depth 2
	v_add_nc_u32_e32 v3, v13, v14
	s_mov_b32 s2, -1
                                        ; implicit-def: $sgpr20
	s_delay_alu instid0(VALU_DEP_1) | instskip(NEXT) | instid1(VALU_DEP_1)
	v_lshrrev_b32_e32 v3, 1, v3
	v_lshlrev_b64 v[7:8], 3, v[3:4]
	s_delay_alu instid0(VALU_DEP_1) | instskip(NEXT) | instid1(VALU_DEP_2)
	v_add_co_u32 v7, vcc_lo, s4, v7
	v_add_co_ci_u32_e32 v8, vcc_lo, s5, v8, vcc_lo
	s_and_not1_b32 vcc_lo, exec_lo, s14
	global_load_b64 v[7:8], v[7:8], off
	s_cbranch_vccnz .LBB1146_21
; %bb.11:                               ;   in Loop: Header=BB1146_10 Depth=1
	s_and_not1_b32 vcc_lo, exec_lo, s18
	s_cbranch_vccnz .LBB1146_19
; %bb.12:                               ;   in Loop: Header=BB1146_10 Depth=1
	s_waitcnt vmcnt(0)
	v_mad_u64_u32 v[9:10], null, s0, v7, s[10:11]
	v_mul_lo_u32 v11, s0, v8
	v_mul_lo_u32 v12, s1, v7
	s_mov_b32 s21, 0
	s_mov_b64 s[2:3], s[8:9]
                                        ; implicit-def: $sgpr20
                                        ; implicit-def: $sgpr22
                                        ; implicit-def: $sgpr23
	s_delay_alu instid0(VALU_DEP_1)
	v_add3_u32 v10, v12, v10, v11
	v_dual_mov_b32 v12, v6 :: v_dual_mov_b32 v11, v5
	s_set_inst_prefetch_distance 0x1
	s_branch .LBB1146_14
	.p2align	6
.LBB1146_13:                            ;   in Loop: Header=BB1146_14 Depth=2
	s_or_b32 exec_lo, exec_lo, s26
	s_delay_alu instid0(SALU_CYCLE_1) | instskip(NEXT) | instid1(SALU_CYCLE_1)
	s_and_b32 s24, exec_lo, s25
	s_or_b32 s21, s24, s21
	s_and_not1_b32 s20, s20, exec_lo
	s_and_b32 s24, s22, exec_lo
	s_delay_alu instid0(SALU_CYCLE_1)
	s_or_b32 s20, s20, s24
	s_and_not1_b32 exec_lo, exec_lo, s21
	s_cbranch_execz .LBB1146_18
.LBB1146_14:                            ;   Parent Loop BB1146_10 Depth=1
                                        ; =>  This Inner Loop Header: Depth=2
	global_load_u16 v15, v[11:12], off
	global_load_u16 v16, v[9:10], off
	s_mov_b32 s25, -1
	s_mov_b32 s27, 0
	s_mov_b32 s24, -1
	s_mov_b32 s26, exec_lo
	s_waitcnt vmcnt(1)
	v_lshlrev_b32_e32 v15, 16, v15
	s_waitcnt vmcnt(0)
	v_lshlrev_b32_e32 v16, 16, v16
	s_delay_alu instid0(VALU_DEP_1)
	v_cmpx_nlt_f32_e32 v15, v16
; %bb.15:                               ;   in Loop: Header=BB1146_14 Depth=2
	v_cmp_ngt_f32_e32 vcc_lo, v15, v16
	s_and_b32 s23, vcc_lo, s23
	s_and_b32 s27, vcc_lo, exec_lo
	s_or_not1_b32 s24, s23, exec_lo
; %bb.16:                               ;   in Loop: Header=BB1146_14 Depth=2
	s_or_b32 exec_lo, exec_lo, s26
	s_delay_alu instid0(SALU_CYCLE_1) | instskip(SKIP_1) | instid1(SALU_CYCLE_1)
	s_and_not1_b32 s22, s22, exec_lo
	s_and_b32 s23, s24, exec_lo
	s_or_b32 s22, s22, s23
                                        ; implicit-def: $sgpr23
	s_and_saveexec_b32 s26, s27
	s_cbranch_execz .LBB1146_13
; %bb.17:                               ;   in Loop: Header=BB1146_14 Depth=2
	s_add_u32 s2, s2, -1
	s_addc_u32 s3, s3, -1
	v_add_co_u32 v11, vcc_lo, v11, 2
	s_cmp_eq_u64 s[2:3], 0
	v_add_co_ci_u32_e32 v12, vcc_lo, 0, v12, vcc_lo
	v_add_co_u32 v9, vcc_lo, v9, 2
	s_cselect_b32 s25, -1, 0
	v_add_co_ci_u32_e32 v10, vcc_lo, 0, v10, vcc_lo
	s_and_not1_b32 s22, s22, exec_lo
	s_and_b32 s23, s24, exec_lo
	s_or_not1_b32 s25, s25, exec_lo
	s_branch .LBB1146_13
.LBB1146_18:                            ;   in Loop: Header=BB1146_10 Depth=1
	s_set_inst_prefetch_distance 0x2
	s_or_b32 exec_lo, exec_lo, s21
	s_branch .LBB1146_20
.LBB1146_19:                            ;   in Loop: Header=BB1146_10 Depth=1
	s_mov_b32 s20, 0
.LBB1146_20:                            ;   in Loop: Header=BB1146_10 Depth=1
	s_delay_alu instid0(SALU_CYCLE_1)
	s_xor_b32 s20, s20, -1
	s_mov_b32 s2, 0
.LBB1146_21:                            ;   in Loop: Header=BB1146_10 Depth=1
	s_delay_alu instid0(SALU_CYCLE_1)
	s_and_b32 vcc_lo, exec_lo, s2
	s_cbranch_vccz .LBB1146_9
; %bb.22:                               ;   in Loop: Header=BB1146_10 Depth=1
	s_and_not1_b32 vcc_lo, exec_lo, s18
	s_cbranch_vccnz .LBB1146_29
; %bb.23:                               ;   in Loop: Header=BB1146_10 Depth=1
	s_waitcnt vmcnt(0)
	v_mad_u64_u32 v[9:10], null, s0, v7, s[10:11]
	v_mul_lo_u32 v8, s0, v8
	v_mul_lo_u32 v7, s1, v7
	s_mov_b32 s21, 0
	s_mov_b64 s[2:3], s[8:9]
                                        ; implicit-def: $sgpr20
                                        ; implicit-def: $sgpr22
                                        ; implicit-def: $sgpr23
	s_delay_alu instid0(VALU_DEP_1)
	v_add3_u32 v10, v7, v10, v8
	v_dual_mov_b32 v8, v6 :: v_dual_mov_b32 v7, v5
	s_set_inst_prefetch_distance 0x1
	s_branch .LBB1146_25
	.p2align	6
.LBB1146_24:                            ;   in Loop: Header=BB1146_25 Depth=2
	s_or_b32 exec_lo, exec_lo, s26
	s_delay_alu instid0(SALU_CYCLE_1) | instskip(NEXT) | instid1(SALU_CYCLE_1)
	s_and_b32 s24, exec_lo, s25
	s_or_b32 s21, s24, s21
	s_and_not1_b32 s20, s20, exec_lo
	s_and_b32 s24, s22, exec_lo
	s_delay_alu instid0(SALU_CYCLE_1)
	s_or_b32 s20, s20, s24
	s_and_not1_b32 exec_lo, exec_lo, s21
	s_cbranch_execz .LBB1146_8
.LBB1146_25:                            ;   Parent Loop BB1146_10 Depth=1
                                        ; =>  This Inner Loop Header: Depth=2
	global_load_u16 v11, v[9:10], off
	global_load_u16 v12, v[7:8], off
	s_mov_b32 s25, -1
	s_mov_b32 s27, 0
	s_mov_b32 s24, -1
	s_mov_b32 s26, exec_lo
	s_waitcnt vmcnt(1)
	v_lshlrev_b32_e32 v11, 16, v11
	s_waitcnt vmcnt(0)
	v_lshlrev_b32_e32 v12, 16, v12
	s_delay_alu instid0(VALU_DEP_1)
	v_cmpx_nlt_f32_e32 v11, v12
; %bb.26:                               ;   in Loop: Header=BB1146_25 Depth=2
	v_cmp_ngt_f32_e32 vcc_lo, v11, v12
	s_and_b32 s23, vcc_lo, s23
	s_and_b32 s27, vcc_lo, exec_lo
	s_or_not1_b32 s24, s23, exec_lo
; %bb.27:                               ;   in Loop: Header=BB1146_25 Depth=2
	s_or_b32 exec_lo, exec_lo, s26
	s_delay_alu instid0(SALU_CYCLE_1) | instskip(SKIP_1) | instid1(SALU_CYCLE_1)
	s_and_not1_b32 s22, s22, exec_lo
	s_and_b32 s23, s24, exec_lo
	s_or_b32 s22, s22, s23
                                        ; implicit-def: $sgpr23
	s_and_saveexec_b32 s26, s27
	s_cbranch_execz .LBB1146_24
; %bb.28:                               ;   in Loop: Header=BB1146_25 Depth=2
	s_add_u32 s2, s2, -1
	s_addc_u32 s3, s3, -1
	v_add_co_u32 v9, vcc_lo, v9, 2
	s_cmp_eq_u64 s[2:3], 0
	v_add_co_ci_u32_e32 v10, vcc_lo, 0, v10, vcc_lo
	v_add_co_u32 v7, vcc_lo, v7, 2
	s_cselect_b32 s25, -1, 0
	v_add_co_ci_u32_e32 v8, vcc_lo, 0, v8, vcc_lo
	s_and_not1_b32 s22, s22, exec_lo
	s_and_b32 s23, s24, exec_lo
	s_or_not1_b32 s25, s25, exec_lo
	s_branch .LBB1146_24
.LBB1146_29:                            ;   in Loop: Header=BB1146_10 Depth=1
	s_mov_b32 s20, 0
	s_branch .LBB1146_9
.LBB1146_30:
                                        ; implicit-def: $vgpr3
	s_cbranch_execnz .LBB1146_34
	s_branch .LBB1146_60
.LBB1146_31:
	s_or_b32 exec_lo, exec_lo, s19
.LBB1146_32:
	s_delay_alu instid0(VALU_DEP_1)
	v_add_nc_u32_e32 v3, v13, v0
	s_or_b32 s13, s13, exec_lo
.LBB1146_33:
	s_or_b32 exec_lo, exec_lo, s17
	s_branch .LBB1146_60
.LBB1146_34:
	v_mov_b32_e32 v13, s12
	s_cmp_ge_u32 s15, s16
	s_cbranch_scc1 .LBB1146_59
; %bb.35:
	s_waitcnt vmcnt(0) lgkmcnt(0)
	v_mul_lo_u32 v5, v2, s8
	v_mul_lo_u32 v6, v1, s9
	v_mad_u64_u32 v[3:4], null, v1, s8, 0
	v_dual_mov_b32 v14, s16 :: v_dual_mov_b32 v13, s12
	v_cmp_gt_i64_e64 s12, s[8:9], 0
	s_lshl_b64 s[2:3], s[8:9], 1
	s_mov_b32 s13, 0
	s_delay_alu instid0(VALU_DEP_3) | instskip(NEXT) | instid1(VALU_DEP_2)
	v_add3_u32 v4, v4, v6, v5
	v_cndmask_b32_e64 v15, 0, 1, s12
	s_delay_alu instid0(VALU_DEP_2) | instskip(SKIP_1) | instid1(VALU_DEP_2)
	v_lshlrev_b64 v[5:6], 1, v[3:4]
	v_mov_b32_e32 v4, 0
	v_add_co_u32 v5, vcc_lo, s10, v5
	s_delay_alu instid0(VALU_DEP_3)
	v_add_co_ci_u32_e32 v6, vcc_lo, s11, v6, vcc_lo
	s_branch .LBB1146_38
.LBB1146_36:                            ;   in Loop: Header=BB1146_38 Depth=1
	s_set_inst_prefetch_distance 0x2
	s_or_b32 exec_lo, exec_lo, s16
.LBB1146_37:                            ;   in Loop: Header=BB1146_38 Depth=1
	s_waitcnt vmcnt(0)
	v_add_nc_u32_e32 v7, 1, v3
	v_cndmask_b32_e64 v14, v3, v14, s15
	s_delay_alu instid0(VALU_DEP_2) | instskip(NEXT) | instid1(VALU_DEP_1)
	v_cndmask_b32_e64 v13, v13, v7, s15
	v_cmp_ge_u32_e32 vcc_lo, v13, v14
	s_or_b32 s13, vcc_lo, s13
	s_delay_alu instid0(SALU_CYCLE_1)
	s_and_not1_b32 exec_lo, exec_lo, s13
	s_cbranch_execz .LBB1146_58
.LBB1146_38:                            ; =>This Loop Header: Depth=1
                                        ;     Child Loop BB1146_42 Depth 2
                                        ;     Child Loop BB1146_53 Depth 2
	v_add_nc_u32_e32 v3, v13, v14
	v_cmp_ne_u32_e64 s0, 1, v15
	s_mov_b32 s1, -1
                                        ; implicit-def: $sgpr15
	s_delay_alu instid0(VALU_DEP_2) | instskip(NEXT) | instid1(VALU_DEP_1)
	v_lshrrev_b32_e32 v3, 1, v3
	v_lshlrev_b64 v[7:8], 3, v[3:4]
	s_delay_alu instid0(VALU_DEP_1) | instskip(NEXT) | instid1(VALU_DEP_2)
	v_add_co_u32 v7, vcc_lo, s4, v7
	v_add_co_ci_u32_e32 v8, vcc_lo, s5, v8, vcc_lo
	s_and_not1_b32 vcc_lo, exec_lo, s14
	global_load_b64 v[7:8], v[7:8], off
	s_cbranch_vccnz .LBB1146_49
; %bb.39:                               ;   in Loop: Header=BB1146_38 Depth=1
	s_and_b32 vcc_lo, exec_lo, s0
	s_cbranch_vccnz .LBB1146_47
; %bb.40:                               ;   in Loop: Header=BB1146_38 Depth=1
	s_waitcnt vmcnt(0)
	v_mad_u64_u32 v[9:10], null, s2, v7, s[10:11]
	v_mul_lo_u32 v11, s2, v8
	v_mul_lo_u32 v12, s3, v7
	s_mov_b32 s16, 0
	s_mov_b64 s[0:1], s[8:9]
                                        ; implicit-def: $sgpr15
                                        ; implicit-def: $sgpr17
                                        ; implicit-def: $sgpr18
	s_delay_alu instid0(VALU_DEP_1)
	v_add3_u32 v10, v12, v10, v11
	v_dual_mov_b32 v12, v6 :: v_dual_mov_b32 v11, v5
	s_set_inst_prefetch_distance 0x1
	s_branch .LBB1146_42
	.p2align	6
.LBB1146_41:                            ;   in Loop: Header=BB1146_42 Depth=2
	s_or_b32 exec_lo, exec_lo, s21
	s_delay_alu instid0(SALU_CYCLE_1) | instskip(NEXT) | instid1(SALU_CYCLE_1)
	s_and_b32 s19, exec_lo, s20
	s_or_b32 s16, s19, s16
	s_and_not1_b32 s15, s15, exec_lo
	s_and_b32 s19, s17, exec_lo
	s_delay_alu instid0(SALU_CYCLE_1)
	s_or_b32 s15, s15, s19
	s_and_not1_b32 exec_lo, exec_lo, s16
	s_cbranch_execz .LBB1146_46
.LBB1146_42:                            ;   Parent Loop BB1146_38 Depth=1
                                        ; =>  This Inner Loop Header: Depth=2
	global_load_u16 v16, v[11:12], off
	global_load_u16 v17, v[9:10], off
	s_mov_b32 s20, -1
	s_mov_b32 s22, 0
	s_mov_b32 s19, -1
	s_mov_b32 s21, exec_lo
	s_waitcnt vmcnt(1)
	v_lshlrev_b32_e32 v16, 16, v16
	s_waitcnt vmcnt(0)
	v_lshlrev_b32_e32 v17, 16, v17
	s_delay_alu instid0(VALU_DEP_1)
	v_cmpx_nlt_f32_e32 v16, v17
; %bb.43:                               ;   in Loop: Header=BB1146_42 Depth=2
	v_cmp_ngt_f32_e32 vcc_lo, v16, v17
	s_and_b32 s18, vcc_lo, s18
	s_and_b32 s22, vcc_lo, exec_lo
	s_or_not1_b32 s19, s18, exec_lo
; %bb.44:                               ;   in Loop: Header=BB1146_42 Depth=2
	s_or_b32 exec_lo, exec_lo, s21
	s_delay_alu instid0(SALU_CYCLE_1) | instskip(SKIP_1) | instid1(SALU_CYCLE_1)
	s_and_not1_b32 s17, s17, exec_lo
	s_and_b32 s18, s19, exec_lo
	s_or_b32 s17, s17, s18
                                        ; implicit-def: $sgpr18
	s_and_saveexec_b32 s21, s22
	s_cbranch_execz .LBB1146_41
; %bb.45:                               ;   in Loop: Header=BB1146_42 Depth=2
	s_add_u32 s0, s0, -1
	s_addc_u32 s1, s1, -1
	v_add_co_u32 v11, vcc_lo, v11, 2
	s_cmp_eq_u64 s[0:1], 0
	v_add_co_ci_u32_e32 v12, vcc_lo, 0, v12, vcc_lo
	v_add_co_u32 v9, vcc_lo, v9, 2
	s_cselect_b32 s20, -1, 0
	v_add_co_ci_u32_e32 v10, vcc_lo, 0, v10, vcc_lo
	s_and_not1_b32 s17, s17, exec_lo
	s_and_b32 s18, s19, exec_lo
	s_or_not1_b32 s20, s20, exec_lo
	s_branch .LBB1146_41
.LBB1146_46:                            ;   in Loop: Header=BB1146_38 Depth=1
	s_set_inst_prefetch_distance 0x2
	s_or_b32 exec_lo, exec_lo, s16
	s_branch .LBB1146_48
.LBB1146_47:                            ;   in Loop: Header=BB1146_38 Depth=1
	s_mov_b32 s15, 0
.LBB1146_48:                            ;   in Loop: Header=BB1146_38 Depth=1
	s_delay_alu instid0(SALU_CYCLE_1)
	s_xor_b32 s15, s15, -1
	s_mov_b32 s1, 0
.LBB1146_49:                            ;   in Loop: Header=BB1146_38 Depth=1
	s_delay_alu instid0(SALU_CYCLE_1)
	s_and_b32 vcc_lo, exec_lo, s1
	s_cbranch_vccz .LBB1146_37
; %bb.50:                               ;   in Loop: Header=BB1146_38 Depth=1
	s_and_not1_b32 vcc_lo, exec_lo, s12
	s_cbranch_vccnz .LBB1146_57
; %bb.51:                               ;   in Loop: Header=BB1146_38 Depth=1
	s_waitcnt vmcnt(0)
	v_mad_u64_u32 v[9:10], null, s2, v7, s[10:11]
	v_mul_lo_u32 v8, s2, v8
	v_mul_lo_u32 v7, s3, v7
	s_mov_b32 s16, 0
	s_mov_b64 s[0:1], s[8:9]
                                        ; implicit-def: $sgpr15
                                        ; implicit-def: $sgpr17
                                        ; implicit-def: $sgpr18
	s_delay_alu instid0(VALU_DEP_1)
	v_add3_u32 v10, v7, v10, v8
	v_dual_mov_b32 v8, v6 :: v_dual_mov_b32 v7, v5
	s_set_inst_prefetch_distance 0x1
	s_branch .LBB1146_53
	.p2align	6
.LBB1146_52:                            ;   in Loop: Header=BB1146_53 Depth=2
	s_or_b32 exec_lo, exec_lo, s21
	s_delay_alu instid0(SALU_CYCLE_1) | instskip(NEXT) | instid1(SALU_CYCLE_1)
	s_and_b32 s19, exec_lo, s20
	s_or_b32 s16, s19, s16
	s_and_not1_b32 s15, s15, exec_lo
	s_and_b32 s19, s17, exec_lo
	s_delay_alu instid0(SALU_CYCLE_1)
	s_or_b32 s15, s15, s19
	s_and_not1_b32 exec_lo, exec_lo, s16
	s_cbranch_execz .LBB1146_36
.LBB1146_53:                            ;   Parent Loop BB1146_38 Depth=1
                                        ; =>  This Inner Loop Header: Depth=2
	global_load_u16 v11, v[9:10], off
	global_load_u16 v12, v[7:8], off
	s_mov_b32 s20, -1
	s_mov_b32 s22, 0
	s_mov_b32 s19, -1
	s_mov_b32 s21, exec_lo
	s_waitcnt vmcnt(1)
	v_lshlrev_b32_e32 v11, 16, v11
	s_waitcnt vmcnt(0)
	v_lshlrev_b32_e32 v12, 16, v12
	s_delay_alu instid0(VALU_DEP_1)
	v_cmpx_nlt_f32_e32 v11, v12
; %bb.54:                               ;   in Loop: Header=BB1146_53 Depth=2
	v_cmp_ngt_f32_e32 vcc_lo, v11, v12
	s_and_b32 s18, vcc_lo, s18
	s_and_b32 s22, vcc_lo, exec_lo
	s_or_not1_b32 s19, s18, exec_lo
; %bb.55:                               ;   in Loop: Header=BB1146_53 Depth=2
	s_or_b32 exec_lo, exec_lo, s21
	s_delay_alu instid0(SALU_CYCLE_1) | instskip(SKIP_1) | instid1(SALU_CYCLE_1)
	s_and_not1_b32 s17, s17, exec_lo
	s_and_b32 s18, s19, exec_lo
	s_or_b32 s17, s17, s18
                                        ; implicit-def: $sgpr18
	s_and_saveexec_b32 s21, s22
	s_cbranch_execz .LBB1146_52
; %bb.56:                               ;   in Loop: Header=BB1146_53 Depth=2
	s_add_u32 s0, s0, -1
	s_addc_u32 s1, s1, -1
	v_add_co_u32 v9, vcc_lo, v9, 2
	s_cmp_eq_u64 s[0:1], 0
	v_add_co_ci_u32_e32 v10, vcc_lo, 0, v10, vcc_lo
	v_add_co_u32 v7, vcc_lo, v7, 2
	s_cselect_b32 s20, -1, 0
	v_add_co_ci_u32_e32 v8, vcc_lo, 0, v8, vcc_lo
	s_and_not1_b32 s17, s17, exec_lo
	s_and_b32 s18, s19, exec_lo
	s_or_not1_b32 s20, s20, exec_lo
	s_branch .LBB1146_52
.LBB1146_57:                            ;   in Loop: Header=BB1146_38 Depth=1
	s_mov_b32 s15, 0
	s_branch .LBB1146_37
.LBB1146_58:
	s_or_b32 exec_lo, exec_lo, s13
.LBB1146_59:
	s_delay_alu instid0(VALU_DEP_1)
	v_add_nc_u32_e32 v3, v13, v0
	s_mov_b32 s13, -1
.LBB1146_60:
	s_delay_alu instid0(SALU_CYCLE_1)
	s_and_b32 exec_lo, exec_lo, s13
	s_cbranch_execz .LBB1146_62
; %bb.61:
	v_mov_b32_e32 v4, 0
	s_delay_alu instid0(VALU_DEP_1) | instskip(NEXT) | instid1(VALU_DEP_1)
	v_lshlrev_b64 v[3:4], 3, v[3:4]
	v_add_co_u32 v3, vcc_lo, s6, v3
	s_delay_alu instid0(VALU_DEP_2)
	v_add_co_ci_u32_e32 v4, vcc_lo, s7, v4, vcc_lo
	s_waitcnt vmcnt(0)
	global_store_b64 v[3:4], v[1:2], off
.LBB1146_62:
	s_nop 0
	s_sendmsg sendmsg(MSG_DEALLOC_VGPRS)
	s_endpgm
	.section	.rodata,"a",@progbits
	.p2align	6, 0x0
	.amdhsa_kernel _ZN7rocprim17ROCPRIM_400000_NS6detail17trampoline_kernelINS0_14default_configENS1_38merge_sort_block_merge_config_selectorIlNS0_10empty_typeEEEZZNS1_27merge_sort_block_merge_implIS3_PlPS5_mZN2at6native12_GLOBAL__N_124unique_dim_cuda_templateIN3c108BFloat16EEESt5tupleIJNSA_6TensorESH_SH_EERKSH_lbbbEUlllE_EE10hipError_tT0_T1_T2_jT3_P12ihipStream_tbPNSt15iterator_traitsISN_E10value_typeEPNST_ISO_E10value_typeEPSP_NS1_7vsmem_tEENKUlT_SN_SO_SP_E_clIS8_S8_S9_S9_EESM_S12_SN_SO_SP_EUlS12_E1_NS1_11comp_targetILNS1_3genE9ELNS1_11target_archE1100ELNS1_3gpuE3ELNS1_3repE0EEENS1_36merge_oddeven_config_static_selectorELNS0_4arch9wavefront6targetE0EEEvSO_
		.amdhsa_group_segment_fixed_size 0
		.amdhsa_private_segment_fixed_size 0
		.amdhsa_kernarg_size 64
		.amdhsa_user_sgpr_count 15
		.amdhsa_user_sgpr_dispatch_ptr 0
		.amdhsa_user_sgpr_queue_ptr 0
		.amdhsa_user_sgpr_kernarg_segment_ptr 1
		.amdhsa_user_sgpr_dispatch_id 0
		.amdhsa_user_sgpr_private_segment_size 0
		.amdhsa_wavefront_size32 1
		.amdhsa_uses_dynamic_stack 0
		.amdhsa_enable_private_segment 0
		.amdhsa_system_sgpr_workgroup_id_x 1
		.amdhsa_system_sgpr_workgroup_id_y 0
		.amdhsa_system_sgpr_workgroup_id_z 0
		.amdhsa_system_sgpr_workgroup_info 0
		.amdhsa_system_vgpr_workitem_id 0
		.amdhsa_next_free_vgpr 18
		.amdhsa_next_free_sgpr 28
		.amdhsa_reserve_vcc 1
		.amdhsa_float_round_mode_32 0
		.amdhsa_float_round_mode_16_64 0
		.amdhsa_float_denorm_mode_32 3
		.amdhsa_float_denorm_mode_16_64 3
		.amdhsa_dx10_clamp 1
		.amdhsa_ieee_mode 1
		.amdhsa_fp16_overflow 0
		.amdhsa_workgroup_processor_mode 1
		.amdhsa_memory_ordered 1
		.amdhsa_forward_progress 0
		.amdhsa_shared_vgpr_count 0
		.amdhsa_exception_fp_ieee_invalid_op 0
		.amdhsa_exception_fp_denorm_src 0
		.amdhsa_exception_fp_ieee_div_zero 0
		.amdhsa_exception_fp_ieee_overflow 0
		.amdhsa_exception_fp_ieee_underflow 0
		.amdhsa_exception_fp_ieee_inexact 0
		.amdhsa_exception_int_div_zero 0
	.end_amdhsa_kernel
	.section	.text._ZN7rocprim17ROCPRIM_400000_NS6detail17trampoline_kernelINS0_14default_configENS1_38merge_sort_block_merge_config_selectorIlNS0_10empty_typeEEEZZNS1_27merge_sort_block_merge_implIS3_PlPS5_mZN2at6native12_GLOBAL__N_124unique_dim_cuda_templateIN3c108BFloat16EEESt5tupleIJNSA_6TensorESH_SH_EERKSH_lbbbEUlllE_EE10hipError_tT0_T1_T2_jT3_P12ihipStream_tbPNSt15iterator_traitsISN_E10value_typeEPNST_ISO_E10value_typeEPSP_NS1_7vsmem_tEENKUlT_SN_SO_SP_E_clIS8_S8_S9_S9_EESM_S12_SN_SO_SP_EUlS12_E1_NS1_11comp_targetILNS1_3genE9ELNS1_11target_archE1100ELNS1_3gpuE3ELNS1_3repE0EEENS1_36merge_oddeven_config_static_selectorELNS0_4arch9wavefront6targetE0EEEvSO_,"axG",@progbits,_ZN7rocprim17ROCPRIM_400000_NS6detail17trampoline_kernelINS0_14default_configENS1_38merge_sort_block_merge_config_selectorIlNS0_10empty_typeEEEZZNS1_27merge_sort_block_merge_implIS3_PlPS5_mZN2at6native12_GLOBAL__N_124unique_dim_cuda_templateIN3c108BFloat16EEESt5tupleIJNSA_6TensorESH_SH_EERKSH_lbbbEUlllE_EE10hipError_tT0_T1_T2_jT3_P12ihipStream_tbPNSt15iterator_traitsISN_E10value_typeEPNST_ISO_E10value_typeEPSP_NS1_7vsmem_tEENKUlT_SN_SO_SP_E_clIS8_S8_S9_S9_EESM_S12_SN_SO_SP_EUlS12_E1_NS1_11comp_targetILNS1_3genE9ELNS1_11target_archE1100ELNS1_3gpuE3ELNS1_3repE0EEENS1_36merge_oddeven_config_static_selectorELNS0_4arch9wavefront6targetE0EEEvSO_,comdat
.Lfunc_end1146:
	.size	_ZN7rocprim17ROCPRIM_400000_NS6detail17trampoline_kernelINS0_14default_configENS1_38merge_sort_block_merge_config_selectorIlNS0_10empty_typeEEEZZNS1_27merge_sort_block_merge_implIS3_PlPS5_mZN2at6native12_GLOBAL__N_124unique_dim_cuda_templateIN3c108BFloat16EEESt5tupleIJNSA_6TensorESH_SH_EERKSH_lbbbEUlllE_EE10hipError_tT0_T1_T2_jT3_P12ihipStream_tbPNSt15iterator_traitsISN_E10value_typeEPNST_ISO_E10value_typeEPSP_NS1_7vsmem_tEENKUlT_SN_SO_SP_E_clIS8_S8_S9_S9_EESM_S12_SN_SO_SP_EUlS12_E1_NS1_11comp_targetILNS1_3genE9ELNS1_11target_archE1100ELNS1_3gpuE3ELNS1_3repE0EEENS1_36merge_oddeven_config_static_selectorELNS0_4arch9wavefront6targetE0EEEvSO_, .Lfunc_end1146-_ZN7rocprim17ROCPRIM_400000_NS6detail17trampoline_kernelINS0_14default_configENS1_38merge_sort_block_merge_config_selectorIlNS0_10empty_typeEEEZZNS1_27merge_sort_block_merge_implIS3_PlPS5_mZN2at6native12_GLOBAL__N_124unique_dim_cuda_templateIN3c108BFloat16EEESt5tupleIJNSA_6TensorESH_SH_EERKSH_lbbbEUlllE_EE10hipError_tT0_T1_T2_jT3_P12ihipStream_tbPNSt15iterator_traitsISN_E10value_typeEPNST_ISO_E10value_typeEPSP_NS1_7vsmem_tEENKUlT_SN_SO_SP_E_clIS8_S8_S9_S9_EESM_S12_SN_SO_SP_EUlS12_E1_NS1_11comp_targetILNS1_3genE9ELNS1_11target_archE1100ELNS1_3gpuE3ELNS1_3repE0EEENS1_36merge_oddeven_config_static_selectorELNS0_4arch9wavefront6targetE0EEEvSO_
                                        ; -- End function
	.section	.AMDGPU.csdata,"",@progbits
; Kernel info:
; codeLenInByte = 2020
; NumSgprs: 30
; NumVgprs: 18
; ScratchSize: 0
; MemoryBound: 0
; FloatMode: 240
; IeeeMode: 1
; LDSByteSize: 0 bytes/workgroup (compile time only)
; SGPRBlocks: 3
; VGPRBlocks: 2
; NumSGPRsForWavesPerEU: 30
; NumVGPRsForWavesPerEU: 18
; Occupancy: 16
; WaveLimiterHint : 0
; COMPUTE_PGM_RSRC2:SCRATCH_EN: 0
; COMPUTE_PGM_RSRC2:USER_SGPR: 15
; COMPUTE_PGM_RSRC2:TRAP_HANDLER: 0
; COMPUTE_PGM_RSRC2:TGID_X_EN: 1
; COMPUTE_PGM_RSRC2:TGID_Y_EN: 0
; COMPUTE_PGM_RSRC2:TGID_Z_EN: 0
; COMPUTE_PGM_RSRC2:TIDIG_COMP_CNT: 0
	.section	.text._ZN7rocprim17ROCPRIM_400000_NS6detail17trampoline_kernelINS0_14default_configENS1_38merge_sort_block_merge_config_selectorIlNS0_10empty_typeEEEZZNS1_27merge_sort_block_merge_implIS3_PlPS5_mZN2at6native12_GLOBAL__N_124unique_dim_cuda_templateIN3c108BFloat16EEESt5tupleIJNSA_6TensorESH_SH_EERKSH_lbbbEUlllE_EE10hipError_tT0_T1_T2_jT3_P12ihipStream_tbPNSt15iterator_traitsISN_E10value_typeEPNST_ISO_E10value_typeEPSP_NS1_7vsmem_tEENKUlT_SN_SO_SP_E_clIS8_S8_S9_S9_EESM_S12_SN_SO_SP_EUlS12_E1_NS1_11comp_targetILNS1_3genE8ELNS1_11target_archE1030ELNS1_3gpuE2ELNS1_3repE0EEENS1_36merge_oddeven_config_static_selectorELNS0_4arch9wavefront6targetE0EEEvSO_,"axG",@progbits,_ZN7rocprim17ROCPRIM_400000_NS6detail17trampoline_kernelINS0_14default_configENS1_38merge_sort_block_merge_config_selectorIlNS0_10empty_typeEEEZZNS1_27merge_sort_block_merge_implIS3_PlPS5_mZN2at6native12_GLOBAL__N_124unique_dim_cuda_templateIN3c108BFloat16EEESt5tupleIJNSA_6TensorESH_SH_EERKSH_lbbbEUlllE_EE10hipError_tT0_T1_T2_jT3_P12ihipStream_tbPNSt15iterator_traitsISN_E10value_typeEPNST_ISO_E10value_typeEPSP_NS1_7vsmem_tEENKUlT_SN_SO_SP_E_clIS8_S8_S9_S9_EESM_S12_SN_SO_SP_EUlS12_E1_NS1_11comp_targetILNS1_3genE8ELNS1_11target_archE1030ELNS1_3gpuE2ELNS1_3repE0EEENS1_36merge_oddeven_config_static_selectorELNS0_4arch9wavefront6targetE0EEEvSO_,comdat
	.globl	_ZN7rocprim17ROCPRIM_400000_NS6detail17trampoline_kernelINS0_14default_configENS1_38merge_sort_block_merge_config_selectorIlNS0_10empty_typeEEEZZNS1_27merge_sort_block_merge_implIS3_PlPS5_mZN2at6native12_GLOBAL__N_124unique_dim_cuda_templateIN3c108BFloat16EEESt5tupleIJNSA_6TensorESH_SH_EERKSH_lbbbEUlllE_EE10hipError_tT0_T1_T2_jT3_P12ihipStream_tbPNSt15iterator_traitsISN_E10value_typeEPNST_ISO_E10value_typeEPSP_NS1_7vsmem_tEENKUlT_SN_SO_SP_E_clIS8_S8_S9_S9_EESM_S12_SN_SO_SP_EUlS12_E1_NS1_11comp_targetILNS1_3genE8ELNS1_11target_archE1030ELNS1_3gpuE2ELNS1_3repE0EEENS1_36merge_oddeven_config_static_selectorELNS0_4arch9wavefront6targetE0EEEvSO_ ; -- Begin function _ZN7rocprim17ROCPRIM_400000_NS6detail17trampoline_kernelINS0_14default_configENS1_38merge_sort_block_merge_config_selectorIlNS0_10empty_typeEEEZZNS1_27merge_sort_block_merge_implIS3_PlPS5_mZN2at6native12_GLOBAL__N_124unique_dim_cuda_templateIN3c108BFloat16EEESt5tupleIJNSA_6TensorESH_SH_EERKSH_lbbbEUlllE_EE10hipError_tT0_T1_T2_jT3_P12ihipStream_tbPNSt15iterator_traitsISN_E10value_typeEPNST_ISO_E10value_typeEPSP_NS1_7vsmem_tEENKUlT_SN_SO_SP_E_clIS8_S8_S9_S9_EESM_S12_SN_SO_SP_EUlS12_E1_NS1_11comp_targetILNS1_3genE8ELNS1_11target_archE1030ELNS1_3gpuE2ELNS1_3repE0EEENS1_36merge_oddeven_config_static_selectorELNS0_4arch9wavefront6targetE0EEEvSO_
	.p2align	8
	.type	_ZN7rocprim17ROCPRIM_400000_NS6detail17trampoline_kernelINS0_14default_configENS1_38merge_sort_block_merge_config_selectorIlNS0_10empty_typeEEEZZNS1_27merge_sort_block_merge_implIS3_PlPS5_mZN2at6native12_GLOBAL__N_124unique_dim_cuda_templateIN3c108BFloat16EEESt5tupleIJNSA_6TensorESH_SH_EERKSH_lbbbEUlllE_EE10hipError_tT0_T1_T2_jT3_P12ihipStream_tbPNSt15iterator_traitsISN_E10value_typeEPNST_ISO_E10value_typeEPSP_NS1_7vsmem_tEENKUlT_SN_SO_SP_E_clIS8_S8_S9_S9_EESM_S12_SN_SO_SP_EUlS12_E1_NS1_11comp_targetILNS1_3genE8ELNS1_11target_archE1030ELNS1_3gpuE2ELNS1_3repE0EEENS1_36merge_oddeven_config_static_selectorELNS0_4arch9wavefront6targetE0EEEvSO_,@function
_ZN7rocprim17ROCPRIM_400000_NS6detail17trampoline_kernelINS0_14default_configENS1_38merge_sort_block_merge_config_selectorIlNS0_10empty_typeEEEZZNS1_27merge_sort_block_merge_implIS3_PlPS5_mZN2at6native12_GLOBAL__N_124unique_dim_cuda_templateIN3c108BFloat16EEESt5tupleIJNSA_6TensorESH_SH_EERKSH_lbbbEUlllE_EE10hipError_tT0_T1_T2_jT3_P12ihipStream_tbPNSt15iterator_traitsISN_E10value_typeEPNST_ISO_E10value_typeEPSP_NS1_7vsmem_tEENKUlT_SN_SO_SP_E_clIS8_S8_S9_S9_EESM_S12_SN_SO_SP_EUlS12_E1_NS1_11comp_targetILNS1_3genE8ELNS1_11target_archE1030ELNS1_3gpuE2ELNS1_3repE0EEENS1_36merge_oddeven_config_static_selectorELNS0_4arch9wavefront6targetE0EEEvSO_: ; @_ZN7rocprim17ROCPRIM_400000_NS6detail17trampoline_kernelINS0_14default_configENS1_38merge_sort_block_merge_config_selectorIlNS0_10empty_typeEEEZZNS1_27merge_sort_block_merge_implIS3_PlPS5_mZN2at6native12_GLOBAL__N_124unique_dim_cuda_templateIN3c108BFloat16EEESt5tupleIJNSA_6TensorESH_SH_EERKSH_lbbbEUlllE_EE10hipError_tT0_T1_T2_jT3_P12ihipStream_tbPNSt15iterator_traitsISN_E10value_typeEPNST_ISO_E10value_typeEPSP_NS1_7vsmem_tEENKUlT_SN_SO_SP_E_clIS8_S8_S9_S9_EESM_S12_SN_SO_SP_EUlS12_E1_NS1_11comp_targetILNS1_3genE8ELNS1_11target_archE1030ELNS1_3gpuE2ELNS1_3repE0EEENS1_36merge_oddeven_config_static_selectorELNS0_4arch9wavefront6targetE0EEEvSO_
; %bb.0:
	.section	.rodata,"a",@progbits
	.p2align	6, 0x0
	.amdhsa_kernel _ZN7rocprim17ROCPRIM_400000_NS6detail17trampoline_kernelINS0_14default_configENS1_38merge_sort_block_merge_config_selectorIlNS0_10empty_typeEEEZZNS1_27merge_sort_block_merge_implIS3_PlPS5_mZN2at6native12_GLOBAL__N_124unique_dim_cuda_templateIN3c108BFloat16EEESt5tupleIJNSA_6TensorESH_SH_EERKSH_lbbbEUlllE_EE10hipError_tT0_T1_T2_jT3_P12ihipStream_tbPNSt15iterator_traitsISN_E10value_typeEPNST_ISO_E10value_typeEPSP_NS1_7vsmem_tEENKUlT_SN_SO_SP_E_clIS8_S8_S9_S9_EESM_S12_SN_SO_SP_EUlS12_E1_NS1_11comp_targetILNS1_3genE8ELNS1_11target_archE1030ELNS1_3gpuE2ELNS1_3repE0EEENS1_36merge_oddeven_config_static_selectorELNS0_4arch9wavefront6targetE0EEEvSO_
		.amdhsa_group_segment_fixed_size 0
		.amdhsa_private_segment_fixed_size 0
		.amdhsa_kernarg_size 64
		.amdhsa_user_sgpr_count 15
		.amdhsa_user_sgpr_dispatch_ptr 0
		.amdhsa_user_sgpr_queue_ptr 0
		.amdhsa_user_sgpr_kernarg_segment_ptr 1
		.amdhsa_user_sgpr_dispatch_id 0
		.amdhsa_user_sgpr_private_segment_size 0
		.amdhsa_wavefront_size32 1
		.amdhsa_uses_dynamic_stack 0
		.amdhsa_enable_private_segment 0
		.amdhsa_system_sgpr_workgroup_id_x 1
		.amdhsa_system_sgpr_workgroup_id_y 0
		.amdhsa_system_sgpr_workgroup_id_z 0
		.amdhsa_system_sgpr_workgroup_info 0
		.amdhsa_system_vgpr_workitem_id 0
		.amdhsa_next_free_vgpr 1
		.amdhsa_next_free_sgpr 1
		.amdhsa_reserve_vcc 0
		.amdhsa_float_round_mode_32 0
		.amdhsa_float_round_mode_16_64 0
		.amdhsa_float_denorm_mode_32 3
		.amdhsa_float_denorm_mode_16_64 3
		.amdhsa_dx10_clamp 1
		.amdhsa_ieee_mode 1
		.amdhsa_fp16_overflow 0
		.amdhsa_workgroup_processor_mode 1
		.amdhsa_memory_ordered 1
		.amdhsa_forward_progress 0
		.amdhsa_shared_vgpr_count 0
		.amdhsa_exception_fp_ieee_invalid_op 0
		.amdhsa_exception_fp_denorm_src 0
		.amdhsa_exception_fp_ieee_div_zero 0
		.amdhsa_exception_fp_ieee_overflow 0
		.amdhsa_exception_fp_ieee_underflow 0
		.amdhsa_exception_fp_ieee_inexact 0
		.amdhsa_exception_int_div_zero 0
	.end_amdhsa_kernel
	.section	.text._ZN7rocprim17ROCPRIM_400000_NS6detail17trampoline_kernelINS0_14default_configENS1_38merge_sort_block_merge_config_selectorIlNS0_10empty_typeEEEZZNS1_27merge_sort_block_merge_implIS3_PlPS5_mZN2at6native12_GLOBAL__N_124unique_dim_cuda_templateIN3c108BFloat16EEESt5tupleIJNSA_6TensorESH_SH_EERKSH_lbbbEUlllE_EE10hipError_tT0_T1_T2_jT3_P12ihipStream_tbPNSt15iterator_traitsISN_E10value_typeEPNST_ISO_E10value_typeEPSP_NS1_7vsmem_tEENKUlT_SN_SO_SP_E_clIS8_S8_S9_S9_EESM_S12_SN_SO_SP_EUlS12_E1_NS1_11comp_targetILNS1_3genE8ELNS1_11target_archE1030ELNS1_3gpuE2ELNS1_3repE0EEENS1_36merge_oddeven_config_static_selectorELNS0_4arch9wavefront6targetE0EEEvSO_,"axG",@progbits,_ZN7rocprim17ROCPRIM_400000_NS6detail17trampoline_kernelINS0_14default_configENS1_38merge_sort_block_merge_config_selectorIlNS0_10empty_typeEEEZZNS1_27merge_sort_block_merge_implIS3_PlPS5_mZN2at6native12_GLOBAL__N_124unique_dim_cuda_templateIN3c108BFloat16EEESt5tupleIJNSA_6TensorESH_SH_EERKSH_lbbbEUlllE_EE10hipError_tT0_T1_T2_jT3_P12ihipStream_tbPNSt15iterator_traitsISN_E10value_typeEPNST_ISO_E10value_typeEPSP_NS1_7vsmem_tEENKUlT_SN_SO_SP_E_clIS8_S8_S9_S9_EESM_S12_SN_SO_SP_EUlS12_E1_NS1_11comp_targetILNS1_3genE8ELNS1_11target_archE1030ELNS1_3gpuE2ELNS1_3repE0EEENS1_36merge_oddeven_config_static_selectorELNS0_4arch9wavefront6targetE0EEEvSO_,comdat
.Lfunc_end1147:
	.size	_ZN7rocprim17ROCPRIM_400000_NS6detail17trampoline_kernelINS0_14default_configENS1_38merge_sort_block_merge_config_selectorIlNS0_10empty_typeEEEZZNS1_27merge_sort_block_merge_implIS3_PlPS5_mZN2at6native12_GLOBAL__N_124unique_dim_cuda_templateIN3c108BFloat16EEESt5tupleIJNSA_6TensorESH_SH_EERKSH_lbbbEUlllE_EE10hipError_tT0_T1_T2_jT3_P12ihipStream_tbPNSt15iterator_traitsISN_E10value_typeEPNST_ISO_E10value_typeEPSP_NS1_7vsmem_tEENKUlT_SN_SO_SP_E_clIS8_S8_S9_S9_EESM_S12_SN_SO_SP_EUlS12_E1_NS1_11comp_targetILNS1_3genE8ELNS1_11target_archE1030ELNS1_3gpuE2ELNS1_3repE0EEENS1_36merge_oddeven_config_static_selectorELNS0_4arch9wavefront6targetE0EEEvSO_, .Lfunc_end1147-_ZN7rocprim17ROCPRIM_400000_NS6detail17trampoline_kernelINS0_14default_configENS1_38merge_sort_block_merge_config_selectorIlNS0_10empty_typeEEEZZNS1_27merge_sort_block_merge_implIS3_PlPS5_mZN2at6native12_GLOBAL__N_124unique_dim_cuda_templateIN3c108BFloat16EEESt5tupleIJNSA_6TensorESH_SH_EERKSH_lbbbEUlllE_EE10hipError_tT0_T1_T2_jT3_P12ihipStream_tbPNSt15iterator_traitsISN_E10value_typeEPNST_ISO_E10value_typeEPSP_NS1_7vsmem_tEENKUlT_SN_SO_SP_E_clIS8_S8_S9_S9_EESM_S12_SN_SO_SP_EUlS12_E1_NS1_11comp_targetILNS1_3genE8ELNS1_11target_archE1030ELNS1_3gpuE2ELNS1_3repE0EEENS1_36merge_oddeven_config_static_selectorELNS0_4arch9wavefront6targetE0EEEvSO_
                                        ; -- End function
	.section	.AMDGPU.csdata,"",@progbits
; Kernel info:
; codeLenInByte = 0
; NumSgprs: 0
; NumVgprs: 0
; ScratchSize: 0
; MemoryBound: 0
; FloatMode: 240
; IeeeMode: 1
; LDSByteSize: 0 bytes/workgroup (compile time only)
; SGPRBlocks: 0
; VGPRBlocks: 0
; NumSGPRsForWavesPerEU: 1
; NumVGPRsForWavesPerEU: 1
; Occupancy: 16
; WaveLimiterHint : 0
; COMPUTE_PGM_RSRC2:SCRATCH_EN: 0
; COMPUTE_PGM_RSRC2:USER_SGPR: 15
; COMPUTE_PGM_RSRC2:TRAP_HANDLER: 0
; COMPUTE_PGM_RSRC2:TGID_X_EN: 1
; COMPUTE_PGM_RSRC2:TGID_Y_EN: 0
; COMPUTE_PGM_RSRC2:TGID_Z_EN: 0
; COMPUTE_PGM_RSRC2:TIDIG_COMP_CNT: 0
	.section	.text._ZN7rocprim17ROCPRIM_400000_NS6detail17trampoline_kernelINS0_14default_configENS1_35adjacent_difference_config_selectorILb0ElEEZNS1_24adjacent_difference_implIS3_Lb0ELb0EPlS7_ZN2at6native12_GLOBAL__N_124unique_dim_cuda_templateIN3c108BFloat16EEESt5tupleIJNS8_6TensorESF_SF_EERKSF_lbbbEUlllE1_EE10hipError_tPvRmT2_T3_mT4_P12ihipStream_tbEUlT_E_NS1_11comp_targetILNS1_3genE0ELNS1_11target_archE4294967295ELNS1_3gpuE0ELNS1_3repE0EEENS1_30default_config_static_selectorELNS0_4arch9wavefront6targetE0EEEvT1_,"axG",@progbits,_ZN7rocprim17ROCPRIM_400000_NS6detail17trampoline_kernelINS0_14default_configENS1_35adjacent_difference_config_selectorILb0ElEEZNS1_24adjacent_difference_implIS3_Lb0ELb0EPlS7_ZN2at6native12_GLOBAL__N_124unique_dim_cuda_templateIN3c108BFloat16EEESt5tupleIJNS8_6TensorESF_SF_EERKSF_lbbbEUlllE1_EE10hipError_tPvRmT2_T3_mT4_P12ihipStream_tbEUlT_E_NS1_11comp_targetILNS1_3genE0ELNS1_11target_archE4294967295ELNS1_3gpuE0ELNS1_3repE0EEENS1_30default_config_static_selectorELNS0_4arch9wavefront6targetE0EEEvT1_,comdat
	.globl	_ZN7rocprim17ROCPRIM_400000_NS6detail17trampoline_kernelINS0_14default_configENS1_35adjacent_difference_config_selectorILb0ElEEZNS1_24adjacent_difference_implIS3_Lb0ELb0EPlS7_ZN2at6native12_GLOBAL__N_124unique_dim_cuda_templateIN3c108BFloat16EEESt5tupleIJNS8_6TensorESF_SF_EERKSF_lbbbEUlllE1_EE10hipError_tPvRmT2_T3_mT4_P12ihipStream_tbEUlT_E_NS1_11comp_targetILNS1_3genE0ELNS1_11target_archE4294967295ELNS1_3gpuE0ELNS1_3repE0EEENS1_30default_config_static_selectorELNS0_4arch9wavefront6targetE0EEEvT1_ ; -- Begin function _ZN7rocprim17ROCPRIM_400000_NS6detail17trampoline_kernelINS0_14default_configENS1_35adjacent_difference_config_selectorILb0ElEEZNS1_24adjacent_difference_implIS3_Lb0ELb0EPlS7_ZN2at6native12_GLOBAL__N_124unique_dim_cuda_templateIN3c108BFloat16EEESt5tupleIJNS8_6TensorESF_SF_EERKSF_lbbbEUlllE1_EE10hipError_tPvRmT2_T3_mT4_P12ihipStream_tbEUlT_E_NS1_11comp_targetILNS1_3genE0ELNS1_11target_archE4294967295ELNS1_3gpuE0ELNS1_3repE0EEENS1_30default_config_static_selectorELNS0_4arch9wavefront6targetE0EEEvT1_
	.p2align	8
	.type	_ZN7rocprim17ROCPRIM_400000_NS6detail17trampoline_kernelINS0_14default_configENS1_35adjacent_difference_config_selectorILb0ElEEZNS1_24adjacent_difference_implIS3_Lb0ELb0EPlS7_ZN2at6native12_GLOBAL__N_124unique_dim_cuda_templateIN3c108BFloat16EEESt5tupleIJNS8_6TensorESF_SF_EERKSF_lbbbEUlllE1_EE10hipError_tPvRmT2_T3_mT4_P12ihipStream_tbEUlT_E_NS1_11comp_targetILNS1_3genE0ELNS1_11target_archE4294967295ELNS1_3gpuE0ELNS1_3repE0EEENS1_30default_config_static_selectorELNS0_4arch9wavefront6targetE0EEEvT1_,@function
_ZN7rocprim17ROCPRIM_400000_NS6detail17trampoline_kernelINS0_14default_configENS1_35adjacent_difference_config_selectorILb0ElEEZNS1_24adjacent_difference_implIS3_Lb0ELb0EPlS7_ZN2at6native12_GLOBAL__N_124unique_dim_cuda_templateIN3c108BFloat16EEESt5tupleIJNS8_6TensorESF_SF_EERKSF_lbbbEUlllE1_EE10hipError_tPvRmT2_T3_mT4_P12ihipStream_tbEUlT_E_NS1_11comp_targetILNS1_3genE0ELNS1_11target_archE4294967295ELNS1_3gpuE0ELNS1_3repE0EEENS1_30default_config_static_selectorELNS0_4arch9wavefront6targetE0EEEvT1_: ; @_ZN7rocprim17ROCPRIM_400000_NS6detail17trampoline_kernelINS0_14default_configENS1_35adjacent_difference_config_selectorILb0ElEEZNS1_24adjacent_difference_implIS3_Lb0ELb0EPlS7_ZN2at6native12_GLOBAL__N_124unique_dim_cuda_templateIN3c108BFloat16EEESt5tupleIJNS8_6TensorESF_SF_EERKSF_lbbbEUlllE1_EE10hipError_tPvRmT2_T3_mT4_P12ihipStream_tbEUlT_E_NS1_11comp_targetILNS1_3genE0ELNS1_11target_archE4294967295ELNS1_3gpuE0ELNS1_3repE0EEENS1_30default_config_static_selectorELNS0_4arch9wavefront6targetE0EEEvT1_
; %bb.0:
	.section	.rodata,"a",@progbits
	.p2align	6, 0x0
	.amdhsa_kernel _ZN7rocprim17ROCPRIM_400000_NS6detail17trampoline_kernelINS0_14default_configENS1_35adjacent_difference_config_selectorILb0ElEEZNS1_24adjacent_difference_implIS3_Lb0ELb0EPlS7_ZN2at6native12_GLOBAL__N_124unique_dim_cuda_templateIN3c108BFloat16EEESt5tupleIJNS8_6TensorESF_SF_EERKSF_lbbbEUlllE1_EE10hipError_tPvRmT2_T3_mT4_P12ihipStream_tbEUlT_E_NS1_11comp_targetILNS1_3genE0ELNS1_11target_archE4294967295ELNS1_3gpuE0ELNS1_3repE0EEENS1_30default_config_static_selectorELNS0_4arch9wavefront6targetE0EEEvT1_
		.amdhsa_group_segment_fixed_size 0
		.amdhsa_private_segment_fixed_size 0
		.amdhsa_kernarg_size 64
		.amdhsa_user_sgpr_count 15
		.amdhsa_user_sgpr_dispatch_ptr 0
		.amdhsa_user_sgpr_queue_ptr 0
		.amdhsa_user_sgpr_kernarg_segment_ptr 1
		.amdhsa_user_sgpr_dispatch_id 0
		.amdhsa_user_sgpr_private_segment_size 0
		.amdhsa_wavefront_size32 1
		.amdhsa_uses_dynamic_stack 0
		.amdhsa_enable_private_segment 0
		.amdhsa_system_sgpr_workgroup_id_x 1
		.amdhsa_system_sgpr_workgroup_id_y 0
		.amdhsa_system_sgpr_workgroup_id_z 0
		.amdhsa_system_sgpr_workgroup_info 0
		.amdhsa_system_vgpr_workitem_id 0
		.amdhsa_next_free_vgpr 1
		.amdhsa_next_free_sgpr 1
		.amdhsa_reserve_vcc 0
		.amdhsa_float_round_mode_32 0
		.amdhsa_float_round_mode_16_64 0
		.amdhsa_float_denorm_mode_32 3
		.amdhsa_float_denorm_mode_16_64 3
		.amdhsa_dx10_clamp 1
		.amdhsa_ieee_mode 1
		.amdhsa_fp16_overflow 0
		.amdhsa_workgroup_processor_mode 1
		.amdhsa_memory_ordered 1
		.amdhsa_forward_progress 0
		.amdhsa_shared_vgpr_count 0
		.amdhsa_exception_fp_ieee_invalid_op 0
		.amdhsa_exception_fp_denorm_src 0
		.amdhsa_exception_fp_ieee_div_zero 0
		.amdhsa_exception_fp_ieee_overflow 0
		.amdhsa_exception_fp_ieee_underflow 0
		.amdhsa_exception_fp_ieee_inexact 0
		.amdhsa_exception_int_div_zero 0
	.end_amdhsa_kernel
	.section	.text._ZN7rocprim17ROCPRIM_400000_NS6detail17trampoline_kernelINS0_14default_configENS1_35adjacent_difference_config_selectorILb0ElEEZNS1_24adjacent_difference_implIS3_Lb0ELb0EPlS7_ZN2at6native12_GLOBAL__N_124unique_dim_cuda_templateIN3c108BFloat16EEESt5tupleIJNS8_6TensorESF_SF_EERKSF_lbbbEUlllE1_EE10hipError_tPvRmT2_T3_mT4_P12ihipStream_tbEUlT_E_NS1_11comp_targetILNS1_3genE0ELNS1_11target_archE4294967295ELNS1_3gpuE0ELNS1_3repE0EEENS1_30default_config_static_selectorELNS0_4arch9wavefront6targetE0EEEvT1_,"axG",@progbits,_ZN7rocprim17ROCPRIM_400000_NS6detail17trampoline_kernelINS0_14default_configENS1_35adjacent_difference_config_selectorILb0ElEEZNS1_24adjacent_difference_implIS3_Lb0ELb0EPlS7_ZN2at6native12_GLOBAL__N_124unique_dim_cuda_templateIN3c108BFloat16EEESt5tupleIJNS8_6TensorESF_SF_EERKSF_lbbbEUlllE1_EE10hipError_tPvRmT2_T3_mT4_P12ihipStream_tbEUlT_E_NS1_11comp_targetILNS1_3genE0ELNS1_11target_archE4294967295ELNS1_3gpuE0ELNS1_3repE0EEENS1_30default_config_static_selectorELNS0_4arch9wavefront6targetE0EEEvT1_,comdat
.Lfunc_end1148:
	.size	_ZN7rocprim17ROCPRIM_400000_NS6detail17trampoline_kernelINS0_14default_configENS1_35adjacent_difference_config_selectorILb0ElEEZNS1_24adjacent_difference_implIS3_Lb0ELb0EPlS7_ZN2at6native12_GLOBAL__N_124unique_dim_cuda_templateIN3c108BFloat16EEESt5tupleIJNS8_6TensorESF_SF_EERKSF_lbbbEUlllE1_EE10hipError_tPvRmT2_T3_mT4_P12ihipStream_tbEUlT_E_NS1_11comp_targetILNS1_3genE0ELNS1_11target_archE4294967295ELNS1_3gpuE0ELNS1_3repE0EEENS1_30default_config_static_selectorELNS0_4arch9wavefront6targetE0EEEvT1_, .Lfunc_end1148-_ZN7rocprim17ROCPRIM_400000_NS6detail17trampoline_kernelINS0_14default_configENS1_35adjacent_difference_config_selectorILb0ElEEZNS1_24adjacent_difference_implIS3_Lb0ELb0EPlS7_ZN2at6native12_GLOBAL__N_124unique_dim_cuda_templateIN3c108BFloat16EEESt5tupleIJNS8_6TensorESF_SF_EERKSF_lbbbEUlllE1_EE10hipError_tPvRmT2_T3_mT4_P12ihipStream_tbEUlT_E_NS1_11comp_targetILNS1_3genE0ELNS1_11target_archE4294967295ELNS1_3gpuE0ELNS1_3repE0EEENS1_30default_config_static_selectorELNS0_4arch9wavefront6targetE0EEEvT1_
                                        ; -- End function
	.section	.AMDGPU.csdata,"",@progbits
; Kernel info:
; codeLenInByte = 0
; NumSgprs: 0
; NumVgprs: 0
; ScratchSize: 0
; MemoryBound: 0
; FloatMode: 240
; IeeeMode: 1
; LDSByteSize: 0 bytes/workgroup (compile time only)
; SGPRBlocks: 0
; VGPRBlocks: 0
; NumSGPRsForWavesPerEU: 1
; NumVGPRsForWavesPerEU: 1
; Occupancy: 16
; WaveLimiterHint : 0
; COMPUTE_PGM_RSRC2:SCRATCH_EN: 0
; COMPUTE_PGM_RSRC2:USER_SGPR: 15
; COMPUTE_PGM_RSRC2:TRAP_HANDLER: 0
; COMPUTE_PGM_RSRC2:TGID_X_EN: 1
; COMPUTE_PGM_RSRC2:TGID_Y_EN: 0
; COMPUTE_PGM_RSRC2:TGID_Z_EN: 0
; COMPUTE_PGM_RSRC2:TIDIG_COMP_CNT: 0
	.section	.text._ZN7rocprim17ROCPRIM_400000_NS6detail17trampoline_kernelINS0_14default_configENS1_35adjacent_difference_config_selectorILb0ElEEZNS1_24adjacent_difference_implIS3_Lb0ELb0EPlS7_ZN2at6native12_GLOBAL__N_124unique_dim_cuda_templateIN3c108BFloat16EEESt5tupleIJNS8_6TensorESF_SF_EERKSF_lbbbEUlllE1_EE10hipError_tPvRmT2_T3_mT4_P12ihipStream_tbEUlT_E_NS1_11comp_targetILNS1_3genE10ELNS1_11target_archE1201ELNS1_3gpuE5ELNS1_3repE0EEENS1_30default_config_static_selectorELNS0_4arch9wavefront6targetE0EEEvT1_,"axG",@progbits,_ZN7rocprim17ROCPRIM_400000_NS6detail17trampoline_kernelINS0_14default_configENS1_35adjacent_difference_config_selectorILb0ElEEZNS1_24adjacent_difference_implIS3_Lb0ELb0EPlS7_ZN2at6native12_GLOBAL__N_124unique_dim_cuda_templateIN3c108BFloat16EEESt5tupleIJNS8_6TensorESF_SF_EERKSF_lbbbEUlllE1_EE10hipError_tPvRmT2_T3_mT4_P12ihipStream_tbEUlT_E_NS1_11comp_targetILNS1_3genE10ELNS1_11target_archE1201ELNS1_3gpuE5ELNS1_3repE0EEENS1_30default_config_static_selectorELNS0_4arch9wavefront6targetE0EEEvT1_,comdat
	.globl	_ZN7rocprim17ROCPRIM_400000_NS6detail17trampoline_kernelINS0_14default_configENS1_35adjacent_difference_config_selectorILb0ElEEZNS1_24adjacent_difference_implIS3_Lb0ELb0EPlS7_ZN2at6native12_GLOBAL__N_124unique_dim_cuda_templateIN3c108BFloat16EEESt5tupleIJNS8_6TensorESF_SF_EERKSF_lbbbEUlllE1_EE10hipError_tPvRmT2_T3_mT4_P12ihipStream_tbEUlT_E_NS1_11comp_targetILNS1_3genE10ELNS1_11target_archE1201ELNS1_3gpuE5ELNS1_3repE0EEENS1_30default_config_static_selectorELNS0_4arch9wavefront6targetE0EEEvT1_ ; -- Begin function _ZN7rocprim17ROCPRIM_400000_NS6detail17trampoline_kernelINS0_14default_configENS1_35adjacent_difference_config_selectorILb0ElEEZNS1_24adjacent_difference_implIS3_Lb0ELb0EPlS7_ZN2at6native12_GLOBAL__N_124unique_dim_cuda_templateIN3c108BFloat16EEESt5tupleIJNS8_6TensorESF_SF_EERKSF_lbbbEUlllE1_EE10hipError_tPvRmT2_T3_mT4_P12ihipStream_tbEUlT_E_NS1_11comp_targetILNS1_3genE10ELNS1_11target_archE1201ELNS1_3gpuE5ELNS1_3repE0EEENS1_30default_config_static_selectorELNS0_4arch9wavefront6targetE0EEEvT1_
	.p2align	8
	.type	_ZN7rocprim17ROCPRIM_400000_NS6detail17trampoline_kernelINS0_14default_configENS1_35adjacent_difference_config_selectorILb0ElEEZNS1_24adjacent_difference_implIS3_Lb0ELb0EPlS7_ZN2at6native12_GLOBAL__N_124unique_dim_cuda_templateIN3c108BFloat16EEESt5tupleIJNS8_6TensorESF_SF_EERKSF_lbbbEUlllE1_EE10hipError_tPvRmT2_T3_mT4_P12ihipStream_tbEUlT_E_NS1_11comp_targetILNS1_3genE10ELNS1_11target_archE1201ELNS1_3gpuE5ELNS1_3repE0EEENS1_30default_config_static_selectorELNS0_4arch9wavefront6targetE0EEEvT1_,@function
_ZN7rocprim17ROCPRIM_400000_NS6detail17trampoline_kernelINS0_14default_configENS1_35adjacent_difference_config_selectorILb0ElEEZNS1_24adjacent_difference_implIS3_Lb0ELb0EPlS7_ZN2at6native12_GLOBAL__N_124unique_dim_cuda_templateIN3c108BFloat16EEESt5tupleIJNS8_6TensorESF_SF_EERKSF_lbbbEUlllE1_EE10hipError_tPvRmT2_T3_mT4_P12ihipStream_tbEUlT_E_NS1_11comp_targetILNS1_3genE10ELNS1_11target_archE1201ELNS1_3gpuE5ELNS1_3repE0EEENS1_30default_config_static_selectorELNS0_4arch9wavefront6targetE0EEEvT1_: ; @_ZN7rocprim17ROCPRIM_400000_NS6detail17trampoline_kernelINS0_14default_configENS1_35adjacent_difference_config_selectorILb0ElEEZNS1_24adjacent_difference_implIS3_Lb0ELb0EPlS7_ZN2at6native12_GLOBAL__N_124unique_dim_cuda_templateIN3c108BFloat16EEESt5tupleIJNS8_6TensorESF_SF_EERKSF_lbbbEUlllE1_EE10hipError_tPvRmT2_T3_mT4_P12ihipStream_tbEUlT_E_NS1_11comp_targetILNS1_3genE10ELNS1_11target_archE1201ELNS1_3gpuE5ELNS1_3repE0EEENS1_30default_config_static_selectorELNS0_4arch9wavefront6targetE0EEEvT1_
; %bb.0:
	.section	.rodata,"a",@progbits
	.p2align	6, 0x0
	.amdhsa_kernel _ZN7rocprim17ROCPRIM_400000_NS6detail17trampoline_kernelINS0_14default_configENS1_35adjacent_difference_config_selectorILb0ElEEZNS1_24adjacent_difference_implIS3_Lb0ELb0EPlS7_ZN2at6native12_GLOBAL__N_124unique_dim_cuda_templateIN3c108BFloat16EEESt5tupleIJNS8_6TensorESF_SF_EERKSF_lbbbEUlllE1_EE10hipError_tPvRmT2_T3_mT4_P12ihipStream_tbEUlT_E_NS1_11comp_targetILNS1_3genE10ELNS1_11target_archE1201ELNS1_3gpuE5ELNS1_3repE0EEENS1_30default_config_static_selectorELNS0_4arch9wavefront6targetE0EEEvT1_
		.amdhsa_group_segment_fixed_size 0
		.amdhsa_private_segment_fixed_size 0
		.amdhsa_kernarg_size 64
		.amdhsa_user_sgpr_count 15
		.amdhsa_user_sgpr_dispatch_ptr 0
		.amdhsa_user_sgpr_queue_ptr 0
		.amdhsa_user_sgpr_kernarg_segment_ptr 1
		.amdhsa_user_sgpr_dispatch_id 0
		.amdhsa_user_sgpr_private_segment_size 0
		.amdhsa_wavefront_size32 1
		.amdhsa_uses_dynamic_stack 0
		.amdhsa_enable_private_segment 0
		.amdhsa_system_sgpr_workgroup_id_x 1
		.amdhsa_system_sgpr_workgroup_id_y 0
		.amdhsa_system_sgpr_workgroup_id_z 0
		.amdhsa_system_sgpr_workgroup_info 0
		.amdhsa_system_vgpr_workitem_id 0
		.amdhsa_next_free_vgpr 1
		.amdhsa_next_free_sgpr 1
		.amdhsa_reserve_vcc 0
		.amdhsa_float_round_mode_32 0
		.amdhsa_float_round_mode_16_64 0
		.amdhsa_float_denorm_mode_32 3
		.amdhsa_float_denorm_mode_16_64 3
		.amdhsa_dx10_clamp 1
		.amdhsa_ieee_mode 1
		.amdhsa_fp16_overflow 0
		.amdhsa_workgroup_processor_mode 1
		.amdhsa_memory_ordered 1
		.amdhsa_forward_progress 0
		.amdhsa_shared_vgpr_count 0
		.amdhsa_exception_fp_ieee_invalid_op 0
		.amdhsa_exception_fp_denorm_src 0
		.amdhsa_exception_fp_ieee_div_zero 0
		.amdhsa_exception_fp_ieee_overflow 0
		.amdhsa_exception_fp_ieee_underflow 0
		.amdhsa_exception_fp_ieee_inexact 0
		.amdhsa_exception_int_div_zero 0
	.end_amdhsa_kernel
	.section	.text._ZN7rocprim17ROCPRIM_400000_NS6detail17trampoline_kernelINS0_14default_configENS1_35adjacent_difference_config_selectorILb0ElEEZNS1_24adjacent_difference_implIS3_Lb0ELb0EPlS7_ZN2at6native12_GLOBAL__N_124unique_dim_cuda_templateIN3c108BFloat16EEESt5tupleIJNS8_6TensorESF_SF_EERKSF_lbbbEUlllE1_EE10hipError_tPvRmT2_T3_mT4_P12ihipStream_tbEUlT_E_NS1_11comp_targetILNS1_3genE10ELNS1_11target_archE1201ELNS1_3gpuE5ELNS1_3repE0EEENS1_30default_config_static_selectorELNS0_4arch9wavefront6targetE0EEEvT1_,"axG",@progbits,_ZN7rocprim17ROCPRIM_400000_NS6detail17trampoline_kernelINS0_14default_configENS1_35adjacent_difference_config_selectorILb0ElEEZNS1_24adjacent_difference_implIS3_Lb0ELb0EPlS7_ZN2at6native12_GLOBAL__N_124unique_dim_cuda_templateIN3c108BFloat16EEESt5tupleIJNS8_6TensorESF_SF_EERKSF_lbbbEUlllE1_EE10hipError_tPvRmT2_T3_mT4_P12ihipStream_tbEUlT_E_NS1_11comp_targetILNS1_3genE10ELNS1_11target_archE1201ELNS1_3gpuE5ELNS1_3repE0EEENS1_30default_config_static_selectorELNS0_4arch9wavefront6targetE0EEEvT1_,comdat
.Lfunc_end1149:
	.size	_ZN7rocprim17ROCPRIM_400000_NS6detail17trampoline_kernelINS0_14default_configENS1_35adjacent_difference_config_selectorILb0ElEEZNS1_24adjacent_difference_implIS3_Lb0ELb0EPlS7_ZN2at6native12_GLOBAL__N_124unique_dim_cuda_templateIN3c108BFloat16EEESt5tupleIJNS8_6TensorESF_SF_EERKSF_lbbbEUlllE1_EE10hipError_tPvRmT2_T3_mT4_P12ihipStream_tbEUlT_E_NS1_11comp_targetILNS1_3genE10ELNS1_11target_archE1201ELNS1_3gpuE5ELNS1_3repE0EEENS1_30default_config_static_selectorELNS0_4arch9wavefront6targetE0EEEvT1_, .Lfunc_end1149-_ZN7rocprim17ROCPRIM_400000_NS6detail17trampoline_kernelINS0_14default_configENS1_35adjacent_difference_config_selectorILb0ElEEZNS1_24adjacent_difference_implIS3_Lb0ELb0EPlS7_ZN2at6native12_GLOBAL__N_124unique_dim_cuda_templateIN3c108BFloat16EEESt5tupleIJNS8_6TensorESF_SF_EERKSF_lbbbEUlllE1_EE10hipError_tPvRmT2_T3_mT4_P12ihipStream_tbEUlT_E_NS1_11comp_targetILNS1_3genE10ELNS1_11target_archE1201ELNS1_3gpuE5ELNS1_3repE0EEENS1_30default_config_static_selectorELNS0_4arch9wavefront6targetE0EEEvT1_
                                        ; -- End function
	.section	.AMDGPU.csdata,"",@progbits
; Kernel info:
; codeLenInByte = 0
; NumSgprs: 0
; NumVgprs: 0
; ScratchSize: 0
; MemoryBound: 0
; FloatMode: 240
; IeeeMode: 1
; LDSByteSize: 0 bytes/workgroup (compile time only)
; SGPRBlocks: 0
; VGPRBlocks: 0
; NumSGPRsForWavesPerEU: 1
; NumVGPRsForWavesPerEU: 1
; Occupancy: 16
; WaveLimiterHint : 0
; COMPUTE_PGM_RSRC2:SCRATCH_EN: 0
; COMPUTE_PGM_RSRC2:USER_SGPR: 15
; COMPUTE_PGM_RSRC2:TRAP_HANDLER: 0
; COMPUTE_PGM_RSRC2:TGID_X_EN: 1
; COMPUTE_PGM_RSRC2:TGID_Y_EN: 0
; COMPUTE_PGM_RSRC2:TGID_Z_EN: 0
; COMPUTE_PGM_RSRC2:TIDIG_COMP_CNT: 0
	.section	.text._ZN7rocprim17ROCPRIM_400000_NS6detail17trampoline_kernelINS0_14default_configENS1_35adjacent_difference_config_selectorILb0ElEEZNS1_24adjacent_difference_implIS3_Lb0ELb0EPlS7_ZN2at6native12_GLOBAL__N_124unique_dim_cuda_templateIN3c108BFloat16EEESt5tupleIJNS8_6TensorESF_SF_EERKSF_lbbbEUlllE1_EE10hipError_tPvRmT2_T3_mT4_P12ihipStream_tbEUlT_E_NS1_11comp_targetILNS1_3genE5ELNS1_11target_archE942ELNS1_3gpuE9ELNS1_3repE0EEENS1_30default_config_static_selectorELNS0_4arch9wavefront6targetE0EEEvT1_,"axG",@progbits,_ZN7rocprim17ROCPRIM_400000_NS6detail17trampoline_kernelINS0_14default_configENS1_35adjacent_difference_config_selectorILb0ElEEZNS1_24adjacent_difference_implIS3_Lb0ELb0EPlS7_ZN2at6native12_GLOBAL__N_124unique_dim_cuda_templateIN3c108BFloat16EEESt5tupleIJNS8_6TensorESF_SF_EERKSF_lbbbEUlllE1_EE10hipError_tPvRmT2_T3_mT4_P12ihipStream_tbEUlT_E_NS1_11comp_targetILNS1_3genE5ELNS1_11target_archE942ELNS1_3gpuE9ELNS1_3repE0EEENS1_30default_config_static_selectorELNS0_4arch9wavefront6targetE0EEEvT1_,comdat
	.globl	_ZN7rocprim17ROCPRIM_400000_NS6detail17trampoline_kernelINS0_14default_configENS1_35adjacent_difference_config_selectorILb0ElEEZNS1_24adjacent_difference_implIS3_Lb0ELb0EPlS7_ZN2at6native12_GLOBAL__N_124unique_dim_cuda_templateIN3c108BFloat16EEESt5tupleIJNS8_6TensorESF_SF_EERKSF_lbbbEUlllE1_EE10hipError_tPvRmT2_T3_mT4_P12ihipStream_tbEUlT_E_NS1_11comp_targetILNS1_3genE5ELNS1_11target_archE942ELNS1_3gpuE9ELNS1_3repE0EEENS1_30default_config_static_selectorELNS0_4arch9wavefront6targetE0EEEvT1_ ; -- Begin function _ZN7rocprim17ROCPRIM_400000_NS6detail17trampoline_kernelINS0_14default_configENS1_35adjacent_difference_config_selectorILb0ElEEZNS1_24adjacent_difference_implIS3_Lb0ELb0EPlS7_ZN2at6native12_GLOBAL__N_124unique_dim_cuda_templateIN3c108BFloat16EEESt5tupleIJNS8_6TensorESF_SF_EERKSF_lbbbEUlllE1_EE10hipError_tPvRmT2_T3_mT4_P12ihipStream_tbEUlT_E_NS1_11comp_targetILNS1_3genE5ELNS1_11target_archE942ELNS1_3gpuE9ELNS1_3repE0EEENS1_30default_config_static_selectorELNS0_4arch9wavefront6targetE0EEEvT1_
	.p2align	8
	.type	_ZN7rocprim17ROCPRIM_400000_NS6detail17trampoline_kernelINS0_14default_configENS1_35adjacent_difference_config_selectorILb0ElEEZNS1_24adjacent_difference_implIS3_Lb0ELb0EPlS7_ZN2at6native12_GLOBAL__N_124unique_dim_cuda_templateIN3c108BFloat16EEESt5tupleIJNS8_6TensorESF_SF_EERKSF_lbbbEUlllE1_EE10hipError_tPvRmT2_T3_mT4_P12ihipStream_tbEUlT_E_NS1_11comp_targetILNS1_3genE5ELNS1_11target_archE942ELNS1_3gpuE9ELNS1_3repE0EEENS1_30default_config_static_selectorELNS0_4arch9wavefront6targetE0EEEvT1_,@function
_ZN7rocprim17ROCPRIM_400000_NS6detail17trampoline_kernelINS0_14default_configENS1_35adjacent_difference_config_selectorILb0ElEEZNS1_24adjacent_difference_implIS3_Lb0ELb0EPlS7_ZN2at6native12_GLOBAL__N_124unique_dim_cuda_templateIN3c108BFloat16EEESt5tupleIJNS8_6TensorESF_SF_EERKSF_lbbbEUlllE1_EE10hipError_tPvRmT2_T3_mT4_P12ihipStream_tbEUlT_E_NS1_11comp_targetILNS1_3genE5ELNS1_11target_archE942ELNS1_3gpuE9ELNS1_3repE0EEENS1_30default_config_static_selectorELNS0_4arch9wavefront6targetE0EEEvT1_: ; @_ZN7rocprim17ROCPRIM_400000_NS6detail17trampoline_kernelINS0_14default_configENS1_35adjacent_difference_config_selectorILb0ElEEZNS1_24adjacent_difference_implIS3_Lb0ELb0EPlS7_ZN2at6native12_GLOBAL__N_124unique_dim_cuda_templateIN3c108BFloat16EEESt5tupleIJNS8_6TensorESF_SF_EERKSF_lbbbEUlllE1_EE10hipError_tPvRmT2_T3_mT4_P12ihipStream_tbEUlT_E_NS1_11comp_targetILNS1_3genE5ELNS1_11target_archE942ELNS1_3gpuE9ELNS1_3repE0EEENS1_30default_config_static_selectorELNS0_4arch9wavefront6targetE0EEEvT1_
; %bb.0:
	.section	.rodata,"a",@progbits
	.p2align	6, 0x0
	.amdhsa_kernel _ZN7rocprim17ROCPRIM_400000_NS6detail17trampoline_kernelINS0_14default_configENS1_35adjacent_difference_config_selectorILb0ElEEZNS1_24adjacent_difference_implIS3_Lb0ELb0EPlS7_ZN2at6native12_GLOBAL__N_124unique_dim_cuda_templateIN3c108BFloat16EEESt5tupleIJNS8_6TensorESF_SF_EERKSF_lbbbEUlllE1_EE10hipError_tPvRmT2_T3_mT4_P12ihipStream_tbEUlT_E_NS1_11comp_targetILNS1_3genE5ELNS1_11target_archE942ELNS1_3gpuE9ELNS1_3repE0EEENS1_30default_config_static_selectorELNS0_4arch9wavefront6targetE0EEEvT1_
		.amdhsa_group_segment_fixed_size 0
		.amdhsa_private_segment_fixed_size 0
		.amdhsa_kernarg_size 64
		.amdhsa_user_sgpr_count 15
		.amdhsa_user_sgpr_dispatch_ptr 0
		.amdhsa_user_sgpr_queue_ptr 0
		.amdhsa_user_sgpr_kernarg_segment_ptr 1
		.amdhsa_user_sgpr_dispatch_id 0
		.amdhsa_user_sgpr_private_segment_size 0
		.amdhsa_wavefront_size32 1
		.amdhsa_uses_dynamic_stack 0
		.amdhsa_enable_private_segment 0
		.amdhsa_system_sgpr_workgroup_id_x 1
		.amdhsa_system_sgpr_workgroup_id_y 0
		.amdhsa_system_sgpr_workgroup_id_z 0
		.amdhsa_system_sgpr_workgroup_info 0
		.amdhsa_system_vgpr_workitem_id 0
		.amdhsa_next_free_vgpr 1
		.amdhsa_next_free_sgpr 1
		.amdhsa_reserve_vcc 0
		.amdhsa_float_round_mode_32 0
		.amdhsa_float_round_mode_16_64 0
		.amdhsa_float_denorm_mode_32 3
		.amdhsa_float_denorm_mode_16_64 3
		.amdhsa_dx10_clamp 1
		.amdhsa_ieee_mode 1
		.amdhsa_fp16_overflow 0
		.amdhsa_workgroup_processor_mode 1
		.amdhsa_memory_ordered 1
		.amdhsa_forward_progress 0
		.amdhsa_shared_vgpr_count 0
		.amdhsa_exception_fp_ieee_invalid_op 0
		.amdhsa_exception_fp_denorm_src 0
		.amdhsa_exception_fp_ieee_div_zero 0
		.amdhsa_exception_fp_ieee_overflow 0
		.amdhsa_exception_fp_ieee_underflow 0
		.amdhsa_exception_fp_ieee_inexact 0
		.amdhsa_exception_int_div_zero 0
	.end_amdhsa_kernel
	.section	.text._ZN7rocprim17ROCPRIM_400000_NS6detail17trampoline_kernelINS0_14default_configENS1_35adjacent_difference_config_selectorILb0ElEEZNS1_24adjacent_difference_implIS3_Lb0ELb0EPlS7_ZN2at6native12_GLOBAL__N_124unique_dim_cuda_templateIN3c108BFloat16EEESt5tupleIJNS8_6TensorESF_SF_EERKSF_lbbbEUlllE1_EE10hipError_tPvRmT2_T3_mT4_P12ihipStream_tbEUlT_E_NS1_11comp_targetILNS1_3genE5ELNS1_11target_archE942ELNS1_3gpuE9ELNS1_3repE0EEENS1_30default_config_static_selectorELNS0_4arch9wavefront6targetE0EEEvT1_,"axG",@progbits,_ZN7rocprim17ROCPRIM_400000_NS6detail17trampoline_kernelINS0_14default_configENS1_35adjacent_difference_config_selectorILb0ElEEZNS1_24adjacent_difference_implIS3_Lb0ELb0EPlS7_ZN2at6native12_GLOBAL__N_124unique_dim_cuda_templateIN3c108BFloat16EEESt5tupleIJNS8_6TensorESF_SF_EERKSF_lbbbEUlllE1_EE10hipError_tPvRmT2_T3_mT4_P12ihipStream_tbEUlT_E_NS1_11comp_targetILNS1_3genE5ELNS1_11target_archE942ELNS1_3gpuE9ELNS1_3repE0EEENS1_30default_config_static_selectorELNS0_4arch9wavefront6targetE0EEEvT1_,comdat
.Lfunc_end1150:
	.size	_ZN7rocprim17ROCPRIM_400000_NS6detail17trampoline_kernelINS0_14default_configENS1_35adjacent_difference_config_selectorILb0ElEEZNS1_24adjacent_difference_implIS3_Lb0ELb0EPlS7_ZN2at6native12_GLOBAL__N_124unique_dim_cuda_templateIN3c108BFloat16EEESt5tupleIJNS8_6TensorESF_SF_EERKSF_lbbbEUlllE1_EE10hipError_tPvRmT2_T3_mT4_P12ihipStream_tbEUlT_E_NS1_11comp_targetILNS1_3genE5ELNS1_11target_archE942ELNS1_3gpuE9ELNS1_3repE0EEENS1_30default_config_static_selectorELNS0_4arch9wavefront6targetE0EEEvT1_, .Lfunc_end1150-_ZN7rocprim17ROCPRIM_400000_NS6detail17trampoline_kernelINS0_14default_configENS1_35adjacent_difference_config_selectorILb0ElEEZNS1_24adjacent_difference_implIS3_Lb0ELb0EPlS7_ZN2at6native12_GLOBAL__N_124unique_dim_cuda_templateIN3c108BFloat16EEESt5tupleIJNS8_6TensorESF_SF_EERKSF_lbbbEUlllE1_EE10hipError_tPvRmT2_T3_mT4_P12ihipStream_tbEUlT_E_NS1_11comp_targetILNS1_3genE5ELNS1_11target_archE942ELNS1_3gpuE9ELNS1_3repE0EEENS1_30default_config_static_selectorELNS0_4arch9wavefront6targetE0EEEvT1_
                                        ; -- End function
	.section	.AMDGPU.csdata,"",@progbits
; Kernel info:
; codeLenInByte = 0
; NumSgprs: 0
; NumVgprs: 0
; ScratchSize: 0
; MemoryBound: 0
; FloatMode: 240
; IeeeMode: 1
; LDSByteSize: 0 bytes/workgroup (compile time only)
; SGPRBlocks: 0
; VGPRBlocks: 0
; NumSGPRsForWavesPerEU: 1
; NumVGPRsForWavesPerEU: 1
; Occupancy: 16
; WaveLimiterHint : 0
; COMPUTE_PGM_RSRC2:SCRATCH_EN: 0
; COMPUTE_PGM_RSRC2:USER_SGPR: 15
; COMPUTE_PGM_RSRC2:TRAP_HANDLER: 0
; COMPUTE_PGM_RSRC2:TGID_X_EN: 1
; COMPUTE_PGM_RSRC2:TGID_Y_EN: 0
; COMPUTE_PGM_RSRC2:TGID_Z_EN: 0
; COMPUTE_PGM_RSRC2:TIDIG_COMP_CNT: 0
	.section	.text._ZN7rocprim17ROCPRIM_400000_NS6detail17trampoline_kernelINS0_14default_configENS1_35adjacent_difference_config_selectorILb0ElEEZNS1_24adjacent_difference_implIS3_Lb0ELb0EPlS7_ZN2at6native12_GLOBAL__N_124unique_dim_cuda_templateIN3c108BFloat16EEESt5tupleIJNS8_6TensorESF_SF_EERKSF_lbbbEUlllE1_EE10hipError_tPvRmT2_T3_mT4_P12ihipStream_tbEUlT_E_NS1_11comp_targetILNS1_3genE4ELNS1_11target_archE910ELNS1_3gpuE8ELNS1_3repE0EEENS1_30default_config_static_selectorELNS0_4arch9wavefront6targetE0EEEvT1_,"axG",@progbits,_ZN7rocprim17ROCPRIM_400000_NS6detail17trampoline_kernelINS0_14default_configENS1_35adjacent_difference_config_selectorILb0ElEEZNS1_24adjacent_difference_implIS3_Lb0ELb0EPlS7_ZN2at6native12_GLOBAL__N_124unique_dim_cuda_templateIN3c108BFloat16EEESt5tupleIJNS8_6TensorESF_SF_EERKSF_lbbbEUlllE1_EE10hipError_tPvRmT2_T3_mT4_P12ihipStream_tbEUlT_E_NS1_11comp_targetILNS1_3genE4ELNS1_11target_archE910ELNS1_3gpuE8ELNS1_3repE0EEENS1_30default_config_static_selectorELNS0_4arch9wavefront6targetE0EEEvT1_,comdat
	.globl	_ZN7rocprim17ROCPRIM_400000_NS6detail17trampoline_kernelINS0_14default_configENS1_35adjacent_difference_config_selectorILb0ElEEZNS1_24adjacent_difference_implIS3_Lb0ELb0EPlS7_ZN2at6native12_GLOBAL__N_124unique_dim_cuda_templateIN3c108BFloat16EEESt5tupleIJNS8_6TensorESF_SF_EERKSF_lbbbEUlllE1_EE10hipError_tPvRmT2_T3_mT4_P12ihipStream_tbEUlT_E_NS1_11comp_targetILNS1_3genE4ELNS1_11target_archE910ELNS1_3gpuE8ELNS1_3repE0EEENS1_30default_config_static_selectorELNS0_4arch9wavefront6targetE0EEEvT1_ ; -- Begin function _ZN7rocprim17ROCPRIM_400000_NS6detail17trampoline_kernelINS0_14default_configENS1_35adjacent_difference_config_selectorILb0ElEEZNS1_24adjacent_difference_implIS3_Lb0ELb0EPlS7_ZN2at6native12_GLOBAL__N_124unique_dim_cuda_templateIN3c108BFloat16EEESt5tupleIJNS8_6TensorESF_SF_EERKSF_lbbbEUlllE1_EE10hipError_tPvRmT2_T3_mT4_P12ihipStream_tbEUlT_E_NS1_11comp_targetILNS1_3genE4ELNS1_11target_archE910ELNS1_3gpuE8ELNS1_3repE0EEENS1_30default_config_static_selectorELNS0_4arch9wavefront6targetE0EEEvT1_
	.p2align	8
	.type	_ZN7rocprim17ROCPRIM_400000_NS6detail17trampoline_kernelINS0_14default_configENS1_35adjacent_difference_config_selectorILb0ElEEZNS1_24adjacent_difference_implIS3_Lb0ELb0EPlS7_ZN2at6native12_GLOBAL__N_124unique_dim_cuda_templateIN3c108BFloat16EEESt5tupleIJNS8_6TensorESF_SF_EERKSF_lbbbEUlllE1_EE10hipError_tPvRmT2_T3_mT4_P12ihipStream_tbEUlT_E_NS1_11comp_targetILNS1_3genE4ELNS1_11target_archE910ELNS1_3gpuE8ELNS1_3repE0EEENS1_30default_config_static_selectorELNS0_4arch9wavefront6targetE0EEEvT1_,@function
_ZN7rocprim17ROCPRIM_400000_NS6detail17trampoline_kernelINS0_14default_configENS1_35adjacent_difference_config_selectorILb0ElEEZNS1_24adjacent_difference_implIS3_Lb0ELb0EPlS7_ZN2at6native12_GLOBAL__N_124unique_dim_cuda_templateIN3c108BFloat16EEESt5tupleIJNS8_6TensorESF_SF_EERKSF_lbbbEUlllE1_EE10hipError_tPvRmT2_T3_mT4_P12ihipStream_tbEUlT_E_NS1_11comp_targetILNS1_3genE4ELNS1_11target_archE910ELNS1_3gpuE8ELNS1_3repE0EEENS1_30default_config_static_selectorELNS0_4arch9wavefront6targetE0EEEvT1_: ; @_ZN7rocprim17ROCPRIM_400000_NS6detail17trampoline_kernelINS0_14default_configENS1_35adjacent_difference_config_selectorILb0ElEEZNS1_24adjacent_difference_implIS3_Lb0ELb0EPlS7_ZN2at6native12_GLOBAL__N_124unique_dim_cuda_templateIN3c108BFloat16EEESt5tupleIJNS8_6TensorESF_SF_EERKSF_lbbbEUlllE1_EE10hipError_tPvRmT2_T3_mT4_P12ihipStream_tbEUlT_E_NS1_11comp_targetILNS1_3genE4ELNS1_11target_archE910ELNS1_3gpuE8ELNS1_3repE0EEENS1_30default_config_static_selectorELNS0_4arch9wavefront6targetE0EEEvT1_
; %bb.0:
	.section	.rodata,"a",@progbits
	.p2align	6, 0x0
	.amdhsa_kernel _ZN7rocprim17ROCPRIM_400000_NS6detail17trampoline_kernelINS0_14default_configENS1_35adjacent_difference_config_selectorILb0ElEEZNS1_24adjacent_difference_implIS3_Lb0ELb0EPlS7_ZN2at6native12_GLOBAL__N_124unique_dim_cuda_templateIN3c108BFloat16EEESt5tupleIJNS8_6TensorESF_SF_EERKSF_lbbbEUlllE1_EE10hipError_tPvRmT2_T3_mT4_P12ihipStream_tbEUlT_E_NS1_11comp_targetILNS1_3genE4ELNS1_11target_archE910ELNS1_3gpuE8ELNS1_3repE0EEENS1_30default_config_static_selectorELNS0_4arch9wavefront6targetE0EEEvT1_
		.amdhsa_group_segment_fixed_size 0
		.amdhsa_private_segment_fixed_size 0
		.amdhsa_kernarg_size 64
		.amdhsa_user_sgpr_count 15
		.amdhsa_user_sgpr_dispatch_ptr 0
		.amdhsa_user_sgpr_queue_ptr 0
		.amdhsa_user_sgpr_kernarg_segment_ptr 1
		.amdhsa_user_sgpr_dispatch_id 0
		.amdhsa_user_sgpr_private_segment_size 0
		.amdhsa_wavefront_size32 1
		.amdhsa_uses_dynamic_stack 0
		.amdhsa_enable_private_segment 0
		.amdhsa_system_sgpr_workgroup_id_x 1
		.amdhsa_system_sgpr_workgroup_id_y 0
		.amdhsa_system_sgpr_workgroup_id_z 0
		.amdhsa_system_sgpr_workgroup_info 0
		.amdhsa_system_vgpr_workitem_id 0
		.amdhsa_next_free_vgpr 1
		.amdhsa_next_free_sgpr 1
		.amdhsa_reserve_vcc 0
		.amdhsa_float_round_mode_32 0
		.amdhsa_float_round_mode_16_64 0
		.amdhsa_float_denorm_mode_32 3
		.amdhsa_float_denorm_mode_16_64 3
		.amdhsa_dx10_clamp 1
		.amdhsa_ieee_mode 1
		.amdhsa_fp16_overflow 0
		.amdhsa_workgroup_processor_mode 1
		.amdhsa_memory_ordered 1
		.amdhsa_forward_progress 0
		.amdhsa_shared_vgpr_count 0
		.amdhsa_exception_fp_ieee_invalid_op 0
		.amdhsa_exception_fp_denorm_src 0
		.amdhsa_exception_fp_ieee_div_zero 0
		.amdhsa_exception_fp_ieee_overflow 0
		.amdhsa_exception_fp_ieee_underflow 0
		.amdhsa_exception_fp_ieee_inexact 0
		.amdhsa_exception_int_div_zero 0
	.end_amdhsa_kernel
	.section	.text._ZN7rocprim17ROCPRIM_400000_NS6detail17trampoline_kernelINS0_14default_configENS1_35adjacent_difference_config_selectorILb0ElEEZNS1_24adjacent_difference_implIS3_Lb0ELb0EPlS7_ZN2at6native12_GLOBAL__N_124unique_dim_cuda_templateIN3c108BFloat16EEESt5tupleIJNS8_6TensorESF_SF_EERKSF_lbbbEUlllE1_EE10hipError_tPvRmT2_T3_mT4_P12ihipStream_tbEUlT_E_NS1_11comp_targetILNS1_3genE4ELNS1_11target_archE910ELNS1_3gpuE8ELNS1_3repE0EEENS1_30default_config_static_selectorELNS0_4arch9wavefront6targetE0EEEvT1_,"axG",@progbits,_ZN7rocprim17ROCPRIM_400000_NS6detail17trampoline_kernelINS0_14default_configENS1_35adjacent_difference_config_selectorILb0ElEEZNS1_24adjacent_difference_implIS3_Lb0ELb0EPlS7_ZN2at6native12_GLOBAL__N_124unique_dim_cuda_templateIN3c108BFloat16EEESt5tupleIJNS8_6TensorESF_SF_EERKSF_lbbbEUlllE1_EE10hipError_tPvRmT2_T3_mT4_P12ihipStream_tbEUlT_E_NS1_11comp_targetILNS1_3genE4ELNS1_11target_archE910ELNS1_3gpuE8ELNS1_3repE0EEENS1_30default_config_static_selectorELNS0_4arch9wavefront6targetE0EEEvT1_,comdat
.Lfunc_end1151:
	.size	_ZN7rocprim17ROCPRIM_400000_NS6detail17trampoline_kernelINS0_14default_configENS1_35adjacent_difference_config_selectorILb0ElEEZNS1_24adjacent_difference_implIS3_Lb0ELb0EPlS7_ZN2at6native12_GLOBAL__N_124unique_dim_cuda_templateIN3c108BFloat16EEESt5tupleIJNS8_6TensorESF_SF_EERKSF_lbbbEUlllE1_EE10hipError_tPvRmT2_T3_mT4_P12ihipStream_tbEUlT_E_NS1_11comp_targetILNS1_3genE4ELNS1_11target_archE910ELNS1_3gpuE8ELNS1_3repE0EEENS1_30default_config_static_selectorELNS0_4arch9wavefront6targetE0EEEvT1_, .Lfunc_end1151-_ZN7rocprim17ROCPRIM_400000_NS6detail17trampoline_kernelINS0_14default_configENS1_35adjacent_difference_config_selectorILb0ElEEZNS1_24adjacent_difference_implIS3_Lb0ELb0EPlS7_ZN2at6native12_GLOBAL__N_124unique_dim_cuda_templateIN3c108BFloat16EEESt5tupleIJNS8_6TensorESF_SF_EERKSF_lbbbEUlllE1_EE10hipError_tPvRmT2_T3_mT4_P12ihipStream_tbEUlT_E_NS1_11comp_targetILNS1_3genE4ELNS1_11target_archE910ELNS1_3gpuE8ELNS1_3repE0EEENS1_30default_config_static_selectorELNS0_4arch9wavefront6targetE0EEEvT1_
                                        ; -- End function
	.section	.AMDGPU.csdata,"",@progbits
; Kernel info:
; codeLenInByte = 0
; NumSgprs: 0
; NumVgprs: 0
; ScratchSize: 0
; MemoryBound: 0
; FloatMode: 240
; IeeeMode: 1
; LDSByteSize: 0 bytes/workgroup (compile time only)
; SGPRBlocks: 0
; VGPRBlocks: 0
; NumSGPRsForWavesPerEU: 1
; NumVGPRsForWavesPerEU: 1
; Occupancy: 16
; WaveLimiterHint : 0
; COMPUTE_PGM_RSRC2:SCRATCH_EN: 0
; COMPUTE_PGM_RSRC2:USER_SGPR: 15
; COMPUTE_PGM_RSRC2:TRAP_HANDLER: 0
; COMPUTE_PGM_RSRC2:TGID_X_EN: 1
; COMPUTE_PGM_RSRC2:TGID_Y_EN: 0
; COMPUTE_PGM_RSRC2:TGID_Z_EN: 0
; COMPUTE_PGM_RSRC2:TIDIG_COMP_CNT: 0
	.section	.text._ZN7rocprim17ROCPRIM_400000_NS6detail17trampoline_kernelINS0_14default_configENS1_35adjacent_difference_config_selectorILb0ElEEZNS1_24adjacent_difference_implIS3_Lb0ELb0EPlS7_ZN2at6native12_GLOBAL__N_124unique_dim_cuda_templateIN3c108BFloat16EEESt5tupleIJNS8_6TensorESF_SF_EERKSF_lbbbEUlllE1_EE10hipError_tPvRmT2_T3_mT4_P12ihipStream_tbEUlT_E_NS1_11comp_targetILNS1_3genE3ELNS1_11target_archE908ELNS1_3gpuE7ELNS1_3repE0EEENS1_30default_config_static_selectorELNS0_4arch9wavefront6targetE0EEEvT1_,"axG",@progbits,_ZN7rocprim17ROCPRIM_400000_NS6detail17trampoline_kernelINS0_14default_configENS1_35adjacent_difference_config_selectorILb0ElEEZNS1_24adjacent_difference_implIS3_Lb0ELb0EPlS7_ZN2at6native12_GLOBAL__N_124unique_dim_cuda_templateIN3c108BFloat16EEESt5tupleIJNS8_6TensorESF_SF_EERKSF_lbbbEUlllE1_EE10hipError_tPvRmT2_T3_mT4_P12ihipStream_tbEUlT_E_NS1_11comp_targetILNS1_3genE3ELNS1_11target_archE908ELNS1_3gpuE7ELNS1_3repE0EEENS1_30default_config_static_selectorELNS0_4arch9wavefront6targetE0EEEvT1_,comdat
	.globl	_ZN7rocprim17ROCPRIM_400000_NS6detail17trampoline_kernelINS0_14default_configENS1_35adjacent_difference_config_selectorILb0ElEEZNS1_24adjacent_difference_implIS3_Lb0ELb0EPlS7_ZN2at6native12_GLOBAL__N_124unique_dim_cuda_templateIN3c108BFloat16EEESt5tupleIJNS8_6TensorESF_SF_EERKSF_lbbbEUlllE1_EE10hipError_tPvRmT2_T3_mT4_P12ihipStream_tbEUlT_E_NS1_11comp_targetILNS1_3genE3ELNS1_11target_archE908ELNS1_3gpuE7ELNS1_3repE0EEENS1_30default_config_static_selectorELNS0_4arch9wavefront6targetE0EEEvT1_ ; -- Begin function _ZN7rocprim17ROCPRIM_400000_NS6detail17trampoline_kernelINS0_14default_configENS1_35adjacent_difference_config_selectorILb0ElEEZNS1_24adjacent_difference_implIS3_Lb0ELb0EPlS7_ZN2at6native12_GLOBAL__N_124unique_dim_cuda_templateIN3c108BFloat16EEESt5tupleIJNS8_6TensorESF_SF_EERKSF_lbbbEUlllE1_EE10hipError_tPvRmT2_T3_mT4_P12ihipStream_tbEUlT_E_NS1_11comp_targetILNS1_3genE3ELNS1_11target_archE908ELNS1_3gpuE7ELNS1_3repE0EEENS1_30default_config_static_selectorELNS0_4arch9wavefront6targetE0EEEvT1_
	.p2align	8
	.type	_ZN7rocprim17ROCPRIM_400000_NS6detail17trampoline_kernelINS0_14default_configENS1_35adjacent_difference_config_selectorILb0ElEEZNS1_24adjacent_difference_implIS3_Lb0ELb0EPlS7_ZN2at6native12_GLOBAL__N_124unique_dim_cuda_templateIN3c108BFloat16EEESt5tupleIJNS8_6TensorESF_SF_EERKSF_lbbbEUlllE1_EE10hipError_tPvRmT2_T3_mT4_P12ihipStream_tbEUlT_E_NS1_11comp_targetILNS1_3genE3ELNS1_11target_archE908ELNS1_3gpuE7ELNS1_3repE0EEENS1_30default_config_static_selectorELNS0_4arch9wavefront6targetE0EEEvT1_,@function
_ZN7rocprim17ROCPRIM_400000_NS6detail17trampoline_kernelINS0_14default_configENS1_35adjacent_difference_config_selectorILb0ElEEZNS1_24adjacent_difference_implIS3_Lb0ELb0EPlS7_ZN2at6native12_GLOBAL__N_124unique_dim_cuda_templateIN3c108BFloat16EEESt5tupleIJNS8_6TensorESF_SF_EERKSF_lbbbEUlllE1_EE10hipError_tPvRmT2_T3_mT4_P12ihipStream_tbEUlT_E_NS1_11comp_targetILNS1_3genE3ELNS1_11target_archE908ELNS1_3gpuE7ELNS1_3repE0EEENS1_30default_config_static_selectorELNS0_4arch9wavefront6targetE0EEEvT1_: ; @_ZN7rocprim17ROCPRIM_400000_NS6detail17trampoline_kernelINS0_14default_configENS1_35adjacent_difference_config_selectorILb0ElEEZNS1_24adjacent_difference_implIS3_Lb0ELb0EPlS7_ZN2at6native12_GLOBAL__N_124unique_dim_cuda_templateIN3c108BFloat16EEESt5tupleIJNS8_6TensorESF_SF_EERKSF_lbbbEUlllE1_EE10hipError_tPvRmT2_T3_mT4_P12ihipStream_tbEUlT_E_NS1_11comp_targetILNS1_3genE3ELNS1_11target_archE908ELNS1_3gpuE7ELNS1_3repE0EEENS1_30default_config_static_selectorELNS0_4arch9wavefront6targetE0EEEvT1_
; %bb.0:
	.section	.rodata,"a",@progbits
	.p2align	6, 0x0
	.amdhsa_kernel _ZN7rocprim17ROCPRIM_400000_NS6detail17trampoline_kernelINS0_14default_configENS1_35adjacent_difference_config_selectorILb0ElEEZNS1_24adjacent_difference_implIS3_Lb0ELb0EPlS7_ZN2at6native12_GLOBAL__N_124unique_dim_cuda_templateIN3c108BFloat16EEESt5tupleIJNS8_6TensorESF_SF_EERKSF_lbbbEUlllE1_EE10hipError_tPvRmT2_T3_mT4_P12ihipStream_tbEUlT_E_NS1_11comp_targetILNS1_3genE3ELNS1_11target_archE908ELNS1_3gpuE7ELNS1_3repE0EEENS1_30default_config_static_selectorELNS0_4arch9wavefront6targetE0EEEvT1_
		.amdhsa_group_segment_fixed_size 0
		.amdhsa_private_segment_fixed_size 0
		.amdhsa_kernarg_size 64
		.amdhsa_user_sgpr_count 15
		.amdhsa_user_sgpr_dispatch_ptr 0
		.amdhsa_user_sgpr_queue_ptr 0
		.amdhsa_user_sgpr_kernarg_segment_ptr 1
		.amdhsa_user_sgpr_dispatch_id 0
		.amdhsa_user_sgpr_private_segment_size 0
		.amdhsa_wavefront_size32 1
		.amdhsa_uses_dynamic_stack 0
		.amdhsa_enable_private_segment 0
		.amdhsa_system_sgpr_workgroup_id_x 1
		.amdhsa_system_sgpr_workgroup_id_y 0
		.amdhsa_system_sgpr_workgroup_id_z 0
		.amdhsa_system_sgpr_workgroup_info 0
		.amdhsa_system_vgpr_workitem_id 0
		.amdhsa_next_free_vgpr 1
		.amdhsa_next_free_sgpr 1
		.amdhsa_reserve_vcc 0
		.amdhsa_float_round_mode_32 0
		.amdhsa_float_round_mode_16_64 0
		.amdhsa_float_denorm_mode_32 3
		.amdhsa_float_denorm_mode_16_64 3
		.amdhsa_dx10_clamp 1
		.amdhsa_ieee_mode 1
		.amdhsa_fp16_overflow 0
		.amdhsa_workgroup_processor_mode 1
		.amdhsa_memory_ordered 1
		.amdhsa_forward_progress 0
		.amdhsa_shared_vgpr_count 0
		.amdhsa_exception_fp_ieee_invalid_op 0
		.amdhsa_exception_fp_denorm_src 0
		.amdhsa_exception_fp_ieee_div_zero 0
		.amdhsa_exception_fp_ieee_overflow 0
		.amdhsa_exception_fp_ieee_underflow 0
		.amdhsa_exception_fp_ieee_inexact 0
		.amdhsa_exception_int_div_zero 0
	.end_amdhsa_kernel
	.section	.text._ZN7rocprim17ROCPRIM_400000_NS6detail17trampoline_kernelINS0_14default_configENS1_35adjacent_difference_config_selectorILb0ElEEZNS1_24adjacent_difference_implIS3_Lb0ELb0EPlS7_ZN2at6native12_GLOBAL__N_124unique_dim_cuda_templateIN3c108BFloat16EEESt5tupleIJNS8_6TensorESF_SF_EERKSF_lbbbEUlllE1_EE10hipError_tPvRmT2_T3_mT4_P12ihipStream_tbEUlT_E_NS1_11comp_targetILNS1_3genE3ELNS1_11target_archE908ELNS1_3gpuE7ELNS1_3repE0EEENS1_30default_config_static_selectorELNS0_4arch9wavefront6targetE0EEEvT1_,"axG",@progbits,_ZN7rocprim17ROCPRIM_400000_NS6detail17trampoline_kernelINS0_14default_configENS1_35adjacent_difference_config_selectorILb0ElEEZNS1_24adjacent_difference_implIS3_Lb0ELb0EPlS7_ZN2at6native12_GLOBAL__N_124unique_dim_cuda_templateIN3c108BFloat16EEESt5tupleIJNS8_6TensorESF_SF_EERKSF_lbbbEUlllE1_EE10hipError_tPvRmT2_T3_mT4_P12ihipStream_tbEUlT_E_NS1_11comp_targetILNS1_3genE3ELNS1_11target_archE908ELNS1_3gpuE7ELNS1_3repE0EEENS1_30default_config_static_selectorELNS0_4arch9wavefront6targetE0EEEvT1_,comdat
.Lfunc_end1152:
	.size	_ZN7rocprim17ROCPRIM_400000_NS6detail17trampoline_kernelINS0_14default_configENS1_35adjacent_difference_config_selectorILb0ElEEZNS1_24adjacent_difference_implIS3_Lb0ELb0EPlS7_ZN2at6native12_GLOBAL__N_124unique_dim_cuda_templateIN3c108BFloat16EEESt5tupleIJNS8_6TensorESF_SF_EERKSF_lbbbEUlllE1_EE10hipError_tPvRmT2_T3_mT4_P12ihipStream_tbEUlT_E_NS1_11comp_targetILNS1_3genE3ELNS1_11target_archE908ELNS1_3gpuE7ELNS1_3repE0EEENS1_30default_config_static_selectorELNS0_4arch9wavefront6targetE0EEEvT1_, .Lfunc_end1152-_ZN7rocprim17ROCPRIM_400000_NS6detail17trampoline_kernelINS0_14default_configENS1_35adjacent_difference_config_selectorILb0ElEEZNS1_24adjacent_difference_implIS3_Lb0ELb0EPlS7_ZN2at6native12_GLOBAL__N_124unique_dim_cuda_templateIN3c108BFloat16EEESt5tupleIJNS8_6TensorESF_SF_EERKSF_lbbbEUlllE1_EE10hipError_tPvRmT2_T3_mT4_P12ihipStream_tbEUlT_E_NS1_11comp_targetILNS1_3genE3ELNS1_11target_archE908ELNS1_3gpuE7ELNS1_3repE0EEENS1_30default_config_static_selectorELNS0_4arch9wavefront6targetE0EEEvT1_
                                        ; -- End function
	.section	.AMDGPU.csdata,"",@progbits
; Kernel info:
; codeLenInByte = 0
; NumSgprs: 0
; NumVgprs: 0
; ScratchSize: 0
; MemoryBound: 0
; FloatMode: 240
; IeeeMode: 1
; LDSByteSize: 0 bytes/workgroup (compile time only)
; SGPRBlocks: 0
; VGPRBlocks: 0
; NumSGPRsForWavesPerEU: 1
; NumVGPRsForWavesPerEU: 1
; Occupancy: 16
; WaveLimiterHint : 0
; COMPUTE_PGM_RSRC2:SCRATCH_EN: 0
; COMPUTE_PGM_RSRC2:USER_SGPR: 15
; COMPUTE_PGM_RSRC2:TRAP_HANDLER: 0
; COMPUTE_PGM_RSRC2:TGID_X_EN: 1
; COMPUTE_PGM_RSRC2:TGID_Y_EN: 0
; COMPUTE_PGM_RSRC2:TGID_Z_EN: 0
; COMPUTE_PGM_RSRC2:TIDIG_COMP_CNT: 0
	.section	.text._ZN7rocprim17ROCPRIM_400000_NS6detail17trampoline_kernelINS0_14default_configENS1_35adjacent_difference_config_selectorILb0ElEEZNS1_24adjacent_difference_implIS3_Lb0ELb0EPlS7_ZN2at6native12_GLOBAL__N_124unique_dim_cuda_templateIN3c108BFloat16EEESt5tupleIJNS8_6TensorESF_SF_EERKSF_lbbbEUlllE1_EE10hipError_tPvRmT2_T3_mT4_P12ihipStream_tbEUlT_E_NS1_11comp_targetILNS1_3genE2ELNS1_11target_archE906ELNS1_3gpuE6ELNS1_3repE0EEENS1_30default_config_static_selectorELNS0_4arch9wavefront6targetE0EEEvT1_,"axG",@progbits,_ZN7rocprim17ROCPRIM_400000_NS6detail17trampoline_kernelINS0_14default_configENS1_35adjacent_difference_config_selectorILb0ElEEZNS1_24adjacent_difference_implIS3_Lb0ELb0EPlS7_ZN2at6native12_GLOBAL__N_124unique_dim_cuda_templateIN3c108BFloat16EEESt5tupleIJNS8_6TensorESF_SF_EERKSF_lbbbEUlllE1_EE10hipError_tPvRmT2_T3_mT4_P12ihipStream_tbEUlT_E_NS1_11comp_targetILNS1_3genE2ELNS1_11target_archE906ELNS1_3gpuE6ELNS1_3repE0EEENS1_30default_config_static_selectorELNS0_4arch9wavefront6targetE0EEEvT1_,comdat
	.globl	_ZN7rocprim17ROCPRIM_400000_NS6detail17trampoline_kernelINS0_14default_configENS1_35adjacent_difference_config_selectorILb0ElEEZNS1_24adjacent_difference_implIS3_Lb0ELb0EPlS7_ZN2at6native12_GLOBAL__N_124unique_dim_cuda_templateIN3c108BFloat16EEESt5tupleIJNS8_6TensorESF_SF_EERKSF_lbbbEUlllE1_EE10hipError_tPvRmT2_T3_mT4_P12ihipStream_tbEUlT_E_NS1_11comp_targetILNS1_3genE2ELNS1_11target_archE906ELNS1_3gpuE6ELNS1_3repE0EEENS1_30default_config_static_selectorELNS0_4arch9wavefront6targetE0EEEvT1_ ; -- Begin function _ZN7rocprim17ROCPRIM_400000_NS6detail17trampoline_kernelINS0_14default_configENS1_35adjacent_difference_config_selectorILb0ElEEZNS1_24adjacent_difference_implIS3_Lb0ELb0EPlS7_ZN2at6native12_GLOBAL__N_124unique_dim_cuda_templateIN3c108BFloat16EEESt5tupleIJNS8_6TensorESF_SF_EERKSF_lbbbEUlllE1_EE10hipError_tPvRmT2_T3_mT4_P12ihipStream_tbEUlT_E_NS1_11comp_targetILNS1_3genE2ELNS1_11target_archE906ELNS1_3gpuE6ELNS1_3repE0EEENS1_30default_config_static_selectorELNS0_4arch9wavefront6targetE0EEEvT1_
	.p2align	8
	.type	_ZN7rocprim17ROCPRIM_400000_NS6detail17trampoline_kernelINS0_14default_configENS1_35adjacent_difference_config_selectorILb0ElEEZNS1_24adjacent_difference_implIS3_Lb0ELb0EPlS7_ZN2at6native12_GLOBAL__N_124unique_dim_cuda_templateIN3c108BFloat16EEESt5tupleIJNS8_6TensorESF_SF_EERKSF_lbbbEUlllE1_EE10hipError_tPvRmT2_T3_mT4_P12ihipStream_tbEUlT_E_NS1_11comp_targetILNS1_3genE2ELNS1_11target_archE906ELNS1_3gpuE6ELNS1_3repE0EEENS1_30default_config_static_selectorELNS0_4arch9wavefront6targetE0EEEvT1_,@function
_ZN7rocprim17ROCPRIM_400000_NS6detail17trampoline_kernelINS0_14default_configENS1_35adjacent_difference_config_selectorILb0ElEEZNS1_24adjacent_difference_implIS3_Lb0ELb0EPlS7_ZN2at6native12_GLOBAL__N_124unique_dim_cuda_templateIN3c108BFloat16EEESt5tupleIJNS8_6TensorESF_SF_EERKSF_lbbbEUlllE1_EE10hipError_tPvRmT2_T3_mT4_P12ihipStream_tbEUlT_E_NS1_11comp_targetILNS1_3genE2ELNS1_11target_archE906ELNS1_3gpuE6ELNS1_3repE0EEENS1_30default_config_static_selectorELNS0_4arch9wavefront6targetE0EEEvT1_: ; @_ZN7rocprim17ROCPRIM_400000_NS6detail17trampoline_kernelINS0_14default_configENS1_35adjacent_difference_config_selectorILb0ElEEZNS1_24adjacent_difference_implIS3_Lb0ELb0EPlS7_ZN2at6native12_GLOBAL__N_124unique_dim_cuda_templateIN3c108BFloat16EEESt5tupleIJNS8_6TensorESF_SF_EERKSF_lbbbEUlllE1_EE10hipError_tPvRmT2_T3_mT4_P12ihipStream_tbEUlT_E_NS1_11comp_targetILNS1_3genE2ELNS1_11target_archE906ELNS1_3gpuE6ELNS1_3repE0EEENS1_30default_config_static_selectorELNS0_4arch9wavefront6targetE0EEEvT1_
; %bb.0:
	.section	.rodata,"a",@progbits
	.p2align	6, 0x0
	.amdhsa_kernel _ZN7rocprim17ROCPRIM_400000_NS6detail17trampoline_kernelINS0_14default_configENS1_35adjacent_difference_config_selectorILb0ElEEZNS1_24adjacent_difference_implIS3_Lb0ELb0EPlS7_ZN2at6native12_GLOBAL__N_124unique_dim_cuda_templateIN3c108BFloat16EEESt5tupleIJNS8_6TensorESF_SF_EERKSF_lbbbEUlllE1_EE10hipError_tPvRmT2_T3_mT4_P12ihipStream_tbEUlT_E_NS1_11comp_targetILNS1_3genE2ELNS1_11target_archE906ELNS1_3gpuE6ELNS1_3repE0EEENS1_30default_config_static_selectorELNS0_4arch9wavefront6targetE0EEEvT1_
		.amdhsa_group_segment_fixed_size 0
		.amdhsa_private_segment_fixed_size 0
		.amdhsa_kernarg_size 64
		.amdhsa_user_sgpr_count 15
		.amdhsa_user_sgpr_dispatch_ptr 0
		.amdhsa_user_sgpr_queue_ptr 0
		.amdhsa_user_sgpr_kernarg_segment_ptr 1
		.amdhsa_user_sgpr_dispatch_id 0
		.amdhsa_user_sgpr_private_segment_size 0
		.amdhsa_wavefront_size32 1
		.amdhsa_uses_dynamic_stack 0
		.amdhsa_enable_private_segment 0
		.amdhsa_system_sgpr_workgroup_id_x 1
		.amdhsa_system_sgpr_workgroup_id_y 0
		.amdhsa_system_sgpr_workgroup_id_z 0
		.amdhsa_system_sgpr_workgroup_info 0
		.amdhsa_system_vgpr_workitem_id 0
		.amdhsa_next_free_vgpr 1
		.amdhsa_next_free_sgpr 1
		.amdhsa_reserve_vcc 0
		.amdhsa_float_round_mode_32 0
		.amdhsa_float_round_mode_16_64 0
		.amdhsa_float_denorm_mode_32 3
		.amdhsa_float_denorm_mode_16_64 3
		.amdhsa_dx10_clamp 1
		.amdhsa_ieee_mode 1
		.amdhsa_fp16_overflow 0
		.amdhsa_workgroup_processor_mode 1
		.amdhsa_memory_ordered 1
		.amdhsa_forward_progress 0
		.amdhsa_shared_vgpr_count 0
		.amdhsa_exception_fp_ieee_invalid_op 0
		.amdhsa_exception_fp_denorm_src 0
		.amdhsa_exception_fp_ieee_div_zero 0
		.amdhsa_exception_fp_ieee_overflow 0
		.amdhsa_exception_fp_ieee_underflow 0
		.amdhsa_exception_fp_ieee_inexact 0
		.amdhsa_exception_int_div_zero 0
	.end_amdhsa_kernel
	.section	.text._ZN7rocprim17ROCPRIM_400000_NS6detail17trampoline_kernelINS0_14default_configENS1_35adjacent_difference_config_selectorILb0ElEEZNS1_24adjacent_difference_implIS3_Lb0ELb0EPlS7_ZN2at6native12_GLOBAL__N_124unique_dim_cuda_templateIN3c108BFloat16EEESt5tupleIJNS8_6TensorESF_SF_EERKSF_lbbbEUlllE1_EE10hipError_tPvRmT2_T3_mT4_P12ihipStream_tbEUlT_E_NS1_11comp_targetILNS1_3genE2ELNS1_11target_archE906ELNS1_3gpuE6ELNS1_3repE0EEENS1_30default_config_static_selectorELNS0_4arch9wavefront6targetE0EEEvT1_,"axG",@progbits,_ZN7rocprim17ROCPRIM_400000_NS6detail17trampoline_kernelINS0_14default_configENS1_35adjacent_difference_config_selectorILb0ElEEZNS1_24adjacent_difference_implIS3_Lb0ELb0EPlS7_ZN2at6native12_GLOBAL__N_124unique_dim_cuda_templateIN3c108BFloat16EEESt5tupleIJNS8_6TensorESF_SF_EERKSF_lbbbEUlllE1_EE10hipError_tPvRmT2_T3_mT4_P12ihipStream_tbEUlT_E_NS1_11comp_targetILNS1_3genE2ELNS1_11target_archE906ELNS1_3gpuE6ELNS1_3repE0EEENS1_30default_config_static_selectorELNS0_4arch9wavefront6targetE0EEEvT1_,comdat
.Lfunc_end1153:
	.size	_ZN7rocprim17ROCPRIM_400000_NS6detail17trampoline_kernelINS0_14default_configENS1_35adjacent_difference_config_selectorILb0ElEEZNS1_24adjacent_difference_implIS3_Lb0ELb0EPlS7_ZN2at6native12_GLOBAL__N_124unique_dim_cuda_templateIN3c108BFloat16EEESt5tupleIJNS8_6TensorESF_SF_EERKSF_lbbbEUlllE1_EE10hipError_tPvRmT2_T3_mT4_P12ihipStream_tbEUlT_E_NS1_11comp_targetILNS1_3genE2ELNS1_11target_archE906ELNS1_3gpuE6ELNS1_3repE0EEENS1_30default_config_static_selectorELNS0_4arch9wavefront6targetE0EEEvT1_, .Lfunc_end1153-_ZN7rocprim17ROCPRIM_400000_NS6detail17trampoline_kernelINS0_14default_configENS1_35adjacent_difference_config_selectorILb0ElEEZNS1_24adjacent_difference_implIS3_Lb0ELb0EPlS7_ZN2at6native12_GLOBAL__N_124unique_dim_cuda_templateIN3c108BFloat16EEESt5tupleIJNS8_6TensorESF_SF_EERKSF_lbbbEUlllE1_EE10hipError_tPvRmT2_T3_mT4_P12ihipStream_tbEUlT_E_NS1_11comp_targetILNS1_3genE2ELNS1_11target_archE906ELNS1_3gpuE6ELNS1_3repE0EEENS1_30default_config_static_selectorELNS0_4arch9wavefront6targetE0EEEvT1_
                                        ; -- End function
	.section	.AMDGPU.csdata,"",@progbits
; Kernel info:
; codeLenInByte = 0
; NumSgprs: 0
; NumVgprs: 0
; ScratchSize: 0
; MemoryBound: 0
; FloatMode: 240
; IeeeMode: 1
; LDSByteSize: 0 bytes/workgroup (compile time only)
; SGPRBlocks: 0
; VGPRBlocks: 0
; NumSGPRsForWavesPerEU: 1
; NumVGPRsForWavesPerEU: 1
; Occupancy: 16
; WaveLimiterHint : 0
; COMPUTE_PGM_RSRC2:SCRATCH_EN: 0
; COMPUTE_PGM_RSRC2:USER_SGPR: 15
; COMPUTE_PGM_RSRC2:TRAP_HANDLER: 0
; COMPUTE_PGM_RSRC2:TGID_X_EN: 1
; COMPUTE_PGM_RSRC2:TGID_Y_EN: 0
; COMPUTE_PGM_RSRC2:TGID_Z_EN: 0
; COMPUTE_PGM_RSRC2:TIDIG_COMP_CNT: 0
	.section	.text._ZN7rocprim17ROCPRIM_400000_NS6detail17trampoline_kernelINS0_14default_configENS1_35adjacent_difference_config_selectorILb0ElEEZNS1_24adjacent_difference_implIS3_Lb0ELb0EPlS7_ZN2at6native12_GLOBAL__N_124unique_dim_cuda_templateIN3c108BFloat16EEESt5tupleIJNS8_6TensorESF_SF_EERKSF_lbbbEUlllE1_EE10hipError_tPvRmT2_T3_mT4_P12ihipStream_tbEUlT_E_NS1_11comp_targetILNS1_3genE9ELNS1_11target_archE1100ELNS1_3gpuE3ELNS1_3repE0EEENS1_30default_config_static_selectorELNS0_4arch9wavefront6targetE0EEEvT1_,"axG",@progbits,_ZN7rocprim17ROCPRIM_400000_NS6detail17trampoline_kernelINS0_14default_configENS1_35adjacent_difference_config_selectorILb0ElEEZNS1_24adjacent_difference_implIS3_Lb0ELb0EPlS7_ZN2at6native12_GLOBAL__N_124unique_dim_cuda_templateIN3c108BFloat16EEESt5tupleIJNS8_6TensorESF_SF_EERKSF_lbbbEUlllE1_EE10hipError_tPvRmT2_T3_mT4_P12ihipStream_tbEUlT_E_NS1_11comp_targetILNS1_3genE9ELNS1_11target_archE1100ELNS1_3gpuE3ELNS1_3repE0EEENS1_30default_config_static_selectorELNS0_4arch9wavefront6targetE0EEEvT1_,comdat
	.globl	_ZN7rocprim17ROCPRIM_400000_NS6detail17trampoline_kernelINS0_14default_configENS1_35adjacent_difference_config_selectorILb0ElEEZNS1_24adjacent_difference_implIS3_Lb0ELb0EPlS7_ZN2at6native12_GLOBAL__N_124unique_dim_cuda_templateIN3c108BFloat16EEESt5tupleIJNS8_6TensorESF_SF_EERKSF_lbbbEUlllE1_EE10hipError_tPvRmT2_T3_mT4_P12ihipStream_tbEUlT_E_NS1_11comp_targetILNS1_3genE9ELNS1_11target_archE1100ELNS1_3gpuE3ELNS1_3repE0EEENS1_30default_config_static_selectorELNS0_4arch9wavefront6targetE0EEEvT1_ ; -- Begin function _ZN7rocprim17ROCPRIM_400000_NS6detail17trampoline_kernelINS0_14default_configENS1_35adjacent_difference_config_selectorILb0ElEEZNS1_24adjacent_difference_implIS3_Lb0ELb0EPlS7_ZN2at6native12_GLOBAL__N_124unique_dim_cuda_templateIN3c108BFloat16EEESt5tupleIJNS8_6TensorESF_SF_EERKSF_lbbbEUlllE1_EE10hipError_tPvRmT2_T3_mT4_P12ihipStream_tbEUlT_E_NS1_11comp_targetILNS1_3genE9ELNS1_11target_archE1100ELNS1_3gpuE3ELNS1_3repE0EEENS1_30default_config_static_selectorELNS0_4arch9wavefront6targetE0EEEvT1_
	.p2align	8
	.type	_ZN7rocprim17ROCPRIM_400000_NS6detail17trampoline_kernelINS0_14default_configENS1_35adjacent_difference_config_selectorILb0ElEEZNS1_24adjacent_difference_implIS3_Lb0ELb0EPlS7_ZN2at6native12_GLOBAL__N_124unique_dim_cuda_templateIN3c108BFloat16EEESt5tupleIJNS8_6TensorESF_SF_EERKSF_lbbbEUlllE1_EE10hipError_tPvRmT2_T3_mT4_P12ihipStream_tbEUlT_E_NS1_11comp_targetILNS1_3genE9ELNS1_11target_archE1100ELNS1_3gpuE3ELNS1_3repE0EEENS1_30default_config_static_selectorELNS0_4arch9wavefront6targetE0EEEvT1_,@function
_ZN7rocprim17ROCPRIM_400000_NS6detail17trampoline_kernelINS0_14default_configENS1_35adjacent_difference_config_selectorILb0ElEEZNS1_24adjacent_difference_implIS3_Lb0ELb0EPlS7_ZN2at6native12_GLOBAL__N_124unique_dim_cuda_templateIN3c108BFloat16EEESt5tupleIJNS8_6TensorESF_SF_EERKSF_lbbbEUlllE1_EE10hipError_tPvRmT2_T3_mT4_P12ihipStream_tbEUlT_E_NS1_11comp_targetILNS1_3genE9ELNS1_11target_archE1100ELNS1_3gpuE3ELNS1_3repE0EEENS1_30default_config_static_selectorELNS0_4arch9wavefront6targetE0EEEvT1_: ; @_ZN7rocprim17ROCPRIM_400000_NS6detail17trampoline_kernelINS0_14default_configENS1_35adjacent_difference_config_selectorILb0ElEEZNS1_24adjacent_difference_implIS3_Lb0ELb0EPlS7_ZN2at6native12_GLOBAL__N_124unique_dim_cuda_templateIN3c108BFloat16EEESt5tupleIJNS8_6TensorESF_SF_EERKSF_lbbbEUlllE1_EE10hipError_tPvRmT2_T3_mT4_P12ihipStream_tbEUlT_E_NS1_11comp_targetILNS1_3genE9ELNS1_11target_archE1100ELNS1_3gpuE3ELNS1_3repE0EEENS1_30default_config_static_selectorELNS0_4arch9wavefront6targetE0EEEvT1_
; %bb.0:
	s_clause 0x1
	s_load_b256 s[4:11], s[0:1], 0x0
	s_load_b64 s[18:19], s[0:1], 0x38
	s_mov_b32 s17, 0
	s_waitcnt lgkmcnt(0)
	s_lshl_b64 s[12:13], s[6:7], 3
	s_delay_alu instid0(SALU_CYCLE_1)
	s_add_u32 s20, s4, s12
	s_addc_u32 s21, s5, s13
	s_load_b128 s[4:7], s[0:1], 0x20
	s_and_b32 s16, s10, 0x1ff
	s_lshl_b32 s2, s15, 9
	s_lshr_b64 s[22:23], s[10:11], 9
	s_cmp_lg_u64 s[16:17], 0
	s_cselect_b32 s3, -1, 0
	s_delay_alu instid0(SALU_CYCLE_1) | instskip(NEXT) | instid1(VALU_DEP_1)
	v_cndmask_b32_e64 v1, 0, 1, s3
	v_readfirstlane_b32 s3, v1
	s_delay_alu instid0(VALU_DEP_1)
	s_add_u32 s16, s22, s3
	s_addc_u32 s17, s23, 0
	s_add_u32 s18, s18, s15
	s_addc_u32 s19, s19, 0
	s_add_u32 s14, s16, -1
	s_addc_u32 s15, s17, -1
	s_delay_alu instid0(SALU_CYCLE_1) | instskip(NEXT) | instid1(VALU_DEP_1)
	v_cmp_ge_u64_e64 s1, s[18:19], s[14:15]
	s_and_b32 vcc_lo, exec_lo, s1
	s_cbranch_vccz .LBB1154_4
; %bb.1:
	s_lshl_b32 s0, s14, 9
                                        ; implicit-def: $vgpr1_vgpr2
	s_delay_alu instid0(SALU_CYCLE_1) | instskip(NEXT) | instid1(SALU_CYCLE_1)
	s_sub_i32 s0, s10, s0
	v_cmp_gt_u32_e32 vcc_lo, s0, v0
	s_and_saveexec_b32 s0, vcc_lo
	s_cbranch_execz .LBB1154_3
; %bb.2:
	s_mov_b32 s3, 0
	v_lshlrev_b32_e32 v1, 3, v0
	s_lshl_b64 s[22:23], s[2:3], 3
	s_delay_alu instid0(SALU_CYCLE_1)
	s_add_u32 s22, s20, s22
	s_addc_u32 s23, s21, s23
	global_load_b64 v[1:2], v1, s[22:23]
.LBB1154_3:
	s_or_b32 exec_lo, exec_lo, s0
	v_lshlrev_b32_e32 v3, 3, v0
	s_waitcnt vmcnt(0)
	ds_store_b64 v3, v[1:2]
	s_waitcnt lgkmcnt(0)
	s_barrier
	v_lshlrev_b32_e32 v9, 3, v0
	s_branch .LBB1154_6
.LBB1154_4:
                                        ; implicit-def: $vgpr3
	v_lshlrev_b32_e32 v9, 3, v0
	s_cbranch_execz .LBB1154_6
; %bb.5:
	s_mov_b32 s3, 0
	s_delay_alu instid0(VALU_DEP_1) | instskip(SKIP_1) | instid1(SALU_CYCLE_1)
	v_mov_b32_e32 v3, v9
	s_lshl_b64 s[22:23], s[2:3], 3
	s_add_u32 s22, s20, s22
	s_addc_u32 s23, s21, s23
	global_load_b64 v[1:2], v9, s[22:23]
	s_waitcnt vmcnt(0)
	ds_store_b64 v9, v[1:2]
	s_waitcnt lgkmcnt(0)
	s_barrier
.LBB1154_6:
	s_waitcnt lgkmcnt(0)
	buffer_gl0_inv
	ds_load_b64 v[1:2], v3
	s_cmp_eq_u64 s[18:19], 0
	s_waitcnt lgkmcnt(0)
	s_barrier
	buffer_gl0_inv
	s_cbranch_scc1 .LBB1154_17
; %bb.7:
	s_mov_b32 s3, 0
	s_delay_alu instid0(SALU_CYCLE_1) | instskip(NEXT) | instid1(SALU_CYCLE_1)
	s_lshl_b64 s[22:23], s[2:3], 3
	s_add_u32 s0, s20, s22
	s_addc_u32 s11, s21, s23
	s_add_u32 s20, s0, -8
	s_addc_u32 s21, s11, -1
	s_cmp_lg_u64 s[18:19], s[14:15]
	s_load_b64 s[20:21], s[20:21], 0x0
	s_cbranch_scc0 .LBB1154_18
; %bb.8:
	s_waitcnt lgkmcnt(0)
	v_dual_mov_b32 v3, s20 :: v_dual_mov_b32 v4, s21
	s_mov_b32 s0, 0
	s_mov_b32 s3, exec_lo
	ds_store_b64 v9, v[1:2]
	s_waitcnt lgkmcnt(0)
	s_barrier
	buffer_gl0_inv
	v_cmpx_ne_u32_e32 0, v0
	s_cbranch_execz .LBB1154_10
; %bb.9:
	v_add_nc_u32_e32 v3, -8, v9
	ds_load_b64 v[3:4], v3
.LBB1154_10:
	s_or_b32 exec_lo, exec_lo, s3
	v_cmp_lt_i64_e64 s3, s[4:5], 1
	s_delay_alu instid0(VALU_DEP_1)
	s_and_b32 vcc_lo, exec_lo, s3
	s_cbranch_vccnz .LBB1154_21
; %bb.11:
	s_waitcnt lgkmcnt(0)
	v_mul_lo_u32 v8, v4, s4
	v_mul_lo_u32 v10, v3, s5
	v_mad_u64_u32 v[4:5], null, v3, s4, 0
	v_mul_lo_u32 v3, v2, s4
	v_mul_lo_u32 v11, v1, s5
	v_mad_u64_u32 v[6:7], null, v1, s4, 0
	s_mov_b32 s0, -1
	s_mov_b32 s3, exec_lo
	s_delay_alu instid0(VALU_DEP_4) | instskip(NEXT) | instid1(VALU_DEP_2)
	v_add3_u32 v5, v5, v10, v8
	v_add3_u32 v7, v7, v11, v3
	s_delay_alu instid0(VALU_DEP_2) | instskip(NEXT) | instid1(VALU_DEP_2)
	v_lshlrev_b64 v[3:4], 1, v[4:5]
	v_lshlrev_b64 v[5:6], 1, v[6:7]
	s_delay_alu instid0(VALU_DEP_2) | instskip(NEXT) | instid1(VALU_DEP_3)
	v_add_co_u32 v3, vcc_lo, s6, v3
	v_add_co_ci_u32_e32 v4, vcc_lo, s7, v4, vcc_lo
	s_delay_alu instid0(VALU_DEP_3) | instskip(NEXT) | instid1(VALU_DEP_4)
	v_add_co_u32 v5, vcc_lo, s6, v5
	v_add_co_ci_u32_e32 v6, vcc_lo, s7, v6, vcc_lo
	s_clause 0x1
	global_load_u16 v7, v[3:4], off
	global_load_u16 v8, v[5:6], off
	s_waitcnt vmcnt(1)
	v_lshlrev_b32_e32 v7, 16, v7
	s_waitcnt vmcnt(0)
	v_lshlrev_b32_e32 v8, 16, v8
	s_delay_alu instid0(VALU_DEP_1)
	v_cmpx_eq_f32_e32 v8, v7
	s_cbranch_execz .LBB1154_20
; %bb.12:
	v_add_co_u32 v3, vcc_lo, v3, 2
	v_add_co_ci_u32_e32 v4, vcc_lo, 0, v4, vcc_lo
	v_add_co_u32 v5, vcc_lo, v5, 2
	v_add_co_ci_u32_e32 v6, vcc_lo, 0, v6, vcc_lo
	s_add_u32 s22, s4, -1
	s_addc_u32 s23, s5, -1
	s_mov_b64 s[24:25], 0
	s_mov_b32 s11, 0
                                        ; implicit-def: $sgpr15
	s_set_inst_prefetch_distance 0x1
	s_branch .LBB1154_15
	.p2align	6
.LBB1154_13:                            ;   in Loop: Header=BB1154_15 Depth=1
	global_load_u16 v7, v[3:4], off
	global_load_u16 v8, v[5:6], off
	v_add_co_u32 v3, vcc_lo, v3, 2
	v_add_co_ci_u32_e32 v4, vcc_lo, 0, v4, vcc_lo
	v_add_co_u32 v5, s0, v5, 2
	s_delay_alu instid0(VALU_DEP_1)
	v_add_co_ci_u32_e64 v6, s0, 0, v6, s0
	s_add_u32 s24, s24, 1
	s_addc_u32 s25, s25, 0
	s_and_not1_b32 s0, s15, exec_lo
	s_waitcnt vmcnt(1)
	v_lshlrev_b32_e32 v7, 16, v7
	s_waitcnt vmcnt(0)
	v_lshlrev_b32_e32 v8, 16, v8
	s_delay_alu instid0(VALU_DEP_1) | instskip(SKIP_1) | instid1(SALU_CYCLE_1)
	v_cmp_neq_f32_e32 vcc_lo, v8, v7
	s_and_b32 s15, vcc_lo, exec_lo
	s_or_b32 s15, s0, s15
.LBB1154_14:                            ;   in Loop: Header=BB1154_15 Depth=1
	v_dual_mov_b32 v7, s24 :: v_dual_mov_b32 v8, s25
	s_and_b32 s0, exec_lo, s15
	s_delay_alu instid0(SALU_CYCLE_1) | instskip(NEXT) | instid1(SALU_CYCLE_1)
	s_or_b32 s11, s0, s11
	s_and_not1_b32 exec_lo, exec_lo, s11
	s_cbranch_execz .LBB1154_19
.LBB1154_15:                            ; =>This Inner Loop Header: Depth=1
	s_or_b32 s15, s15, exec_lo
	s_cmp_eq_u64 s[22:23], s[24:25]
	s_cbranch_scc0 .LBB1154_13
; %bb.16:                               ;   in Loop: Header=BB1154_15 Depth=1
	s_mov_b64 s[24:25], s[4:5]
                                        ; implicit-def: $vgpr3_vgpr4
                                        ; implicit-def: $vgpr5_vgpr6
	s_branch .LBB1154_14
.LBB1154_17:
	s_mov_b32 s3, 0
                                        ; implicit-def: $sgpr0
	s_cbranch_execnz .LBB1154_38
	s_branch .LBB1154_65
.LBB1154_18:
                                        ; implicit-def: $sgpr0
	s_cbranch_execnz .LBB1154_22
	s_branch .LBB1154_37
.LBB1154_19:
	s_set_inst_prefetch_distance 0x2
	s_or_b32 exec_lo, exec_lo, s11
	v_cmp_gt_i64_e32 vcc_lo, s[4:5], v[7:8]
	s_or_not1_b32 s0, vcc_lo, exec_lo
.LBB1154_20:
	s_or_b32 exec_lo, exec_lo, s3
.LBB1154_21:
	s_mov_b32 s3, -1
	s_branch .LBB1154_37
.LBB1154_22:
	s_waitcnt lgkmcnt(0)
	v_dual_mov_b32 v3, s20 :: v_dual_mov_b32 v4, s21
	s_mov_b32 s0, exec_lo
	ds_store_b64 v9, v[1:2]
	s_waitcnt lgkmcnt(0)
	s_barrier
	buffer_gl0_inv
	v_cmpx_ne_u32_e32 0, v0
	s_cbranch_execz .LBB1154_24
; %bb.23:
	v_add_nc_u32_e32 v3, -8, v9
	ds_load_b64 v[3:4], v3
.LBB1154_24:
	s_or_b32 exec_lo, exec_lo, s0
	s_lshl_b32 s0, s18, 9
	s_delay_alu instid0(SALU_CYCLE_1) | instskip(NEXT) | instid1(SALU_CYCLE_1)
	s_sub_i32 s0, s10, s0
	v_cmp_gt_u32_e32 vcc_lo, s0, v0
                                        ; implicit-def: $sgpr0
	s_and_saveexec_b32 s11, vcc_lo
	s_cbranch_execz .LBB1154_36
; %bb.25:
	v_cmp_lt_i64_e64 s0, s[4:5], 1
	s_delay_alu instid0(VALU_DEP_1)
	s_and_b32 vcc_lo, exec_lo, s0
	s_cbranch_vccnz .LBB1154_32
; %bb.26:
	s_waitcnt lgkmcnt(0)
	v_mul_lo_u32 v8, v4, s4
	v_mul_lo_u32 v10, v3, s5
	v_mad_u64_u32 v[4:5], null, v3, s4, 0
	v_mul_lo_u32 v3, v2, s4
	v_mul_lo_u32 v11, v1, s5
	v_mad_u64_u32 v[6:7], null, v1, s4, 0
	s_mov_b32 s0, -1
	s_mov_b32 s15, exec_lo
	s_delay_alu instid0(VALU_DEP_4) | instskip(NEXT) | instid1(VALU_DEP_2)
	v_add3_u32 v5, v5, v10, v8
	v_add3_u32 v7, v7, v11, v3
	s_delay_alu instid0(VALU_DEP_2) | instskip(NEXT) | instid1(VALU_DEP_2)
	v_lshlrev_b64 v[3:4], 1, v[4:5]
	v_lshlrev_b64 v[5:6], 1, v[6:7]
	s_delay_alu instid0(VALU_DEP_2) | instskip(NEXT) | instid1(VALU_DEP_3)
	v_add_co_u32 v3, vcc_lo, s6, v3
	v_add_co_ci_u32_e32 v4, vcc_lo, s7, v4, vcc_lo
	s_delay_alu instid0(VALU_DEP_3) | instskip(NEXT) | instid1(VALU_DEP_4)
	v_add_co_u32 v5, vcc_lo, s6, v5
	v_add_co_ci_u32_e32 v6, vcc_lo, s7, v6, vcc_lo
	s_clause 0x1
	global_load_u16 v7, v[3:4], off
	global_load_u16 v8, v[5:6], off
	s_waitcnt vmcnt(1)
	v_lshlrev_b32_e32 v7, 16, v7
	s_waitcnt vmcnt(0)
	v_lshlrev_b32_e32 v8, 16, v8
	s_delay_alu instid0(VALU_DEP_1)
	v_cmpx_eq_f32_e32 v8, v7
	s_cbranch_execz .LBB1154_34
; %bb.27:
	v_add_co_u32 v3, vcc_lo, v3, 2
	v_add_co_ci_u32_e32 v4, vcc_lo, 0, v4, vcc_lo
	v_add_co_u32 v5, vcc_lo, v5, 2
	v_add_co_ci_u32_e32 v6, vcc_lo, 0, v6, vcc_lo
	s_add_u32 s18, s4, -1
	s_addc_u32 s19, s5, -1
	s_mov_b64 s[20:21], 0
	s_mov_b32 s22, 0
                                        ; implicit-def: $sgpr23
	s_set_inst_prefetch_distance 0x1
	s_branch .LBB1154_30
	.p2align	6
.LBB1154_28:                            ;   in Loop: Header=BB1154_30 Depth=1
	global_load_u16 v7, v[3:4], off
	global_load_u16 v8, v[5:6], off
	v_add_co_u32 v3, vcc_lo, v3, 2
	v_add_co_ci_u32_e32 v4, vcc_lo, 0, v4, vcc_lo
	v_add_co_u32 v5, s0, v5, 2
	s_delay_alu instid0(VALU_DEP_1)
	v_add_co_ci_u32_e64 v6, s0, 0, v6, s0
	s_add_u32 s20, s20, 1
	s_addc_u32 s21, s21, 0
	s_and_not1_b32 s0, s23, exec_lo
	s_waitcnt vmcnt(1)
	v_lshlrev_b32_e32 v7, 16, v7
	s_waitcnt vmcnt(0)
	v_lshlrev_b32_e32 v8, 16, v8
	s_delay_alu instid0(VALU_DEP_1) | instskip(SKIP_1) | instid1(SALU_CYCLE_1)
	v_cmp_neq_f32_e32 vcc_lo, v8, v7
	s_and_b32 s23, vcc_lo, exec_lo
	s_or_b32 s23, s0, s23
.LBB1154_29:                            ;   in Loop: Header=BB1154_30 Depth=1
	v_dual_mov_b32 v7, s20 :: v_dual_mov_b32 v8, s21
	s_and_b32 s0, exec_lo, s23
	s_delay_alu instid0(SALU_CYCLE_1) | instskip(NEXT) | instid1(SALU_CYCLE_1)
	s_or_b32 s22, s0, s22
	s_and_not1_b32 exec_lo, exec_lo, s22
	s_cbranch_execz .LBB1154_33
.LBB1154_30:                            ; =>This Inner Loop Header: Depth=1
	s_or_b32 s23, s23, exec_lo
	s_cmp_eq_u64 s[18:19], s[20:21]
	s_cbranch_scc0 .LBB1154_28
; %bb.31:                               ;   in Loop: Header=BB1154_30 Depth=1
	s_mov_b64 s[20:21], s[4:5]
                                        ; implicit-def: $vgpr3_vgpr4
                                        ; implicit-def: $vgpr5_vgpr6
	s_branch .LBB1154_29
.LBB1154_32:
	s_mov_b32 s0, 0
	s_branch .LBB1154_35
.LBB1154_33:
	s_set_inst_prefetch_distance 0x2
	s_or_b32 exec_lo, exec_lo, s22
	v_cmp_gt_i64_e32 vcc_lo, s[4:5], v[7:8]
	s_or_not1_b32 s0, vcc_lo, exec_lo
.LBB1154_34:
	s_or_b32 exec_lo, exec_lo, s15
.LBB1154_35:
	s_delay_alu instid0(SALU_CYCLE_1)
	s_and_b32 s0, s0, exec_lo
	s_or_b32 s3, s3, exec_lo
.LBB1154_36:
	s_or_b32 exec_lo, exec_lo, s11
.LBB1154_37:
	s_branch .LBB1154_65
.LBB1154_38:
	s_cmp_lg_u64 s[16:17], 1
	s_cbranch_scc0 .LBB1154_47
; %bb.39:
	s_mov_b32 s11, 0
	s_mov_b32 s15, exec_lo
	ds_store_b64 v9, v[1:2]
	s_waitcnt lgkmcnt(0)
	s_barrier
	buffer_gl0_inv
                                        ; implicit-def: $sgpr0
	v_cmpx_ne_u32_e32 0, v0
	s_cbranch_execz .LBB1154_48
; %bb.40:
	v_cmp_lt_i64_e64 s0, s[4:5], 1
	s_delay_alu instid0(VALU_DEP_1)
	s_and_b32 vcc_lo, exec_lo, s0
	s_cbranch_vccnz .LBB1154_49
; %bb.41:
	v_add_nc_u32_e32 v3, -8, v9
	v_mul_lo_u32 v10, v2, s4
	v_mul_lo_u32 v11, v1, s5
	v_mad_u64_u32 v[5:6], null, v1, s4, 0
	ds_load_b64 v[3:4], v3
	s_mov_b32 s0, -1
	s_mov_b32 s20, exec_lo
	v_add3_u32 v6, v6, v11, v10
	s_waitcnt lgkmcnt(0)
	v_mul_lo_u32 v4, v4, s4
	v_mul_lo_u32 v12, v3, s5
	v_mad_u64_u32 v[7:8], null, v3, s4, 0
	s_delay_alu instid0(VALU_DEP_1) | instskip(SKIP_1) | instid1(VALU_DEP_2)
	v_add3_u32 v8, v8, v12, v4
	v_lshlrev_b64 v[3:4], 1, v[5:6]
	v_lshlrev_b64 v[7:8], 1, v[7:8]
	s_delay_alu instid0(VALU_DEP_2) | instskip(NEXT) | instid1(VALU_DEP_3)
	v_add_co_u32 v5, vcc_lo, s6, v3
	v_add_co_ci_u32_e32 v6, vcc_lo, s7, v4, vcc_lo
	s_delay_alu instid0(VALU_DEP_3) | instskip(NEXT) | instid1(VALU_DEP_4)
	v_add_co_u32 v3, vcc_lo, s6, v7
	v_add_co_ci_u32_e32 v4, vcc_lo, s7, v8, vcc_lo
	s_clause 0x1
	global_load_u16 v7, v[5:6], off
	global_load_u16 v8, v[3:4], off
	s_waitcnt vmcnt(1)
	v_lshlrev_b32_e32 v7, 16, v7
	s_waitcnt vmcnt(0)
	v_lshlrev_b32_e32 v8, 16, v8
	s_delay_alu instid0(VALU_DEP_1)
	v_cmpx_eq_f32_e32 v7, v8
	s_cbranch_execz .LBB1154_51
; %bb.42:
	v_add_co_u32 v3, vcc_lo, v3, 2
	v_add_co_ci_u32_e32 v4, vcc_lo, 0, v4, vcc_lo
	v_add_co_u32 v5, vcc_lo, v5, 2
	v_add_co_ci_u32_e32 v6, vcc_lo, 0, v6, vcc_lo
	s_add_u32 s16, s4, -1
	s_addc_u32 s17, s5, -1
	s_mov_b64 s[18:19], 0
	s_mov_b32 s21, 0
                                        ; implicit-def: $sgpr22
	s_set_inst_prefetch_distance 0x1
	s_branch .LBB1154_45
	.p2align	6
.LBB1154_43:                            ;   in Loop: Header=BB1154_45 Depth=1
	global_load_u16 v7, v[3:4], off
	global_load_u16 v8, v[5:6], off
	v_add_co_u32 v3, vcc_lo, v3, 2
	v_add_co_ci_u32_e32 v4, vcc_lo, 0, v4, vcc_lo
	v_add_co_u32 v5, s0, v5, 2
	s_delay_alu instid0(VALU_DEP_1)
	v_add_co_ci_u32_e64 v6, s0, 0, v6, s0
	s_add_u32 s18, s18, 1
	s_addc_u32 s19, s19, 0
	s_and_not1_b32 s0, s22, exec_lo
	s_waitcnt vmcnt(1)
	v_lshlrev_b32_e32 v7, 16, v7
	s_waitcnt vmcnt(0)
	v_lshlrev_b32_e32 v8, 16, v8
	s_delay_alu instid0(VALU_DEP_1) | instskip(SKIP_1) | instid1(SALU_CYCLE_1)
	v_cmp_neq_f32_e32 vcc_lo, v8, v7
	s_and_b32 s22, vcc_lo, exec_lo
	s_or_b32 s22, s0, s22
.LBB1154_44:                            ;   in Loop: Header=BB1154_45 Depth=1
	v_dual_mov_b32 v7, s18 :: v_dual_mov_b32 v8, s19
	s_and_b32 s0, exec_lo, s22
	s_delay_alu instid0(SALU_CYCLE_1) | instskip(NEXT) | instid1(SALU_CYCLE_1)
	s_or_b32 s21, s0, s21
	s_and_not1_b32 exec_lo, exec_lo, s21
	s_cbranch_execz .LBB1154_50
.LBB1154_45:                            ; =>This Inner Loop Header: Depth=1
	s_or_b32 s22, s22, exec_lo
	s_cmp_eq_u64 s[16:17], s[18:19]
	s_cbranch_scc0 .LBB1154_43
; %bb.46:                               ;   in Loop: Header=BB1154_45 Depth=1
	s_mov_b64 s[18:19], s[4:5]
                                        ; implicit-def: $vgpr3_vgpr4
                                        ; implicit-def: $vgpr5_vgpr6
	s_branch .LBB1154_44
.LBB1154_47:
                                        ; implicit-def: $sgpr0
	s_cbranch_execnz .LBB1154_53
	s_branch .LBB1154_65
.LBB1154_48:
	s_or_b32 exec_lo, exec_lo, s15
	s_delay_alu instid0(SALU_CYCLE_1)
	s_and_b32 vcc_lo, exec_lo, s11
	s_cbranch_vccnz .LBB1154_53
	s_branch .LBB1154_65
.LBB1154_49:
	s_mov_b32 s0, 0
	s_branch .LBB1154_52
.LBB1154_50:
	s_set_inst_prefetch_distance 0x2
	s_or_b32 exec_lo, exec_lo, s21
	v_cmp_gt_i64_e32 vcc_lo, s[4:5], v[7:8]
	s_or_not1_b32 s0, vcc_lo, exec_lo
.LBB1154_51:
	s_or_b32 exec_lo, exec_lo, s20
.LBB1154_52:
	s_delay_alu instid0(SALU_CYCLE_1) | instskip(SKIP_2) | instid1(SALU_CYCLE_1)
	s_and_b32 s0, s0, exec_lo
	s_or_b32 s3, s3, exec_lo
	s_or_b32 exec_lo, exec_lo, s15
	s_and_b32 vcc_lo, exec_lo, s11
	s_cbranch_vccz .LBB1154_65
.LBB1154_53:
	v_cmp_ne_u32_e32 vcc_lo, 0, v0
	v_cmp_gt_u32_e64 s0, s10, v0
	s_mov_b32 s16, 0
	ds_store_b64 v9, v[1:2]
	s_waitcnt lgkmcnt(0)
	s_barrier
	s_and_b32 s15, vcc_lo, s0
	buffer_gl0_inv
                                        ; implicit-def: $sgpr0
	s_and_saveexec_b32 s11, s15
	s_cbranch_execz .LBB1154_64
; %bb.54:
	v_cmp_lt_i64_e64 s0, s[4:5], 1
	s_delay_alu instid0(VALU_DEP_1)
	s_and_b32 vcc_lo, exec_lo, s0
	s_cbranch_vccnz .LBB1154_63
; %bb.55:
	v_add_nc_u32_e32 v3, -8, v9
	v_mul_lo_u32 v7, v2, s4
	v_mul_lo_u32 v8, v1, s5
	v_mad_u64_u32 v[5:6], null, v1, s4, 0
	ds_load_b64 v[3:4], v3
	s_mov_b32 s16, -1
	s_mov_b32 s15, exec_lo
	v_add3_u32 v6, v6, v8, v7
	s_waitcnt lgkmcnt(0)
	v_mul_lo_u32 v4, v4, s4
	v_mul_lo_u32 v10, v3, s5
	v_mad_u64_u32 v[1:2], null, v3, s4, 0
	s_delay_alu instid0(VALU_DEP_1) | instskip(SKIP_1) | instid1(VALU_DEP_2)
	v_add3_u32 v2, v2, v10, v4
	v_lshlrev_b64 v[3:4], 1, v[5:6]
	v_lshlrev_b64 v[1:2], 1, v[1:2]
	s_delay_alu instid0(VALU_DEP_2) | instskip(NEXT) | instid1(VALU_DEP_3)
	v_add_co_u32 v3, vcc_lo, s6, v3
	v_add_co_ci_u32_e32 v4, vcc_lo, s7, v4, vcc_lo
	s_delay_alu instid0(VALU_DEP_3) | instskip(NEXT) | instid1(VALU_DEP_4)
	v_add_co_u32 v1, vcc_lo, s6, v1
	v_add_co_ci_u32_e32 v2, vcc_lo, s7, v2, vcc_lo
	s_clause 0x1
	global_load_u16 v5, v[3:4], off
	global_load_u16 v6, v[1:2], off
	s_waitcnt vmcnt(1)
	v_lshlrev_b32_e32 v5, 16, v5
	s_waitcnt vmcnt(0)
	v_lshlrev_b32_e32 v6, 16, v6
	s_delay_alu instid0(VALU_DEP_1)
	v_cmpx_eq_f32_e32 v5, v6
	s_cbranch_execz .LBB1154_62
; %bb.56:
	v_add_co_u32 v1, vcc_lo, v1, 2
	v_add_co_ci_u32_e32 v2, vcc_lo, 0, v2, vcc_lo
	v_add_co_u32 v3, vcc_lo, v3, 2
	v_add_co_ci_u32_e32 v4, vcc_lo, 0, v4, vcc_lo
	s_add_u32 s6, s4, -1
	s_addc_u32 s7, s5, -1
	s_mov_b64 s[16:17], 0
	s_mov_b32 s18, 0
                                        ; implicit-def: $sgpr19
	s_set_inst_prefetch_distance 0x1
	s_branch .LBB1154_59
	.p2align	6
.LBB1154_57:                            ;   in Loop: Header=BB1154_59 Depth=1
	global_load_u16 v5, v[1:2], off
	global_load_u16 v6, v[3:4], off
	v_add_co_u32 v1, vcc_lo, v1, 2
	v_add_co_ci_u32_e32 v2, vcc_lo, 0, v2, vcc_lo
	v_add_co_u32 v3, s0, v3, 2
	s_delay_alu instid0(VALU_DEP_1)
	v_add_co_ci_u32_e64 v4, s0, 0, v4, s0
	s_add_u32 s16, s16, 1
	s_addc_u32 s17, s17, 0
	s_and_not1_b32 s0, s19, exec_lo
	s_waitcnt vmcnt(1)
	v_lshlrev_b32_e32 v5, 16, v5
	s_waitcnt vmcnt(0)
	v_lshlrev_b32_e32 v6, 16, v6
	s_delay_alu instid0(VALU_DEP_1) | instskip(SKIP_1) | instid1(SALU_CYCLE_1)
	v_cmp_neq_f32_e32 vcc_lo, v6, v5
	s_and_b32 s19, vcc_lo, exec_lo
	s_or_b32 s19, s0, s19
.LBB1154_58:                            ;   in Loop: Header=BB1154_59 Depth=1
	v_dual_mov_b32 v5, s16 :: v_dual_mov_b32 v6, s17
	s_and_b32 s0, exec_lo, s19
	s_delay_alu instid0(SALU_CYCLE_1) | instskip(NEXT) | instid1(SALU_CYCLE_1)
	s_or_b32 s18, s0, s18
	s_and_not1_b32 exec_lo, exec_lo, s18
	s_cbranch_execz .LBB1154_61
.LBB1154_59:                            ; =>This Inner Loop Header: Depth=1
	s_or_b32 s19, s19, exec_lo
	s_cmp_eq_u64 s[6:7], s[16:17]
	s_cbranch_scc0 .LBB1154_57
; %bb.60:                               ;   in Loop: Header=BB1154_59 Depth=1
	s_mov_b64 s[16:17], s[4:5]
                                        ; implicit-def: $vgpr1_vgpr2
                                        ; implicit-def: $vgpr3_vgpr4
	s_branch .LBB1154_58
.LBB1154_61:
	s_set_inst_prefetch_distance 0x2
	s_or_b32 exec_lo, exec_lo, s18
	v_cmp_gt_i64_e32 vcc_lo, s[4:5], v[5:6]
	s_or_not1_b32 s16, vcc_lo, exec_lo
.LBB1154_62:
	s_or_b32 exec_lo, exec_lo, s15
.LBB1154_63:
	s_delay_alu instid0(SALU_CYCLE_1)
	s_and_b32 s0, s16, exec_lo
	s_or_b32 s3, s3, exec_lo
                                        ; implicit-def: $vgpr1_vgpr2
.LBB1154_64:
	s_or_b32 exec_lo, exec_lo, s11
.LBB1154_65:
	s_and_saveexec_b32 s4, s3
; %bb.66:
	s_mov_b32 s3, 0
	v_cndmask_b32_e64 v1, 0, 1, s0
	v_mov_b32_e32 v2, s3
; %bb.67:
	s_or_b32 exec_lo, exec_lo, s4
	s_add_u32 s0, s8, s12
	s_addc_u32 s4, s9, s13
	s_and_b32 vcc_lo, exec_lo, s1
	s_mov_b32 s1, -1
	s_waitcnt lgkmcnt(0)
	s_barrier
	buffer_gl0_inv
	s_cbranch_vccnz .LBB1154_70
; %bb.68:
	s_and_not1_b32 vcc_lo, exec_lo, s1
	s_cbranch_vccz .LBB1154_73
.LBB1154_69:
	s_nop 0
	s_sendmsg sendmsg(MSG_DEALLOC_VGPRS)
	s_endpgm
.LBB1154_70:
	s_lshl_b32 s1, s14, 9
	ds_store_b64 v9, v[1:2]
	s_sub_i32 s1, s10, s1
	s_waitcnt lgkmcnt(0)
	v_cmp_gt_u32_e32 vcc_lo, s1, v0
	s_barrier
	buffer_gl0_inv
	s_and_saveexec_b32 s1, vcc_lo
	s_cbranch_execz .LBB1154_72
; %bb.71:
	ds_load_b64 v[3:4], v9
	s_mov_b32 s3, 0
	s_delay_alu instid0(SALU_CYCLE_1) | instskip(NEXT) | instid1(SALU_CYCLE_1)
	s_lshl_b64 s[6:7], s[2:3], 3
	s_add_u32 s6, s0, s6
	s_addc_u32 s7, s4, s7
	s_waitcnt lgkmcnt(0)
	global_store_b64 v9, v[3:4], s[6:7]
.LBB1154_72:
	s_or_b32 exec_lo, exec_lo, s1
	s_cbranch_execnz .LBB1154_69
.LBB1154_73:
	ds_store_b64 v9, v[1:2]
	s_waitcnt lgkmcnt(0)
	s_waitcnt_vscnt null, 0x0
	s_barrier
	buffer_gl0_inv
	ds_load_b64 v[0:1], v9
	s_mov_b32 s3, 0
	s_delay_alu instid0(SALU_CYCLE_1) | instskip(NEXT) | instid1(SALU_CYCLE_1)
	s_lshl_b64 s[2:3], s[2:3], 3
	s_add_u32 s0, s0, s2
	s_addc_u32 s1, s4, s3
	s_waitcnt lgkmcnt(0)
	global_store_b64 v9, v[0:1], s[0:1]
	s_nop 0
	s_sendmsg sendmsg(MSG_DEALLOC_VGPRS)
	s_endpgm
	.section	.rodata,"a",@progbits
	.p2align	6, 0x0
	.amdhsa_kernel _ZN7rocprim17ROCPRIM_400000_NS6detail17trampoline_kernelINS0_14default_configENS1_35adjacent_difference_config_selectorILb0ElEEZNS1_24adjacent_difference_implIS3_Lb0ELb0EPlS7_ZN2at6native12_GLOBAL__N_124unique_dim_cuda_templateIN3c108BFloat16EEESt5tupleIJNS8_6TensorESF_SF_EERKSF_lbbbEUlllE1_EE10hipError_tPvRmT2_T3_mT4_P12ihipStream_tbEUlT_E_NS1_11comp_targetILNS1_3genE9ELNS1_11target_archE1100ELNS1_3gpuE3ELNS1_3repE0EEENS1_30default_config_static_selectorELNS0_4arch9wavefront6targetE0EEEvT1_
		.amdhsa_group_segment_fixed_size 8192
		.amdhsa_private_segment_fixed_size 0
		.amdhsa_kernarg_size 64
		.amdhsa_user_sgpr_count 15
		.amdhsa_user_sgpr_dispatch_ptr 0
		.amdhsa_user_sgpr_queue_ptr 0
		.amdhsa_user_sgpr_kernarg_segment_ptr 1
		.amdhsa_user_sgpr_dispatch_id 0
		.amdhsa_user_sgpr_private_segment_size 0
		.amdhsa_wavefront_size32 1
		.amdhsa_uses_dynamic_stack 0
		.amdhsa_enable_private_segment 0
		.amdhsa_system_sgpr_workgroup_id_x 1
		.amdhsa_system_sgpr_workgroup_id_y 0
		.amdhsa_system_sgpr_workgroup_id_z 0
		.amdhsa_system_sgpr_workgroup_info 0
		.amdhsa_system_vgpr_workitem_id 0
		.amdhsa_next_free_vgpr 13
		.amdhsa_next_free_sgpr 26
		.amdhsa_reserve_vcc 1
		.amdhsa_float_round_mode_32 0
		.amdhsa_float_round_mode_16_64 0
		.amdhsa_float_denorm_mode_32 3
		.amdhsa_float_denorm_mode_16_64 3
		.amdhsa_dx10_clamp 1
		.amdhsa_ieee_mode 1
		.amdhsa_fp16_overflow 0
		.amdhsa_workgroup_processor_mode 1
		.amdhsa_memory_ordered 1
		.amdhsa_forward_progress 0
		.amdhsa_shared_vgpr_count 0
		.amdhsa_exception_fp_ieee_invalid_op 0
		.amdhsa_exception_fp_denorm_src 0
		.amdhsa_exception_fp_ieee_div_zero 0
		.amdhsa_exception_fp_ieee_overflow 0
		.amdhsa_exception_fp_ieee_underflow 0
		.amdhsa_exception_fp_ieee_inexact 0
		.amdhsa_exception_int_div_zero 0
	.end_amdhsa_kernel
	.section	.text._ZN7rocprim17ROCPRIM_400000_NS6detail17trampoline_kernelINS0_14default_configENS1_35adjacent_difference_config_selectorILb0ElEEZNS1_24adjacent_difference_implIS3_Lb0ELb0EPlS7_ZN2at6native12_GLOBAL__N_124unique_dim_cuda_templateIN3c108BFloat16EEESt5tupleIJNS8_6TensorESF_SF_EERKSF_lbbbEUlllE1_EE10hipError_tPvRmT2_T3_mT4_P12ihipStream_tbEUlT_E_NS1_11comp_targetILNS1_3genE9ELNS1_11target_archE1100ELNS1_3gpuE3ELNS1_3repE0EEENS1_30default_config_static_selectorELNS0_4arch9wavefront6targetE0EEEvT1_,"axG",@progbits,_ZN7rocprim17ROCPRIM_400000_NS6detail17trampoline_kernelINS0_14default_configENS1_35adjacent_difference_config_selectorILb0ElEEZNS1_24adjacent_difference_implIS3_Lb0ELb0EPlS7_ZN2at6native12_GLOBAL__N_124unique_dim_cuda_templateIN3c108BFloat16EEESt5tupleIJNS8_6TensorESF_SF_EERKSF_lbbbEUlllE1_EE10hipError_tPvRmT2_T3_mT4_P12ihipStream_tbEUlT_E_NS1_11comp_targetILNS1_3genE9ELNS1_11target_archE1100ELNS1_3gpuE3ELNS1_3repE0EEENS1_30default_config_static_selectorELNS0_4arch9wavefront6targetE0EEEvT1_,comdat
.Lfunc_end1154:
	.size	_ZN7rocprim17ROCPRIM_400000_NS6detail17trampoline_kernelINS0_14default_configENS1_35adjacent_difference_config_selectorILb0ElEEZNS1_24adjacent_difference_implIS3_Lb0ELb0EPlS7_ZN2at6native12_GLOBAL__N_124unique_dim_cuda_templateIN3c108BFloat16EEESt5tupleIJNS8_6TensorESF_SF_EERKSF_lbbbEUlllE1_EE10hipError_tPvRmT2_T3_mT4_P12ihipStream_tbEUlT_E_NS1_11comp_targetILNS1_3genE9ELNS1_11target_archE1100ELNS1_3gpuE3ELNS1_3repE0EEENS1_30default_config_static_selectorELNS0_4arch9wavefront6targetE0EEEvT1_, .Lfunc_end1154-_ZN7rocprim17ROCPRIM_400000_NS6detail17trampoline_kernelINS0_14default_configENS1_35adjacent_difference_config_selectorILb0ElEEZNS1_24adjacent_difference_implIS3_Lb0ELb0EPlS7_ZN2at6native12_GLOBAL__N_124unique_dim_cuda_templateIN3c108BFloat16EEESt5tupleIJNS8_6TensorESF_SF_EERKSF_lbbbEUlllE1_EE10hipError_tPvRmT2_T3_mT4_P12ihipStream_tbEUlT_E_NS1_11comp_targetILNS1_3genE9ELNS1_11target_archE1100ELNS1_3gpuE3ELNS1_3repE0EEENS1_30default_config_static_selectorELNS0_4arch9wavefront6targetE0EEEvT1_
                                        ; -- End function
	.section	.AMDGPU.csdata,"",@progbits
; Kernel info:
; codeLenInByte = 2668
; NumSgprs: 28
; NumVgprs: 13
; ScratchSize: 0
; MemoryBound: 0
; FloatMode: 240
; IeeeMode: 1
; LDSByteSize: 8192 bytes/workgroup (compile time only)
; SGPRBlocks: 3
; VGPRBlocks: 1
; NumSGPRsForWavesPerEU: 28
; NumVGPRsForWavesPerEU: 13
; Occupancy: 16
; WaveLimiterHint : 0
; COMPUTE_PGM_RSRC2:SCRATCH_EN: 0
; COMPUTE_PGM_RSRC2:USER_SGPR: 15
; COMPUTE_PGM_RSRC2:TRAP_HANDLER: 0
; COMPUTE_PGM_RSRC2:TGID_X_EN: 1
; COMPUTE_PGM_RSRC2:TGID_Y_EN: 0
; COMPUTE_PGM_RSRC2:TGID_Z_EN: 0
; COMPUTE_PGM_RSRC2:TIDIG_COMP_CNT: 0
	.section	.text._ZN7rocprim17ROCPRIM_400000_NS6detail17trampoline_kernelINS0_14default_configENS1_35adjacent_difference_config_selectorILb0ElEEZNS1_24adjacent_difference_implIS3_Lb0ELb0EPlS7_ZN2at6native12_GLOBAL__N_124unique_dim_cuda_templateIN3c108BFloat16EEESt5tupleIJNS8_6TensorESF_SF_EERKSF_lbbbEUlllE1_EE10hipError_tPvRmT2_T3_mT4_P12ihipStream_tbEUlT_E_NS1_11comp_targetILNS1_3genE8ELNS1_11target_archE1030ELNS1_3gpuE2ELNS1_3repE0EEENS1_30default_config_static_selectorELNS0_4arch9wavefront6targetE0EEEvT1_,"axG",@progbits,_ZN7rocprim17ROCPRIM_400000_NS6detail17trampoline_kernelINS0_14default_configENS1_35adjacent_difference_config_selectorILb0ElEEZNS1_24adjacent_difference_implIS3_Lb0ELb0EPlS7_ZN2at6native12_GLOBAL__N_124unique_dim_cuda_templateIN3c108BFloat16EEESt5tupleIJNS8_6TensorESF_SF_EERKSF_lbbbEUlllE1_EE10hipError_tPvRmT2_T3_mT4_P12ihipStream_tbEUlT_E_NS1_11comp_targetILNS1_3genE8ELNS1_11target_archE1030ELNS1_3gpuE2ELNS1_3repE0EEENS1_30default_config_static_selectorELNS0_4arch9wavefront6targetE0EEEvT1_,comdat
	.globl	_ZN7rocprim17ROCPRIM_400000_NS6detail17trampoline_kernelINS0_14default_configENS1_35adjacent_difference_config_selectorILb0ElEEZNS1_24adjacent_difference_implIS3_Lb0ELb0EPlS7_ZN2at6native12_GLOBAL__N_124unique_dim_cuda_templateIN3c108BFloat16EEESt5tupleIJNS8_6TensorESF_SF_EERKSF_lbbbEUlllE1_EE10hipError_tPvRmT2_T3_mT4_P12ihipStream_tbEUlT_E_NS1_11comp_targetILNS1_3genE8ELNS1_11target_archE1030ELNS1_3gpuE2ELNS1_3repE0EEENS1_30default_config_static_selectorELNS0_4arch9wavefront6targetE0EEEvT1_ ; -- Begin function _ZN7rocprim17ROCPRIM_400000_NS6detail17trampoline_kernelINS0_14default_configENS1_35adjacent_difference_config_selectorILb0ElEEZNS1_24adjacent_difference_implIS3_Lb0ELb0EPlS7_ZN2at6native12_GLOBAL__N_124unique_dim_cuda_templateIN3c108BFloat16EEESt5tupleIJNS8_6TensorESF_SF_EERKSF_lbbbEUlllE1_EE10hipError_tPvRmT2_T3_mT4_P12ihipStream_tbEUlT_E_NS1_11comp_targetILNS1_3genE8ELNS1_11target_archE1030ELNS1_3gpuE2ELNS1_3repE0EEENS1_30default_config_static_selectorELNS0_4arch9wavefront6targetE0EEEvT1_
	.p2align	8
	.type	_ZN7rocprim17ROCPRIM_400000_NS6detail17trampoline_kernelINS0_14default_configENS1_35adjacent_difference_config_selectorILb0ElEEZNS1_24adjacent_difference_implIS3_Lb0ELb0EPlS7_ZN2at6native12_GLOBAL__N_124unique_dim_cuda_templateIN3c108BFloat16EEESt5tupleIJNS8_6TensorESF_SF_EERKSF_lbbbEUlllE1_EE10hipError_tPvRmT2_T3_mT4_P12ihipStream_tbEUlT_E_NS1_11comp_targetILNS1_3genE8ELNS1_11target_archE1030ELNS1_3gpuE2ELNS1_3repE0EEENS1_30default_config_static_selectorELNS0_4arch9wavefront6targetE0EEEvT1_,@function
_ZN7rocprim17ROCPRIM_400000_NS6detail17trampoline_kernelINS0_14default_configENS1_35adjacent_difference_config_selectorILb0ElEEZNS1_24adjacent_difference_implIS3_Lb0ELb0EPlS7_ZN2at6native12_GLOBAL__N_124unique_dim_cuda_templateIN3c108BFloat16EEESt5tupleIJNS8_6TensorESF_SF_EERKSF_lbbbEUlllE1_EE10hipError_tPvRmT2_T3_mT4_P12ihipStream_tbEUlT_E_NS1_11comp_targetILNS1_3genE8ELNS1_11target_archE1030ELNS1_3gpuE2ELNS1_3repE0EEENS1_30default_config_static_selectorELNS0_4arch9wavefront6targetE0EEEvT1_: ; @_ZN7rocprim17ROCPRIM_400000_NS6detail17trampoline_kernelINS0_14default_configENS1_35adjacent_difference_config_selectorILb0ElEEZNS1_24adjacent_difference_implIS3_Lb0ELb0EPlS7_ZN2at6native12_GLOBAL__N_124unique_dim_cuda_templateIN3c108BFloat16EEESt5tupleIJNS8_6TensorESF_SF_EERKSF_lbbbEUlllE1_EE10hipError_tPvRmT2_T3_mT4_P12ihipStream_tbEUlT_E_NS1_11comp_targetILNS1_3genE8ELNS1_11target_archE1030ELNS1_3gpuE2ELNS1_3repE0EEENS1_30default_config_static_selectorELNS0_4arch9wavefront6targetE0EEEvT1_
; %bb.0:
	.section	.rodata,"a",@progbits
	.p2align	6, 0x0
	.amdhsa_kernel _ZN7rocprim17ROCPRIM_400000_NS6detail17trampoline_kernelINS0_14default_configENS1_35adjacent_difference_config_selectorILb0ElEEZNS1_24adjacent_difference_implIS3_Lb0ELb0EPlS7_ZN2at6native12_GLOBAL__N_124unique_dim_cuda_templateIN3c108BFloat16EEESt5tupleIJNS8_6TensorESF_SF_EERKSF_lbbbEUlllE1_EE10hipError_tPvRmT2_T3_mT4_P12ihipStream_tbEUlT_E_NS1_11comp_targetILNS1_3genE8ELNS1_11target_archE1030ELNS1_3gpuE2ELNS1_3repE0EEENS1_30default_config_static_selectorELNS0_4arch9wavefront6targetE0EEEvT1_
		.amdhsa_group_segment_fixed_size 0
		.amdhsa_private_segment_fixed_size 0
		.amdhsa_kernarg_size 64
		.amdhsa_user_sgpr_count 15
		.amdhsa_user_sgpr_dispatch_ptr 0
		.amdhsa_user_sgpr_queue_ptr 0
		.amdhsa_user_sgpr_kernarg_segment_ptr 1
		.amdhsa_user_sgpr_dispatch_id 0
		.amdhsa_user_sgpr_private_segment_size 0
		.amdhsa_wavefront_size32 1
		.amdhsa_uses_dynamic_stack 0
		.amdhsa_enable_private_segment 0
		.amdhsa_system_sgpr_workgroup_id_x 1
		.amdhsa_system_sgpr_workgroup_id_y 0
		.amdhsa_system_sgpr_workgroup_id_z 0
		.amdhsa_system_sgpr_workgroup_info 0
		.amdhsa_system_vgpr_workitem_id 0
		.amdhsa_next_free_vgpr 1
		.amdhsa_next_free_sgpr 1
		.amdhsa_reserve_vcc 0
		.amdhsa_float_round_mode_32 0
		.amdhsa_float_round_mode_16_64 0
		.amdhsa_float_denorm_mode_32 3
		.amdhsa_float_denorm_mode_16_64 3
		.amdhsa_dx10_clamp 1
		.amdhsa_ieee_mode 1
		.amdhsa_fp16_overflow 0
		.amdhsa_workgroup_processor_mode 1
		.amdhsa_memory_ordered 1
		.amdhsa_forward_progress 0
		.amdhsa_shared_vgpr_count 0
		.amdhsa_exception_fp_ieee_invalid_op 0
		.amdhsa_exception_fp_denorm_src 0
		.amdhsa_exception_fp_ieee_div_zero 0
		.amdhsa_exception_fp_ieee_overflow 0
		.amdhsa_exception_fp_ieee_underflow 0
		.amdhsa_exception_fp_ieee_inexact 0
		.amdhsa_exception_int_div_zero 0
	.end_amdhsa_kernel
	.section	.text._ZN7rocprim17ROCPRIM_400000_NS6detail17trampoline_kernelINS0_14default_configENS1_35adjacent_difference_config_selectorILb0ElEEZNS1_24adjacent_difference_implIS3_Lb0ELb0EPlS7_ZN2at6native12_GLOBAL__N_124unique_dim_cuda_templateIN3c108BFloat16EEESt5tupleIJNS8_6TensorESF_SF_EERKSF_lbbbEUlllE1_EE10hipError_tPvRmT2_T3_mT4_P12ihipStream_tbEUlT_E_NS1_11comp_targetILNS1_3genE8ELNS1_11target_archE1030ELNS1_3gpuE2ELNS1_3repE0EEENS1_30default_config_static_selectorELNS0_4arch9wavefront6targetE0EEEvT1_,"axG",@progbits,_ZN7rocprim17ROCPRIM_400000_NS6detail17trampoline_kernelINS0_14default_configENS1_35adjacent_difference_config_selectorILb0ElEEZNS1_24adjacent_difference_implIS3_Lb0ELb0EPlS7_ZN2at6native12_GLOBAL__N_124unique_dim_cuda_templateIN3c108BFloat16EEESt5tupleIJNS8_6TensorESF_SF_EERKSF_lbbbEUlllE1_EE10hipError_tPvRmT2_T3_mT4_P12ihipStream_tbEUlT_E_NS1_11comp_targetILNS1_3genE8ELNS1_11target_archE1030ELNS1_3gpuE2ELNS1_3repE0EEENS1_30default_config_static_selectorELNS0_4arch9wavefront6targetE0EEEvT1_,comdat
.Lfunc_end1155:
	.size	_ZN7rocprim17ROCPRIM_400000_NS6detail17trampoline_kernelINS0_14default_configENS1_35adjacent_difference_config_selectorILb0ElEEZNS1_24adjacent_difference_implIS3_Lb0ELb0EPlS7_ZN2at6native12_GLOBAL__N_124unique_dim_cuda_templateIN3c108BFloat16EEESt5tupleIJNS8_6TensorESF_SF_EERKSF_lbbbEUlllE1_EE10hipError_tPvRmT2_T3_mT4_P12ihipStream_tbEUlT_E_NS1_11comp_targetILNS1_3genE8ELNS1_11target_archE1030ELNS1_3gpuE2ELNS1_3repE0EEENS1_30default_config_static_selectorELNS0_4arch9wavefront6targetE0EEEvT1_, .Lfunc_end1155-_ZN7rocprim17ROCPRIM_400000_NS6detail17trampoline_kernelINS0_14default_configENS1_35adjacent_difference_config_selectorILb0ElEEZNS1_24adjacent_difference_implIS3_Lb0ELb0EPlS7_ZN2at6native12_GLOBAL__N_124unique_dim_cuda_templateIN3c108BFloat16EEESt5tupleIJNS8_6TensorESF_SF_EERKSF_lbbbEUlllE1_EE10hipError_tPvRmT2_T3_mT4_P12ihipStream_tbEUlT_E_NS1_11comp_targetILNS1_3genE8ELNS1_11target_archE1030ELNS1_3gpuE2ELNS1_3repE0EEENS1_30default_config_static_selectorELNS0_4arch9wavefront6targetE0EEEvT1_
                                        ; -- End function
	.section	.AMDGPU.csdata,"",@progbits
; Kernel info:
; codeLenInByte = 0
; NumSgprs: 0
; NumVgprs: 0
; ScratchSize: 0
; MemoryBound: 0
; FloatMode: 240
; IeeeMode: 1
; LDSByteSize: 0 bytes/workgroup (compile time only)
; SGPRBlocks: 0
; VGPRBlocks: 0
; NumSGPRsForWavesPerEU: 1
; NumVGPRsForWavesPerEU: 1
; Occupancy: 16
; WaveLimiterHint : 0
; COMPUTE_PGM_RSRC2:SCRATCH_EN: 0
; COMPUTE_PGM_RSRC2:USER_SGPR: 15
; COMPUTE_PGM_RSRC2:TRAP_HANDLER: 0
; COMPUTE_PGM_RSRC2:TGID_X_EN: 1
; COMPUTE_PGM_RSRC2:TGID_Y_EN: 0
; COMPUTE_PGM_RSRC2:TGID_Z_EN: 0
; COMPUTE_PGM_RSRC2:TIDIG_COMP_CNT: 0
	.section	.text._ZN7rocprim17ROCPRIM_400000_NS6detail17trampoline_kernelINS0_14default_configENS1_25transform_config_selectorIlLb0EEEZNS1_14transform_implILb0ES3_S5_NS0_18transform_iteratorINS0_17counting_iteratorImlEEZNS1_24adjacent_difference_implIS3_Lb1ELb0EPlSB_ZN2at6native12_GLOBAL__N_124unique_dim_cuda_templateIN3c108BFloat16EEESt5tupleIJNSC_6TensorESJ_SJ_EERKSJ_lbbbEUlllE1_EE10hipError_tPvRmT2_T3_mT4_P12ihipStream_tbEUlmE_lEESB_NS0_8identityIvEEEESO_SR_SS_mST_SV_bEUlT_E_NS1_11comp_targetILNS1_3genE0ELNS1_11target_archE4294967295ELNS1_3gpuE0ELNS1_3repE0EEENS1_30default_config_static_selectorELNS0_4arch9wavefront6targetE0EEEvT1_,"axG",@progbits,_ZN7rocprim17ROCPRIM_400000_NS6detail17trampoline_kernelINS0_14default_configENS1_25transform_config_selectorIlLb0EEEZNS1_14transform_implILb0ES3_S5_NS0_18transform_iteratorINS0_17counting_iteratorImlEEZNS1_24adjacent_difference_implIS3_Lb1ELb0EPlSB_ZN2at6native12_GLOBAL__N_124unique_dim_cuda_templateIN3c108BFloat16EEESt5tupleIJNSC_6TensorESJ_SJ_EERKSJ_lbbbEUlllE1_EE10hipError_tPvRmT2_T3_mT4_P12ihipStream_tbEUlmE_lEESB_NS0_8identityIvEEEESO_SR_SS_mST_SV_bEUlT_E_NS1_11comp_targetILNS1_3genE0ELNS1_11target_archE4294967295ELNS1_3gpuE0ELNS1_3repE0EEENS1_30default_config_static_selectorELNS0_4arch9wavefront6targetE0EEEvT1_,comdat
	.globl	_ZN7rocprim17ROCPRIM_400000_NS6detail17trampoline_kernelINS0_14default_configENS1_25transform_config_selectorIlLb0EEEZNS1_14transform_implILb0ES3_S5_NS0_18transform_iteratorINS0_17counting_iteratorImlEEZNS1_24adjacent_difference_implIS3_Lb1ELb0EPlSB_ZN2at6native12_GLOBAL__N_124unique_dim_cuda_templateIN3c108BFloat16EEESt5tupleIJNSC_6TensorESJ_SJ_EERKSJ_lbbbEUlllE1_EE10hipError_tPvRmT2_T3_mT4_P12ihipStream_tbEUlmE_lEESB_NS0_8identityIvEEEESO_SR_SS_mST_SV_bEUlT_E_NS1_11comp_targetILNS1_3genE0ELNS1_11target_archE4294967295ELNS1_3gpuE0ELNS1_3repE0EEENS1_30default_config_static_selectorELNS0_4arch9wavefront6targetE0EEEvT1_ ; -- Begin function _ZN7rocprim17ROCPRIM_400000_NS6detail17trampoline_kernelINS0_14default_configENS1_25transform_config_selectorIlLb0EEEZNS1_14transform_implILb0ES3_S5_NS0_18transform_iteratorINS0_17counting_iteratorImlEEZNS1_24adjacent_difference_implIS3_Lb1ELb0EPlSB_ZN2at6native12_GLOBAL__N_124unique_dim_cuda_templateIN3c108BFloat16EEESt5tupleIJNSC_6TensorESJ_SJ_EERKSJ_lbbbEUlllE1_EE10hipError_tPvRmT2_T3_mT4_P12ihipStream_tbEUlmE_lEESB_NS0_8identityIvEEEESO_SR_SS_mST_SV_bEUlT_E_NS1_11comp_targetILNS1_3genE0ELNS1_11target_archE4294967295ELNS1_3gpuE0ELNS1_3repE0EEENS1_30default_config_static_selectorELNS0_4arch9wavefront6targetE0EEEvT1_
	.p2align	8
	.type	_ZN7rocprim17ROCPRIM_400000_NS6detail17trampoline_kernelINS0_14default_configENS1_25transform_config_selectorIlLb0EEEZNS1_14transform_implILb0ES3_S5_NS0_18transform_iteratorINS0_17counting_iteratorImlEEZNS1_24adjacent_difference_implIS3_Lb1ELb0EPlSB_ZN2at6native12_GLOBAL__N_124unique_dim_cuda_templateIN3c108BFloat16EEESt5tupleIJNSC_6TensorESJ_SJ_EERKSJ_lbbbEUlllE1_EE10hipError_tPvRmT2_T3_mT4_P12ihipStream_tbEUlmE_lEESB_NS0_8identityIvEEEESO_SR_SS_mST_SV_bEUlT_E_NS1_11comp_targetILNS1_3genE0ELNS1_11target_archE4294967295ELNS1_3gpuE0ELNS1_3repE0EEENS1_30default_config_static_selectorELNS0_4arch9wavefront6targetE0EEEvT1_,@function
_ZN7rocprim17ROCPRIM_400000_NS6detail17trampoline_kernelINS0_14default_configENS1_25transform_config_selectorIlLb0EEEZNS1_14transform_implILb0ES3_S5_NS0_18transform_iteratorINS0_17counting_iteratorImlEEZNS1_24adjacent_difference_implIS3_Lb1ELb0EPlSB_ZN2at6native12_GLOBAL__N_124unique_dim_cuda_templateIN3c108BFloat16EEESt5tupleIJNSC_6TensorESJ_SJ_EERKSJ_lbbbEUlllE1_EE10hipError_tPvRmT2_T3_mT4_P12ihipStream_tbEUlmE_lEESB_NS0_8identityIvEEEESO_SR_SS_mST_SV_bEUlT_E_NS1_11comp_targetILNS1_3genE0ELNS1_11target_archE4294967295ELNS1_3gpuE0ELNS1_3repE0EEENS1_30default_config_static_selectorELNS0_4arch9wavefront6targetE0EEEvT1_: ; @_ZN7rocprim17ROCPRIM_400000_NS6detail17trampoline_kernelINS0_14default_configENS1_25transform_config_selectorIlLb0EEEZNS1_14transform_implILb0ES3_S5_NS0_18transform_iteratorINS0_17counting_iteratorImlEEZNS1_24adjacent_difference_implIS3_Lb1ELb0EPlSB_ZN2at6native12_GLOBAL__N_124unique_dim_cuda_templateIN3c108BFloat16EEESt5tupleIJNSC_6TensorESJ_SJ_EERKSJ_lbbbEUlllE1_EE10hipError_tPvRmT2_T3_mT4_P12ihipStream_tbEUlmE_lEESB_NS0_8identityIvEEEESO_SR_SS_mST_SV_bEUlT_E_NS1_11comp_targetILNS1_3genE0ELNS1_11target_archE4294967295ELNS1_3gpuE0ELNS1_3repE0EEENS1_30default_config_static_selectorELNS0_4arch9wavefront6targetE0EEEvT1_
; %bb.0:
	.section	.rodata,"a",@progbits
	.p2align	6, 0x0
	.amdhsa_kernel _ZN7rocprim17ROCPRIM_400000_NS6detail17trampoline_kernelINS0_14default_configENS1_25transform_config_selectorIlLb0EEEZNS1_14transform_implILb0ES3_S5_NS0_18transform_iteratorINS0_17counting_iteratorImlEEZNS1_24adjacent_difference_implIS3_Lb1ELb0EPlSB_ZN2at6native12_GLOBAL__N_124unique_dim_cuda_templateIN3c108BFloat16EEESt5tupleIJNSC_6TensorESJ_SJ_EERKSJ_lbbbEUlllE1_EE10hipError_tPvRmT2_T3_mT4_P12ihipStream_tbEUlmE_lEESB_NS0_8identityIvEEEESO_SR_SS_mST_SV_bEUlT_E_NS1_11comp_targetILNS1_3genE0ELNS1_11target_archE4294967295ELNS1_3gpuE0ELNS1_3repE0EEENS1_30default_config_static_selectorELNS0_4arch9wavefront6targetE0EEEvT1_
		.amdhsa_group_segment_fixed_size 0
		.amdhsa_private_segment_fixed_size 0
		.amdhsa_kernarg_size 56
		.amdhsa_user_sgpr_count 15
		.amdhsa_user_sgpr_dispatch_ptr 0
		.amdhsa_user_sgpr_queue_ptr 0
		.amdhsa_user_sgpr_kernarg_segment_ptr 1
		.amdhsa_user_sgpr_dispatch_id 0
		.amdhsa_user_sgpr_private_segment_size 0
		.amdhsa_wavefront_size32 1
		.amdhsa_uses_dynamic_stack 0
		.amdhsa_enable_private_segment 0
		.amdhsa_system_sgpr_workgroup_id_x 1
		.amdhsa_system_sgpr_workgroup_id_y 0
		.amdhsa_system_sgpr_workgroup_id_z 0
		.amdhsa_system_sgpr_workgroup_info 0
		.amdhsa_system_vgpr_workitem_id 0
		.amdhsa_next_free_vgpr 1
		.amdhsa_next_free_sgpr 1
		.amdhsa_reserve_vcc 0
		.amdhsa_float_round_mode_32 0
		.amdhsa_float_round_mode_16_64 0
		.amdhsa_float_denorm_mode_32 3
		.amdhsa_float_denorm_mode_16_64 3
		.amdhsa_dx10_clamp 1
		.amdhsa_ieee_mode 1
		.amdhsa_fp16_overflow 0
		.amdhsa_workgroup_processor_mode 1
		.amdhsa_memory_ordered 1
		.amdhsa_forward_progress 0
		.amdhsa_shared_vgpr_count 0
		.amdhsa_exception_fp_ieee_invalid_op 0
		.amdhsa_exception_fp_denorm_src 0
		.amdhsa_exception_fp_ieee_div_zero 0
		.amdhsa_exception_fp_ieee_overflow 0
		.amdhsa_exception_fp_ieee_underflow 0
		.amdhsa_exception_fp_ieee_inexact 0
		.amdhsa_exception_int_div_zero 0
	.end_amdhsa_kernel
	.section	.text._ZN7rocprim17ROCPRIM_400000_NS6detail17trampoline_kernelINS0_14default_configENS1_25transform_config_selectorIlLb0EEEZNS1_14transform_implILb0ES3_S5_NS0_18transform_iteratorINS0_17counting_iteratorImlEEZNS1_24adjacent_difference_implIS3_Lb1ELb0EPlSB_ZN2at6native12_GLOBAL__N_124unique_dim_cuda_templateIN3c108BFloat16EEESt5tupleIJNSC_6TensorESJ_SJ_EERKSJ_lbbbEUlllE1_EE10hipError_tPvRmT2_T3_mT4_P12ihipStream_tbEUlmE_lEESB_NS0_8identityIvEEEESO_SR_SS_mST_SV_bEUlT_E_NS1_11comp_targetILNS1_3genE0ELNS1_11target_archE4294967295ELNS1_3gpuE0ELNS1_3repE0EEENS1_30default_config_static_selectorELNS0_4arch9wavefront6targetE0EEEvT1_,"axG",@progbits,_ZN7rocprim17ROCPRIM_400000_NS6detail17trampoline_kernelINS0_14default_configENS1_25transform_config_selectorIlLb0EEEZNS1_14transform_implILb0ES3_S5_NS0_18transform_iteratorINS0_17counting_iteratorImlEEZNS1_24adjacent_difference_implIS3_Lb1ELb0EPlSB_ZN2at6native12_GLOBAL__N_124unique_dim_cuda_templateIN3c108BFloat16EEESt5tupleIJNSC_6TensorESJ_SJ_EERKSJ_lbbbEUlllE1_EE10hipError_tPvRmT2_T3_mT4_P12ihipStream_tbEUlmE_lEESB_NS0_8identityIvEEEESO_SR_SS_mST_SV_bEUlT_E_NS1_11comp_targetILNS1_3genE0ELNS1_11target_archE4294967295ELNS1_3gpuE0ELNS1_3repE0EEENS1_30default_config_static_selectorELNS0_4arch9wavefront6targetE0EEEvT1_,comdat
.Lfunc_end1156:
	.size	_ZN7rocprim17ROCPRIM_400000_NS6detail17trampoline_kernelINS0_14default_configENS1_25transform_config_selectorIlLb0EEEZNS1_14transform_implILb0ES3_S5_NS0_18transform_iteratorINS0_17counting_iteratorImlEEZNS1_24adjacent_difference_implIS3_Lb1ELb0EPlSB_ZN2at6native12_GLOBAL__N_124unique_dim_cuda_templateIN3c108BFloat16EEESt5tupleIJNSC_6TensorESJ_SJ_EERKSJ_lbbbEUlllE1_EE10hipError_tPvRmT2_T3_mT4_P12ihipStream_tbEUlmE_lEESB_NS0_8identityIvEEEESO_SR_SS_mST_SV_bEUlT_E_NS1_11comp_targetILNS1_3genE0ELNS1_11target_archE4294967295ELNS1_3gpuE0ELNS1_3repE0EEENS1_30default_config_static_selectorELNS0_4arch9wavefront6targetE0EEEvT1_, .Lfunc_end1156-_ZN7rocprim17ROCPRIM_400000_NS6detail17trampoline_kernelINS0_14default_configENS1_25transform_config_selectorIlLb0EEEZNS1_14transform_implILb0ES3_S5_NS0_18transform_iteratorINS0_17counting_iteratorImlEEZNS1_24adjacent_difference_implIS3_Lb1ELb0EPlSB_ZN2at6native12_GLOBAL__N_124unique_dim_cuda_templateIN3c108BFloat16EEESt5tupleIJNSC_6TensorESJ_SJ_EERKSJ_lbbbEUlllE1_EE10hipError_tPvRmT2_T3_mT4_P12ihipStream_tbEUlmE_lEESB_NS0_8identityIvEEEESO_SR_SS_mST_SV_bEUlT_E_NS1_11comp_targetILNS1_3genE0ELNS1_11target_archE4294967295ELNS1_3gpuE0ELNS1_3repE0EEENS1_30default_config_static_selectorELNS0_4arch9wavefront6targetE0EEEvT1_
                                        ; -- End function
	.section	.AMDGPU.csdata,"",@progbits
; Kernel info:
; codeLenInByte = 0
; NumSgprs: 0
; NumVgprs: 0
; ScratchSize: 0
; MemoryBound: 0
; FloatMode: 240
; IeeeMode: 1
; LDSByteSize: 0 bytes/workgroup (compile time only)
; SGPRBlocks: 0
; VGPRBlocks: 0
; NumSGPRsForWavesPerEU: 1
; NumVGPRsForWavesPerEU: 1
; Occupancy: 16
; WaveLimiterHint : 0
; COMPUTE_PGM_RSRC2:SCRATCH_EN: 0
; COMPUTE_PGM_RSRC2:USER_SGPR: 15
; COMPUTE_PGM_RSRC2:TRAP_HANDLER: 0
; COMPUTE_PGM_RSRC2:TGID_X_EN: 1
; COMPUTE_PGM_RSRC2:TGID_Y_EN: 0
; COMPUTE_PGM_RSRC2:TGID_Z_EN: 0
; COMPUTE_PGM_RSRC2:TIDIG_COMP_CNT: 0
	.section	.text._ZN7rocprim17ROCPRIM_400000_NS6detail17trampoline_kernelINS0_14default_configENS1_25transform_config_selectorIlLb0EEEZNS1_14transform_implILb0ES3_S5_NS0_18transform_iteratorINS0_17counting_iteratorImlEEZNS1_24adjacent_difference_implIS3_Lb1ELb0EPlSB_ZN2at6native12_GLOBAL__N_124unique_dim_cuda_templateIN3c108BFloat16EEESt5tupleIJNSC_6TensorESJ_SJ_EERKSJ_lbbbEUlllE1_EE10hipError_tPvRmT2_T3_mT4_P12ihipStream_tbEUlmE_lEESB_NS0_8identityIvEEEESO_SR_SS_mST_SV_bEUlT_E_NS1_11comp_targetILNS1_3genE5ELNS1_11target_archE942ELNS1_3gpuE9ELNS1_3repE0EEENS1_30default_config_static_selectorELNS0_4arch9wavefront6targetE0EEEvT1_,"axG",@progbits,_ZN7rocprim17ROCPRIM_400000_NS6detail17trampoline_kernelINS0_14default_configENS1_25transform_config_selectorIlLb0EEEZNS1_14transform_implILb0ES3_S5_NS0_18transform_iteratorINS0_17counting_iteratorImlEEZNS1_24adjacent_difference_implIS3_Lb1ELb0EPlSB_ZN2at6native12_GLOBAL__N_124unique_dim_cuda_templateIN3c108BFloat16EEESt5tupleIJNSC_6TensorESJ_SJ_EERKSJ_lbbbEUlllE1_EE10hipError_tPvRmT2_T3_mT4_P12ihipStream_tbEUlmE_lEESB_NS0_8identityIvEEEESO_SR_SS_mST_SV_bEUlT_E_NS1_11comp_targetILNS1_3genE5ELNS1_11target_archE942ELNS1_3gpuE9ELNS1_3repE0EEENS1_30default_config_static_selectorELNS0_4arch9wavefront6targetE0EEEvT1_,comdat
	.globl	_ZN7rocprim17ROCPRIM_400000_NS6detail17trampoline_kernelINS0_14default_configENS1_25transform_config_selectorIlLb0EEEZNS1_14transform_implILb0ES3_S5_NS0_18transform_iteratorINS0_17counting_iteratorImlEEZNS1_24adjacent_difference_implIS3_Lb1ELb0EPlSB_ZN2at6native12_GLOBAL__N_124unique_dim_cuda_templateIN3c108BFloat16EEESt5tupleIJNSC_6TensorESJ_SJ_EERKSJ_lbbbEUlllE1_EE10hipError_tPvRmT2_T3_mT4_P12ihipStream_tbEUlmE_lEESB_NS0_8identityIvEEEESO_SR_SS_mST_SV_bEUlT_E_NS1_11comp_targetILNS1_3genE5ELNS1_11target_archE942ELNS1_3gpuE9ELNS1_3repE0EEENS1_30default_config_static_selectorELNS0_4arch9wavefront6targetE0EEEvT1_ ; -- Begin function _ZN7rocprim17ROCPRIM_400000_NS6detail17trampoline_kernelINS0_14default_configENS1_25transform_config_selectorIlLb0EEEZNS1_14transform_implILb0ES3_S5_NS0_18transform_iteratorINS0_17counting_iteratorImlEEZNS1_24adjacent_difference_implIS3_Lb1ELb0EPlSB_ZN2at6native12_GLOBAL__N_124unique_dim_cuda_templateIN3c108BFloat16EEESt5tupleIJNSC_6TensorESJ_SJ_EERKSJ_lbbbEUlllE1_EE10hipError_tPvRmT2_T3_mT4_P12ihipStream_tbEUlmE_lEESB_NS0_8identityIvEEEESO_SR_SS_mST_SV_bEUlT_E_NS1_11comp_targetILNS1_3genE5ELNS1_11target_archE942ELNS1_3gpuE9ELNS1_3repE0EEENS1_30default_config_static_selectorELNS0_4arch9wavefront6targetE0EEEvT1_
	.p2align	8
	.type	_ZN7rocprim17ROCPRIM_400000_NS6detail17trampoline_kernelINS0_14default_configENS1_25transform_config_selectorIlLb0EEEZNS1_14transform_implILb0ES3_S5_NS0_18transform_iteratorINS0_17counting_iteratorImlEEZNS1_24adjacent_difference_implIS3_Lb1ELb0EPlSB_ZN2at6native12_GLOBAL__N_124unique_dim_cuda_templateIN3c108BFloat16EEESt5tupleIJNSC_6TensorESJ_SJ_EERKSJ_lbbbEUlllE1_EE10hipError_tPvRmT2_T3_mT4_P12ihipStream_tbEUlmE_lEESB_NS0_8identityIvEEEESO_SR_SS_mST_SV_bEUlT_E_NS1_11comp_targetILNS1_3genE5ELNS1_11target_archE942ELNS1_3gpuE9ELNS1_3repE0EEENS1_30default_config_static_selectorELNS0_4arch9wavefront6targetE0EEEvT1_,@function
_ZN7rocprim17ROCPRIM_400000_NS6detail17trampoline_kernelINS0_14default_configENS1_25transform_config_selectorIlLb0EEEZNS1_14transform_implILb0ES3_S5_NS0_18transform_iteratorINS0_17counting_iteratorImlEEZNS1_24adjacent_difference_implIS3_Lb1ELb0EPlSB_ZN2at6native12_GLOBAL__N_124unique_dim_cuda_templateIN3c108BFloat16EEESt5tupleIJNSC_6TensorESJ_SJ_EERKSJ_lbbbEUlllE1_EE10hipError_tPvRmT2_T3_mT4_P12ihipStream_tbEUlmE_lEESB_NS0_8identityIvEEEESO_SR_SS_mST_SV_bEUlT_E_NS1_11comp_targetILNS1_3genE5ELNS1_11target_archE942ELNS1_3gpuE9ELNS1_3repE0EEENS1_30default_config_static_selectorELNS0_4arch9wavefront6targetE0EEEvT1_: ; @_ZN7rocprim17ROCPRIM_400000_NS6detail17trampoline_kernelINS0_14default_configENS1_25transform_config_selectorIlLb0EEEZNS1_14transform_implILb0ES3_S5_NS0_18transform_iteratorINS0_17counting_iteratorImlEEZNS1_24adjacent_difference_implIS3_Lb1ELb0EPlSB_ZN2at6native12_GLOBAL__N_124unique_dim_cuda_templateIN3c108BFloat16EEESt5tupleIJNSC_6TensorESJ_SJ_EERKSJ_lbbbEUlllE1_EE10hipError_tPvRmT2_T3_mT4_P12ihipStream_tbEUlmE_lEESB_NS0_8identityIvEEEESO_SR_SS_mST_SV_bEUlT_E_NS1_11comp_targetILNS1_3genE5ELNS1_11target_archE942ELNS1_3gpuE9ELNS1_3repE0EEENS1_30default_config_static_selectorELNS0_4arch9wavefront6targetE0EEEvT1_
; %bb.0:
	.section	.rodata,"a",@progbits
	.p2align	6, 0x0
	.amdhsa_kernel _ZN7rocprim17ROCPRIM_400000_NS6detail17trampoline_kernelINS0_14default_configENS1_25transform_config_selectorIlLb0EEEZNS1_14transform_implILb0ES3_S5_NS0_18transform_iteratorINS0_17counting_iteratorImlEEZNS1_24adjacent_difference_implIS3_Lb1ELb0EPlSB_ZN2at6native12_GLOBAL__N_124unique_dim_cuda_templateIN3c108BFloat16EEESt5tupleIJNSC_6TensorESJ_SJ_EERKSJ_lbbbEUlllE1_EE10hipError_tPvRmT2_T3_mT4_P12ihipStream_tbEUlmE_lEESB_NS0_8identityIvEEEESO_SR_SS_mST_SV_bEUlT_E_NS1_11comp_targetILNS1_3genE5ELNS1_11target_archE942ELNS1_3gpuE9ELNS1_3repE0EEENS1_30default_config_static_selectorELNS0_4arch9wavefront6targetE0EEEvT1_
		.amdhsa_group_segment_fixed_size 0
		.amdhsa_private_segment_fixed_size 0
		.amdhsa_kernarg_size 56
		.amdhsa_user_sgpr_count 15
		.amdhsa_user_sgpr_dispatch_ptr 0
		.amdhsa_user_sgpr_queue_ptr 0
		.amdhsa_user_sgpr_kernarg_segment_ptr 1
		.amdhsa_user_sgpr_dispatch_id 0
		.amdhsa_user_sgpr_private_segment_size 0
		.amdhsa_wavefront_size32 1
		.amdhsa_uses_dynamic_stack 0
		.amdhsa_enable_private_segment 0
		.amdhsa_system_sgpr_workgroup_id_x 1
		.amdhsa_system_sgpr_workgroup_id_y 0
		.amdhsa_system_sgpr_workgroup_id_z 0
		.amdhsa_system_sgpr_workgroup_info 0
		.amdhsa_system_vgpr_workitem_id 0
		.amdhsa_next_free_vgpr 1
		.amdhsa_next_free_sgpr 1
		.amdhsa_reserve_vcc 0
		.amdhsa_float_round_mode_32 0
		.amdhsa_float_round_mode_16_64 0
		.amdhsa_float_denorm_mode_32 3
		.amdhsa_float_denorm_mode_16_64 3
		.amdhsa_dx10_clamp 1
		.amdhsa_ieee_mode 1
		.amdhsa_fp16_overflow 0
		.amdhsa_workgroup_processor_mode 1
		.amdhsa_memory_ordered 1
		.amdhsa_forward_progress 0
		.amdhsa_shared_vgpr_count 0
		.amdhsa_exception_fp_ieee_invalid_op 0
		.amdhsa_exception_fp_denorm_src 0
		.amdhsa_exception_fp_ieee_div_zero 0
		.amdhsa_exception_fp_ieee_overflow 0
		.amdhsa_exception_fp_ieee_underflow 0
		.amdhsa_exception_fp_ieee_inexact 0
		.amdhsa_exception_int_div_zero 0
	.end_amdhsa_kernel
	.section	.text._ZN7rocprim17ROCPRIM_400000_NS6detail17trampoline_kernelINS0_14default_configENS1_25transform_config_selectorIlLb0EEEZNS1_14transform_implILb0ES3_S5_NS0_18transform_iteratorINS0_17counting_iteratorImlEEZNS1_24adjacent_difference_implIS3_Lb1ELb0EPlSB_ZN2at6native12_GLOBAL__N_124unique_dim_cuda_templateIN3c108BFloat16EEESt5tupleIJNSC_6TensorESJ_SJ_EERKSJ_lbbbEUlllE1_EE10hipError_tPvRmT2_T3_mT4_P12ihipStream_tbEUlmE_lEESB_NS0_8identityIvEEEESO_SR_SS_mST_SV_bEUlT_E_NS1_11comp_targetILNS1_3genE5ELNS1_11target_archE942ELNS1_3gpuE9ELNS1_3repE0EEENS1_30default_config_static_selectorELNS0_4arch9wavefront6targetE0EEEvT1_,"axG",@progbits,_ZN7rocprim17ROCPRIM_400000_NS6detail17trampoline_kernelINS0_14default_configENS1_25transform_config_selectorIlLb0EEEZNS1_14transform_implILb0ES3_S5_NS0_18transform_iteratorINS0_17counting_iteratorImlEEZNS1_24adjacent_difference_implIS3_Lb1ELb0EPlSB_ZN2at6native12_GLOBAL__N_124unique_dim_cuda_templateIN3c108BFloat16EEESt5tupleIJNSC_6TensorESJ_SJ_EERKSJ_lbbbEUlllE1_EE10hipError_tPvRmT2_T3_mT4_P12ihipStream_tbEUlmE_lEESB_NS0_8identityIvEEEESO_SR_SS_mST_SV_bEUlT_E_NS1_11comp_targetILNS1_3genE5ELNS1_11target_archE942ELNS1_3gpuE9ELNS1_3repE0EEENS1_30default_config_static_selectorELNS0_4arch9wavefront6targetE0EEEvT1_,comdat
.Lfunc_end1157:
	.size	_ZN7rocprim17ROCPRIM_400000_NS6detail17trampoline_kernelINS0_14default_configENS1_25transform_config_selectorIlLb0EEEZNS1_14transform_implILb0ES3_S5_NS0_18transform_iteratorINS0_17counting_iteratorImlEEZNS1_24adjacent_difference_implIS3_Lb1ELb0EPlSB_ZN2at6native12_GLOBAL__N_124unique_dim_cuda_templateIN3c108BFloat16EEESt5tupleIJNSC_6TensorESJ_SJ_EERKSJ_lbbbEUlllE1_EE10hipError_tPvRmT2_T3_mT4_P12ihipStream_tbEUlmE_lEESB_NS0_8identityIvEEEESO_SR_SS_mST_SV_bEUlT_E_NS1_11comp_targetILNS1_3genE5ELNS1_11target_archE942ELNS1_3gpuE9ELNS1_3repE0EEENS1_30default_config_static_selectorELNS0_4arch9wavefront6targetE0EEEvT1_, .Lfunc_end1157-_ZN7rocprim17ROCPRIM_400000_NS6detail17trampoline_kernelINS0_14default_configENS1_25transform_config_selectorIlLb0EEEZNS1_14transform_implILb0ES3_S5_NS0_18transform_iteratorINS0_17counting_iteratorImlEEZNS1_24adjacent_difference_implIS3_Lb1ELb0EPlSB_ZN2at6native12_GLOBAL__N_124unique_dim_cuda_templateIN3c108BFloat16EEESt5tupleIJNSC_6TensorESJ_SJ_EERKSJ_lbbbEUlllE1_EE10hipError_tPvRmT2_T3_mT4_P12ihipStream_tbEUlmE_lEESB_NS0_8identityIvEEEESO_SR_SS_mST_SV_bEUlT_E_NS1_11comp_targetILNS1_3genE5ELNS1_11target_archE942ELNS1_3gpuE9ELNS1_3repE0EEENS1_30default_config_static_selectorELNS0_4arch9wavefront6targetE0EEEvT1_
                                        ; -- End function
	.section	.AMDGPU.csdata,"",@progbits
; Kernel info:
; codeLenInByte = 0
; NumSgprs: 0
; NumVgprs: 0
; ScratchSize: 0
; MemoryBound: 0
; FloatMode: 240
; IeeeMode: 1
; LDSByteSize: 0 bytes/workgroup (compile time only)
; SGPRBlocks: 0
; VGPRBlocks: 0
; NumSGPRsForWavesPerEU: 1
; NumVGPRsForWavesPerEU: 1
; Occupancy: 16
; WaveLimiterHint : 0
; COMPUTE_PGM_RSRC2:SCRATCH_EN: 0
; COMPUTE_PGM_RSRC2:USER_SGPR: 15
; COMPUTE_PGM_RSRC2:TRAP_HANDLER: 0
; COMPUTE_PGM_RSRC2:TGID_X_EN: 1
; COMPUTE_PGM_RSRC2:TGID_Y_EN: 0
; COMPUTE_PGM_RSRC2:TGID_Z_EN: 0
; COMPUTE_PGM_RSRC2:TIDIG_COMP_CNT: 0
	.section	.text._ZN7rocprim17ROCPRIM_400000_NS6detail17trampoline_kernelINS0_14default_configENS1_25transform_config_selectorIlLb0EEEZNS1_14transform_implILb0ES3_S5_NS0_18transform_iteratorINS0_17counting_iteratorImlEEZNS1_24adjacent_difference_implIS3_Lb1ELb0EPlSB_ZN2at6native12_GLOBAL__N_124unique_dim_cuda_templateIN3c108BFloat16EEESt5tupleIJNSC_6TensorESJ_SJ_EERKSJ_lbbbEUlllE1_EE10hipError_tPvRmT2_T3_mT4_P12ihipStream_tbEUlmE_lEESB_NS0_8identityIvEEEESO_SR_SS_mST_SV_bEUlT_E_NS1_11comp_targetILNS1_3genE4ELNS1_11target_archE910ELNS1_3gpuE8ELNS1_3repE0EEENS1_30default_config_static_selectorELNS0_4arch9wavefront6targetE0EEEvT1_,"axG",@progbits,_ZN7rocprim17ROCPRIM_400000_NS6detail17trampoline_kernelINS0_14default_configENS1_25transform_config_selectorIlLb0EEEZNS1_14transform_implILb0ES3_S5_NS0_18transform_iteratorINS0_17counting_iteratorImlEEZNS1_24adjacent_difference_implIS3_Lb1ELb0EPlSB_ZN2at6native12_GLOBAL__N_124unique_dim_cuda_templateIN3c108BFloat16EEESt5tupleIJNSC_6TensorESJ_SJ_EERKSJ_lbbbEUlllE1_EE10hipError_tPvRmT2_T3_mT4_P12ihipStream_tbEUlmE_lEESB_NS0_8identityIvEEEESO_SR_SS_mST_SV_bEUlT_E_NS1_11comp_targetILNS1_3genE4ELNS1_11target_archE910ELNS1_3gpuE8ELNS1_3repE0EEENS1_30default_config_static_selectorELNS0_4arch9wavefront6targetE0EEEvT1_,comdat
	.globl	_ZN7rocprim17ROCPRIM_400000_NS6detail17trampoline_kernelINS0_14default_configENS1_25transform_config_selectorIlLb0EEEZNS1_14transform_implILb0ES3_S5_NS0_18transform_iteratorINS0_17counting_iteratorImlEEZNS1_24adjacent_difference_implIS3_Lb1ELb0EPlSB_ZN2at6native12_GLOBAL__N_124unique_dim_cuda_templateIN3c108BFloat16EEESt5tupleIJNSC_6TensorESJ_SJ_EERKSJ_lbbbEUlllE1_EE10hipError_tPvRmT2_T3_mT4_P12ihipStream_tbEUlmE_lEESB_NS0_8identityIvEEEESO_SR_SS_mST_SV_bEUlT_E_NS1_11comp_targetILNS1_3genE4ELNS1_11target_archE910ELNS1_3gpuE8ELNS1_3repE0EEENS1_30default_config_static_selectorELNS0_4arch9wavefront6targetE0EEEvT1_ ; -- Begin function _ZN7rocprim17ROCPRIM_400000_NS6detail17trampoline_kernelINS0_14default_configENS1_25transform_config_selectorIlLb0EEEZNS1_14transform_implILb0ES3_S5_NS0_18transform_iteratorINS0_17counting_iteratorImlEEZNS1_24adjacent_difference_implIS3_Lb1ELb0EPlSB_ZN2at6native12_GLOBAL__N_124unique_dim_cuda_templateIN3c108BFloat16EEESt5tupleIJNSC_6TensorESJ_SJ_EERKSJ_lbbbEUlllE1_EE10hipError_tPvRmT2_T3_mT4_P12ihipStream_tbEUlmE_lEESB_NS0_8identityIvEEEESO_SR_SS_mST_SV_bEUlT_E_NS1_11comp_targetILNS1_3genE4ELNS1_11target_archE910ELNS1_3gpuE8ELNS1_3repE0EEENS1_30default_config_static_selectorELNS0_4arch9wavefront6targetE0EEEvT1_
	.p2align	8
	.type	_ZN7rocprim17ROCPRIM_400000_NS6detail17trampoline_kernelINS0_14default_configENS1_25transform_config_selectorIlLb0EEEZNS1_14transform_implILb0ES3_S5_NS0_18transform_iteratorINS0_17counting_iteratorImlEEZNS1_24adjacent_difference_implIS3_Lb1ELb0EPlSB_ZN2at6native12_GLOBAL__N_124unique_dim_cuda_templateIN3c108BFloat16EEESt5tupleIJNSC_6TensorESJ_SJ_EERKSJ_lbbbEUlllE1_EE10hipError_tPvRmT2_T3_mT4_P12ihipStream_tbEUlmE_lEESB_NS0_8identityIvEEEESO_SR_SS_mST_SV_bEUlT_E_NS1_11comp_targetILNS1_3genE4ELNS1_11target_archE910ELNS1_3gpuE8ELNS1_3repE0EEENS1_30default_config_static_selectorELNS0_4arch9wavefront6targetE0EEEvT1_,@function
_ZN7rocprim17ROCPRIM_400000_NS6detail17trampoline_kernelINS0_14default_configENS1_25transform_config_selectorIlLb0EEEZNS1_14transform_implILb0ES3_S5_NS0_18transform_iteratorINS0_17counting_iteratorImlEEZNS1_24adjacent_difference_implIS3_Lb1ELb0EPlSB_ZN2at6native12_GLOBAL__N_124unique_dim_cuda_templateIN3c108BFloat16EEESt5tupleIJNSC_6TensorESJ_SJ_EERKSJ_lbbbEUlllE1_EE10hipError_tPvRmT2_T3_mT4_P12ihipStream_tbEUlmE_lEESB_NS0_8identityIvEEEESO_SR_SS_mST_SV_bEUlT_E_NS1_11comp_targetILNS1_3genE4ELNS1_11target_archE910ELNS1_3gpuE8ELNS1_3repE0EEENS1_30default_config_static_selectorELNS0_4arch9wavefront6targetE0EEEvT1_: ; @_ZN7rocprim17ROCPRIM_400000_NS6detail17trampoline_kernelINS0_14default_configENS1_25transform_config_selectorIlLb0EEEZNS1_14transform_implILb0ES3_S5_NS0_18transform_iteratorINS0_17counting_iteratorImlEEZNS1_24adjacent_difference_implIS3_Lb1ELb0EPlSB_ZN2at6native12_GLOBAL__N_124unique_dim_cuda_templateIN3c108BFloat16EEESt5tupleIJNSC_6TensorESJ_SJ_EERKSJ_lbbbEUlllE1_EE10hipError_tPvRmT2_T3_mT4_P12ihipStream_tbEUlmE_lEESB_NS0_8identityIvEEEESO_SR_SS_mST_SV_bEUlT_E_NS1_11comp_targetILNS1_3genE4ELNS1_11target_archE910ELNS1_3gpuE8ELNS1_3repE0EEENS1_30default_config_static_selectorELNS0_4arch9wavefront6targetE0EEEvT1_
; %bb.0:
	.section	.rodata,"a",@progbits
	.p2align	6, 0x0
	.amdhsa_kernel _ZN7rocprim17ROCPRIM_400000_NS6detail17trampoline_kernelINS0_14default_configENS1_25transform_config_selectorIlLb0EEEZNS1_14transform_implILb0ES3_S5_NS0_18transform_iteratorINS0_17counting_iteratorImlEEZNS1_24adjacent_difference_implIS3_Lb1ELb0EPlSB_ZN2at6native12_GLOBAL__N_124unique_dim_cuda_templateIN3c108BFloat16EEESt5tupleIJNSC_6TensorESJ_SJ_EERKSJ_lbbbEUlllE1_EE10hipError_tPvRmT2_T3_mT4_P12ihipStream_tbEUlmE_lEESB_NS0_8identityIvEEEESO_SR_SS_mST_SV_bEUlT_E_NS1_11comp_targetILNS1_3genE4ELNS1_11target_archE910ELNS1_3gpuE8ELNS1_3repE0EEENS1_30default_config_static_selectorELNS0_4arch9wavefront6targetE0EEEvT1_
		.amdhsa_group_segment_fixed_size 0
		.amdhsa_private_segment_fixed_size 0
		.amdhsa_kernarg_size 56
		.amdhsa_user_sgpr_count 15
		.amdhsa_user_sgpr_dispatch_ptr 0
		.amdhsa_user_sgpr_queue_ptr 0
		.amdhsa_user_sgpr_kernarg_segment_ptr 1
		.amdhsa_user_sgpr_dispatch_id 0
		.amdhsa_user_sgpr_private_segment_size 0
		.amdhsa_wavefront_size32 1
		.amdhsa_uses_dynamic_stack 0
		.amdhsa_enable_private_segment 0
		.amdhsa_system_sgpr_workgroup_id_x 1
		.amdhsa_system_sgpr_workgroup_id_y 0
		.amdhsa_system_sgpr_workgroup_id_z 0
		.amdhsa_system_sgpr_workgroup_info 0
		.amdhsa_system_vgpr_workitem_id 0
		.amdhsa_next_free_vgpr 1
		.amdhsa_next_free_sgpr 1
		.amdhsa_reserve_vcc 0
		.amdhsa_float_round_mode_32 0
		.amdhsa_float_round_mode_16_64 0
		.amdhsa_float_denorm_mode_32 3
		.amdhsa_float_denorm_mode_16_64 3
		.amdhsa_dx10_clamp 1
		.amdhsa_ieee_mode 1
		.amdhsa_fp16_overflow 0
		.amdhsa_workgroup_processor_mode 1
		.amdhsa_memory_ordered 1
		.amdhsa_forward_progress 0
		.amdhsa_shared_vgpr_count 0
		.amdhsa_exception_fp_ieee_invalid_op 0
		.amdhsa_exception_fp_denorm_src 0
		.amdhsa_exception_fp_ieee_div_zero 0
		.amdhsa_exception_fp_ieee_overflow 0
		.amdhsa_exception_fp_ieee_underflow 0
		.amdhsa_exception_fp_ieee_inexact 0
		.amdhsa_exception_int_div_zero 0
	.end_amdhsa_kernel
	.section	.text._ZN7rocprim17ROCPRIM_400000_NS6detail17trampoline_kernelINS0_14default_configENS1_25transform_config_selectorIlLb0EEEZNS1_14transform_implILb0ES3_S5_NS0_18transform_iteratorINS0_17counting_iteratorImlEEZNS1_24adjacent_difference_implIS3_Lb1ELb0EPlSB_ZN2at6native12_GLOBAL__N_124unique_dim_cuda_templateIN3c108BFloat16EEESt5tupleIJNSC_6TensorESJ_SJ_EERKSJ_lbbbEUlllE1_EE10hipError_tPvRmT2_T3_mT4_P12ihipStream_tbEUlmE_lEESB_NS0_8identityIvEEEESO_SR_SS_mST_SV_bEUlT_E_NS1_11comp_targetILNS1_3genE4ELNS1_11target_archE910ELNS1_3gpuE8ELNS1_3repE0EEENS1_30default_config_static_selectorELNS0_4arch9wavefront6targetE0EEEvT1_,"axG",@progbits,_ZN7rocprim17ROCPRIM_400000_NS6detail17trampoline_kernelINS0_14default_configENS1_25transform_config_selectorIlLb0EEEZNS1_14transform_implILb0ES3_S5_NS0_18transform_iteratorINS0_17counting_iteratorImlEEZNS1_24adjacent_difference_implIS3_Lb1ELb0EPlSB_ZN2at6native12_GLOBAL__N_124unique_dim_cuda_templateIN3c108BFloat16EEESt5tupleIJNSC_6TensorESJ_SJ_EERKSJ_lbbbEUlllE1_EE10hipError_tPvRmT2_T3_mT4_P12ihipStream_tbEUlmE_lEESB_NS0_8identityIvEEEESO_SR_SS_mST_SV_bEUlT_E_NS1_11comp_targetILNS1_3genE4ELNS1_11target_archE910ELNS1_3gpuE8ELNS1_3repE0EEENS1_30default_config_static_selectorELNS0_4arch9wavefront6targetE0EEEvT1_,comdat
.Lfunc_end1158:
	.size	_ZN7rocprim17ROCPRIM_400000_NS6detail17trampoline_kernelINS0_14default_configENS1_25transform_config_selectorIlLb0EEEZNS1_14transform_implILb0ES3_S5_NS0_18transform_iteratorINS0_17counting_iteratorImlEEZNS1_24adjacent_difference_implIS3_Lb1ELb0EPlSB_ZN2at6native12_GLOBAL__N_124unique_dim_cuda_templateIN3c108BFloat16EEESt5tupleIJNSC_6TensorESJ_SJ_EERKSJ_lbbbEUlllE1_EE10hipError_tPvRmT2_T3_mT4_P12ihipStream_tbEUlmE_lEESB_NS0_8identityIvEEEESO_SR_SS_mST_SV_bEUlT_E_NS1_11comp_targetILNS1_3genE4ELNS1_11target_archE910ELNS1_3gpuE8ELNS1_3repE0EEENS1_30default_config_static_selectorELNS0_4arch9wavefront6targetE0EEEvT1_, .Lfunc_end1158-_ZN7rocprim17ROCPRIM_400000_NS6detail17trampoline_kernelINS0_14default_configENS1_25transform_config_selectorIlLb0EEEZNS1_14transform_implILb0ES3_S5_NS0_18transform_iteratorINS0_17counting_iteratorImlEEZNS1_24adjacent_difference_implIS3_Lb1ELb0EPlSB_ZN2at6native12_GLOBAL__N_124unique_dim_cuda_templateIN3c108BFloat16EEESt5tupleIJNSC_6TensorESJ_SJ_EERKSJ_lbbbEUlllE1_EE10hipError_tPvRmT2_T3_mT4_P12ihipStream_tbEUlmE_lEESB_NS0_8identityIvEEEESO_SR_SS_mST_SV_bEUlT_E_NS1_11comp_targetILNS1_3genE4ELNS1_11target_archE910ELNS1_3gpuE8ELNS1_3repE0EEENS1_30default_config_static_selectorELNS0_4arch9wavefront6targetE0EEEvT1_
                                        ; -- End function
	.section	.AMDGPU.csdata,"",@progbits
; Kernel info:
; codeLenInByte = 0
; NumSgprs: 0
; NumVgprs: 0
; ScratchSize: 0
; MemoryBound: 0
; FloatMode: 240
; IeeeMode: 1
; LDSByteSize: 0 bytes/workgroup (compile time only)
; SGPRBlocks: 0
; VGPRBlocks: 0
; NumSGPRsForWavesPerEU: 1
; NumVGPRsForWavesPerEU: 1
; Occupancy: 16
; WaveLimiterHint : 0
; COMPUTE_PGM_RSRC2:SCRATCH_EN: 0
; COMPUTE_PGM_RSRC2:USER_SGPR: 15
; COMPUTE_PGM_RSRC2:TRAP_HANDLER: 0
; COMPUTE_PGM_RSRC2:TGID_X_EN: 1
; COMPUTE_PGM_RSRC2:TGID_Y_EN: 0
; COMPUTE_PGM_RSRC2:TGID_Z_EN: 0
; COMPUTE_PGM_RSRC2:TIDIG_COMP_CNT: 0
	.section	.text._ZN7rocprim17ROCPRIM_400000_NS6detail17trampoline_kernelINS0_14default_configENS1_25transform_config_selectorIlLb0EEEZNS1_14transform_implILb0ES3_S5_NS0_18transform_iteratorINS0_17counting_iteratorImlEEZNS1_24adjacent_difference_implIS3_Lb1ELb0EPlSB_ZN2at6native12_GLOBAL__N_124unique_dim_cuda_templateIN3c108BFloat16EEESt5tupleIJNSC_6TensorESJ_SJ_EERKSJ_lbbbEUlllE1_EE10hipError_tPvRmT2_T3_mT4_P12ihipStream_tbEUlmE_lEESB_NS0_8identityIvEEEESO_SR_SS_mST_SV_bEUlT_E_NS1_11comp_targetILNS1_3genE3ELNS1_11target_archE908ELNS1_3gpuE7ELNS1_3repE0EEENS1_30default_config_static_selectorELNS0_4arch9wavefront6targetE0EEEvT1_,"axG",@progbits,_ZN7rocprim17ROCPRIM_400000_NS6detail17trampoline_kernelINS0_14default_configENS1_25transform_config_selectorIlLb0EEEZNS1_14transform_implILb0ES3_S5_NS0_18transform_iteratorINS0_17counting_iteratorImlEEZNS1_24adjacent_difference_implIS3_Lb1ELb0EPlSB_ZN2at6native12_GLOBAL__N_124unique_dim_cuda_templateIN3c108BFloat16EEESt5tupleIJNSC_6TensorESJ_SJ_EERKSJ_lbbbEUlllE1_EE10hipError_tPvRmT2_T3_mT4_P12ihipStream_tbEUlmE_lEESB_NS0_8identityIvEEEESO_SR_SS_mST_SV_bEUlT_E_NS1_11comp_targetILNS1_3genE3ELNS1_11target_archE908ELNS1_3gpuE7ELNS1_3repE0EEENS1_30default_config_static_selectorELNS0_4arch9wavefront6targetE0EEEvT1_,comdat
	.globl	_ZN7rocprim17ROCPRIM_400000_NS6detail17trampoline_kernelINS0_14default_configENS1_25transform_config_selectorIlLb0EEEZNS1_14transform_implILb0ES3_S5_NS0_18transform_iteratorINS0_17counting_iteratorImlEEZNS1_24adjacent_difference_implIS3_Lb1ELb0EPlSB_ZN2at6native12_GLOBAL__N_124unique_dim_cuda_templateIN3c108BFloat16EEESt5tupleIJNSC_6TensorESJ_SJ_EERKSJ_lbbbEUlllE1_EE10hipError_tPvRmT2_T3_mT4_P12ihipStream_tbEUlmE_lEESB_NS0_8identityIvEEEESO_SR_SS_mST_SV_bEUlT_E_NS1_11comp_targetILNS1_3genE3ELNS1_11target_archE908ELNS1_3gpuE7ELNS1_3repE0EEENS1_30default_config_static_selectorELNS0_4arch9wavefront6targetE0EEEvT1_ ; -- Begin function _ZN7rocprim17ROCPRIM_400000_NS6detail17trampoline_kernelINS0_14default_configENS1_25transform_config_selectorIlLb0EEEZNS1_14transform_implILb0ES3_S5_NS0_18transform_iteratorINS0_17counting_iteratorImlEEZNS1_24adjacent_difference_implIS3_Lb1ELb0EPlSB_ZN2at6native12_GLOBAL__N_124unique_dim_cuda_templateIN3c108BFloat16EEESt5tupleIJNSC_6TensorESJ_SJ_EERKSJ_lbbbEUlllE1_EE10hipError_tPvRmT2_T3_mT4_P12ihipStream_tbEUlmE_lEESB_NS0_8identityIvEEEESO_SR_SS_mST_SV_bEUlT_E_NS1_11comp_targetILNS1_3genE3ELNS1_11target_archE908ELNS1_3gpuE7ELNS1_3repE0EEENS1_30default_config_static_selectorELNS0_4arch9wavefront6targetE0EEEvT1_
	.p2align	8
	.type	_ZN7rocprim17ROCPRIM_400000_NS6detail17trampoline_kernelINS0_14default_configENS1_25transform_config_selectorIlLb0EEEZNS1_14transform_implILb0ES3_S5_NS0_18transform_iteratorINS0_17counting_iteratorImlEEZNS1_24adjacent_difference_implIS3_Lb1ELb0EPlSB_ZN2at6native12_GLOBAL__N_124unique_dim_cuda_templateIN3c108BFloat16EEESt5tupleIJNSC_6TensorESJ_SJ_EERKSJ_lbbbEUlllE1_EE10hipError_tPvRmT2_T3_mT4_P12ihipStream_tbEUlmE_lEESB_NS0_8identityIvEEEESO_SR_SS_mST_SV_bEUlT_E_NS1_11comp_targetILNS1_3genE3ELNS1_11target_archE908ELNS1_3gpuE7ELNS1_3repE0EEENS1_30default_config_static_selectorELNS0_4arch9wavefront6targetE0EEEvT1_,@function
_ZN7rocprim17ROCPRIM_400000_NS6detail17trampoline_kernelINS0_14default_configENS1_25transform_config_selectorIlLb0EEEZNS1_14transform_implILb0ES3_S5_NS0_18transform_iteratorINS0_17counting_iteratorImlEEZNS1_24adjacent_difference_implIS3_Lb1ELb0EPlSB_ZN2at6native12_GLOBAL__N_124unique_dim_cuda_templateIN3c108BFloat16EEESt5tupleIJNSC_6TensorESJ_SJ_EERKSJ_lbbbEUlllE1_EE10hipError_tPvRmT2_T3_mT4_P12ihipStream_tbEUlmE_lEESB_NS0_8identityIvEEEESO_SR_SS_mST_SV_bEUlT_E_NS1_11comp_targetILNS1_3genE3ELNS1_11target_archE908ELNS1_3gpuE7ELNS1_3repE0EEENS1_30default_config_static_selectorELNS0_4arch9wavefront6targetE0EEEvT1_: ; @_ZN7rocprim17ROCPRIM_400000_NS6detail17trampoline_kernelINS0_14default_configENS1_25transform_config_selectorIlLb0EEEZNS1_14transform_implILb0ES3_S5_NS0_18transform_iteratorINS0_17counting_iteratorImlEEZNS1_24adjacent_difference_implIS3_Lb1ELb0EPlSB_ZN2at6native12_GLOBAL__N_124unique_dim_cuda_templateIN3c108BFloat16EEESt5tupleIJNSC_6TensorESJ_SJ_EERKSJ_lbbbEUlllE1_EE10hipError_tPvRmT2_T3_mT4_P12ihipStream_tbEUlmE_lEESB_NS0_8identityIvEEEESO_SR_SS_mST_SV_bEUlT_E_NS1_11comp_targetILNS1_3genE3ELNS1_11target_archE908ELNS1_3gpuE7ELNS1_3repE0EEENS1_30default_config_static_selectorELNS0_4arch9wavefront6targetE0EEEvT1_
; %bb.0:
	.section	.rodata,"a",@progbits
	.p2align	6, 0x0
	.amdhsa_kernel _ZN7rocprim17ROCPRIM_400000_NS6detail17trampoline_kernelINS0_14default_configENS1_25transform_config_selectorIlLb0EEEZNS1_14transform_implILb0ES3_S5_NS0_18transform_iteratorINS0_17counting_iteratorImlEEZNS1_24adjacent_difference_implIS3_Lb1ELb0EPlSB_ZN2at6native12_GLOBAL__N_124unique_dim_cuda_templateIN3c108BFloat16EEESt5tupleIJNSC_6TensorESJ_SJ_EERKSJ_lbbbEUlllE1_EE10hipError_tPvRmT2_T3_mT4_P12ihipStream_tbEUlmE_lEESB_NS0_8identityIvEEEESO_SR_SS_mST_SV_bEUlT_E_NS1_11comp_targetILNS1_3genE3ELNS1_11target_archE908ELNS1_3gpuE7ELNS1_3repE0EEENS1_30default_config_static_selectorELNS0_4arch9wavefront6targetE0EEEvT1_
		.amdhsa_group_segment_fixed_size 0
		.amdhsa_private_segment_fixed_size 0
		.amdhsa_kernarg_size 56
		.amdhsa_user_sgpr_count 15
		.amdhsa_user_sgpr_dispatch_ptr 0
		.amdhsa_user_sgpr_queue_ptr 0
		.amdhsa_user_sgpr_kernarg_segment_ptr 1
		.amdhsa_user_sgpr_dispatch_id 0
		.amdhsa_user_sgpr_private_segment_size 0
		.amdhsa_wavefront_size32 1
		.amdhsa_uses_dynamic_stack 0
		.amdhsa_enable_private_segment 0
		.amdhsa_system_sgpr_workgroup_id_x 1
		.amdhsa_system_sgpr_workgroup_id_y 0
		.amdhsa_system_sgpr_workgroup_id_z 0
		.amdhsa_system_sgpr_workgroup_info 0
		.amdhsa_system_vgpr_workitem_id 0
		.amdhsa_next_free_vgpr 1
		.amdhsa_next_free_sgpr 1
		.amdhsa_reserve_vcc 0
		.amdhsa_float_round_mode_32 0
		.amdhsa_float_round_mode_16_64 0
		.amdhsa_float_denorm_mode_32 3
		.amdhsa_float_denorm_mode_16_64 3
		.amdhsa_dx10_clamp 1
		.amdhsa_ieee_mode 1
		.amdhsa_fp16_overflow 0
		.amdhsa_workgroup_processor_mode 1
		.amdhsa_memory_ordered 1
		.amdhsa_forward_progress 0
		.amdhsa_shared_vgpr_count 0
		.amdhsa_exception_fp_ieee_invalid_op 0
		.amdhsa_exception_fp_denorm_src 0
		.amdhsa_exception_fp_ieee_div_zero 0
		.amdhsa_exception_fp_ieee_overflow 0
		.amdhsa_exception_fp_ieee_underflow 0
		.amdhsa_exception_fp_ieee_inexact 0
		.amdhsa_exception_int_div_zero 0
	.end_amdhsa_kernel
	.section	.text._ZN7rocprim17ROCPRIM_400000_NS6detail17trampoline_kernelINS0_14default_configENS1_25transform_config_selectorIlLb0EEEZNS1_14transform_implILb0ES3_S5_NS0_18transform_iteratorINS0_17counting_iteratorImlEEZNS1_24adjacent_difference_implIS3_Lb1ELb0EPlSB_ZN2at6native12_GLOBAL__N_124unique_dim_cuda_templateIN3c108BFloat16EEESt5tupleIJNSC_6TensorESJ_SJ_EERKSJ_lbbbEUlllE1_EE10hipError_tPvRmT2_T3_mT4_P12ihipStream_tbEUlmE_lEESB_NS0_8identityIvEEEESO_SR_SS_mST_SV_bEUlT_E_NS1_11comp_targetILNS1_3genE3ELNS1_11target_archE908ELNS1_3gpuE7ELNS1_3repE0EEENS1_30default_config_static_selectorELNS0_4arch9wavefront6targetE0EEEvT1_,"axG",@progbits,_ZN7rocprim17ROCPRIM_400000_NS6detail17trampoline_kernelINS0_14default_configENS1_25transform_config_selectorIlLb0EEEZNS1_14transform_implILb0ES3_S5_NS0_18transform_iteratorINS0_17counting_iteratorImlEEZNS1_24adjacent_difference_implIS3_Lb1ELb0EPlSB_ZN2at6native12_GLOBAL__N_124unique_dim_cuda_templateIN3c108BFloat16EEESt5tupleIJNSC_6TensorESJ_SJ_EERKSJ_lbbbEUlllE1_EE10hipError_tPvRmT2_T3_mT4_P12ihipStream_tbEUlmE_lEESB_NS0_8identityIvEEEESO_SR_SS_mST_SV_bEUlT_E_NS1_11comp_targetILNS1_3genE3ELNS1_11target_archE908ELNS1_3gpuE7ELNS1_3repE0EEENS1_30default_config_static_selectorELNS0_4arch9wavefront6targetE0EEEvT1_,comdat
.Lfunc_end1159:
	.size	_ZN7rocprim17ROCPRIM_400000_NS6detail17trampoline_kernelINS0_14default_configENS1_25transform_config_selectorIlLb0EEEZNS1_14transform_implILb0ES3_S5_NS0_18transform_iteratorINS0_17counting_iteratorImlEEZNS1_24adjacent_difference_implIS3_Lb1ELb0EPlSB_ZN2at6native12_GLOBAL__N_124unique_dim_cuda_templateIN3c108BFloat16EEESt5tupleIJNSC_6TensorESJ_SJ_EERKSJ_lbbbEUlllE1_EE10hipError_tPvRmT2_T3_mT4_P12ihipStream_tbEUlmE_lEESB_NS0_8identityIvEEEESO_SR_SS_mST_SV_bEUlT_E_NS1_11comp_targetILNS1_3genE3ELNS1_11target_archE908ELNS1_3gpuE7ELNS1_3repE0EEENS1_30default_config_static_selectorELNS0_4arch9wavefront6targetE0EEEvT1_, .Lfunc_end1159-_ZN7rocprim17ROCPRIM_400000_NS6detail17trampoline_kernelINS0_14default_configENS1_25transform_config_selectorIlLb0EEEZNS1_14transform_implILb0ES3_S5_NS0_18transform_iteratorINS0_17counting_iteratorImlEEZNS1_24adjacent_difference_implIS3_Lb1ELb0EPlSB_ZN2at6native12_GLOBAL__N_124unique_dim_cuda_templateIN3c108BFloat16EEESt5tupleIJNSC_6TensorESJ_SJ_EERKSJ_lbbbEUlllE1_EE10hipError_tPvRmT2_T3_mT4_P12ihipStream_tbEUlmE_lEESB_NS0_8identityIvEEEESO_SR_SS_mST_SV_bEUlT_E_NS1_11comp_targetILNS1_3genE3ELNS1_11target_archE908ELNS1_3gpuE7ELNS1_3repE0EEENS1_30default_config_static_selectorELNS0_4arch9wavefront6targetE0EEEvT1_
                                        ; -- End function
	.section	.AMDGPU.csdata,"",@progbits
; Kernel info:
; codeLenInByte = 0
; NumSgprs: 0
; NumVgprs: 0
; ScratchSize: 0
; MemoryBound: 0
; FloatMode: 240
; IeeeMode: 1
; LDSByteSize: 0 bytes/workgroup (compile time only)
; SGPRBlocks: 0
; VGPRBlocks: 0
; NumSGPRsForWavesPerEU: 1
; NumVGPRsForWavesPerEU: 1
; Occupancy: 16
; WaveLimiterHint : 0
; COMPUTE_PGM_RSRC2:SCRATCH_EN: 0
; COMPUTE_PGM_RSRC2:USER_SGPR: 15
; COMPUTE_PGM_RSRC2:TRAP_HANDLER: 0
; COMPUTE_PGM_RSRC2:TGID_X_EN: 1
; COMPUTE_PGM_RSRC2:TGID_Y_EN: 0
; COMPUTE_PGM_RSRC2:TGID_Z_EN: 0
; COMPUTE_PGM_RSRC2:TIDIG_COMP_CNT: 0
	.section	.text._ZN7rocprim17ROCPRIM_400000_NS6detail17trampoline_kernelINS0_14default_configENS1_25transform_config_selectorIlLb0EEEZNS1_14transform_implILb0ES3_S5_NS0_18transform_iteratorINS0_17counting_iteratorImlEEZNS1_24adjacent_difference_implIS3_Lb1ELb0EPlSB_ZN2at6native12_GLOBAL__N_124unique_dim_cuda_templateIN3c108BFloat16EEESt5tupleIJNSC_6TensorESJ_SJ_EERKSJ_lbbbEUlllE1_EE10hipError_tPvRmT2_T3_mT4_P12ihipStream_tbEUlmE_lEESB_NS0_8identityIvEEEESO_SR_SS_mST_SV_bEUlT_E_NS1_11comp_targetILNS1_3genE2ELNS1_11target_archE906ELNS1_3gpuE6ELNS1_3repE0EEENS1_30default_config_static_selectorELNS0_4arch9wavefront6targetE0EEEvT1_,"axG",@progbits,_ZN7rocprim17ROCPRIM_400000_NS6detail17trampoline_kernelINS0_14default_configENS1_25transform_config_selectorIlLb0EEEZNS1_14transform_implILb0ES3_S5_NS0_18transform_iteratorINS0_17counting_iteratorImlEEZNS1_24adjacent_difference_implIS3_Lb1ELb0EPlSB_ZN2at6native12_GLOBAL__N_124unique_dim_cuda_templateIN3c108BFloat16EEESt5tupleIJNSC_6TensorESJ_SJ_EERKSJ_lbbbEUlllE1_EE10hipError_tPvRmT2_T3_mT4_P12ihipStream_tbEUlmE_lEESB_NS0_8identityIvEEEESO_SR_SS_mST_SV_bEUlT_E_NS1_11comp_targetILNS1_3genE2ELNS1_11target_archE906ELNS1_3gpuE6ELNS1_3repE0EEENS1_30default_config_static_selectorELNS0_4arch9wavefront6targetE0EEEvT1_,comdat
	.globl	_ZN7rocprim17ROCPRIM_400000_NS6detail17trampoline_kernelINS0_14default_configENS1_25transform_config_selectorIlLb0EEEZNS1_14transform_implILb0ES3_S5_NS0_18transform_iteratorINS0_17counting_iteratorImlEEZNS1_24adjacent_difference_implIS3_Lb1ELb0EPlSB_ZN2at6native12_GLOBAL__N_124unique_dim_cuda_templateIN3c108BFloat16EEESt5tupleIJNSC_6TensorESJ_SJ_EERKSJ_lbbbEUlllE1_EE10hipError_tPvRmT2_T3_mT4_P12ihipStream_tbEUlmE_lEESB_NS0_8identityIvEEEESO_SR_SS_mST_SV_bEUlT_E_NS1_11comp_targetILNS1_3genE2ELNS1_11target_archE906ELNS1_3gpuE6ELNS1_3repE0EEENS1_30default_config_static_selectorELNS0_4arch9wavefront6targetE0EEEvT1_ ; -- Begin function _ZN7rocprim17ROCPRIM_400000_NS6detail17trampoline_kernelINS0_14default_configENS1_25transform_config_selectorIlLb0EEEZNS1_14transform_implILb0ES3_S5_NS0_18transform_iteratorINS0_17counting_iteratorImlEEZNS1_24adjacent_difference_implIS3_Lb1ELb0EPlSB_ZN2at6native12_GLOBAL__N_124unique_dim_cuda_templateIN3c108BFloat16EEESt5tupleIJNSC_6TensorESJ_SJ_EERKSJ_lbbbEUlllE1_EE10hipError_tPvRmT2_T3_mT4_P12ihipStream_tbEUlmE_lEESB_NS0_8identityIvEEEESO_SR_SS_mST_SV_bEUlT_E_NS1_11comp_targetILNS1_3genE2ELNS1_11target_archE906ELNS1_3gpuE6ELNS1_3repE0EEENS1_30default_config_static_selectorELNS0_4arch9wavefront6targetE0EEEvT1_
	.p2align	8
	.type	_ZN7rocprim17ROCPRIM_400000_NS6detail17trampoline_kernelINS0_14default_configENS1_25transform_config_selectorIlLb0EEEZNS1_14transform_implILb0ES3_S5_NS0_18transform_iteratorINS0_17counting_iteratorImlEEZNS1_24adjacent_difference_implIS3_Lb1ELb0EPlSB_ZN2at6native12_GLOBAL__N_124unique_dim_cuda_templateIN3c108BFloat16EEESt5tupleIJNSC_6TensorESJ_SJ_EERKSJ_lbbbEUlllE1_EE10hipError_tPvRmT2_T3_mT4_P12ihipStream_tbEUlmE_lEESB_NS0_8identityIvEEEESO_SR_SS_mST_SV_bEUlT_E_NS1_11comp_targetILNS1_3genE2ELNS1_11target_archE906ELNS1_3gpuE6ELNS1_3repE0EEENS1_30default_config_static_selectorELNS0_4arch9wavefront6targetE0EEEvT1_,@function
_ZN7rocprim17ROCPRIM_400000_NS6detail17trampoline_kernelINS0_14default_configENS1_25transform_config_selectorIlLb0EEEZNS1_14transform_implILb0ES3_S5_NS0_18transform_iteratorINS0_17counting_iteratorImlEEZNS1_24adjacent_difference_implIS3_Lb1ELb0EPlSB_ZN2at6native12_GLOBAL__N_124unique_dim_cuda_templateIN3c108BFloat16EEESt5tupleIJNSC_6TensorESJ_SJ_EERKSJ_lbbbEUlllE1_EE10hipError_tPvRmT2_T3_mT4_P12ihipStream_tbEUlmE_lEESB_NS0_8identityIvEEEESO_SR_SS_mST_SV_bEUlT_E_NS1_11comp_targetILNS1_3genE2ELNS1_11target_archE906ELNS1_3gpuE6ELNS1_3repE0EEENS1_30default_config_static_selectorELNS0_4arch9wavefront6targetE0EEEvT1_: ; @_ZN7rocprim17ROCPRIM_400000_NS6detail17trampoline_kernelINS0_14default_configENS1_25transform_config_selectorIlLb0EEEZNS1_14transform_implILb0ES3_S5_NS0_18transform_iteratorINS0_17counting_iteratorImlEEZNS1_24adjacent_difference_implIS3_Lb1ELb0EPlSB_ZN2at6native12_GLOBAL__N_124unique_dim_cuda_templateIN3c108BFloat16EEESt5tupleIJNSC_6TensorESJ_SJ_EERKSJ_lbbbEUlllE1_EE10hipError_tPvRmT2_T3_mT4_P12ihipStream_tbEUlmE_lEESB_NS0_8identityIvEEEESO_SR_SS_mST_SV_bEUlT_E_NS1_11comp_targetILNS1_3genE2ELNS1_11target_archE906ELNS1_3gpuE6ELNS1_3repE0EEENS1_30default_config_static_selectorELNS0_4arch9wavefront6targetE0EEEvT1_
; %bb.0:
	.section	.rodata,"a",@progbits
	.p2align	6, 0x0
	.amdhsa_kernel _ZN7rocprim17ROCPRIM_400000_NS6detail17trampoline_kernelINS0_14default_configENS1_25transform_config_selectorIlLb0EEEZNS1_14transform_implILb0ES3_S5_NS0_18transform_iteratorINS0_17counting_iteratorImlEEZNS1_24adjacent_difference_implIS3_Lb1ELb0EPlSB_ZN2at6native12_GLOBAL__N_124unique_dim_cuda_templateIN3c108BFloat16EEESt5tupleIJNSC_6TensorESJ_SJ_EERKSJ_lbbbEUlllE1_EE10hipError_tPvRmT2_T3_mT4_P12ihipStream_tbEUlmE_lEESB_NS0_8identityIvEEEESO_SR_SS_mST_SV_bEUlT_E_NS1_11comp_targetILNS1_3genE2ELNS1_11target_archE906ELNS1_3gpuE6ELNS1_3repE0EEENS1_30default_config_static_selectorELNS0_4arch9wavefront6targetE0EEEvT1_
		.amdhsa_group_segment_fixed_size 0
		.amdhsa_private_segment_fixed_size 0
		.amdhsa_kernarg_size 56
		.amdhsa_user_sgpr_count 15
		.amdhsa_user_sgpr_dispatch_ptr 0
		.amdhsa_user_sgpr_queue_ptr 0
		.amdhsa_user_sgpr_kernarg_segment_ptr 1
		.amdhsa_user_sgpr_dispatch_id 0
		.amdhsa_user_sgpr_private_segment_size 0
		.amdhsa_wavefront_size32 1
		.amdhsa_uses_dynamic_stack 0
		.amdhsa_enable_private_segment 0
		.amdhsa_system_sgpr_workgroup_id_x 1
		.amdhsa_system_sgpr_workgroup_id_y 0
		.amdhsa_system_sgpr_workgroup_id_z 0
		.amdhsa_system_sgpr_workgroup_info 0
		.amdhsa_system_vgpr_workitem_id 0
		.amdhsa_next_free_vgpr 1
		.amdhsa_next_free_sgpr 1
		.amdhsa_reserve_vcc 0
		.amdhsa_float_round_mode_32 0
		.amdhsa_float_round_mode_16_64 0
		.amdhsa_float_denorm_mode_32 3
		.amdhsa_float_denorm_mode_16_64 3
		.amdhsa_dx10_clamp 1
		.amdhsa_ieee_mode 1
		.amdhsa_fp16_overflow 0
		.amdhsa_workgroup_processor_mode 1
		.amdhsa_memory_ordered 1
		.amdhsa_forward_progress 0
		.amdhsa_shared_vgpr_count 0
		.amdhsa_exception_fp_ieee_invalid_op 0
		.amdhsa_exception_fp_denorm_src 0
		.amdhsa_exception_fp_ieee_div_zero 0
		.amdhsa_exception_fp_ieee_overflow 0
		.amdhsa_exception_fp_ieee_underflow 0
		.amdhsa_exception_fp_ieee_inexact 0
		.amdhsa_exception_int_div_zero 0
	.end_amdhsa_kernel
	.section	.text._ZN7rocprim17ROCPRIM_400000_NS6detail17trampoline_kernelINS0_14default_configENS1_25transform_config_selectorIlLb0EEEZNS1_14transform_implILb0ES3_S5_NS0_18transform_iteratorINS0_17counting_iteratorImlEEZNS1_24adjacent_difference_implIS3_Lb1ELb0EPlSB_ZN2at6native12_GLOBAL__N_124unique_dim_cuda_templateIN3c108BFloat16EEESt5tupleIJNSC_6TensorESJ_SJ_EERKSJ_lbbbEUlllE1_EE10hipError_tPvRmT2_T3_mT4_P12ihipStream_tbEUlmE_lEESB_NS0_8identityIvEEEESO_SR_SS_mST_SV_bEUlT_E_NS1_11comp_targetILNS1_3genE2ELNS1_11target_archE906ELNS1_3gpuE6ELNS1_3repE0EEENS1_30default_config_static_selectorELNS0_4arch9wavefront6targetE0EEEvT1_,"axG",@progbits,_ZN7rocprim17ROCPRIM_400000_NS6detail17trampoline_kernelINS0_14default_configENS1_25transform_config_selectorIlLb0EEEZNS1_14transform_implILb0ES3_S5_NS0_18transform_iteratorINS0_17counting_iteratorImlEEZNS1_24adjacent_difference_implIS3_Lb1ELb0EPlSB_ZN2at6native12_GLOBAL__N_124unique_dim_cuda_templateIN3c108BFloat16EEESt5tupleIJNSC_6TensorESJ_SJ_EERKSJ_lbbbEUlllE1_EE10hipError_tPvRmT2_T3_mT4_P12ihipStream_tbEUlmE_lEESB_NS0_8identityIvEEEESO_SR_SS_mST_SV_bEUlT_E_NS1_11comp_targetILNS1_3genE2ELNS1_11target_archE906ELNS1_3gpuE6ELNS1_3repE0EEENS1_30default_config_static_selectorELNS0_4arch9wavefront6targetE0EEEvT1_,comdat
.Lfunc_end1160:
	.size	_ZN7rocprim17ROCPRIM_400000_NS6detail17trampoline_kernelINS0_14default_configENS1_25transform_config_selectorIlLb0EEEZNS1_14transform_implILb0ES3_S5_NS0_18transform_iteratorINS0_17counting_iteratorImlEEZNS1_24adjacent_difference_implIS3_Lb1ELb0EPlSB_ZN2at6native12_GLOBAL__N_124unique_dim_cuda_templateIN3c108BFloat16EEESt5tupleIJNSC_6TensorESJ_SJ_EERKSJ_lbbbEUlllE1_EE10hipError_tPvRmT2_T3_mT4_P12ihipStream_tbEUlmE_lEESB_NS0_8identityIvEEEESO_SR_SS_mST_SV_bEUlT_E_NS1_11comp_targetILNS1_3genE2ELNS1_11target_archE906ELNS1_3gpuE6ELNS1_3repE0EEENS1_30default_config_static_selectorELNS0_4arch9wavefront6targetE0EEEvT1_, .Lfunc_end1160-_ZN7rocprim17ROCPRIM_400000_NS6detail17trampoline_kernelINS0_14default_configENS1_25transform_config_selectorIlLb0EEEZNS1_14transform_implILb0ES3_S5_NS0_18transform_iteratorINS0_17counting_iteratorImlEEZNS1_24adjacent_difference_implIS3_Lb1ELb0EPlSB_ZN2at6native12_GLOBAL__N_124unique_dim_cuda_templateIN3c108BFloat16EEESt5tupleIJNSC_6TensorESJ_SJ_EERKSJ_lbbbEUlllE1_EE10hipError_tPvRmT2_T3_mT4_P12ihipStream_tbEUlmE_lEESB_NS0_8identityIvEEEESO_SR_SS_mST_SV_bEUlT_E_NS1_11comp_targetILNS1_3genE2ELNS1_11target_archE906ELNS1_3gpuE6ELNS1_3repE0EEENS1_30default_config_static_selectorELNS0_4arch9wavefront6targetE0EEEvT1_
                                        ; -- End function
	.section	.AMDGPU.csdata,"",@progbits
; Kernel info:
; codeLenInByte = 0
; NumSgprs: 0
; NumVgprs: 0
; ScratchSize: 0
; MemoryBound: 0
; FloatMode: 240
; IeeeMode: 1
; LDSByteSize: 0 bytes/workgroup (compile time only)
; SGPRBlocks: 0
; VGPRBlocks: 0
; NumSGPRsForWavesPerEU: 1
; NumVGPRsForWavesPerEU: 1
; Occupancy: 16
; WaveLimiterHint : 0
; COMPUTE_PGM_RSRC2:SCRATCH_EN: 0
; COMPUTE_PGM_RSRC2:USER_SGPR: 15
; COMPUTE_PGM_RSRC2:TRAP_HANDLER: 0
; COMPUTE_PGM_RSRC2:TGID_X_EN: 1
; COMPUTE_PGM_RSRC2:TGID_Y_EN: 0
; COMPUTE_PGM_RSRC2:TGID_Z_EN: 0
; COMPUTE_PGM_RSRC2:TIDIG_COMP_CNT: 0
	.section	.text._ZN7rocprim17ROCPRIM_400000_NS6detail17trampoline_kernelINS0_14default_configENS1_25transform_config_selectorIlLb0EEEZNS1_14transform_implILb0ES3_S5_NS0_18transform_iteratorINS0_17counting_iteratorImlEEZNS1_24adjacent_difference_implIS3_Lb1ELb0EPlSB_ZN2at6native12_GLOBAL__N_124unique_dim_cuda_templateIN3c108BFloat16EEESt5tupleIJNSC_6TensorESJ_SJ_EERKSJ_lbbbEUlllE1_EE10hipError_tPvRmT2_T3_mT4_P12ihipStream_tbEUlmE_lEESB_NS0_8identityIvEEEESO_SR_SS_mST_SV_bEUlT_E_NS1_11comp_targetILNS1_3genE10ELNS1_11target_archE1201ELNS1_3gpuE5ELNS1_3repE0EEENS1_30default_config_static_selectorELNS0_4arch9wavefront6targetE0EEEvT1_,"axG",@progbits,_ZN7rocprim17ROCPRIM_400000_NS6detail17trampoline_kernelINS0_14default_configENS1_25transform_config_selectorIlLb0EEEZNS1_14transform_implILb0ES3_S5_NS0_18transform_iteratorINS0_17counting_iteratorImlEEZNS1_24adjacent_difference_implIS3_Lb1ELb0EPlSB_ZN2at6native12_GLOBAL__N_124unique_dim_cuda_templateIN3c108BFloat16EEESt5tupleIJNSC_6TensorESJ_SJ_EERKSJ_lbbbEUlllE1_EE10hipError_tPvRmT2_T3_mT4_P12ihipStream_tbEUlmE_lEESB_NS0_8identityIvEEEESO_SR_SS_mST_SV_bEUlT_E_NS1_11comp_targetILNS1_3genE10ELNS1_11target_archE1201ELNS1_3gpuE5ELNS1_3repE0EEENS1_30default_config_static_selectorELNS0_4arch9wavefront6targetE0EEEvT1_,comdat
	.globl	_ZN7rocprim17ROCPRIM_400000_NS6detail17trampoline_kernelINS0_14default_configENS1_25transform_config_selectorIlLb0EEEZNS1_14transform_implILb0ES3_S5_NS0_18transform_iteratorINS0_17counting_iteratorImlEEZNS1_24adjacent_difference_implIS3_Lb1ELb0EPlSB_ZN2at6native12_GLOBAL__N_124unique_dim_cuda_templateIN3c108BFloat16EEESt5tupleIJNSC_6TensorESJ_SJ_EERKSJ_lbbbEUlllE1_EE10hipError_tPvRmT2_T3_mT4_P12ihipStream_tbEUlmE_lEESB_NS0_8identityIvEEEESO_SR_SS_mST_SV_bEUlT_E_NS1_11comp_targetILNS1_3genE10ELNS1_11target_archE1201ELNS1_3gpuE5ELNS1_3repE0EEENS1_30default_config_static_selectorELNS0_4arch9wavefront6targetE0EEEvT1_ ; -- Begin function _ZN7rocprim17ROCPRIM_400000_NS6detail17trampoline_kernelINS0_14default_configENS1_25transform_config_selectorIlLb0EEEZNS1_14transform_implILb0ES3_S5_NS0_18transform_iteratorINS0_17counting_iteratorImlEEZNS1_24adjacent_difference_implIS3_Lb1ELb0EPlSB_ZN2at6native12_GLOBAL__N_124unique_dim_cuda_templateIN3c108BFloat16EEESt5tupleIJNSC_6TensorESJ_SJ_EERKSJ_lbbbEUlllE1_EE10hipError_tPvRmT2_T3_mT4_P12ihipStream_tbEUlmE_lEESB_NS0_8identityIvEEEESO_SR_SS_mST_SV_bEUlT_E_NS1_11comp_targetILNS1_3genE10ELNS1_11target_archE1201ELNS1_3gpuE5ELNS1_3repE0EEENS1_30default_config_static_selectorELNS0_4arch9wavefront6targetE0EEEvT1_
	.p2align	8
	.type	_ZN7rocprim17ROCPRIM_400000_NS6detail17trampoline_kernelINS0_14default_configENS1_25transform_config_selectorIlLb0EEEZNS1_14transform_implILb0ES3_S5_NS0_18transform_iteratorINS0_17counting_iteratorImlEEZNS1_24adjacent_difference_implIS3_Lb1ELb0EPlSB_ZN2at6native12_GLOBAL__N_124unique_dim_cuda_templateIN3c108BFloat16EEESt5tupleIJNSC_6TensorESJ_SJ_EERKSJ_lbbbEUlllE1_EE10hipError_tPvRmT2_T3_mT4_P12ihipStream_tbEUlmE_lEESB_NS0_8identityIvEEEESO_SR_SS_mST_SV_bEUlT_E_NS1_11comp_targetILNS1_3genE10ELNS1_11target_archE1201ELNS1_3gpuE5ELNS1_3repE0EEENS1_30default_config_static_selectorELNS0_4arch9wavefront6targetE0EEEvT1_,@function
_ZN7rocprim17ROCPRIM_400000_NS6detail17trampoline_kernelINS0_14default_configENS1_25transform_config_selectorIlLb0EEEZNS1_14transform_implILb0ES3_S5_NS0_18transform_iteratorINS0_17counting_iteratorImlEEZNS1_24adjacent_difference_implIS3_Lb1ELb0EPlSB_ZN2at6native12_GLOBAL__N_124unique_dim_cuda_templateIN3c108BFloat16EEESt5tupleIJNSC_6TensorESJ_SJ_EERKSJ_lbbbEUlllE1_EE10hipError_tPvRmT2_T3_mT4_P12ihipStream_tbEUlmE_lEESB_NS0_8identityIvEEEESO_SR_SS_mST_SV_bEUlT_E_NS1_11comp_targetILNS1_3genE10ELNS1_11target_archE1201ELNS1_3gpuE5ELNS1_3repE0EEENS1_30default_config_static_selectorELNS0_4arch9wavefront6targetE0EEEvT1_: ; @_ZN7rocprim17ROCPRIM_400000_NS6detail17trampoline_kernelINS0_14default_configENS1_25transform_config_selectorIlLb0EEEZNS1_14transform_implILb0ES3_S5_NS0_18transform_iteratorINS0_17counting_iteratorImlEEZNS1_24adjacent_difference_implIS3_Lb1ELb0EPlSB_ZN2at6native12_GLOBAL__N_124unique_dim_cuda_templateIN3c108BFloat16EEESt5tupleIJNSC_6TensorESJ_SJ_EERKSJ_lbbbEUlllE1_EE10hipError_tPvRmT2_T3_mT4_P12ihipStream_tbEUlmE_lEESB_NS0_8identityIvEEEESO_SR_SS_mST_SV_bEUlT_E_NS1_11comp_targetILNS1_3genE10ELNS1_11target_archE1201ELNS1_3gpuE5ELNS1_3repE0EEENS1_30default_config_static_selectorELNS0_4arch9wavefront6targetE0EEEvT1_
; %bb.0:
	.section	.rodata,"a",@progbits
	.p2align	6, 0x0
	.amdhsa_kernel _ZN7rocprim17ROCPRIM_400000_NS6detail17trampoline_kernelINS0_14default_configENS1_25transform_config_selectorIlLb0EEEZNS1_14transform_implILb0ES3_S5_NS0_18transform_iteratorINS0_17counting_iteratorImlEEZNS1_24adjacent_difference_implIS3_Lb1ELb0EPlSB_ZN2at6native12_GLOBAL__N_124unique_dim_cuda_templateIN3c108BFloat16EEESt5tupleIJNSC_6TensorESJ_SJ_EERKSJ_lbbbEUlllE1_EE10hipError_tPvRmT2_T3_mT4_P12ihipStream_tbEUlmE_lEESB_NS0_8identityIvEEEESO_SR_SS_mST_SV_bEUlT_E_NS1_11comp_targetILNS1_3genE10ELNS1_11target_archE1201ELNS1_3gpuE5ELNS1_3repE0EEENS1_30default_config_static_selectorELNS0_4arch9wavefront6targetE0EEEvT1_
		.amdhsa_group_segment_fixed_size 0
		.amdhsa_private_segment_fixed_size 0
		.amdhsa_kernarg_size 56
		.amdhsa_user_sgpr_count 15
		.amdhsa_user_sgpr_dispatch_ptr 0
		.amdhsa_user_sgpr_queue_ptr 0
		.amdhsa_user_sgpr_kernarg_segment_ptr 1
		.amdhsa_user_sgpr_dispatch_id 0
		.amdhsa_user_sgpr_private_segment_size 0
		.amdhsa_wavefront_size32 1
		.amdhsa_uses_dynamic_stack 0
		.amdhsa_enable_private_segment 0
		.amdhsa_system_sgpr_workgroup_id_x 1
		.amdhsa_system_sgpr_workgroup_id_y 0
		.amdhsa_system_sgpr_workgroup_id_z 0
		.amdhsa_system_sgpr_workgroup_info 0
		.amdhsa_system_vgpr_workitem_id 0
		.amdhsa_next_free_vgpr 1
		.amdhsa_next_free_sgpr 1
		.amdhsa_reserve_vcc 0
		.amdhsa_float_round_mode_32 0
		.amdhsa_float_round_mode_16_64 0
		.amdhsa_float_denorm_mode_32 3
		.amdhsa_float_denorm_mode_16_64 3
		.amdhsa_dx10_clamp 1
		.amdhsa_ieee_mode 1
		.amdhsa_fp16_overflow 0
		.amdhsa_workgroup_processor_mode 1
		.amdhsa_memory_ordered 1
		.amdhsa_forward_progress 0
		.amdhsa_shared_vgpr_count 0
		.amdhsa_exception_fp_ieee_invalid_op 0
		.amdhsa_exception_fp_denorm_src 0
		.amdhsa_exception_fp_ieee_div_zero 0
		.amdhsa_exception_fp_ieee_overflow 0
		.amdhsa_exception_fp_ieee_underflow 0
		.amdhsa_exception_fp_ieee_inexact 0
		.amdhsa_exception_int_div_zero 0
	.end_amdhsa_kernel
	.section	.text._ZN7rocprim17ROCPRIM_400000_NS6detail17trampoline_kernelINS0_14default_configENS1_25transform_config_selectorIlLb0EEEZNS1_14transform_implILb0ES3_S5_NS0_18transform_iteratorINS0_17counting_iteratorImlEEZNS1_24adjacent_difference_implIS3_Lb1ELb0EPlSB_ZN2at6native12_GLOBAL__N_124unique_dim_cuda_templateIN3c108BFloat16EEESt5tupleIJNSC_6TensorESJ_SJ_EERKSJ_lbbbEUlllE1_EE10hipError_tPvRmT2_T3_mT4_P12ihipStream_tbEUlmE_lEESB_NS0_8identityIvEEEESO_SR_SS_mST_SV_bEUlT_E_NS1_11comp_targetILNS1_3genE10ELNS1_11target_archE1201ELNS1_3gpuE5ELNS1_3repE0EEENS1_30default_config_static_selectorELNS0_4arch9wavefront6targetE0EEEvT1_,"axG",@progbits,_ZN7rocprim17ROCPRIM_400000_NS6detail17trampoline_kernelINS0_14default_configENS1_25transform_config_selectorIlLb0EEEZNS1_14transform_implILb0ES3_S5_NS0_18transform_iteratorINS0_17counting_iteratorImlEEZNS1_24adjacent_difference_implIS3_Lb1ELb0EPlSB_ZN2at6native12_GLOBAL__N_124unique_dim_cuda_templateIN3c108BFloat16EEESt5tupleIJNSC_6TensorESJ_SJ_EERKSJ_lbbbEUlllE1_EE10hipError_tPvRmT2_T3_mT4_P12ihipStream_tbEUlmE_lEESB_NS0_8identityIvEEEESO_SR_SS_mST_SV_bEUlT_E_NS1_11comp_targetILNS1_3genE10ELNS1_11target_archE1201ELNS1_3gpuE5ELNS1_3repE0EEENS1_30default_config_static_selectorELNS0_4arch9wavefront6targetE0EEEvT1_,comdat
.Lfunc_end1161:
	.size	_ZN7rocprim17ROCPRIM_400000_NS6detail17trampoline_kernelINS0_14default_configENS1_25transform_config_selectorIlLb0EEEZNS1_14transform_implILb0ES3_S5_NS0_18transform_iteratorINS0_17counting_iteratorImlEEZNS1_24adjacent_difference_implIS3_Lb1ELb0EPlSB_ZN2at6native12_GLOBAL__N_124unique_dim_cuda_templateIN3c108BFloat16EEESt5tupleIJNSC_6TensorESJ_SJ_EERKSJ_lbbbEUlllE1_EE10hipError_tPvRmT2_T3_mT4_P12ihipStream_tbEUlmE_lEESB_NS0_8identityIvEEEESO_SR_SS_mST_SV_bEUlT_E_NS1_11comp_targetILNS1_3genE10ELNS1_11target_archE1201ELNS1_3gpuE5ELNS1_3repE0EEENS1_30default_config_static_selectorELNS0_4arch9wavefront6targetE0EEEvT1_, .Lfunc_end1161-_ZN7rocprim17ROCPRIM_400000_NS6detail17trampoline_kernelINS0_14default_configENS1_25transform_config_selectorIlLb0EEEZNS1_14transform_implILb0ES3_S5_NS0_18transform_iteratorINS0_17counting_iteratorImlEEZNS1_24adjacent_difference_implIS3_Lb1ELb0EPlSB_ZN2at6native12_GLOBAL__N_124unique_dim_cuda_templateIN3c108BFloat16EEESt5tupleIJNSC_6TensorESJ_SJ_EERKSJ_lbbbEUlllE1_EE10hipError_tPvRmT2_T3_mT4_P12ihipStream_tbEUlmE_lEESB_NS0_8identityIvEEEESO_SR_SS_mST_SV_bEUlT_E_NS1_11comp_targetILNS1_3genE10ELNS1_11target_archE1201ELNS1_3gpuE5ELNS1_3repE0EEENS1_30default_config_static_selectorELNS0_4arch9wavefront6targetE0EEEvT1_
                                        ; -- End function
	.section	.AMDGPU.csdata,"",@progbits
; Kernel info:
; codeLenInByte = 0
; NumSgprs: 0
; NumVgprs: 0
; ScratchSize: 0
; MemoryBound: 0
; FloatMode: 240
; IeeeMode: 1
; LDSByteSize: 0 bytes/workgroup (compile time only)
; SGPRBlocks: 0
; VGPRBlocks: 0
; NumSGPRsForWavesPerEU: 1
; NumVGPRsForWavesPerEU: 1
; Occupancy: 16
; WaveLimiterHint : 0
; COMPUTE_PGM_RSRC2:SCRATCH_EN: 0
; COMPUTE_PGM_RSRC2:USER_SGPR: 15
; COMPUTE_PGM_RSRC2:TRAP_HANDLER: 0
; COMPUTE_PGM_RSRC2:TGID_X_EN: 1
; COMPUTE_PGM_RSRC2:TGID_Y_EN: 0
; COMPUTE_PGM_RSRC2:TGID_Z_EN: 0
; COMPUTE_PGM_RSRC2:TIDIG_COMP_CNT: 0
	.section	.text._ZN7rocprim17ROCPRIM_400000_NS6detail17trampoline_kernelINS0_14default_configENS1_25transform_config_selectorIlLb0EEEZNS1_14transform_implILb0ES3_S5_NS0_18transform_iteratorINS0_17counting_iteratorImlEEZNS1_24adjacent_difference_implIS3_Lb1ELb0EPlSB_ZN2at6native12_GLOBAL__N_124unique_dim_cuda_templateIN3c108BFloat16EEESt5tupleIJNSC_6TensorESJ_SJ_EERKSJ_lbbbEUlllE1_EE10hipError_tPvRmT2_T3_mT4_P12ihipStream_tbEUlmE_lEESB_NS0_8identityIvEEEESO_SR_SS_mST_SV_bEUlT_E_NS1_11comp_targetILNS1_3genE10ELNS1_11target_archE1200ELNS1_3gpuE4ELNS1_3repE0EEENS1_30default_config_static_selectorELNS0_4arch9wavefront6targetE0EEEvT1_,"axG",@progbits,_ZN7rocprim17ROCPRIM_400000_NS6detail17trampoline_kernelINS0_14default_configENS1_25transform_config_selectorIlLb0EEEZNS1_14transform_implILb0ES3_S5_NS0_18transform_iteratorINS0_17counting_iteratorImlEEZNS1_24adjacent_difference_implIS3_Lb1ELb0EPlSB_ZN2at6native12_GLOBAL__N_124unique_dim_cuda_templateIN3c108BFloat16EEESt5tupleIJNSC_6TensorESJ_SJ_EERKSJ_lbbbEUlllE1_EE10hipError_tPvRmT2_T3_mT4_P12ihipStream_tbEUlmE_lEESB_NS0_8identityIvEEEESO_SR_SS_mST_SV_bEUlT_E_NS1_11comp_targetILNS1_3genE10ELNS1_11target_archE1200ELNS1_3gpuE4ELNS1_3repE0EEENS1_30default_config_static_selectorELNS0_4arch9wavefront6targetE0EEEvT1_,comdat
	.globl	_ZN7rocprim17ROCPRIM_400000_NS6detail17trampoline_kernelINS0_14default_configENS1_25transform_config_selectorIlLb0EEEZNS1_14transform_implILb0ES3_S5_NS0_18transform_iteratorINS0_17counting_iteratorImlEEZNS1_24adjacent_difference_implIS3_Lb1ELb0EPlSB_ZN2at6native12_GLOBAL__N_124unique_dim_cuda_templateIN3c108BFloat16EEESt5tupleIJNSC_6TensorESJ_SJ_EERKSJ_lbbbEUlllE1_EE10hipError_tPvRmT2_T3_mT4_P12ihipStream_tbEUlmE_lEESB_NS0_8identityIvEEEESO_SR_SS_mST_SV_bEUlT_E_NS1_11comp_targetILNS1_3genE10ELNS1_11target_archE1200ELNS1_3gpuE4ELNS1_3repE0EEENS1_30default_config_static_selectorELNS0_4arch9wavefront6targetE0EEEvT1_ ; -- Begin function _ZN7rocprim17ROCPRIM_400000_NS6detail17trampoline_kernelINS0_14default_configENS1_25transform_config_selectorIlLb0EEEZNS1_14transform_implILb0ES3_S5_NS0_18transform_iteratorINS0_17counting_iteratorImlEEZNS1_24adjacent_difference_implIS3_Lb1ELb0EPlSB_ZN2at6native12_GLOBAL__N_124unique_dim_cuda_templateIN3c108BFloat16EEESt5tupleIJNSC_6TensorESJ_SJ_EERKSJ_lbbbEUlllE1_EE10hipError_tPvRmT2_T3_mT4_P12ihipStream_tbEUlmE_lEESB_NS0_8identityIvEEEESO_SR_SS_mST_SV_bEUlT_E_NS1_11comp_targetILNS1_3genE10ELNS1_11target_archE1200ELNS1_3gpuE4ELNS1_3repE0EEENS1_30default_config_static_selectorELNS0_4arch9wavefront6targetE0EEEvT1_
	.p2align	8
	.type	_ZN7rocprim17ROCPRIM_400000_NS6detail17trampoline_kernelINS0_14default_configENS1_25transform_config_selectorIlLb0EEEZNS1_14transform_implILb0ES3_S5_NS0_18transform_iteratorINS0_17counting_iteratorImlEEZNS1_24adjacent_difference_implIS3_Lb1ELb0EPlSB_ZN2at6native12_GLOBAL__N_124unique_dim_cuda_templateIN3c108BFloat16EEESt5tupleIJNSC_6TensorESJ_SJ_EERKSJ_lbbbEUlllE1_EE10hipError_tPvRmT2_T3_mT4_P12ihipStream_tbEUlmE_lEESB_NS0_8identityIvEEEESO_SR_SS_mST_SV_bEUlT_E_NS1_11comp_targetILNS1_3genE10ELNS1_11target_archE1200ELNS1_3gpuE4ELNS1_3repE0EEENS1_30default_config_static_selectorELNS0_4arch9wavefront6targetE0EEEvT1_,@function
_ZN7rocprim17ROCPRIM_400000_NS6detail17trampoline_kernelINS0_14default_configENS1_25transform_config_selectorIlLb0EEEZNS1_14transform_implILb0ES3_S5_NS0_18transform_iteratorINS0_17counting_iteratorImlEEZNS1_24adjacent_difference_implIS3_Lb1ELb0EPlSB_ZN2at6native12_GLOBAL__N_124unique_dim_cuda_templateIN3c108BFloat16EEESt5tupleIJNSC_6TensorESJ_SJ_EERKSJ_lbbbEUlllE1_EE10hipError_tPvRmT2_T3_mT4_P12ihipStream_tbEUlmE_lEESB_NS0_8identityIvEEEESO_SR_SS_mST_SV_bEUlT_E_NS1_11comp_targetILNS1_3genE10ELNS1_11target_archE1200ELNS1_3gpuE4ELNS1_3repE0EEENS1_30default_config_static_selectorELNS0_4arch9wavefront6targetE0EEEvT1_: ; @_ZN7rocprim17ROCPRIM_400000_NS6detail17trampoline_kernelINS0_14default_configENS1_25transform_config_selectorIlLb0EEEZNS1_14transform_implILb0ES3_S5_NS0_18transform_iteratorINS0_17counting_iteratorImlEEZNS1_24adjacent_difference_implIS3_Lb1ELb0EPlSB_ZN2at6native12_GLOBAL__N_124unique_dim_cuda_templateIN3c108BFloat16EEESt5tupleIJNSC_6TensorESJ_SJ_EERKSJ_lbbbEUlllE1_EE10hipError_tPvRmT2_T3_mT4_P12ihipStream_tbEUlmE_lEESB_NS0_8identityIvEEEESO_SR_SS_mST_SV_bEUlT_E_NS1_11comp_targetILNS1_3genE10ELNS1_11target_archE1200ELNS1_3gpuE4ELNS1_3repE0EEENS1_30default_config_static_selectorELNS0_4arch9wavefront6targetE0EEEvT1_
; %bb.0:
	.section	.rodata,"a",@progbits
	.p2align	6, 0x0
	.amdhsa_kernel _ZN7rocprim17ROCPRIM_400000_NS6detail17trampoline_kernelINS0_14default_configENS1_25transform_config_selectorIlLb0EEEZNS1_14transform_implILb0ES3_S5_NS0_18transform_iteratorINS0_17counting_iteratorImlEEZNS1_24adjacent_difference_implIS3_Lb1ELb0EPlSB_ZN2at6native12_GLOBAL__N_124unique_dim_cuda_templateIN3c108BFloat16EEESt5tupleIJNSC_6TensorESJ_SJ_EERKSJ_lbbbEUlllE1_EE10hipError_tPvRmT2_T3_mT4_P12ihipStream_tbEUlmE_lEESB_NS0_8identityIvEEEESO_SR_SS_mST_SV_bEUlT_E_NS1_11comp_targetILNS1_3genE10ELNS1_11target_archE1200ELNS1_3gpuE4ELNS1_3repE0EEENS1_30default_config_static_selectorELNS0_4arch9wavefront6targetE0EEEvT1_
		.amdhsa_group_segment_fixed_size 0
		.amdhsa_private_segment_fixed_size 0
		.amdhsa_kernarg_size 56
		.amdhsa_user_sgpr_count 15
		.amdhsa_user_sgpr_dispatch_ptr 0
		.amdhsa_user_sgpr_queue_ptr 0
		.amdhsa_user_sgpr_kernarg_segment_ptr 1
		.amdhsa_user_sgpr_dispatch_id 0
		.amdhsa_user_sgpr_private_segment_size 0
		.amdhsa_wavefront_size32 1
		.amdhsa_uses_dynamic_stack 0
		.amdhsa_enable_private_segment 0
		.amdhsa_system_sgpr_workgroup_id_x 1
		.amdhsa_system_sgpr_workgroup_id_y 0
		.amdhsa_system_sgpr_workgroup_id_z 0
		.amdhsa_system_sgpr_workgroup_info 0
		.amdhsa_system_vgpr_workitem_id 0
		.amdhsa_next_free_vgpr 1
		.amdhsa_next_free_sgpr 1
		.amdhsa_reserve_vcc 0
		.amdhsa_float_round_mode_32 0
		.amdhsa_float_round_mode_16_64 0
		.amdhsa_float_denorm_mode_32 3
		.amdhsa_float_denorm_mode_16_64 3
		.amdhsa_dx10_clamp 1
		.amdhsa_ieee_mode 1
		.amdhsa_fp16_overflow 0
		.amdhsa_workgroup_processor_mode 1
		.amdhsa_memory_ordered 1
		.amdhsa_forward_progress 0
		.amdhsa_shared_vgpr_count 0
		.amdhsa_exception_fp_ieee_invalid_op 0
		.amdhsa_exception_fp_denorm_src 0
		.amdhsa_exception_fp_ieee_div_zero 0
		.amdhsa_exception_fp_ieee_overflow 0
		.amdhsa_exception_fp_ieee_underflow 0
		.amdhsa_exception_fp_ieee_inexact 0
		.amdhsa_exception_int_div_zero 0
	.end_amdhsa_kernel
	.section	.text._ZN7rocprim17ROCPRIM_400000_NS6detail17trampoline_kernelINS0_14default_configENS1_25transform_config_selectorIlLb0EEEZNS1_14transform_implILb0ES3_S5_NS0_18transform_iteratorINS0_17counting_iteratorImlEEZNS1_24adjacent_difference_implIS3_Lb1ELb0EPlSB_ZN2at6native12_GLOBAL__N_124unique_dim_cuda_templateIN3c108BFloat16EEESt5tupleIJNSC_6TensorESJ_SJ_EERKSJ_lbbbEUlllE1_EE10hipError_tPvRmT2_T3_mT4_P12ihipStream_tbEUlmE_lEESB_NS0_8identityIvEEEESO_SR_SS_mST_SV_bEUlT_E_NS1_11comp_targetILNS1_3genE10ELNS1_11target_archE1200ELNS1_3gpuE4ELNS1_3repE0EEENS1_30default_config_static_selectorELNS0_4arch9wavefront6targetE0EEEvT1_,"axG",@progbits,_ZN7rocprim17ROCPRIM_400000_NS6detail17trampoline_kernelINS0_14default_configENS1_25transform_config_selectorIlLb0EEEZNS1_14transform_implILb0ES3_S5_NS0_18transform_iteratorINS0_17counting_iteratorImlEEZNS1_24adjacent_difference_implIS3_Lb1ELb0EPlSB_ZN2at6native12_GLOBAL__N_124unique_dim_cuda_templateIN3c108BFloat16EEESt5tupleIJNSC_6TensorESJ_SJ_EERKSJ_lbbbEUlllE1_EE10hipError_tPvRmT2_T3_mT4_P12ihipStream_tbEUlmE_lEESB_NS0_8identityIvEEEESO_SR_SS_mST_SV_bEUlT_E_NS1_11comp_targetILNS1_3genE10ELNS1_11target_archE1200ELNS1_3gpuE4ELNS1_3repE0EEENS1_30default_config_static_selectorELNS0_4arch9wavefront6targetE0EEEvT1_,comdat
.Lfunc_end1162:
	.size	_ZN7rocprim17ROCPRIM_400000_NS6detail17trampoline_kernelINS0_14default_configENS1_25transform_config_selectorIlLb0EEEZNS1_14transform_implILb0ES3_S5_NS0_18transform_iteratorINS0_17counting_iteratorImlEEZNS1_24adjacent_difference_implIS3_Lb1ELb0EPlSB_ZN2at6native12_GLOBAL__N_124unique_dim_cuda_templateIN3c108BFloat16EEESt5tupleIJNSC_6TensorESJ_SJ_EERKSJ_lbbbEUlllE1_EE10hipError_tPvRmT2_T3_mT4_P12ihipStream_tbEUlmE_lEESB_NS0_8identityIvEEEESO_SR_SS_mST_SV_bEUlT_E_NS1_11comp_targetILNS1_3genE10ELNS1_11target_archE1200ELNS1_3gpuE4ELNS1_3repE0EEENS1_30default_config_static_selectorELNS0_4arch9wavefront6targetE0EEEvT1_, .Lfunc_end1162-_ZN7rocprim17ROCPRIM_400000_NS6detail17trampoline_kernelINS0_14default_configENS1_25transform_config_selectorIlLb0EEEZNS1_14transform_implILb0ES3_S5_NS0_18transform_iteratorINS0_17counting_iteratorImlEEZNS1_24adjacent_difference_implIS3_Lb1ELb0EPlSB_ZN2at6native12_GLOBAL__N_124unique_dim_cuda_templateIN3c108BFloat16EEESt5tupleIJNSC_6TensorESJ_SJ_EERKSJ_lbbbEUlllE1_EE10hipError_tPvRmT2_T3_mT4_P12ihipStream_tbEUlmE_lEESB_NS0_8identityIvEEEESO_SR_SS_mST_SV_bEUlT_E_NS1_11comp_targetILNS1_3genE10ELNS1_11target_archE1200ELNS1_3gpuE4ELNS1_3repE0EEENS1_30default_config_static_selectorELNS0_4arch9wavefront6targetE0EEEvT1_
                                        ; -- End function
	.section	.AMDGPU.csdata,"",@progbits
; Kernel info:
; codeLenInByte = 0
; NumSgprs: 0
; NumVgprs: 0
; ScratchSize: 0
; MemoryBound: 0
; FloatMode: 240
; IeeeMode: 1
; LDSByteSize: 0 bytes/workgroup (compile time only)
; SGPRBlocks: 0
; VGPRBlocks: 0
; NumSGPRsForWavesPerEU: 1
; NumVGPRsForWavesPerEU: 1
; Occupancy: 16
; WaveLimiterHint : 0
; COMPUTE_PGM_RSRC2:SCRATCH_EN: 0
; COMPUTE_PGM_RSRC2:USER_SGPR: 15
; COMPUTE_PGM_RSRC2:TRAP_HANDLER: 0
; COMPUTE_PGM_RSRC2:TGID_X_EN: 1
; COMPUTE_PGM_RSRC2:TGID_Y_EN: 0
; COMPUTE_PGM_RSRC2:TGID_Z_EN: 0
; COMPUTE_PGM_RSRC2:TIDIG_COMP_CNT: 0
	.section	.text._ZN7rocprim17ROCPRIM_400000_NS6detail17trampoline_kernelINS0_14default_configENS1_25transform_config_selectorIlLb0EEEZNS1_14transform_implILb0ES3_S5_NS0_18transform_iteratorINS0_17counting_iteratorImlEEZNS1_24adjacent_difference_implIS3_Lb1ELb0EPlSB_ZN2at6native12_GLOBAL__N_124unique_dim_cuda_templateIN3c108BFloat16EEESt5tupleIJNSC_6TensorESJ_SJ_EERKSJ_lbbbEUlllE1_EE10hipError_tPvRmT2_T3_mT4_P12ihipStream_tbEUlmE_lEESB_NS0_8identityIvEEEESO_SR_SS_mST_SV_bEUlT_E_NS1_11comp_targetILNS1_3genE9ELNS1_11target_archE1100ELNS1_3gpuE3ELNS1_3repE0EEENS1_30default_config_static_selectorELNS0_4arch9wavefront6targetE0EEEvT1_,"axG",@progbits,_ZN7rocprim17ROCPRIM_400000_NS6detail17trampoline_kernelINS0_14default_configENS1_25transform_config_selectorIlLb0EEEZNS1_14transform_implILb0ES3_S5_NS0_18transform_iteratorINS0_17counting_iteratorImlEEZNS1_24adjacent_difference_implIS3_Lb1ELb0EPlSB_ZN2at6native12_GLOBAL__N_124unique_dim_cuda_templateIN3c108BFloat16EEESt5tupleIJNSC_6TensorESJ_SJ_EERKSJ_lbbbEUlllE1_EE10hipError_tPvRmT2_T3_mT4_P12ihipStream_tbEUlmE_lEESB_NS0_8identityIvEEEESO_SR_SS_mST_SV_bEUlT_E_NS1_11comp_targetILNS1_3genE9ELNS1_11target_archE1100ELNS1_3gpuE3ELNS1_3repE0EEENS1_30default_config_static_selectorELNS0_4arch9wavefront6targetE0EEEvT1_,comdat
	.globl	_ZN7rocprim17ROCPRIM_400000_NS6detail17trampoline_kernelINS0_14default_configENS1_25transform_config_selectorIlLb0EEEZNS1_14transform_implILb0ES3_S5_NS0_18transform_iteratorINS0_17counting_iteratorImlEEZNS1_24adjacent_difference_implIS3_Lb1ELb0EPlSB_ZN2at6native12_GLOBAL__N_124unique_dim_cuda_templateIN3c108BFloat16EEESt5tupleIJNSC_6TensorESJ_SJ_EERKSJ_lbbbEUlllE1_EE10hipError_tPvRmT2_T3_mT4_P12ihipStream_tbEUlmE_lEESB_NS0_8identityIvEEEESO_SR_SS_mST_SV_bEUlT_E_NS1_11comp_targetILNS1_3genE9ELNS1_11target_archE1100ELNS1_3gpuE3ELNS1_3repE0EEENS1_30default_config_static_selectorELNS0_4arch9wavefront6targetE0EEEvT1_ ; -- Begin function _ZN7rocprim17ROCPRIM_400000_NS6detail17trampoline_kernelINS0_14default_configENS1_25transform_config_selectorIlLb0EEEZNS1_14transform_implILb0ES3_S5_NS0_18transform_iteratorINS0_17counting_iteratorImlEEZNS1_24adjacent_difference_implIS3_Lb1ELb0EPlSB_ZN2at6native12_GLOBAL__N_124unique_dim_cuda_templateIN3c108BFloat16EEESt5tupleIJNSC_6TensorESJ_SJ_EERKSJ_lbbbEUlllE1_EE10hipError_tPvRmT2_T3_mT4_P12ihipStream_tbEUlmE_lEESB_NS0_8identityIvEEEESO_SR_SS_mST_SV_bEUlT_E_NS1_11comp_targetILNS1_3genE9ELNS1_11target_archE1100ELNS1_3gpuE3ELNS1_3repE0EEENS1_30default_config_static_selectorELNS0_4arch9wavefront6targetE0EEEvT1_
	.p2align	8
	.type	_ZN7rocprim17ROCPRIM_400000_NS6detail17trampoline_kernelINS0_14default_configENS1_25transform_config_selectorIlLb0EEEZNS1_14transform_implILb0ES3_S5_NS0_18transform_iteratorINS0_17counting_iteratorImlEEZNS1_24adjacent_difference_implIS3_Lb1ELb0EPlSB_ZN2at6native12_GLOBAL__N_124unique_dim_cuda_templateIN3c108BFloat16EEESt5tupleIJNSC_6TensorESJ_SJ_EERKSJ_lbbbEUlllE1_EE10hipError_tPvRmT2_T3_mT4_P12ihipStream_tbEUlmE_lEESB_NS0_8identityIvEEEESO_SR_SS_mST_SV_bEUlT_E_NS1_11comp_targetILNS1_3genE9ELNS1_11target_archE1100ELNS1_3gpuE3ELNS1_3repE0EEENS1_30default_config_static_selectorELNS0_4arch9wavefront6targetE0EEEvT1_,@function
_ZN7rocprim17ROCPRIM_400000_NS6detail17trampoline_kernelINS0_14default_configENS1_25transform_config_selectorIlLb0EEEZNS1_14transform_implILb0ES3_S5_NS0_18transform_iteratorINS0_17counting_iteratorImlEEZNS1_24adjacent_difference_implIS3_Lb1ELb0EPlSB_ZN2at6native12_GLOBAL__N_124unique_dim_cuda_templateIN3c108BFloat16EEESt5tupleIJNSC_6TensorESJ_SJ_EERKSJ_lbbbEUlllE1_EE10hipError_tPvRmT2_T3_mT4_P12ihipStream_tbEUlmE_lEESB_NS0_8identityIvEEEESO_SR_SS_mST_SV_bEUlT_E_NS1_11comp_targetILNS1_3genE9ELNS1_11target_archE1100ELNS1_3gpuE3ELNS1_3repE0EEENS1_30default_config_static_selectorELNS0_4arch9wavefront6targetE0EEEvT1_: ; @_ZN7rocprim17ROCPRIM_400000_NS6detail17trampoline_kernelINS0_14default_configENS1_25transform_config_selectorIlLb0EEEZNS1_14transform_implILb0ES3_S5_NS0_18transform_iteratorINS0_17counting_iteratorImlEEZNS1_24adjacent_difference_implIS3_Lb1ELb0EPlSB_ZN2at6native12_GLOBAL__N_124unique_dim_cuda_templateIN3c108BFloat16EEESt5tupleIJNSC_6TensorESJ_SJ_EERKSJ_lbbbEUlllE1_EE10hipError_tPvRmT2_T3_mT4_P12ihipStream_tbEUlmE_lEESB_NS0_8identityIvEEEESO_SR_SS_mST_SV_bEUlT_E_NS1_11comp_targetILNS1_3genE9ELNS1_11target_archE1100ELNS1_3gpuE3ELNS1_3repE0EEENS1_30default_config_static_selectorELNS0_4arch9wavefront6targetE0EEEvT1_
; %bb.0:
	s_clause 0x4
	s_load_b128 s[4:7], s[0:1], 0x0
	s_load_b64 s[2:3], s[0:1], 0x18
	s_load_b64 s[12:13], s[0:1], 0x28
	s_load_b32 s11, s[0:1], 0x38
	s_load_b32 s8, s[0:1], 0x10
	s_waitcnt lgkmcnt(0)
	s_add_u32 s9, s2, s4
	s_addc_u32 s10, s3, s5
	s_lshl_b64 s[2:3], s[2:3], 3
	s_delay_alu instid0(SALU_CYCLE_1)
	s_add_u32 s4, s12, s2
	s_addc_u32 s5, s13, s3
	s_add_i32 s11, s11, -1
	s_lshl_b32 s2, s15, 9
	s_mov_b32 s3, 0
	s_cmp_lg_u32 s15, s11
	s_mov_b32 s11, -1
	s_cbranch_scc0 .LBB1163_2
; %bb.1:
	s_add_u32 s11, s9, s2
	s_addc_u32 s12, s10, 0
	v_add_co_u32 v3, s11, s11, v0
	s_delay_alu instid0(VALU_DEP_1) | instskip(SKIP_1) | instid1(VALU_DEP_2)
	v_add_co_ci_u32_e64 v5, null, s12, 0, s11
	s_lshl_b64 s[12:13], s[2:3], 3
	v_mad_u64_u32 v[1:2], null, v3, s8, 0
	s_add_u32 s12, s4, s12
	s_addc_u32 s13, s5, s13
	s_mov_b32 s11, s3
	s_delay_alu instid0(VALU_DEP_1) | instskip(NEXT) | instid1(VALU_DEP_1)
	v_mad_u64_u32 v[3:4], null, v5, s8, v[2:3]
	v_dual_mov_b32 v2, v3 :: v_dual_lshlrev_b32 v3, 3, v0
	s_delay_alu instid0(VALU_DEP_1) | instskip(NEXT) | instid1(VALU_DEP_1)
	v_lshlrev_b64 v[1:2], 3, v[1:2]
	v_add_co_u32 v1, vcc_lo, s6, v1
	s_delay_alu instid0(VALU_DEP_2)
	v_add_co_ci_u32_e32 v2, vcc_lo, s7, v2, vcc_lo
	global_load_b64 v[1:2], v[1:2], off
	s_waitcnt vmcnt(0)
	global_store_b64 v3, v[1:2], s[12:13]
.LBB1163_2:
	s_and_not1_b32 vcc_lo, exec_lo, s11
	s_cbranch_vccnz .LBB1163_7
; %bb.3:
	s_load_b32 s0, s[0:1], 0x20
                                        ; implicit-def: $vgpr1_vgpr2
	s_waitcnt lgkmcnt(0)
	s_sub_i32 s0, s0, s2
	s_delay_alu instid0(SALU_CYCLE_1)
	v_cmp_gt_u32_e32 vcc_lo, s0, v0
	s_and_saveexec_b32 s1, vcc_lo
	s_cbranch_execz .LBB1163_5
; %bb.4:
	s_add_u32 s0, s9, s2
	s_addc_u32 s9, s10, 0
	v_add_co_u32 v3, s0, s0, v0
	s_delay_alu instid0(VALU_DEP_1) | instskip(NEXT) | instid1(VALU_DEP_2)
	v_add_co_ci_u32_e64 v5, null, s9, 0, s0
	v_mad_u64_u32 v[1:2], null, v3, s8, 0
	s_delay_alu instid0(VALU_DEP_1) | instskip(NEXT) | instid1(VALU_DEP_1)
	v_mad_u64_u32 v[3:4], null, v5, s8, v[2:3]
	v_mov_b32_e32 v2, v3
	s_delay_alu instid0(VALU_DEP_1) | instskip(NEXT) | instid1(VALU_DEP_1)
	v_lshlrev_b64 v[1:2], 3, v[1:2]
	v_add_co_u32 v1, s0, s6, v1
	s_delay_alu instid0(VALU_DEP_1)
	v_add_co_ci_u32_e64 v2, s0, s7, v2, s0
	global_load_b64 v[1:2], v[1:2], off
.LBB1163_5:
	s_or_b32 exec_lo, exec_lo, s1
	s_and_saveexec_b32 s0, vcc_lo
	s_cbranch_execz .LBB1163_7
; %bb.6:
	s_lshl_b64 s[0:1], s[2:3], 3
	v_lshlrev_b32_e32 v0, 3, v0
	s_add_u32 s0, s4, s0
	s_addc_u32 s1, s5, s1
	s_waitcnt vmcnt(0)
	global_store_b64 v0, v[1:2], s[0:1]
.LBB1163_7:
	s_nop 0
	s_sendmsg sendmsg(MSG_DEALLOC_VGPRS)
	s_endpgm
	.section	.rodata,"a",@progbits
	.p2align	6, 0x0
	.amdhsa_kernel _ZN7rocprim17ROCPRIM_400000_NS6detail17trampoline_kernelINS0_14default_configENS1_25transform_config_selectorIlLb0EEEZNS1_14transform_implILb0ES3_S5_NS0_18transform_iteratorINS0_17counting_iteratorImlEEZNS1_24adjacent_difference_implIS3_Lb1ELb0EPlSB_ZN2at6native12_GLOBAL__N_124unique_dim_cuda_templateIN3c108BFloat16EEESt5tupleIJNSC_6TensorESJ_SJ_EERKSJ_lbbbEUlllE1_EE10hipError_tPvRmT2_T3_mT4_P12ihipStream_tbEUlmE_lEESB_NS0_8identityIvEEEESO_SR_SS_mST_SV_bEUlT_E_NS1_11comp_targetILNS1_3genE9ELNS1_11target_archE1100ELNS1_3gpuE3ELNS1_3repE0EEENS1_30default_config_static_selectorELNS0_4arch9wavefront6targetE0EEEvT1_
		.amdhsa_group_segment_fixed_size 0
		.amdhsa_private_segment_fixed_size 0
		.amdhsa_kernarg_size 312
		.amdhsa_user_sgpr_count 15
		.amdhsa_user_sgpr_dispatch_ptr 0
		.amdhsa_user_sgpr_queue_ptr 0
		.amdhsa_user_sgpr_kernarg_segment_ptr 1
		.amdhsa_user_sgpr_dispatch_id 0
		.amdhsa_user_sgpr_private_segment_size 0
		.amdhsa_wavefront_size32 1
		.amdhsa_uses_dynamic_stack 0
		.amdhsa_enable_private_segment 0
		.amdhsa_system_sgpr_workgroup_id_x 1
		.amdhsa_system_sgpr_workgroup_id_y 0
		.amdhsa_system_sgpr_workgroup_id_z 0
		.amdhsa_system_sgpr_workgroup_info 0
		.amdhsa_system_vgpr_workitem_id 0
		.amdhsa_next_free_vgpr 6
		.amdhsa_next_free_sgpr 16
		.amdhsa_reserve_vcc 1
		.amdhsa_float_round_mode_32 0
		.amdhsa_float_round_mode_16_64 0
		.amdhsa_float_denorm_mode_32 3
		.amdhsa_float_denorm_mode_16_64 3
		.amdhsa_dx10_clamp 1
		.amdhsa_ieee_mode 1
		.amdhsa_fp16_overflow 0
		.amdhsa_workgroup_processor_mode 1
		.amdhsa_memory_ordered 1
		.amdhsa_forward_progress 0
		.amdhsa_shared_vgpr_count 0
		.amdhsa_exception_fp_ieee_invalid_op 0
		.amdhsa_exception_fp_denorm_src 0
		.amdhsa_exception_fp_ieee_div_zero 0
		.amdhsa_exception_fp_ieee_overflow 0
		.amdhsa_exception_fp_ieee_underflow 0
		.amdhsa_exception_fp_ieee_inexact 0
		.amdhsa_exception_int_div_zero 0
	.end_amdhsa_kernel
	.section	.text._ZN7rocprim17ROCPRIM_400000_NS6detail17trampoline_kernelINS0_14default_configENS1_25transform_config_selectorIlLb0EEEZNS1_14transform_implILb0ES3_S5_NS0_18transform_iteratorINS0_17counting_iteratorImlEEZNS1_24adjacent_difference_implIS3_Lb1ELb0EPlSB_ZN2at6native12_GLOBAL__N_124unique_dim_cuda_templateIN3c108BFloat16EEESt5tupleIJNSC_6TensorESJ_SJ_EERKSJ_lbbbEUlllE1_EE10hipError_tPvRmT2_T3_mT4_P12ihipStream_tbEUlmE_lEESB_NS0_8identityIvEEEESO_SR_SS_mST_SV_bEUlT_E_NS1_11comp_targetILNS1_3genE9ELNS1_11target_archE1100ELNS1_3gpuE3ELNS1_3repE0EEENS1_30default_config_static_selectorELNS0_4arch9wavefront6targetE0EEEvT1_,"axG",@progbits,_ZN7rocprim17ROCPRIM_400000_NS6detail17trampoline_kernelINS0_14default_configENS1_25transform_config_selectorIlLb0EEEZNS1_14transform_implILb0ES3_S5_NS0_18transform_iteratorINS0_17counting_iteratorImlEEZNS1_24adjacent_difference_implIS3_Lb1ELb0EPlSB_ZN2at6native12_GLOBAL__N_124unique_dim_cuda_templateIN3c108BFloat16EEESt5tupleIJNSC_6TensorESJ_SJ_EERKSJ_lbbbEUlllE1_EE10hipError_tPvRmT2_T3_mT4_P12ihipStream_tbEUlmE_lEESB_NS0_8identityIvEEEESO_SR_SS_mST_SV_bEUlT_E_NS1_11comp_targetILNS1_3genE9ELNS1_11target_archE1100ELNS1_3gpuE3ELNS1_3repE0EEENS1_30default_config_static_selectorELNS0_4arch9wavefront6targetE0EEEvT1_,comdat
.Lfunc_end1163:
	.size	_ZN7rocprim17ROCPRIM_400000_NS6detail17trampoline_kernelINS0_14default_configENS1_25transform_config_selectorIlLb0EEEZNS1_14transform_implILb0ES3_S5_NS0_18transform_iteratorINS0_17counting_iteratorImlEEZNS1_24adjacent_difference_implIS3_Lb1ELb0EPlSB_ZN2at6native12_GLOBAL__N_124unique_dim_cuda_templateIN3c108BFloat16EEESt5tupleIJNSC_6TensorESJ_SJ_EERKSJ_lbbbEUlllE1_EE10hipError_tPvRmT2_T3_mT4_P12ihipStream_tbEUlmE_lEESB_NS0_8identityIvEEEESO_SR_SS_mST_SV_bEUlT_E_NS1_11comp_targetILNS1_3genE9ELNS1_11target_archE1100ELNS1_3gpuE3ELNS1_3repE0EEENS1_30default_config_static_selectorELNS0_4arch9wavefront6targetE0EEEvT1_, .Lfunc_end1163-_ZN7rocprim17ROCPRIM_400000_NS6detail17trampoline_kernelINS0_14default_configENS1_25transform_config_selectorIlLb0EEEZNS1_14transform_implILb0ES3_S5_NS0_18transform_iteratorINS0_17counting_iteratorImlEEZNS1_24adjacent_difference_implIS3_Lb1ELb0EPlSB_ZN2at6native12_GLOBAL__N_124unique_dim_cuda_templateIN3c108BFloat16EEESt5tupleIJNSC_6TensorESJ_SJ_EERKSJ_lbbbEUlllE1_EE10hipError_tPvRmT2_T3_mT4_P12ihipStream_tbEUlmE_lEESB_NS0_8identityIvEEEESO_SR_SS_mST_SV_bEUlT_E_NS1_11comp_targetILNS1_3genE9ELNS1_11target_archE1100ELNS1_3gpuE3ELNS1_3repE0EEENS1_30default_config_static_selectorELNS0_4arch9wavefront6targetE0EEEvT1_
                                        ; -- End function
	.section	.AMDGPU.csdata,"",@progbits
; Kernel info:
; codeLenInByte = 400
; NumSgprs: 18
; NumVgprs: 6
; ScratchSize: 0
; MemoryBound: 0
; FloatMode: 240
; IeeeMode: 1
; LDSByteSize: 0 bytes/workgroup (compile time only)
; SGPRBlocks: 2
; VGPRBlocks: 0
; NumSGPRsForWavesPerEU: 18
; NumVGPRsForWavesPerEU: 6
; Occupancy: 16
; WaveLimiterHint : 0
; COMPUTE_PGM_RSRC2:SCRATCH_EN: 0
; COMPUTE_PGM_RSRC2:USER_SGPR: 15
; COMPUTE_PGM_RSRC2:TRAP_HANDLER: 0
; COMPUTE_PGM_RSRC2:TGID_X_EN: 1
; COMPUTE_PGM_RSRC2:TGID_Y_EN: 0
; COMPUTE_PGM_RSRC2:TGID_Z_EN: 0
; COMPUTE_PGM_RSRC2:TIDIG_COMP_CNT: 0
	.section	.text._ZN7rocprim17ROCPRIM_400000_NS6detail17trampoline_kernelINS0_14default_configENS1_25transform_config_selectorIlLb0EEEZNS1_14transform_implILb0ES3_S5_NS0_18transform_iteratorINS0_17counting_iteratorImlEEZNS1_24adjacent_difference_implIS3_Lb1ELb0EPlSB_ZN2at6native12_GLOBAL__N_124unique_dim_cuda_templateIN3c108BFloat16EEESt5tupleIJNSC_6TensorESJ_SJ_EERKSJ_lbbbEUlllE1_EE10hipError_tPvRmT2_T3_mT4_P12ihipStream_tbEUlmE_lEESB_NS0_8identityIvEEEESO_SR_SS_mST_SV_bEUlT_E_NS1_11comp_targetILNS1_3genE8ELNS1_11target_archE1030ELNS1_3gpuE2ELNS1_3repE0EEENS1_30default_config_static_selectorELNS0_4arch9wavefront6targetE0EEEvT1_,"axG",@progbits,_ZN7rocprim17ROCPRIM_400000_NS6detail17trampoline_kernelINS0_14default_configENS1_25transform_config_selectorIlLb0EEEZNS1_14transform_implILb0ES3_S5_NS0_18transform_iteratorINS0_17counting_iteratorImlEEZNS1_24adjacent_difference_implIS3_Lb1ELb0EPlSB_ZN2at6native12_GLOBAL__N_124unique_dim_cuda_templateIN3c108BFloat16EEESt5tupleIJNSC_6TensorESJ_SJ_EERKSJ_lbbbEUlllE1_EE10hipError_tPvRmT2_T3_mT4_P12ihipStream_tbEUlmE_lEESB_NS0_8identityIvEEEESO_SR_SS_mST_SV_bEUlT_E_NS1_11comp_targetILNS1_3genE8ELNS1_11target_archE1030ELNS1_3gpuE2ELNS1_3repE0EEENS1_30default_config_static_selectorELNS0_4arch9wavefront6targetE0EEEvT1_,comdat
	.globl	_ZN7rocprim17ROCPRIM_400000_NS6detail17trampoline_kernelINS0_14default_configENS1_25transform_config_selectorIlLb0EEEZNS1_14transform_implILb0ES3_S5_NS0_18transform_iteratorINS0_17counting_iteratorImlEEZNS1_24adjacent_difference_implIS3_Lb1ELb0EPlSB_ZN2at6native12_GLOBAL__N_124unique_dim_cuda_templateIN3c108BFloat16EEESt5tupleIJNSC_6TensorESJ_SJ_EERKSJ_lbbbEUlllE1_EE10hipError_tPvRmT2_T3_mT4_P12ihipStream_tbEUlmE_lEESB_NS0_8identityIvEEEESO_SR_SS_mST_SV_bEUlT_E_NS1_11comp_targetILNS1_3genE8ELNS1_11target_archE1030ELNS1_3gpuE2ELNS1_3repE0EEENS1_30default_config_static_selectorELNS0_4arch9wavefront6targetE0EEEvT1_ ; -- Begin function _ZN7rocprim17ROCPRIM_400000_NS6detail17trampoline_kernelINS0_14default_configENS1_25transform_config_selectorIlLb0EEEZNS1_14transform_implILb0ES3_S5_NS0_18transform_iteratorINS0_17counting_iteratorImlEEZNS1_24adjacent_difference_implIS3_Lb1ELb0EPlSB_ZN2at6native12_GLOBAL__N_124unique_dim_cuda_templateIN3c108BFloat16EEESt5tupleIJNSC_6TensorESJ_SJ_EERKSJ_lbbbEUlllE1_EE10hipError_tPvRmT2_T3_mT4_P12ihipStream_tbEUlmE_lEESB_NS0_8identityIvEEEESO_SR_SS_mST_SV_bEUlT_E_NS1_11comp_targetILNS1_3genE8ELNS1_11target_archE1030ELNS1_3gpuE2ELNS1_3repE0EEENS1_30default_config_static_selectorELNS0_4arch9wavefront6targetE0EEEvT1_
	.p2align	8
	.type	_ZN7rocprim17ROCPRIM_400000_NS6detail17trampoline_kernelINS0_14default_configENS1_25transform_config_selectorIlLb0EEEZNS1_14transform_implILb0ES3_S5_NS0_18transform_iteratorINS0_17counting_iteratorImlEEZNS1_24adjacent_difference_implIS3_Lb1ELb0EPlSB_ZN2at6native12_GLOBAL__N_124unique_dim_cuda_templateIN3c108BFloat16EEESt5tupleIJNSC_6TensorESJ_SJ_EERKSJ_lbbbEUlllE1_EE10hipError_tPvRmT2_T3_mT4_P12ihipStream_tbEUlmE_lEESB_NS0_8identityIvEEEESO_SR_SS_mST_SV_bEUlT_E_NS1_11comp_targetILNS1_3genE8ELNS1_11target_archE1030ELNS1_3gpuE2ELNS1_3repE0EEENS1_30default_config_static_selectorELNS0_4arch9wavefront6targetE0EEEvT1_,@function
_ZN7rocprim17ROCPRIM_400000_NS6detail17trampoline_kernelINS0_14default_configENS1_25transform_config_selectorIlLb0EEEZNS1_14transform_implILb0ES3_S5_NS0_18transform_iteratorINS0_17counting_iteratorImlEEZNS1_24adjacent_difference_implIS3_Lb1ELb0EPlSB_ZN2at6native12_GLOBAL__N_124unique_dim_cuda_templateIN3c108BFloat16EEESt5tupleIJNSC_6TensorESJ_SJ_EERKSJ_lbbbEUlllE1_EE10hipError_tPvRmT2_T3_mT4_P12ihipStream_tbEUlmE_lEESB_NS0_8identityIvEEEESO_SR_SS_mST_SV_bEUlT_E_NS1_11comp_targetILNS1_3genE8ELNS1_11target_archE1030ELNS1_3gpuE2ELNS1_3repE0EEENS1_30default_config_static_selectorELNS0_4arch9wavefront6targetE0EEEvT1_: ; @_ZN7rocprim17ROCPRIM_400000_NS6detail17trampoline_kernelINS0_14default_configENS1_25transform_config_selectorIlLb0EEEZNS1_14transform_implILb0ES3_S5_NS0_18transform_iteratorINS0_17counting_iteratorImlEEZNS1_24adjacent_difference_implIS3_Lb1ELb0EPlSB_ZN2at6native12_GLOBAL__N_124unique_dim_cuda_templateIN3c108BFloat16EEESt5tupleIJNSC_6TensorESJ_SJ_EERKSJ_lbbbEUlllE1_EE10hipError_tPvRmT2_T3_mT4_P12ihipStream_tbEUlmE_lEESB_NS0_8identityIvEEEESO_SR_SS_mST_SV_bEUlT_E_NS1_11comp_targetILNS1_3genE8ELNS1_11target_archE1030ELNS1_3gpuE2ELNS1_3repE0EEENS1_30default_config_static_selectorELNS0_4arch9wavefront6targetE0EEEvT1_
; %bb.0:
	.section	.rodata,"a",@progbits
	.p2align	6, 0x0
	.amdhsa_kernel _ZN7rocprim17ROCPRIM_400000_NS6detail17trampoline_kernelINS0_14default_configENS1_25transform_config_selectorIlLb0EEEZNS1_14transform_implILb0ES3_S5_NS0_18transform_iteratorINS0_17counting_iteratorImlEEZNS1_24adjacent_difference_implIS3_Lb1ELb0EPlSB_ZN2at6native12_GLOBAL__N_124unique_dim_cuda_templateIN3c108BFloat16EEESt5tupleIJNSC_6TensorESJ_SJ_EERKSJ_lbbbEUlllE1_EE10hipError_tPvRmT2_T3_mT4_P12ihipStream_tbEUlmE_lEESB_NS0_8identityIvEEEESO_SR_SS_mST_SV_bEUlT_E_NS1_11comp_targetILNS1_3genE8ELNS1_11target_archE1030ELNS1_3gpuE2ELNS1_3repE0EEENS1_30default_config_static_selectorELNS0_4arch9wavefront6targetE0EEEvT1_
		.amdhsa_group_segment_fixed_size 0
		.amdhsa_private_segment_fixed_size 0
		.amdhsa_kernarg_size 56
		.amdhsa_user_sgpr_count 15
		.amdhsa_user_sgpr_dispatch_ptr 0
		.amdhsa_user_sgpr_queue_ptr 0
		.amdhsa_user_sgpr_kernarg_segment_ptr 1
		.amdhsa_user_sgpr_dispatch_id 0
		.amdhsa_user_sgpr_private_segment_size 0
		.amdhsa_wavefront_size32 1
		.amdhsa_uses_dynamic_stack 0
		.amdhsa_enable_private_segment 0
		.amdhsa_system_sgpr_workgroup_id_x 1
		.amdhsa_system_sgpr_workgroup_id_y 0
		.amdhsa_system_sgpr_workgroup_id_z 0
		.amdhsa_system_sgpr_workgroup_info 0
		.amdhsa_system_vgpr_workitem_id 0
		.amdhsa_next_free_vgpr 1
		.amdhsa_next_free_sgpr 1
		.amdhsa_reserve_vcc 0
		.amdhsa_float_round_mode_32 0
		.amdhsa_float_round_mode_16_64 0
		.amdhsa_float_denorm_mode_32 3
		.amdhsa_float_denorm_mode_16_64 3
		.amdhsa_dx10_clamp 1
		.amdhsa_ieee_mode 1
		.amdhsa_fp16_overflow 0
		.amdhsa_workgroup_processor_mode 1
		.amdhsa_memory_ordered 1
		.amdhsa_forward_progress 0
		.amdhsa_shared_vgpr_count 0
		.amdhsa_exception_fp_ieee_invalid_op 0
		.amdhsa_exception_fp_denorm_src 0
		.amdhsa_exception_fp_ieee_div_zero 0
		.amdhsa_exception_fp_ieee_overflow 0
		.amdhsa_exception_fp_ieee_underflow 0
		.amdhsa_exception_fp_ieee_inexact 0
		.amdhsa_exception_int_div_zero 0
	.end_amdhsa_kernel
	.section	.text._ZN7rocprim17ROCPRIM_400000_NS6detail17trampoline_kernelINS0_14default_configENS1_25transform_config_selectorIlLb0EEEZNS1_14transform_implILb0ES3_S5_NS0_18transform_iteratorINS0_17counting_iteratorImlEEZNS1_24adjacent_difference_implIS3_Lb1ELb0EPlSB_ZN2at6native12_GLOBAL__N_124unique_dim_cuda_templateIN3c108BFloat16EEESt5tupleIJNSC_6TensorESJ_SJ_EERKSJ_lbbbEUlllE1_EE10hipError_tPvRmT2_T3_mT4_P12ihipStream_tbEUlmE_lEESB_NS0_8identityIvEEEESO_SR_SS_mST_SV_bEUlT_E_NS1_11comp_targetILNS1_3genE8ELNS1_11target_archE1030ELNS1_3gpuE2ELNS1_3repE0EEENS1_30default_config_static_selectorELNS0_4arch9wavefront6targetE0EEEvT1_,"axG",@progbits,_ZN7rocprim17ROCPRIM_400000_NS6detail17trampoline_kernelINS0_14default_configENS1_25transform_config_selectorIlLb0EEEZNS1_14transform_implILb0ES3_S5_NS0_18transform_iteratorINS0_17counting_iteratorImlEEZNS1_24adjacent_difference_implIS3_Lb1ELb0EPlSB_ZN2at6native12_GLOBAL__N_124unique_dim_cuda_templateIN3c108BFloat16EEESt5tupleIJNSC_6TensorESJ_SJ_EERKSJ_lbbbEUlllE1_EE10hipError_tPvRmT2_T3_mT4_P12ihipStream_tbEUlmE_lEESB_NS0_8identityIvEEEESO_SR_SS_mST_SV_bEUlT_E_NS1_11comp_targetILNS1_3genE8ELNS1_11target_archE1030ELNS1_3gpuE2ELNS1_3repE0EEENS1_30default_config_static_selectorELNS0_4arch9wavefront6targetE0EEEvT1_,comdat
.Lfunc_end1164:
	.size	_ZN7rocprim17ROCPRIM_400000_NS6detail17trampoline_kernelINS0_14default_configENS1_25transform_config_selectorIlLb0EEEZNS1_14transform_implILb0ES3_S5_NS0_18transform_iteratorINS0_17counting_iteratorImlEEZNS1_24adjacent_difference_implIS3_Lb1ELb0EPlSB_ZN2at6native12_GLOBAL__N_124unique_dim_cuda_templateIN3c108BFloat16EEESt5tupleIJNSC_6TensorESJ_SJ_EERKSJ_lbbbEUlllE1_EE10hipError_tPvRmT2_T3_mT4_P12ihipStream_tbEUlmE_lEESB_NS0_8identityIvEEEESO_SR_SS_mST_SV_bEUlT_E_NS1_11comp_targetILNS1_3genE8ELNS1_11target_archE1030ELNS1_3gpuE2ELNS1_3repE0EEENS1_30default_config_static_selectorELNS0_4arch9wavefront6targetE0EEEvT1_, .Lfunc_end1164-_ZN7rocprim17ROCPRIM_400000_NS6detail17trampoline_kernelINS0_14default_configENS1_25transform_config_selectorIlLb0EEEZNS1_14transform_implILb0ES3_S5_NS0_18transform_iteratorINS0_17counting_iteratorImlEEZNS1_24adjacent_difference_implIS3_Lb1ELb0EPlSB_ZN2at6native12_GLOBAL__N_124unique_dim_cuda_templateIN3c108BFloat16EEESt5tupleIJNSC_6TensorESJ_SJ_EERKSJ_lbbbEUlllE1_EE10hipError_tPvRmT2_T3_mT4_P12ihipStream_tbEUlmE_lEESB_NS0_8identityIvEEEESO_SR_SS_mST_SV_bEUlT_E_NS1_11comp_targetILNS1_3genE8ELNS1_11target_archE1030ELNS1_3gpuE2ELNS1_3repE0EEENS1_30default_config_static_selectorELNS0_4arch9wavefront6targetE0EEEvT1_
                                        ; -- End function
	.section	.AMDGPU.csdata,"",@progbits
; Kernel info:
; codeLenInByte = 0
; NumSgprs: 0
; NumVgprs: 0
; ScratchSize: 0
; MemoryBound: 0
; FloatMode: 240
; IeeeMode: 1
; LDSByteSize: 0 bytes/workgroup (compile time only)
; SGPRBlocks: 0
; VGPRBlocks: 0
; NumSGPRsForWavesPerEU: 1
; NumVGPRsForWavesPerEU: 1
; Occupancy: 16
; WaveLimiterHint : 0
; COMPUTE_PGM_RSRC2:SCRATCH_EN: 0
; COMPUTE_PGM_RSRC2:USER_SGPR: 15
; COMPUTE_PGM_RSRC2:TRAP_HANDLER: 0
; COMPUTE_PGM_RSRC2:TGID_X_EN: 1
; COMPUTE_PGM_RSRC2:TGID_Y_EN: 0
; COMPUTE_PGM_RSRC2:TGID_Z_EN: 0
; COMPUTE_PGM_RSRC2:TIDIG_COMP_CNT: 0
	.section	.text._ZN7rocprim17ROCPRIM_400000_NS6detail17trampoline_kernelINS0_14default_configENS1_35adjacent_difference_config_selectorILb1ElEEZNS1_24adjacent_difference_implIS3_Lb1ELb0EPlS7_ZN2at6native12_GLOBAL__N_124unique_dim_cuda_templateIN3c108BFloat16EEESt5tupleIJNS8_6TensorESF_SF_EERKSF_lbbbEUlllE1_EE10hipError_tPvRmT2_T3_mT4_P12ihipStream_tbEUlT_E_NS1_11comp_targetILNS1_3genE0ELNS1_11target_archE4294967295ELNS1_3gpuE0ELNS1_3repE0EEENS1_30default_config_static_selectorELNS0_4arch9wavefront6targetE0EEEvT1_,"axG",@progbits,_ZN7rocprim17ROCPRIM_400000_NS6detail17trampoline_kernelINS0_14default_configENS1_35adjacent_difference_config_selectorILb1ElEEZNS1_24adjacent_difference_implIS3_Lb1ELb0EPlS7_ZN2at6native12_GLOBAL__N_124unique_dim_cuda_templateIN3c108BFloat16EEESt5tupleIJNS8_6TensorESF_SF_EERKSF_lbbbEUlllE1_EE10hipError_tPvRmT2_T3_mT4_P12ihipStream_tbEUlT_E_NS1_11comp_targetILNS1_3genE0ELNS1_11target_archE4294967295ELNS1_3gpuE0ELNS1_3repE0EEENS1_30default_config_static_selectorELNS0_4arch9wavefront6targetE0EEEvT1_,comdat
	.globl	_ZN7rocprim17ROCPRIM_400000_NS6detail17trampoline_kernelINS0_14default_configENS1_35adjacent_difference_config_selectorILb1ElEEZNS1_24adjacent_difference_implIS3_Lb1ELb0EPlS7_ZN2at6native12_GLOBAL__N_124unique_dim_cuda_templateIN3c108BFloat16EEESt5tupleIJNS8_6TensorESF_SF_EERKSF_lbbbEUlllE1_EE10hipError_tPvRmT2_T3_mT4_P12ihipStream_tbEUlT_E_NS1_11comp_targetILNS1_3genE0ELNS1_11target_archE4294967295ELNS1_3gpuE0ELNS1_3repE0EEENS1_30default_config_static_selectorELNS0_4arch9wavefront6targetE0EEEvT1_ ; -- Begin function _ZN7rocprim17ROCPRIM_400000_NS6detail17trampoline_kernelINS0_14default_configENS1_35adjacent_difference_config_selectorILb1ElEEZNS1_24adjacent_difference_implIS3_Lb1ELb0EPlS7_ZN2at6native12_GLOBAL__N_124unique_dim_cuda_templateIN3c108BFloat16EEESt5tupleIJNS8_6TensorESF_SF_EERKSF_lbbbEUlllE1_EE10hipError_tPvRmT2_T3_mT4_P12ihipStream_tbEUlT_E_NS1_11comp_targetILNS1_3genE0ELNS1_11target_archE4294967295ELNS1_3gpuE0ELNS1_3repE0EEENS1_30default_config_static_selectorELNS0_4arch9wavefront6targetE0EEEvT1_
	.p2align	8
	.type	_ZN7rocprim17ROCPRIM_400000_NS6detail17trampoline_kernelINS0_14default_configENS1_35adjacent_difference_config_selectorILb1ElEEZNS1_24adjacent_difference_implIS3_Lb1ELb0EPlS7_ZN2at6native12_GLOBAL__N_124unique_dim_cuda_templateIN3c108BFloat16EEESt5tupleIJNS8_6TensorESF_SF_EERKSF_lbbbEUlllE1_EE10hipError_tPvRmT2_T3_mT4_P12ihipStream_tbEUlT_E_NS1_11comp_targetILNS1_3genE0ELNS1_11target_archE4294967295ELNS1_3gpuE0ELNS1_3repE0EEENS1_30default_config_static_selectorELNS0_4arch9wavefront6targetE0EEEvT1_,@function
_ZN7rocprim17ROCPRIM_400000_NS6detail17trampoline_kernelINS0_14default_configENS1_35adjacent_difference_config_selectorILb1ElEEZNS1_24adjacent_difference_implIS3_Lb1ELb0EPlS7_ZN2at6native12_GLOBAL__N_124unique_dim_cuda_templateIN3c108BFloat16EEESt5tupleIJNS8_6TensorESF_SF_EERKSF_lbbbEUlllE1_EE10hipError_tPvRmT2_T3_mT4_P12ihipStream_tbEUlT_E_NS1_11comp_targetILNS1_3genE0ELNS1_11target_archE4294967295ELNS1_3gpuE0ELNS1_3repE0EEENS1_30default_config_static_selectorELNS0_4arch9wavefront6targetE0EEEvT1_: ; @_ZN7rocprim17ROCPRIM_400000_NS6detail17trampoline_kernelINS0_14default_configENS1_35adjacent_difference_config_selectorILb1ElEEZNS1_24adjacent_difference_implIS3_Lb1ELb0EPlS7_ZN2at6native12_GLOBAL__N_124unique_dim_cuda_templateIN3c108BFloat16EEESt5tupleIJNS8_6TensorESF_SF_EERKSF_lbbbEUlllE1_EE10hipError_tPvRmT2_T3_mT4_P12ihipStream_tbEUlT_E_NS1_11comp_targetILNS1_3genE0ELNS1_11target_archE4294967295ELNS1_3gpuE0ELNS1_3repE0EEENS1_30default_config_static_selectorELNS0_4arch9wavefront6targetE0EEEvT1_
; %bb.0:
	.section	.rodata,"a",@progbits
	.p2align	6, 0x0
	.amdhsa_kernel _ZN7rocprim17ROCPRIM_400000_NS6detail17trampoline_kernelINS0_14default_configENS1_35adjacent_difference_config_selectorILb1ElEEZNS1_24adjacent_difference_implIS3_Lb1ELb0EPlS7_ZN2at6native12_GLOBAL__N_124unique_dim_cuda_templateIN3c108BFloat16EEESt5tupleIJNS8_6TensorESF_SF_EERKSF_lbbbEUlllE1_EE10hipError_tPvRmT2_T3_mT4_P12ihipStream_tbEUlT_E_NS1_11comp_targetILNS1_3genE0ELNS1_11target_archE4294967295ELNS1_3gpuE0ELNS1_3repE0EEENS1_30default_config_static_selectorELNS0_4arch9wavefront6targetE0EEEvT1_
		.amdhsa_group_segment_fixed_size 0
		.amdhsa_private_segment_fixed_size 0
		.amdhsa_kernarg_size 64
		.amdhsa_user_sgpr_count 15
		.amdhsa_user_sgpr_dispatch_ptr 0
		.amdhsa_user_sgpr_queue_ptr 0
		.amdhsa_user_sgpr_kernarg_segment_ptr 1
		.amdhsa_user_sgpr_dispatch_id 0
		.amdhsa_user_sgpr_private_segment_size 0
		.amdhsa_wavefront_size32 1
		.amdhsa_uses_dynamic_stack 0
		.amdhsa_enable_private_segment 0
		.amdhsa_system_sgpr_workgroup_id_x 1
		.amdhsa_system_sgpr_workgroup_id_y 0
		.amdhsa_system_sgpr_workgroup_id_z 0
		.amdhsa_system_sgpr_workgroup_info 0
		.amdhsa_system_vgpr_workitem_id 0
		.amdhsa_next_free_vgpr 1
		.amdhsa_next_free_sgpr 1
		.amdhsa_reserve_vcc 0
		.amdhsa_float_round_mode_32 0
		.amdhsa_float_round_mode_16_64 0
		.amdhsa_float_denorm_mode_32 3
		.amdhsa_float_denorm_mode_16_64 3
		.amdhsa_dx10_clamp 1
		.amdhsa_ieee_mode 1
		.amdhsa_fp16_overflow 0
		.amdhsa_workgroup_processor_mode 1
		.amdhsa_memory_ordered 1
		.amdhsa_forward_progress 0
		.amdhsa_shared_vgpr_count 0
		.amdhsa_exception_fp_ieee_invalid_op 0
		.amdhsa_exception_fp_denorm_src 0
		.amdhsa_exception_fp_ieee_div_zero 0
		.amdhsa_exception_fp_ieee_overflow 0
		.amdhsa_exception_fp_ieee_underflow 0
		.amdhsa_exception_fp_ieee_inexact 0
		.amdhsa_exception_int_div_zero 0
	.end_amdhsa_kernel
	.section	.text._ZN7rocprim17ROCPRIM_400000_NS6detail17trampoline_kernelINS0_14default_configENS1_35adjacent_difference_config_selectorILb1ElEEZNS1_24adjacent_difference_implIS3_Lb1ELb0EPlS7_ZN2at6native12_GLOBAL__N_124unique_dim_cuda_templateIN3c108BFloat16EEESt5tupleIJNS8_6TensorESF_SF_EERKSF_lbbbEUlllE1_EE10hipError_tPvRmT2_T3_mT4_P12ihipStream_tbEUlT_E_NS1_11comp_targetILNS1_3genE0ELNS1_11target_archE4294967295ELNS1_3gpuE0ELNS1_3repE0EEENS1_30default_config_static_selectorELNS0_4arch9wavefront6targetE0EEEvT1_,"axG",@progbits,_ZN7rocprim17ROCPRIM_400000_NS6detail17trampoline_kernelINS0_14default_configENS1_35adjacent_difference_config_selectorILb1ElEEZNS1_24adjacent_difference_implIS3_Lb1ELb0EPlS7_ZN2at6native12_GLOBAL__N_124unique_dim_cuda_templateIN3c108BFloat16EEESt5tupleIJNS8_6TensorESF_SF_EERKSF_lbbbEUlllE1_EE10hipError_tPvRmT2_T3_mT4_P12ihipStream_tbEUlT_E_NS1_11comp_targetILNS1_3genE0ELNS1_11target_archE4294967295ELNS1_3gpuE0ELNS1_3repE0EEENS1_30default_config_static_selectorELNS0_4arch9wavefront6targetE0EEEvT1_,comdat
.Lfunc_end1165:
	.size	_ZN7rocprim17ROCPRIM_400000_NS6detail17trampoline_kernelINS0_14default_configENS1_35adjacent_difference_config_selectorILb1ElEEZNS1_24adjacent_difference_implIS3_Lb1ELb0EPlS7_ZN2at6native12_GLOBAL__N_124unique_dim_cuda_templateIN3c108BFloat16EEESt5tupleIJNS8_6TensorESF_SF_EERKSF_lbbbEUlllE1_EE10hipError_tPvRmT2_T3_mT4_P12ihipStream_tbEUlT_E_NS1_11comp_targetILNS1_3genE0ELNS1_11target_archE4294967295ELNS1_3gpuE0ELNS1_3repE0EEENS1_30default_config_static_selectorELNS0_4arch9wavefront6targetE0EEEvT1_, .Lfunc_end1165-_ZN7rocprim17ROCPRIM_400000_NS6detail17trampoline_kernelINS0_14default_configENS1_35adjacent_difference_config_selectorILb1ElEEZNS1_24adjacent_difference_implIS3_Lb1ELb0EPlS7_ZN2at6native12_GLOBAL__N_124unique_dim_cuda_templateIN3c108BFloat16EEESt5tupleIJNS8_6TensorESF_SF_EERKSF_lbbbEUlllE1_EE10hipError_tPvRmT2_T3_mT4_P12ihipStream_tbEUlT_E_NS1_11comp_targetILNS1_3genE0ELNS1_11target_archE4294967295ELNS1_3gpuE0ELNS1_3repE0EEENS1_30default_config_static_selectorELNS0_4arch9wavefront6targetE0EEEvT1_
                                        ; -- End function
	.section	.AMDGPU.csdata,"",@progbits
; Kernel info:
; codeLenInByte = 0
; NumSgprs: 0
; NumVgprs: 0
; ScratchSize: 0
; MemoryBound: 0
; FloatMode: 240
; IeeeMode: 1
; LDSByteSize: 0 bytes/workgroup (compile time only)
; SGPRBlocks: 0
; VGPRBlocks: 0
; NumSGPRsForWavesPerEU: 1
; NumVGPRsForWavesPerEU: 1
; Occupancy: 16
; WaveLimiterHint : 0
; COMPUTE_PGM_RSRC2:SCRATCH_EN: 0
; COMPUTE_PGM_RSRC2:USER_SGPR: 15
; COMPUTE_PGM_RSRC2:TRAP_HANDLER: 0
; COMPUTE_PGM_RSRC2:TGID_X_EN: 1
; COMPUTE_PGM_RSRC2:TGID_Y_EN: 0
; COMPUTE_PGM_RSRC2:TGID_Z_EN: 0
; COMPUTE_PGM_RSRC2:TIDIG_COMP_CNT: 0
	.section	.text._ZN7rocprim17ROCPRIM_400000_NS6detail17trampoline_kernelINS0_14default_configENS1_35adjacent_difference_config_selectorILb1ElEEZNS1_24adjacent_difference_implIS3_Lb1ELb0EPlS7_ZN2at6native12_GLOBAL__N_124unique_dim_cuda_templateIN3c108BFloat16EEESt5tupleIJNS8_6TensorESF_SF_EERKSF_lbbbEUlllE1_EE10hipError_tPvRmT2_T3_mT4_P12ihipStream_tbEUlT_E_NS1_11comp_targetILNS1_3genE10ELNS1_11target_archE1201ELNS1_3gpuE5ELNS1_3repE0EEENS1_30default_config_static_selectorELNS0_4arch9wavefront6targetE0EEEvT1_,"axG",@progbits,_ZN7rocprim17ROCPRIM_400000_NS6detail17trampoline_kernelINS0_14default_configENS1_35adjacent_difference_config_selectorILb1ElEEZNS1_24adjacent_difference_implIS3_Lb1ELb0EPlS7_ZN2at6native12_GLOBAL__N_124unique_dim_cuda_templateIN3c108BFloat16EEESt5tupleIJNS8_6TensorESF_SF_EERKSF_lbbbEUlllE1_EE10hipError_tPvRmT2_T3_mT4_P12ihipStream_tbEUlT_E_NS1_11comp_targetILNS1_3genE10ELNS1_11target_archE1201ELNS1_3gpuE5ELNS1_3repE0EEENS1_30default_config_static_selectorELNS0_4arch9wavefront6targetE0EEEvT1_,comdat
	.globl	_ZN7rocprim17ROCPRIM_400000_NS6detail17trampoline_kernelINS0_14default_configENS1_35adjacent_difference_config_selectorILb1ElEEZNS1_24adjacent_difference_implIS3_Lb1ELb0EPlS7_ZN2at6native12_GLOBAL__N_124unique_dim_cuda_templateIN3c108BFloat16EEESt5tupleIJNS8_6TensorESF_SF_EERKSF_lbbbEUlllE1_EE10hipError_tPvRmT2_T3_mT4_P12ihipStream_tbEUlT_E_NS1_11comp_targetILNS1_3genE10ELNS1_11target_archE1201ELNS1_3gpuE5ELNS1_3repE0EEENS1_30default_config_static_selectorELNS0_4arch9wavefront6targetE0EEEvT1_ ; -- Begin function _ZN7rocprim17ROCPRIM_400000_NS6detail17trampoline_kernelINS0_14default_configENS1_35adjacent_difference_config_selectorILb1ElEEZNS1_24adjacent_difference_implIS3_Lb1ELb0EPlS7_ZN2at6native12_GLOBAL__N_124unique_dim_cuda_templateIN3c108BFloat16EEESt5tupleIJNS8_6TensorESF_SF_EERKSF_lbbbEUlllE1_EE10hipError_tPvRmT2_T3_mT4_P12ihipStream_tbEUlT_E_NS1_11comp_targetILNS1_3genE10ELNS1_11target_archE1201ELNS1_3gpuE5ELNS1_3repE0EEENS1_30default_config_static_selectorELNS0_4arch9wavefront6targetE0EEEvT1_
	.p2align	8
	.type	_ZN7rocprim17ROCPRIM_400000_NS6detail17trampoline_kernelINS0_14default_configENS1_35adjacent_difference_config_selectorILb1ElEEZNS1_24adjacent_difference_implIS3_Lb1ELb0EPlS7_ZN2at6native12_GLOBAL__N_124unique_dim_cuda_templateIN3c108BFloat16EEESt5tupleIJNS8_6TensorESF_SF_EERKSF_lbbbEUlllE1_EE10hipError_tPvRmT2_T3_mT4_P12ihipStream_tbEUlT_E_NS1_11comp_targetILNS1_3genE10ELNS1_11target_archE1201ELNS1_3gpuE5ELNS1_3repE0EEENS1_30default_config_static_selectorELNS0_4arch9wavefront6targetE0EEEvT1_,@function
_ZN7rocprim17ROCPRIM_400000_NS6detail17trampoline_kernelINS0_14default_configENS1_35adjacent_difference_config_selectorILb1ElEEZNS1_24adjacent_difference_implIS3_Lb1ELb0EPlS7_ZN2at6native12_GLOBAL__N_124unique_dim_cuda_templateIN3c108BFloat16EEESt5tupleIJNS8_6TensorESF_SF_EERKSF_lbbbEUlllE1_EE10hipError_tPvRmT2_T3_mT4_P12ihipStream_tbEUlT_E_NS1_11comp_targetILNS1_3genE10ELNS1_11target_archE1201ELNS1_3gpuE5ELNS1_3repE0EEENS1_30default_config_static_selectorELNS0_4arch9wavefront6targetE0EEEvT1_: ; @_ZN7rocprim17ROCPRIM_400000_NS6detail17trampoline_kernelINS0_14default_configENS1_35adjacent_difference_config_selectorILb1ElEEZNS1_24adjacent_difference_implIS3_Lb1ELb0EPlS7_ZN2at6native12_GLOBAL__N_124unique_dim_cuda_templateIN3c108BFloat16EEESt5tupleIJNS8_6TensorESF_SF_EERKSF_lbbbEUlllE1_EE10hipError_tPvRmT2_T3_mT4_P12ihipStream_tbEUlT_E_NS1_11comp_targetILNS1_3genE10ELNS1_11target_archE1201ELNS1_3gpuE5ELNS1_3repE0EEENS1_30default_config_static_selectorELNS0_4arch9wavefront6targetE0EEEvT1_
; %bb.0:
	.section	.rodata,"a",@progbits
	.p2align	6, 0x0
	.amdhsa_kernel _ZN7rocprim17ROCPRIM_400000_NS6detail17trampoline_kernelINS0_14default_configENS1_35adjacent_difference_config_selectorILb1ElEEZNS1_24adjacent_difference_implIS3_Lb1ELb0EPlS7_ZN2at6native12_GLOBAL__N_124unique_dim_cuda_templateIN3c108BFloat16EEESt5tupleIJNS8_6TensorESF_SF_EERKSF_lbbbEUlllE1_EE10hipError_tPvRmT2_T3_mT4_P12ihipStream_tbEUlT_E_NS1_11comp_targetILNS1_3genE10ELNS1_11target_archE1201ELNS1_3gpuE5ELNS1_3repE0EEENS1_30default_config_static_selectorELNS0_4arch9wavefront6targetE0EEEvT1_
		.amdhsa_group_segment_fixed_size 0
		.amdhsa_private_segment_fixed_size 0
		.amdhsa_kernarg_size 64
		.amdhsa_user_sgpr_count 15
		.amdhsa_user_sgpr_dispatch_ptr 0
		.amdhsa_user_sgpr_queue_ptr 0
		.amdhsa_user_sgpr_kernarg_segment_ptr 1
		.amdhsa_user_sgpr_dispatch_id 0
		.amdhsa_user_sgpr_private_segment_size 0
		.amdhsa_wavefront_size32 1
		.amdhsa_uses_dynamic_stack 0
		.amdhsa_enable_private_segment 0
		.amdhsa_system_sgpr_workgroup_id_x 1
		.amdhsa_system_sgpr_workgroup_id_y 0
		.amdhsa_system_sgpr_workgroup_id_z 0
		.amdhsa_system_sgpr_workgroup_info 0
		.amdhsa_system_vgpr_workitem_id 0
		.amdhsa_next_free_vgpr 1
		.amdhsa_next_free_sgpr 1
		.amdhsa_reserve_vcc 0
		.amdhsa_float_round_mode_32 0
		.amdhsa_float_round_mode_16_64 0
		.amdhsa_float_denorm_mode_32 3
		.amdhsa_float_denorm_mode_16_64 3
		.amdhsa_dx10_clamp 1
		.amdhsa_ieee_mode 1
		.amdhsa_fp16_overflow 0
		.amdhsa_workgroup_processor_mode 1
		.amdhsa_memory_ordered 1
		.amdhsa_forward_progress 0
		.amdhsa_shared_vgpr_count 0
		.amdhsa_exception_fp_ieee_invalid_op 0
		.amdhsa_exception_fp_denorm_src 0
		.amdhsa_exception_fp_ieee_div_zero 0
		.amdhsa_exception_fp_ieee_overflow 0
		.amdhsa_exception_fp_ieee_underflow 0
		.amdhsa_exception_fp_ieee_inexact 0
		.amdhsa_exception_int_div_zero 0
	.end_amdhsa_kernel
	.section	.text._ZN7rocprim17ROCPRIM_400000_NS6detail17trampoline_kernelINS0_14default_configENS1_35adjacent_difference_config_selectorILb1ElEEZNS1_24adjacent_difference_implIS3_Lb1ELb0EPlS7_ZN2at6native12_GLOBAL__N_124unique_dim_cuda_templateIN3c108BFloat16EEESt5tupleIJNS8_6TensorESF_SF_EERKSF_lbbbEUlllE1_EE10hipError_tPvRmT2_T3_mT4_P12ihipStream_tbEUlT_E_NS1_11comp_targetILNS1_3genE10ELNS1_11target_archE1201ELNS1_3gpuE5ELNS1_3repE0EEENS1_30default_config_static_selectorELNS0_4arch9wavefront6targetE0EEEvT1_,"axG",@progbits,_ZN7rocprim17ROCPRIM_400000_NS6detail17trampoline_kernelINS0_14default_configENS1_35adjacent_difference_config_selectorILb1ElEEZNS1_24adjacent_difference_implIS3_Lb1ELb0EPlS7_ZN2at6native12_GLOBAL__N_124unique_dim_cuda_templateIN3c108BFloat16EEESt5tupleIJNS8_6TensorESF_SF_EERKSF_lbbbEUlllE1_EE10hipError_tPvRmT2_T3_mT4_P12ihipStream_tbEUlT_E_NS1_11comp_targetILNS1_3genE10ELNS1_11target_archE1201ELNS1_3gpuE5ELNS1_3repE0EEENS1_30default_config_static_selectorELNS0_4arch9wavefront6targetE0EEEvT1_,comdat
.Lfunc_end1166:
	.size	_ZN7rocprim17ROCPRIM_400000_NS6detail17trampoline_kernelINS0_14default_configENS1_35adjacent_difference_config_selectorILb1ElEEZNS1_24adjacent_difference_implIS3_Lb1ELb0EPlS7_ZN2at6native12_GLOBAL__N_124unique_dim_cuda_templateIN3c108BFloat16EEESt5tupleIJNS8_6TensorESF_SF_EERKSF_lbbbEUlllE1_EE10hipError_tPvRmT2_T3_mT4_P12ihipStream_tbEUlT_E_NS1_11comp_targetILNS1_3genE10ELNS1_11target_archE1201ELNS1_3gpuE5ELNS1_3repE0EEENS1_30default_config_static_selectorELNS0_4arch9wavefront6targetE0EEEvT1_, .Lfunc_end1166-_ZN7rocprim17ROCPRIM_400000_NS6detail17trampoline_kernelINS0_14default_configENS1_35adjacent_difference_config_selectorILb1ElEEZNS1_24adjacent_difference_implIS3_Lb1ELb0EPlS7_ZN2at6native12_GLOBAL__N_124unique_dim_cuda_templateIN3c108BFloat16EEESt5tupleIJNS8_6TensorESF_SF_EERKSF_lbbbEUlllE1_EE10hipError_tPvRmT2_T3_mT4_P12ihipStream_tbEUlT_E_NS1_11comp_targetILNS1_3genE10ELNS1_11target_archE1201ELNS1_3gpuE5ELNS1_3repE0EEENS1_30default_config_static_selectorELNS0_4arch9wavefront6targetE0EEEvT1_
                                        ; -- End function
	.section	.AMDGPU.csdata,"",@progbits
; Kernel info:
; codeLenInByte = 0
; NumSgprs: 0
; NumVgprs: 0
; ScratchSize: 0
; MemoryBound: 0
; FloatMode: 240
; IeeeMode: 1
; LDSByteSize: 0 bytes/workgroup (compile time only)
; SGPRBlocks: 0
; VGPRBlocks: 0
; NumSGPRsForWavesPerEU: 1
; NumVGPRsForWavesPerEU: 1
; Occupancy: 16
; WaveLimiterHint : 0
; COMPUTE_PGM_RSRC2:SCRATCH_EN: 0
; COMPUTE_PGM_RSRC2:USER_SGPR: 15
; COMPUTE_PGM_RSRC2:TRAP_HANDLER: 0
; COMPUTE_PGM_RSRC2:TGID_X_EN: 1
; COMPUTE_PGM_RSRC2:TGID_Y_EN: 0
; COMPUTE_PGM_RSRC2:TGID_Z_EN: 0
; COMPUTE_PGM_RSRC2:TIDIG_COMP_CNT: 0
	.section	.text._ZN7rocprim17ROCPRIM_400000_NS6detail17trampoline_kernelINS0_14default_configENS1_35adjacent_difference_config_selectorILb1ElEEZNS1_24adjacent_difference_implIS3_Lb1ELb0EPlS7_ZN2at6native12_GLOBAL__N_124unique_dim_cuda_templateIN3c108BFloat16EEESt5tupleIJNS8_6TensorESF_SF_EERKSF_lbbbEUlllE1_EE10hipError_tPvRmT2_T3_mT4_P12ihipStream_tbEUlT_E_NS1_11comp_targetILNS1_3genE5ELNS1_11target_archE942ELNS1_3gpuE9ELNS1_3repE0EEENS1_30default_config_static_selectorELNS0_4arch9wavefront6targetE0EEEvT1_,"axG",@progbits,_ZN7rocprim17ROCPRIM_400000_NS6detail17trampoline_kernelINS0_14default_configENS1_35adjacent_difference_config_selectorILb1ElEEZNS1_24adjacent_difference_implIS3_Lb1ELb0EPlS7_ZN2at6native12_GLOBAL__N_124unique_dim_cuda_templateIN3c108BFloat16EEESt5tupleIJNS8_6TensorESF_SF_EERKSF_lbbbEUlllE1_EE10hipError_tPvRmT2_T3_mT4_P12ihipStream_tbEUlT_E_NS1_11comp_targetILNS1_3genE5ELNS1_11target_archE942ELNS1_3gpuE9ELNS1_3repE0EEENS1_30default_config_static_selectorELNS0_4arch9wavefront6targetE0EEEvT1_,comdat
	.globl	_ZN7rocprim17ROCPRIM_400000_NS6detail17trampoline_kernelINS0_14default_configENS1_35adjacent_difference_config_selectorILb1ElEEZNS1_24adjacent_difference_implIS3_Lb1ELb0EPlS7_ZN2at6native12_GLOBAL__N_124unique_dim_cuda_templateIN3c108BFloat16EEESt5tupleIJNS8_6TensorESF_SF_EERKSF_lbbbEUlllE1_EE10hipError_tPvRmT2_T3_mT4_P12ihipStream_tbEUlT_E_NS1_11comp_targetILNS1_3genE5ELNS1_11target_archE942ELNS1_3gpuE9ELNS1_3repE0EEENS1_30default_config_static_selectorELNS0_4arch9wavefront6targetE0EEEvT1_ ; -- Begin function _ZN7rocprim17ROCPRIM_400000_NS6detail17trampoline_kernelINS0_14default_configENS1_35adjacent_difference_config_selectorILb1ElEEZNS1_24adjacent_difference_implIS3_Lb1ELb0EPlS7_ZN2at6native12_GLOBAL__N_124unique_dim_cuda_templateIN3c108BFloat16EEESt5tupleIJNS8_6TensorESF_SF_EERKSF_lbbbEUlllE1_EE10hipError_tPvRmT2_T3_mT4_P12ihipStream_tbEUlT_E_NS1_11comp_targetILNS1_3genE5ELNS1_11target_archE942ELNS1_3gpuE9ELNS1_3repE0EEENS1_30default_config_static_selectorELNS0_4arch9wavefront6targetE0EEEvT1_
	.p2align	8
	.type	_ZN7rocprim17ROCPRIM_400000_NS6detail17trampoline_kernelINS0_14default_configENS1_35adjacent_difference_config_selectorILb1ElEEZNS1_24adjacent_difference_implIS3_Lb1ELb0EPlS7_ZN2at6native12_GLOBAL__N_124unique_dim_cuda_templateIN3c108BFloat16EEESt5tupleIJNS8_6TensorESF_SF_EERKSF_lbbbEUlllE1_EE10hipError_tPvRmT2_T3_mT4_P12ihipStream_tbEUlT_E_NS1_11comp_targetILNS1_3genE5ELNS1_11target_archE942ELNS1_3gpuE9ELNS1_3repE0EEENS1_30default_config_static_selectorELNS0_4arch9wavefront6targetE0EEEvT1_,@function
_ZN7rocprim17ROCPRIM_400000_NS6detail17trampoline_kernelINS0_14default_configENS1_35adjacent_difference_config_selectorILb1ElEEZNS1_24adjacent_difference_implIS3_Lb1ELb0EPlS7_ZN2at6native12_GLOBAL__N_124unique_dim_cuda_templateIN3c108BFloat16EEESt5tupleIJNS8_6TensorESF_SF_EERKSF_lbbbEUlllE1_EE10hipError_tPvRmT2_T3_mT4_P12ihipStream_tbEUlT_E_NS1_11comp_targetILNS1_3genE5ELNS1_11target_archE942ELNS1_3gpuE9ELNS1_3repE0EEENS1_30default_config_static_selectorELNS0_4arch9wavefront6targetE0EEEvT1_: ; @_ZN7rocprim17ROCPRIM_400000_NS6detail17trampoline_kernelINS0_14default_configENS1_35adjacent_difference_config_selectorILb1ElEEZNS1_24adjacent_difference_implIS3_Lb1ELb0EPlS7_ZN2at6native12_GLOBAL__N_124unique_dim_cuda_templateIN3c108BFloat16EEESt5tupleIJNS8_6TensorESF_SF_EERKSF_lbbbEUlllE1_EE10hipError_tPvRmT2_T3_mT4_P12ihipStream_tbEUlT_E_NS1_11comp_targetILNS1_3genE5ELNS1_11target_archE942ELNS1_3gpuE9ELNS1_3repE0EEENS1_30default_config_static_selectorELNS0_4arch9wavefront6targetE0EEEvT1_
; %bb.0:
	.section	.rodata,"a",@progbits
	.p2align	6, 0x0
	.amdhsa_kernel _ZN7rocprim17ROCPRIM_400000_NS6detail17trampoline_kernelINS0_14default_configENS1_35adjacent_difference_config_selectorILb1ElEEZNS1_24adjacent_difference_implIS3_Lb1ELb0EPlS7_ZN2at6native12_GLOBAL__N_124unique_dim_cuda_templateIN3c108BFloat16EEESt5tupleIJNS8_6TensorESF_SF_EERKSF_lbbbEUlllE1_EE10hipError_tPvRmT2_T3_mT4_P12ihipStream_tbEUlT_E_NS1_11comp_targetILNS1_3genE5ELNS1_11target_archE942ELNS1_3gpuE9ELNS1_3repE0EEENS1_30default_config_static_selectorELNS0_4arch9wavefront6targetE0EEEvT1_
		.amdhsa_group_segment_fixed_size 0
		.amdhsa_private_segment_fixed_size 0
		.amdhsa_kernarg_size 64
		.amdhsa_user_sgpr_count 15
		.amdhsa_user_sgpr_dispatch_ptr 0
		.amdhsa_user_sgpr_queue_ptr 0
		.amdhsa_user_sgpr_kernarg_segment_ptr 1
		.amdhsa_user_sgpr_dispatch_id 0
		.amdhsa_user_sgpr_private_segment_size 0
		.amdhsa_wavefront_size32 1
		.amdhsa_uses_dynamic_stack 0
		.amdhsa_enable_private_segment 0
		.amdhsa_system_sgpr_workgroup_id_x 1
		.amdhsa_system_sgpr_workgroup_id_y 0
		.amdhsa_system_sgpr_workgroup_id_z 0
		.amdhsa_system_sgpr_workgroup_info 0
		.amdhsa_system_vgpr_workitem_id 0
		.amdhsa_next_free_vgpr 1
		.amdhsa_next_free_sgpr 1
		.amdhsa_reserve_vcc 0
		.amdhsa_float_round_mode_32 0
		.amdhsa_float_round_mode_16_64 0
		.amdhsa_float_denorm_mode_32 3
		.amdhsa_float_denorm_mode_16_64 3
		.amdhsa_dx10_clamp 1
		.amdhsa_ieee_mode 1
		.amdhsa_fp16_overflow 0
		.amdhsa_workgroup_processor_mode 1
		.amdhsa_memory_ordered 1
		.amdhsa_forward_progress 0
		.amdhsa_shared_vgpr_count 0
		.amdhsa_exception_fp_ieee_invalid_op 0
		.amdhsa_exception_fp_denorm_src 0
		.amdhsa_exception_fp_ieee_div_zero 0
		.amdhsa_exception_fp_ieee_overflow 0
		.amdhsa_exception_fp_ieee_underflow 0
		.amdhsa_exception_fp_ieee_inexact 0
		.amdhsa_exception_int_div_zero 0
	.end_amdhsa_kernel
	.section	.text._ZN7rocprim17ROCPRIM_400000_NS6detail17trampoline_kernelINS0_14default_configENS1_35adjacent_difference_config_selectorILb1ElEEZNS1_24adjacent_difference_implIS3_Lb1ELb0EPlS7_ZN2at6native12_GLOBAL__N_124unique_dim_cuda_templateIN3c108BFloat16EEESt5tupleIJNS8_6TensorESF_SF_EERKSF_lbbbEUlllE1_EE10hipError_tPvRmT2_T3_mT4_P12ihipStream_tbEUlT_E_NS1_11comp_targetILNS1_3genE5ELNS1_11target_archE942ELNS1_3gpuE9ELNS1_3repE0EEENS1_30default_config_static_selectorELNS0_4arch9wavefront6targetE0EEEvT1_,"axG",@progbits,_ZN7rocprim17ROCPRIM_400000_NS6detail17trampoline_kernelINS0_14default_configENS1_35adjacent_difference_config_selectorILb1ElEEZNS1_24adjacent_difference_implIS3_Lb1ELb0EPlS7_ZN2at6native12_GLOBAL__N_124unique_dim_cuda_templateIN3c108BFloat16EEESt5tupleIJNS8_6TensorESF_SF_EERKSF_lbbbEUlllE1_EE10hipError_tPvRmT2_T3_mT4_P12ihipStream_tbEUlT_E_NS1_11comp_targetILNS1_3genE5ELNS1_11target_archE942ELNS1_3gpuE9ELNS1_3repE0EEENS1_30default_config_static_selectorELNS0_4arch9wavefront6targetE0EEEvT1_,comdat
.Lfunc_end1167:
	.size	_ZN7rocprim17ROCPRIM_400000_NS6detail17trampoline_kernelINS0_14default_configENS1_35adjacent_difference_config_selectorILb1ElEEZNS1_24adjacent_difference_implIS3_Lb1ELb0EPlS7_ZN2at6native12_GLOBAL__N_124unique_dim_cuda_templateIN3c108BFloat16EEESt5tupleIJNS8_6TensorESF_SF_EERKSF_lbbbEUlllE1_EE10hipError_tPvRmT2_T3_mT4_P12ihipStream_tbEUlT_E_NS1_11comp_targetILNS1_3genE5ELNS1_11target_archE942ELNS1_3gpuE9ELNS1_3repE0EEENS1_30default_config_static_selectorELNS0_4arch9wavefront6targetE0EEEvT1_, .Lfunc_end1167-_ZN7rocprim17ROCPRIM_400000_NS6detail17trampoline_kernelINS0_14default_configENS1_35adjacent_difference_config_selectorILb1ElEEZNS1_24adjacent_difference_implIS3_Lb1ELb0EPlS7_ZN2at6native12_GLOBAL__N_124unique_dim_cuda_templateIN3c108BFloat16EEESt5tupleIJNS8_6TensorESF_SF_EERKSF_lbbbEUlllE1_EE10hipError_tPvRmT2_T3_mT4_P12ihipStream_tbEUlT_E_NS1_11comp_targetILNS1_3genE5ELNS1_11target_archE942ELNS1_3gpuE9ELNS1_3repE0EEENS1_30default_config_static_selectorELNS0_4arch9wavefront6targetE0EEEvT1_
                                        ; -- End function
	.section	.AMDGPU.csdata,"",@progbits
; Kernel info:
; codeLenInByte = 0
; NumSgprs: 0
; NumVgprs: 0
; ScratchSize: 0
; MemoryBound: 0
; FloatMode: 240
; IeeeMode: 1
; LDSByteSize: 0 bytes/workgroup (compile time only)
; SGPRBlocks: 0
; VGPRBlocks: 0
; NumSGPRsForWavesPerEU: 1
; NumVGPRsForWavesPerEU: 1
; Occupancy: 16
; WaveLimiterHint : 0
; COMPUTE_PGM_RSRC2:SCRATCH_EN: 0
; COMPUTE_PGM_RSRC2:USER_SGPR: 15
; COMPUTE_PGM_RSRC2:TRAP_HANDLER: 0
; COMPUTE_PGM_RSRC2:TGID_X_EN: 1
; COMPUTE_PGM_RSRC2:TGID_Y_EN: 0
; COMPUTE_PGM_RSRC2:TGID_Z_EN: 0
; COMPUTE_PGM_RSRC2:TIDIG_COMP_CNT: 0
	.section	.text._ZN7rocprim17ROCPRIM_400000_NS6detail17trampoline_kernelINS0_14default_configENS1_35adjacent_difference_config_selectorILb1ElEEZNS1_24adjacent_difference_implIS3_Lb1ELb0EPlS7_ZN2at6native12_GLOBAL__N_124unique_dim_cuda_templateIN3c108BFloat16EEESt5tupleIJNS8_6TensorESF_SF_EERKSF_lbbbEUlllE1_EE10hipError_tPvRmT2_T3_mT4_P12ihipStream_tbEUlT_E_NS1_11comp_targetILNS1_3genE4ELNS1_11target_archE910ELNS1_3gpuE8ELNS1_3repE0EEENS1_30default_config_static_selectorELNS0_4arch9wavefront6targetE0EEEvT1_,"axG",@progbits,_ZN7rocprim17ROCPRIM_400000_NS6detail17trampoline_kernelINS0_14default_configENS1_35adjacent_difference_config_selectorILb1ElEEZNS1_24adjacent_difference_implIS3_Lb1ELb0EPlS7_ZN2at6native12_GLOBAL__N_124unique_dim_cuda_templateIN3c108BFloat16EEESt5tupleIJNS8_6TensorESF_SF_EERKSF_lbbbEUlllE1_EE10hipError_tPvRmT2_T3_mT4_P12ihipStream_tbEUlT_E_NS1_11comp_targetILNS1_3genE4ELNS1_11target_archE910ELNS1_3gpuE8ELNS1_3repE0EEENS1_30default_config_static_selectorELNS0_4arch9wavefront6targetE0EEEvT1_,comdat
	.globl	_ZN7rocprim17ROCPRIM_400000_NS6detail17trampoline_kernelINS0_14default_configENS1_35adjacent_difference_config_selectorILb1ElEEZNS1_24adjacent_difference_implIS3_Lb1ELb0EPlS7_ZN2at6native12_GLOBAL__N_124unique_dim_cuda_templateIN3c108BFloat16EEESt5tupleIJNS8_6TensorESF_SF_EERKSF_lbbbEUlllE1_EE10hipError_tPvRmT2_T3_mT4_P12ihipStream_tbEUlT_E_NS1_11comp_targetILNS1_3genE4ELNS1_11target_archE910ELNS1_3gpuE8ELNS1_3repE0EEENS1_30default_config_static_selectorELNS0_4arch9wavefront6targetE0EEEvT1_ ; -- Begin function _ZN7rocprim17ROCPRIM_400000_NS6detail17trampoline_kernelINS0_14default_configENS1_35adjacent_difference_config_selectorILb1ElEEZNS1_24adjacent_difference_implIS3_Lb1ELb0EPlS7_ZN2at6native12_GLOBAL__N_124unique_dim_cuda_templateIN3c108BFloat16EEESt5tupleIJNS8_6TensorESF_SF_EERKSF_lbbbEUlllE1_EE10hipError_tPvRmT2_T3_mT4_P12ihipStream_tbEUlT_E_NS1_11comp_targetILNS1_3genE4ELNS1_11target_archE910ELNS1_3gpuE8ELNS1_3repE0EEENS1_30default_config_static_selectorELNS0_4arch9wavefront6targetE0EEEvT1_
	.p2align	8
	.type	_ZN7rocprim17ROCPRIM_400000_NS6detail17trampoline_kernelINS0_14default_configENS1_35adjacent_difference_config_selectorILb1ElEEZNS1_24adjacent_difference_implIS3_Lb1ELb0EPlS7_ZN2at6native12_GLOBAL__N_124unique_dim_cuda_templateIN3c108BFloat16EEESt5tupleIJNS8_6TensorESF_SF_EERKSF_lbbbEUlllE1_EE10hipError_tPvRmT2_T3_mT4_P12ihipStream_tbEUlT_E_NS1_11comp_targetILNS1_3genE4ELNS1_11target_archE910ELNS1_3gpuE8ELNS1_3repE0EEENS1_30default_config_static_selectorELNS0_4arch9wavefront6targetE0EEEvT1_,@function
_ZN7rocprim17ROCPRIM_400000_NS6detail17trampoline_kernelINS0_14default_configENS1_35adjacent_difference_config_selectorILb1ElEEZNS1_24adjacent_difference_implIS3_Lb1ELb0EPlS7_ZN2at6native12_GLOBAL__N_124unique_dim_cuda_templateIN3c108BFloat16EEESt5tupleIJNS8_6TensorESF_SF_EERKSF_lbbbEUlllE1_EE10hipError_tPvRmT2_T3_mT4_P12ihipStream_tbEUlT_E_NS1_11comp_targetILNS1_3genE4ELNS1_11target_archE910ELNS1_3gpuE8ELNS1_3repE0EEENS1_30default_config_static_selectorELNS0_4arch9wavefront6targetE0EEEvT1_: ; @_ZN7rocprim17ROCPRIM_400000_NS6detail17trampoline_kernelINS0_14default_configENS1_35adjacent_difference_config_selectorILb1ElEEZNS1_24adjacent_difference_implIS3_Lb1ELb0EPlS7_ZN2at6native12_GLOBAL__N_124unique_dim_cuda_templateIN3c108BFloat16EEESt5tupleIJNS8_6TensorESF_SF_EERKSF_lbbbEUlllE1_EE10hipError_tPvRmT2_T3_mT4_P12ihipStream_tbEUlT_E_NS1_11comp_targetILNS1_3genE4ELNS1_11target_archE910ELNS1_3gpuE8ELNS1_3repE0EEENS1_30default_config_static_selectorELNS0_4arch9wavefront6targetE0EEEvT1_
; %bb.0:
	.section	.rodata,"a",@progbits
	.p2align	6, 0x0
	.amdhsa_kernel _ZN7rocprim17ROCPRIM_400000_NS6detail17trampoline_kernelINS0_14default_configENS1_35adjacent_difference_config_selectorILb1ElEEZNS1_24adjacent_difference_implIS3_Lb1ELb0EPlS7_ZN2at6native12_GLOBAL__N_124unique_dim_cuda_templateIN3c108BFloat16EEESt5tupleIJNS8_6TensorESF_SF_EERKSF_lbbbEUlllE1_EE10hipError_tPvRmT2_T3_mT4_P12ihipStream_tbEUlT_E_NS1_11comp_targetILNS1_3genE4ELNS1_11target_archE910ELNS1_3gpuE8ELNS1_3repE0EEENS1_30default_config_static_selectorELNS0_4arch9wavefront6targetE0EEEvT1_
		.amdhsa_group_segment_fixed_size 0
		.amdhsa_private_segment_fixed_size 0
		.amdhsa_kernarg_size 64
		.amdhsa_user_sgpr_count 15
		.amdhsa_user_sgpr_dispatch_ptr 0
		.amdhsa_user_sgpr_queue_ptr 0
		.amdhsa_user_sgpr_kernarg_segment_ptr 1
		.amdhsa_user_sgpr_dispatch_id 0
		.amdhsa_user_sgpr_private_segment_size 0
		.amdhsa_wavefront_size32 1
		.amdhsa_uses_dynamic_stack 0
		.amdhsa_enable_private_segment 0
		.amdhsa_system_sgpr_workgroup_id_x 1
		.amdhsa_system_sgpr_workgroup_id_y 0
		.amdhsa_system_sgpr_workgroup_id_z 0
		.amdhsa_system_sgpr_workgroup_info 0
		.amdhsa_system_vgpr_workitem_id 0
		.amdhsa_next_free_vgpr 1
		.amdhsa_next_free_sgpr 1
		.amdhsa_reserve_vcc 0
		.amdhsa_float_round_mode_32 0
		.amdhsa_float_round_mode_16_64 0
		.amdhsa_float_denorm_mode_32 3
		.amdhsa_float_denorm_mode_16_64 3
		.amdhsa_dx10_clamp 1
		.amdhsa_ieee_mode 1
		.amdhsa_fp16_overflow 0
		.amdhsa_workgroup_processor_mode 1
		.amdhsa_memory_ordered 1
		.amdhsa_forward_progress 0
		.amdhsa_shared_vgpr_count 0
		.amdhsa_exception_fp_ieee_invalid_op 0
		.amdhsa_exception_fp_denorm_src 0
		.amdhsa_exception_fp_ieee_div_zero 0
		.amdhsa_exception_fp_ieee_overflow 0
		.amdhsa_exception_fp_ieee_underflow 0
		.amdhsa_exception_fp_ieee_inexact 0
		.amdhsa_exception_int_div_zero 0
	.end_amdhsa_kernel
	.section	.text._ZN7rocprim17ROCPRIM_400000_NS6detail17trampoline_kernelINS0_14default_configENS1_35adjacent_difference_config_selectorILb1ElEEZNS1_24adjacent_difference_implIS3_Lb1ELb0EPlS7_ZN2at6native12_GLOBAL__N_124unique_dim_cuda_templateIN3c108BFloat16EEESt5tupleIJNS8_6TensorESF_SF_EERKSF_lbbbEUlllE1_EE10hipError_tPvRmT2_T3_mT4_P12ihipStream_tbEUlT_E_NS1_11comp_targetILNS1_3genE4ELNS1_11target_archE910ELNS1_3gpuE8ELNS1_3repE0EEENS1_30default_config_static_selectorELNS0_4arch9wavefront6targetE0EEEvT1_,"axG",@progbits,_ZN7rocprim17ROCPRIM_400000_NS6detail17trampoline_kernelINS0_14default_configENS1_35adjacent_difference_config_selectorILb1ElEEZNS1_24adjacent_difference_implIS3_Lb1ELb0EPlS7_ZN2at6native12_GLOBAL__N_124unique_dim_cuda_templateIN3c108BFloat16EEESt5tupleIJNS8_6TensorESF_SF_EERKSF_lbbbEUlllE1_EE10hipError_tPvRmT2_T3_mT4_P12ihipStream_tbEUlT_E_NS1_11comp_targetILNS1_3genE4ELNS1_11target_archE910ELNS1_3gpuE8ELNS1_3repE0EEENS1_30default_config_static_selectorELNS0_4arch9wavefront6targetE0EEEvT1_,comdat
.Lfunc_end1168:
	.size	_ZN7rocprim17ROCPRIM_400000_NS6detail17trampoline_kernelINS0_14default_configENS1_35adjacent_difference_config_selectorILb1ElEEZNS1_24adjacent_difference_implIS3_Lb1ELb0EPlS7_ZN2at6native12_GLOBAL__N_124unique_dim_cuda_templateIN3c108BFloat16EEESt5tupleIJNS8_6TensorESF_SF_EERKSF_lbbbEUlllE1_EE10hipError_tPvRmT2_T3_mT4_P12ihipStream_tbEUlT_E_NS1_11comp_targetILNS1_3genE4ELNS1_11target_archE910ELNS1_3gpuE8ELNS1_3repE0EEENS1_30default_config_static_selectorELNS0_4arch9wavefront6targetE0EEEvT1_, .Lfunc_end1168-_ZN7rocprim17ROCPRIM_400000_NS6detail17trampoline_kernelINS0_14default_configENS1_35adjacent_difference_config_selectorILb1ElEEZNS1_24adjacent_difference_implIS3_Lb1ELb0EPlS7_ZN2at6native12_GLOBAL__N_124unique_dim_cuda_templateIN3c108BFloat16EEESt5tupleIJNS8_6TensorESF_SF_EERKSF_lbbbEUlllE1_EE10hipError_tPvRmT2_T3_mT4_P12ihipStream_tbEUlT_E_NS1_11comp_targetILNS1_3genE4ELNS1_11target_archE910ELNS1_3gpuE8ELNS1_3repE0EEENS1_30default_config_static_selectorELNS0_4arch9wavefront6targetE0EEEvT1_
                                        ; -- End function
	.section	.AMDGPU.csdata,"",@progbits
; Kernel info:
; codeLenInByte = 0
; NumSgprs: 0
; NumVgprs: 0
; ScratchSize: 0
; MemoryBound: 0
; FloatMode: 240
; IeeeMode: 1
; LDSByteSize: 0 bytes/workgroup (compile time only)
; SGPRBlocks: 0
; VGPRBlocks: 0
; NumSGPRsForWavesPerEU: 1
; NumVGPRsForWavesPerEU: 1
; Occupancy: 16
; WaveLimiterHint : 0
; COMPUTE_PGM_RSRC2:SCRATCH_EN: 0
; COMPUTE_PGM_RSRC2:USER_SGPR: 15
; COMPUTE_PGM_RSRC2:TRAP_HANDLER: 0
; COMPUTE_PGM_RSRC2:TGID_X_EN: 1
; COMPUTE_PGM_RSRC2:TGID_Y_EN: 0
; COMPUTE_PGM_RSRC2:TGID_Z_EN: 0
; COMPUTE_PGM_RSRC2:TIDIG_COMP_CNT: 0
	.section	.text._ZN7rocprim17ROCPRIM_400000_NS6detail17trampoline_kernelINS0_14default_configENS1_35adjacent_difference_config_selectorILb1ElEEZNS1_24adjacent_difference_implIS3_Lb1ELb0EPlS7_ZN2at6native12_GLOBAL__N_124unique_dim_cuda_templateIN3c108BFloat16EEESt5tupleIJNS8_6TensorESF_SF_EERKSF_lbbbEUlllE1_EE10hipError_tPvRmT2_T3_mT4_P12ihipStream_tbEUlT_E_NS1_11comp_targetILNS1_3genE3ELNS1_11target_archE908ELNS1_3gpuE7ELNS1_3repE0EEENS1_30default_config_static_selectorELNS0_4arch9wavefront6targetE0EEEvT1_,"axG",@progbits,_ZN7rocprim17ROCPRIM_400000_NS6detail17trampoline_kernelINS0_14default_configENS1_35adjacent_difference_config_selectorILb1ElEEZNS1_24adjacent_difference_implIS3_Lb1ELb0EPlS7_ZN2at6native12_GLOBAL__N_124unique_dim_cuda_templateIN3c108BFloat16EEESt5tupleIJNS8_6TensorESF_SF_EERKSF_lbbbEUlllE1_EE10hipError_tPvRmT2_T3_mT4_P12ihipStream_tbEUlT_E_NS1_11comp_targetILNS1_3genE3ELNS1_11target_archE908ELNS1_3gpuE7ELNS1_3repE0EEENS1_30default_config_static_selectorELNS0_4arch9wavefront6targetE0EEEvT1_,comdat
	.globl	_ZN7rocprim17ROCPRIM_400000_NS6detail17trampoline_kernelINS0_14default_configENS1_35adjacent_difference_config_selectorILb1ElEEZNS1_24adjacent_difference_implIS3_Lb1ELb0EPlS7_ZN2at6native12_GLOBAL__N_124unique_dim_cuda_templateIN3c108BFloat16EEESt5tupleIJNS8_6TensorESF_SF_EERKSF_lbbbEUlllE1_EE10hipError_tPvRmT2_T3_mT4_P12ihipStream_tbEUlT_E_NS1_11comp_targetILNS1_3genE3ELNS1_11target_archE908ELNS1_3gpuE7ELNS1_3repE0EEENS1_30default_config_static_selectorELNS0_4arch9wavefront6targetE0EEEvT1_ ; -- Begin function _ZN7rocprim17ROCPRIM_400000_NS6detail17trampoline_kernelINS0_14default_configENS1_35adjacent_difference_config_selectorILb1ElEEZNS1_24adjacent_difference_implIS3_Lb1ELb0EPlS7_ZN2at6native12_GLOBAL__N_124unique_dim_cuda_templateIN3c108BFloat16EEESt5tupleIJNS8_6TensorESF_SF_EERKSF_lbbbEUlllE1_EE10hipError_tPvRmT2_T3_mT4_P12ihipStream_tbEUlT_E_NS1_11comp_targetILNS1_3genE3ELNS1_11target_archE908ELNS1_3gpuE7ELNS1_3repE0EEENS1_30default_config_static_selectorELNS0_4arch9wavefront6targetE0EEEvT1_
	.p2align	8
	.type	_ZN7rocprim17ROCPRIM_400000_NS6detail17trampoline_kernelINS0_14default_configENS1_35adjacent_difference_config_selectorILb1ElEEZNS1_24adjacent_difference_implIS3_Lb1ELb0EPlS7_ZN2at6native12_GLOBAL__N_124unique_dim_cuda_templateIN3c108BFloat16EEESt5tupleIJNS8_6TensorESF_SF_EERKSF_lbbbEUlllE1_EE10hipError_tPvRmT2_T3_mT4_P12ihipStream_tbEUlT_E_NS1_11comp_targetILNS1_3genE3ELNS1_11target_archE908ELNS1_3gpuE7ELNS1_3repE0EEENS1_30default_config_static_selectorELNS0_4arch9wavefront6targetE0EEEvT1_,@function
_ZN7rocprim17ROCPRIM_400000_NS6detail17trampoline_kernelINS0_14default_configENS1_35adjacent_difference_config_selectorILb1ElEEZNS1_24adjacent_difference_implIS3_Lb1ELb0EPlS7_ZN2at6native12_GLOBAL__N_124unique_dim_cuda_templateIN3c108BFloat16EEESt5tupleIJNS8_6TensorESF_SF_EERKSF_lbbbEUlllE1_EE10hipError_tPvRmT2_T3_mT4_P12ihipStream_tbEUlT_E_NS1_11comp_targetILNS1_3genE3ELNS1_11target_archE908ELNS1_3gpuE7ELNS1_3repE0EEENS1_30default_config_static_selectorELNS0_4arch9wavefront6targetE0EEEvT1_: ; @_ZN7rocprim17ROCPRIM_400000_NS6detail17trampoline_kernelINS0_14default_configENS1_35adjacent_difference_config_selectorILb1ElEEZNS1_24adjacent_difference_implIS3_Lb1ELb0EPlS7_ZN2at6native12_GLOBAL__N_124unique_dim_cuda_templateIN3c108BFloat16EEESt5tupleIJNS8_6TensorESF_SF_EERKSF_lbbbEUlllE1_EE10hipError_tPvRmT2_T3_mT4_P12ihipStream_tbEUlT_E_NS1_11comp_targetILNS1_3genE3ELNS1_11target_archE908ELNS1_3gpuE7ELNS1_3repE0EEENS1_30default_config_static_selectorELNS0_4arch9wavefront6targetE0EEEvT1_
; %bb.0:
	.section	.rodata,"a",@progbits
	.p2align	6, 0x0
	.amdhsa_kernel _ZN7rocprim17ROCPRIM_400000_NS6detail17trampoline_kernelINS0_14default_configENS1_35adjacent_difference_config_selectorILb1ElEEZNS1_24adjacent_difference_implIS3_Lb1ELb0EPlS7_ZN2at6native12_GLOBAL__N_124unique_dim_cuda_templateIN3c108BFloat16EEESt5tupleIJNS8_6TensorESF_SF_EERKSF_lbbbEUlllE1_EE10hipError_tPvRmT2_T3_mT4_P12ihipStream_tbEUlT_E_NS1_11comp_targetILNS1_3genE3ELNS1_11target_archE908ELNS1_3gpuE7ELNS1_3repE0EEENS1_30default_config_static_selectorELNS0_4arch9wavefront6targetE0EEEvT1_
		.amdhsa_group_segment_fixed_size 0
		.amdhsa_private_segment_fixed_size 0
		.amdhsa_kernarg_size 64
		.amdhsa_user_sgpr_count 15
		.amdhsa_user_sgpr_dispatch_ptr 0
		.amdhsa_user_sgpr_queue_ptr 0
		.amdhsa_user_sgpr_kernarg_segment_ptr 1
		.amdhsa_user_sgpr_dispatch_id 0
		.amdhsa_user_sgpr_private_segment_size 0
		.amdhsa_wavefront_size32 1
		.amdhsa_uses_dynamic_stack 0
		.amdhsa_enable_private_segment 0
		.amdhsa_system_sgpr_workgroup_id_x 1
		.amdhsa_system_sgpr_workgroup_id_y 0
		.amdhsa_system_sgpr_workgroup_id_z 0
		.amdhsa_system_sgpr_workgroup_info 0
		.amdhsa_system_vgpr_workitem_id 0
		.amdhsa_next_free_vgpr 1
		.amdhsa_next_free_sgpr 1
		.amdhsa_reserve_vcc 0
		.amdhsa_float_round_mode_32 0
		.amdhsa_float_round_mode_16_64 0
		.amdhsa_float_denorm_mode_32 3
		.amdhsa_float_denorm_mode_16_64 3
		.amdhsa_dx10_clamp 1
		.amdhsa_ieee_mode 1
		.amdhsa_fp16_overflow 0
		.amdhsa_workgroup_processor_mode 1
		.amdhsa_memory_ordered 1
		.amdhsa_forward_progress 0
		.amdhsa_shared_vgpr_count 0
		.amdhsa_exception_fp_ieee_invalid_op 0
		.amdhsa_exception_fp_denorm_src 0
		.amdhsa_exception_fp_ieee_div_zero 0
		.amdhsa_exception_fp_ieee_overflow 0
		.amdhsa_exception_fp_ieee_underflow 0
		.amdhsa_exception_fp_ieee_inexact 0
		.amdhsa_exception_int_div_zero 0
	.end_amdhsa_kernel
	.section	.text._ZN7rocprim17ROCPRIM_400000_NS6detail17trampoline_kernelINS0_14default_configENS1_35adjacent_difference_config_selectorILb1ElEEZNS1_24adjacent_difference_implIS3_Lb1ELb0EPlS7_ZN2at6native12_GLOBAL__N_124unique_dim_cuda_templateIN3c108BFloat16EEESt5tupleIJNS8_6TensorESF_SF_EERKSF_lbbbEUlllE1_EE10hipError_tPvRmT2_T3_mT4_P12ihipStream_tbEUlT_E_NS1_11comp_targetILNS1_3genE3ELNS1_11target_archE908ELNS1_3gpuE7ELNS1_3repE0EEENS1_30default_config_static_selectorELNS0_4arch9wavefront6targetE0EEEvT1_,"axG",@progbits,_ZN7rocprim17ROCPRIM_400000_NS6detail17trampoline_kernelINS0_14default_configENS1_35adjacent_difference_config_selectorILb1ElEEZNS1_24adjacent_difference_implIS3_Lb1ELb0EPlS7_ZN2at6native12_GLOBAL__N_124unique_dim_cuda_templateIN3c108BFloat16EEESt5tupleIJNS8_6TensorESF_SF_EERKSF_lbbbEUlllE1_EE10hipError_tPvRmT2_T3_mT4_P12ihipStream_tbEUlT_E_NS1_11comp_targetILNS1_3genE3ELNS1_11target_archE908ELNS1_3gpuE7ELNS1_3repE0EEENS1_30default_config_static_selectorELNS0_4arch9wavefront6targetE0EEEvT1_,comdat
.Lfunc_end1169:
	.size	_ZN7rocprim17ROCPRIM_400000_NS6detail17trampoline_kernelINS0_14default_configENS1_35adjacent_difference_config_selectorILb1ElEEZNS1_24adjacent_difference_implIS3_Lb1ELb0EPlS7_ZN2at6native12_GLOBAL__N_124unique_dim_cuda_templateIN3c108BFloat16EEESt5tupleIJNS8_6TensorESF_SF_EERKSF_lbbbEUlllE1_EE10hipError_tPvRmT2_T3_mT4_P12ihipStream_tbEUlT_E_NS1_11comp_targetILNS1_3genE3ELNS1_11target_archE908ELNS1_3gpuE7ELNS1_3repE0EEENS1_30default_config_static_selectorELNS0_4arch9wavefront6targetE0EEEvT1_, .Lfunc_end1169-_ZN7rocprim17ROCPRIM_400000_NS6detail17trampoline_kernelINS0_14default_configENS1_35adjacent_difference_config_selectorILb1ElEEZNS1_24adjacent_difference_implIS3_Lb1ELb0EPlS7_ZN2at6native12_GLOBAL__N_124unique_dim_cuda_templateIN3c108BFloat16EEESt5tupleIJNS8_6TensorESF_SF_EERKSF_lbbbEUlllE1_EE10hipError_tPvRmT2_T3_mT4_P12ihipStream_tbEUlT_E_NS1_11comp_targetILNS1_3genE3ELNS1_11target_archE908ELNS1_3gpuE7ELNS1_3repE0EEENS1_30default_config_static_selectorELNS0_4arch9wavefront6targetE0EEEvT1_
                                        ; -- End function
	.section	.AMDGPU.csdata,"",@progbits
; Kernel info:
; codeLenInByte = 0
; NumSgprs: 0
; NumVgprs: 0
; ScratchSize: 0
; MemoryBound: 0
; FloatMode: 240
; IeeeMode: 1
; LDSByteSize: 0 bytes/workgroup (compile time only)
; SGPRBlocks: 0
; VGPRBlocks: 0
; NumSGPRsForWavesPerEU: 1
; NumVGPRsForWavesPerEU: 1
; Occupancy: 16
; WaveLimiterHint : 0
; COMPUTE_PGM_RSRC2:SCRATCH_EN: 0
; COMPUTE_PGM_RSRC2:USER_SGPR: 15
; COMPUTE_PGM_RSRC2:TRAP_HANDLER: 0
; COMPUTE_PGM_RSRC2:TGID_X_EN: 1
; COMPUTE_PGM_RSRC2:TGID_Y_EN: 0
; COMPUTE_PGM_RSRC2:TGID_Z_EN: 0
; COMPUTE_PGM_RSRC2:TIDIG_COMP_CNT: 0
	.section	.text._ZN7rocprim17ROCPRIM_400000_NS6detail17trampoline_kernelINS0_14default_configENS1_35adjacent_difference_config_selectorILb1ElEEZNS1_24adjacent_difference_implIS3_Lb1ELb0EPlS7_ZN2at6native12_GLOBAL__N_124unique_dim_cuda_templateIN3c108BFloat16EEESt5tupleIJNS8_6TensorESF_SF_EERKSF_lbbbEUlllE1_EE10hipError_tPvRmT2_T3_mT4_P12ihipStream_tbEUlT_E_NS1_11comp_targetILNS1_3genE2ELNS1_11target_archE906ELNS1_3gpuE6ELNS1_3repE0EEENS1_30default_config_static_selectorELNS0_4arch9wavefront6targetE0EEEvT1_,"axG",@progbits,_ZN7rocprim17ROCPRIM_400000_NS6detail17trampoline_kernelINS0_14default_configENS1_35adjacent_difference_config_selectorILb1ElEEZNS1_24adjacent_difference_implIS3_Lb1ELb0EPlS7_ZN2at6native12_GLOBAL__N_124unique_dim_cuda_templateIN3c108BFloat16EEESt5tupleIJNS8_6TensorESF_SF_EERKSF_lbbbEUlllE1_EE10hipError_tPvRmT2_T3_mT4_P12ihipStream_tbEUlT_E_NS1_11comp_targetILNS1_3genE2ELNS1_11target_archE906ELNS1_3gpuE6ELNS1_3repE0EEENS1_30default_config_static_selectorELNS0_4arch9wavefront6targetE0EEEvT1_,comdat
	.globl	_ZN7rocprim17ROCPRIM_400000_NS6detail17trampoline_kernelINS0_14default_configENS1_35adjacent_difference_config_selectorILb1ElEEZNS1_24adjacent_difference_implIS3_Lb1ELb0EPlS7_ZN2at6native12_GLOBAL__N_124unique_dim_cuda_templateIN3c108BFloat16EEESt5tupleIJNS8_6TensorESF_SF_EERKSF_lbbbEUlllE1_EE10hipError_tPvRmT2_T3_mT4_P12ihipStream_tbEUlT_E_NS1_11comp_targetILNS1_3genE2ELNS1_11target_archE906ELNS1_3gpuE6ELNS1_3repE0EEENS1_30default_config_static_selectorELNS0_4arch9wavefront6targetE0EEEvT1_ ; -- Begin function _ZN7rocprim17ROCPRIM_400000_NS6detail17trampoline_kernelINS0_14default_configENS1_35adjacent_difference_config_selectorILb1ElEEZNS1_24adjacent_difference_implIS3_Lb1ELb0EPlS7_ZN2at6native12_GLOBAL__N_124unique_dim_cuda_templateIN3c108BFloat16EEESt5tupleIJNS8_6TensorESF_SF_EERKSF_lbbbEUlllE1_EE10hipError_tPvRmT2_T3_mT4_P12ihipStream_tbEUlT_E_NS1_11comp_targetILNS1_3genE2ELNS1_11target_archE906ELNS1_3gpuE6ELNS1_3repE0EEENS1_30default_config_static_selectorELNS0_4arch9wavefront6targetE0EEEvT1_
	.p2align	8
	.type	_ZN7rocprim17ROCPRIM_400000_NS6detail17trampoline_kernelINS0_14default_configENS1_35adjacent_difference_config_selectorILb1ElEEZNS1_24adjacent_difference_implIS3_Lb1ELb0EPlS7_ZN2at6native12_GLOBAL__N_124unique_dim_cuda_templateIN3c108BFloat16EEESt5tupleIJNS8_6TensorESF_SF_EERKSF_lbbbEUlllE1_EE10hipError_tPvRmT2_T3_mT4_P12ihipStream_tbEUlT_E_NS1_11comp_targetILNS1_3genE2ELNS1_11target_archE906ELNS1_3gpuE6ELNS1_3repE0EEENS1_30default_config_static_selectorELNS0_4arch9wavefront6targetE0EEEvT1_,@function
_ZN7rocprim17ROCPRIM_400000_NS6detail17trampoline_kernelINS0_14default_configENS1_35adjacent_difference_config_selectorILb1ElEEZNS1_24adjacent_difference_implIS3_Lb1ELb0EPlS7_ZN2at6native12_GLOBAL__N_124unique_dim_cuda_templateIN3c108BFloat16EEESt5tupleIJNS8_6TensorESF_SF_EERKSF_lbbbEUlllE1_EE10hipError_tPvRmT2_T3_mT4_P12ihipStream_tbEUlT_E_NS1_11comp_targetILNS1_3genE2ELNS1_11target_archE906ELNS1_3gpuE6ELNS1_3repE0EEENS1_30default_config_static_selectorELNS0_4arch9wavefront6targetE0EEEvT1_: ; @_ZN7rocprim17ROCPRIM_400000_NS6detail17trampoline_kernelINS0_14default_configENS1_35adjacent_difference_config_selectorILb1ElEEZNS1_24adjacent_difference_implIS3_Lb1ELb0EPlS7_ZN2at6native12_GLOBAL__N_124unique_dim_cuda_templateIN3c108BFloat16EEESt5tupleIJNS8_6TensorESF_SF_EERKSF_lbbbEUlllE1_EE10hipError_tPvRmT2_T3_mT4_P12ihipStream_tbEUlT_E_NS1_11comp_targetILNS1_3genE2ELNS1_11target_archE906ELNS1_3gpuE6ELNS1_3repE0EEENS1_30default_config_static_selectorELNS0_4arch9wavefront6targetE0EEEvT1_
; %bb.0:
	.section	.rodata,"a",@progbits
	.p2align	6, 0x0
	.amdhsa_kernel _ZN7rocprim17ROCPRIM_400000_NS6detail17trampoline_kernelINS0_14default_configENS1_35adjacent_difference_config_selectorILb1ElEEZNS1_24adjacent_difference_implIS3_Lb1ELb0EPlS7_ZN2at6native12_GLOBAL__N_124unique_dim_cuda_templateIN3c108BFloat16EEESt5tupleIJNS8_6TensorESF_SF_EERKSF_lbbbEUlllE1_EE10hipError_tPvRmT2_T3_mT4_P12ihipStream_tbEUlT_E_NS1_11comp_targetILNS1_3genE2ELNS1_11target_archE906ELNS1_3gpuE6ELNS1_3repE0EEENS1_30default_config_static_selectorELNS0_4arch9wavefront6targetE0EEEvT1_
		.amdhsa_group_segment_fixed_size 0
		.amdhsa_private_segment_fixed_size 0
		.amdhsa_kernarg_size 64
		.amdhsa_user_sgpr_count 15
		.amdhsa_user_sgpr_dispatch_ptr 0
		.amdhsa_user_sgpr_queue_ptr 0
		.amdhsa_user_sgpr_kernarg_segment_ptr 1
		.amdhsa_user_sgpr_dispatch_id 0
		.amdhsa_user_sgpr_private_segment_size 0
		.amdhsa_wavefront_size32 1
		.amdhsa_uses_dynamic_stack 0
		.amdhsa_enable_private_segment 0
		.amdhsa_system_sgpr_workgroup_id_x 1
		.amdhsa_system_sgpr_workgroup_id_y 0
		.amdhsa_system_sgpr_workgroup_id_z 0
		.amdhsa_system_sgpr_workgroup_info 0
		.amdhsa_system_vgpr_workitem_id 0
		.amdhsa_next_free_vgpr 1
		.amdhsa_next_free_sgpr 1
		.amdhsa_reserve_vcc 0
		.amdhsa_float_round_mode_32 0
		.amdhsa_float_round_mode_16_64 0
		.amdhsa_float_denorm_mode_32 3
		.amdhsa_float_denorm_mode_16_64 3
		.amdhsa_dx10_clamp 1
		.amdhsa_ieee_mode 1
		.amdhsa_fp16_overflow 0
		.amdhsa_workgroup_processor_mode 1
		.amdhsa_memory_ordered 1
		.amdhsa_forward_progress 0
		.amdhsa_shared_vgpr_count 0
		.amdhsa_exception_fp_ieee_invalid_op 0
		.amdhsa_exception_fp_denorm_src 0
		.amdhsa_exception_fp_ieee_div_zero 0
		.amdhsa_exception_fp_ieee_overflow 0
		.amdhsa_exception_fp_ieee_underflow 0
		.amdhsa_exception_fp_ieee_inexact 0
		.amdhsa_exception_int_div_zero 0
	.end_amdhsa_kernel
	.section	.text._ZN7rocprim17ROCPRIM_400000_NS6detail17trampoline_kernelINS0_14default_configENS1_35adjacent_difference_config_selectorILb1ElEEZNS1_24adjacent_difference_implIS3_Lb1ELb0EPlS7_ZN2at6native12_GLOBAL__N_124unique_dim_cuda_templateIN3c108BFloat16EEESt5tupleIJNS8_6TensorESF_SF_EERKSF_lbbbEUlllE1_EE10hipError_tPvRmT2_T3_mT4_P12ihipStream_tbEUlT_E_NS1_11comp_targetILNS1_3genE2ELNS1_11target_archE906ELNS1_3gpuE6ELNS1_3repE0EEENS1_30default_config_static_selectorELNS0_4arch9wavefront6targetE0EEEvT1_,"axG",@progbits,_ZN7rocprim17ROCPRIM_400000_NS6detail17trampoline_kernelINS0_14default_configENS1_35adjacent_difference_config_selectorILb1ElEEZNS1_24adjacent_difference_implIS3_Lb1ELb0EPlS7_ZN2at6native12_GLOBAL__N_124unique_dim_cuda_templateIN3c108BFloat16EEESt5tupleIJNS8_6TensorESF_SF_EERKSF_lbbbEUlllE1_EE10hipError_tPvRmT2_T3_mT4_P12ihipStream_tbEUlT_E_NS1_11comp_targetILNS1_3genE2ELNS1_11target_archE906ELNS1_3gpuE6ELNS1_3repE0EEENS1_30default_config_static_selectorELNS0_4arch9wavefront6targetE0EEEvT1_,comdat
.Lfunc_end1170:
	.size	_ZN7rocprim17ROCPRIM_400000_NS6detail17trampoline_kernelINS0_14default_configENS1_35adjacent_difference_config_selectorILb1ElEEZNS1_24adjacent_difference_implIS3_Lb1ELb0EPlS7_ZN2at6native12_GLOBAL__N_124unique_dim_cuda_templateIN3c108BFloat16EEESt5tupleIJNS8_6TensorESF_SF_EERKSF_lbbbEUlllE1_EE10hipError_tPvRmT2_T3_mT4_P12ihipStream_tbEUlT_E_NS1_11comp_targetILNS1_3genE2ELNS1_11target_archE906ELNS1_3gpuE6ELNS1_3repE0EEENS1_30default_config_static_selectorELNS0_4arch9wavefront6targetE0EEEvT1_, .Lfunc_end1170-_ZN7rocprim17ROCPRIM_400000_NS6detail17trampoline_kernelINS0_14default_configENS1_35adjacent_difference_config_selectorILb1ElEEZNS1_24adjacent_difference_implIS3_Lb1ELb0EPlS7_ZN2at6native12_GLOBAL__N_124unique_dim_cuda_templateIN3c108BFloat16EEESt5tupleIJNS8_6TensorESF_SF_EERKSF_lbbbEUlllE1_EE10hipError_tPvRmT2_T3_mT4_P12ihipStream_tbEUlT_E_NS1_11comp_targetILNS1_3genE2ELNS1_11target_archE906ELNS1_3gpuE6ELNS1_3repE0EEENS1_30default_config_static_selectorELNS0_4arch9wavefront6targetE0EEEvT1_
                                        ; -- End function
	.section	.AMDGPU.csdata,"",@progbits
; Kernel info:
; codeLenInByte = 0
; NumSgprs: 0
; NumVgprs: 0
; ScratchSize: 0
; MemoryBound: 0
; FloatMode: 240
; IeeeMode: 1
; LDSByteSize: 0 bytes/workgroup (compile time only)
; SGPRBlocks: 0
; VGPRBlocks: 0
; NumSGPRsForWavesPerEU: 1
; NumVGPRsForWavesPerEU: 1
; Occupancy: 16
; WaveLimiterHint : 0
; COMPUTE_PGM_RSRC2:SCRATCH_EN: 0
; COMPUTE_PGM_RSRC2:USER_SGPR: 15
; COMPUTE_PGM_RSRC2:TRAP_HANDLER: 0
; COMPUTE_PGM_RSRC2:TGID_X_EN: 1
; COMPUTE_PGM_RSRC2:TGID_Y_EN: 0
; COMPUTE_PGM_RSRC2:TGID_Z_EN: 0
; COMPUTE_PGM_RSRC2:TIDIG_COMP_CNT: 0
	.section	.text._ZN7rocprim17ROCPRIM_400000_NS6detail17trampoline_kernelINS0_14default_configENS1_35adjacent_difference_config_selectorILb1ElEEZNS1_24adjacent_difference_implIS3_Lb1ELb0EPlS7_ZN2at6native12_GLOBAL__N_124unique_dim_cuda_templateIN3c108BFloat16EEESt5tupleIJNS8_6TensorESF_SF_EERKSF_lbbbEUlllE1_EE10hipError_tPvRmT2_T3_mT4_P12ihipStream_tbEUlT_E_NS1_11comp_targetILNS1_3genE9ELNS1_11target_archE1100ELNS1_3gpuE3ELNS1_3repE0EEENS1_30default_config_static_selectorELNS0_4arch9wavefront6targetE0EEEvT1_,"axG",@progbits,_ZN7rocprim17ROCPRIM_400000_NS6detail17trampoline_kernelINS0_14default_configENS1_35adjacent_difference_config_selectorILb1ElEEZNS1_24adjacent_difference_implIS3_Lb1ELb0EPlS7_ZN2at6native12_GLOBAL__N_124unique_dim_cuda_templateIN3c108BFloat16EEESt5tupleIJNS8_6TensorESF_SF_EERKSF_lbbbEUlllE1_EE10hipError_tPvRmT2_T3_mT4_P12ihipStream_tbEUlT_E_NS1_11comp_targetILNS1_3genE9ELNS1_11target_archE1100ELNS1_3gpuE3ELNS1_3repE0EEENS1_30default_config_static_selectorELNS0_4arch9wavefront6targetE0EEEvT1_,comdat
	.globl	_ZN7rocprim17ROCPRIM_400000_NS6detail17trampoline_kernelINS0_14default_configENS1_35adjacent_difference_config_selectorILb1ElEEZNS1_24adjacent_difference_implIS3_Lb1ELb0EPlS7_ZN2at6native12_GLOBAL__N_124unique_dim_cuda_templateIN3c108BFloat16EEESt5tupleIJNS8_6TensorESF_SF_EERKSF_lbbbEUlllE1_EE10hipError_tPvRmT2_T3_mT4_P12ihipStream_tbEUlT_E_NS1_11comp_targetILNS1_3genE9ELNS1_11target_archE1100ELNS1_3gpuE3ELNS1_3repE0EEENS1_30default_config_static_selectorELNS0_4arch9wavefront6targetE0EEEvT1_ ; -- Begin function _ZN7rocprim17ROCPRIM_400000_NS6detail17trampoline_kernelINS0_14default_configENS1_35adjacent_difference_config_selectorILb1ElEEZNS1_24adjacent_difference_implIS3_Lb1ELb0EPlS7_ZN2at6native12_GLOBAL__N_124unique_dim_cuda_templateIN3c108BFloat16EEESt5tupleIJNS8_6TensorESF_SF_EERKSF_lbbbEUlllE1_EE10hipError_tPvRmT2_T3_mT4_P12ihipStream_tbEUlT_E_NS1_11comp_targetILNS1_3genE9ELNS1_11target_archE1100ELNS1_3gpuE3ELNS1_3repE0EEENS1_30default_config_static_selectorELNS0_4arch9wavefront6targetE0EEEvT1_
	.p2align	8
	.type	_ZN7rocprim17ROCPRIM_400000_NS6detail17trampoline_kernelINS0_14default_configENS1_35adjacent_difference_config_selectorILb1ElEEZNS1_24adjacent_difference_implIS3_Lb1ELb0EPlS7_ZN2at6native12_GLOBAL__N_124unique_dim_cuda_templateIN3c108BFloat16EEESt5tupleIJNS8_6TensorESF_SF_EERKSF_lbbbEUlllE1_EE10hipError_tPvRmT2_T3_mT4_P12ihipStream_tbEUlT_E_NS1_11comp_targetILNS1_3genE9ELNS1_11target_archE1100ELNS1_3gpuE3ELNS1_3repE0EEENS1_30default_config_static_selectorELNS0_4arch9wavefront6targetE0EEEvT1_,@function
_ZN7rocprim17ROCPRIM_400000_NS6detail17trampoline_kernelINS0_14default_configENS1_35adjacent_difference_config_selectorILb1ElEEZNS1_24adjacent_difference_implIS3_Lb1ELb0EPlS7_ZN2at6native12_GLOBAL__N_124unique_dim_cuda_templateIN3c108BFloat16EEESt5tupleIJNS8_6TensorESF_SF_EERKSF_lbbbEUlllE1_EE10hipError_tPvRmT2_T3_mT4_P12ihipStream_tbEUlT_E_NS1_11comp_targetILNS1_3genE9ELNS1_11target_archE1100ELNS1_3gpuE3ELNS1_3repE0EEENS1_30default_config_static_selectorELNS0_4arch9wavefront6targetE0EEEvT1_: ; @_ZN7rocprim17ROCPRIM_400000_NS6detail17trampoline_kernelINS0_14default_configENS1_35adjacent_difference_config_selectorILb1ElEEZNS1_24adjacent_difference_implIS3_Lb1ELb0EPlS7_ZN2at6native12_GLOBAL__N_124unique_dim_cuda_templateIN3c108BFloat16EEESt5tupleIJNS8_6TensorESF_SF_EERKSF_lbbbEUlllE1_EE10hipError_tPvRmT2_T3_mT4_P12ihipStream_tbEUlT_E_NS1_11comp_targetILNS1_3genE9ELNS1_11target_archE1100ELNS1_3gpuE3ELNS1_3repE0EEENS1_30default_config_static_selectorELNS0_4arch9wavefront6targetE0EEEvT1_
; %bb.0:
	s_mov_b32 s22, s15
	s_load_b512 s[0:15], s[0:1], 0x0
	s_waitcnt lgkmcnt(0)
	s_lshl_b64 s[16:17], s[2:3], 3
	s_mov_b32 s2, 0x411a7a30
	s_add_u32 s27, s0, s16
	s_addc_u32 s28, s1, s17
	s_add_u32 s0, 0x76, s2
	s_addc_u32 s1, 0, 0
	v_add_co_u32 v1, s0, 0x20000000, s0
	s_delay_alu instid0(VALU_DEP_1) | instskip(SKIP_1) | instid1(VALU_DEP_1)
	s_cmp_lg_u32 s0, 0
	s_addc_u32 s1, s1, 0x11a7b9
	v_readfirstlane_b32 s0, v1
	s_mul_i32 s2, s1, 0xfffff180
	s_delay_alu instid0(VALU_DEP_1)
	s_mul_hi_u32 s3, s0, 0xfffff180
	s_mul_i32 s18, s0, 0xfffff180
	s_sub_i32 s3, s3, s0
	s_mul_hi_u32 s19, s0, s18
	s_add_i32 s3, s3, s2
	s_mul_hi_u32 s20, s1, s18
	s_mul_i32 s2, s1, s18
	s_mul_hi_u32 s18, s0, s3
	s_mul_i32 s0, s0, s3
	s_mul_hi_u32 s21, s1, s3
	s_add_u32 s0, s19, s0
	s_addc_u32 s18, 0, s18
	s_add_u32 s0, s0, s2
	s_mul_i32 s3, s1, s3
	s_addc_u32 s0, s18, s20
	s_addc_u32 s2, s21, 0
	s_add_u32 s0, s0, s3
	s_addc_u32 s2, 0, s2
	v_add_co_u32 v1, s0, v1, s0
	s_delay_alu instid0(VALU_DEP_1) | instskip(SKIP_1) | instid1(VALU_DEP_1)
	s_cmp_lg_u32 s0, 0
	s_addc_u32 s0, s1, s2
	v_readfirstlane_b32 s1, v1
	s_mul_i32 s3, s6, s0
	s_mul_hi_u32 s2, s6, s0
	s_mul_hi_u32 s18, s7, s0
	s_mul_i32 s0, s7, s0
	s_mul_hi_u32 s19, s6, s1
	s_mul_hi_u32 s20, s7, s1
	s_mul_i32 s1, s7, s1
	s_add_u32 s3, s19, s3
	s_addc_u32 s2, 0, s2
	s_add_u32 s1, s3, s1
	s_addc_u32 s1, s2, s20
	s_addc_u32 s2, s18, 0
	s_add_u32 s0, s1, s0
	s_addc_u32 s1, 0, s2
	s_mul_i32 s3, s0, 0xe80
	s_add_u32 s2, s0, 1
	v_sub_co_u32 v1, s3, s6, s3
	s_mul_hi_u32 s18, s0, 0xe80
	s_addc_u32 s19, s1, 0
	s_mul_i32 s20, s1, 0xe80
	s_delay_alu instid0(VALU_DEP_1)
	v_subrev_co_u32 v2, s21, 0xe80, v1
	s_add_u32 s23, s0, 2
	s_addc_u32 s24, s1, 0
	s_add_i32 s18, s18, s20
	s_cmp_lg_u32 s3, 0
	v_readfirstlane_b32 s3, v2
	s_subb_u32 s18, s7, s18
	s_cmp_lg_u32 s21, 0
	s_subb_u32 s20, s18, 0
	s_delay_alu instid0(VALU_DEP_1) | instskip(SKIP_4) | instid1(SALU_CYCLE_1)
	s_cmpk_gt_u32 s3, 0xe7f
	s_cselect_b32 s3, -1, 0
	s_cmp_eq_u32 s20, 0
	v_readfirstlane_b32 s20, v1
	s_cselect_b32 s3, s3, -1
	s_cmp_lg_u32 s3, 0
	s_cselect_b32 s2, s23, s2
	s_cselect_b32 s3, s24, s19
	s_cmpk_gt_u32 s20, 0xe7f
	s_mov_b32 s23, 0
	s_cselect_b32 s19, -1, 0
	s_cmp_eq_u32 s18, 0
	s_cselect_b32 s18, s19, -1
	s_delay_alu instid0(SALU_CYCLE_1)
	s_cmp_lg_u32 s18, 0
	s_cselect_b32 s3, s3, s1
	s_cselect_b32 s2, s2, s0
	s_mul_i32 s0, s3, 0xe80
	s_mul_hi_u32 s1, s2, 0xe80
	s_mul_i32 s18, s2, 0xe80
	s_add_i32 s1, s1, s0
	s_sub_u32 s0, s6, s18
	s_subb_u32 s1, s7, s1
	s_delay_alu instid0(SALU_CYCLE_1) | instskip(SKIP_1) | instid1(SALU_CYCLE_1)
	s_cmp_lg_u64 s[0:1], 0
	s_cselect_b32 s0, -1, 0
	v_cndmask_b32_e64 v1, 0, 1, s0
	s_delay_alu instid0(VALU_DEP_1) | instskip(NEXT) | instid1(VALU_DEP_1)
	v_readfirstlane_b32 s0, v1
	s_add_u32 s18, s2, s0
	s_addc_u32 s19, s3, 0
	s_add_u32 s20, s14, s22
	s_addc_u32 s21, s15, 0
	s_add_u32 s0, s18, -1
	s_addc_u32 s1, s19, -1
	s_mul_i32 s2, s22, 0xe80
	v_cmp_ge_u64_e64 s26, s[20:21], s[0:1]
	s_mov_b32 s3, -1
	s_mul_i32 s7, s0, 0xfffff180
	s_delay_alu instid0(VALU_DEP_1)
	s_and_b32 vcc_lo, exec_lo, s26
	s_cbranch_vccz .LBB1171_60
; %bb.1:
	s_mov_b32 s3, s23
	s_add_i32 s29, s7, s6
	s_lshl_b64 s[24:25], s[2:3], 3
	s_mov_b32 s3, exec_lo
	s_add_u32 s24, s27, s24
	s_addc_u32 s25, s28, s25
                                        ; implicit-def: $vgpr1_vgpr2
	v_cmpx_gt_u32_e64 s29, v0
	s_cbranch_execz .LBB1171_3
; %bb.2:
	v_lshlrev_b32_e32 v1, 3, v0
	global_load_b64 v[1:2], v1, s[24:25]
.LBB1171_3:
	s_or_b32 exec_lo, exec_lo, s3
	v_or_b32_e32 v3, 0x80, v0
	s_delay_alu instid0(VALU_DEP_1)
	v_cmp_gt_u32_e32 vcc_lo, s29, v3
                                        ; implicit-def: $vgpr3_vgpr4
	s_and_saveexec_b32 s3, vcc_lo
	s_cbranch_execz .LBB1171_5
; %bb.4:
	v_lshlrev_b32_e32 v3, 3, v0
	global_load_b64 v[3:4], v3, s[24:25] offset:1024
.LBB1171_5:
	s_or_b32 exec_lo, exec_lo, s3
	v_or_b32_e32 v5, 0x100, v0
	s_delay_alu instid0(VALU_DEP_1)
	v_cmp_gt_u32_e32 vcc_lo, s29, v5
                                        ; implicit-def: $vgpr5_vgpr6
	s_and_saveexec_b32 s3, vcc_lo
	s_cbranch_execz .LBB1171_7
; %bb.6:
	v_lshlrev_b32_e32 v5, 3, v0
	global_load_b64 v[5:6], v5, s[24:25] offset:2048
.LBB1171_7:
	s_or_b32 exec_lo, exec_lo, s3
	v_or_b32_e32 v7, 0x180, v0
	s_delay_alu instid0(VALU_DEP_1)
	v_cmp_gt_u32_e32 vcc_lo, s29, v7
                                        ; implicit-def: $vgpr7_vgpr8
	s_and_saveexec_b32 s3, vcc_lo
	s_cbranch_execz .LBB1171_9
; %bb.8:
	v_lshlrev_b32_e32 v7, 3, v0
	global_load_b64 v[7:8], v7, s[24:25] offset:3072
.LBB1171_9:
	s_or_b32 exec_lo, exec_lo, s3
	v_or_b32_e32 v11, 0x200, v0
	s_mov_b32 s3, exec_lo
                                        ; implicit-def: $vgpr9_vgpr10
	s_delay_alu instid0(VALU_DEP_1)
	v_cmpx_gt_u32_e64 s29, v11
	s_cbranch_execz .LBB1171_11
; %bb.10:
	v_lshlrev_b32_e32 v9, 3, v11
	global_load_b64 v[9:10], v9, s[24:25]
.LBB1171_11:
	s_or_b32 exec_lo, exec_lo, s3
	v_or_b32_e32 v13, 0x280, v0
	s_mov_b32 s3, exec_lo
                                        ; implicit-def: $vgpr11_vgpr12
	s_delay_alu instid0(VALU_DEP_1)
	v_cmpx_gt_u32_e64 s29, v13
	s_cbranch_execz .LBB1171_13
; %bb.12:
	v_lshlrev_b32_e32 v11, 3, v13
	global_load_b64 v[11:12], v11, s[24:25]
.LBB1171_13:
	s_or_b32 exec_lo, exec_lo, s3
	v_or_b32_e32 v15, 0x300, v0
	s_mov_b32 s3, exec_lo
                                        ; implicit-def: $vgpr13_vgpr14
	s_delay_alu instid0(VALU_DEP_1)
	v_cmpx_gt_u32_e64 s29, v15
	s_cbranch_execz .LBB1171_15
; %bb.14:
	v_lshlrev_b32_e32 v13, 3, v15
	global_load_b64 v[13:14], v13, s[24:25]
.LBB1171_15:
	s_or_b32 exec_lo, exec_lo, s3
	v_or_b32_e32 v17, 0x380, v0
	s_mov_b32 s3, exec_lo
                                        ; implicit-def: $vgpr15_vgpr16
	s_delay_alu instid0(VALU_DEP_1)
	v_cmpx_gt_u32_e64 s29, v17
	s_cbranch_execz .LBB1171_17
; %bb.16:
	v_lshlrev_b32_e32 v15, 3, v17
	global_load_b64 v[15:16], v15, s[24:25]
.LBB1171_17:
	s_or_b32 exec_lo, exec_lo, s3
	v_or_b32_e32 v19, 0x400, v0
	s_mov_b32 s3, exec_lo
                                        ; implicit-def: $vgpr17_vgpr18
	s_delay_alu instid0(VALU_DEP_1)
	v_cmpx_gt_u32_e64 s29, v19
	s_cbranch_execz .LBB1171_19
; %bb.18:
	v_lshlrev_b32_e32 v17, 3, v19
	global_load_b64 v[17:18], v17, s[24:25]
.LBB1171_19:
	s_or_b32 exec_lo, exec_lo, s3
	v_or_b32_e32 v21, 0x480, v0
	s_mov_b32 s3, exec_lo
                                        ; implicit-def: $vgpr19_vgpr20
	s_delay_alu instid0(VALU_DEP_1)
	v_cmpx_gt_u32_e64 s29, v21
	s_cbranch_execz .LBB1171_21
; %bb.20:
	v_lshlrev_b32_e32 v19, 3, v21
	global_load_b64 v[19:20], v19, s[24:25]
.LBB1171_21:
	s_or_b32 exec_lo, exec_lo, s3
	v_or_b32_e32 v23, 0x500, v0
	s_mov_b32 s3, exec_lo
                                        ; implicit-def: $vgpr21_vgpr22
	s_delay_alu instid0(VALU_DEP_1)
	v_cmpx_gt_u32_e64 s29, v23
	s_cbranch_execz .LBB1171_23
; %bb.22:
	v_lshlrev_b32_e32 v21, 3, v23
	global_load_b64 v[21:22], v21, s[24:25]
.LBB1171_23:
	s_or_b32 exec_lo, exec_lo, s3
	v_or_b32_e32 v25, 0x580, v0
	s_mov_b32 s3, exec_lo
                                        ; implicit-def: $vgpr23_vgpr24
	s_delay_alu instid0(VALU_DEP_1)
	v_cmpx_gt_u32_e64 s29, v25
	s_cbranch_execz .LBB1171_25
; %bb.24:
	v_lshlrev_b32_e32 v23, 3, v25
	global_load_b64 v[23:24], v23, s[24:25]
.LBB1171_25:
	s_or_b32 exec_lo, exec_lo, s3
	v_or_b32_e32 v27, 0x600, v0
	s_mov_b32 s3, exec_lo
                                        ; implicit-def: $vgpr25_vgpr26
	s_delay_alu instid0(VALU_DEP_1)
	v_cmpx_gt_u32_e64 s29, v27
	s_cbranch_execz .LBB1171_27
; %bb.26:
	v_lshlrev_b32_e32 v25, 3, v27
	global_load_b64 v[25:26], v25, s[24:25]
.LBB1171_27:
	s_or_b32 exec_lo, exec_lo, s3
	v_or_b32_e32 v29, 0x680, v0
	s_mov_b32 s3, exec_lo
                                        ; implicit-def: $vgpr27_vgpr28
	s_delay_alu instid0(VALU_DEP_1)
	v_cmpx_gt_u32_e64 s29, v29
	s_cbranch_execz .LBB1171_29
; %bb.28:
	v_lshlrev_b32_e32 v27, 3, v29
	global_load_b64 v[27:28], v27, s[24:25]
.LBB1171_29:
	s_or_b32 exec_lo, exec_lo, s3
	v_or_b32_e32 v31, 0x700, v0
	s_mov_b32 s3, exec_lo
                                        ; implicit-def: $vgpr29_vgpr30
	s_delay_alu instid0(VALU_DEP_1)
	v_cmpx_gt_u32_e64 s29, v31
	s_cbranch_execz .LBB1171_31
; %bb.30:
	v_lshlrev_b32_e32 v29, 3, v31
	global_load_b64 v[29:30], v29, s[24:25]
.LBB1171_31:
	s_or_b32 exec_lo, exec_lo, s3
	v_or_b32_e32 v33, 0x780, v0
	s_mov_b32 s3, exec_lo
                                        ; implicit-def: $vgpr31_vgpr32
	s_delay_alu instid0(VALU_DEP_1)
	v_cmpx_gt_u32_e64 s29, v33
	s_cbranch_execz .LBB1171_33
; %bb.32:
	v_lshlrev_b32_e32 v31, 3, v33
	global_load_b64 v[31:32], v31, s[24:25]
.LBB1171_33:
	s_or_b32 exec_lo, exec_lo, s3
	v_or_b32_e32 v35, 0x800, v0
	s_mov_b32 s3, exec_lo
                                        ; implicit-def: $vgpr33_vgpr34
	s_delay_alu instid0(VALU_DEP_1)
	v_cmpx_gt_u32_e64 s29, v35
	s_cbranch_execz .LBB1171_35
; %bb.34:
	v_lshlrev_b32_e32 v33, 3, v35
	global_load_b64 v[33:34], v33, s[24:25]
.LBB1171_35:
	s_or_b32 exec_lo, exec_lo, s3
	v_or_b32_e32 v37, 0x880, v0
	s_mov_b32 s3, exec_lo
                                        ; implicit-def: $vgpr35_vgpr36
	s_delay_alu instid0(VALU_DEP_1)
	v_cmpx_gt_u32_e64 s29, v37
	s_cbranch_execz .LBB1171_37
; %bb.36:
	v_lshlrev_b32_e32 v35, 3, v37
	global_load_b64 v[35:36], v35, s[24:25]
.LBB1171_37:
	s_or_b32 exec_lo, exec_lo, s3
	v_or_b32_e32 v39, 0x900, v0
	s_mov_b32 s3, exec_lo
                                        ; implicit-def: $vgpr37_vgpr38
	s_delay_alu instid0(VALU_DEP_1)
	v_cmpx_gt_u32_e64 s29, v39
	s_cbranch_execz .LBB1171_39
; %bb.38:
	v_lshlrev_b32_e32 v37, 3, v39
	global_load_b64 v[37:38], v37, s[24:25]
.LBB1171_39:
	s_or_b32 exec_lo, exec_lo, s3
	v_or_b32_e32 v41, 0x980, v0
	s_mov_b32 s3, exec_lo
                                        ; implicit-def: $vgpr39_vgpr40
	s_delay_alu instid0(VALU_DEP_1)
	v_cmpx_gt_u32_e64 s29, v41
	s_cbranch_execz .LBB1171_41
; %bb.40:
	v_lshlrev_b32_e32 v39, 3, v41
	global_load_b64 v[39:40], v39, s[24:25]
.LBB1171_41:
	s_or_b32 exec_lo, exec_lo, s3
	v_or_b32_e32 v43, 0xa00, v0
	s_mov_b32 s3, exec_lo
                                        ; implicit-def: $vgpr41_vgpr42
	s_delay_alu instid0(VALU_DEP_1)
	v_cmpx_gt_u32_e64 s29, v43
	s_cbranch_execz .LBB1171_43
; %bb.42:
	v_lshlrev_b32_e32 v41, 3, v43
	global_load_b64 v[41:42], v41, s[24:25]
.LBB1171_43:
	s_or_b32 exec_lo, exec_lo, s3
	v_or_b32_e32 v45, 0xa80, v0
	s_mov_b32 s3, exec_lo
                                        ; implicit-def: $vgpr43_vgpr44
	s_delay_alu instid0(VALU_DEP_1)
	v_cmpx_gt_u32_e64 s29, v45
	s_cbranch_execz .LBB1171_45
; %bb.44:
	v_lshlrev_b32_e32 v43, 3, v45
	global_load_b64 v[43:44], v43, s[24:25]
.LBB1171_45:
	s_or_b32 exec_lo, exec_lo, s3
	v_or_b32_e32 v47, 0xb00, v0
	s_mov_b32 s3, exec_lo
                                        ; implicit-def: $vgpr45_vgpr46
	s_delay_alu instid0(VALU_DEP_1)
	v_cmpx_gt_u32_e64 s29, v47
	s_cbranch_execz .LBB1171_47
; %bb.46:
	v_lshlrev_b32_e32 v45, 3, v47
	global_load_b64 v[45:46], v45, s[24:25]
.LBB1171_47:
	s_or_b32 exec_lo, exec_lo, s3
	v_or_b32_e32 v49, 0xb80, v0
	s_mov_b32 s3, exec_lo
                                        ; implicit-def: $vgpr47_vgpr48
	s_delay_alu instid0(VALU_DEP_1)
	v_cmpx_gt_u32_e64 s29, v49
	s_cbranch_execz .LBB1171_49
; %bb.48:
	v_lshlrev_b32_e32 v47, 3, v49
	global_load_b64 v[47:48], v47, s[24:25]
.LBB1171_49:
	s_or_b32 exec_lo, exec_lo, s3
	v_or_b32_e32 v51, 0xc00, v0
	s_mov_b32 s3, exec_lo
                                        ; implicit-def: $vgpr49_vgpr50
	s_delay_alu instid0(VALU_DEP_1)
	v_cmpx_gt_u32_e64 s29, v51
	s_cbranch_execz .LBB1171_51
; %bb.50:
	v_lshlrev_b32_e32 v49, 3, v51
	global_load_b64 v[49:50], v49, s[24:25]
.LBB1171_51:
	s_or_b32 exec_lo, exec_lo, s3
	v_or_b32_e32 v53, 0xc80, v0
	s_mov_b32 s3, exec_lo
                                        ; implicit-def: $vgpr51_vgpr52
	s_delay_alu instid0(VALU_DEP_1)
	v_cmpx_gt_u32_e64 s29, v53
	s_cbranch_execz .LBB1171_53
; %bb.52:
	v_lshlrev_b32_e32 v51, 3, v53
	global_load_b64 v[51:52], v51, s[24:25]
.LBB1171_53:
	s_or_b32 exec_lo, exec_lo, s3
	v_or_b32_e32 v55, 0xd00, v0
	s_mov_b32 s3, exec_lo
                                        ; implicit-def: $vgpr53_vgpr54
	s_delay_alu instid0(VALU_DEP_1)
	v_cmpx_gt_u32_e64 s29, v55
	s_cbranch_execz .LBB1171_55
; %bb.54:
	v_lshlrev_b32_e32 v53, 3, v55
	global_load_b64 v[53:54], v53, s[24:25]
.LBB1171_55:
	s_or_b32 exec_lo, exec_lo, s3
	v_or_b32_e32 v57, 0xd80, v0
	s_mov_b32 s3, exec_lo
                                        ; implicit-def: $vgpr55_vgpr56
	s_delay_alu instid0(VALU_DEP_1)
	v_cmpx_gt_u32_e64 s29, v57
	s_cbranch_execz .LBB1171_57
; %bb.56:
	v_lshlrev_b32_e32 v55, 3, v57
	global_load_b64 v[55:56], v55, s[24:25]
.LBB1171_57:
	s_or_b32 exec_lo, exec_lo, s3
	v_or_b32_e32 v59, 0xe00, v0
	s_mov_b32 s3, exec_lo
                                        ; implicit-def: $vgpr57_vgpr58
	s_delay_alu instid0(VALU_DEP_1)
	v_cmpx_gt_u32_e64 s29, v59
	s_cbranch_execz .LBB1171_59
; %bb.58:
	v_lshlrev_b32_e32 v57, 3, v59
	global_load_b64 v[57:58], v57, s[24:25]
.LBB1171_59:
	s_or_b32 exec_lo, exec_lo, s3
	v_lshlrev_b32_e32 v59, 3, v0
	s_mov_b32 s3, 0
	s_waitcnt vmcnt(0)
	ds_store_2addr_stride64_b64 v59, v[1:2], v[3:4] offset1:2
	ds_store_2addr_stride64_b64 v59, v[5:6], v[7:8] offset0:4 offset1:6
	ds_store_2addr_stride64_b64 v59, v[9:10], v[11:12] offset0:8 offset1:10
	;; [unrolled: 1-line block ×13, first 2 shown]
	ds_store_b64 v59, v[57:58] offset:28672
	s_waitcnt lgkmcnt(0)
	s_barrier
.LBB1171_60:
	v_lshlrev_b32_e32 v195, 3, v0
	s_and_b32 vcc_lo, exec_lo, s3
	s_cbranch_vccz .LBB1171_62
; %bb.61:
	s_mov_b32 s3, 0
	s_delay_alu instid0(SALU_CYCLE_1) | instskip(NEXT) | instid1(SALU_CYCLE_1)
	s_lshl_b64 s[24:25], s[2:3], 3
	s_add_u32 s24, s27, s24
	s_addc_u32 s25, s28, s25
	v_add_co_u32 v49, s3, s24, v195
	s_delay_alu instid0(VALU_DEP_1)
	v_add_co_ci_u32_e64 v50, null, s25, 0, s3
	s_clause 0x3
	global_load_b64 v[1:2], v195, s[24:25]
	global_load_b64 v[3:4], v195, s[24:25] offset:1024
	global_load_b64 v[5:6], v195, s[24:25] offset:2048
	;; [unrolled: 1-line block ×3, first 2 shown]
	v_add_co_u32 v9, vcc_lo, 0x1000, v49
	v_add_co_ci_u32_e32 v10, vcc_lo, 0, v50, vcc_lo
	v_add_co_u32 v11, vcc_lo, v49, 0x2000
	v_add_co_ci_u32_e32 v12, vcc_lo, 0, v50, vcc_lo
	;; [unrolled: 2-line block ×10, first 2 shown]
	s_clause 0x18
	global_load_b64 v[15:16], v[11:12], off offset:-4096
	global_load_b64 v[17:18], v[9:10], off offset:1024
	global_load_b64 v[19:20], v[9:10], off offset:2048
	global_load_b64 v[9:10], v[9:10], off offset:3072
	global_load_b64 v[21:22], v[13:14], off offset:1024
	global_load_b64 v[29:30], v[13:14], off offset:2048
	global_load_b64 v[13:14], v[13:14], off offset:3072
	global_load_b64 v[31:32], v[23:24], off offset:1024
	global_load_b64 v[33:34], v[23:24], off offset:2048
	global_load_b64 v[23:24], v[23:24], off offset:3072
	global_load_b64 v[35:36], v[27:28], off offset:1024
	global_load_b64 v[37:38], v[27:28], off offset:2048
	global_load_b64 v[27:28], v[27:28], off offset:3072
	global_load_b64 v[11:12], v[11:12], off
	global_load_b64 v[43:44], v[25:26], off offset:-4096
	global_load_b64 v[25:26], v[25:26], off
	global_load_b64 v[45:46], v[39:40], off offset:-4096
	global_load_b64 v[39:40], v[39:40], off
	global_load_b64 v[51:52], v[41:42], off offset:1024
	global_load_b64 v[53:54], v[41:42], off offset:2048
	;; [unrolled: 1-line block ×6, first 2 shown]
	global_load_b64 v[49:50], v[49:50], off
	s_waitcnt vmcnt(27)
	ds_store_2addr_stride64_b64 v195, v[1:2], v[3:4] offset1:2
	s_waitcnt vmcnt(25)
	ds_store_2addr_stride64_b64 v195, v[5:6], v[7:8] offset0:4 offset1:6
	s_waitcnt vmcnt(23)
	ds_store_2addr_stride64_b64 v195, v[15:16], v[17:18] offset0:8 offset1:10
	;; [unrolled: 2-line block ×4, first 2 shown]
	ds_store_2addr_stride64_b64 v195, v[29:30], v[13:14] offset0:20 offset1:22
	s_waitcnt vmcnt(10)
	ds_store_2addr_stride64_b64 v195, v[43:44], v[31:32] offset0:24 offset1:26
	ds_store_2addr_stride64_b64 v195, v[33:34], v[23:24] offset0:28 offset1:30
	s_waitcnt vmcnt(9)
	ds_store_2addr_stride64_b64 v195, v[25:26], v[35:36] offset0:32 offset1:34
	;; [unrolled: 3-line block ×3, first 2 shown]
	s_waitcnt vmcnt(4)
	ds_store_2addr_stride64_b64 v195, v[53:54], v[41:42] offset0:44 offset1:46
	s_waitcnt vmcnt(3)
	ds_store_2addr_stride64_b64 v195, v[39:40], v[55:56] offset0:48 offset1:50
	;; [unrolled: 2-line block ×3, first 2 shown]
	s_waitcnt vmcnt(0)
	ds_store_b64 v195, v[49:50] offset:28672
	s_waitcnt lgkmcnt(0)
	s_barrier
.LBB1171_62:
	v_mul_u32_u24_e32 v1, 29, v0
	buffer_gl0_inv
	s_cmp_eq_u64 s[20:21], 0
	v_lshlrev_b32_e32 v53, 3, v1
	ds_load_b64 v[109:110], v53 offset:224
	ds_load_2addr_b64 v[5:8], v53 offset0:26 offset1:27
	ds_load_2addr_b64 v[9:12], v53 offset0:24 offset1:25
	ds_load_2addr_b64 v[1:4], v53 offset1:1
	ds_load_2addr_b64 v[13:16], v53 offset0:2 offset1:3
	ds_load_2addr_b64 v[17:20], v53 offset0:4 offset1:5
	;; [unrolled: 1-line block ×11, first 2 shown]
	s_waitcnt lgkmcnt(0)
	s_barrier
	buffer_gl0_inv
	s_cbranch_scc1 .LBB1171_71
; %bb.63:
	s_lshl_b64 s[14:15], s[14:15], 3
	s_delay_alu instid0(SALU_CYCLE_1) | instskip(SKIP_2) | instid1(SALU_CYCLE_1)
	s_add_u32 s3, s12, s14
	s_addc_u32 s14, s13, s15
	s_lshl_b64 s[12:13], s[22:23], 3
	s_add_u32 s3, s3, s12
	s_addc_u32 s13, s14, s13
	s_add_u32 s12, s3, -8
	s_addc_u32 s13, s13, -1
	s_cmp_lg_u64 s[20:21], s[0:1]
	s_load_b64 s[12:13], s[12:13], 0x0
	s_cbranch_scc0 .LBB1171_72
; %bb.64:
	v_mul_lo_u32 v59, v8, s8
	v_mul_lo_u32 v60, v7, s9
	v_mad_u64_u32 v[57:58], null, v7, s8, 0
	v_mov_b32_e32 v113, 0
	v_mov_b32_e32 v114, 0
	v_cmp_lt_i64_e64 s0, s[8:9], 1
	v_cmp_gt_i64_e64 s1, s[8:9], 0
	s_delay_alu instid0(VALU_DEP_4) | instskip(SKIP_4) | instid1(VALU_DEP_1)
	v_mov_b32_e32 v111, v113
	ds_store_b64 v195, v[109:110]
	v_mov_b32_e32 v112, v114
	v_add3_u32 v58, v58, v60, v59
	s_and_b32 vcc_lo, exec_lo, s0
	v_lshlrev_b64 v[57:58], 1, v[57:58]
	s_cbranch_vccnz .LBB1171_76
; %bb.65:
	v_mul_lo_u32 v61, v110, s8
	v_mul_lo_u32 v62, v109, s9
	v_mad_u64_u32 v[59:60], null, v109, s8, 0
	s_mov_b32 s3, exec_lo
	v_mov_b32_e32 v111, 1
	v_mov_b32_e32 v112, 0
	s_delay_alu instid0(VALU_DEP_3) | instskip(NEXT) | instid1(VALU_DEP_1)
	v_add3_u32 v60, v60, v62, v61
	v_lshlrev_b64 v[59:60], 1, v[59:60]
	s_delay_alu instid0(VALU_DEP_1) | instskip(NEXT) | instid1(VALU_DEP_2)
	v_add_co_u32 v61, vcc_lo, s10, v59
	v_add_co_ci_u32_e32 v62, vcc_lo, s11, v60, vcc_lo
	v_add_co_u32 v59, vcc_lo, s10, v57
	v_add_co_ci_u32_e32 v60, vcc_lo, s11, v58, vcc_lo
	s_clause 0x1
	global_load_u16 v63, v[61:62], off
	global_load_u16 v64, v[59:60], off
	s_waitcnt vmcnt(1)
	v_lshlrev_b32_e32 v63, 16, v63
	s_waitcnt vmcnt(0)
	v_lshlrev_b32_e32 v64, 16, v64
	s_delay_alu instid0(VALU_DEP_1)
	v_cmpx_eq_f32_e32 v63, v64
	s_cbranch_execz .LBB1171_75
; %bb.66:
	v_add_co_u32 v59, vcc_lo, v59, 2
	v_add_co_ci_u32_e32 v60, vcc_lo, 0, v60, vcc_lo
	v_add_co_u32 v61, vcc_lo, v61, 2
	v_add_co_ci_u32_e32 v62, vcc_lo, 0, v62, vcc_lo
	s_add_u32 s14, s8, -1
	s_addc_u32 s15, s9, -1
	s_mov_b64 s[22:23], 0
	s_mov_b32 s21, 0
                                        ; implicit-def: $sgpr24
	s_set_inst_prefetch_distance 0x1
	s_branch .LBB1171_69
	.p2align	6
.LBB1171_67:                            ;   in Loop: Header=BB1171_69 Depth=1
	global_load_u16 v63, v[59:60], off
	global_load_u16 v64, v[61:62], off
	v_add_co_u32 v59, vcc_lo, v59, 2
	v_add_co_ci_u32_e32 v60, vcc_lo, 0, v60, vcc_lo
	v_add_co_u32 v61, s0, v61, 2
	s_delay_alu instid0(VALU_DEP_1)
	v_add_co_ci_u32_e64 v62, s0, 0, v62, s0
	s_add_u32 s22, s22, 1
	s_addc_u32 s23, s23, 0
	s_and_not1_b32 s0, s24, exec_lo
	s_waitcnt vmcnt(1)
	v_lshlrev_b32_e32 v63, 16, v63
	s_waitcnt vmcnt(0)
	v_lshlrev_b32_e32 v64, 16, v64
	s_delay_alu instid0(VALU_DEP_1) | instskip(SKIP_1) | instid1(SALU_CYCLE_1)
	v_cmp_neq_f32_e32 vcc_lo, v64, v63
	s_and_b32 s24, vcc_lo, exec_lo
	s_or_b32 s24, s0, s24
.LBB1171_68:                            ;   in Loop: Header=BB1171_69 Depth=1
	v_dual_mov_b32 v64, s23 :: v_dual_mov_b32 v63, s22
	s_and_b32 s0, exec_lo, s24
	s_delay_alu instid0(SALU_CYCLE_1) | instskip(NEXT) | instid1(SALU_CYCLE_1)
	s_or_b32 s21, s0, s21
	s_and_not1_b32 exec_lo, exec_lo, s21
	s_cbranch_execz .LBB1171_74
.LBB1171_69:                            ; =>This Inner Loop Header: Depth=1
	s_or_b32 s24, s24, exec_lo
	s_cmp_eq_u64 s[14:15], s[22:23]
	s_cbranch_scc0 .LBB1171_67
; %bb.70:                               ;   in Loop: Header=BB1171_69 Depth=1
	s_mov_b64 s[22:23], s[8:9]
                                        ; implicit-def: $vgpr59_vgpr60
                                        ; implicit-def: $vgpr61_vgpr62
	s_branch .LBB1171_68
.LBB1171_71:
	s_mov_b32 s1, 0
                                        ; implicit-def: $sgpr0
                                        ; implicit-def: $vgpr165_vgpr166
                                        ; implicit-def: $vgpr163_vgpr164
                                        ; implicit-def: $vgpr161_vgpr162
                                        ; implicit-def: $vgpr159_vgpr160
                                        ; implicit-def: $vgpr157_vgpr158
                                        ; implicit-def: $vgpr155_vgpr156
                                        ; implicit-def: $vgpr153_vgpr154
                                        ; implicit-def: $vgpr151_vgpr152
                                        ; implicit-def: $vgpr149_vgpr150
                                        ; implicit-def: $vgpr147_vgpr148
                                        ; implicit-def: $vgpr145_vgpr146
                                        ; implicit-def: $vgpr143_vgpr144
                                        ; implicit-def: $vgpr141_vgpr142
                                        ; implicit-def: $vgpr139_vgpr140
                                        ; implicit-def: $vgpr137_vgpr138
                                        ; implicit-def: $vgpr135_vgpr136
                                        ; implicit-def: $vgpr133_vgpr134
                                        ; implicit-def: $vgpr131_vgpr132
                                        ; implicit-def: $vgpr129_vgpr130
                                        ; implicit-def: $vgpr127_vgpr128
                                        ; implicit-def: $vgpr125_vgpr126
                                        ; implicit-def: $vgpr123_vgpr124
                                        ; implicit-def: $vgpr121_vgpr122
                                        ; implicit-def: $vgpr119_vgpr120
                                        ; implicit-def: $vgpr117_vgpr118
                                        ; implicit-def: $vgpr113_vgpr114
                                        ; implicit-def: $vgpr115_vgpr116
                                        ; implicit-def: $vgpr111_vgpr112
                                        ; implicit-def: $vgpr181_vgpr182
                                        ; implicit-def: $vgpr167_vgpr168
                                        ; implicit-def: $vgpr169_vgpr170
                                        ; implicit-def: $vgpr171_vgpr172
                                        ; implicit-def: $vgpr173_vgpr174
                                        ; implicit-def: $vgpr175_vgpr176
                                        ; implicit-def: $vgpr177_vgpr178
                                        ; implicit-def: $vgpr179_vgpr180
                                        ; implicit-def: $vgpr183_vgpr184
                                        ; implicit-def: $vgpr185_vgpr186
                                        ; implicit-def: $vgpr187_vgpr188
                                        ; implicit-def: $vgpr189_vgpr190
                                        ; implicit-def: $vgpr191_vgpr192
                                        ; implicit-def: $vgpr193_vgpr194
                                        ; implicit-def: $vgpr57_vgpr58_vgpr59_vgpr60
                                        ; implicit-def: $vgpr61_vgpr62_vgpr63_vgpr64
                                        ; implicit-def: $vgpr65_vgpr66_vgpr67_vgpr68
                                        ; implicit-def: $vgpr69_vgpr70_vgpr71_vgpr72
                                        ; implicit-def: $vgpr73_vgpr74_vgpr75_vgpr76
                                        ; implicit-def: $vgpr77_vgpr78_vgpr79_vgpr80
                                        ; implicit-def: $vgpr81_vgpr82_vgpr83_vgpr84
                                        ; implicit-def: $vgpr85_vgpr86_vgpr87_vgpr88
                                        ; implicit-def: $vgpr89_vgpr90_vgpr91_vgpr92
                                        ; implicit-def: $vgpr93_vgpr94_vgpr95_vgpr96
                                        ; implicit-def: $vgpr97_vgpr98_vgpr99_vgpr100
                                        ; implicit-def: $vgpr101_vgpr102_vgpr103_vgpr104
                                        ; implicit-def: $vgpr105_vgpr106_vgpr107_vgpr108
	s_cbranch_execnz .LBB1171_655
	s_branch .LBB1171_1243
.LBB1171_72:
	s_mov_b32 s1, 0
                                        ; implicit-def: $sgpr0
                                        ; implicit-def: $vgpr165_vgpr166
                                        ; implicit-def: $vgpr163_vgpr164
                                        ; implicit-def: $vgpr161_vgpr162
                                        ; implicit-def: $vgpr159_vgpr160
                                        ; implicit-def: $vgpr157_vgpr158
                                        ; implicit-def: $vgpr155_vgpr156
                                        ; implicit-def: $vgpr153_vgpr154
                                        ; implicit-def: $vgpr151_vgpr152
                                        ; implicit-def: $vgpr149_vgpr150
                                        ; implicit-def: $vgpr147_vgpr148
                                        ; implicit-def: $vgpr145_vgpr146
                                        ; implicit-def: $vgpr143_vgpr144
                                        ; implicit-def: $vgpr141_vgpr142
                                        ; implicit-def: $vgpr139_vgpr140
                                        ; implicit-def: $vgpr137_vgpr138
                                        ; implicit-def: $vgpr135_vgpr136
                                        ; implicit-def: $vgpr133_vgpr134
                                        ; implicit-def: $vgpr131_vgpr132
                                        ; implicit-def: $vgpr129_vgpr130
                                        ; implicit-def: $vgpr127_vgpr128
                                        ; implicit-def: $vgpr125_vgpr126
                                        ; implicit-def: $vgpr123_vgpr124
                                        ; implicit-def: $vgpr121_vgpr122
                                        ; implicit-def: $vgpr119_vgpr120
                                        ; implicit-def: $vgpr117_vgpr118
                                        ; implicit-def: $vgpr113_vgpr114
                                        ; implicit-def: $vgpr115_vgpr116
                                        ; implicit-def: $vgpr111_vgpr112
	s_cbranch_execnz .LBB1171_332
.LBB1171_73:
                                        ; implicit-def: $vgpr181_vgpr182
                                        ; implicit-def: $vgpr167_vgpr168
                                        ; implicit-def: $vgpr169_vgpr170
                                        ; implicit-def: $vgpr171_vgpr172
                                        ; implicit-def: $vgpr173_vgpr174
                                        ; implicit-def: $vgpr175_vgpr176
                                        ; implicit-def: $vgpr177_vgpr178
                                        ; implicit-def: $vgpr179_vgpr180
                                        ; implicit-def: $vgpr183_vgpr184
                                        ; implicit-def: $vgpr185_vgpr186
                                        ; implicit-def: $vgpr187_vgpr188
                                        ; implicit-def: $vgpr189_vgpr190
                                        ; implicit-def: $vgpr191_vgpr192
                                        ; implicit-def: $vgpr193_vgpr194
                                        ; implicit-def: $vgpr57_vgpr58_vgpr59_vgpr60
                                        ; implicit-def: $vgpr61_vgpr62_vgpr63_vgpr64
                                        ; implicit-def: $vgpr65_vgpr66_vgpr67_vgpr68
                                        ; implicit-def: $vgpr69_vgpr70_vgpr71_vgpr72
                                        ; implicit-def: $vgpr73_vgpr74_vgpr75_vgpr76
                                        ; implicit-def: $vgpr77_vgpr78_vgpr79_vgpr80
                                        ; implicit-def: $vgpr81_vgpr82_vgpr83_vgpr84
                                        ; implicit-def: $vgpr85_vgpr86_vgpr87_vgpr88
                                        ; implicit-def: $vgpr89_vgpr90_vgpr91_vgpr92
                                        ; implicit-def: $vgpr93_vgpr94_vgpr95_vgpr96
                                        ; implicit-def: $vgpr97_vgpr98_vgpr99_vgpr100
                                        ; implicit-def: $vgpr101_vgpr102_vgpr103_vgpr104
                                        ; implicit-def: $vgpr105_vgpr106_vgpr107_vgpr108
	s_branch .LBB1171_1243
.LBB1171_74:
	s_set_inst_prefetch_distance 0x2
	s_or_b32 exec_lo, exec_lo, s21
	v_cmp_gt_i64_e32 vcc_lo, s[8:9], v[63:64]
	s_mov_b32 s0, 0
	s_delay_alu instid0(SALU_CYCLE_1)
	v_mov_b32_e32 v112, s0
	v_cndmask_b32_e64 v111, 0, 1, vcc_lo
.LBB1171_75:
	s_or_b32 exec_lo, exec_lo, s3
.LBB1171_76:
	v_mul_lo_u32 v61, v6, s8
	v_mul_lo_u32 v62, v5, s9
	v_mad_u64_u32 v[59:60], null, v5, s8, 0
	v_cndmask_b32_e64 v65, 0, 1, s1
	v_dual_mov_b32 v116, v114 :: v_dual_mov_b32 v115, v113
	s_and_not1_b32 vcc_lo, exec_lo, s1
	s_delay_alu instid0(VALU_DEP_3) | instskip(NEXT) | instid1(VALU_DEP_1)
	v_add3_u32 v60, v60, v62, v61
	v_lshlrev_b64 v[59:60], 1, v[59:60]
	s_cbranch_vccnz .LBB1171_85
; %bb.77:
	s_delay_alu instid0(VALU_DEP_1) | instskip(NEXT) | instid1(VALU_DEP_2)
	v_add_co_u32 v63, vcc_lo, s10, v59
	v_add_co_ci_u32_e32 v64, vcc_lo, s11, v60, vcc_lo
	v_add_co_u32 v61, vcc_lo, s10, v57
	v_add_co_ci_u32_e32 v62, vcc_lo, s11, v58, vcc_lo
	s_mov_b32 s1, exec_lo
	s_clause 0x1
	global_load_u16 v57, v[63:64], off
	global_load_u16 v58, v[61:62], off
	v_mov_b32_e32 v115, 1
	s_waitcnt vmcnt(1)
	v_dual_mov_b32 v116, 0 :: v_dual_lshlrev_b32 v57, 16, v57
	s_waitcnt vmcnt(0)
	v_lshlrev_b32_e32 v58, 16, v58
	s_delay_alu instid0(VALU_DEP_1)
	v_cmpx_eq_f32_e32 v58, v57
	s_cbranch_execz .LBB1171_84
; %bb.78:
	v_add_co_u32 v57, vcc_lo, v63, 2
	v_add_co_ci_u32_e32 v58, vcc_lo, 0, v64, vcc_lo
	v_add_co_u32 v61, vcc_lo, v61, 2
	v_add_co_ci_u32_e32 v62, vcc_lo, 0, v62, vcc_lo
	s_add_u32 s14, s8, -1
	s_addc_u32 s15, s9, -1
	s_mov_b64 s[22:23], 0
	s_mov_b32 s3, 0
                                        ; implicit-def: $sgpr21
	s_set_inst_prefetch_distance 0x1
	s_branch .LBB1171_81
	.p2align	6
.LBB1171_79:                            ;   in Loop: Header=BB1171_81 Depth=1
	global_load_u16 v63, v[57:58], off
	global_load_u16 v64, v[61:62], off
	v_add_co_u32 v57, vcc_lo, v57, 2
	v_add_co_ci_u32_e32 v58, vcc_lo, 0, v58, vcc_lo
	v_add_co_u32 v61, s0, v61, 2
	s_delay_alu instid0(VALU_DEP_1)
	v_add_co_ci_u32_e64 v62, s0, 0, v62, s0
	s_add_u32 s22, s22, 1
	s_addc_u32 s23, s23, 0
	s_and_not1_b32 s0, s21, exec_lo
	s_waitcnt vmcnt(1)
	v_lshlrev_b32_e32 v63, 16, v63
	s_waitcnt vmcnt(0)
	v_lshlrev_b32_e32 v64, 16, v64
	s_delay_alu instid0(VALU_DEP_1) | instskip(SKIP_1) | instid1(SALU_CYCLE_1)
	v_cmp_neq_f32_e32 vcc_lo, v64, v63
	s_and_b32 s21, vcc_lo, exec_lo
	s_or_b32 s21, s0, s21
.LBB1171_80:                            ;   in Loop: Header=BB1171_81 Depth=1
	v_dual_mov_b32 v64, s23 :: v_dual_mov_b32 v63, s22
	s_and_b32 s0, exec_lo, s21
	s_delay_alu instid0(SALU_CYCLE_1) | instskip(NEXT) | instid1(SALU_CYCLE_1)
	s_or_b32 s3, s0, s3
	s_and_not1_b32 exec_lo, exec_lo, s3
	s_cbranch_execz .LBB1171_83
.LBB1171_81:                            ; =>This Inner Loop Header: Depth=1
	s_or_b32 s21, s21, exec_lo
	s_cmp_eq_u64 s[14:15], s[22:23]
	s_cbranch_scc0 .LBB1171_79
; %bb.82:                               ;   in Loop: Header=BB1171_81 Depth=1
	s_mov_b64 s[22:23], s[8:9]
                                        ; implicit-def: $vgpr57_vgpr58
                                        ; implicit-def: $vgpr61_vgpr62
	s_branch .LBB1171_80
.LBB1171_83:
	s_set_inst_prefetch_distance 0x2
	s_or_b32 exec_lo, exec_lo, s3
	v_cmp_gt_i64_e32 vcc_lo, s[8:9], v[63:64]
	s_mov_b32 s0, 0
	s_delay_alu instid0(SALU_CYCLE_1)
	v_mov_b32_e32 v116, s0
	v_cndmask_b32_e64 v115, 0, 1, vcc_lo
.LBB1171_84:
	s_or_b32 exec_lo, exec_lo, s1
.LBB1171_85:
	v_mul_lo_u32 v61, v12, s8
	v_mul_lo_u32 v62, v11, s9
	v_mad_u64_u32 v[57:58], null, v11, s8, 0
	v_cmp_ne_u32_e32 vcc_lo, 1, v65
	s_delay_alu instid0(VALU_DEP_2) | instskip(NEXT) | instid1(VALU_DEP_1)
	v_add3_u32 v58, v58, v62, v61
	v_lshlrev_b64 v[57:58], 1, v[57:58]
	s_cbranch_vccnz .LBB1171_94
; %bb.86:
	s_delay_alu instid0(VALU_DEP_1) | instskip(NEXT) | instid1(VALU_DEP_2)
	v_add_co_u32 v63, vcc_lo, s10, v57
	v_add_co_ci_u32_e32 v64, vcc_lo, s11, v58, vcc_lo
	v_add_co_u32 v61, vcc_lo, s10, v59
	v_add_co_ci_u32_e32 v62, vcc_lo, s11, v60, vcc_lo
	s_mov_b32 s1, exec_lo
	s_clause 0x1
	global_load_u16 v59, v[63:64], off
	global_load_u16 v60, v[61:62], off
	v_mov_b32_e32 v113, 1
	s_waitcnt vmcnt(1)
	v_dual_mov_b32 v114, 0 :: v_dual_lshlrev_b32 v59, 16, v59
	s_waitcnt vmcnt(0)
	v_lshlrev_b32_e32 v60, 16, v60
	s_delay_alu instid0(VALU_DEP_1)
	v_cmpx_eq_f32_e32 v60, v59
	s_cbranch_execz .LBB1171_93
; %bb.87:
	v_add_co_u32 v59, vcc_lo, v63, 2
	v_add_co_ci_u32_e32 v60, vcc_lo, 0, v64, vcc_lo
	v_add_co_u32 v61, vcc_lo, v61, 2
	v_add_co_ci_u32_e32 v62, vcc_lo, 0, v62, vcc_lo
	s_add_u32 s14, s8, -1
	s_addc_u32 s15, s9, -1
	s_mov_b64 s[22:23], 0
	s_mov_b32 s3, 0
                                        ; implicit-def: $sgpr21
	s_set_inst_prefetch_distance 0x1
	s_branch .LBB1171_90
	.p2align	6
.LBB1171_88:                            ;   in Loop: Header=BB1171_90 Depth=1
	global_load_u16 v63, v[59:60], off
	global_load_u16 v64, v[61:62], off
	v_add_co_u32 v59, vcc_lo, v59, 2
	v_add_co_ci_u32_e32 v60, vcc_lo, 0, v60, vcc_lo
	v_add_co_u32 v61, s0, v61, 2
	s_delay_alu instid0(VALU_DEP_1)
	v_add_co_ci_u32_e64 v62, s0, 0, v62, s0
	s_add_u32 s22, s22, 1
	s_addc_u32 s23, s23, 0
	s_and_not1_b32 s0, s21, exec_lo
	s_waitcnt vmcnt(1)
	v_lshlrev_b32_e32 v63, 16, v63
	s_waitcnt vmcnt(0)
	v_lshlrev_b32_e32 v64, 16, v64
	s_delay_alu instid0(VALU_DEP_1) | instskip(SKIP_1) | instid1(SALU_CYCLE_1)
	v_cmp_neq_f32_e32 vcc_lo, v64, v63
	s_and_b32 s21, vcc_lo, exec_lo
	s_or_b32 s21, s0, s21
.LBB1171_89:                            ;   in Loop: Header=BB1171_90 Depth=1
	v_dual_mov_b32 v64, s23 :: v_dual_mov_b32 v63, s22
	s_and_b32 s0, exec_lo, s21
	s_delay_alu instid0(SALU_CYCLE_1) | instskip(NEXT) | instid1(SALU_CYCLE_1)
	s_or_b32 s3, s0, s3
	s_and_not1_b32 exec_lo, exec_lo, s3
	s_cbranch_execz .LBB1171_92
.LBB1171_90:                            ; =>This Inner Loop Header: Depth=1
	s_or_b32 s21, s21, exec_lo
	s_cmp_eq_u64 s[14:15], s[22:23]
	s_cbranch_scc0 .LBB1171_88
; %bb.91:                               ;   in Loop: Header=BB1171_90 Depth=1
	s_mov_b64 s[22:23], s[8:9]
                                        ; implicit-def: $vgpr59_vgpr60
                                        ; implicit-def: $vgpr61_vgpr62
	s_branch .LBB1171_89
.LBB1171_92:
	s_set_inst_prefetch_distance 0x2
	s_or_b32 exec_lo, exec_lo, s3
	v_cmp_gt_i64_e32 vcc_lo, s[8:9], v[63:64]
	s_mov_b32 s0, 0
	s_delay_alu instid0(SALU_CYCLE_1)
	v_mov_b32_e32 v114, s0
	v_cndmask_b32_e64 v113, 0, 1, vcc_lo
.LBB1171_93:
	s_or_b32 exec_lo, exec_lo, s1
.LBB1171_94:
	v_mul_lo_u32 v61, v10, s8
	v_mul_lo_u32 v62, v9, s9
	v_mad_u64_u32 v[59:60], null, v9, s8, 0
	v_mov_b32_e32 v119, 0
	v_mov_b32_e32 v120, 0
	v_cmp_ne_u32_e32 vcc_lo, 1, v65
	s_delay_alu instid0(VALU_DEP_2) | instskip(SKIP_1) | instid1(VALU_DEP_1)
	v_dual_mov_b32 v117, v119 :: v_dual_mov_b32 v118, v120
	v_add3_u32 v60, v60, v62, v61
	v_lshlrev_b64 v[59:60], 1, v[59:60]
	s_cbranch_vccnz .LBB1171_103
; %bb.95:
	s_delay_alu instid0(VALU_DEP_1) | instskip(NEXT) | instid1(VALU_DEP_2)
	v_add_co_u32 v63, vcc_lo, s10, v59
	v_add_co_ci_u32_e32 v64, vcc_lo, s11, v60, vcc_lo
	v_add_co_u32 v61, vcc_lo, s10, v57
	v_add_co_ci_u32_e32 v62, vcc_lo, s11, v58, vcc_lo
	s_mov_b32 s1, exec_lo
	s_clause 0x1
	global_load_u16 v57, v[63:64], off
	global_load_u16 v58, v[61:62], off
	v_mov_b32_e32 v117, 1
	s_waitcnt vmcnt(1)
	v_dual_mov_b32 v118, 0 :: v_dual_lshlrev_b32 v57, 16, v57
	s_waitcnt vmcnt(0)
	v_lshlrev_b32_e32 v58, 16, v58
	s_delay_alu instid0(VALU_DEP_1)
	v_cmpx_eq_f32_e32 v58, v57
	s_cbranch_execz .LBB1171_102
; %bb.96:
	v_add_co_u32 v57, vcc_lo, v63, 2
	v_add_co_ci_u32_e32 v58, vcc_lo, 0, v64, vcc_lo
	v_add_co_u32 v61, vcc_lo, v61, 2
	v_add_co_ci_u32_e32 v62, vcc_lo, 0, v62, vcc_lo
	s_add_u32 s14, s8, -1
	s_addc_u32 s15, s9, -1
	s_mov_b64 s[22:23], 0
	s_mov_b32 s3, 0
                                        ; implicit-def: $sgpr21
	s_set_inst_prefetch_distance 0x1
	s_branch .LBB1171_99
	.p2align	6
.LBB1171_97:                            ;   in Loop: Header=BB1171_99 Depth=1
	global_load_u16 v63, v[57:58], off
	global_load_u16 v64, v[61:62], off
	v_add_co_u32 v57, vcc_lo, v57, 2
	v_add_co_ci_u32_e32 v58, vcc_lo, 0, v58, vcc_lo
	v_add_co_u32 v61, s0, v61, 2
	s_delay_alu instid0(VALU_DEP_1)
	v_add_co_ci_u32_e64 v62, s0, 0, v62, s0
	s_add_u32 s22, s22, 1
	s_addc_u32 s23, s23, 0
	s_and_not1_b32 s0, s21, exec_lo
	s_waitcnt vmcnt(1)
	v_lshlrev_b32_e32 v63, 16, v63
	s_waitcnt vmcnt(0)
	v_lshlrev_b32_e32 v64, 16, v64
	s_delay_alu instid0(VALU_DEP_1) | instskip(SKIP_1) | instid1(SALU_CYCLE_1)
	v_cmp_neq_f32_e32 vcc_lo, v64, v63
	s_and_b32 s21, vcc_lo, exec_lo
	s_or_b32 s21, s0, s21
.LBB1171_98:                            ;   in Loop: Header=BB1171_99 Depth=1
	v_dual_mov_b32 v64, s23 :: v_dual_mov_b32 v63, s22
	s_and_b32 s0, exec_lo, s21
	s_delay_alu instid0(SALU_CYCLE_1) | instskip(NEXT) | instid1(SALU_CYCLE_1)
	s_or_b32 s3, s0, s3
	s_and_not1_b32 exec_lo, exec_lo, s3
	s_cbranch_execz .LBB1171_101
.LBB1171_99:                            ; =>This Inner Loop Header: Depth=1
	s_or_b32 s21, s21, exec_lo
	s_cmp_eq_u64 s[14:15], s[22:23]
	s_cbranch_scc0 .LBB1171_97
; %bb.100:                              ;   in Loop: Header=BB1171_99 Depth=1
	s_mov_b64 s[22:23], s[8:9]
                                        ; implicit-def: $vgpr57_vgpr58
                                        ; implicit-def: $vgpr61_vgpr62
	s_branch .LBB1171_98
.LBB1171_101:
	s_set_inst_prefetch_distance 0x2
	s_or_b32 exec_lo, exec_lo, s3
	v_cmp_gt_i64_e32 vcc_lo, s[8:9], v[63:64]
	s_mov_b32 s0, 0
	s_delay_alu instid0(SALU_CYCLE_1)
	v_mov_b32_e32 v118, s0
	v_cndmask_b32_e64 v117, 0, 1, vcc_lo
.LBB1171_102:
	s_or_b32 exec_lo, exec_lo, s1
.LBB1171_103:
	v_mul_lo_u32 v61, v56, s8
	v_mul_lo_u32 v62, v55, s9
	v_mad_u64_u32 v[57:58], null, v55, s8, 0
	v_cmp_ne_u32_e32 vcc_lo, 1, v65
	s_delay_alu instid0(VALU_DEP_2) | instskip(NEXT) | instid1(VALU_DEP_1)
	v_add3_u32 v58, v58, v62, v61
	v_lshlrev_b64 v[57:58], 1, v[57:58]
	s_cbranch_vccnz .LBB1171_112
; %bb.104:
	s_delay_alu instid0(VALU_DEP_1) | instskip(NEXT) | instid1(VALU_DEP_2)
	v_add_co_u32 v63, vcc_lo, s10, v57
	v_add_co_ci_u32_e32 v64, vcc_lo, s11, v58, vcc_lo
	v_add_co_u32 v61, vcc_lo, s10, v59
	v_add_co_ci_u32_e32 v62, vcc_lo, s11, v60, vcc_lo
	s_mov_b32 s1, exec_lo
	s_clause 0x1
	global_load_u16 v59, v[63:64], off
	global_load_u16 v60, v[61:62], off
	v_mov_b32_e32 v119, 1
	s_waitcnt vmcnt(1)
	v_dual_mov_b32 v120, 0 :: v_dual_lshlrev_b32 v59, 16, v59
	s_waitcnt vmcnt(0)
	v_lshlrev_b32_e32 v60, 16, v60
	s_delay_alu instid0(VALU_DEP_1)
	v_cmpx_eq_f32_e32 v60, v59
	s_cbranch_execz .LBB1171_111
; %bb.105:
	v_add_co_u32 v59, vcc_lo, v63, 2
	v_add_co_ci_u32_e32 v60, vcc_lo, 0, v64, vcc_lo
	v_add_co_u32 v61, vcc_lo, v61, 2
	v_add_co_ci_u32_e32 v62, vcc_lo, 0, v62, vcc_lo
	s_add_u32 s14, s8, -1
	s_addc_u32 s15, s9, -1
	s_mov_b64 s[22:23], 0
	s_mov_b32 s3, 0
                                        ; implicit-def: $sgpr21
	s_set_inst_prefetch_distance 0x1
	s_branch .LBB1171_108
	.p2align	6
.LBB1171_106:                           ;   in Loop: Header=BB1171_108 Depth=1
	global_load_u16 v63, v[59:60], off
	global_load_u16 v64, v[61:62], off
	v_add_co_u32 v59, vcc_lo, v59, 2
	v_add_co_ci_u32_e32 v60, vcc_lo, 0, v60, vcc_lo
	v_add_co_u32 v61, s0, v61, 2
	s_delay_alu instid0(VALU_DEP_1)
	v_add_co_ci_u32_e64 v62, s0, 0, v62, s0
	s_add_u32 s22, s22, 1
	s_addc_u32 s23, s23, 0
	s_and_not1_b32 s0, s21, exec_lo
	s_waitcnt vmcnt(1)
	v_lshlrev_b32_e32 v63, 16, v63
	s_waitcnt vmcnt(0)
	v_lshlrev_b32_e32 v64, 16, v64
	s_delay_alu instid0(VALU_DEP_1) | instskip(SKIP_1) | instid1(SALU_CYCLE_1)
	v_cmp_neq_f32_e32 vcc_lo, v64, v63
	s_and_b32 s21, vcc_lo, exec_lo
	s_or_b32 s21, s0, s21
.LBB1171_107:                           ;   in Loop: Header=BB1171_108 Depth=1
	v_dual_mov_b32 v64, s23 :: v_dual_mov_b32 v63, s22
	s_and_b32 s0, exec_lo, s21
	s_delay_alu instid0(SALU_CYCLE_1) | instskip(NEXT) | instid1(SALU_CYCLE_1)
	s_or_b32 s3, s0, s3
	s_and_not1_b32 exec_lo, exec_lo, s3
	s_cbranch_execz .LBB1171_110
.LBB1171_108:                           ; =>This Inner Loop Header: Depth=1
	s_or_b32 s21, s21, exec_lo
	s_cmp_eq_u64 s[14:15], s[22:23]
	s_cbranch_scc0 .LBB1171_106
; %bb.109:                              ;   in Loop: Header=BB1171_108 Depth=1
	s_mov_b64 s[22:23], s[8:9]
                                        ; implicit-def: $vgpr59_vgpr60
                                        ; implicit-def: $vgpr61_vgpr62
	s_branch .LBB1171_107
.LBB1171_110:
	s_set_inst_prefetch_distance 0x2
	s_or_b32 exec_lo, exec_lo, s3
	v_cmp_gt_i64_e32 vcc_lo, s[8:9], v[63:64]
	s_mov_b32 s0, 0
	s_delay_alu instid0(SALU_CYCLE_1)
	v_mov_b32_e32 v120, s0
	v_cndmask_b32_e64 v119, 0, 1, vcc_lo
.LBB1171_111:
	s_or_b32 exec_lo, exec_lo, s1
.LBB1171_112:
	v_mul_lo_u32 v61, v54, s8
	v_mul_lo_u32 v62, v53, s9
	v_mad_u64_u32 v[59:60], null, v53, s8, 0
	v_mov_b32_e32 v123, 0
	v_mov_b32_e32 v124, 0
	v_cmp_ne_u32_e32 vcc_lo, 1, v65
	s_delay_alu instid0(VALU_DEP_2) | instskip(SKIP_1) | instid1(VALU_DEP_1)
	v_dual_mov_b32 v121, v123 :: v_dual_mov_b32 v122, v124
	v_add3_u32 v60, v60, v62, v61
	v_lshlrev_b64 v[59:60], 1, v[59:60]
	s_cbranch_vccnz .LBB1171_121
; %bb.113:
	s_delay_alu instid0(VALU_DEP_1) | instskip(NEXT) | instid1(VALU_DEP_2)
	v_add_co_u32 v63, vcc_lo, s10, v59
	v_add_co_ci_u32_e32 v64, vcc_lo, s11, v60, vcc_lo
	v_add_co_u32 v61, vcc_lo, s10, v57
	v_add_co_ci_u32_e32 v62, vcc_lo, s11, v58, vcc_lo
	s_mov_b32 s1, exec_lo
	s_clause 0x1
	global_load_u16 v57, v[63:64], off
	global_load_u16 v58, v[61:62], off
	v_mov_b32_e32 v121, 1
	s_waitcnt vmcnt(1)
	v_dual_mov_b32 v122, 0 :: v_dual_lshlrev_b32 v57, 16, v57
	s_waitcnt vmcnt(0)
	v_lshlrev_b32_e32 v58, 16, v58
	s_delay_alu instid0(VALU_DEP_1)
	v_cmpx_eq_f32_e32 v58, v57
	s_cbranch_execz .LBB1171_120
; %bb.114:
	v_add_co_u32 v57, vcc_lo, v63, 2
	v_add_co_ci_u32_e32 v58, vcc_lo, 0, v64, vcc_lo
	v_add_co_u32 v61, vcc_lo, v61, 2
	v_add_co_ci_u32_e32 v62, vcc_lo, 0, v62, vcc_lo
	s_add_u32 s14, s8, -1
	s_addc_u32 s15, s9, -1
	s_mov_b64 s[22:23], 0
	s_mov_b32 s3, 0
                                        ; implicit-def: $sgpr21
	s_set_inst_prefetch_distance 0x1
	s_branch .LBB1171_117
	.p2align	6
.LBB1171_115:                           ;   in Loop: Header=BB1171_117 Depth=1
	global_load_u16 v63, v[57:58], off
	global_load_u16 v64, v[61:62], off
	v_add_co_u32 v57, vcc_lo, v57, 2
	v_add_co_ci_u32_e32 v58, vcc_lo, 0, v58, vcc_lo
	v_add_co_u32 v61, s0, v61, 2
	s_delay_alu instid0(VALU_DEP_1)
	v_add_co_ci_u32_e64 v62, s0, 0, v62, s0
	s_add_u32 s22, s22, 1
	s_addc_u32 s23, s23, 0
	s_and_not1_b32 s0, s21, exec_lo
	s_waitcnt vmcnt(1)
	v_lshlrev_b32_e32 v63, 16, v63
	s_waitcnt vmcnt(0)
	v_lshlrev_b32_e32 v64, 16, v64
	s_delay_alu instid0(VALU_DEP_1) | instskip(SKIP_1) | instid1(SALU_CYCLE_1)
	v_cmp_neq_f32_e32 vcc_lo, v64, v63
	s_and_b32 s21, vcc_lo, exec_lo
	s_or_b32 s21, s0, s21
.LBB1171_116:                           ;   in Loop: Header=BB1171_117 Depth=1
	v_dual_mov_b32 v64, s23 :: v_dual_mov_b32 v63, s22
	s_and_b32 s0, exec_lo, s21
	s_delay_alu instid0(SALU_CYCLE_1) | instskip(NEXT) | instid1(SALU_CYCLE_1)
	s_or_b32 s3, s0, s3
	s_and_not1_b32 exec_lo, exec_lo, s3
	s_cbranch_execz .LBB1171_119
.LBB1171_117:                           ; =>This Inner Loop Header: Depth=1
	s_or_b32 s21, s21, exec_lo
	s_cmp_eq_u64 s[14:15], s[22:23]
	s_cbranch_scc0 .LBB1171_115
; %bb.118:                              ;   in Loop: Header=BB1171_117 Depth=1
	s_mov_b64 s[22:23], s[8:9]
                                        ; implicit-def: $vgpr57_vgpr58
                                        ; implicit-def: $vgpr61_vgpr62
	s_branch .LBB1171_116
.LBB1171_119:
	s_set_inst_prefetch_distance 0x2
	s_or_b32 exec_lo, exec_lo, s3
	v_cmp_gt_i64_e32 vcc_lo, s[8:9], v[63:64]
	s_mov_b32 s0, 0
	s_delay_alu instid0(SALU_CYCLE_1)
	v_mov_b32_e32 v122, s0
	v_cndmask_b32_e64 v121, 0, 1, vcc_lo
.LBB1171_120:
	s_or_b32 exec_lo, exec_lo, s1
.LBB1171_121:
	v_mul_lo_u32 v61, v52, s8
	v_mul_lo_u32 v62, v51, s9
	v_mad_u64_u32 v[57:58], null, v51, s8, 0
	v_cmp_ne_u32_e32 vcc_lo, 1, v65
	s_delay_alu instid0(VALU_DEP_2) | instskip(NEXT) | instid1(VALU_DEP_1)
	v_add3_u32 v58, v58, v62, v61
	v_lshlrev_b64 v[57:58], 1, v[57:58]
	s_cbranch_vccnz .LBB1171_130
; %bb.122:
	s_delay_alu instid0(VALU_DEP_1) | instskip(NEXT) | instid1(VALU_DEP_2)
	v_add_co_u32 v63, vcc_lo, s10, v57
	v_add_co_ci_u32_e32 v64, vcc_lo, s11, v58, vcc_lo
	v_add_co_u32 v61, vcc_lo, s10, v59
	v_add_co_ci_u32_e32 v62, vcc_lo, s11, v60, vcc_lo
	s_mov_b32 s1, exec_lo
	s_clause 0x1
	global_load_u16 v59, v[63:64], off
	global_load_u16 v60, v[61:62], off
	v_mov_b32_e32 v123, 1
	s_waitcnt vmcnt(1)
	v_dual_mov_b32 v124, 0 :: v_dual_lshlrev_b32 v59, 16, v59
	s_waitcnt vmcnt(0)
	v_lshlrev_b32_e32 v60, 16, v60
	s_delay_alu instid0(VALU_DEP_1)
	v_cmpx_eq_f32_e32 v60, v59
	s_cbranch_execz .LBB1171_129
; %bb.123:
	v_add_co_u32 v59, vcc_lo, v63, 2
	v_add_co_ci_u32_e32 v60, vcc_lo, 0, v64, vcc_lo
	v_add_co_u32 v61, vcc_lo, v61, 2
	v_add_co_ci_u32_e32 v62, vcc_lo, 0, v62, vcc_lo
	s_add_u32 s14, s8, -1
	s_addc_u32 s15, s9, -1
	s_mov_b64 s[22:23], 0
	s_mov_b32 s3, 0
                                        ; implicit-def: $sgpr21
	s_set_inst_prefetch_distance 0x1
	s_branch .LBB1171_126
	.p2align	6
.LBB1171_124:                           ;   in Loop: Header=BB1171_126 Depth=1
	global_load_u16 v63, v[59:60], off
	global_load_u16 v64, v[61:62], off
	v_add_co_u32 v59, vcc_lo, v59, 2
	v_add_co_ci_u32_e32 v60, vcc_lo, 0, v60, vcc_lo
	v_add_co_u32 v61, s0, v61, 2
	s_delay_alu instid0(VALU_DEP_1)
	v_add_co_ci_u32_e64 v62, s0, 0, v62, s0
	s_add_u32 s22, s22, 1
	s_addc_u32 s23, s23, 0
	s_and_not1_b32 s0, s21, exec_lo
	s_waitcnt vmcnt(1)
	v_lshlrev_b32_e32 v63, 16, v63
	s_waitcnt vmcnt(0)
	v_lshlrev_b32_e32 v64, 16, v64
	s_delay_alu instid0(VALU_DEP_1) | instskip(SKIP_1) | instid1(SALU_CYCLE_1)
	v_cmp_neq_f32_e32 vcc_lo, v64, v63
	s_and_b32 s21, vcc_lo, exec_lo
	s_or_b32 s21, s0, s21
.LBB1171_125:                           ;   in Loop: Header=BB1171_126 Depth=1
	v_dual_mov_b32 v64, s23 :: v_dual_mov_b32 v63, s22
	s_and_b32 s0, exec_lo, s21
	s_delay_alu instid0(SALU_CYCLE_1) | instskip(NEXT) | instid1(SALU_CYCLE_1)
	s_or_b32 s3, s0, s3
	s_and_not1_b32 exec_lo, exec_lo, s3
	s_cbranch_execz .LBB1171_128
.LBB1171_126:                           ; =>This Inner Loop Header: Depth=1
	s_or_b32 s21, s21, exec_lo
	s_cmp_eq_u64 s[14:15], s[22:23]
	s_cbranch_scc0 .LBB1171_124
; %bb.127:                              ;   in Loop: Header=BB1171_126 Depth=1
	s_mov_b64 s[22:23], s[8:9]
                                        ; implicit-def: $vgpr59_vgpr60
                                        ; implicit-def: $vgpr61_vgpr62
	s_branch .LBB1171_125
.LBB1171_128:
	s_set_inst_prefetch_distance 0x2
	s_or_b32 exec_lo, exec_lo, s3
	v_cmp_gt_i64_e32 vcc_lo, s[8:9], v[63:64]
	s_mov_b32 s0, 0
	s_delay_alu instid0(SALU_CYCLE_1)
	v_mov_b32_e32 v124, s0
	v_cndmask_b32_e64 v123, 0, 1, vcc_lo
.LBB1171_129:
	s_or_b32 exec_lo, exec_lo, s1
.LBB1171_130:
	v_mul_lo_u32 v61, v50, s8
	v_mul_lo_u32 v62, v49, s9
	v_mad_u64_u32 v[59:60], null, v49, s8, 0
	v_mov_b32_e32 v127, 0
	v_mov_b32_e32 v128, 0
	v_cmp_ne_u32_e32 vcc_lo, 1, v65
	s_delay_alu instid0(VALU_DEP_2) | instskip(SKIP_1) | instid1(VALU_DEP_1)
	v_dual_mov_b32 v125, v127 :: v_dual_mov_b32 v126, v128
	v_add3_u32 v60, v60, v62, v61
	v_lshlrev_b64 v[59:60], 1, v[59:60]
	s_cbranch_vccnz .LBB1171_139
; %bb.131:
	s_delay_alu instid0(VALU_DEP_1) | instskip(NEXT) | instid1(VALU_DEP_2)
	v_add_co_u32 v63, vcc_lo, s10, v59
	v_add_co_ci_u32_e32 v64, vcc_lo, s11, v60, vcc_lo
	v_add_co_u32 v61, vcc_lo, s10, v57
	v_add_co_ci_u32_e32 v62, vcc_lo, s11, v58, vcc_lo
	s_mov_b32 s1, exec_lo
	s_clause 0x1
	global_load_u16 v57, v[63:64], off
	global_load_u16 v58, v[61:62], off
	v_mov_b32_e32 v125, 1
	s_waitcnt vmcnt(1)
	v_dual_mov_b32 v126, 0 :: v_dual_lshlrev_b32 v57, 16, v57
	s_waitcnt vmcnt(0)
	v_lshlrev_b32_e32 v58, 16, v58
	s_delay_alu instid0(VALU_DEP_1)
	v_cmpx_eq_f32_e32 v58, v57
	s_cbranch_execz .LBB1171_138
; %bb.132:
	v_add_co_u32 v57, vcc_lo, v63, 2
	v_add_co_ci_u32_e32 v58, vcc_lo, 0, v64, vcc_lo
	v_add_co_u32 v61, vcc_lo, v61, 2
	v_add_co_ci_u32_e32 v62, vcc_lo, 0, v62, vcc_lo
	s_add_u32 s14, s8, -1
	s_addc_u32 s15, s9, -1
	s_mov_b64 s[22:23], 0
	s_mov_b32 s3, 0
                                        ; implicit-def: $sgpr21
	s_set_inst_prefetch_distance 0x1
	s_branch .LBB1171_135
	.p2align	6
.LBB1171_133:                           ;   in Loop: Header=BB1171_135 Depth=1
	global_load_u16 v63, v[57:58], off
	global_load_u16 v64, v[61:62], off
	v_add_co_u32 v57, vcc_lo, v57, 2
	v_add_co_ci_u32_e32 v58, vcc_lo, 0, v58, vcc_lo
	v_add_co_u32 v61, s0, v61, 2
	s_delay_alu instid0(VALU_DEP_1)
	v_add_co_ci_u32_e64 v62, s0, 0, v62, s0
	s_add_u32 s22, s22, 1
	s_addc_u32 s23, s23, 0
	s_and_not1_b32 s0, s21, exec_lo
	s_waitcnt vmcnt(1)
	v_lshlrev_b32_e32 v63, 16, v63
	s_waitcnt vmcnt(0)
	v_lshlrev_b32_e32 v64, 16, v64
	s_delay_alu instid0(VALU_DEP_1) | instskip(SKIP_1) | instid1(SALU_CYCLE_1)
	v_cmp_neq_f32_e32 vcc_lo, v64, v63
	s_and_b32 s21, vcc_lo, exec_lo
	s_or_b32 s21, s0, s21
.LBB1171_134:                           ;   in Loop: Header=BB1171_135 Depth=1
	v_dual_mov_b32 v64, s23 :: v_dual_mov_b32 v63, s22
	s_and_b32 s0, exec_lo, s21
	s_delay_alu instid0(SALU_CYCLE_1) | instskip(NEXT) | instid1(SALU_CYCLE_1)
	s_or_b32 s3, s0, s3
	s_and_not1_b32 exec_lo, exec_lo, s3
	s_cbranch_execz .LBB1171_137
.LBB1171_135:                           ; =>This Inner Loop Header: Depth=1
	s_or_b32 s21, s21, exec_lo
	s_cmp_eq_u64 s[14:15], s[22:23]
	s_cbranch_scc0 .LBB1171_133
; %bb.136:                              ;   in Loop: Header=BB1171_135 Depth=1
	s_mov_b64 s[22:23], s[8:9]
                                        ; implicit-def: $vgpr57_vgpr58
                                        ; implicit-def: $vgpr61_vgpr62
	s_branch .LBB1171_134
.LBB1171_137:
	s_set_inst_prefetch_distance 0x2
	s_or_b32 exec_lo, exec_lo, s3
	v_cmp_gt_i64_e32 vcc_lo, s[8:9], v[63:64]
	s_mov_b32 s0, 0
	s_delay_alu instid0(SALU_CYCLE_1)
	v_mov_b32_e32 v126, s0
	v_cndmask_b32_e64 v125, 0, 1, vcc_lo
.LBB1171_138:
	s_or_b32 exec_lo, exec_lo, s1
.LBB1171_139:
	v_mul_lo_u32 v61, v48, s8
	v_mul_lo_u32 v62, v47, s9
	v_mad_u64_u32 v[57:58], null, v47, s8, 0
	v_cmp_ne_u32_e32 vcc_lo, 1, v65
	s_delay_alu instid0(VALU_DEP_2) | instskip(NEXT) | instid1(VALU_DEP_1)
	v_add3_u32 v58, v58, v62, v61
	v_lshlrev_b64 v[57:58], 1, v[57:58]
	s_cbranch_vccnz .LBB1171_148
; %bb.140:
	s_delay_alu instid0(VALU_DEP_1) | instskip(NEXT) | instid1(VALU_DEP_2)
	v_add_co_u32 v63, vcc_lo, s10, v57
	v_add_co_ci_u32_e32 v64, vcc_lo, s11, v58, vcc_lo
	v_add_co_u32 v61, vcc_lo, s10, v59
	v_add_co_ci_u32_e32 v62, vcc_lo, s11, v60, vcc_lo
	s_mov_b32 s1, exec_lo
	s_clause 0x1
	global_load_u16 v59, v[63:64], off
	global_load_u16 v60, v[61:62], off
	v_mov_b32_e32 v127, 1
	s_waitcnt vmcnt(1)
	v_dual_mov_b32 v128, 0 :: v_dual_lshlrev_b32 v59, 16, v59
	s_waitcnt vmcnt(0)
	v_lshlrev_b32_e32 v60, 16, v60
	s_delay_alu instid0(VALU_DEP_1)
	v_cmpx_eq_f32_e32 v60, v59
	s_cbranch_execz .LBB1171_147
; %bb.141:
	v_add_co_u32 v59, vcc_lo, v63, 2
	v_add_co_ci_u32_e32 v60, vcc_lo, 0, v64, vcc_lo
	v_add_co_u32 v61, vcc_lo, v61, 2
	v_add_co_ci_u32_e32 v62, vcc_lo, 0, v62, vcc_lo
	s_add_u32 s14, s8, -1
	s_addc_u32 s15, s9, -1
	s_mov_b64 s[22:23], 0
	s_mov_b32 s3, 0
                                        ; implicit-def: $sgpr21
	s_set_inst_prefetch_distance 0x1
	s_branch .LBB1171_144
	.p2align	6
.LBB1171_142:                           ;   in Loop: Header=BB1171_144 Depth=1
	global_load_u16 v63, v[59:60], off
	global_load_u16 v64, v[61:62], off
	v_add_co_u32 v59, vcc_lo, v59, 2
	v_add_co_ci_u32_e32 v60, vcc_lo, 0, v60, vcc_lo
	v_add_co_u32 v61, s0, v61, 2
	s_delay_alu instid0(VALU_DEP_1)
	v_add_co_ci_u32_e64 v62, s0, 0, v62, s0
	s_add_u32 s22, s22, 1
	s_addc_u32 s23, s23, 0
	s_and_not1_b32 s0, s21, exec_lo
	s_waitcnt vmcnt(1)
	v_lshlrev_b32_e32 v63, 16, v63
	s_waitcnt vmcnt(0)
	v_lshlrev_b32_e32 v64, 16, v64
	s_delay_alu instid0(VALU_DEP_1) | instskip(SKIP_1) | instid1(SALU_CYCLE_1)
	v_cmp_neq_f32_e32 vcc_lo, v64, v63
	s_and_b32 s21, vcc_lo, exec_lo
	s_or_b32 s21, s0, s21
.LBB1171_143:                           ;   in Loop: Header=BB1171_144 Depth=1
	v_dual_mov_b32 v64, s23 :: v_dual_mov_b32 v63, s22
	s_and_b32 s0, exec_lo, s21
	s_delay_alu instid0(SALU_CYCLE_1) | instskip(NEXT) | instid1(SALU_CYCLE_1)
	s_or_b32 s3, s0, s3
	s_and_not1_b32 exec_lo, exec_lo, s3
	s_cbranch_execz .LBB1171_146
.LBB1171_144:                           ; =>This Inner Loop Header: Depth=1
	s_or_b32 s21, s21, exec_lo
	s_cmp_eq_u64 s[14:15], s[22:23]
	s_cbranch_scc0 .LBB1171_142
; %bb.145:                              ;   in Loop: Header=BB1171_144 Depth=1
	s_mov_b64 s[22:23], s[8:9]
                                        ; implicit-def: $vgpr59_vgpr60
                                        ; implicit-def: $vgpr61_vgpr62
	s_branch .LBB1171_143
.LBB1171_146:
	s_set_inst_prefetch_distance 0x2
	s_or_b32 exec_lo, exec_lo, s3
	v_cmp_gt_i64_e32 vcc_lo, s[8:9], v[63:64]
	s_mov_b32 s0, 0
	s_delay_alu instid0(SALU_CYCLE_1)
	v_mov_b32_e32 v128, s0
	v_cndmask_b32_e64 v127, 0, 1, vcc_lo
.LBB1171_147:
	s_or_b32 exec_lo, exec_lo, s1
.LBB1171_148:
	v_mul_lo_u32 v61, v46, s8
	v_mul_lo_u32 v62, v45, s9
	v_mad_u64_u32 v[59:60], null, v45, s8, 0
	v_mov_b32_e32 v131, 0
	v_mov_b32_e32 v132, 0
	v_cmp_ne_u32_e32 vcc_lo, 1, v65
	s_delay_alu instid0(VALU_DEP_2) | instskip(SKIP_1) | instid1(VALU_DEP_1)
	v_dual_mov_b32 v129, v131 :: v_dual_mov_b32 v130, v132
	v_add3_u32 v60, v60, v62, v61
	v_lshlrev_b64 v[59:60], 1, v[59:60]
	s_cbranch_vccnz .LBB1171_157
; %bb.149:
	s_delay_alu instid0(VALU_DEP_1) | instskip(NEXT) | instid1(VALU_DEP_2)
	v_add_co_u32 v63, vcc_lo, s10, v59
	v_add_co_ci_u32_e32 v64, vcc_lo, s11, v60, vcc_lo
	v_add_co_u32 v61, vcc_lo, s10, v57
	v_add_co_ci_u32_e32 v62, vcc_lo, s11, v58, vcc_lo
	s_mov_b32 s1, exec_lo
	s_clause 0x1
	global_load_u16 v57, v[63:64], off
	global_load_u16 v58, v[61:62], off
	v_mov_b32_e32 v129, 1
	s_waitcnt vmcnt(1)
	v_dual_mov_b32 v130, 0 :: v_dual_lshlrev_b32 v57, 16, v57
	s_waitcnt vmcnt(0)
	v_lshlrev_b32_e32 v58, 16, v58
	s_delay_alu instid0(VALU_DEP_1)
	v_cmpx_eq_f32_e32 v58, v57
	s_cbranch_execz .LBB1171_156
; %bb.150:
	v_add_co_u32 v57, vcc_lo, v63, 2
	v_add_co_ci_u32_e32 v58, vcc_lo, 0, v64, vcc_lo
	v_add_co_u32 v61, vcc_lo, v61, 2
	v_add_co_ci_u32_e32 v62, vcc_lo, 0, v62, vcc_lo
	s_add_u32 s14, s8, -1
	s_addc_u32 s15, s9, -1
	s_mov_b64 s[22:23], 0
	s_mov_b32 s3, 0
                                        ; implicit-def: $sgpr21
	s_set_inst_prefetch_distance 0x1
	s_branch .LBB1171_153
	.p2align	6
.LBB1171_151:                           ;   in Loop: Header=BB1171_153 Depth=1
	global_load_u16 v63, v[57:58], off
	global_load_u16 v64, v[61:62], off
	v_add_co_u32 v57, vcc_lo, v57, 2
	v_add_co_ci_u32_e32 v58, vcc_lo, 0, v58, vcc_lo
	v_add_co_u32 v61, s0, v61, 2
	s_delay_alu instid0(VALU_DEP_1)
	v_add_co_ci_u32_e64 v62, s0, 0, v62, s0
	s_add_u32 s22, s22, 1
	s_addc_u32 s23, s23, 0
	s_and_not1_b32 s0, s21, exec_lo
	s_waitcnt vmcnt(1)
	v_lshlrev_b32_e32 v63, 16, v63
	s_waitcnt vmcnt(0)
	v_lshlrev_b32_e32 v64, 16, v64
	s_delay_alu instid0(VALU_DEP_1) | instskip(SKIP_1) | instid1(SALU_CYCLE_1)
	v_cmp_neq_f32_e32 vcc_lo, v64, v63
	s_and_b32 s21, vcc_lo, exec_lo
	s_or_b32 s21, s0, s21
.LBB1171_152:                           ;   in Loop: Header=BB1171_153 Depth=1
	v_dual_mov_b32 v64, s23 :: v_dual_mov_b32 v63, s22
	s_and_b32 s0, exec_lo, s21
	s_delay_alu instid0(SALU_CYCLE_1) | instskip(NEXT) | instid1(SALU_CYCLE_1)
	s_or_b32 s3, s0, s3
	s_and_not1_b32 exec_lo, exec_lo, s3
	s_cbranch_execz .LBB1171_155
.LBB1171_153:                           ; =>This Inner Loop Header: Depth=1
	s_or_b32 s21, s21, exec_lo
	s_cmp_eq_u64 s[14:15], s[22:23]
	s_cbranch_scc0 .LBB1171_151
; %bb.154:                              ;   in Loop: Header=BB1171_153 Depth=1
	s_mov_b64 s[22:23], s[8:9]
                                        ; implicit-def: $vgpr57_vgpr58
                                        ; implicit-def: $vgpr61_vgpr62
	s_branch .LBB1171_152
.LBB1171_155:
	s_set_inst_prefetch_distance 0x2
	s_or_b32 exec_lo, exec_lo, s3
	v_cmp_gt_i64_e32 vcc_lo, s[8:9], v[63:64]
	s_mov_b32 s0, 0
	s_delay_alu instid0(SALU_CYCLE_1)
	v_mov_b32_e32 v130, s0
	v_cndmask_b32_e64 v129, 0, 1, vcc_lo
.LBB1171_156:
	s_or_b32 exec_lo, exec_lo, s1
.LBB1171_157:
	v_mul_lo_u32 v61, v44, s8
	v_mul_lo_u32 v62, v43, s9
	v_mad_u64_u32 v[57:58], null, v43, s8, 0
	v_cmp_ne_u32_e32 vcc_lo, 1, v65
	s_delay_alu instid0(VALU_DEP_2) | instskip(NEXT) | instid1(VALU_DEP_1)
	v_add3_u32 v58, v58, v62, v61
	v_lshlrev_b64 v[57:58], 1, v[57:58]
	s_cbranch_vccnz .LBB1171_166
; %bb.158:
	s_delay_alu instid0(VALU_DEP_1) | instskip(NEXT) | instid1(VALU_DEP_2)
	v_add_co_u32 v63, vcc_lo, s10, v57
	v_add_co_ci_u32_e32 v64, vcc_lo, s11, v58, vcc_lo
	v_add_co_u32 v61, vcc_lo, s10, v59
	v_add_co_ci_u32_e32 v62, vcc_lo, s11, v60, vcc_lo
	s_mov_b32 s1, exec_lo
	s_clause 0x1
	global_load_u16 v59, v[63:64], off
	global_load_u16 v60, v[61:62], off
	v_mov_b32_e32 v131, 1
	s_waitcnt vmcnt(1)
	v_dual_mov_b32 v132, 0 :: v_dual_lshlrev_b32 v59, 16, v59
	s_waitcnt vmcnt(0)
	v_lshlrev_b32_e32 v60, 16, v60
	s_delay_alu instid0(VALU_DEP_1)
	v_cmpx_eq_f32_e32 v60, v59
	s_cbranch_execz .LBB1171_165
; %bb.159:
	v_add_co_u32 v59, vcc_lo, v63, 2
	v_add_co_ci_u32_e32 v60, vcc_lo, 0, v64, vcc_lo
	v_add_co_u32 v61, vcc_lo, v61, 2
	v_add_co_ci_u32_e32 v62, vcc_lo, 0, v62, vcc_lo
	s_add_u32 s14, s8, -1
	s_addc_u32 s15, s9, -1
	s_mov_b64 s[22:23], 0
	s_mov_b32 s3, 0
                                        ; implicit-def: $sgpr21
	s_set_inst_prefetch_distance 0x1
	s_branch .LBB1171_162
	.p2align	6
.LBB1171_160:                           ;   in Loop: Header=BB1171_162 Depth=1
	global_load_u16 v63, v[59:60], off
	global_load_u16 v64, v[61:62], off
	v_add_co_u32 v59, vcc_lo, v59, 2
	v_add_co_ci_u32_e32 v60, vcc_lo, 0, v60, vcc_lo
	v_add_co_u32 v61, s0, v61, 2
	s_delay_alu instid0(VALU_DEP_1)
	v_add_co_ci_u32_e64 v62, s0, 0, v62, s0
	s_add_u32 s22, s22, 1
	s_addc_u32 s23, s23, 0
	s_and_not1_b32 s0, s21, exec_lo
	s_waitcnt vmcnt(1)
	v_lshlrev_b32_e32 v63, 16, v63
	s_waitcnt vmcnt(0)
	v_lshlrev_b32_e32 v64, 16, v64
	s_delay_alu instid0(VALU_DEP_1) | instskip(SKIP_1) | instid1(SALU_CYCLE_1)
	v_cmp_neq_f32_e32 vcc_lo, v64, v63
	s_and_b32 s21, vcc_lo, exec_lo
	s_or_b32 s21, s0, s21
.LBB1171_161:                           ;   in Loop: Header=BB1171_162 Depth=1
	v_dual_mov_b32 v64, s23 :: v_dual_mov_b32 v63, s22
	s_and_b32 s0, exec_lo, s21
	s_delay_alu instid0(SALU_CYCLE_1) | instskip(NEXT) | instid1(SALU_CYCLE_1)
	s_or_b32 s3, s0, s3
	s_and_not1_b32 exec_lo, exec_lo, s3
	s_cbranch_execz .LBB1171_164
.LBB1171_162:                           ; =>This Inner Loop Header: Depth=1
	s_or_b32 s21, s21, exec_lo
	s_cmp_eq_u64 s[14:15], s[22:23]
	s_cbranch_scc0 .LBB1171_160
; %bb.163:                              ;   in Loop: Header=BB1171_162 Depth=1
	s_mov_b64 s[22:23], s[8:9]
                                        ; implicit-def: $vgpr59_vgpr60
                                        ; implicit-def: $vgpr61_vgpr62
	s_branch .LBB1171_161
.LBB1171_164:
	s_set_inst_prefetch_distance 0x2
	s_or_b32 exec_lo, exec_lo, s3
	v_cmp_gt_i64_e32 vcc_lo, s[8:9], v[63:64]
	s_mov_b32 s0, 0
	s_delay_alu instid0(SALU_CYCLE_1)
	v_mov_b32_e32 v132, s0
	v_cndmask_b32_e64 v131, 0, 1, vcc_lo
.LBB1171_165:
	s_or_b32 exec_lo, exec_lo, s1
.LBB1171_166:
	v_mul_lo_u32 v61, v42, s8
	v_mul_lo_u32 v62, v41, s9
	v_mad_u64_u32 v[59:60], null, v41, s8, 0
	v_mov_b32_e32 v135, 0
	v_mov_b32_e32 v136, 0
	v_cmp_ne_u32_e32 vcc_lo, 1, v65
	s_delay_alu instid0(VALU_DEP_2) | instskip(SKIP_1) | instid1(VALU_DEP_1)
	v_dual_mov_b32 v133, v135 :: v_dual_mov_b32 v134, v136
	v_add3_u32 v60, v60, v62, v61
	v_lshlrev_b64 v[59:60], 1, v[59:60]
	s_cbranch_vccnz .LBB1171_175
; %bb.167:
	s_delay_alu instid0(VALU_DEP_1) | instskip(NEXT) | instid1(VALU_DEP_2)
	v_add_co_u32 v63, vcc_lo, s10, v59
	v_add_co_ci_u32_e32 v64, vcc_lo, s11, v60, vcc_lo
	v_add_co_u32 v61, vcc_lo, s10, v57
	v_add_co_ci_u32_e32 v62, vcc_lo, s11, v58, vcc_lo
	s_mov_b32 s1, exec_lo
	s_clause 0x1
	global_load_u16 v57, v[63:64], off
	global_load_u16 v58, v[61:62], off
	v_mov_b32_e32 v133, 1
	s_waitcnt vmcnt(1)
	v_dual_mov_b32 v134, 0 :: v_dual_lshlrev_b32 v57, 16, v57
	s_waitcnt vmcnt(0)
	v_lshlrev_b32_e32 v58, 16, v58
	s_delay_alu instid0(VALU_DEP_1)
	v_cmpx_eq_f32_e32 v58, v57
	s_cbranch_execz .LBB1171_174
; %bb.168:
	v_add_co_u32 v57, vcc_lo, v63, 2
	v_add_co_ci_u32_e32 v58, vcc_lo, 0, v64, vcc_lo
	v_add_co_u32 v61, vcc_lo, v61, 2
	v_add_co_ci_u32_e32 v62, vcc_lo, 0, v62, vcc_lo
	s_add_u32 s14, s8, -1
	s_addc_u32 s15, s9, -1
	s_mov_b64 s[22:23], 0
	s_mov_b32 s3, 0
                                        ; implicit-def: $sgpr21
	s_set_inst_prefetch_distance 0x1
	s_branch .LBB1171_171
	.p2align	6
.LBB1171_169:                           ;   in Loop: Header=BB1171_171 Depth=1
	global_load_u16 v63, v[57:58], off
	global_load_u16 v64, v[61:62], off
	v_add_co_u32 v57, vcc_lo, v57, 2
	v_add_co_ci_u32_e32 v58, vcc_lo, 0, v58, vcc_lo
	v_add_co_u32 v61, s0, v61, 2
	s_delay_alu instid0(VALU_DEP_1)
	v_add_co_ci_u32_e64 v62, s0, 0, v62, s0
	s_add_u32 s22, s22, 1
	s_addc_u32 s23, s23, 0
	s_and_not1_b32 s0, s21, exec_lo
	s_waitcnt vmcnt(1)
	v_lshlrev_b32_e32 v63, 16, v63
	s_waitcnt vmcnt(0)
	v_lshlrev_b32_e32 v64, 16, v64
	s_delay_alu instid0(VALU_DEP_1) | instskip(SKIP_1) | instid1(SALU_CYCLE_1)
	v_cmp_neq_f32_e32 vcc_lo, v64, v63
	s_and_b32 s21, vcc_lo, exec_lo
	s_or_b32 s21, s0, s21
.LBB1171_170:                           ;   in Loop: Header=BB1171_171 Depth=1
	v_dual_mov_b32 v64, s23 :: v_dual_mov_b32 v63, s22
	s_and_b32 s0, exec_lo, s21
	s_delay_alu instid0(SALU_CYCLE_1) | instskip(NEXT) | instid1(SALU_CYCLE_1)
	s_or_b32 s3, s0, s3
	s_and_not1_b32 exec_lo, exec_lo, s3
	s_cbranch_execz .LBB1171_173
.LBB1171_171:                           ; =>This Inner Loop Header: Depth=1
	s_or_b32 s21, s21, exec_lo
	s_cmp_eq_u64 s[14:15], s[22:23]
	s_cbranch_scc0 .LBB1171_169
; %bb.172:                              ;   in Loop: Header=BB1171_171 Depth=1
	s_mov_b64 s[22:23], s[8:9]
                                        ; implicit-def: $vgpr57_vgpr58
                                        ; implicit-def: $vgpr61_vgpr62
	s_branch .LBB1171_170
.LBB1171_173:
	s_set_inst_prefetch_distance 0x2
	s_or_b32 exec_lo, exec_lo, s3
	v_cmp_gt_i64_e32 vcc_lo, s[8:9], v[63:64]
	s_mov_b32 s0, 0
	s_delay_alu instid0(SALU_CYCLE_1)
	v_mov_b32_e32 v134, s0
	v_cndmask_b32_e64 v133, 0, 1, vcc_lo
.LBB1171_174:
	s_or_b32 exec_lo, exec_lo, s1
.LBB1171_175:
	v_mul_lo_u32 v61, v40, s8
	v_mul_lo_u32 v62, v39, s9
	v_mad_u64_u32 v[57:58], null, v39, s8, 0
	v_cmp_ne_u32_e32 vcc_lo, 1, v65
	s_delay_alu instid0(VALU_DEP_2) | instskip(NEXT) | instid1(VALU_DEP_1)
	v_add3_u32 v58, v58, v62, v61
	v_lshlrev_b64 v[57:58], 1, v[57:58]
	s_cbranch_vccnz .LBB1171_184
; %bb.176:
	s_delay_alu instid0(VALU_DEP_1) | instskip(NEXT) | instid1(VALU_DEP_2)
	v_add_co_u32 v63, vcc_lo, s10, v57
	v_add_co_ci_u32_e32 v64, vcc_lo, s11, v58, vcc_lo
	v_add_co_u32 v61, vcc_lo, s10, v59
	v_add_co_ci_u32_e32 v62, vcc_lo, s11, v60, vcc_lo
	s_mov_b32 s1, exec_lo
	s_clause 0x1
	global_load_u16 v59, v[63:64], off
	global_load_u16 v60, v[61:62], off
	v_mov_b32_e32 v135, 1
	s_waitcnt vmcnt(1)
	v_dual_mov_b32 v136, 0 :: v_dual_lshlrev_b32 v59, 16, v59
	s_waitcnt vmcnt(0)
	v_lshlrev_b32_e32 v60, 16, v60
	s_delay_alu instid0(VALU_DEP_1)
	v_cmpx_eq_f32_e32 v60, v59
	s_cbranch_execz .LBB1171_183
; %bb.177:
	v_add_co_u32 v59, vcc_lo, v63, 2
	v_add_co_ci_u32_e32 v60, vcc_lo, 0, v64, vcc_lo
	v_add_co_u32 v61, vcc_lo, v61, 2
	v_add_co_ci_u32_e32 v62, vcc_lo, 0, v62, vcc_lo
	s_add_u32 s14, s8, -1
	s_addc_u32 s15, s9, -1
	s_mov_b64 s[22:23], 0
	s_mov_b32 s3, 0
                                        ; implicit-def: $sgpr21
	s_set_inst_prefetch_distance 0x1
	s_branch .LBB1171_180
	.p2align	6
.LBB1171_178:                           ;   in Loop: Header=BB1171_180 Depth=1
	global_load_u16 v63, v[59:60], off
	global_load_u16 v64, v[61:62], off
	v_add_co_u32 v59, vcc_lo, v59, 2
	v_add_co_ci_u32_e32 v60, vcc_lo, 0, v60, vcc_lo
	v_add_co_u32 v61, s0, v61, 2
	s_delay_alu instid0(VALU_DEP_1)
	v_add_co_ci_u32_e64 v62, s0, 0, v62, s0
	s_add_u32 s22, s22, 1
	s_addc_u32 s23, s23, 0
	s_and_not1_b32 s0, s21, exec_lo
	s_waitcnt vmcnt(1)
	v_lshlrev_b32_e32 v63, 16, v63
	s_waitcnt vmcnt(0)
	v_lshlrev_b32_e32 v64, 16, v64
	s_delay_alu instid0(VALU_DEP_1) | instskip(SKIP_1) | instid1(SALU_CYCLE_1)
	v_cmp_neq_f32_e32 vcc_lo, v64, v63
	s_and_b32 s21, vcc_lo, exec_lo
	s_or_b32 s21, s0, s21
.LBB1171_179:                           ;   in Loop: Header=BB1171_180 Depth=1
	v_dual_mov_b32 v64, s23 :: v_dual_mov_b32 v63, s22
	s_and_b32 s0, exec_lo, s21
	s_delay_alu instid0(SALU_CYCLE_1) | instskip(NEXT) | instid1(SALU_CYCLE_1)
	s_or_b32 s3, s0, s3
	s_and_not1_b32 exec_lo, exec_lo, s3
	s_cbranch_execz .LBB1171_182
.LBB1171_180:                           ; =>This Inner Loop Header: Depth=1
	s_or_b32 s21, s21, exec_lo
	s_cmp_eq_u64 s[14:15], s[22:23]
	s_cbranch_scc0 .LBB1171_178
; %bb.181:                              ;   in Loop: Header=BB1171_180 Depth=1
	s_mov_b64 s[22:23], s[8:9]
                                        ; implicit-def: $vgpr59_vgpr60
                                        ; implicit-def: $vgpr61_vgpr62
	s_branch .LBB1171_179
.LBB1171_182:
	s_set_inst_prefetch_distance 0x2
	s_or_b32 exec_lo, exec_lo, s3
	v_cmp_gt_i64_e32 vcc_lo, s[8:9], v[63:64]
	s_mov_b32 s0, 0
	s_delay_alu instid0(SALU_CYCLE_1)
	v_mov_b32_e32 v136, s0
	v_cndmask_b32_e64 v135, 0, 1, vcc_lo
.LBB1171_183:
	s_or_b32 exec_lo, exec_lo, s1
.LBB1171_184:
	v_mul_lo_u32 v61, v38, s8
	v_mul_lo_u32 v62, v37, s9
	v_mad_u64_u32 v[59:60], null, v37, s8, 0
	v_mov_b32_e32 v139, 0
	v_mov_b32_e32 v140, 0
	v_cmp_ne_u32_e32 vcc_lo, 1, v65
	s_delay_alu instid0(VALU_DEP_2) | instskip(SKIP_1) | instid1(VALU_DEP_1)
	v_dual_mov_b32 v137, v139 :: v_dual_mov_b32 v138, v140
	v_add3_u32 v60, v60, v62, v61
	v_lshlrev_b64 v[59:60], 1, v[59:60]
	s_cbranch_vccnz .LBB1171_193
; %bb.185:
	s_delay_alu instid0(VALU_DEP_1) | instskip(NEXT) | instid1(VALU_DEP_2)
	v_add_co_u32 v63, vcc_lo, s10, v59
	v_add_co_ci_u32_e32 v64, vcc_lo, s11, v60, vcc_lo
	v_add_co_u32 v61, vcc_lo, s10, v57
	v_add_co_ci_u32_e32 v62, vcc_lo, s11, v58, vcc_lo
	s_mov_b32 s1, exec_lo
	s_clause 0x1
	global_load_u16 v57, v[63:64], off
	global_load_u16 v58, v[61:62], off
	v_mov_b32_e32 v137, 1
	s_waitcnt vmcnt(1)
	v_dual_mov_b32 v138, 0 :: v_dual_lshlrev_b32 v57, 16, v57
	s_waitcnt vmcnt(0)
	v_lshlrev_b32_e32 v58, 16, v58
	s_delay_alu instid0(VALU_DEP_1)
	v_cmpx_eq_f32_e32 v58, v57
	s_cbranch_execz .LBB1171_192
; %bb.186:
	v_add_co_u32 v57, vcc_lo, v63, 2
	v_add_co_ci_u32_e32 v58, vcc_lo, 0, v64, vcc_lo
	v_add_co_u32 v61, vcc_lo, v61, 2
	v_add_co_ci_u32_e32 v62, vcc_lo, 0, v62, vcc_lo
	s_add_u32 s14, s8, -1
	s_addc_u32 s15, s9, -1
	s_mov_b64 s[22:23], 0
	s_mov_b32 s3, 0
                                        ; implicit-def: $sgpr21
	s_set_inst_prefetch_distance 0x1
	s_branch .LBB1171_189
	.p2align	6
.LBB1171_187:                           ;   in Loop: Header=BB1171_189 Depth=1
	global_load_u16 v63, v[57:58], off
	global_load_u16 v64, v[61:62], off
	v_add_co_u32 v57, vcc_lo, v57, 2
	v_add_co_ci_u32_e32 v58, vcc_lo, 0, v58, vcc_lo
	v_add_co_u32 v61, s0, v61, 2
	s_delay_alu instid0(VALU_DEP_1)
	v_add_co_ci_u32_e64 v62, s0, 0, v62, s0
	s_add_u32 s22, s22, 1
	s_addc_u32 s23, s23, 0
	s_and_not1_b32 s0, s21, exec_lo
	s_waitcnt vmcnt(1)
	v_lshlrev_b32_e32 v63, 16, v63
	s_waitcnt vmcnt(0)
	v_lshlrev_b32_e32 v64, 16, v64
	s_delay_alu instid0(VALU_DEP_1) | instskip(SKIP_1) | instid1(SALU_CYCLE_1)
	v_cmp_neq_f32_e32 vcc_lo, v64, v63
	s_and_b32 s21, vcc_lo, exec_lo
	s_or_b32 s21, s0, s21
.LBB1171_188:                           ;   in Loop: Header=BB1171_189 Depth=1
	v_dual_mov_b32 v64, s23 :: v_dual_mov_b32 v63, s22
	s_and_b32 s0, exec_lo, s21
	s_delay_alu instid0(SALU_CYCLE_1) | instskip(NEXT) | instid1(SALU_CYCLE_1)
	s_or_b32 s3, s0, s3
	s_and_not1_b32 exec_lo, exec_lo, s3
	s_cbranch_execz .LBB1171_191
.LBB1171_189:                           ; =>This Inner Loop Header: Depth=1
	s_or_b32 s21, s21, exec_lo
	s_cmp_eq_u64 s[14:15], s[22:23]
	s_cbranch_scc0 .LBB1171_187
; %bb.190:                              ;   in Loop: Header=BB1171_189 Depth=1
	s_mov_b64 s[22:23], s[8:9]
                                        ; implicit-def: $vgpr57_vgpr58
                                        ; implicit-def: $vgpr61_vgpr62
	s_branch .LBB1171_188
.LBB1171_191:
	s_set_inst_prefetch_distance 0x2
	s_or_b32 exec_lo, exec_lo, s3
	v_cmp_gt_i64_e32 vcc_lo, s[8:9], v[63:64]
	s_mov_b32 s0, 0
	s_delay_alu instid0(SALU_CYCLE_1)
	v_mov_b32_e32 v138, s0
	v_cndmask_b32_e64 v137, 0, 1, vcc_lo
.LBB1171_192:
	s_or_b32 exec_lo, exec_lo, s1
.LBB1171_193:
	v_mul_lo_u32 v61, v36, s8
	v_mul_lo_u32 v62, v35, s9
	v_mad_u64_u32 v[57:58], null, v35, s8, 0
	v_cmp_ne_u32_e32 vcc_lo, 1, v65
	s_delay_alu instid0(VALU_DEP_2) | instskip(NEXT) | instid1(VALU_DEP_1)
	v_add3_u32 v58, v58, v62, v61
	v_lshlrev_b64 v[57:58], 1, v[57:58]
	s_cbranch_vccnz .LBB1171_202
; %bb.194:
	s_delay_alu instid0(VALU_DEP_1) | instskip(NEXT) | instid1(VALU_DEP_2)
	v_add_co_u32 v63, vcc_lo, s10, v57
	v_add_co_ci_u32_e32 v64, vcc_lo, s11, v58, vcc_lo
	v_add_co_u32 v61, vcc_lo, s10, v59
	v_add_co_ci_u32_e32 v62, vcc_lo, s11, v60, vcc_lo
	s_mov_b32 s1, exec_lo
	s_clause 0x1
	global_load_u16 v59, v[63:64], off
	global_load_u16 v60, v[61:62], off
	v_mov_b32_e32 v139, 1
	s_waitcnt vmcnt(1)
	v_dual_mov_b32 v140, 0 :: v_dual_lshlrev_b32 v59, 16, v59
	s_waitcnt vmcnt(0)
	v_lshlrev_b32_e32 v60, 16, v60
	s_delay_alu instid0(VALU_DEP_1)
	v_cmpx_eq_f32_e32 v60, v59
	s_cbranch_execz .LBB1171_201
; %bb.195:
	v_add_co_u32 v59, vcc_lo, v63, 2
	v_add_co_ci_u32_e32 v60, vcc_lo, 0, v64, vcc_lo
	v_add_co_u32 v61, vcc_lo, v61, 2
	v_add_co_ci_u32_e32 v62, vcc_lo, 0, v62, vcc_lo
	s_add_u32 s14, s8, -1
	s_addc_u32 s15, s9, -1
	s_mov_b64 s[22:23], 0
	s_mov_b32 s3, 0
                                        ; implicit-def: $sgpr21
	s_set_inst_prefetch_distance 0x1
	s_branch .LBB1171_198
	.p2align	6
.LBB1171_196:                           ;   in Loop: Header=BB1171_198 Depth=1
	global_load_u16 v63, v[59:60], off
	global_load_u16 v64, v[61:62], off
	v_add_co_u32 v59, vcc_lo, v59, 2
	v_add_co_ci_u32_e32 v60, vcc_lo, 0, v60, vcc_lo
	v_add_co_u32 v61, s0, v61, 2
	s_delay_alu instid0(VALU_DEP_1)
	v_add_co_ci_u32_e64 v62, s0, 0, v62, s0
	s_add_u32 s22, s22, 1
	s_addc_u32 s23, s23, 0
	s_and_not1_b32 s0, s21, exec_lo
	s_waitcnt vmcnt(1)
	v_lshlrev_b32_e32 v63, 16, v63
	s_waitcnt vmcnt(0)
	v_lshlrev_b32_e32 v64, 16, v64
	s_delay_alu instid0(VALU_DEP_1) | instskip(SKIP_1) | instid1(SALU_CYCLE_1)
	v_cmp_neq_f32_e32 vcc_lo, v64, v63
	s_and_b32 s21, vcc_lo, exec_lo
	s_or_b32 s21, s0, s21
.LBB1171_197:                           ;   in Loop: Header=BB1171_198 Depth=1
	v_dual_mov_b32 v64, s23 :: v_dual_mov_b32 v63, s22
	s_and_b32 s0, exec_lo, s21
	s_delay_alu instid0(SALU_CYCLE_1) | instskip(NEXT) | instid1(SALU_CYCLE_1)
	s_or_b32 s3, s0, s3
	s_and_not1_b32 exec_lo, exec_lo, s3
	s_cbranch_execz .LBB1171_200
.LBB1171_198:                           ; =>This Inner Loop Header: Depth=1
	s_or_b32 s21, s21, exec_lo
	s_cmp_eq_u64 s[14:15], s[22:23]
	s_cbranch_scc0 .LBB1171_196
; %bb.199:                              ;   in Loop: Header=BB1171_198 Depth=1
	s_mov_b64 s[22:23], s[8:9]
                                        ; implicit-def: $vgpr59_vgpr60
                                        ; implicit-def: $vgpr61_vgpr62
	s_branch .LBB1171_197
.LBB1171_200:
	s_set_inst_prefetch_distance 0x2
	s_or_b32 exec_lo, exec_lo, s3
	v_cmp_gt_i64_e32 vcc_lo, s[8:9], v[63:64]
	s_mov_b32 s0, 0
	s_delay_alu instid0(SALU_CYCLE_1)
	v_mov_b32_e32 v140, s0
	v_cndmask_b32_e64 v139, 0, 1, vcc_lo
.LBB1171_201:
	s_or_b32 exec_lo, exec_lo, s1
.LBB1171_202:
	v_mul_lo_u32 v61, v34, s8
	v_mul_lo_u32 v62, v33, s9
	v_mad_u64_u32 v[59:60], null, v33, s8, 0
	v_mov_b32_e32 v143, 0
	v_mov_b32_e32 v144, 0
	v_cmp_ne_u32_e32 vcc_lo, 1, v65
	s_delay_alu instid0(VALU_DEP_2) | instskip(SKIP_1) | instid1(VALU_DEP_1)
	v_dual_mov_b32 v141, v143 :: v_dual_mov_b32 v142, v144
	v_add3_u32 v60, v60, v62, v61
	v_lshlrev_b64 v[59:60], 1, v[59:60]
	s_cbranch_vccnz .LBB1171_211
; %bb.203:
	s_delay_alu instid0(VALU_DEP_1) | instskip(NEXT) | instid1(VALU_DEP_2)
	v_add_co_u32 v63, vcc_lo, s10, v59
	v_add_co_ci_u32_e32 v64, vcc_lo, s11, v60, vcc_lo
	v_add_co_u32 v61, vcc_lo, s10, v57
	v_add_co_ci_u32_e32 v62, vcc_lo, s11, v58, vcc_lo
	s_mov_b32 s1, exec_lo
	s_clause 0x1
	global_load_u16 v57, v[63:64], off
	global_load_u16 v58, v[61:62], off
	v_mov_b32_e32 v141, 1
	s_waitcnt vmcnt(1)
	v_dual_mov_b32 v142, 0 :: v_dual_lshlrev_b32 v57, 16, v57
	s_waitcnt vmcnt(0)
	v_lshlrev_b32_e32 v58, 16, v58
	s_delay_alu instid0(VALU_DEP_1)
	v_cmpx_eq_f32_e32 v58, v57
	s_cbranch_execz .LBB1171_210
; %bb.204:
	v_add_co_u32 v57, vcc_lo, v63, 2
	v_add_co_ci_u32_e32 v58, vcc_lo, 0, v64, vcc_lo
	v_add_co_u32 v61, vcc_lo, v61, 2
	v_add_co_ci_u32_e32 v62, vcc_lo, 0, v62, vcc_lo
	s_add_u32 s14, s8, -1
	s_addc_u32 s15, s9, -1
	s_mov_b64 s[22:23], 0
	s_mov_b32 s3, 0
                                        ; implicit-def: $sgpr21
	s_set_inst_prefetch_distance 0x1
	s_branch .LBB1171_207
	.p2align	6
.LBB1171_205:                           ;   in Loop: Header=BB1171_207 Depth=1
	global_load_u16 v63, v[57:58], off
	global_load_u16 v64, v[61:62], off
	v_add_co_u32 v57, vcc_lo, v57, 2
	v_add_co_ci_u32_e32 v58, vcc_lo, 0, v58, vcc_lo
	v_add_co_u32 v61, s0, v61, 2
	s_delay_alu instid0(VALU_DEP_1)
	v_add_co_ci_u32_e64 v62, s0, 0, v62, s0
	s_add_u32 s22, s22, 1
	s_addc_u32 s23, s23, 0
	s_and_not1_b32 s0, s21, exec_lo
	s_waitcnt vmcnt(1)
	v_lshlrev_b32_e32 v63, 16, v63
	s_waitcnt vmcnt(0)
	v_lshlrev_b32_e32 v64, 16, v64
	s_delay_alu instid0(VALU_DEP_1) | instskip(SKIP_1) | instid1(SALU_CYCLE_1)
	v_cmp_neq_f32_e32 vcc_lo, v64, v63
	s_and_b32 s21, vcc_lo, exec_lo
	s_or_b32 s21, s0, s21
.LBB1171_206:                           ;   in Loop: Header=BB1171_207 Depth=1
	v_dual_mov_b32 v64, s23 :: v_dual_mov_b32 v63, s22
	s_and_b32 s0, exec_lo, s21
	s_delay_alu instid0(SALU_CYCLE_1) | instskip(NEXT) | instid1(SALU_CYCLE_1)
	s_or_b32 s3, s0, s3
	s_and_not1_b32 exec_lo, exec_lo, s3
	s_cbranch_execz .LBB1171_209
.LBB1171_207:                           ; =>This Inner Loop Header: Depth=1
	s_or_b32 s21, s21, exec_lo
	s_cmp_eq_u64 s[14:15], s[22:23]
	s_cbranch_scc0 .LBB1171_205
; %bb.208:                              ;   in Loop: Header=BB1171_207 Depth=1
	s_mov_b64 s[22:23], s[8:9]
                                        ; implicit-def: $vgpr57_vgpr58
                                        ; implicit-def: $vgpr61_vgpr62
	s_branch .LBB1171_206
.LBB1171_209:
	s_set_inst_prefetch_distance 0x2
	s_or_b32 exec_lo, exec_lo, s3
	v_cmp_gt_i64_e32 vcc_lo, s[8:9], v[63:64]
	s_mov_b32 s0, 0
	s_delay_alu instid0(SALU_CYCLE_1)
	v_mov_b32_e32 v142, s0
	v_cndmask_b32_e64 v141, 0, 1, vcc_lo
.LBB1171_210:
	s_or_b32 exec_lo, exec_lo, s1
.LBB1171_211:
	v_mul_lo_u32 v61, v32, s8
	v_mul_lo_u32 v62, v31, s9
	v_mad_u64_u32 v[57:58], null, v31, s8, 0
	v_cmp_ne_u32_e32 vcc_lo, 1, v65
	s_delay_alu instid0(VALU_DEP_2) | instskip(NEXT) | instid1(VALU_DEP_1)
	v_add3_u32 v58, v58, v62, v61
	v_lshlrev_b64 v[57:58], 1, v[57:58]
	s_cbranch_vccnz .LBB1171_220
; %bb.212:
	s_delay_alu instid0(VALU_DEP_1) | instskip(NEXT) | instid1(VALU_DEP_2)
	v_add_co_u32 v63, vcc_lo, s10, v57
	v_add_co_ci_u32_e32 v64, vcc_lo, s11, v58, vcc_lo
	v_add_co_u32 v61, vcc_lo, s10, v59
	v_add_co_ci_u32_e32 v62, vcc_lo, s11, v60, vcc_lo
	s_mov_b32 s1, exec_lo
	s_clause 0x1
	global_load_u16 v59, v[63:64], off
	global_load_u16 v60, v[61:62], off
	v_mov_b32_e32 v143, 1
	s_waitcnt vmcnt(1)
	v_dual_mov_b32 v144, 0 :: v_dual_lshlrev_b32 v59, 16, v59
	s_waitcnt vmcnt(0)
	v_lshlrev_b32_e32 v60, 16, v60
	s_delay_alu instid0(VALU_DEP_1)
	v_cmpx_eq_f32_e32 v60, v59
	s_cbranch_execz .LBB1171_219
; %bb.213:
	v_add_co_u32 v59, vcc_lo, v63, 2
	v_add_co_ci_u32_e32 v60, vcc_lo, 0, v64, vcc_lo
	v_add_co_u32 v61, vcc_lo, v61, 2
	v_add_co_ci_u32_e32 v62, vcc_lo, 0, v62, vcc_lo
	s_add_u32 s14, s8, -1
	s_addc_u32 s15, s9, -1
	s_mov_b64 s[22:23], 0
	s_mov_b32 s3, 0
                                        ; implicit-def: $sgpr21
	s_set_inst_prefetch_distance 0x1
	s_branch .LBB1171_216
	.p2align	6
.LBB1171_214:                           ;   in Loop: Header=BB1171_216 Depth=1
	global_load_u16 v63, v[59:60], off
	global_load_u16 v64, v[61:62], off
	v_add_co_u32 v59, vcc_lo, v59, 2
	v_add_co_ci_u32_e32 v60, vcc_lo, 0, v60, vcc_lo
	v_add_co_u32 v61, s0, v61, 2
	s_delay_alu instid0(VALU_DEP_1)
	v_add_co_ci_u32_e64 v62, s0, 0, v62, s0
	s_add_u32 s22, s22, 1
	s_addc_u32 s23, s23, 0
	s_and_not1_b32 s0, s21, exec_lo
	s_waitcnt vmcnt(1)
	v_lshlrev_b32_e32 v63, 16, v63
	s_waitcnt vmcnt(0)
	v_lshlrev_b32_e32 v64, 16, v64
	s_delay_alu instid0(VALU_DEP_1) | instskip(SKIP_1) | instid1(SALU_CYCLE_1)
	v_cmp_neq_f32_e32 vcc_lo, v64, v63
	s_and_b32 s21, vcc_lo, exec_lo
	s_or_b32 s21, s0, s21
.LBB1171_215:                           ;   in Loop: Header=BB1171_216 Depth=1
	v_dual_mov_b32 v64, s23 :: v_dual_mov_b32 v63, s22
	s_and_b32 s0, exec_lo, s21
	s_delay_alu instid0(SALU_CYCLE_1) | instskip(NEXT) | instid1(SALU_CYCLE_1)
	s_or_b32 s3, s0, s3
	s_and_not1_b32 exec_lo, exec_lo, s3
	s_cbranch_execz .LBB1171_218
.LBB1171_216:                           ; =>This Inner Loop Header: Depth=1
	s_or_b32 s21, s21, exec_lo
	s_cmp_eq_u64 s[14:15], s[22:23]
	s_cbranch_scc0 .LBB1171_214
; %bb.217:                              ;   in Loop: Header=BB1171_216 Depth=1
	s_mov_b64 s[22:23], s[8:9]
                                        ; implicit-def: $vgpr59_vgpr60
                                        ; implicit-def: $vgpr61_vgpr62
	s_branch .LBB1171_215
.LBB1171_218:
	s_set_inst_prefetch_distance 0x2
	s_or_b32 exec_lo, exec_lo, s3
	v_cmp_gt_i64_e32 vcc_lo, s[8:9], v[63:64]
	s_mov_b32 s0, 0
	s_delay_alu instid0(SALU_CYCLE_1)
	v_mov_b32_e32 v144, s0
	v_cndmask_b32_e64 v143, 0, 1, vcc_lo
.LBB1171_219:
	s_or_b32 exec_lo, exec_lo, s1
.LBB1171_220:
	v_mul_lo_u32 v61, v30, s8
	v_mul_lo_u32 v62, v29, s9
	v_mad_u64_u32 v[59:60], null, v29, s8, 0
	v_mov_b32_e32 v147, 0
	v_mov_b32_e32 v148, 0
	v_cmp_ne_u32_e32 vcc_lo, 1, v65
	s_delay_alu instid0(VALU_DEP_2) | instskip(SKIP_1) | instid1(VALU_DEP_1)
	v_dual_mov_b32 v145, v147 :: v_dual_mov_b32 v146, v148
	v_add3_u32 v60, v60, v62, v61
	v_lshlrev_b64 v[59:60], 1, v[59:60]
	s_cbranch_vccnz .LBB1171_229
; %bb.221:
	s_delay_alu instid0(VALU_DEP_1) | instskip(NEXT) | instid1(VALU_DEP_2)
	v_add_co_u32 v63, vcc_lo, s10, v59
	v_add_co_ci_u32_e32 v64, vcc_lo, s11, v60, vcc_lo
	v_add_co_u32 v61, vcc_lo, s10, v57
	v_add_co_ci_u32_e32 v62, vcc_lo, s11, v58, vcc_lo
	s_mov_b32 s1, exec_lo
	s_clause 0x1
	global_load_u16 v57, v[63:64], off
	global_load_u16 v58, v[61:62], off
	v_mov_b32_e32 v145, 1
	s_waitcnt vmcnt(1)
	v_dual_mov_b32 v146, 0 :: v_dual_lshlrev_b32 v57, 16, v57
	s_waitcnt vmcnt(0)
	v_lshlrev_b32_e32 v58, 16, v58
	s_delay_alu instid0(VALU_DEP_1)
	v_cmpx_eq_f32_e32 v58, v57
	s_cbranch_execz .LBB1171_228
; %bb.222:
	v_add_co_u32 v57, vcc_lo, v63, 2
	v_add_co_ci_u32_e32 v58, vcc_lo, 0, v64, vcc_lo
	v_add_co_u32 v61, vcc_lo, v61, 2
	v_add_co_ci_u32_e32 v62, vcc_lo, 0, v62, vcc_lo
	s_add_u32 s14, s8, -1
	s_addc_u32 s15, s9, -1
	s_mov_b64 s[22:23], 0
	s_mov_b32 s3, 0
                                        ; implicit-def: $sgpr21
	s_set_inst_prefetch_distance 0x1
	s_branch .LBB1171_225
	.p2align	6
.LBB1171_223:                           ;   in Loop: Header=BB1171_225 Depth=1
	global_load_u16 v63, v[57:58], off
	global_load_u16 v64, v[61:62], off
	v_add_co_u32 v57, vcc_lo, v57, 2
	v_add_co_ci_u32_e32 v58, vcc_lo, 0, v58, vcc_lo
	v_add_co_u32 v61, s0, v61, 2
	s_delay_alu instid0(VALU_DEP_1)
	v_add_co_ci_u32_e64 v62, s0, 0, v62, s0
	s_add_u32 s22, s22, 1
	s_addc_u32 s23, s23, 0
	s_and_not1_b32 s0, s21, exec_lo
	s_waitcnt vmcnt(1)
	v_lshlrev_b32_e32 v63, 16, v63
	s_waitcnt vmcnt(0)
	v_lshlrev_b32_e32 v64, 16, v64
	s_delay_alu instid0(VALU_DEP_1) | instskip(SKIP_1) | instid1(SALU_CYCLE_1)
	v_cmp_neq_f32_e32 vcc_lo, v64, v63
	s_and_b32 s21, vcc_lo, exec_lo
	s_or_b32 s21, s0, s21
.LBB1171_224:                           ;   in Loop: Header=BB1171_225 Depth=1
	v_dual_mov_b32 v64, s23 :: v_dual_mov_b32 v63, s22
	s_and_b32 s0, exec_lo, s21
	s_delay_alu instid0(SALU_CYCLE_1) | instskip(NEXT) | instid1(SALU_CYCLE_1)
	s_or_b32 s3, s0, s3
	s_and_not1_b32 exec_lo, exec_lo, s3
	s_cbranch_execz .LBB1171_227
.LBB1171_225:                           ; =>This Inner Loop Header: Depth=1
	s_or_b32 s21, s21, exec_lo
	s_cmp_eq_u64 s[14:15], s[22:23]
	s_cbranch_scc0 .LBB1171_223
; %bb.226:                              ;   in Loop: Header=BB1171_225 Depth=1
	s_mov_b64 s[22:23], s[8:9]
                                        ; implicit-def: $vgpr57_vgpr58
                                        ; implicit-def: $vgpr61_vgpr62
	s_branch .LBB1171_224
.LBB1171_227:
	s_set_inst_prefetch_distance 0x2
	s_or_b32 exec_lo, exec_lo, s3
	v_cmp_gt_i64_e32 vcc_lo, s[8:9], v[63:64]
	s_mov_b32 s0, 0
	s_delay_alu instid0(SALU_CYCLE_1)
	v_mov_b32_e32 v146, s0
	v_cndmask_b32_e64 v145, 0, 1, vcc_lo
.LBB1171_228:
	s_or_b32 exec_lo, exec_lo, s1
.LBB1171_229:
	v_mul_lo_u32 v61, v28, s8
	v_mul_lo_u32 v62, v27, s9
	v_mad_u64_u32 v[57:58], null, v27, s8, 0
	v_cmp_ne_u32_e32 vcc_lo, 1, v65
	s_delay_alu instid0(VALU_DEP_2) | instskip(NEXT) | instid1(VALU_DEP_1)
	v_add3_u32 v58, v58, v62, v61
	v_lshlrev_b64 v[57:58], 1, v[57:58]
	s_cbranch_vccnz .LBB1171_238
; %bb.230:
	s_delay_alu instid0(VALU_DEP_1) | instskip(NEXT) | instid1(VALU_DEP_2)
	v_add_co_u32 v63, vcc_lo, s10, v57
	v_add_co_ci_u32_e32 v64, vcc_lo, s11, v58, vcc_lo
	v_add_co_u32 v61, vcc_lo, s10, v59
	v_add_co_ci_u32_e32 v62, vcc_lo, s11, v60, vcc_lo
	s_mov_b32 s1, exec_lo
	s_clause 0x1
	global_load_u16 v59, v[63:64], off
	global_load_u16 v60, v[61:62], off
	v_mov_b32_e32 v147, 1
	s_waitcnt vmcnt(1)
	v_dual_mov_b32 v148, 0 :: v_dual_lshlrev_b32 v59, 16, v59
	s_waitcnt vmcnt(0)
	v_lshlrev_b32_e32 v60, 16, v60
	s_delay_alu instid0(VALU_DEP_1)
	v_cmpx_eq_f32_e32 v60, v59
	s_cbranch_execz .LBB1171_237
; %bb.231:
	v_add_co_u32 v59, vcc_lo, v63, 2
	v_add_co_ci_u32_e32 v60, vcc_lo, 0, v64, vcc_lo
	v_add_co_u32 v61, vcc_lo, v61, 2
	v_add_co_ci_u32_e32 v62, vcc_lo, 0, v62, vcc_lo
	s_add_u32 s14, s8, -1
	s_addc_u32 s15, s9, -1
	s_mov_b64 s[22:23], 0
	s_mov_b32 s3, 0
                                        ; implicit-def: $sgpr21
	s_set_inst_prefetch_distance 0x1
	s_branch .LBB1171_234
	.p2align	6
.LBB1171_232:                           ;   in Loop: Header=BB1171_234 Depth=1
	global_load_u16 v63, v[59:60], off
	global_load_u16 v64, v[61:62], off
	v_add_co_u32 v59, vcc_lo, v59, 2
	v_add_co_ci_u32_e32 v60, vcc_lo, 0, v60, vcc_lo
	v_add_co_u32 v61, s0, v61, 2
	s_delay_alu instid0(VALU_DEP_1)
	v_add_co_ci_u32_e64 v62, s0, 0, v62, s0
	s_add_u32 s22, s22, 1
	s_addc_u32 s23, s23, 0
	s_and_not1_b32 s0, s21, exec_lo
	s_waitcnt vmcnt(1)
	v_lshlrev_b32_e32 v63, 16, v63
	s_waitcnt vmcnt(0)
	v_lshlrev_b32_e32 v64, 16, v64
	s_delay_alu instid0(VALU_DEP_1) | instskip(SKIP_1) | instid1(SALU_CYCLE_1)
	v_cmp_neq_f32_e32 vcc_lo, v64, v63
	s_and_b32 s21, vcc_lo, exec_lo
	s_or_b32 s21, s0, s21
.LBB1171_233:                           ;   in Loop: Header=BB1171_234 Depth=1
	v_dual_mov_b32 v64, s23 :: v_dual_mov_b32 v63, s22
	s_and_b32 s0, exec_lo, s21
	s_delay_alu instid0(SALU_CYCLE_1) | instskip(NEXT) | instid1(SALU_CYCLE_1)
	s_or_b32 s3, s0, s3
	s_and_not1_b32 exec_lo, exec_lo, s3
	s_cbranch_execz .LBB1171_236
.LBB1171_234:                           ; =>This Inner Loop Header: Depth=1
	s_or_b32 s21, s21, exec_lo
	s_cmp_eq_u64 s[14:15], s[22:23]
	s_cbranch_scc0 .LBB1171_232
; %bb.235:                              ;   in Loop: Header=BB1171_234 Depth=1
	s_mov_b64 s[22:23], s[8:9]
                                        ; implicit-def: $vgpr59_vgpr60
                                        ; implicit-def: $vgpr61_vgpr62
	s_branch .LBB1171_233
.LBB1171_236:
	s_set_inst_prefetch_distance 0x2
	s_or_b32 exec_lo, exec_lo, s3
	v_cmp_gt_i64_e32 vcc_lo, s[8:9], v[63:64]
	s_mov_b32 s0, 0
	s_delay_alu instid0(SALU_CYCLE_1)
	v_mov_b32_e32 v148, s0
	v_cndmask_b32_e64 v147, 0, 1, vcc_lo
.LBB1171_237:
	s_or_b32 exec_lo, exec_lo, s1
.LBB1171_238:
	v_mul_lo_u32 v61, v26, s8
	v_mul_lo_u32 v62, v25, s9
	v_mad_u64_u32 v[59:60], null, v25, s8, 0
	v_mov_b32_e32 v151, 0
	v_mov_b32_e32 v152, 0
	v_cmp_ne_u32_e32 vcc_lo, 1, v65
	s_delay_alu instid0(VALU_DEP_2) | instskip(SKIP_1) | instid1(VALU_DEP_1)
	v_dual_mov_b32 v149, v151 :: v_dual_mov_b32 v150, v152
	v_add3_u32 v60, v60, v62, v61
	v_lshlrev_b64 v[59:60], 1, v[59:60]
	s_cbranch_vccnz .LBB1171_247
; %bb.239:
	s_delay_alu instid0(VALU_DEP_1) | instskip(NEXT) | instid1(VALU_DEP_2)
	v_add_co_u32 v63, vcc_lo, s10, v59
	v_add_co_ci_u32_e32 v64, vcc_lo, s11, v60, vcc_lo
	v_add_co_u32 v61, vcc_lo, s10, v57
	v_add_co_ci_u32_e32 v62, vcc_lo, s11, v58, vcc_lo
	s_mov_b32 s1, exec_lo
	s_clause 0x1
	global_load_u16 v57, v[63:64], off
	global_load_u16 v58, v[61:62], off
	v_mov_b32_e32 v149, 1
	s_waitcnt vmcnt(1)
	v_dual_mov_b32 v150, 0 :: v_dual_lshlrev_b32 v57, 16, v57
	s_waitcnt vmcnt(0)
	v_lshlrev_b32_e32 v58, 16, v58
	s_delay_alu instid0(VALU_DEP_1)
	v_cmpx_eq_f32_e32 v58, v57
	s_cbranch_execz .LBB1171_246
; %bb.240:
	v_add_co_u32 v57, vcc_lo, v63, 2
	v_add_co_ci_u32_e32 v58, vcc_lo, 0, v64, vcc_lo
	v_add_co_u32 v61, vcc_lo, v61, 2
	v_add_co_ci_u32_e32 v62, vcc_lo, 0, v62, vcc_lo
	s_add_u32 s14, s8, -1
	s_addc_u32 s15, s9, -1
	s_mov_b64 s[22:23], 0
	s_mov_b32 s3, 0
                                        ; implicit-def: $sgpr21
	s_set_inst_prefetch_distance 0x1
	s_branch .LBB1171_243
	.p2align	6
.LBB1171_241:                           ;   in Loop: Header=BB1171_243 Depth=1
	global_load_u16 v63, v[57:58], off
	global_load_u16 v64, v[61:62], off
	v_add_co_u32 v57, vcc_lo, v57, 2
	v_add_co_ci_u32_e32 v58, vcc_lo, 0, v58, vcc_lo
	v_add_co_u32 v61, s0, v61, 2
	s_delay_alu instid0(VALU_DEP_1)
	v_add_co_ci_u32_e64 v62, s0, 0, v62, s0
	s_add_u32 s22, s22, 1
	s_addc_u32 s23, s23, 0
	s_and_not1_b32 s0, s21, exec_lo
	s_waitcnt vmcnt(1)
	v_lshlrev_b32_e32 v63, 16, v63
	s_waitcnt vmcnt(0)
	v_lshlrev_b32_e32 v64, 16, v64
	s_delay_alu instid0(VALU_DEP_1) | instskip(SKIP_1) | instid1(SALU_CYCLE_1)
	v_cmp_neq_f32_e32 vcc_lo, v64, v63
	s_and_b32 s21, vcc_lo, exec_lo
	s_or_b32 s21, s0, s21
.LBB1171_242:                           ;   in Loop: Header=BB1171_243 Depth=1
	v_dual_mov_b32 v64, s23 :: v_dual_mov_b32 v63, s22
	s_and_b32 s0, exec_lo, s21
	s_delay_alu instid0(SALU_CYCLE_1) | instskip(NEXT) | instid1(SALU_CYCLE_1)
	s_or_b32 s3, s0, s3
	s_and_not1_b32 exec_lo, exec_lo, s3
	s_cbranch_execz .LBB1171_245
.LBB1171_243:                           ; =>This Inner Loop Header: Depth=1
	s_or_b32 s21, s21, exec_lo
	s_cmp_eq_u64 s[14:15], s[22:23]
	s_cbranch_scc0 .LBB1171_241
; %bb.244:                              ;   in Loop: Header=BB1171_243 Depth=1
	s_mov_b64 s[22:23], s[8:9]
                                        ; implicit-def: $vgpr57_vgpr58
                                        ; implicit-def: $vgpr61_vgpr62
	s_branch .LBB1171_242
.LBB1171_245:
	s_set_inst_prefetch_distance 0x2
	s_or_b32 exec_lo, exec_lo, s3
	v_cmp_gt_i64_e32 vcc_lo, s[8:9], v[63:64]
	s_mov_b32 s0, 0
	s_delay_alu instid0(SALU_CYCLE_1)
	v_mov_b32_e32 v150, s0
	v_cndmask_b32_e64 v149, 0, 1, vcc_lo
.LBB1171_246:
	s_or_b32 exec_lo, exec_lo, s1
.LBB1171_247:
	v_mul_lo_u32 v61, v24, s8
	v_mul_lo_u32 v62, v23, s9
	v_mad_u64_u32 v[57:58], null, v23, s8, 0
	v_cmp_ne_u32_e32 vcc_lo, 1, v65
	s_delay_alu instid0(VALU_DEP_2) | instskip(NEXT) | instid1(VALU_DEP_1)
	v_add3_u32 v58, v58, v62, v61
	v_lshlrev_b64 v[57:58], 1, v[57:58]
	s_cbranch_vccnz .LBB1171_256
; %bb.248:
	s_delay_alu instid0(VALU_DEP_1) | instskip(NEXT) | instid1(VALU_DEP_2)
	v_add_co_u32 v63, vcc_lo, s10, v57
	v_add_co_ci_u32_e32 v64, vcc_lo, s11, v58, vcc_lo
	v_add_co_u32 v61, vcc_lo, s10, v59
	v_add_co_ci_u32_e32 v62, vcc_lo, s11, v60, vcc_lo
	s_mov_b32 s1, exec_lo
	s_clause 0x1
	global_load_u16 v59, v[63:64], off
	global_load_u16 v60, v[61:62], off
	v_mov_b32_e32 v151, 1
	s_waitcnt vmcnt(1)
	v_dual_mov_b32 v152, 0 :: v_dual_lshlrev_b32 v59, 16, v59
	s_waitcnt vmcnt(0)
	v_lshlrev_b32_e32 v60, 16, v60
	s_delay_alu instid0(VALU_DEP_1)
	v_cmpx_eq_f32_e32 v60, v59
	s_cbranch_execz .LBB1171_255
; %bb.249:
	v_add_co_u32 v59, vcc_lo, v63, 2
	v_add_co_ci_u32_e32 v60, vcc_lo, 0, v64, vcc_lo
	v_add_co_u32 v61, vcc_lo, v61, 2
	v_add_co_ci_u32_e32 v62, vcc_lo, 0, v62, vcc_lo
	s_add_u32 s14, s8, -1
	s_addc_u32 s15, s9, -1
	s_mov_b64 s[22:23], 0
	s_mov_b32 s3, 0
                                        ; implicit-def: $sgpr21
	s_set_inst_prefetch_distance 0x1
	s_branch .LBB1171_252
	.p2align	6
.LBB1171_250:                           ;   in Loop: Header=BB1171_252 Depth=1
	global_load_u16 v63, v[59:60], off
	global_load_u16 v64, v[61:62], off
	v_add_co_u32 v59, vcc_lo, v59, 2
	v_add_co_ci_u32_e32 v60, vcc_lo, 0, v60, vcc_lo
	v_add_co_u32 v61, s0, v61, 2
	s_delay_alu instid0(VALU_DEP_1)
	v_add_co_ci_u32_e64 v62, s0, 0, v62, s0
	s_add_u32 s22, s22, 1
	s_addc_u32 s23, s23, 0
	s_and_not1_b32 s0, s21, exec_lo
	s_waitcnt vmcnt(1)
	v_lshlrev_b32_e32 v63, 16, v63
	s_waitcnt vmcnt(0)
	v_lshlrev_b32_e32 v64, 16, v64
	s_delay_alu instid0(VALU_DEP_1) | instskip(SKIP_1) | instid1(SALU_CYCLE_1)
	v_cmp_neq_f32_e32 vcc_lo, v64, v63
	s_and_b32 s21, vcc_lo, exec_lo
	s_or_b32 s21, s0, s21
.LBB1171_251:                           ;   in Loop: Header=BB1171_252 Depth=1
	v_dual_mov_b32 v64, s23 :: v_dual_mov_b32 v63, s22
	s_and_b32 s0, exec_lo, s21
	s_delay_alu instid0(SALU_CYCLE_1) | instskip(NEXT) | instid1(SALU_CYCLE_1)
	s_or_b32 s3, s0, s3
	s_and_not1_b32 exec_lo, exec_lo, s3
	s_cbranch_execz .LBB1171_254
.LBB1171_252:                           ; =>This Inner Loop Header: Depth=1
	s_or_b32 s21, s21, exec_lo
	s_cmp_eq_u64 s[14:15], s[22:23]
	s_cbranch_scc0 .LBB1171_250
; %bb.253:                              ;   in Loop: Header=BB1171_252 Depth=1
	s_mov_b64 s[22:23], s[8:9]
                                        ; implicit-def: $vgpr59_vgpr60
                                        ; implicit-def: $vgpr61_vgpr62
	s_branch .LBB1171_251
.LBB1171_254:
	s_set_inst_prefetch_distance 0x2
	s_or_b32 exec_lo, exec_lo, s3
	v_cmp_gt_i64_e32 vcc_lo, s[8:9], v[63:64]
	s_mov_b32 s0, 0
	s_delay_alu instid0(SALU_CYCLE_1)
	v_mov_b32_e32 v152, s0
	v_cndmask_b32_e64 v151, 0, 1, vcc_lo
.LBB1171_255:
	s_or_b32 exec_lo, exec_lo, s1
.LBB1171_256:
	v_mul_lo_u32 v61, v22, s8
	v_mul_lo_u32 v62, v21, s9
	v_mad_u64_u32 v[59:60], null, v21, s8, 0
	v_mov_b32_e32 v155, 0
	v_mov_b32_e32 v156, 0
	v_cmp_ne_u32_e32 vcc_lo, 1, v65
	s_delay_alu instid0(VALU_DEP_2) | instskip(SKIP_1) | instid1(VALU_DEP_1)
	v_dual_mov_b32 v153, v155 :: v_dual_mov_b32 v154, v156
	v_add3_u32 v60, v60, v62, v61
	v_lshlrev_b64 v[59:60], 1, v[59:60]
	s_cbranch_vccnz .LBB1171_265
; %bb.257:
	s_delay_alu instid0(VALU_DEP_1) | instskip(NEXT) | instid1(VALU_DEP_2)
	v_add_co_u32 v63, vcc_lo, s10, v59
	v_add_co_ci_u32_e32 v64, vcc_lo, s11, v60, vcc_lo
	v_add_co_u32 v61, vcc_lo, s10, v57
	v_add_co_ci_u32_e32 v62, vcc_lo, s11, v58, vcc_lo
	s_mov_b32 s1, exec_lo
	s_clause 0x1
	global_load_u16 v57, v[63:64], off
	global_load_u16 v58, v[61:62], off
	v_mov_b32_e32 v153, 1
	s_waitcnt vmcnt(1)
	v_dual_mov_b32 v154, 0 :: v_dual_lshlrev_b32 v57, 16, v57
	s_waitcnt vmcnt(0)
	v_lshlrev_b32_e32 v58, 16, v58
	s_delay_alu instid0(VALU_DEP_1)
	v_cmpx_eq_f32_e32 v58, v57
	s_cbranch_execz .LBB1171_264
; %bb.258:
	v_add_co_u32 v57, vcc_lo, v63, 2
	v_add_co_ci_u32_e32 v58, vcc_lo, 0, v64, vcc_lo
	v_add_co_u32 v61, vcc_lo, v61, 2
	v_add_co_ci_u32_e32 v62, vcc_lo, 0, v62, vcc_lo
	s_add_u32 s14, s8, -1
	s_addc_u32 s15, s9, -1
	s_mov_b64 s[22:23], 0
	s_mov_b32 s3, 0
                                        ; implicit-def: $sgpr21
	s_set_inst_prefetch_distance 0x1
	s_branch .LBB1171_261
	.p2align	6
.LBB1171_259:                           ;   in Loop: Header=BB1171_261 Depth=1
	global_load_u16 v63, v[57:58], off
	global_load_u16 v64, v[61:62], off
	v_add_co_u32 v57, vcc_lo, v57, 2
	v_add_co_ci_u32_e32 v58, vcc_lo, 0, v58, vcc_lo
	v_add_co_u32 v61, s0, v61, 2
	s_delay_alu instid0(VALU_DEP_1)
	v_add_co_ci_u32_e64 v62, s0, 0, v62, s0
	s_add_u32 s22, s22, 1
	s_addc_u32 s23, s23, 0
	s_and_not1_b32 s0, s21, exec_lo
	s_waitcnt vmcnt(1)
	v_lshlrev_b32_e32 v63, 16, v63
	s_waitcnt vmcnt(0)
	v_lshlrev_b32_e32 v64, 16, v64
	s_delay_alu instid0(VALU_DEP_1) | instskip(SKIP_1) | instid1(SALU_CYCLE_1)
	v_cmp_neq_f32_e32 vcc_lo, v64, v63
	s_and_b32 s21, vcc_lo, exec_lo
	s_or_b32 s21, s0, s21
.LBB1171_260:                           ;   in Loop: Header=BB1171_261 Depth=1
	v_dual_mov_b32 v64, s23 :: v_dual_mov_b32 v63, s22
	s_and_b32 s0, exec_lo, s21
	s_delay_alu instid0(SALU_CYCLE_1) | instskip(NEXT) | instid1(SALU_CYCLE_1)
	s_or_b32 s3, s0, s3
	s_and_not1_b32 exec_lo, exec_lo, s3
	s_cbranch_execz .LBB1171_263
.LBB1171_261:                           ; =>This Inner Loop Header: Depth=1
	s_or_b32 s21, s21, exec_lo
	s_cmp_eq_u64 s[14:15], s[22:23]
	s_cbranch_scc0 .LBB1171_259
; %bb.262:                              ;   in Loop: Header=BB1171_261 Depth=1
	s_mov_b64 s[22:23], s[8:9]
                                        ; implicit-def: $vgpr57_vgpr58
                                        ; implicit-def: $vgpr61_vgpr62
	s_branch .LBB1171_260
.LBB1171_263:
	s_set_inst_prefetch_distance 0x2
	s_or_b32 exec_lo, exec_lo, s3
	v_cmp_gt_i64_e32 vcc_lo, s[8:9], v[63:64]
	s_mov_b32 s0, 0
	s_delay_alu instid0(SALU_CYCLE_1)
	v_mov_b32_e32 v154, s0
	v_cndmask_b32_e64 v153, 0, 1, vcc_lo
.LBB1171_264:
	s_or_b32 exec_lo, exec_lo, s1
.LBB1171_265:
	v_mul_lo_u32 v61, v20, s8
	v_mul_lo_u32 v62, v19, s9
	v_mad_u64_u32 v[57:58], null, v19, s8, 0
	v_cmp_ne_u32_e32 vcc_lo, 1, v65
	s_delay_alu instid0(VALU_DEP_2) | instskip(NEXT) | instid1(VALU_DEP_1)
	v_add3_u32 v58, v58, v62, v61
	v_lshlrev_b64 v[57:58], 1, v[57:58]
	s_cbranch_vccnz .LBB1171_274
; %bb.266:
	s_delay_alu instid0(VALU_DEP_1) | instskip(NEXT) | instid1(VALU_DEP_2)
	v_add_co_u32 v63, vcc_lo, s10, v57
	v_add_co_ci_u32_e32 v64, vcc_lo, s11, v58, vcc_lo
	v_add_co_u32 v61, vcc_lo, s10, v59
	v_add_co_ci_u32_e32 v62, vcc_lo, s11, v60, vcc_lo
	s_mov_b32 s1, exec_lo
	s_clause 0x1
	global_load_u16 v59, v[63:64], off
	global_load_u16 v60, v[61:62], off
	v_mov_b32_e32 v155, 1
	s_waitcnt vmcnt(1)
	v_dual_mov_b32 v156, 0 :: v_dual_lshlrev_b32 v59, 16, v59
	s_waitcnt vmcnt(0)
	v_lshlrev_b32_e32 v60, 16, v60
	s_delay_alu instid0(VALU_DEP_1)
	v_cmpx_eq_f32_e32 v60, v59
	s_cbranch_execz .LBB1171_273
; %bb.267:
	v_add_co_u32 v59, vcc_lo, v63, 2
	v_add_co_ci_u32_e32 v60, vcc_lo, 0, v64, vcc_lo
	v_add_co_u32 v61, vcc_lo, v61, 2
	v_add_co_ci_u32_e32 v62, vcc_lo, 0, v62, vcc_lo
	s_add_u32 s14, s8, -1
	s_addc_u32 s15, s9, -1
	s_mov_b64 s[22:23], 0
	s_mov_b32 s3, 0
                                        ; implicit-def: $sgpr21
	s_set_inst_prefetch_distance 0x1
	s_branch .LBB1171_270
	.p2align	6
.LBB1171_268:                           ;   in Loop: Header=BB1171_270 Depth=1
	global_load_u16 v63, v[59:60], off
	global_load_u16 v64, v[61:62], off
	v_add_co_u32 v59, vcc_lo, v59, 2
	v_add_co_ci_u32_e32 v60, vcc_lo, 0, v60, vcc_lo
	v_add_co_u32 v61, s0, v61, 2
	s_delay_alu instid0(VALU_DEP_1)
	v_add_co_ci_u32_e64 v62, s0, 0, v62, s0
	s_add_u32 s22, s22, 1
	s_addc_u32 s23, s23, 0
	s_and_not1_b32 s0, s21, exec_lo
	s_waitcnt vmcnt(1)
	v_lshlrev_b32_e32 v63, 16, v63
	s_waitcnt vmcnt(0)
	v_lshlrev_b32_e32 v64, 16, v64
	s_delay_alu instid0(VALU_DEP_1) | instskip(SKIP_1) | instid1(SALU_CYCLE_1)
	v_cmp_neq_f32_e32 vcc_lo, v64, v63
	s_and_b32 s21, vcc_lo, exec_lo
	s_or_b32 s21, s0, s21
.LBB1171_269:                           ;   in Loop: Header=BB1171_270 Depth=1
	v_dual_mov_b32 v64, s23 :: v_dual_mov_b32 v63, s22
	s_and_b32 s0, exec_lo, s21
	s_delay_alu instid0(SALU_CYCLE_1) | instskip(NEXT) | instid1(SALU_CYCLE_1)
	s_or_b32 s3, s0, s3
	s_and_not1_b32 exec_lo, exec_lo, s3
	s_cbranch_execz .LBB1171_272
.LBB1171_270:                           ; =>This Inner Loop Header: Depth=1
	s_or_b32 s21, s21, exec_lo
	s_cmp_eq_u64 s[14:15], s[22:23]
	s_cbranch_scc0 .LBB1171_268
; %bb.271:                              ;   in Loop: Header=BB1171_270 Depth=1
	s_mov_b64 s[22:23], s[8:9]
                                        ; implicit-def: $vgpr59_vgpr60
                                        ; implicit-def: $vgpr61_vgpr62
	s_branch .LBB1171_269
.LBB1171_272:
	s_set_inst_prefetch_distance 0x2
	s_or_b32 exec_lo, exec_lo, s3
	v_cmp_gt_i64_e32 vcc_lo, s[8:9], v[63:64]
	s_mov_b32 s0, 0
	s_delay_alu instid0(SALU_CYCLE_1)
	v_mov_b32_e32 v156, s0
	v_cndmask_b32_e64 v155, 0, 1, vcc_lo
.LBB1171_273:
	s_or_b32 exec_lo, exec_lo, s1
.LBB1171_274:
	v_mul_lo_u32 v61, v18, s8
	v_mul_lo_u32 v62, v17, s9
	v_mad_u64_u32 v[59:60], null, v17, s8, 0
	v_mov_b32_e32 v159, 0
	v_mov_b32_e32 v160, 0
	v_cmp_ne_u32_e32 vcc_lo, 1, v65
	s_delay_alu instid0(VALU_DEP_2) | instskip(SKIP_1) | instid1(VALU_DEP_1)
	v_dual_mov_b32 v157, v159 :: v_dual_mov_b32 v158, v160
	v_add3_u32 v60, v60, v62, v61
	v_lshlrev_b64 v[59:60], 1, v[59:60]
	s_cbranch_vccnz .LBB1171_283
; %bb.275:
	s_delay_alu instid0(VALU_DEP_1) | instskip(NEXT) | instid1(VALU_DEP_2)
	v_add_co_u32 v63, vcc_lo, s10, v59
	v_add_co_ci_u32_e32 v64, vcc_lo, s11, v60, vcc_lo
	v_add_co_u32 v61, vcc_lo, s10, v57
	v_add_co_ci_u32_e32 v62, vcc_lo, s11, v58, vcc_lo
	s_mov_b32 s1, exec_lo
	s_clause 0x1
	global_load_u16 v57, v[63:64], off
	global_load_u16 v58, v[61:62], off
	v_mov_b32_e32 v157, 1
	s_waitcnt vmcnt(1)
	v_dual_mov_b32 v158, 0 :: v_dual_lshlrev_b32 v57, 16, v57
	s_waitcnt vmcnt(0)
	v_lshlrev_b32_e32 v58, 16, v58
	s_delay_alu instid0(VALU_DEP_1)
	v_cmpx_eq_f32_e32 v58, v57
	s_cbranch_execz .LBB1171_282
; %bb.276:
	v_add_co_u32 v57, vcc_lo, v63, 2
	v_add_co_ci_u32_e32 v58, vcc_lo, 0, v64, vcc_lo
	v_add_co_u32 v61, vcc_lo, v61, 2
	v_add_co_ci_u32_e32 v62, vcc_lo, 0, v62, vcc_lo
	s_add_u32 s14, s8, -1
	s_addc_u32 s15, s9, -1
	s_mov_b64 s[22:23], 0
	s_mov_b32 s3, 0
                                        ; implicit-def: $sgpr21
	s_set_inst_prefetch_distance 0x1
	s_branch .LBB1171_279
	.p2align	6
.LBB1171_277:                           ;   in Loop: Header=BB1171_279 Depth=1
	global_load_u16 v63, v[57:58], off
	global_load_u16 v64, v[61:62], off
	v_add_co_u32 v57, vcc_lo, v57, 2
	v_add_co_ci_u32_e32 v58, vcc_lo, 0, v58, vcc_lo
	v_add_co_u32 v61, s0, v61, 2
	s_delay_alu instid0(VALU_DEP_1)
	v_add_co_ci_u32_e64 v62, s0, 0, v62, s0
	s_add_u32 s22, s22, 1
	s_addc_u32 s23, s23, 0
	s_and_not1_b32 s0, s21, exec_lo
	s_waitcnt vmcnt(1)
	v_lshlrev_b32_e32 v63, 16, v63
	s_waitcnt vmcnt(0)
	v_lshlrev_b32_e32 v64, 16, v64
	s_delay_alu instid0(VALU_DEP_1) | instskip(SKIP_1) | instid1(SALU_CYCLE_1)
	v_cmp_neq_f32_e32 vcc_lo, v64, v63
	s_and_b32 s21, vcc_lo, exec_lo
	s_or_b32 s21, s0, s21
.LBB1171_278:                           ;   in Loop: Header=BB1171_279 Depth=1
	v_dual_mov_b32 v64, s23 :: v_dual_mov_b32 v63, s22
	s_and_b32 s0, exec_lo, s21
	s_delay_alu instid0(SALU_CYCLE_1) | instskip(NEXT) | instid1(SALU_CYCLE_1)
	s_or_b32 s3, s0, s3
	s_and_not1_b32 exec_lo, exec_lo, s3
	s_cbranch_execz .LBB1171_281
.LBB1171_279:                           ; =>This Inner Loop Header: Depth=1
	s_or_b32 s21, s21, exec_lo
	s_cmp_eq_u64 s[14:15], s[22:23]
	s_cbranch_scc0 .LBB1171_277
; %bb.280:                              ;   in Loop: Header=BB1171_279 Depth=1
	s_mov_b64 s[22:23], s[8:9]
                                        ; implicit-def: $vgpr57_vgpr58
                                        ; implicit-def: $vgpr61_vgpr62
	s_branch .LBB1171_278
.LBB1171_281:
	s_set_inst_prefetch_distance 0x2
	s_or_b32 exec_lo, exec_lo, s3
	v_cmp_gt_i64_e32 vcc_lo, s[8:9], v[63:64]
	s_mov_b32 s0, 0
	s_delay_alu instid0(SALU_CYCLE_1)
	v_mov_b32_e32 v158, s0
	v_cndmask_b32_e64 v157, 0, 1, vcc_lo
.LBB1171_282:
	s_or_b32 exec_lo, exec_lo, s1
.LBB1171_283:
	v_mul_lo_u32 v61, v16, s8
	v_mul_lo_u32 v62, v15, s9
	v_mad_u64_u32 v[57:58], null, v15, s8, 0
	v_cmp_ne_u32_e32 vcc_lo, 1, v65
	s_delay_alu instid0(VALU_DEP_2) | instskip(NEXT) | instid1(VALU_DEP_1)
	v_add3_u32 v58, v58, v62, v61
	v_lshlrev_b64 v[57:58], 1, v[57:58]
	s_cbranch_vccnz .LBB1171_292
; %bb.284:
	s_delay_alu instid0(VALU_DEP_1) | instskip(NEXT) | instid1(VALU_DEP_2)
	v_add_co_u32 v63, vcc_lo, s10, v57
	v_add_co_ci_u32_e32 v64, vcc_lo, s11, v58, vcc_lo
	v_add_co_u32 v61, vcc_lo, s10, v59
	v_add_co_ci_u32_e32 v62, vcc_lo, s11, v60, vcc_lo
	s_mov_b32 s1, exec_lo
	s_clause 0x1
	global_load_u16 v59, v[63:64], off
	global_load_u16 v60, v[61:62], off
	v_mov_b32_e32 v159, 1
	s_waitcnt vmcnt(1)
	v_dual_mov_b32 v160, 0 :: v_dual_lshlrev_b32 v59, 16, v59
	s_waitcnt vmcnt(0)
	v_lshlrev_b32_e32 v60, 16, v60
	s_delay_alu instid0(VALU_DEP_1)
	v_cmpx_eq_f32_e32 v60, v59
	s_cbranch_execz .LBB1171_291
; %bb.285:
	v_add_co_u32 v59, vcc_lo, v63, 2
	v_add_co_ci_u32_e32 v60, vcc_lo, 0, v64, vcc_lo
	v_add_co_u32 v61, vcc_lo, v61, 2
	v_add_co_ci_u32_e32 v62, vcc_lo, 0, v62, vcc_lo
	s_add_u32 s14, s8, -1
	s_addc_u32 s15, s9, -1
	s_mov_b64 s[22:23], 0
	s_mov_b32 s3, 0
                                        ; implicit-def: $sgpr21
	s_set_inst_prefetch_distance 0x1
	s_branch .LBB1171_288
	.p2align	6
.LBB1171_286:                           ;   in Loop: Header=BB1171_288 Depth=1
	global_load_u16 v63, v[59:60], off
	global_load_u16 v64, v[61:62], off
	v_add_co_u32 v59, vcc_lo, v59, 2
	v_add_co_ci_u32_e32 v60, vcc_lo, 0, v60, vcc_lo
	v_add_co_u32 v61, s0, v61, 2
	s_delay_alu instid0(VALU_DEP_1)
	v_add_co_ci_u32_e64 v62, s0, 0, v62, s0
	s_add_u32 s22, s22, 1
	s_addc_u32 s23, s23, 0
	s_and_not1_b32 s0, s21, exec_lo
	s_waitcnt vmcnt(1)
	v_lshlrev_b32_e32 v63, 16, v63
	s_waitcnt vmcnt(0)
	v_lshlrev_b32_e32 v64, 16, v64
	s_delay_alu instid0(VALU_DEP_1) | instskip(SKIP_1) | instid1(SALU_CYCLE_1)
	v_cmp_neq_f32_e32 vcc_lo, v64, v63
	s_and_b32 s21, vcc_lo, exec_lo
	s_or_b32 s21, s0, s21
.LBB1171_287:                           ;   in Loop: Header=BB1171_288 Depth=1
	v_dual_mov_b32 v64, s23 :: v_dual_mov_b32 v63, s22
	s_and_b32 s0, exec_lo, s21
	s_delay_alu instid0(SALU_CYCLE_1) | instskip(NEXT) | instid1(SALU_CYCLE_1)
	s_or_b32 s3, s0, s3
	s_and_not1_b32 exec_lo, exec_lo, s3
	s_cbranch_execz .LBB1171_290
.LBB1171_288:                           ; =>This Inner Loop Header: Depth=1
	s_or_b32 s21, s21, exec_lo
	s_cmp_eq_u64 s[14:15], s[22:23]
	s_cbranch_scc0 .LBB1171_286
; %bb.289:                              ;   in Loop: Header=BB1171_288 Depth=1
	s_mov_b64 s[22:23], s[8:9]
                                        ; implicit-def: $vgpr59_vgpr60
                                        ; implicit-def: $vgpr61_vgpr62
	s_branch .LBB1171_287
.LBB1171_290:
	s_set_inst_prefetch_distance 0x2
	s_or_b32 exec_lo, exec_lo, s3
	v_cmp_gt_i64_e32 vcc_lo, s[8:9], v[63:64]
	s_mov_b32 s0, 0
	s_delay_alu instid0(SALU_CYCLE_1)
	v_mov_b32_e32 v160, s0
	v_cndmask_b32_e64 v159, 0, 1, vcc_lo
.LBB1171_291:
	s_or_b32 exec_lo, exec_lo, s1
.LBB1171_292:
	v_mul_lo_u32 v61, v14, s8
	v_mul_lo_u32 v62, v13, s9
	v_mad_u64_u32 v[59:60], null, v13, s8, 0
	v_mov_b32_e32 v163, 0
	v_mov_b32_e32 v164, 0
	v_cmp_ne_u32_e32 vcc_lo, 1, v65
	s_delay_alu instid0(VALU_DEP_2) | instskip(SKIP_1) | instid1(VALU_DEP_1)
	v_dual_mov_b32 v161, v163 :: v_dual_mov_b32 v162, v164
	v_add3_u32 v60, v60, v62, v61
	v_lshlrev_b64 v[59:60], 1, v[59:60]
	s_cbranch_vccnz .LBB1171_301
; %bb.293:
	s_delay_alu instid0(VALU_DEP_1) | instskip(NEXT) | instid1(VALU_DEP_2)
	v_add_co_u32 v63, vcc_lo, s10, v59
	v_add_co_ci_u32_e32 v64, vcc_lo, s11, v60, vcc_lo
	v_add_co_u32 v61, vcc_lo, s10, v57
	v_add_co_ci_u32_e32 v62, vcc_lo, s11, v58, vcc_lo
	s_mov_b32 s1, exec_lo
	s_clause 0x1
	global_load_u16 v57, v[63:64], off
	global_load_u16 v58, v[61:62], off
	v_mov_b32_e32 v161, 1
	s_waitcnt vmcnt(1)
	v_dual_mov_b32 v162, 0 :: v_dual_lshlrev_b32 v57, 16, v57
	s_waitcnt vmcnt(0)
	v_lshlrev_b32_e32 v58, 16, v58
	s_delay_alu instid0(VALU_DEP_1)
	v_cmpx_eq_f32_e32 v58, v57
	s_cbranch_execz .LBB1171_300
; %bb.294:
	v_add_co_u32 v57, vcc_lo, v63, 2
	v_add_co_ci_u32_e32 v58, vcc_lo, 0, v64, vcc_lo
	v_add_co_u32 v61, vcc_lo, v61, 2
	v_add_co_ci_u32_e32 v62, vcc_lo, 0, v62, vcc_lo
	s_add_u32 s14, s8, -1
	s_addc_u32 s15, s9, -1
	s_mov_b64 s[22:23], 0
	s_mov_b32 s3, 0
                                        ; implicit-def: $sgpr21
	s_set_inst_prefetch_distance 0x1
	s_branch .LBB1171_297
	.p2align	6
.LBB1171_295:                           ;   in Loop: Header=BB1171_297 Depth=1
	global_load_u16 v63, v[57:58], off
	global_load_u16 v64, v[61:62], off
	v_add_co_u32 v57, vcc_lo, v57, 2
	v_add_co_ci_u32_e32 v58, vcc_lo, 0, v58, vcc_lo
	v_add_co_u32 v61, s0, v61, 2
	s_delay_alu instid0(VALU_DEP_1)
	v_add_co_ci_u32_e64 v62, s0, 0, v62, s0
	s_add_u32 s22, s22, 1
	s_addc_u32 s23, s23, 0
	s_and_not1_b32 s0, s21, exec_lo
	s_waitcnt vmcnt(1)
	v_lshlrev_b32_e32 v63, 16, v63
	s_waitcnt vmcnt(0)
	v_lshlrev_b32_e32 v64, 16, v64
	s_delay_alu instid0(VALU_DEP_1) | instskip(SKIP_1) | instid1(SALU_CYCLE_1)
	v_cmp_neq_f32_e32 vcc_lo, v64, v63
	s_and_b32 s21, vcc_lo, exec_lo
	s_or_b32 s21, s0, s21
.LBB1171_296:                           ;   in Loop: Header=BB1171_297 Depth=1
	v_dual_mov_b32 v64, s23 :: v_dual_mov_b32 v63, s22
	s_and_b32 s0, exec_lo, s21
	s_delay_alu instid0(SALU_CYCLE_1) | instskip(NEXT) | instid1(SALU_CYCLE_1)
	s_or_b32 s3, s0, s3
	s_and_not1_b32 exec_lo, exec_lo, s3
	s_cbranch_execz .LBB1171_299
.LBB1171_297:                           ; =>This Inner Loop Header: Depth=1
	s_or_b32 s21, s21, exec_lo
	s_cmp_eq_u64 s[14:15], s[22:23]
	s_cbranch_scc0 .LBB1171_295
; %bb.298:                              ;   in Loop: Header=BB1171_297 Depth=1
	s_mov_b64 s[22:23], s[8:9]
                                        ; implicit-def: $vgpr57_vgpr58
                                        ; implicit-def: $vgpr61_vgpr62
	s_branch .LBB1171_296
.LBB1171_299:
	s_set_inst_prefetch_distance 0x2
	s_or_b32 exec_lo, exec_lo, s3
	v_cmp_gt_i64_e32 vcc_lo, s[8:9], v[63:64]
	s_mov_b32 s0, 0
	s_delay_alu instid0(SALU_CYCLE_1)
	v_mov_b32_e32 v162, s0
	v_cndmask_b32_e64 v161, 0, 1, vcc_lo
.LBB1171_300:
	s_or_b32 exec_lo, exec_lo, s1
.LBB1171_301:
	v_mul_lo_u32 v61, v4, s8
	v_mul_lo_u32 v62, v3, s9
	v_mad_u64_u32 v[57:58], null, v3, s8, 0
	v_cmp_ne_u32_e32 vcc_lo, 1, v65
	s_delay_alu instid0(VALU_DEP_2) | instskip(NEXT) | instid1(VALU_DEP_1)
	v_add3_u32 v58, v58, v62, v61
	v_lshlrev_b64 v[57:58], 1, v[57:58]
	s_cbranch_vccnz .LBB1171_310
; %bb.302:
	s_delay_alu instid0(VALU_DEP_1) | instskip(NEXT) | instid1(VALU_DEP_2)
	v_add_co_u32 v63, vcc_lo, s10, v57
	v_add_co_ci_u32_e32 v64, vcc_lo, s11, v58, vcc_lo
	v_add_co_u32 v61, vcc_lo, s10, v59
	v_add_co_ci_u32_e32 v62, vcc_lo, s11, v60, vcc_lo
	s_mov_b32 s1, exec_lo
	s_clause 0x1
	global_load_u16 v59, v[63:64], off
	global_load_u16 v60, v[61:62], off
	v_mov_b32_e32 v163, 1
	s_waitcnt vmcnt(1)
	v_dual_mov_b32 v164, 0 :: v_dual_lshlrev_b32 v59, 16, v59
	s_waitcnt vmcnt(0)
	v_lshlrev_b32_e32 v60, 16, v60
	s_delay_alu instid0(VALU_DEP_1)
	v_cmpx_eq_f32_e32 v60, v59
	s_cbranch_execz .LBB1171_309
; %bb.303:
	v_add_co_u32 v59, vcc_lo, v63, 2
	v_add_co_ci_u32_e32 v60, vcc_lo, 0, v64, vcc_lo
	v_add_co_u32 v61, vcc_lo, v61, 2
	v_add_co_ci_u32_e32 v62, vcc_lo, 0, v62, vcc_lo
	s_add_u32 s14, s8, -1
	s_addc_u32 s15, s9, -1
	s_mov_b64 s[22:23], 0
	s_mov_b32 s3, 0
                                        ; implicit-def: $sgpr21
	s_set_inst_prefetch_distance 0x1
	s_branch .LBB1171_306
	.p2align	6
.LBB1171_304:                           ;   in Loop: Header=BB1171_306 Depth=1
	global_load_u16 v63, v[59:60], off
	global_load_u16 v64, v[61:62], off
	v_add_co_u32 v59, vcc_lo, v59, 2
	v_add_co_ci_u32_e32 v60, vcc_lo, 0, v60, vcc_lo
	v_add_co_u32 v61, s0, v61, 2
	s_delay_alu instid0(VALU_DEP_1)
	v_add_co_ci_u32_e64 v62, s0, 0, v62, s0
	s_add_u32 s22, s22, 1
	s_addc_u32 s23, s23, 0
	s_and_not1_b32 s0, s21, exec_lo
	s_waitcnt vmcnt(1)
	v_lshlrev_b32_e32 v63, 16, v63
	s_waitcnt vmcnt(0)
	v_lshlrev_b32_e32 v64, 16, v64
	s_delay_alu instid0(VALU_DEP_1) | instskip(SKIP_1) | instid1(SALU_CYCLE_1)
	v_cmp_neq_f32_e32 vcc_lo, v64, v63
	s_and_b32 s21, vcc_lo, exec_lo
	s_or_b32 s21, s0, s21
.LBB1171_305:                           ;   in Loop: Header=BB1171_306 Depth=1
	v_dual_mov_b32 v64, s23 :: v_dual_mov_b32 v63, s22
	s_and_b32 s0, exec_lo, s21
	s_delay_alu instid0(SALU_CYCLE_1) | instskip(NEXT) | instid1(SALU_CYCLE_1)
	s_or_b32 s3, s0, s3
	s_and_not1_b32 exec_lo, exec_lo, s3
	s_cbranch_execz .LBB1171_308
.LBB1171_306:                           ; =>This Inner Loop Header: Depth=1
	s_or_b32 s21, s21, exec_lo
	s_cmp_eq_u64 s[14:15], s[22:23]
	s_cbranch_scc0 .LBB1171_304
; %bb.307:                              ;   in Loop: Header=BB1171_306 Depth=1
	s_mov_b64 s[22:23], s[8:9]
                                        ; implicit-def: $vgpr59_vgpr60
                                        ; implicit-def: $vgpr61_vgpr62
	s_branch .LBB1171_305
.LBB1171_308:
	s_set_inst_prefetch_distance 0x2
	s_or_b32 exec_lo, exec_lo, s3
	v_cmp_gt_i64_e32 vcc_lo, s[8:9], v[63:64]
	s_mov_b32 s0, 0
	s_delay_alu instid0(SALU_CYCLE_1)
	v_mov_b32_e32 v164, s0
	v_cndmask_b32_e64 v163, 0, 1, vcc_lo
.LBB1171_309:
	s_or_b32 exec_lo, exec_lo, s1
.LBB1171_310:
	v_cmp_ne_u32_e32 vcc_lo, 1, v65
	s_cbranch_vccnz .LBB1171_317
; %bb.311:
	v_mul_lo_u32 v61, v2, s8
	v_mul_lo_u32 v62, v1, s9
	v_mad_u64_u32 v[59:60], null, v1, s8, 0
	s_mov_b32 s1, exec_lo
	v_mov_b32_e32 v165, 1
	v_mov_b32_e32 v166, 0
	s_delay_alu instid0(VALU_DEP_3) | instskip(NEXT) | instid1(VALU_DEP_1)
	v_add3_u32 v60, v60, v62, v61
	v_lshlrev_b64 v[59:60], 1, v[59:60]
	s_delay_alu instid0(VALU_DEP_1) | instskip(NEXT) | instid1(VALU_DEP_2)
	v_add_co_u32 v61, vcc_lo, s10, v59
	v_add_co_ci_u32_e32 v62, vcc_lo, s11, v60, vcc_lo
	v_add_co_u32 v59, vcc_lo, s10, v57
	v_add_co_ci_u32_e32 v60, vcc_lo, s11, v58, vcc_lo
	s_clause 0x1
	global_load_u16 v57, v[61:62], off
	global_load_u16 v58, v[59:60], off
	s_waitcnt vmcnt(1)
	v_lshlrev_b32_e32 v57, 16, v57
	s_waitcnt vmcnt(0)
	v_lshlrev_b32_e32 v58, 16, v58
	s_delay_alu instid0(VALU_DEP_1)
	v_cmpx_eq_f32_e32 v58, v57
	s_cbranch_execz .LBB1171_319
; %bb.312:
	v_add_co_u32 v57, vcc_lo, v61, 2
	v_add_co_ci_u32_e32 v58, vcc_lo, 0, v62, vcc_lo
	v_add_co_u32 v59, vcc_lo, v59, 2
	v_add_co_ci_u32_e32 v60, vcc_lo, 0, v60, vcc_lo
	s_add_u32 s14, s8, -1
	s_addc_u32 s15, s9, -1
	s_mov_b64 s[22:23], 0
	s_mov_b32 s3, 0
                                        ; implicit-def: $sgpr21
	s_set_inst_prefetch_distance 0x1
	s_branch .LBB1171_315
	.p2align	6
.LBB1171_313:                           ;   in Loop: Header=BB1171_315 Depth=1
	global_load_u16 v61, v[57:58], off
	global_load_u16 v62, v[59:60], off
	v_add_co_u32 v57, vcc_lo, v57, 2
	v_add_co_ci_u32_e32 v58, vcc_lo, 0, v58, vcc_lo
	v_add_co_u32 v59, s0, v59, 2
	s_delay_alu instid0(VALU_DEP_1)
	v_add_co_ci_u32_e64 v60, s0, 0, v60, s0
	s_add_u32 s22, s22, 1
	s_addc_u32 s23, s23, 0
	s_and_not1_b32 s0, s21, exec_lo
	s_waitcnt vmcnt(1)
	v_lshlrev_b32_e32 v61, 16, v61
	s_waitcnt vmcnt(0)
	v_lshlrev_b32_e32 v62, 16, v62
	s_delay_alu instid0(VALU_DEP_1) | instskip(SKIP_1) | instid1(SALU_CYCLE_1)
	v_cmp_neq_f32_e32 vcc_lo, v62, v61
	s_and_b32 s21, vcc_lo, exec_lo
	s_or_b32 s21, s0, s21
.LBB1171_314:                           ;   in Loop: Header=BB1171_315 Depth=1
	v_dual_mov_b32 v62, s23 :: v_dual_mov_b32 v61, s22
	s_and_b32 s0, exec_lo, s21
	s_delay_alu instid0(SALU_CYCLE_1) | instskip(NEXT) | instid1(SALU_CYCLE_1)
	s_or_b32 s3, s0, s3
	s_and_not1_b32 exec_lo, exec_lo, s3
	s_cbranch_execz .LBB1171_318
.LBB1171_315:                           ; =>This Inner Loop Header: Depth=1
	s_or_b32 s21, s21, exec_lo
	s_cmp_eq_u64 s[14:15], s[22:23]
	s_cbranch_scc0 .LBB1171_313
; %bb.316:                              ;   in Loop: Header=BB1171_315 Depth=1
	s_mov_b64 s[22:23], s[8:9]
                                        ; implicit-def: $vgpr57_vgpr58
                                        ; implicit-def: $vgpr59_vgpr60
	s_branch .LBB1171_314
.LBB1171_317:
	v_mov_b32_e32 v165, 0
	v_mov_b32_e32 v166, 0
	s_branch .LBB1171_320
.LBB1171_318:
	s_set_inst_prefetch_distance 0x2
	s_or_b32 exec_lo, exec_lo, s3
	v_cmp_gt_i64_e32 vcc_lo, s[8:9], v[61:62]
	s_mov_b32 s0, 0
	s_delay_alu instid0(SALU_CYCLE_1)
	v_mov_b32_e32 v166, s0
	v_cndmask_b32_e64 v165, 0, 1, vcc_lo
.LBB1171_319:
	s_or_b32 exec_lo, exec_lo, s1
.LBB1171_320:
	s_waitcnt lgkmcnt(0)
	v_dual_mov_b32 v58, s13 :: v_dual_mov_b32 v57, s12
	s_mov_b32 s0, 0
	s_mov_b32 s1, exec_lo
	s_barrier
	buffer_gl0_inv
	v_cmpx_ne_u32_e32 0, v0
	s_cbranch_execz .LBB1171_322
; %bb.321:
	v_add_nc_u32_e32 v57, -8, v195
	ds_load_b64 v[57:58], v57
.LBB1171_322:
	s_or_b32 exec_lo, exec_lo, s1
	v_cmp_ne_u32_e32 vcc_lo, 1, v65
	s_cbranch_vccnz .LBB1171_331
; %bb.323:
	s_waitcnt lgkmcnt(0)
	v_mul_lo_u32 v62, v58, s8
	v_mul_lo_u32 v63, v57, s9
	v_mad_u64_u32 v[58:59], null, v57, s8, 0
	v_mul_lo_u32 v57, v2, s8
	v_mul_lo_u32 v64, v1, s9
	v_mad_u64_u32 v[60:61], null, v1, s8, 0
	s_mov_b32 s0, -1
	s_mov_b32 s1, exec_lo
	s_delay_alu instid0(VALU_DEP_4) | instskip(NEXT) | instid1(VALU_DEP_2)
	v_add3_u32 v59, v59, v63, v62
	v_add3_u32 v61, v61, v64, v57
	s_delay_alu instid0(VALU_DEP_2) | instskip(NEXT) | instid1(VALU_DEP_2)
	v_lshlrev_b64 v[57:58], 1, v[58:59]
	v_lshlrev_b64 v[59:60], 1, v[60:61]
	s_delay_alu instid0(VALU_DEP_2) | instskip(NEXT) | instid1(VALU_DEP_3)
	v_add_co_u32 v57, vcc_lo, s10, v57
	v_add_co_ci_u32_e32 v58, vcc_lo, s11, v58, vcc_lo
	s_delay_alu instid0(VALU_DEP_3) | instskip(NEXT) | instid1(VALU_DEP_4)
	v_add_co_u32 v59, vcc_lo, s10, v59
	v_add_co_ci_u32_e32 v60, vcc_lo, s11, v60, vcc_lo
	s_clause 0x1
	global_load_u16 v61, v[57:58], off
	global_load_u16 v62, v[59:60], off
	s_waitcnt vmcnt(1)
	v_lshlrev_b32_e32 v61, 16, v61
	s_waitcnt vmcnt(0)
	v_lshlrev_b32_e32 v62, 16, v62
	s_delay_alu instid0(VALU_DEP_1)
	v_cmpx_eq_f32_e32 v62, v61
	s_cbranch_execz .LBB1171_330
; %bb.324:
	v_add_co_u32 v57, vcc_lo, v57, 2
	v_add_co_ci_u32_e32 v58, vcc_lo, 0, v58, vcc_lo
	v_add_co_u32 v59, vcc_lo, v59, 2
	v_add_co_ci_u32_e32 v60, vcc_lo, 0, v60, vcc_lo
	s_add_u32 s14, s8, -1
	s_addc_u32 s15, s9, -1
	s_mov_b64 s[22:23], 0
	s_mov_b32 s3, 0
                                        ; implicit-def: $sgpr21
	s_set_inst_prefetch_distance 0x1
	s_branch .LBB1171_327
	.p2align	6
.LBB1171_325:                           ;   in Loop: Header=BB1171_327 Depth=1
	global_load_u16 v61, v[57:58], off
	global_load_u16 v62, v[59:60], off
	v_add_co_u32 v57, vcc_lo, v57, 2
	v_add_co_ci_u32_e32 v58, vcc_lo, 0, v58, vcc_lo
	v_add_co_u32 v59, s0, v59, 2
	s_delay_alu instid0(VALU_DEP_1)
	v_add_co_ci_u32_e64 v60, s0, 0, v60, s0
	s_add_u32 s22, s22, 1
	s_addc_u32 s23, s23, 0
	s_and_not1_b32 s0, s21, exec_lo
	s_waitcnt vmcnt(1)
	v_lshlrev_b32_e32 v61, 16, v61
	s_waitcnt vmcnt(0)
	v_lshlrev_b32_e32 v62, 16, v62
	s_delay_alu instid0(VALU_DEP_1) | instskip(SKIP_1) | instid1(SALU_CYCLE_1)
	v_cmp_neq_f32_e32 vcc_lo, v62, v61
	s_and_b32 s21, vcc_lo, exec_lo
	s_or_b32 s21, s0, s21
.LBB1171_326:                           ;   in Loop: Header=BB1171_327 Depth=1
	v_dual_mov_b32 v62, s23 :: v_dual_mov_b32 v61, s22
	s_and_b32 s0, exec_lo, s21
	s_delay_alu instid0(SALU_CYCLE_1) | instskip(NEXT) | instid1(SALU_CYCLE_1)
	s_or_b32 s3, s0, s3
	s_and_not1_b32 exec_lo, exec_lo, s3
	s_cbranch_execz .LBB1171_329
.LBB1171_327:                           ; =>This Inner Loop Header: Depth=1
	s_or_b32 s21, s21, exec_lo
	s_cmp_eq_u64 s[14:15], s[22:23]
	s_cbranch_scc0 .LBB1171_325
; %bb.328:                              ;   in Loop: Header=BB1171_327 Depth=1
	s_mov_b64 s[22:23], s[8:9]
                                        ; implicit-def: $vgpr57_vgpr58
                                        ; implicit-def: $vgpr59_vgpr60
	s_branch .LBB1171_326
.LBB1171_329:
	s_set_inst_prefetch_distance 0x2
	s_or_b32 exec_lo, exec_lo, s3
	v_cmp_gt_i64_e32 vcc_lo, s[8:9], v[61:62]
	s_or_not1_b32 s0, vcc_lo, exec_lo
.LBB1171_330:
	s_or_b32 exec_lo, exec_lo, s1
.LBB1171_331:
	s_mov_b32 s1, -1
	s_branch .LBB1171_73
.LBB1171_332:
	v_cmp_gt_i64_e64 s0, s[8:9], 0
	s_waitcnt lgkmcnt(0)
	v_mad_u32_u24 v57, v0, 29, 28
	v_mul_u32_u24_e32 v64, 29, v0
	v_dual_mov_b32 v112, v110 :: v_dual_mov_b32 v111, v109
	s_mul_i32 s3, s20, 0xfffff180
	v_cndmask_b32_e64 v63, 0, 1, s0
	s_add_i32 s3, s3, s6
	s_mov_b32 s22, exec_lo
	ds_store_b64 v195, v[109:110]
	v_cmpx_gt_u32_e64 s3, v57
	s_cbranch_execz .LBB1171_343
; %bb.333:
	s_and_not1_b32 vcc_lo, exec_lo, s0
	s_cbranch_vccnz .LBB1171_340
; %bb.334:
	v_mul_lo_u32 v61, v8, s8
	v_mul_lo_u32 v62, v7, s9
	v_mad_u64_u32 v[57:58], null, v7, s8, 0
	v_mul_lo_u32 v65, v110, s8
	v_mul_lo_u32 v66, v109, s9
	v_mad_u64_u32 v[59:60], null, v109, s8, 0
	s_mov_b32 s23, exec_lo
	v_mov_b32_e32 v111, 1
	v_add3_u32 v58, v58, v62, v61
	v_mov_b32_e32 v112, 0
	s_delay_alu instid0(VALU_DEP_4) | instskip(NEXT) | instid1(VALU_DEP_3)
	v_add3_u32 v60, v60, v66, v65
	v_lshlrev_b64 v[57:58], 1, v[57:58]
	s_delay_alu instid0(VALU_DEP_2) | instskip(NEXT) | instid1(VALU_DEP_2)
	v_lshlrev_b64 v[59:60], 1, v[59:60]
	v_add_co_u32 v57, vcc_lo, s10, v57
	s_delay_alu instid0(VALU_DEP_3) | instskip(NEXT) | instid1(VALU_DEP_3)
	v_add_co_ci_u32_e32 v58, vcc_lo, s11, v58, vcc_lo
	v_add_co_u32 v59, vcc_lo, s10, v59
	s_delay_alu instid0(VALU_DEP_4)
	v_add_co_ci_u32_e32 v60, vcc_lo, s11, v60, vcc_lo
	s_clause 0x1
	global_load_u16 v61, v[57:58], off
	global_load_u16 v62, v[59:60], off
	s_waitcnt vmcnt(1)
	v_lshlrev_b32_e32 v61, 16, v61
	s_waitcnt vmcnt(0)
	v_lshlrev_b32_e32 v62, 16, v62
	s_delay_alu instid0(VALU_DEP_1)
	v_cmpx_eq_f32_e32 v62, v61
	s_cbranch_execz .LBB1171_342
; %bb.335:
	v_add_co_u32 v57, vcc_lo, v57, 2
	v_add_co_ci_u32_e32 v58, vcc_lo, 0, v58, vcc_lo
	v_add_co_u32 v59, vcc_lo, v59, 2
	v_add_co_ci_u32_e32 v60, vcc_lo, 0, v60, vcc_lo
	s_add_u32 s14, s8, -1
	s_addc_u32 s15, s9, -1
	s_mov_b64 s[20:21], 0
	s_mov_b32 s24, 0
                                        ; implicit-def: $sgpr25
	s_set_inst_prefetch_distance 0x1
	s_branch .LBB1171_338
	.p2align	6
.LBB1171_336:                           ;   in Loop: Header=BB1171_338 Depth=1
	global_load_u16 v61, v[57:58], off
	global_load_u16 v62, v[59:60], off
	v_add_co_u32 v57, vcc_lo, v57, 2
	v_add_co_ci_u32_e32 v58, vcc_lo, 0, v58, vcc_lo
	v_add_co_u32 v59, s0, v59, 2
	s_delay_alu instid0(VALU_DEP_1)
	v_add_co_ci_u32_e64 v60, s0, 0, v60, s0
	s_add_u32 s20, s20, 1
	s_addc_u32 s21, s21, 0
	s_and_not1_b32 s0, s25, exec_lo
	s_waitcnt vmcnt(1)
	v_lshlrev_b32_e32 v61, 16, v61
	s_waitcnt vmcnt(0)
	v_lshlrev_b32_e32 v62, 16, v62
	s_delay_alu instid0(VALU_DEP_1) | instskip(SKIP_1) | instid1(SALU_CYCLE_1)
	v_cmp_neq_f32_e32 vcc_lo, v62, v61
	s_and_b32 s25, vcc_lo, exec_lo
	s_or_b32 s25, s0, s25
.LBB1171_337:                           ;   in Loop: Header=BB1171_338 Depth=1
	v_dual_mov_b32 v62, s21 :: v_dual_mov_b32 v61, s20
	s_and_b32 s0, exec_lo, s25
	s_delay_alu instid0(SALU_CYCLE_1) | instskip(NEXT) | instid1(SALU_CYCLE_1)
	s_or_b32 s24, s0, s24
	s_and_not1_b32 exec_lo, exec_lo, s24
	s_cbranch_execz .LBB1171_341
.LBB1171_338:                           ; =>This Inner Loop Header: Depth=1
	s_or_b32 s25, s25, exec_lo
	s_cmp_eq_u64 s[14:15], s[20:21]
	s_cbranch_scc0 .LBB1171_336
; %bb.339:                              ;   in Loop: Header=BB1171_338 Depth=1
	s_mov_b64 s[20:21], s[8:9]
                                        ; implicit-def: $vgpr57_vgpr58
                                        ; implicit-def: $vgpr59_vgpr60
	s_branch .LBB1171_337
.LBB1171_340:
	v_mov_b32_e32 v111, 0
	v_mov_b32_e32 v112, 0
	s_branch .LBB1171_343
.LBB1171_341:
	s_set_inst_prefetch_distance 0x2
	s_or_b32 exec_lo, exec_lo, s24
	v_cmp_gt_i64_e32 vcc_lo, s[8:9], v[61:62]
	s_mov_b32 s0, 0
	s_delay_alu instid0(SALU_CYCLE_1)
	v_mov_b32_e32 v112, s0
	v_cndmask_b32_e64 v111, 0, 1, vcc_lo
.LBB1171_342:
	s_or_b32 exec_lo, exec_lo, s23
.LBB1171_343:
	s_delay_alu instid0(SALU_CYCLE_1) | instskip(SKIP_3) | instid1(VALU_DEP_2)
	s_or_b32 exec_lo, exec_lo, s22
	v_dual_mov_b32 v116, v8 :: v_dual_add_nc_u32 v57, 27, v64
	v_mov_b32_e32 v115, v7
	s_mov_b32 s22, exec_lo
	v_cmpx_gt_u32_e64 s3, v57
	s_cbranch_execz .LBB1171_354
; %bb.344:
	v_cmp_ne_u32_e32 vcc_lo, 1, v63
	s_cbranch_vccnz .LBB1171_351
; %bb.345:
	v_mul_lo_u32 v61, v6, s8
	v_mul_lo_u32 v62, v5, s9
	v_mad_u64_u32 v[57:58], null, v5, s8, 0
	v_mul_lo_u32 v65, v8, s8
	v_mul_lo_u32 v66, v7, s9
	v_mad_u64_u32 v[59:60], null, v7, s8, 0
	s_mov_b32 s23, exec_lo
	v_mov_b32_e32 v115, 1
	v_add3_u32 v58, v58, v62, v61
	v_mov_b32_e32 v116, 0
	s_delay_alu instid0(VALU_DEP_4) | instskip(NEXT) | instid1(VALU_DEP_3)
	v_add3_u32 v60, v60, v66, v65
	v_lshlrev_b64 v[57:58], 1, v[57:58]
	s_delay_alu instid0(VALU_DEP_2) | instskip(NEXT) | instid1(VALU_DEP_2)
	v_lshlrev_b64 v[59:60], 1, v[59:60]
	v_add_co_u32 v57, vcc_lo, s10, v57
	s_delay_alu instid0(VALU_DEP_3) | instskip(NEXT) | instid1(VALU_DEP_3)
	v_add_co_ci_u32_e32 v58, vcc_lo, s11, v58, vcc_lo
	v_add_co_u32 v59, vcc_lo, s10, v59
	s_delay_alu instid0(VALU_DEP_4)
	v_add_co_ci_u32_e32 v60, vcc_lo, s11, v60, vcc_lo
	s_clause 0x1
	global_load_u16 v61, v[57:58], off
	global_load_u16 v62, v[59:60], off
	s_waitcnt vmcnt(1)
	v_lshlrev_b32_e32 v61, 16, v61
	s_waitcnt vmcnt(0)
	v_lshlrev_b32_e32 v62, 16, v62
	s_delay_alu instid0(VALU_DEP_1)
	v_cmpx_eq_f32_e32 v62, v61
	s_cbranch_execz .LBB1171_353
; %bb.346:
	v_add_co_u32 v57, vcc_lo, v57, 2
	v_add_co_ci_u32_e32 v58, vcc_lo, 0, v58, vcc_lo
	v_add_co_u32 v59, vcc_lo, v59, 2
	v_add_co_ci_u32_e32 v60, vcc_lo, 0, v60, vcc_lo
	s_add_u32 s14, s8, -1
	s_addc_u32 s15, s9, -1
	s_mov_b64 s[20:21], 0
	s_mov_b32 s24, 0
                                        ; implicit-def: $sgpr25
	s_set_inst_prefetch_distance 0x1
	s_branch .LBB1171_349
	.p2align	6
.LBB1171_347:                           ;   in Loop: Header=BB1171_349 Depth=1
	global_load_u16 v61, v[57:58], off
	global_load_u16 v62, v[59:60], off
	v_add_co_u32 v57, vcc_lo, v57, 2
	v_add_co_ci_u32_e32 v58, vcc_lo, 0, v58, vcc_lo
	v_add_co_u32 v59, s0, v59, 2
	s_delay_alu instid0(VALU_DEP_1)
	v_add_co_ci_u32_e64 v60, s0, 0, v60, s0
	s_add_u32 s20, s20, 1
	s_addc_u32 s21, s21, 0
	s_and_not1_b32 s0, s25, exec_lo
	s_waitcnt vmcnt(1)
	v_lshlrev_b32_e32 v61, 16, v61
	s_waitcnt vmcnt(0)
	v_lshlrev_b32_e32 v62, 16, v62
	s_delay_alu instid0(VALU_DEP_1) | instskip(SKIP_1) | instid1(SALU_CYCLE_1)
	v_cmp_neq_f32_e32 vcc_lo, v62, v61
	s_and_b32 s25, vcc_lo, exec_lo
	s_or_b32 s25, s0, s25
.LBB1171_348:                           ;   in Loop: Header=BB1171_349 Depth=1
	v_dual_mov_b32 v62, s21 :: v_dual_mov_b32 v61, s20
	s_and_b32 s0, exec_lo, s25
	s_delay_alu instid0(SALU_CYCLE_1) | instskip(NEXT) | instid1(SALU_CYCLE_1)
	s_or_b32 s24, s0, s24
	s_and_not1_b32 exec_lo, exec_lo, s24
	s_cbranch_execz .LBB1171_352
.LBB1171_349:                           ; =>This Inner Loop Header: Depth=1
	s_or_b32 s25, s25, exec_lo
	s_cmp_eq_u64 s[14:15], s[20:21]
	s_cbranch_scc0 .LBB1171_347
; %bb.350:                              ;   in Loop: Header=BB1171_349 Depth=1
	s_mov_b64 s[20:21], s[8:9]
                                        ; implicit-def: $vgpr57_vgpr58
                                        ; implicit-def: $vgpr59_vgpr60
	s_branch .LBB1171_348
.LBB1171_351:
	v_mov_b32_e32 v115, 0
	v_mov_b32_e32 v116, 0
	s_branch .LBB1171_354
.LBB1171_352:
	s_set_inst_prefetch_distance 0x2
	s_or_b32 exec_lo, exec_lo, s24
	v_cmp_gt_i64_e32 vcc_lo, s[8:9], v[61:62]
	s_mov_b32 s0, 0
	s_delay_alu instid0(SALU_CYCLE_1)
	v_mov_b32_e32 v116, s0
	v_cndmask_b32_e64 v115, 0, 1, vcc_lo
.LBB1171_353:
	s_or_b32 exec_lo, exec_lo, s23
.LBB1171_354:
	s_delay_alu instid0(SALU_CYCLE_1) | instskip(SKIP_3) | instid1(VALU_DEP_2)
	s_or_b32 exec_lo, exec_lo, s22
	v_dual_mov_b32 v114, v6 :: v_dual_add_nc_u32 v57, 26, v64
	v_mov_b32_e32 v113, v5
	s_mov_b32 s22, exec_lo
	v_cmpx_gt_u32_e64 s3, v57
	s_cbranch_execz .LBB1171_365
; %bb.355:
	v_cmp_ne_u32_e32 vcc_lo, 1, v63
	s_cbranch_vccnz .LBB1171_362
; %bb.356:
	v_mul_lo_u32 v61, v12, s8
	v_mul_lo_u32 v62, v11, s9
	v_mad_u64_u32 v[57:58], null, v11, s8, 0
	v_mul_lo_u32 v65, v6, s8
	v_mul_lo_u32 v66, v5, s9
	v_mad_u64_u32 v[59:60], null, v5, s8, 0
	s_mov_b32 s23, exec_lo
	v_mov_b32_e32 v113, 1
	v_add3_u32 v58, v58, v62, v61
	v_mov_b32_e32 v114, 0
	s_delay_alu instid0(VALU_DEP_4) | instskip(NEXT) | instid1(VALU_DEP_3)
	v_add3_u32 v60, v60, v66, v65
	v_lshlrev_b64 v[57:58], 1, v[57:58]
	s_delay_alu instid0(VALU_DEP_2) | instskip(NEXT) | instid1(VALU_DEP_2)
	v_lshlrev_b64 v[59:60], 1, v[59:60]
	v_add_co_u32 v57, vcc_lo, s10, v57
	s_delay_alu instid0(VALU_DEP_3) | instskip(NEXT) | instid1(VALU_DEP_3)
	v_add_co_ci_u32_e32 v58, vcc_lo, s11, v58, vcc_lo
	v_add_co_u32 v59, vcc_lo, s10, v59
	s_delay_alu instid0(VALU_DEP_4)
	v_add_co_ci_u32_e32 v60, vcc_lo, s11, v60, vcc_lo
	s_clause 0x1
	global_load_u16 v61, v[57:58], off
	global_load_u16 v62, v[59:60], off
	s_waitcnt vmcnt(1)
	v_lshlrev_b32_e32 v61, 16, v61
	s_waitcnt vmcnt(0)
	v_lshlrev_b32_e32 v62, 16, v62
	s_delay_alu instid0(VALU_DEP_1)
	v_cmpx_eq_f32_e32 v62, v61
	s_cbranch_execz .LBB1171_364
; %bb.357:
	v_add_co_u32 v57, vcc_lo, v57, 2
	v_add_co_ci_u32_e32 v58, vcc_lo, 0, v58, vcc_lo
	v_add_co_u32 v59, vcc_lo, v59, 2
	v_add_co_ci_u32_e32 v60, vcc_lo, 0, v60, vcc_lo
	s_add_u32 s14, s8, -1
	s_addc_u32 s15, s9, -1
	s_mov_b64 s[20:21], 0
	s_mov_b32 s24, 0
                                        ; implicit-def: $sgpr25
	s_set_inst_prefetch_distance 0x1
	s_branch .LBB1171_360
	.p2align	6
.LBB1171_358:                           ;   in Loop: Header=BB1171_360 Depth=1
	global_load_u16 v61, v[57:58], off
	global_load_u16 v62, v[59:60], off
	v_add_co_u32 v57, vcc_lo, v57, 2
	v_add_co_ci_u32_e32 v58, vcc_lo, 0, v58, vcc_lo
	v_add_co_u32 v59, s0, v59, 2
	s_delay_alu instid0(VALU_DEP_1)
	v_add_co_ci_u32_e64 v60, s0, 0, v60, s0
	s_add_u32 s20, s20, 1
	s_addc_u32 s21, s21, 0
	s_and_not1_b32 s0, s25, exec_lo
	s_waitcnt vmcnt(1)
	v_lshlrev_b32_e32 v61, 16, v61
	s_waitcnt vmcnt(0)
	v_lshlrev_b32_e32 v62, 16, v62
	s_delay_alu instid0(VALU_DEP_1) | instskip(SKIP_1) | instid1(SALU_CYCLE_1)
	v_cmp_neq_f32_e32 vcc_lo, v62, v61
	s_and_b32 s25, vcc_lo, exec_lo
	s_or_b32 s25, s0, s25
.LBB1171_359:                           ;   in Loop: Header=BB1171_360 Depth=1
	v_dual_mov_b32 v62, s21 :: v_dual_mov_b32 v61, s20
	s_and_b32 s0, exec_lo, s25
	s_delay_alu instid0(SALU_CYCLE_1) | instskip(NEXT) | instid1(SALU_CYCLE_1)
	s_or_b32 s24, s0, s24
	s_and_not1_b32 exec_lo, exec_lo, s24
	s_cbranch_execz .LBB1171_363
.LBB1171_360:                           ; =>This Inner Loop Header: Depth=1
	s_or_b32 s25, s25, exec_lo
	s_cmp_eq_u64 s[14:15], s[20:21]
	s_cbranch_scc0 .LBB1171_358
; %bb.361:                              ;   in Loop: Header=BB1171_360 Depth=1
	s_mov_b64 s[20:21], s[8:9]
                                        ; implicit-def: $vgpr57_vgpr58
                                        ; implicit-def: $vgpr59_vgpr60
	s_branch .LBB1171_359
.LBB1171_362:
	v_mov_b32_e32 v113, 0
	v_mov_b32_e32 v114, 0
	s_branch .LBB1171_365
.LBB1171_363:
	s_set_inst_prefetch_distance 0x2
	s_or_b32 exec_lo, exec_lo, s24
	v_cmp_gt_i64_e32 vcc_lo, s[8:9], v[61:62]
	s_mov_b32 s0, 0
	s_delay_alu instid0(SALU_CYCLE_1)
	v_mov_b32_e32 v114, s0
	v_cndmask_b32_e64 v113, 0, 1, vcc_lo
.LBB1171_364:
	s_or_b32 exec_lo, exec_lo, s23
.LBB1171_365:
	s_delay_alu instid0(SALU_CYCLE_1) | instskip(SKIP_3) | instid1(VALU_DEP_2)
	s_or_b32 exec_lo, exec_lo, s22
	v_dual_mov_b32 v118, v12 :: v_dual_add_nc_u32 v57, 25, v64
	v_mov_b32_e32 v117, v11
	s_mov_b32 s22, exec_lo
	v_cmpx_gt_u32_e64 s3, v57
	s_cbranch_execz .LBB1171_376
; %bb.366:
	v_cmp_ne_u32_e32 vcc_lo, 1, v63
	s_cbranch_vccnz .LBB1171_373
; %bb.367:
	v_mul_lo_u32 v61, v10, s8
	v_mul_lo_u32 v62, v9, s9
	v_mad_u64_u32 v[57:58], null, v9, s8, 0
	v_mul_lo_u32 v65, v12, s8
	v_mul_lo_u32 v66, v11, s9
	v_mad_u64_u32 v[59:60], null, v11, s8, 0
	s_mov_b32 s23, exec_lo
	v_mov_b32_e32 v117, 1
	v_add3_u32 v58, v58, v62, v61
	v_mov_b32_e32 v118, 0
	s_delay_alu instid0(VALU_DEP_4) | instskip(NEXT) | instid1(VALU_DEP_3)
	v_add3_u32 v60, v60, v66, v65
	v_lshlrev_b64 v[57:58], 1, v[57:58]
	s_delay_alu instid0(VALU_DEP_2) | instskip(NEXT) | instid1(VALU_DEP_2)
	v_lshlrev_b64 v[59:60], 1, v[59:60]
	v_add_co_u32 v57, vcc_lo, s10, v57
	s_delay_alu instid0(VALU_DEP_3) | instskip(NEXT) | instid1(VALU_DEP_3)
	v_add_co_ci_u32_e32 v58, vcc_lo, s11, v58, vcc_lo
	v_add_co_u32 v59, vcc_lo, s10, v59
	s_delay_alu instid0(VALU_DEP_4)
	v_add_co_ci_u32_e32 v60, vcc_lo, s11, v60, vcc_lo
	s_clause 0x1
	global_load_u16 v61, v[57:58], off
	global_load_u16 v62, v[59:60], off
	s_waitcnt vmcnt(1)
	v_lshlrev_b32_e32 v61, 16, v61
	s_waitcnt vmcnt(0)
	v_lshlrev_b32_e32 v62, 16, v62
	s_delay_alu instid0(VALU_DEP_1)
	v_cmpx_eq_f32_e32 v62, v61
	s_cbranch_execz .LBB1171_375
; %bb.368:
	v_add_co_u32 v57, vcc_lo, v57, 2
	v_add_co_ci_u32_e32 v58, vcc_lo, 0, v58, vcc_lo
	v_add_co_u32 v59, vcc_lo, v59, 2
	v_add_co_ci_u32_e32 v60, vcc_lo, 0, v60, vcc_lo
	s_add_u32 s14, s8, -1
	s_addc_u32 s15, s9, -1
	s_mov_b64 s[20:21], 0
	s_mov_b32 s24, 0
                                        ; implicit-def: $sgpr25
	s_set_inst_prefetch_distance 0x1
	s_branch .LBB1171_371
	.p2align	6
.LBB1171_369:                           ;   in Loop: Header=BB1171_371 Depth=1
	global_load_u16 v61, v[57:58], off
	global_load_u16 v62, v[59:60], off
	v_add_co_u32 v57, vcc_lo, v57, 2
	v_add_co_ci_u32_e32 v58, vcc_lo, 0, v58, vcc_lo
	v_add_co_u32 v59, s0, v59, 2
	s_delay_alu instid0(VALU_DEP_1)
	v_add_co_ci_u32_e64 v60, s0, 0, v60, s0
	s_add_u32 s20, s20, 1
	s_addc_u32 s21, s21, 0
	s_and_not1_b32 s0, s25, exec_lo
	s_waitcnt vmcnt(1)
	v_lshlrev_b32_e32 v61, 16, v61
	s_waitcnt vmcnt(0)
	v_lshlrev_b32_e32 v62, 16, v62
	s_delay_alu instid0(VALU_DEP_1) | instskip(SKIP_1) | instid1(SALU_CYCLE_1)
	v_cmp_neq_f32_e32 vcc_lo, v62, v61
	s_and_b32 s25, vcc_lo, exec_lo
	s_or_b32 s25, s0, s25
.LBB1171_370:                           ;   in Loop: Header=BB1171_371 Depth=1
	v_dual_mov_b32 v62, s21 :: v_dual_mov_b32 v61, s20
	s_and_b32 s0, exec_lo, s25
	s_delay_alu instid0(SALU_CYCLE_1) | instskip(NEXT) | instid1(SALU_CYCLE_1)
	s_or_b32 s24, s0, s24
	s_and_not1_b32 exec_lo, exec_lo, s24
	s_cbranch_execz .LBB1171_374
.LBB1171_371:                           ; =>This Inner Loop Header: Depth=1
	s_or_b32 s25, s25, exec_lo
	s_cmp_eq_u64 s[14:15], s[20:21]
	s_cbranch_scc0 .LBB1171_369
; %bb.372:                              ;   in Loop: Header=BB1171_371 Depth=1
	s_mov_b64 s[20:21], s[8:9]
                                        ; implicit-def: $vgpr57_vgpr58
                                        ; implicit-def: $vgpr59_vgpr60
	s_branch .LBB1171_370
.LBB1171_373:
	v_mov_b32_e32 v117, 0
	v_mov_b32_e32 v118, 0
	s_branch .LBB1171_376
.LBB1171_374:
	s_set_inst_prefetch_distance 0x2
	s_or_b32 exec_lo, exec_lo, s24
	v_cmp_gt_i64_e32 vcc_lo, s[8:9], v[61:62]
	s_mov_b32 s0, 0
	s_delay_alu instid0(SALU_CYCLE_1)
	v_mov_b32_e32 v118, s0
	v_cndmask_b32_e64 v117, 0, 1, vcc_lo
.LBB1171_375:
	s_or_b32 exec_lo, exec_lo, s23
.LBB1171_376:
	s_delay_alu instid0(SALU_CYCLE_1) | instskip(SKIP_3) | instid1(VALU_DEP_2)
	s_or_b32 exec_lo, exec_lo, s22
	v_dual_mov_b32 v120, v10 :: v_dual_add_nc_u32 v57, 24, v64
	v_mov_b32_e32 v119, v9
	s_mov_b32 s22, exec_lo
	v_cmpx_gt_u32_e64 s3, v57
	s_cbranch_execz .LBB1171_387
; %bb.377:
	v_cmp_ne_u32_e32 vcc_lo, 1, v63
	s_cbranch_vccnz .LBB1171_384
; %bb.378:
	v_mul_lo_u32 v61, v56, s8
	v_mul_lo_u32 v62, v55, s9
	v_mad_u64_u32 v[57:58], null, v55, s8, 0
	v_mul_lo_u32 v65, v10, s8
	v_mul_lo_u32 v66, v9, s9
	v_mad_u64_u32 v[59:60], null, v9, s8, 0
	s_mov_b32 s23, exec_lo
	v_mov_b32_e32 v119, 1
	v_add3_u32 v58, v58, v62, v61
	v_mov_b32_e32 v120, 0
	s_delay_alu instid0(VALU_DEP_4) | instskip(NEXT) | instid1(VALU_DEP_3)
	v_add3_u32 v60, v60, v66, v65
	v_lshlrev_b64 v[57:58], 1, v[57:58]
	s_delay_alu instid0(VALU_DEP_2) | instskip(NEXT) | instid1(VALU_DEP_2)
	v_lshlrev_b64 v[59:60], 1, v[59:60]
	v_add_co_u32 v57, vcc_lo, s10, v57
	s_delay_alu instid0(VALU_DEP_3) | instskip(NEXT) | instid1(VALU_DEP_3)
	v_add_co_ci_u32_e32 v58, vcc_lo, s11, v58, vcc_lo
	v_add_co_u32 v59, vcc_lo, s10, v59
	s_delay_alu instid0(VALU_DEP_4)
	v_add_co_ci_u32_e32 v60, vcc_lo, s11, v60, vcc_lo
	s_clause 0x1
	global_load_u16 v61, v[57:58], off
	global_load_u16 v62, v[59:60], off
	s_waitcnt vmcnt(1)
	v_lshlrev_b32_e32 v61, 16, v61
	s_waitcnt vmcnt(0)
	v_lshlrev_b32_e32 v62, 16, v62
	s_delay_alu instid0(VALU_DEP_1)
	v_cmpx_eq_f32_e32 v62, v61
	s_cbranch_execz .LBB1171_386
; %bb.379:
	v_add_co_u32 v57, vcc_lo, v57, 2
	v_add_co_ci_u32_e32 v58, vcc_lo, 0, v58, vcc_lo
	v_add_co_u32 v59, vcc_lo, v59, 2
	v_add_co_ci_u32_e32 v60, vcc_lo, 0, v60, vcc_lo
	s_add_u32 s14, s8, -1
	s_addc_u32 s15, s9, -1
	s_mov_b64 s[20:21], 0
	s_mov_b32 s24, 0
                                        ; implicit-def: $sgpr25
	s_set_inst_prefetch_distance 0x1
	s_branch .LBB1171_382
	.p2align	6
.LBB1171_380:                           ;   in Loop: Header=BB1171_382 Depth=1
	global_load_u16 v61, v[57:58], off
	global_load_u16 v62, v[59:60], off
	v_add_co_u32 v57, vcc_lo, v57, 2
	v_add_co_ci_u32_e32 v58, vcc_lo, 0, v58, vcc_lo
	v_add_co_u32 v59, s0, v59, 2
	s_delay_alu instid0(VALU_DEP_1)
	v_add_co_ci_u32_e64 v60, s0, 0, v60, s0
	s_add_u32 s20, s20, 1
	s_addc_u32 s21, s21, 0
	s_and_not1_b32 s0, s25, exec_lo
	s_waitcnt vmcnt(1)
	v_lshlrev_b32_e32 v61, 16, v61
	s_waitcnt vmcnt(0)
	v_lshlrev_b32_e32 v62, 16, v62
	s_delay_alu instid0(VALU_DEP_1) | instskip(SKIP_1) | instid1(SALU_CYCLE_1)
	v_cmp_neq_f32_e32 vcc_lo, v62, v61
	s_and_b32 s25, vcc_lo, exec_lo
	s_or_b32 s25, s0, s25
.LBB1171_381:                           ;   in Loop: Header=BB1171_382 Depth=1
	v_dual_mov_b32 v62, s21 :: v_dual_mov_b32 v61, s20
	s_and_b32 s0, exec_lo, s25
	s_delay_alu instid0(SALU_CYCLE_1) | instskip(NEXT) | instid1(SALU_CYCLE_1)
	s_or_b32 s24, s0, s24
	s_and_not1_b32 exec_lo, exec_lo, s24
	s_cbranch_execz .LBB1171_385
.LBB1171_382:                           ; =>This Inner Loop Header: Depth=1
	s_or_b32 s25, s25, exec_lo
	s_cmp_eq_u64 s[14:15], s[20:21]
	s_cbranch_scc0 .LBB1171_380
; %bb.383:                              ;   in Loop: Header=BB1171_382 Depth=1
	s_mov_b64 s[20:21], s[8:9]
                                        ; implicit-def: $vgpr57_vgpr58
                                        ; implicit-def: $vgpr59_vgpr60
	s_branch .LBB1171_381
.LBB1171_384:
	v_mov_b32_e32 v119, 0
	v_mov_b32_e32 v120, 0
	s_branch .LBB1171_387
.LBB1171_385:
	s_set_inst_prefetch_distance 0x2
	s_or_b32 exec_lo, exec_lo, s24
	v_cmp_gt_i64_e32 vcc_lo, s[8:9], v[61:62]
	s_mov_b32 s0, 0
	s_delay_alu instid0(SALU_CYCLE_1)
	v_mov_b32_e32 v120, s0
	v_cndmask_b32_e64 v119, 0, 1, vcc_lo
.LBB1171_386:
	s_or_b32 exec_lo, exec_lo, s23
.LBB1171_387:
	s_delay_alu instid0(SALU_CYCLE_1) | instskip(SKIP_3) | instid1(VALU_DEP_2)
	s_or_b32 exec_lo, exec_lo, s22
	v_dual_mov_b32 v122, v56 :: v_dual_add_nc_u32 v57, 23, v64
	v_mov_b32_e32 v121, v55
	s_mov_b32 s22, exec_lo
	v_cmpx_gt_u32_e64 s3, v57
	s_cbranch_execz .LBB1171_398
; %bb.388:
	v_cmp_ne_u32_e32 vcc_lo, 1, v63
	s_cbranch_vccnz .LBB1171_395
; %bb.389:
	v_mul_lo_u32 v61, v54, s8
	v_mul_lo_u32 v62, v53, s9
	v_mad_u64_u32 v[57:58], null, v53, s8, 0
	v_mul_lo_u32 v65, v56, s8
	v_mul_lo_u32 v66, v55, s9
	v_mad_u64_u32 v[59:60], null, v55, s8, 0
	s_mov_b32 s23, exec_lo
	v_mov_b32_e32 v121, 1
	v_add3_u32 v58, v58, v62, v61
	v_mov_b32_e32 v122, 0
	s_delay_alu instid0(VALU_DEP_4) | instskip(NEXT) | instid1(VALU_DEP_3)
	v_add3_u32 v60, v60, v66, v65
	v_lshlrev_b64 v[57:58], 1, v[57:58]
	s_delay_alu instid0(VALU_DEP_2) | instskip(NEXT) | instid1(VALU_DEP_2)
	v_lshlrev_b64 v[59:60], 1, v[59:60]
	v_add_co_u32 v57, vcc_lo, s10, v57
	s_delay_alu instid0(VALU_DEP_3) | instskip(NEXT) | instid1(VALU_DEP_3)
	v_add_co_ci_u32_e32 v58, vcc_lo, s11, v58, vcc_lo
	v_add_co_u32 v59, vcc_lo, s10, v59
	s_delay_alu instid0(VALU_DEP_4)
	v_add_co_ci_u32_e32 v60, vcc_lo, s11, v60, vcc_lo
	s_clause 0x1
	global_load_u16 v61, v[57:58], off
	global_load_u16 v62, v[59:60], off
	s_waitcnt vmcnt(1)
	v_lshlrev_b32_e32 v61, 16, v61
	s_waitcnt vmcnt(0)
	v_lshlrev_b32_e32 v62, 16, v62
	s_delay_alu instid0(VALU_DEP_1)
	v_cmpx_eq_f32_e32 v62, v61
	s_cbranch_execz .LBB1171_397
; %bb.390:
	v_add_co_u32 v57, vcc_lo, v57, 2
	v_add_co_ci_u32_e32 v58, vcc_lo, 0, v58, vcc_lo
	v_add_co_u32 v59, vcc_lo, v59, 2
	v_add_co_ci_u32_e32 v60, vcc_lo, 0, v60, vcc_lo
	s_add_u32 s14, s8, -1
	s_addc_u32 s15, s9, -1
	s_mov_b64 s[20:21], 0
	s_mov_b32 s24, 0
                                        ; implicit-def: $sgpr25
	s_set_inst_prefetch_distance 0x1
	s_branch .LBB1171_393
	.p2align	6
.LBB1171_391:                           ;   in Loop: Header=BB1171_393 Depth=1
	global_load_u16 v61, v[57:58], off
	global_load_u16 v62, v[59:60], off
	v_add_co_u32 v57, vcc_lo, v57, 2
	v_add_co_ci_u32_e32 v58, vcc_lo, 0, v58, vcc_lo
	v_add_co_u32 v59, s0, v59, 2
	s_delay_alu instid0(VALU_DEP_1)
	v_add_co_ci_u32_e64 v60, s0, 0, v60, s0
	s_add_u32 s20, s20, 1
	s_addc_u32 s21, s21, 0
	s_and_not1_b32 s0, s25, exec_lo
	s_waitcnt vmcnt(1)
	v_lshlrev_b32_e32 v61, 16, v61
	s_waitcnt vmcnt(0)
	v_lshlrev_b32_e32 v62, 16, v62
	s_delay_alu instid0(VALU_DEP_1) | instskip(SKIP_1) | instid1(SALU_CYCLE_1)
	v_cmp_neq_f32_e32 vcc_lo, v62, v61
	s_and_b32 s25, vcc_lo, exec_lo
	s_or_b32 s25, s0, s25
.LBB1171_392:                           ;   in Loop: Header=BB1171_393 Depth=1
	v_dual_mov_b32 v62, s21 :: v_dual_mov_b32 v61, s20
	s_and_b32 s0, exec_lo, s25
	s_delay_alu instid0(SALU_CYCLE_1) | instskip(NEXT) | instid1(SALU_CYCLE_1)
	s_or_b32 s24, s0, s24
	s_and_not1_b32 exec_lo, exec_lo, s24
	s_cbranch_execz .LBB1171_396
.LBB1171_393:                           ; =>This Inner Loop Header: Depth=1
	s_or_b32 s25, s25, exec_lo
	s_cmp_eq_u64 s[14:15], s[20:21]
	s_cbranch_scc0 .LBB1171_391
; %bb.394:                              ;   in Loop: Header=BB1171_393 Depth=1
	s_mov_b64 s[20:21], s[8:9]
                                        ; implicit-def: $vgpr57_vgpr58
                                        ; implicit-def: $vgpr59_vgpr60
	s_branch .LBB1171_392
.LBB1171_395:
	v_mov_b32_e32 v121, 0
	v_mov_b32_e32 v122, 0
	s_branch .LBB1171_398
.LBB1171_396:
	s_set_inst_prefetch_distance 0x2
	s_or_b32 exec_lo, exec_lo, s24
	v_cmp_gt_i64_e32 vcc_lo, s[8:9], v[61:62]
	s_mov_b32 s0, 0
	s_delay_alu instid0(SALU_CYCLE_1)
	v_mov_b32_e32 v122, s0
	v_cndmask_b32_e64 v121, 0, 1, vcc_lo
.LBB1171_397:
	s_or_b32 exec_lo, exec_lo, s23
.LBB1171_398:
	s_delay_alu instid0(SALU_CYCLE_1) | instskip(SKIP_3) | instid1(VALU_DEP_2)
	s_or_b32 exec_lo, exec_lo, s22
	v_dual_mov_b32 v124, v54 :: v_dual_add_nc_u32 v57, 22, v64
	v_mov_b32_e32 v123, v53
	s_mov_b32 s22, exec_lo
	v_cmpx_gt_u32_e64 s3, v57
	s_cbranch_execz .LBB1171_409
; %bb.399:
	v_cmp_ne_u32_e32 vcc_lo, 1, v63
	s_cbranch_vccnz .LBB1171_406
; %bb.400:
	v_mul_lo_u32 v61, v52, s8
	v_mul_lo_u32 v62, v51, s9
	v_mad_u64_u32 v[57:58], null, v51, s8, 0
	v_mul_lo_u32 v65, v54, s8
	v_mul_lo_u32 v66, v53, s9
	v_mad_u64_u32 v[59:60], null, v53, s8, 0
	s_mov_b32 s23, exec_lo
	v_mov_b32_e32 v123, 1
	v_add3_u32 v58, v58, v62, v61
	v_mov_b32_e32 v124, 0
	s_delay_alu instid0(VALU_DEP_4) | instskip(NEXT) | instid1(VALU_DEP_3)
	v_add3_u32 v60, v60, v66, v65
	v_lshlrev_b64 v[57:58], 1, v[57:58]
	s_delay_alu instid0(VALU_DEP_2) | instskip(NEXT) | instid1(VALU_DEP_2)
	v_lshlrev_b64 v[59:60], 1, v[59:60]
	v_add_co_u32 v57, vcc_lo, s10, v57
	s_delay_alu instid0(VALU_DEP_3) | instskip(NEXT) | instid1(VALU_DEP_3)
	v_add_co_ci_u32_e32 v58, vcc_lo, s11, v58, vcc_lo
	v_add_co_u32 v59, vcc_lo, s10, v59
	s_delay_alu instid0(VALU_DEP_4)
	v_add_co_ci_u32_e32 v60, vcc_lo, s11, v60, vcc_lo
	s_clause 0x1
	global_load_u16 v61, v[57:58], off
	global_load_u16 v62, v[59:60], off
	s_waitcnt vmcnt(1)
	v_lshlrev_b32_e32 v61, 16, v61
	s_waitcnt vmcnt(0)
	v_lshlrev_b32_e32 v62, 16, v62
	s_delay_alu instid0(VALU_DEP_1)
	v_cmpx_eq_f32_e32 v62, v61
	s_cbranch_execz .LBB1171_408
; %bb.401:
	v_add_co_u32 v57, vcc_lo, v57, 2
	v_add_co_ci_u32_e32 v58, vcc_lo, 0, v58, vcc_lo
	v_add_co_u32 v59, vcc_lo, v59, 2
	v_add_co_ci_u32_e32 v60, vcc_lo, 0, v60, vcc_lo
	s_add_u32 s14, s8, -1
	s_addc_u32 s15, s9, -1
	s_mov_b64 s[20:21], 0
	s_mov_b32 s24, 0
                                        ; implicit-def: $sgpr25
	s_set_inst_prefetch_distance 0x1
	s_branch .LBB1171_404
	.p2align	6
.LBB1171_402:                           ;   in Loop: Header=BB1171_404 Depth=1
	global_load_u16 v61, v[57:58], off
	global_load_u16 v62, v[59:60], off
	v_add_co_u32 v57, vcc_lo, v57, 2
	v_add_co_ci_u32_e32 v58, vcc_lo, 0, v58, vcc_lo
	v_add_co_u32 v59, s0, v59, 2
	s_delay_alu instid0(VALU_DEP_1)
	v_add_co_ci_u32_e64 v60, s0, 0, v60, s0
	s_add_u32 s20, s20, 1
	s_addc_u32 s21, s21, 0
	s_and_not1_b32 s0, s25, exec_lo
	s_waitcnt vmcnt(1)
	v_lshlrev_b32_e32 v61, 16, v61
	s_waitcnt vmcnt(0)
	v_lshlrev_b32_e32 v62, 16, v62
	s_delay_alu instid0(VALU_DEP_1) | instskip(SKIP_1) | instid1(SALU_CYCLE_1)
	v_cmp_neq_f32_e32 vcc_lo, v62, v61
	s_and_b32 s25, vcc_lo, exec_lo
	s_or_b32 s25, s0, s25
.LBB1171_403:                           ;   in Loop: Header=BB1171_404 Depth=1
	v_dual_mov_b32 v62, s21 :: v_dual_mov_b32 v61, s20
	s_and_b32 s0, exec_lo, s25
	s_delay_alu instid0(SALU_CYCLE_1) | instskip(NEXT) | instid1(SALU_CYCLE_1)
	s_or_b32 s24, s0, s24
	s_and_not1_b32 exec_lo, exec_lo, s24
	s_cbranch_execz .LBB1171_407
.LBB1171_404:                           ; =>This Inner Loop Header: Depth=1
	s_or_b32 s25, s25, exec_lo
	s_cmp_eq_u64 s[14:15], s[20:21]
	s_cbranch_scc0 .LBB1171_402
; %bb.405:                              ;   in Loop: Header=BB1171_404 Depth=1
	s_mov_b64 s[20:21], s[8:9]
                                        ; implicit-def: $vgpr57_vgpr58
                                        ; implicit-def: $vgpr59_vgpr60
	s_branch .LBB1171_403
.LBB1171_406:
	v_mov_b32_e32 v123, 0
	v_mov_b32_e32 v124, 0
	s_branch .LBB1171_409
.LBB1171_407:
	s_set_inst_prefetch_distance 0x2
	s_or_b32 exec_lo, exec_lo, s24
	v_cmp_gt_i64_e32 vcc_lo, s[8:9], v[61:62]
	s_mov_b32 s0, 0
	s_delay_alu instid0(SALU_CYCLE_1)
	v_mov_b32_e32 v124, s0
	v_cndmask_b32_e64 v123, 0, 1, vcc_lo
.LBB1171_408:
	s_or_b32 exec_lo, exec_lo, s23
.LBB1171_409:
	s_delay_alu instid0(SALU_CYCLE_1) | instskip(SKIP_3) | instid1(VALU_DEP_2)
	s_or_b32 exec_lo, exec_lo, s22
	v_dual_mov_b32 v126, v52 :: v_dual_add_nc_u32 v57, 21, v64
	v_mov_b32_e32 v125, v51
	s_mov_b32 s22, exec_lo
	v_cmpx_gt_u32_e64 s3, v57
	s_cbranch_execz .LBB1171_420
; %bb.410:
	v_cmp_ne_u32_e32 vcc_lo, 1, v63
	s_cbranch_vccnz .LBB1171_417
; %bb.411:
	v_mul_lo_u32 v61, v50, s8
	v_mul_lo_u32 v62, v49, s9
	v_mad_u64_u32 v[57:58], null, v49, s8, 0
	v_mul_lo_u32 v65, v52, s8
	v_mul_lo_u32 v66, v51, s9
	v_mad_u64_u32 v[59:60], null, v51, s8, 0
	s_mov_b32 s23, exec_lo
	v_mov_b32_e32 v125, 1
	v_add3_u32 v58, v58, v62, v61
	v_mov_b32_e32 v126, 0
	s_delay_alu instid0(VALU_DEP_4) | instskip(NEXT) | instid1(VALU_DEP_3)
	v_add3_u32 v60, v60, v66, v65
	v_lshlrev_b64 v[57:58], 1, v[57:58]
	s_delay_alu instid0(VALU_DEP_2) | instskip(NEXT) | instid1(VALU_DEP_2)
	v_lshlrev_b64 v[59:60], 1, v[59:60]
	v_add_co_u32 v57, vcc_lo, s10, v57
	s_delay_alu instid0(VALU_DEP_3) | instskip(NEXT) | instid1(VALU_DEP_3)
	v_add_co_ci_u32_e32 v58, vcc_lo, s11, v58, vcc_lo
	v_add_co_u32 v59, vcc_lo, s10, v59
	s_delay_alu instid0(VALU_DEP_4)
	v_add_co_ci_u32_e32 v60, vcc_lo, s11, v60, vcc_lo
	s_clause 0x1
	global_load_u16 v61, v[57:58], off
	global_load_u16 v62, v[59:60], off
	s_waitcnt vmcnt(1)
	v_lshlrev_b32_e32 v61, 16, v61
	s_waitcnt vmcnt(0)
	v_lshlrev_b32_e32 v62, 16, v62
	s_delay_alu instid0(VALU_DEP_1)
	v_cmpx_eq_f32_e32 v62, v61
	s_cbranch_execz .LBB1171_419
; %bb.412:
	v_add_co_u32 v57, vcc_lo, v57, 2
	v_add_co_ci_u32_e32 v58, vcc_lo, 0, v58, vcc_lo
	v_add_co_u32 v59, vcc_lo, v59, 2
	v_add_co_ci_u32_e32 v60, vcc_lo, 0, v60, vcc_lo
	s_add_u32 s14, s8, -1
	s_addc_u32 s15, s9, -1
	s_mov_b64 s[20:21], 0
	s_mov_b32 s24, 0
                                        ; implicit-def: $sgpr25
	s_set_inst_prefetch_distance 0x1
	s_branch .LBB1171_415
	.p2align	6
.LBB1171_413:                           ;   in Loop: Header=BB1171_415 Depth=1
	global_load_u16 v61, v[57:58], off
	global_load_u16 v62, v[59:60], off
	v_add_co_u32 v57, vcc_lo, v57, 2
	v_add_co_ci_u32_e32 v58, vcc_lo, 0, v58, vcc_lo
	v_add_co_u32 v59, s0, v59, 2
	s_delay_alu instid0(VALU_DEP_1)
	v_add_co_ci_u32_e64 v60, s0, 0, v60, s0
	s_add_u32 s20, s20, 1
	s_addc_u32 s21, s21, 0
	s_and_not1_b32 s0, s25, exec_lo
	s_waitcnt vmcnt(1)
	v_lshlrev_b32_e32 v61, 16, v61
	s_waitcnt vmcnt(0)
	v_lshlrev_b32_e32 v62, 16, v62
	s_delay_alu instid0(VALU_DEP_1) | instskip(SKIP_1) | instid1(SALU_CYCLE_1)
	v_cmp_neq_f32_e32 vcc_lo, v62, v61
	s_and_b32 s25, vcc_lo, exec_lo
	s_or_b32 s25, s0, s25
.LBB1171_414:                           ;   in Loop: Header=BB1171_415 Depth=1
	v_dual_mov_b32 v62, s21 :: v_dual_mov_b32 v61, s20
	s_and_b32 s0, exec_lo, s25
	s_delay_alu instid0(SALU_CYCLE_1) | instskip(NEXT) | instid1(SALU_CYCLE_1)
	s_or_b32 s24, s0, s24
	s_and_not1_b32 exec_lo, exec_lo, s24
	s_cbranch_execz .LBB1171_418
.LBB1171_415:                           ; =>This Inner Loop Header: Depth=1
	s_or_b32 s25, s25, exec_lo
	s_cmp_eq_u64 s[14:15], s[20:21]
	s_cbranch_scc0 .LBB1171_413
; %bb.416:                              ;   in Loop: Header=BB1171_415 Depth=1
	s_mov_b64 s[20:21], s[8:9]
                                        ; implicit-def: $vgpr57_vgpr58
                                        ; implicit-def: $vgpr59_vgpr60
	s_branch .LBB1171_414
.LBB1171_417:
	v_mov_b32_e32 v125, 0
	v_mov_b32_e32 v126, 0
	s_branch .LBB1171_420
.LBB1171_418:
	s_set_inst_prefetch_distance 0x2
	s_or_b32 exec_lo, exec_lo, s24
	v_cmp_gt_i64_e32 vcc_lo, s[8:9], v[61:62]
	s_mov_b32 s0, 0
	s_delay_alu instid0(SALU_CYCLE_1)
	v_mov_b32_e32 v126, s0
	v_cndmask_b32_e64 v125, 0, 1, vcc_lo
.LBB1171_419:
	s_or_b32 exec_lo, exec_lo, s23
.LBB1171_420:
	s_delay_alu instid0(SALU_CYCLE_1) | instskip(SKIP_3) | instid1(VALU_DEP_2)
	s_or_b32 exec_lo, exec_lo, s22
	v_dual_mov_b32 v128, v50 :: v_dual_add_nc_u32 v57, 20, v64
	v_mov_b32_e32 v127, v49
	s_mov_b32 s22, exec_lo
	v_cmpx_gt_u32_e64 s3, v57
	s_cbranch_execz .LBB1171_431
; %bb.421:
	v_cmp_ne_u32_e32 vcc_lo, 1, v63
	s_cbranch_vccnz .LBB1171_428
; %bb.422:
	v_mul_lo_u32 v61, v48, s8
	v_mul_lo_u32 v62, v47, s9
	v_mad_u64_u32 v[57:58], null, v47, s8, 0
	v_mul_lo_u32 v65, v50, s8
	v_mul_lo_u32 v66, v49, s9
	v_mad_u64_u32 v[59:60], null, v49, s8, 0
	s_mov_b32 s23, exec_lo
	v_mov_b32_e32 v127, 1
	v_add3_u32 v58, v58, v62, v61
	v_mov_b32_e32 v128, 0
	s_delay_alu instid0(VALU_DEP_4) | instskip(NEXT) | instid1(VALU_DEP_3)
	v_add3_u32 v60, v60, v66, v65
	v_lshlrev_b64 v[57:58], 1, v[57:58]
	s_delay_alu instid0(VALU_DEP_2) | instskip(NEXT) | instid1(VALU_DEP_2)
	v_lshlrev_b64 v[59:60], 1, v[59:60]
	v_add_co_u32 v57, vcc_lo, s10, v57
	s_delay_alu instid0(VALU_DEP_3) | instskip(NEXT) | instid1(VALU_DEP_3)
	v_add_co_ci_u32_e32 v58, vcc_lo, s11, v58, vcc_lo
	v_add_co_u32 v59, vcc_lo, s10, v59
	s_delay_alu instid0(VALU_DEP_4)
	v_add_co_ci_u32_e32 v60, vcc_lo, s11, v60, vcc_lo
	s_clause 0x1
	global_load_u16 v61, v[57:58], off
	global_load_u16 v62, v[59:60], off
	s_waitcnt vmcnt(1)
	v_lshlrev_b32_e32 v61, 16, v61
	s_waitcnt vmcnt(0)
	v_lshlrev_b32_e32 v62, 16, v62
	s_delay_alu instid0(VALU_DEP_1)
	v_cmpx_eq_f32_e32 v62, v61
	s_cbranch_execz .LBB1171_430
; %bb.423:
	v_add_co_u32 v57, vcc_lo, v57, 2
	v_add_co_ci_u32_e32 v58, vcc_lo, 0, v58, vcc_lo
	v_add_co_u32 v59, vcc_lo, v59, 2
	v_add_co_ci_u32_e32 v60, vcc_lo, 0, v60, vcc_lo
	s_add_u32 s14, s8, -1
	s_addc_u32 s15, s9, -1
	s_mov_b64 s[20:21], 0
	s_mov_b32 s24, 0
                                        ; implicit-def: $sgpr25
	s_set_inst_prefetch_distance 0x1
	s_branch .LBB1171_426
	.p2align	6
.LBB1171_424:                           ;   in Loop: Header=BB1171_426 Depth=1
	global_load_u16 v61, v[57:58], off
	global_load_u16 v62, v[59:60], off
	v_add_co_u32 v57, vcc_lo, v57, 2
	v_add_co_ci_u32_e32 v58, vcc_lo, 0, v58, vcc_lo
	v_add_co_u32 v59, s0, v59, 2
	s_delay_alu instid0(VALU_DEP_1)
	v_add_co_ci_u32_e64 v60, s0, 0, v60, s0
	s_add_u32 s20, s20, 1
	s_addc_u32 s21, s21, 0
	s_and_not1_b32 s0, s25, exec_lo
	s_waitcnt vmcnt(1)
	v_lshlrev_b32_e32 v61, 16, v61
	s_waitcnt vmcnt(0)
	v_lshlrev_b32_e32 v62, 16, v62
	s_delay_alu instid0(VALU_DEP_1) | instskip(SKIP_1) | instid1(SALU_CYCLE_1)
	v_cmp_neq_f32_e32 vcc_lo, v62, v61
	s_and_b32 s25, vcc_lo, exec_lo
	s_or_b32 s25, s0, s25
.LBB1171_425:                           ;   in Loop: Header=BB1171_426 Depth=1
	v_dual_mov_b32 v62, s21 :: v_dual_mov_b32 v61, s20
	s_and_b32 s0, exec_lo, s25
	s_delay_alu instid0(SALU_CYCLE_1) | instskip(NEXT) | instid1(SALU_CYCLE_1)
	s_or_b32 s24, s0, s24
	s_and_not1_b32 exec_lo, exec_lo, s24
	s_cbranch_execz .LBB1171_429
.LBB1171_426:                           ; =>This Inner Loop Header: Depth=1
	s_or_b32 s25, s25, exec_lo
	s_cmp_eq_u64 s[14:15], s[20:21]
	s_cbranch_scc0 .LBB1171_424
; %bb.427:                              ;   in Loop: Header=BB1171_426 Depth=1
	s_mov_b64 s[20:21], s[8:9]
                                        ; implicit-def: $vgpr57_vgpr58
                                        ; implicit-def: $vgpr59_vgpr60
	s_branch .LBB1171_425
.LBB1171_428:
	v_mov_b32_e32 v127, 0
	v_mov_b32_e32 v128, 0
	s_branch .LBB1171_431
.LBB1171_429:
	s_set_inst_prefetch_distance 0x2
	s_or_b32 exec_lo, exec_lo, s24
	v_cmp_gt_i64_e32 vcc_lo, s[8:9], v[61:62]
	s_mov_b32 s0, 0
	s_delay_alu instid0(SALU_CYCLE_1)
	v_mov_b32_e32 v128, s0
	v_cndmask_b32_e64 v127, 0, 1, vcc_lo
.LBB1171_430:
	s_or_b32 exec_lo, exec_lo, s23
.LBB1171_431:
	s_delay_alu instid0(SALU_CYCLE_1) | instskip(SKIP_3) | instid1(VALU_DEP_2)
	s_or_b32 exec_lo, exec_lo, s22
	v_dual_mov_b32 v130, v48 :: v_dual_add_nc_u32 v57, 19, v64
	v_mov_b32_e32 v129, v47
	s_mov_b32 s22, exec_lo
	v_cmpx_gt_u32_e64 s3, v57
	s_cbranch_execz .LBB1171_442
; %bb.432:
	v_cmp_ne_u32_e32 vcc_lo, 1, v63
	s_cbranch_vccnz .LBB1171_439
; %bb.433:
	v_mul_lo_u32 v61, v46, s8
	v_mul_lo_u32 v62, v45, s9
	v_mad_u64_u32 v[57:58], null, v45, s8, 0
	v_mul_lo_u32 v65, v48, s8
	v_mul_lo_u32 v66, v47, s9
	v_mad_u64_u32 v[59:60], null, v47, s8, 0
	s_mov_b32 s23, exec_lo
	v_mov_b32_e32 v129, 1
	v_add3_u32 v58, v58, v62, v61
	v_mov_b32_e32 v130, 0
	s_delay_alu instid0(VALU_DEP_4) | instskip(NEXT) | instid1(VALU_DEP_3)
	v_add3_u32 v60, v60, v66, v65
	v_lshlrev_b64 v[57:58], 1, v[57:58]
	s_delay_alu instid0(VALU_DEP_2) | instskip(NEXT) | instid1(VALU_DEP_2)
	v_lshlrev_b64 v[59:60], 1, v[59:60]
	v_add_co_u32 v57, vcc_lo, s10, v57
	s_delay_alu instid0(VALU_DEP_3) | instskip(NEXT) | instid1(VALU_DEP_3)
	v_add_co_ci_u32_e32 v58, vcc_lo, s11, v58, vcc_lo
	v_add_co_u32 v59, vcc_lo, s10, v59
	s_delay_alu instid0(VALU_DEP_4)
	v_add_co_ci_u32_e32 v60, vcc_lo, s11, v60, vcc_lo
	s_clause 0x1
	global_load_u16 v61, v[57:58], off
	global_load_u16 v62, v[59:60], off
	s_waitcnt vmcnt(1)
	v_lshlrev_b32_e32 v61, 16, v61
	s_waitcnt vmcnt(0)
	v_lshlrev_b32_e32 v62, 16, v62
	s_delay_alu instid0(VALU_DEP_1)
	v_cmpx_eq_f32_e32 v62, v61
	s_cbranch_execz .LBB1171_441
; %bb.434:
	v_add_co_u32 v57, vcc_lo, v57, 2
	v_add_co_ci_u32_e32 v58, vcc_lo, 0, v58, vcc_lo
	v_add_co_u32 v59, vcc_lo, v59, 2
	v_add_co_ci_u32_e32 v60, vcc_lo, 0, v60, vcc_lo
	s_add_u32 s14, s8, -1
	s_addc_u32 s15, s9, -1
	s_mov_b64 s[20:21], 0
	s_mov_b32 s24, 0
                                        ; implicit-def: $sgpr25
	s_set_inst_prefetch_distance 0x1
	s_branch .LBB1171_437
	.p2align	6
.LBB1171_435:                           ;   in Loop: Header=BB1171_437 Depth=1
	global_load_u16 v61, v[57:58], off
	global_load_u16 v62, v[59:60], off
	v_add_co_u32 v57, vcc_lo, v57, 2
	v_add_co_ci_u32_e32 v58, vcc_lo, 0, v58, vcc_lo
	v_add_co_u32 v59, s0, v59, 2
	s_delay_alu instid0(VALU_DEP_1)
	v_add_co_ci_u32_e64 v60, s0, 0, v60, s0
	s_add_u32 s20, s20, 1
	s_addc_u32 s21, s21, 0
	s_and_not1_b32 s0, s25, exec_lo
	s_waitcnt vmcnt(1)
	v_lshlrev_b32_e32 v61, 16, v61
	s_waitcnt vmcnt(0)
	v_lshlrev_b32_e32 v62, 16, v62
	s_delay_alu instid0(VALU_DEP_1) | instskip(SKIP_1) | instid1(SALU_CYCLE_1)
	v_cmp_neq_f32_e32 vcc_lo, v62, v61
	s_and_b32 s25, vcc_lo, exec_lo
	s_or_b32 s25, s0, s25
.LBB1171_436:                           ;   in Loop: Header=BB1171_437 Depth=1
	v_dual_mov_b32 v62, s21 :: v_dual_mov_b32 v61, s20
	s_and_b32 s0, exec_lo, s25
	s_delay_alu instid0(SALU_CYCLE_1) | instskip(NEXT) | instid1(SALU_CYCLE_1)
	s_or_b32 s24, s0, s24
	s_and_not1_b32 exec_lo, exec_lo, s24
	s_cbranch_execz .LBB1171_440
.LBB1171_437:                           ; =>This Inner Loop Header: Depth=1
	s_or_b32 s25, s25, exec_lo
	s_cmp_eq_u64 s[14:15], s[20:21]
	s_cbranch_scc0 .LBB1171_435
; %bb.438:                              ;   in Loop: Header=BB1171_437 Depth=1
	s_mov_b64 s[20:21], s[8:9]
                                        ; implicit-def: $vgpr57_vgpr58
                                        ; implicit-def: $vgpr59_vgpr60
	s_branch .LBB1171_436
.LBB1171_439:
	v_mov_b32_e32 v129, 0
	v_mov_b32_e32 v130, 0
	s_branch .LBB1171_442
.LBB1171_440:
	s_set_inst_prefetch_distance 0x2
	s_or_b32 exec_lo, exec_lo, s24
	v_cmp_gt_i64_e32 vcc_lo, s[8:9], v[61:62]
	s_mov_b32 s0, 0
	s_delay_alu instid0(SALU_CYCLE_1)
	v_mov_b32_e32 v130, s0
	v_cndmask_b32_e64 v129, 0, 1, vcc_lo
.LBB1171_441:
	s_or_b32 exec_lo, exec_lo, s23
.LBB1171_442:
	s_delay_alu instid0(SALU_CYCLE_1) | instskip(SKIP_3) | instid1(VALU_DEP_2)
	s_or_b32 exec_lo, exec_lo, s22
	v_dual_mov_b32 v132, v46 :: v_dual_add_nc_u32 v57, 18, v64
	v_mov_b32_e32 v131, v45
	s_mov_b32 s22, exec_lo
	v_cmpx_gt_u32_e64 s3, v57
	s_cbranch_execz .LBB1171_453
; %bb.443:
	v_cmp_ne_u32_e32 vcc_lo, 1, v63
	s_cbranch_vccnz .LBB1171_450
; %bb.444:
	v_mul_lo_u32 v61, v44, s8
	v_mul_lo_u32 v62, v43, s9
	v_mad_u64_u32 v[57:58], null, v43, s8, 0
	v_mul_lo_u32 v65, v46, s8
	v_mul_lo_u32 v66, v45, s9
	v_mad_u64_u32 v[59:60], null, v45, s8, 0
	s_mov_b32 s23, exec_lo
	v_mov_b32_e32 v131, 1
	v_add3_u32 v58, v58, v62, v61
	v_mov_b32_e32 v132, 0
	s_delay_alu instid0(VALU_DEP_4) | instskip(NEXT) | instid1(VALU_DEP_3)
	v_add3_u32 v60, v60, v66, v65
	v_lshlrev_b64 v[57:58], 1, v[57:58]
	s_delay_alu instid0(VALU_DEP_2) | instskip(NEXT) | instid1(VALU_DEP_2)
	v_lshlrev_b64 v[59:60], 1, v[59:60]
	v_add_co_u32 v57, vcc_lo, s10, v57
	s_delay_alu instid0(VALU_DEP_3) | instskip(NEXT) | instid1(VALU_DEP_3)
	v_add_co_ci_u32_e32 v58, vcc_lo, s11, v58, vcc_lo
	v_add_co_u32 v59, vcc_lo, s10, v59
	s_delay_alu instid0(VALU_DEP_4)
	v_add_co_ci_u32_e32 v60, vcc_lo, s11, v60, vcc_lo
	s_clause 0x1
	global_load_u16 v61, v[57:58], off
	global_load_u16 v62, v[59:60], off
	s_waitcnt vmcnt(1)
	v_lshlrev_b32_e32 v61, 16, v61
	s_waitcnt vmcnt(0)
	v_lshlrev_b32_e32 v62, 16, v62
	s_delay_alu instid0(VALU_DEP_1)
	v_cmpx_eq_f32_e32 v62, v61
	s_cbranch_execz .LBB1171_452
; %bb.445:
	v_add_co_u32 v57, vcc_lo, v57, 2
	v_add_co_ci_u32_e32 v58, vcc_lo, 0, v58, vcc_lo
	v_add_co_u32 v59, vcc_lo, v59, 2
	v_add_co_ci_u32_e32 v60, vcc_lo, 0, v60, vcc_lo
	s_add_u32 s14, s8, -1
	s_addc_u32 s15, s9, -1
	s_mov_b64 s[20:21], 0
	s_mov_b32 s24, 0
                                        ; implicit-def: $sgpr25
	s_set_inst_prefetch_distance 0x1
	s_branch .LBB1171_448
	.p2align	6
.LBB1171_446:                           ;   in Loop: Header=BB1171_448 Depth=1
	global_load_u16 v61, v[57:58], off
	global_load_u16 v62, v[59:60], off
	v_add_co_u32 v57, vcc_lo, v57, 2
	v_add_co_ci_u32_e32 v58, vcc_lo, 0, v58, vcc_lo
	v_add_co_u32 v59, s0, v59, 2
	s_delay_alu instid0(VALU_DEP_1)
	v_add_co_ci_u32_e64 v60, s0, 0, v60, s0
	s_add_u32 s20, s20, 1
	s_addc_u32 s21, s21, 0
	s_and_not1_b32 s0, s25, exec_lo
	s_waitcnt vmcnt(1)
	v_lshlrev_b32_e32 v61, 16, v61
	s_waitcnt vmcnt(0)
	v_lshlrev_b32_e32 v62, 16, v62
	s_delay_alu instid0(VALU_DEP_1) | instskip(SKIP_1) | instid1(SALU_CYCLE_1)
	v_cmp_neq_f32_e32 vcc_lo, v62, v61
	s_and_b32 s25, vcc_lo, exec_lo
	s_or_b32 s25, s0, s25
.LBB1171_447:                           ;   in Loop: Header=BB1171_448 Depth=1
	v_dual_mov_b32 v62, s21 :: v_dual_mov_b32 v61, s20
	s_and_b32 s0, exec_lo, s25
	s_delay_alu instid0(SALU_CYCLE_1) | instskip(NEXT) | instid1(SALU_CYCLE_1)
	s_or_b32 s24, s0, s24
	s_and_not1_b32 exec_lo, exec_lo, s24
	s_cbranch_execz .LBB1171_451
.LBB1171_448:                           ; =>This Inner Loop Header: Depth=1
	s_or_b32 s25, s25, exec_lo
	s_cmp_eq_u64 s[14:15], s[20:21]
	s_cbranch_scc0 .LBB1171_446
; %bb.449:                              ;   in Loop: Header=BB1171_448 Depth=1
	s_mov_b64 s[20:21], s[8:9]
                                        ; implicit-def: $vgpr57_vgpr58
                                        ; implicit-def: $vgpr59_vgpr60
	s_branch .LBB1171_447
.LBB1171_450:
	v_mov_b32_e32 v131, 0
	v_mov_b32_e32 v132, 0
	s_branch .LBB1171_453
.LBB1171_451:
	s_set_inst_prefetch_distance 0x2
	s_or_b32 exec_lo, exec_lo, s24
	v_cmp_gt_i64_e32 vcc_lo, s[8:9], v[61:62]
	s_mov_b32 s0, 0
	s_delay_alu instid0(SALU_CYCLE_1)
	v_mov_b32_e32 v132, s0
	v_cndmask_b32_e64 v131, 0, 1, vcc_lo
.LBB1171_452:
	s_or_b32 exec_lo, exec_lo, s23
.LBB1171_453:
	s_delay_alu instid0(SALU_CYCLE_1) | instskip(SKIP_3) | instid1(VALU_DEP_2)
	s_or_b32 exec_lo, exec_lo, s22
	v_dual_mov_b32 v134, v44 :: v_dual_add_nc_u32 v57, 17, v64
	v_mov_b32_e32 v133, v43
	s_mov_b32 s22, exec_lo
	v_cmpx_gt_u32_e64 s3, v57
	s_cbranch_execz .LBB1171_464
; %bb.454:
	v_cmp_ne_u32_e32 vcc_lo, 1, v63
	s_cbranch_vccnz .LBB1171_461
; %bb.455:
	v_mul_lo_u32 v61, v42, s8
	v_mul_lo_u32 v62, v41, s9
	v_mad_u64_u32 v[57:58], null, v41, s8, 0
	v_mul_lo_u32 v65, v44, s8
	v_mul_lo_u32 v66, v43, s9
	v_mad_u64_u32 v[59:60], null, v43, s8, 0
	s_mov_b32 s23, exec_lo
	v_mov_b32_e32 v133, 1
	v_add3_u32 v58, v58, v62, v61
	v_mov_b32_e32 v134, 0
	s_delay_alu instid0(VALU_DEP_4) | instskip(NEXT) | instid1(VALU_DEP_3)
	v_add3_u32 v60, v60, v66, v65
	v_lshlrev_b64 v[57:58], 1, v[57:58]
	s_delay_alu instid0(VALU_DEP_2) | instskip(NEXT) | instid1(VALU_DEP_2)
	v_lshlrev_b64 v[59:60], 1, v[59:60]
	v_add_co_u32 v57, vcc_lo, s10, v57
	s_delay_alu instid0(VALU_DEP_3) | instskip(NEXT) | instid1(VALU_DEP_3)
	v_add_co_ci_u32_e32 v58, vcc_lo, s11, v58, vcc_lo
	v_add_co_u32 v59, vcc_lo, s10, v59
	s_delay_alu instid0(VALU_DEP_4)
	v_add_co_ci_u32_e32 v60, vcc_lo, s11, v60, vcc_lo
	s_clause 0x1
	global_load_u16 v61, v[57:58], off
	global_load_u16 v62, v[59:60], off
	s_waitcnt vmcnt(1)
	v_lshlrev_b32_e32 v61, 16, v61
	s_waitcnt vmcnt(0)
	v_lshlrev_b32_e32 v62, 16, v62
	s_delay_alu instid0(VALU_DEP_1)
	v_cmpx_eq_f32_e32 v62, v61
	s_cbranch_execz .LBB1171_463
; %bb.456:
	v_add_co_u32 v57, vcc_lo, v57, 2
	v_add_co_ci_u32_e32 v58, vcc_lo, 0, v58, vcc_lo
	v_add_co_u32 v59, vcc_lo, v59, 2
	v_add_co_ci_u32_e32 v60, vcc_lo, 0, v60, vcc_lo
	s_add_u32 s14, s8, -1
	s_addc_u32 s15, s9, -1
	s_mov_b64 s[20:21], 0
	s_mov_b32 s24, 0
                                        ; implicit-def: $sgpr25
	s_set_inst_prefetch_distance 0x1
	s_branch .LBB1171_459
	.p2align	6
.LBB1171_457:                           ;   in Loop: Header=BB1171_459 Depth=1
	global_load_u16 v61, v[57:58], off
	global_load_u16 v62, v[59:60], off
	v_add_co_u32 v57, vcc_lo, v57, 2
	v_add_co_ci_u32_e32 v58, vcc_lo, 0, v58, vcc_lo
	v_add_co_u32 v59, s0, v59, 2
	s_delay_alu instid0(VALU_DEP_1)
	v_add_co_ci_u32_e64 v60, s0, 0, v60, s0
	s_add_u32 s20, s20, 1
	s_addc_u32 s21, s21, 0
	s_and_not1_b32 s0, s25, exec_lo
	s_waitcnt vmcnt(1)
	v_lshlrev_b32_e32 v61, 16, v61
	s_waitcnt vmcnt(0)
	v_lshlrev_b32_e32 v62, 16, v62
	s_delay_alu instid0(VALU_DEP_1) | instskip(SKIP_1) | instid1(SALU_CYCLE_1)
	v_cmp_neq_f32_e32 vcc_lo, v62, v61
	s_and_b32 s25, vcc_lo, exec_lo
	s_or_b32 s25, s0, s25
.LBB1171_458:                           ;   in Loop: Header=BB1171_459 Depth=1
	v_dual_mov_b32 v62, s21 :: v_dual_mov_b32 v61, s20
	s_and_b32 s0, exec_lo, s25
	s_delay_alu instid0(SALU_CYCLE_1) | instskip(NEXT) | instid1(SALU_CYCLE_1)
	s_or_b32 s24, s0, s24
	s_and_not1_b32 exec_lo, exec_lo, s24
	s_cbranch_execz .LBB1171_462
.LBB1171_459:                           ; =>This Inner Loop Header: Depth=1
	s_or_b32 s25, s25, exec_lo
	s_cmp_eq_u64 s[14:15], s[20:21]
	s_cbranch_scc0 .LBB1171_457
; %bb.460:                              ;   in Loop: Header=BB1171_459 Depth=1
	s_mov_b64 s[20:21], s[8:9]
                                        ; implicit-def: $vgpr57_vgpr58
                                        ; implicit-def: $vgpr59_vgpr60
	s_branch .LBB1171_458
.LBB1171_461:
	v_mov_b32_e32 v133, 0
	v_mov_b32_e32 v134, 0
	s_branch .LBB1171_464
.LBB1171_462:
	s_set_inst_prefetch_distance 0x2
	s_or_b32 exec_lo, exec_lo, s24
	v_cmp_gt_i64_e32 vcc_lo, s[8:9], v[61:62]
	s_mov_b32 s0, 0
	s_delay_alu instid0(SALU_CYCLE_1)
	v_mov_b32_e32 v134, s0
	v_cndmask_b32_e64 v133, 0, 1, vcc_lo
.LBB1171_463:
	s_or_b32 exec_lo, exec_lo, s23
.LBB1171_464:
	s_delay_alu instid0(SALU_CYCLE_1) | instskip(SKIP_3) | instid1(VALU_DEP_2)
	s_or_b32 exec_lo, exec_lo, s22
	v_dual_mov_b32 v136, v42 :: v_dual_add_nc_u32 v57, 16, v64
	v_mov_b32_e32 v135, v41
	s_mov_b32 s22, exec_lo
	v_cmpx_gt_u32_e64 s3, v57
	s_cbranch_execz .LBB1171_475
; %bb.465:
	v_cmp_ne_u32_e32 vcc_lo, 1, v63
	s_cbranch_vccnz .LBB1171_472
; %bb.466:
	v_mul_lo_u32 v61, v40, s8
	v_mul_lo_u32 v62, v39, s9
	v_mad_u64_u32 v[57:58], null, v39, s8, 0
	v_mul_lo_u32 v65, v42, s8
	v_mul_lo_u32 v66, v41, s9
	v_mad_u64_u32 v[59:60], null, v41, s8, 0
	s_mov_b32 s23, exec_lo
	v_mov_b32_e32 v135, 1
	v_add3_u32 v58, v58, v62, v61
	v_mov_b32_e32 v136, 0
	s_delay_alu instid0(VALU_DEP_4) | instskip(NEXT) | instid1(VALU_DEP_3)
	v_add3_u32 v60, v60, v66, v65
	v_lshlrev_b64 v[57:58], 1, v[57:58]
	s_delay_alu instid0(VALU_DEP_2) | instskip(NEXT) | instid1(VALU_DEP_2)
	v_lshlrev_b64 v[59:60], 1, v[59:60]
	v_add_co_u32 v57, vcc_lo, s10, v57
	s_delay_alu instid0(VALU_DEP_3) | instskip(NEXT) | instid1(VALU_DEP_3)
	v_add_co_ci_u32_e32 v58, vcc_lo, s11, v58, vcc_lo
	v_add_co_u32 v59, vcc_lo, s10, v59
	s_delay_alu instid0(VALU_DEP_4)
	v_add_co_ci_u32_e32 v60, vcc_lo, s11, v60, vcc_lo
	s_clause 0x1
	global_load_u16 v61, v[57:58], off
	global_load_u16 v62, v[59:60], off
	s_waitcnt vmcnt(1)
	v_lshlrev_b32_e32 v61, 16, v61
	s_waitcnt vmcnt(0)
	v_lshlrev_b32_e32 v62, 16, v62
	s_delay_alu instid0(VALU_DEP_1)
	v_cmpx_eq_f32_e32 v62, v61
	s_cbranch_execz .LBB1171_474
; %bb.467:
	v_add_co_u32 v57, vcc_lo, v57, 2
	v_add_co_ci_u32_e32 v58, vcc_lo, 0, v58, vcc_lo
	v_add_co_u32 v59, vcc_lo, v59, 2
	v_add_co_ci_u32_e32 v60, vcc_lo, 0, v60, vcc_lo
	s_add_u32 s14, s8, -1
	s_addc_u32 s15, s9, -1
	s_mov_b64 s[20:21], 0
	s_mov_b32 s24, 0
                                        ; implicit-def: $sgpr25
	s_set_inst_prefetch_distance 0x1
	s_branch .LBB1171_470
	.p2align	6
.LBB1171_468:                           ;   in Loop: Header=BB1171_470 Depth=1
	global_load_u16 v61, v[57:58], off
	global_load_u16 v62, v[59:60], off
	v_add_co_u32 v57, vcc_lo, v57, 2
	v_add_co_ci_u32_e32 v58, vcc_lo, 0, v58, vcc_lo
	v_add_co_u32 v59, s0, v59, 2
	s_delay_alu instid0(VALU_DEP_1)
	v_add_co_ci_u32_e64 v60, s0, 0, v60, s0
	s_add_u32 s20, s20, 1
	s_addc_u32 s21, s21, 0
	s_and_not1_b32 s0, s25, exec_lo
	s_waitcnt vmcnt(1)
	v_lshlrev_b32_e32 v61, 16, v61
	s_waitcnt vmcnt(0)
	v_lshlrev_b32_e32 v62, 16, v62
	s_delay_alu instid0(VALU_DEP_1) | instskip(SKIP_1) | instid1(SALU_CYCLE_1)
	v_cmp_neq_f32_e32 vcc_lo, v62, v61
	s_and_b32 s25, vcc_lo, exec_lo
	s_or_b32 s25, s0, s25
.LBB1171_469:                           ;   in Loop: Header=BB1171_470 Depth=1
	v_dual_mov_b32 v62, s21 :: v_dual_mov_b32 v61, s20
	s_and_b32 s0, exec_lo, s25
	s_delay_alu instid0(SALU_CYCLE_1) | instskip(NEXT) | instid1(SALU_CYCLE_1)
	s_or_b32 s24, s0, s24
	s_and_not1_b32 exec_lo, exec_lo, s24
	s_cbranch_execz .LBB1171_473
.LBB1171_470:                           ; =>This Inner Loop Header: Depth=1
	s_or_b32 s25, s25, exec_lo
	s_cmp_eq_u64 s[14:15], s[20:21]
	s_cbranch_scc0 .LBB1171_468
; %bb.471:                              ;   in Loop: Header=BB1171_470 Depth=1
	s_mov_b64 s[20:21], s[8:9]
                                        ; implicit-def: $vgpr57_vgpr58
                                        ; implicit-def: $vgpr59_vgpr60
	s_branch .LBB1171_469
.LBB1171_472:
	v_mov_b32_e32 v135, 0
	v_mov_b32_e32 v136, 0
	s_branch .LBB1171_475
.LBB1171_473:
	s_set_inst_prefetch_distance 0x2
	s_or_b32 exec_lo, exec_lo, s24
	v_cmp_gt_i64_e32 vcc_lo, s[8:9], v[61:62]
	s_mov_b32 s0, 0
	s_delay_alu instid0(SALU_CYCLE_1)
	v_mov_b32_e32 v136, s0
	v_cndmask_b32_e64 v135, 0, 1, vcc_lo
.LBB1171_474:
	s_or_b32 exec_lo, exec_lo, s23
.LBB1171_475:
	s_delay_alu instid0(SALU_CYCLE_1) | instskip(SKIP_3) | instid1(VALU_DEP_2)
	s_or_b32 exec_lo, exec_lo, s22
	v_dual_mov_b32 v138, v40 :: v_dual_add_nc_u32 v57, 15, v64
	v_mov_b32_e32 v137, v39
	s_mov_b32 s22, exec_lo
	v_cmpx_gt_u32_e64 s3, v57
	s_cbranch_execz .LBB1171_486
; %bb.476:
	v_cmp_ne_u32_e32 vcc_lo, 1, v63
	s_cbranch_vccnz .LBB1171_483
; %bb.477:
	v_mul_lo_u32 v61, v38, s8
	v_mul_lo_u32 v62, v37, s9
	v_mad_u64_u32 v[57:58], null, v37, s8, 0
	v_mul_lo_u32 v65, v40, s8
	v_mul_lo_u32 v66, v39, s9
	v_mad_u64_u32 v[59:60], null, v39, s8, 0
	s_mov_b32 s23, exec_lo
	v_mov_b32_e32 v137, 1
	v_add3_u32 v58, v58, v62, v61
	v_mov_b32_e32 v138, 0
	s_delay_alu instid0(VALU_DEP_4) | instskip(NEXT) | instid1(VALU_DEP_3)
	v_add3_u32 v60, v60, v66, v65
	v_lshlrev_b64 v[57:58], 1, v[57:58]
	s_delay_alu instid0(VALU_DEP_2) | instskip(NEXT) | instid1(VALU_DEP_2)
	v_lshlrev_b64 v[59:60], 1, v[59:60]
	v_add_co_u32 v57, vcc_lo, s10, v57
	s_delay_alu instid0(VALU_DEP_3) | instskip(NEXT) | instid1(VALU_DEP_3)
	v_add_co_ci_u32_e32 v58, vcc_lo, s11, v58, vcc_lo
	v_add_co_u32 v59, vcc_lo, s10, v59
	s_delay_alu instid0(VALU_DEP_4)
	v_add_co_ci_u32_e32 v60, vcc_lo, s11, v60, vcc_lo
	s_clause 0x1
	global_load_u16 v61, v[57:58], off
	global_load_u16 v62, v[59:60], off
	s_waitcnt vmcnt(1)
	v_lshlrev_b32_e32 v61, 16, v61
	s_waitcnt vmcnt(0)
	v_lshlrev_b32_e32 v62, 16, v62
	s_delay_alu instid0(VALU_DEP_1)
	v_cmpx_eq_f32_e32 v62, v61
	s_cbranch_execz .LBB1171_485
; %bb.478:
	v_add_co_u32 v57, vcc_lo, v57, 2
	v_add_co_ci_u32_e32 v58, vcc_lo, 0, v58, vcc_lo
	v_add_co_u32 v59, vcc_lo, v59, 2
	v_add_co_ci_u32_e32 v60, vcc_lo, 0, v60, vcc_lo
	s_add_u32 s14, s8, -1
	s_addc_u32 s15, s9, -1
	s_mov_b64 s[20:21], 0
	s_mov_b32 s24, 0
                                        ; implicit-def: $sgpr25
	s_set_inst_prefetch_distance 0x1
	s_branch .LBB1171_481
	.p2align	6
.LBB1171_479:                           ;   in Loop: Header=BB1171_481 Depth=1
	global_load_u16 v61, v[57:58], off
	global_load_u16 v62, v[59:60], off
	v_add_co_u32 v57, vcc_lo, v57, 2
	v_add_co_ci_u32_e32 v58, vcc_lo, 0, v58, vcc_lo
	v_add_co_u32 v59, s0, v59, 2
	s_delay_alu instid0(VALU_DEP_1)
	v_add_co_ci_u32_e64 v60, s0, 0, v60, s0
	s_add_u32 s20, s20, 1
	s_addc_u32 s21, s21, 0
	s_and_not1_b32 s0, s25, exec_lo
	s_waitcnt vmcnt(1)
	v_lshlrev_b32_e32 v61, 16, v61
	s_waitcnt vmcnt(0)
	v_lshlrev_b32_e32 v62, 16, v62
	s_delay_alu instid0(VALU_DEP_1) | instskip(SKIP_1) | instid1(SALU_CYCLE_1)
	v_cmp_neq_f32_e32 vcc_lo, v62, v61
	s_and_b32 s25, vcc_lo, exec_lo
	s_or_b32 s25, s0, s25
.LBB1171_480:                           ;   in Loop: Header=BB1171_481 Depth=1
	v_dual_mov_b32 v62, s21 :: v_dual_mov_b32 v61, s20
	s_and_b32 s0, exec_lo, s25
	s_delay_alu instid0(SALU_CYCLE_1) | instskip(NEXT) | instid1(SALU_CYCLE_1)
	s_or_b32 s24, s0, s24
	s_and_not1_b32 exec_lo, exec_lo, s24
	s_cbranch_execz .LBB1171_484
.LBB1171_481:                           ; =>This Inner Loop Header: Depth=1
	s_or_b32 s25, s25, exec_lo
	s_cmp_eq_u64 s[14:15], s[20:21]
	s_cbranch_scc0 .LBB1171_479
; %bb.482:                              ;   in Loop: Header=BB1171_481 Depth=1
	s_mov_b64 s[20:21], s[8:9]
                                        ; implicit-def: $vgpr57_vgpr58
                                        ; implicit-def: $vgpr59_vgpr60
	s_branch .LBB1171_480
.LBB1171_483:
	v_mov_b32_e32 v137, 0
	v_mov_b32_e32 v138, 0
	s_branch .LBB1171_486
.LBB1171_484:
	s_set_inst_prefetch_distance 0x2
	s_or_b32 exec_lo, exec_lo, s24
	v_cmp_gt_i64_e32 vcc_lo, s[8:9], v[61:62]
	s_mov_b32 s0, 0
	s_delay_alu instid0(SALU_CYCLE_1)
	v_mov_b32_e32 v138, s0
	v_cndmask_b32_e64 v137, 0, 1, vcc_lo
.LBB1171_485:
	s_or_b32 exec_lo, exec_lo, s23
.LBB1171_486:
	s_delay_alu instid0(SALU_CYCLE_1) | instskip(SKIP_3) | instid1(VALU_DEP_2)
	s_or_b32 exec_lo, exec_lo, s22
	v_dual_mov_b32 v140, v38 :: v_dual_add_nc_u32 v57, 14, v64
	v_mov_b32_e32 v139, v37
	s_mov_b32 s22, exec_lo
	v_cmpx_gt_u32_e64 s3, v57
	s_cbranch_execz .LBB1171_497
; %bb.487:
	v_cmp_ne_u32_e32 vcc_lo, 1, v63
	s_cbranch_vccnz .LBB1171_494
; %bb.488:
	v_mul_lo_u32 v61, v36, s8
	v_mul_lo_u32 v62, v35, s9
	v_mad_u64_u32 v[57:58], null, v35, s8, 0
	v_mul_lo_u32 v65, v38, s8
	v_mul_lo_u32 v66, v37, s9
	v_mad_u64_u32 v[59:60], null, v37, s8, 0
	s_mov_b32 s23, exec_lo
	v_mov_b32_e32 v139, 1
	v_add3_u32 v58, v58, v62, v61
	v_mov_b32_e32 v140, 0
	s_delay_alu instid0(VALU_DEP_4) | instskip(NEXT) | instid1(VALU_DEP_3)
	v_add3_u32 v60, v60, v66, v65
	v_lshlrev_b64 v[57:58], 1, v[57:58]
	s_delay_alu instid0(VALU_DEP_2) | instskip(NEXT) | instid1(VALU_DEP_2)
	v_lshlrev_b64 v[59:60], 1, v[59:60]
	v_add_co_u32 v57, vcc_lo, s10, v57
	s_delay_alu instid0(VALU_DEP_3) | instskip(NEXT) | instid1(VALU_DEP_3)
	v_add_co_ci_u32_e32 v58, vcc_lo, s11, v58, vcc_lo
	v_add_co_u32 v59, vcc_lo, s10, v59
	s_delay_alu instid0(VALU_DEP_4)
	v_add_co_ci_u32_e32 v60, vcc_lo, s11, v60, vcc_lo
	s_clause 0x1
	global_load_u16 v61, v[57:58], off
	global_load_u16 v62, v[59:60], off
	s_waitcnt vmcnt(1)
	v_lshlrev_b32_e32 v61, 16, v61
	s_waitcnt vmcnt(0)
	v_lshlrev_b32_e32 v62, 16, v62
	s_delay_alu instid0(VALU_DEP_1)
	v_cmpx_eq_f32_e32 v62, v61
	s_cbranch_execz .LBB1171_496
; %bb.489:
	v_add_co_u32 v57, vcc_lo, v57, 2
	v_add_co_ci_u32_e32 v58, vcc_lo, 0, v58, vcc_lo
	v_add_co_u32 v59, vcc_lo, v59, 2
	v_add_co_ci_u32_e32 v60, vcc_lo, 0, v60, vcc_lo
	s_add_u32 s14, s8, -1
	s_addc_u32 s15, s9, -1
	s_mov_b64 s[20:21], 0
	s_mov_b32 s24, 0
                                        ; implicit-def: $sgpr25
	s_set_inst_prefetch_distance 0x1
	s_branch .LBB1171_492
	.p2align	6
.LBB1171_490:                           ;   in Loop: Header=BB1171_492 Depth=1
	global_load_u16 v61, v[57:58], off
	global_load_u16 v62, v[59:60], off
	v_add_co_u32 v57, vcc_lo, v57, 2
	v_add_co_ci_u32_e32 v58, vcc_lo, 0, v58, vcc_lo
	v_add_co_u32 v59, s0, v59, 2
	s_delay_alu instid0(VALU_DEP_1)
	v_add_co_ci_u32_e64 v60, s0, 0, v60, s0
	s_add_u32 s20, s20, 1
	s_addc_u32 s21, s21, 0
	s_and_not1_b32 s0, s25, exec_lo
	s_waitcnt vmcnt(1)
	v_lshlrev_b32_e32 v61, 16, v61
	s_waitcnt vmcnt(0)
	v_lshlrev_b32_e32 v62, 16, v62
	s_delay_alu instid0(VALU_DEP_1) | instskip(SKIP_1) | instid1(SALU_CYCLE_1)
	v_cmp_neq_f32_e32 vcc_lo, v62, v61
	s_and_b32 s25, vcc_lo, exec_lo
	s_or_b32 s25, s0, s25
.LBB1171_491:                           ;   in Loop: Header=BB1171_492 Depth=1
	v_dual_mov_b32 v62, s21 :: v_dual_mov_b32 v61, s20
	s_and_b32 s0, exec_lo, s25
	s_delay_alu instid0(SALU_CYCLE_1) | instskip(NEXT) | instid1(SALU_CYCLE_1)
	s_or_b32 s24, s0, s24
	s_and_not1_b32 exec_lo, exec_lo, s24
	s_cbranch_execz .LBB1171_495
.LBB1171_492:                           ; =>This Inner Loop Header: Depth=1
	s_or_b32 s25, s25, exec_lo
	s_cmp_eq_u64 s[14:15], s[20:21]
	s_cbranch_scc0 .LBB1171_490
; %bb.493:                              ;   in Loop: Header=BB1171_492 Depth=1
	s_mov_b64 s[20:21], s[8:9]
                                        ; implicit-def: $vgpr57_vgpr58
                                        ; implicit-def: $vgpr59_vgpr60
	s_branch .LBB1171_491
.LBB1171_494:
	v_mov_b32_e32 v139, 0
	v_mov_b32_e32 v140, 0
	s_branch .LBB1171_497
.LBB1171_495:
	s_set_inst_prefetch_distance 0x2
	s_or_b32 exec_lo, exec_lo, s24
	v_cmp_gt_i64_e32 vcc_lo, s[8:9], v[61:62]
	s_mov_b32 s0, 0
	s_delay_alu instid0(SALU_CYCLE_1)
	v_mov_b32_e32 v140, s0
	v_cndmask_b32_e64 v139, 0, 1, vcc_lo
.LBB1171_496:
	s_or_b32 exec_lo, exec_lo, s23
.LBB1171_497:
	s_delay_alu instid0(SALU_CYCLE_1) | instskip(SKIP_3) | instid1(VALU_DEP_2)
	s_or_b32 exec_lo, exec_lo, s22
	v_dual_mov_b32 v142, v36 :: v_dual_add_nc_u32 v57, 13, v64
	v_mov_b32_e32 v141, v35
	s_mov_b32 s22, exec_lo
	v_cmpx_gt_u32_e64 s3, v57
	s_cbranch_execz .LBB1171_508
; %bb.498:
	v_cmp_ne_u32_e32 vcc_lo, 1, v63
	s_cbranch_vccnz .LBB1171_505
; %bb.499:
	v_mul_lo_u32 v61, v34, s8
	v_mul_lo_u32 v62, v33, s9
	v_mad_u64_u32 v[57:58], null, v33, s8, 0
	v_mul_lo_u32 v65, v36, s8
	v_mul_lo_u32 v66, v35, s9
	v_mad_u64_u32 v[59:60], null, v35, s8, 0
	s_mov_b32 s23, exec_lo
	v_mov_b32_e32 v141, 1
	v_add3_u32 v58, v58, v62, v61
	v_mov_b32_e32 v142, 0
	s_delay_alu instid0(VALU_DEP_4) | instskip(NEXT) | instid1(VALU_DEP_3)
	v_add3_u32 v60, v60, v66, v65
	v_lshlrev_b64 v[57:58], 1, v[57:58]
	s_delay_alu instid0(VALU_DEP_2) | instskip(NEXT) | instid1(VALU_DEP_2)
	v_lshlrev_b64 v[59:60], 1, v[59:60]
	v_add_co_u32 v57, vcc_lo, s10, v57
	s_delay_alu instid0(VALU_DEP_3) | instskip(NEXT) | instid1(VALU_DEP_3)
	v_add_co_ci_u32_e32 v58, vcc_lo, s11, v58, vcc_lo
	v_add_co_u32 v59, vcc_lo, s10, v59
	s_delay_alu instid0(VALU_DEP_4)
	v_add_co_ci_u32_e32 v60, vcc_lo, s11, v60, vcc_lo
	s_clause 0x1
	global_load_u16 v61, v[57:58], off
	global_load_u16 v62, v[59:60], off
	s_waitcnt vmcnt(1)
	v_lshlrev_b32_e32 v61, 16, v61
	s_waitcnt vmcnt(0)
	v_lshlrev_b32_e32 v62, 16, v62
	s_delay_alu instid0(VALU_DEP_1)
	v_cmpx_eq_f32_e32 v62, v61
	s_cbranch_execz .LBB1171_507
; %bb.500:
	v_add_co_u32 v57, vcc_lo, v57, 2
	v_add_co_ci_u32_e32 v58, vcc_lo, 0, v58, vcc_lo
	v_add_co_u32 v59, vcc_lo, v59, 2
	v_add_co_ci_u32_e32 v60, vcc_lo, 0, v60, vcc_lo
	s_add_u32 s14, s8, -1
	s_addc_u32 s15, s9, -1
	s_mov_b64 s[20:21], 0
	s_mov_b32 s24, 0
                                        ; implicit-def: $sgpr25
	s_set_inst_prefetch_distance 0x1
	s_branch .LBB1171_503
	.p2align	6
.LBB1171_501:                           ;   in Loop: Header=BB1171_503 Depth=1
	global_load_u16 v61, v[57:58], off
	global_load_u16 v62, v[59:60], off
	v_add_co_u32 v57, vcc_lo, v57, 2
	v_add_co_ci_u32_e32 v58, vcc_lo, 0, v58, vcc_lo
	v_add_co_u32 v59, s0, v59, 2
	s_delay_alu instid0(VALU_DEP_1)
	v_add_co_ci_u32_e64 v60, s0, 0, v60, s0
	s_add_u32 s20, s20, 1
	s_addc_u32 s21, s21, 0
	s_and_not1_b32 s0, s25, exec_lo
	s_waitcnt vmcnt(1)
	v_lshlrev_b32_e32 v61, 16, v61
	s_waitcnt vmcnt(0)
	v_lshlrev_b32_e32 v62, 16, v62
	s_delay_alu instid0(VALU_DEP_1) | instskip(SKIP_1) | instid1(SALU_CYCLE_1)
	v_cmp_neq_f32_e32 vcc_lo, v62, v61
	s_and_b32 s25, vcc_lo, exec_lo
	s_or_b32 s25, s0, s25
.LBB1171_502:                           ;   in Loop: Header=BB1171_503 Depth=1
	v_dual_mov_b32 v62, s21 :: v_dual_mov_b32 v61, s20
	s_and_b32 s0, exec_lo, s25
	s_delay_alu instid0(SALU_CYCLE_1) | instskip(NEXT) | instid1(SALU_CYCLE_1)
	s_or_b32 s24, s0, s24
	s_and_not1_b32 exec_lo, exec_lo, s24
	s_cbranch_execz .LBB1171_506
.LBB1171_503:                           ; =>This Inner Loop Header: Depth=1
	s_or_b32 s25, s25, exec_lo
	s_cmp_eq_u64 s[14:15], s[20:21]
	s_cbranch_scc0 .LBB1171_501
; %bb.504:                              ;   in Loop: Header=BB1171_503 Depth=1
	s_mov_b64 s[20:21], s[8:9]
                                        ; implicit-def: $vgpr57_vgpr58
                                        ; implicit-def: $vgpr59_vgpr60
	s_branch .LBB1171_502
.LBB1171_505:
	v_mov_b32_e32 v141, 0
	v_mov_b32_e32 v142, 0
	s_branch .LBB1171_508
.LBB1171_506:
	s_set_inst_prefetch_distance 0x2
	s_or_b32 exec_lo, exec_lo, s24
	v_cmp_gt_i64_e32 vcc_lo, s[8:9], v[61:62]
	s_mov_b32 s0, 0
	s_delay_alu instid0(SALU_CYCLE_1)
	v_mov_b32_e32 v142, s0
	v_cndmask_b32_e64 v141, 0, 1, vcc_lo
.LBB1171_507:
	s_or_b32 exec_lo, exec_lo, s23
.LBB1171_508:
	s_delay_alu instid0(SALU_CYCLE_1) | instskip(SKIP_3) | instid1(VALU_DEP_2)
	s_or_b32 exec_lo, exec_lo, s22
	v_dual_mov_b32 v144, v34 :: v_dual_add_nc_u32 v57, 12, v64
	v_mov_b32_e32 v143, v33
	s_mov_b32 s22, exec_lo
	v_cmpx_gt_u32_e64 s3, v57
	s_cbranch_execz .LBB1171_519
; %bb.509:
	v_cmp_ne_u32_e32 vcc_lo, 1, v63
	s_cbranch_vccnz .LBB1171_516
; %bb.510:
	v_mul_lo_u32 v61, v32, s8
	v_mul_lo_u32 v62, v31, s9
	v_mad_u64_u32 v[57:58], null, v31, s8, 0
	v_mul_lo_u32 v65, v34, s8
	v_mul_lo_u32 v66, v33, s9
	v_mad_u64_u32 v[59:60], null, v33, s8, 0
	s_mov_b32 s23, exec_lo
	v_mov_b32_e32 v143, 1
	v_add3_u32 v58, v58, v62, v61
	v_mov_b32_e32 v144, 0
	s_delay_alu instid0(VALU_DEP_4) | instskip(NEXT) | instid1(VALU_DEP_3)
	v_add3_u32 v60, v60, v66, v65
	v_lshlrev_b64 v[57:58], 1, v[57:58]
	s_delay_alu instid0(VALU_DEP_2) | instskip(NEXT) | instid1(VALU_DEP_2)
	v_lshlrev_b64 v[59:60], 1, v[59:60]
	v_add_co_u32 v57, vcc_lo, s10, v57
	s_delay_alu instid0(VALU_DEP_3) | instskip(NEXT) | instid1(VALU_DEP_3)
	v_add_co_ci_u32_e32 v58, vcc_lo, s11, v58, vcc_lo
	v_add_co_u32 v59, vcc_lo, s10, v59
	s_delay_alu instid0(VALU_DEP_4)
	v_add_co_ci_u32_e32 v60, vcc_lo, s11, v60, vcc_lo
	s_clause 0x1
	global_load_u16 v61, v[57:58], off
	global_load_u16 v62, v[59:60], off
	s_waitcnt vmcnt(1)
	v_lshlrev_b32_e32 v61, 16, v61
	s_waitcnt vmcnt(0)
	v_lshlrev_b32_e32 v62, 16, v62
	s_delay_alu instid0(VALU_DEP_1)
	v_cmpx_eq_f32_e32 v62, v61
	s_cbranch_execz .LBB1171_518
; %bb.511:
	v_add_co_u32 v57, vcc_lo, v57, 2
	v_add_co_ci_u32_e32 v58, vcc_lo, 0, v58, vcc_lo
	v_add_co_u32 v59, vcc_lo, v59, 2
	v_add_co_ci_u32_e32 v60, vcc_lo, 0, v60, vcc_lo
	s_add_u32 s14, s8, -1
	s_addc_u32 s15, s9, -1
	s_mov_b64 s[20:21], 0
	s_mov_b32 s24, 0
                                        ; implicit-def: $sgpr25
	s_set_inst_prefetch_distance 0x1
	s_branch .LBB1171_514
	.p2align	6
.LBB1171_512:                           ;   in Loop: Header=BB1171_514 Depth=1
	global_load_u16 v61, v[57:58], off
	global_load_u16 v62, v[59:60], off
	v_add_co_u32 v57, vcc_lo, v57, 2
	v_add_co_ci_u32_e32 v58, vcc_lo, 0, v58, vcc_lo
	v_add_co_u32 v59, s0, v59, 2
	s_delay_alu instid0(VALU_DEP_1)
	v_add_co_ci_u32_e64 v60, s0, 0, v60, s0
	s_add_u32 s20, s20, 1
	s_addc_u32 s21, s21, 0
	s_and_not1_b32 s0, s25, exec_lo
	s_waitcnt vmcnt(1)
	v_lshlrev_b32_e32 v61, 16, v61
	s_waitcnt vmcnt(0)
	v_lshlrev_b32_e32 v62, 16, v62
	s_delay_alu instid0(VALU_DEP_1) | instskip(SKIP_1) | instid1(SALU_CYCLE_1)
	v_cmp_neq_f32_e32 vcc_lo, v62, v61
	s_and_b32 s25, vcc_lo, exec_lo
	s_or_b32 s25, s0, s25
.LBB1171_513:                           ;   in Loop: Header=BB1171_514 Depth=1
	v_dual_mov_b32 v62, s21 :: v_dual_mov_b32 v61, s20
	s_and_b32 s0, exec_lo, s25
	s_delay_alu instid0(SALU_CYCLE_1) | instskip(NEXT) | instid1(SALU_CYCLE_1)
	s_or_b32 s24, s0, s24
	s_and_not1_b32 exec_lo, exec_lo, s24
	s_cbranch_execz .LBB1171_517
.LBB1171_514:                           ; =>This Inner Loop Header: Depth=1
	s_or_b32 s25, s25, exec_lo
	s_cmp_eq_u64 s[14:15], s[20:21]
	s_cbranch_scc0 .LBB1171_512
; %bb.515:                              ;   in Loop: Header=BB1171_514 Depth=1
	s_mov_b64 s[20:21], s[8:9]
                                        ; implicit-def: $vgpr57_vgpr58
                                        ; implicit-def: $vgpr59_vgpr60
	s_branch .LBB1171_513
.LBB1171_516:
	v_mov_b32_e32 v143, 0
	v_mov_b32_e32 v144, 0
	s_branch .LBB1171_519
.LBB1171_517:
	s_set_inst_prefetch_distance 0x2
	s_or_b32 exec_lo, exec_lo, s24
	v_cmp_gt_i64_e32 vcc_lo, s[8:9], v[61:62]
	s_mov_b32 s0, 0
	s_delay_alu instid0(SALU_CYCLE_1)
	v_mov_b32_e32 v144, s0
	v_cndmask_b32_e64 v143, 0, 1, vcc_lo
.LBB1171_518:
	s_or_b32 exec_lo, exec_lo, s23
.LBB1171_519:
	s_delay_alu instid0(SALU_CYCLE_1) | instskip(SKIP_3) | instid1(VALU_DEP_2)
	s_or_b32 exec_lo, exec_lo, s22
	v_dual_mov_b32 v146, v32 :: v_dual_add_nc_u32 v57, 11, v64
	v_mov_b32_e32 v145, v31
	s_mov_b32 s22, exec_lo
	v_cmpx_gt_u32_e64 s3, v57
	s_cbranch_execz .LBB1171_530
; %bb.520:
	v_cmp_ne_u32_e32 vcc_lo, 1, v63
	s_cbranch_vccnz .LBB1171_527
; %bb.521:
	v_mul_lo_u32 v61, v30, s8
	v_mul_lo_u32 v62, v29, s9
	v_mad_u64_u32 v[57:58], null, v29, s8, 0
	v_mul_lo_u32 v65, v32, s8
	v_mul_lo_u32 v66, v31, s9
	v_mad_u64_u32 v[59:60], null, v31, s8, 0
	s_mov_b32 s23, exec_lo
	v_mov_b32_e32 v145, 1
	v_add3_u32 v58, v58, v62, v61
	v_mov_b32_e32 v146, 0
	s_delay_alu instid0(VALU_DEP_4) | instskip(NEXT) | instid1(VALU_DEP_3)
	v_add3_u32 v60, v60, v66, v65
	v_lshlrev_b64 v[57:58], 1, v[57:58]
	s_delay_alu instid0(VALU_DEP_2) | instskip(NEXT) | instid1(VALU_DEP_2)
	v_lshlrev_b64 v[59:60], 1, v[59:60]
	v_add_co_u32 v57, vcc_lo, s10, v57
	s_delay_alu instid0(VALU_DEP_3) | instskip(NEXT) | instid1(VALU_DEP_3)
	v_add_co_ci_u32_e32 v58, vcc_lo, s11, v58, vcc_lo
	v_add_co_u32 v59, vcc_lo, s10, v59
	s_delay_alu instid0(VALU_DEP_4)
	v_add_co_ci_u32_e32 v60, vcc_lo, s11, v60, vcc_lo
	s_clause 0x1
	global_load_u16 v61, v[57:58], off
	global_load_u16 v62, v[59:60], off
	s_waitcnt vmcnt(1)
	v_lshlrev_b32_e32 v61, 16, v61
	s_waitcnt vmcnt(0)
	v_lshlrev_b32_e32 v62, 16, v62
	s_delay_alu instid0(VALU_DEP_1)
	v_cmpx_eq_f32_e32 v62, v61
	s_cbranch_execz .LBB1171_529
; %bb.522:
	v_add_co_u32 v57, vcc_lo, v57, 2
	v_add_co_ci_u32_e32 v58, vcc_lo, 0, v58, vcc_lo
	v_add_co_u32 v59, vcc_lo, v59, 2
	v_add_co_ci_u32_e32 v60, vcc_lo, 0, v60, vcc_lo
	s_add_u32 s14, s8, -1
	s_addc_u32 s15, s9, -1
	s_mov_b64 s[20:21], 0
	s_mov_b32 s24, 0
                                        ; implicit-def: $sgpr25
	s_set_inst_prefetch_distance 0x1
	s_branch .LBB1171_525
	.p2align	6
.LBB1171_523:                           ;   in Loop: Header=BB1171_525 Depth=1
	global_load_u16 v61, v[57:58], off
	global_load_u16 v62, v[59:60], off
	v_add_co_u32 v57, vcc_lo, v57, 2
	v_add_co_ci_u32_e32 v58, vcc_lo, 0, v58, vcc_lo
	v_add_co_u32 v59, s0, v59, 2
	s_delay_alu instid0(VALU_DEP_1)
	v_add_co_ci_u32_e64 v60, s0, 0, v60, s0
	s_add_u32 s20, s20, 1
	s_addc_u32 s21, s21, 0
	s_and_not1_b32 s0, s25, exec_lo
	s_waitcnt vmcnt(1)
	v_lshlrev_b32_e32 v61, 16, v61
	s_waitcnt vmcnt(0)
	v_lshlrev_b32_e32 v62, 16, v62
	s_delay_alu instid0(VALU_DEP_1) | instskip(SKIP_1) | instid1(SALU_CYCLE_1)
	v_cmp_neq_f32_e32 vcc_lo, v62, v61
	s_and_b32 s25, vcc_lo, exec_lo
	s_or_b32 s25, s0, s25
.LBB1171_524:                           ;   in Loop: Header=BB1171_525 Depth=1
	v_dual_mov_b32 v62, s21 :: v_dual_mov_b32 v61, s20
	s_and_b32 s0, exec_lo, s25
	s_delay_alu instid0(SALU_CYCLE_1) | instskip(NEXT) | instid1(SALU_CYCLE_1)
	s_or_b32 s24, s0, s24
	s_and_not1_b32 exec_lo, exec_lo, s24
	s_cbranch_execz .LBB1171_528
.LBB1171_525:                           ; =>This Inner Loop Header: Depth=1
	s_or_b32 s25, s25, exec_lo
	s_cmp_eq_u64 s[14:15], s[20:21]
	s_cbranch_scc0 .LBB1171_523
; %bb.526:                              ;   in Loop: Header=BB1171_525 Depth=1
	s_mov_b64 s[20:21], s[8:9]
                                        ; implicit-def: $vgpr57_vgpr58
                                        ; implicit-def: $vgpr59_vgpr60
	s_branch .LBB1171_524
.LBB1171_527:
	v_mov_b32_e32 v145, 0
	v_mov_b32_e32 v146, 0
	s_branch .LBB1171_530
.LBB1171_528:
	s_set_inst_prefetch_distance 0x2
	s_or_b32 exec_lo, exec_lo, s24
	v_cmp_gt_i64_e32 vcc_lo, s[8:9], v[61:62]
	s_mov_b32 s0, 0
	s_delay_alu instid0(SALU_CYCLE_1)
	v_mov_b32_e32 v146, s0
	v_cndmask_b32_e64 v145, 0, 1, vcc_lo
.LBB1171_529:
	s_or_b32 exec_lo, exec_lo, s23
.LBB1171_530:
	s_delay_alu instid0(SALU_CYCLE_1) | instskip(SKIP_3) | instid1(VALU_DEP_2)
	s_or_b32 exec_lo, exec_lo, s22
	v_dual_mov_b32 v148, v30 :: v_dual_add_nc_u32 v57, 10, v64
	v_mov_b32_e32 v147, v29
	s_mov_b32 s22, exec_lo
	v_cmpx_gt_u32_e64 s3, v57
	s_cbranch_execz .LBB1171_541
; %bb.531:
	v_cmp_ne_u32_e32 vcc_lo, 1, v63
	s_cbranch_vccnz .LBB1171_538
; %bb.532:
	v_mul_lo_u32 v61, v28, s8
	v_mul_lo_u32 v62, v27, s9
	v_mad_u64_u32 v[57:58], null, v27, s8, 0
	v_mul_lo_u32 v65, v30, s8
	v_mul_lo_u32 v66, v29, s9
	v_mad_u64_u32 v[59:60], null, v29, s8, 0
	s_mov_b32 s23, exec_lo
	v_mov_b32_e32 v147, 1
	v_add3_u32 v58, v58, v62, v61
	v_mov_b32_e32 v148, 0
	s_delay_alu instid0(VALU_DEP_4) | instskip(NEXT) | instid1(VALU_DEP_3)
	v_add3_u32 v60, v60, v66, v65
	v_lshlrev_b64 v[57:58], 1, v[57:58]
	s_delay_alu instid0(VALU_DEP_2) | instskip(NEXT) | instid1(VALU_DEP_2)
	v_lshlrev_b64 v[59:60], 1, v[59:60]
	v_add_co_u32 v57, vcc_lo, s10, v57
	s_delay_alu instid0(VALU_DEP_3) | instskip(NEXT) | instid1(VALU_DEP_3)
	v_add_co_ci_u32_e32 v58, vcc_lo, s11, v58, vcc_lo
	v_add_co_u32 v59, vcc_lo, s10, v59
	s_delay_alu instid0(VALU_DEP_4)
	v_add_co_ci_u32_e32 v60, vcc_lo, s11, v60, vcc_lo
	s_clause 0x1
	global_load_u16 v61, v[57:58], off
	global_load_u16 v62, v[59:60], off
	s_waitcnt vmcnt(1)
	v_lshlrev_b32_e32 v61, 16, v61
	s_waitcnt vmcnt(0)
	v_lshlrev_b32_e32 v62, 16, v62
	s_delay_alu instid0(VALU_DEP_1)
	v_cmpx_eq_f32_e32 v62, v61
	s_cbranch_execz .LBB1171_540
; %bb.533:
	v_add_co_u32 v57, vcc_lo, v57, 2
	v_add_co_ci_u32_e32 v58, vcc_lo, 0, v58, vcc_lo
	v_add_co_u32 v59, vcc_lo, v59, 2
	v_add_co_ci_u32_e32 v60, vcc_lo, 0, v60, vcc_lo
	s_add_u32 s14, s8, -1
	s_addc_u32 s15, s9, -1
	s_mov_b64 s[20:21], 0
	s_mov_b32 s24, 0
                                        ; implicit-def: $sgpr25
	s_set_inst_prefetch_distance 0x1
	s_branch .LBB1171_536
	.p2align	6
.LBB1171_534:                           ;   in Loop: Header=BB1171_536 Depth=1
	global_load_u16 v61, v[57:58], off
	global_load_u16 v62, v[59:60], off
	v_add_co_u32 v57, vcc_lo, v57, 2
	v_add_co_ci_u32_e32 v58, vcc_lo, 0, v58, vcc_lo
	v_add_co_u32 v59, s0, v59, 2
	s_delay_alu instid0(VALU_DEP_1)
	v_add_co_ci_u32_e64 v60, s0, 0, v60, s0
	s_add_u32 s20, s20, 1
	s_addc_u32 s21, s21, 0
	s_and_not1_b32 s0, s25, exec_lo
	s_waitcnt vmcnt(1)
	v_lshlrev_b32_e32 v61, 16, v61
	s_waitcnt vmcnt(0)
	v_lshlrev_b32_e32 v62, 16, v62
	s_delay_alu instid0(VALU_DEP_1) | instskip(SKIP_1) | instid1(SALU_CYCLE_1)
	v_cmp_neq_f32_e32 vcc_lo, v62, v61
	s_and_b32 s25, vcc_lo, exec_lo
	s_or_b32 s25, s0, s25
.LBB1171_535:                           ;   in Loop: Header=BB1171_536 Depth=1
	v_dual_mov_b32 v62, s21 :: v_dual_mov_b32 v61, s20
	s_and_b32 s0, exec_lo, s25
	s_delay_alu instid0(SALU_CYCLE_1) | instskip(NEXT) | instid1(SALU_CYCLE_1)
	s_or_b32 s24, s0, s24
	s_and_not1_b32 exec_lo, exec_lo, s24
	s_cbranch_execz .LBB1171_539
.LBB1171_536:                           ; =>This Inner Loop Header: Depth=1
	s_or_b32 s25, s25, exec_lo
	s_cmp_eq_u64 s[14:15], s[20:21]
	s_cbranch_scc0 .LBB1171_534
; %bb.537:                              ;   in Loop: Header=BB1171_536 Depth=1
	s_mov_b64 s[20:21], s[8:9]
                                        ; implicit-def: $vgpr57_vgpr58
                                        ; implicit-def: $vgpr59_vgpr60
	s_branch .LBB1171_535
.LBB1171_538:
	v_mov_b32_e32 v147, 0
	v_mov_b32_e32 v148, 0
	s_branch .LBB1171_541
.LBB1171_539:
	s_set_inst_prefetch_distance 0x2
	s_or_b32 exec_lo, exec_lo, s24
	v_cmp_gt_i64_e32 vcc_lo, s[8:9], v[61:62]
	s_mov_b32 s0, 0
	s_delay_alu instid0(SALU_CYCLE_1)
	v_mov_b32_e32 v148, s0
	v_cndmask_b32_e64 v147, 0, 1, vcc_lo
.LBB1171_540:
	s_or_b32 exec_lo, exec_lo, s23
.LBB1171_541:
	s_delay_alu instid0(SALU_CYCLE_1) | instskip(SKIP_3) | instid1(VALU_DEP_2)
	s_or_b32 exec_lo, exec_lo, s22
	v_dual_mov_b32 v150, v28 :: v_dual_add_nc_u32 v57, 9, v64
	v_mov_b32_e32 v149, v27
	s_mov_b32 s22, exec_lo
	v_cmpx_gt_u32_e64 s3, v57
	s_cbranch_execz .LBB1171_552
; %bb.542:
	v_cmp_ne_u32_e32 vcc_lo, 1, v63
	s_cbranch_vccnz .LBB1171_549
; %bb.543:
	v_mul_lo_u32 v61, v26, s8
	v_mul_lo_u32 v62, v25, s9
	v_mad_u64_u32 v[57:58], null, v25, s8, 0
	v_mul_lo_u32 v65, v28, s8
	v_mul_lo_u32 v66, v27, s9
	v_mad_u64_u32 v[59:60], null, v27, s8, 0
	s_mov_b32 s23, exec_lo
	v_mov_b32_e32 v149, 1
	v_add3_u32 v58, v58, v62, v61
	v_mov_b32_e32 v150, 0
	s_delay_alu instid0(VALU_DEP_4) | instskip(NEXT) | instid1(VALU_DEP_3)
	v_add3_u32 v60, v60, v66, v65
	v_lshlrev_b64 v[57:58], 1, v[57:58]
	s_delay_alu instid0(VALU_DEP_2) | instskip(NEXT) | instid1(VALU_DEP_2)
	v_lshlrev_b64 v[59:60], 1, v[59:60]
	v_add_co_u32 v57, vcc_lo, s10, v57
	s_delay_alu instid0(VALU_DEP_3) | instskip(NEXT) | instid1(VALU_DEP_3)
	v_add_co_ci_u32_e32 v58, vcc_lo, s11, v58, vcc_lo
	v_add_co_u32 v59, vcc_lo, s10, v59
	s_delay_alu instid0(VALU_DEP_4)
	v_add_co_ci_u32_e32 v60, vcc_lo, s11, v60, vcc_lo
	s_clause 0x1
	global_load_u16 v61, v[57:58], off
	global_load_u16 v62, v[59:60], off
	s_waitcnt vmcnt(1)
	v_lshlrev_b32_e32 v61, 16, v61
	s_waitcnt vmcnt(0)
	v_lshlrev_b32_e32 v62, 16, v62
	s_delay_alu instid0(VALU_DEP_1)
	v_cmpx_eq_f32_e32 v62, v61
	s_cbranch_execz .LBB1171_551
; %bb.544:
	v_add_co_u32 v57, vcc_lo, v57, 2
	v_add_co_ci_u32_e32 v58, vcc_lo, 0, v58, vcc_lo
	v_add_co_u32 v59, vcc_lo, v59, 2
	v_add_co_ci_u32_e32 v60, vcc_lo, 0, v60, vcc_lo
	s_add_u32 s14, s8, -1
	s_addc_u32 s15, s9, -1
	s_mov_b64 s[20:21], 0
	s_mov_b32 s24, 0
                                        ; implicit-def: $sgpr25
	s_set_inst_prefetch_distance 0x1
	s_branch .LBB1171_547
	.p2align	6
.LBB1171_545:                           ;   in Loop: Header=BB1171_547 Depth=1
	global_load_u16 v61, v[57:58], off
	global_load_u16 v62, v[59:60], off
	v_add_co_u32 v57, vcc_lo, v57, 2
	v_add_co_ci_u32_e32 v58, vcc_lo, 0, v58, vcc_lo
	v_add_co_u32 v59, s0, v59, 2
	s_delay_alu instid0(VALU_DEP_1)
	v_add_co_ci_u32_e64 v60, s0, 0, v60, s0
	s_add_u32 s20, s20, 1
	s_addc_u32 s21, s21, 0
	s_and_not1_b32 s0, s25, exec_lo
	s_waitcnt vmcnt(1)
	v_lshlrev_b32_e32 v61, 16, v61
	s_waitcnt vmcnt(0)
	v_lshlrev_b32_e32 v62, 16, v62
	s_delay_alu instid0(VALU_DEP_1) | instskip(SKIP_1) | instid1(SALU_CYCLE_1)
	v_cmp_neq_f32_e32 vcc_lo, v62, v61
	s_and_b32 s25, vcc_lo, exec_lo
	s_or_b32 s25, s0, s25
.LBB1171_546:                           ;   in Loop: Header=BB1171_547 Depth=1
	v_dual_mov_b32 v62, s21 :: v_dual_mov_b32 v61, s20
	s_and_b32 s0, exec_lo, s25
	s_delay_alu instid0(SALU_CYCLE_1) | instskip(NEXT) | instid1(SALU_CYCLE_1)
	s_or_b32 s24, s0, s24
	s_and_not1_b32 exec_lo, exec_lo, s24
	s_cbranch_execz .LBB1171_550
.LBB1171_547:                           ; =>This Inner Loop Header: Depth=1
	s_or_b32 s25, s25, exec_lo
	s_cmp_eq_u64 s[14:15], s[20:21]
	s_cbranch_scc0 .LBB1171_545
; %bb.548:                              ;   in Loop: Header=BB1171_547 Depth=1
	s_mov_b64 s[20:21], s[8:9]
                                        ; implicit-def: $vgpr57_vgpr58
                                        ; implicit-def: $vgpr59_vgpr60
	s_branch .LBB1171_546
.LBB1171_549:
	v_mov_b32_e32 v149, 0
	v_mov_b32_e32 v150, 0
	s_branch .LBB1171_552
.LBB1171_550:
	s_set_inst_prefetch_distance 0x2
	s_or_b32 exec_lo, exec_lo, s24
	v_cmp_gt_i64_e32 vcc_lo, s[8:9], v[61:62]
	s_mov_b32 s0, 0
	s_delay_alu instid0(SALU_CYCLE_1)
	v_mov_b32_e32 v150, s0
	v_cndmask_b32_e64 v149, 0, 1, vcc_lo
.LBB1171_551:
	s_or_b32 exec_lo, exec_lo, s23
.LBB1171_552:
	s_delay_alu instid0(SALU_CYCLE_1) | instskip(SKIP_3) | instid1(VALU_DEP_2)
	s_or_b32 exec_lo, exec_lo, s22
	v_dual_mov_b32 v152, v26 :: v_dual_add_nc_u32 v57, 8, v64
	v_mov_b32_e32 v151, v25
	s_mov_b32 s22, exec_lo
	v_cmpx_gt_u32_e64 s3, v57
	s_cbranch_execz .LBB1171_563
; %bb.553:
	v_cmp_ne_u32_e32 vcc_lo, 1, v63
	s_cbranch_vccnz .LBB1171_560
; %bb.554:
	v_mul_lo_u32 v61, v24, s8
	v_mul_lo_u32 v62, v23, s9
	v_mad_u64_u32 v[57:58], null, v23, s8, 0
	v_mul_lo_u32 v65, v26, s8
	v_mul_lo_u32 v66, v25, s9
	v_mad_u64_u32 v[59:60], null, v25, s8, 0
	s_mov_b32 s23, exec_lo
	v_mov_b32_e32 v151, 1
	v_add3_u32 v58, v58, v62, v61
	v_mov_b32_e32 v152, 0
	s_delay_alu instid0(VALU_DEP_4) | instskip(NEXT) | instid1(VALU_DEP_3)
	v_add3_u32 v60, v60, v66, v65
	v_lshlrev_b64 v[57:58], 1, v[57:58]
	s_delay_alu instid0(VALU_DEP_2) | instskip(NEXT) | instid1(VALU_DEP_2)
	v_lshlrev_b64 v[59:60], 1, v[59:60]
	v_add_co_u32 v57, vcc_lo, s10, v57
	s_delay_alu instid0(VALU_DEP_3) | instskip(NEXT) | instid1(VALU_DEP_3)
	v_add_co_ci_u32_e32 v58, vcc_lo, s11, v58, vcc_lo
	v_add_co_u32 v59, vcc_lo, s10, v59
	s_delay_alu instid0(VALU_DEP_4)
	v_add_co_ci_u32_e32 v60, vcc_lo, s11, v60, vcc_lo
	s_clause 0x1
	global_load_u16 v61, v[57:58], off
	global_load_u16 v62, v[59:60], off
	s_waitcnt vmcnt(1)
	v_lshlrev_b32_e32 v61, 16, v61
	s_waitcnt vmcnt(0)
	v_lshlrev_b32_e32 v62, 16, v62
	s_delay_alu instid0(VALU_DEP_1)
	v_cmpx_eq_f32_e32 v62, v61
	s_cbranch_execz .LBB1171_562
; %bb.555:
	v_add_co_u32 v57, vcc_lo, v57, 2
	v_add_co_ci_u32_e32 v58, vcc_lo, 0, v58, vcc_lo
	v_add_co_u32 v59, vcc_lo, v59, 2
	v_add_co_ci_u32_e32 v60, vcc_lo, 0, v60, vcc_lo
	s_add_u32 s14, s8, -1
	s_addc_u32 s15, s9, -1
	s_mov_b64 s[20:21], 0
	s_mov_b32 s24, 0
                                        ; implicit-def: $sgpr25
	s_set_inst_prefetch_distance 0x1
	s_branch .LBB1171_558
	.p2align	6
.LBB1171_556:                           ;   in Loop: Header=BB1171_558 Depth=1
	global_load_u16 v61, v[57:58], off
	global_load_u16 v62, v[59:60], off
	v_add_co_u32 v57, vcc_lo, v57, 2
	v_add_co_ci_u32_e32 v58, vcc_lo, 0, v58, vcc_lo
	v_add_co_u32 v59, s0, v59, 2
	s_delay_alu instid0(VALU_DEP_1)
	v_add_co_ci_u32_e64 v60, s0, 0, v60, s0
	s_add_u32 s20, s20, 1
	s_addc_u32 s21, s21, 0
	s_and_not1_b32 s0, s25, exec_lo
	s_waitcnt vmcnt(1)
	v_lshlrev_b32_e32 v61, 16, v61
	s_waitcnt vmcnt(0)
	v_lshlrev_b32_e32 v62, 16, v62
	s_delay_alu instid0(VALU_DEP_1) | instskip(SKIP_1) | instid1(SALU_CYCLE_1)
	v_cmp_neq_f32_e32 vcc_lo, v62, v61
	s_and_b32 s25, vcc_lo, exec_lo
	s_or_b32 s25, s0, s25
.LBB1171_557:                           ;   in Loop: Header=BB1171_558 Depth=1
	v_dual_mov_b32 v62, s21 :: v_dual_mov_b32 v61, s20
	s_and_b32 s0, exec_lo, s25
	s_delay_alu instid0(SALU_CYCLE_1) | instskip(NEXT) | instid1(SALU_CYCLE_1)
	s_or_b32 s24, s0, s24
	s_and_not1_b32 exec_lo, exec_lo, s24
	s_cbranch_execz .LBB1171_561
.LBB1171_558:                           ; =>This Inner Loop Header: Depth=1
	s_or_b32 s25, s25, exec_lo
	s_cmp_eq_u64 s[14:15], s[20:21]
	s_cbranch_scc0 .LBB1171_556
; %bb.559:                              ;   in Loop: Header=BB1171_558 Depth=1
	s_mov_b64 s[20:21], s[8:9]
                                        ; implicit-def: $vgpr57_vgpr58
                                        ; implicit-def: $vgpr59_vgpr60
	s_branch .LBB1171_557
.LBB1171_560:
	v_mov_b32_e32 v151, 0
	v_mov_b32_e32 v152, 0
	s_branch .LBB1171_563
.LBB1171_561:
	s_set_inst_prefetch_distance 0x2
	s_or_b32 exec_lo, exec_lo, s24
	v_cmp_gt_i64_e32 vcc_lo, s[8:9], v[61:62]
	s_mov_b32 s0, 0
	s_delay_alu instid0(SALU_CYCLE_1)
	v_mov_b32_e32 v152, s0
	v_cndmask_b32_e64 v151, 0, 1, vcc_lo
.LBB1171_562:
	s_or_b32 exec_lo, exec_lo, s23
.LBB1171_563:
	s_delay_alu instid0(SALU_CYCLE_1) | instskip(SKIP_3) | instid1(VALU_DEP_2)
	s_or_b32 exec_lo, exec_lo, s22
	v_dual_mov_b32 v154, v24 :: v_dual_add_nc_u32 v57, 7, v64
	v_mov_b32_e32 v153, v23
	s_mov_b32 s22, exec_lo
	v_cmpx_gt_u32_e64 s3, v57
	s_cbranch_execz .LBB1171_574
; %bb.564:
	v_cmp_ne_u32_e32 vcc_lo, 1, v63
	s_cbranch_vccnz .LBB1171_571
; %bb.565:
	v_mul_lo_u32 v61, v22, s8
	v_mul_lo_u32 v62, v21, s9
	v_mad_u64_u32 v[57:58], null, v21, s8, 0
	v_mul_lo_u32 v65, v24, s8
	v_mul_lo_u32 v66, v23, s9
	v_mad_u64_u32 v[59:60], null, v23, s8, 0
	s_mov_b32 s23, exec_lo
	v_mov_b32_e32 v153, 1
	v_add3_u32 v58, v58, v62, v61
	v_mov_b32_e32 v154, 0
	s_delay_alu instid0(VALU_DEP_4) | instskip(NEXT) | instid1(VALU_DEP_3)
	v_add3_u32 v60, v60, v66, v65
	v_lshlrev_b64 v[57:58], 1, v[57:58]
	s_delay_alu instid0(VALU_DEP_2) | instskip(NEXT) | instid1(VALU_DEP_2)
	v_lshlrev_b64 v[59:60], 1, v[59:60]
	v_add_co_u32 v57, vcc_lo, s10, v57
	s_delay_alu instid0(VALU_DEP_3) | instskip(NEXT) | instid1(VALU_DEP_3)
	v_add_co_ci_u32_e32 v58, vcc_lo, s11, v58, vcc_lo
	v_add_co_u32 v59, vcc_lo, s10, v59
	s_delay_alu instid0(VALU_DEP_4)
	v_add_co_ci_u32_e32 v60, vcc_lo, s11, v60, vcc_lo
	s_clause 0x1
	global_load_u16 v61, v[57:58], off
	global_load_u16 v62, v[59:60], off
	s_waitcnt vmcnt(1)
	v_lshlrev_b32_e32 v61, 16, v61
	s_waitcnt vmcnt(0)
	v_lshlrev_b32_e32 v62, 16, v62
	s_delay_alu instid0(VALU_DEP_1)
	v_cmpx_eq_f32_e32 v62, v61
	s_cbranch_execz .LBB1171_573
; %bb.566:
	v_add_co_u32 v57, vcc_lo, v57, 2
	v_add_co_ci_u32_e32 v58, vcc_lo, 0, v58, vcc_lo
	v_add_co_u32 v59, vcc_lo, v59, 2
	v_add_co_ci_u32_e32 v60, vcc_lo, 0, v60, vcc_lo
	s_add_u32 s14, s8, -1
	s_addc_u32 s15, s9, -1
	s_mov_b64 s[20:21], 0
	s_mov_b32 s24, 0
                                        ; implicit-def: $sgpr25
	s_set_inst_prefetch_distance 0x1
	s_branch .LBB1171_569
	.p2align	6
.LBB1171_567:                           ;   in Loop: Header=BB1171_569 Depth=1
	global_load_u16 v61, v[57:58], off
	global_load_u16 v62, v[59:60], off
	v_add_co_u32 v57, vcc_lo, v57, 2
	v_add_co_ci_u32_e32 v58, vcc_lo, 0, v58, vcc_lo
	v_add_co_u32 v59, s0, v59, 2
	s_delay_alu instid0(VALU_DEP_1)
	v_add_co_ci_u32_e64 v60, s0, 0, v60, s0
	s_add_u32 s20, s20, 1
	s_addc_u32 s21, s21, 0
	s_and_not1_b32 s0, s25, exec_lo
	s_waitcnt vmcnt(1)
	v_lshlrev_b32_e32 v61, 16, v61
	s_waitcnt vmcnt(0)
	v_lshlrev_b32_e32 v62, 16, v62
	s_delay_alu instid0(VALU_DEP_1) | instskip(SKIP_1) | instid1(SALU_CYCLE_1)
	v_cmp_neq_f32_e32 vcc_lo, v62, v61
	s_and_b32 s25, vcc_lo, exec_lo
	s_or_b32 s25, s0, s25
.LBB1171_568:                           ;   in Loop: Header=BB1171_569 Depth=1
	v_dual_mov_b32 v62, s21 :: v_dual_mov_b32 v61, s20
	s_and_b32 s0, exec_lo, s25
	s_delay_alu instid0(SALU_CYCLE_1) | instskip(NEXT) | instid1(SALU_CYCLE_1)
	s_or_b32 s24, s0, s24
	s_and_not1_b32 exec_lo, exec_lo, s24
	s_cbranch_execz .LBB1171_572
.LBB1171_569:                           ; =>This Inner Loop Header: Depth=1
	s_or_b32 s25, s25, exec_lo
	s_cmp_eq_u64 s[14:15], s[20:21]
	s_cbranch_scc0 .LBB1171_567
; %bb.570:                              ;   in Loop: Header=BB1171_569 Depth=1
	s_mov_b64 s[20:21], s[8:9]
                                        ; implicit-def: $vgpr57_vgpr58
                                        ; implicit-def: $vgpr59_vgpr60
	s_branch .LBB1171_568
.LBB1171_571:
	v_mov_b32_e32 v153, 0
	v_mov_b32_e32 v154, 0
	s_branch .LBB1171_574
.LBB1171_572:
	s_set_inst_prefetch_distance 0x2
	s_or_b32 exec_lo, exec_lo, s24
	v_cmp_gt_i64_e32 vcc_lo, s[8:9], v[61:62]
	s_mov_b32 s0, 0
	s_delay_alu instid0(SALU_CYCLE_1)
	v_mov_b32_e32 v154, s0
	v_cndmask_b32_e64 v153, 0, 1, vcc_lo
.LBB1171_573:
	s_or_b32 exec_lo, exec_lo, s23
.LBB1171_574:
	s_delay_alu instid0(SALU_CYCLE_1) | instskip(SKIP_3) | instid1(VALU_DEP_2)
	s_or_b32 exec_lo, exec_lo, s22
	v_dual_mov_b32 v156, v22 :: v_dual_add_nc_u32 v57, 6, v64
	v_mov_b32_e32 v155, v21
	s_mov_b32 s22, exec_lo
	v_cmpx_gt_u32_e64 s3, v57
	s_cbranch_execz .LBB1171_585
; %bb.575:
	v_cmp_ne_u32_e32 vcc_lo, 1, v63
	s_cbranch_vccnz .LBB1171_582
; %bb.576:
	v_mul_lo_u32 v61, v20, s8
	v_mul_lo_u32 v62, v19, s9
	v_mad_u64_u32 v[57:58], null, v19, s8, 0
	v_mul_lo_u32 v65, v22, s8
	v_mul_lo_u32 v66, v21, s9
	v_mad_u64_u32 v[59:60], null, v21, s8, 0
	s_mov_b32 s23, exec_lo
	v_mov_b32_e32 v155, 1
	v_add3_u32 v58, v58, v62, v61
	v_mov_b32_e32 v156, 0
	s_delay_alu instid0(VALU_DEP_4) | instskip(NEXT) | instid1(VALU_DEP_3)
	v_add3_u32 v60, v60, v66, v65
	v_lshlrev_b64 v[57:58], 1, v[57:58]
	s_delay_alu instid0(VALU_DEP_2) | instskip(NEXT) | instid1(VALU_DEP_2)
	v_lshlrev_b64 v[59:60], 1, v[59:60]
	v_add_co_u32 v57, vcc_lo, s10, v57
	s_delay_alu instid0(VALU_DEP_3) | instskip(NEXT) | instid1(VALU_DEP_3)
	v_add_co_ci_u32_e32 v58, vcc_lo, s11, v58, vcc_lo
	v_add_co_u32 v59, vcc_lo, s10, v59
	s_delay_alu instid0(VALU_DEP_4)
	v_add_co_ci_u32_e32 v60, vcc_lo, s11, v60, vcc_lo
	s_clause 0x1
	global_load_u16 v61, v[57:58], off
	global_load_u16 v62, v[59:60], off
	s_waitcnt vmcnt(1)
	v_lshlrev_b32_e32 v61, 16, v61
	s_waitcnt vmcnt(0)
	v_lshlrev_b32_e32 v62, 16, v62
	s_delay_alu instid0(VALU_DEP_1)
	v_cmpx_eq_f32_e32 v62, v61
	s_cbranch_execz .LBB1171_584
; %bb.577:
	v_add_co_u32 v57, vcc_lo, v57, 2
	v_add_co_ci_u32_e32 v58, vcc_lo, 0, v58, vcc_lo
	v_add_co_u32 v59, vcc_lo, v59, 2
	v_add_co_ci_u32_e32 v60, vcc_lo, 0, v60, vcc_lo
	s_add_u32 s14, s8, -1
	s_addc_u32 s15, s9, -1
	s_mov_b64 s[20:21], 0
	s_mov_b32 s24, 0
                                        ; implicit-def: $sgpr25
	s_set_inst_prefetch_distance 0x1
	s_branch .LBB1171_580
	.p2align	6
.LBB1171_578:                           ;   in Loop: Header=BB1171_580 Depth=1
	global_load_u16 v61, v[57:58], off
	global_load_u16 v62, v[59:60], off
	v_add_co_u32 v57, vcc_lo, v57, 2
	v_add_co_ci_u32_e32 v58, vcc_lo, 0, v58, vcc_lo
	v_add_co_u32 v59, s0, v59, 2
	s_delay_alu instid0(VALU_DEP_1)
	v_add_co_ci_u32_e64 v60, s0, 0, v60, s0
	s_add_u32 s20, s20, 1
	s_addc_u32 s21, s21, 0
	s_and_not1_b32 s0, s25, exec_lo
	s_waitcnt vmcnt(1)
	v_lshlrev_b32_e32 v61, 16, v61
	s_waitcnt vmcnt(0)
	v_lshlrev_b32_e32 v62, 16, v62
	s_delay_alu instid0(VALU_DEP_1) | instskip(SKIP_1) | instid1(SALU_CYCLE_1)
	v_cmp_neq_f32_e32 vcc_lo, v62, v61
	s_and_b32 s25, vcc_lo, exec_lo
	s_or_b32 s25, s0, s25
.LBB1171_579:                           ;   in Loop: Header=BB1171_580 Depth=1
	v_dual_mov_b32 v62, s21 :: v_dual_mov_b32 v61, s20
	s_and_b32 s0, exec_lo, s25
	s_delay_alu instid0(SALU_CYCLE_1) | instskip(NEXT) | instid1(SALU_CYCLE_1)
	s_or_b32 s24, s0, s24
	s_and_not1_b32 exec_lo, exec_lo, s24
	s_cbranch_execz .LBB1171_583
.LBB1171_580:                           ; =>This Inner Loop Header: Depth=1
	s_or_b32 s25, s25, exec_lo
	s_cmp_eq_u64 s[14:15], s[20:21]
	s_cbranch_scc0 .LBB1171_578
; %bb.581:                              ;   in Loop: Header=BB1171_580 Depth=1
	s_mov_b64 s[20:21], s[8:9]
                                        ; implicit-def: $vgpr57_vgpr58
                                        ; implicit-def: $vgpr59_vgpr60
	s_branch .LBB1171_579
.LBB1171_582:
	v_mov_b32_e32 v155, 0
	v_mov_b32_e32 v156, 0
	s_branch .LBB1171_585
.LBB1171_583:
	s_set_inst_prefetch_distance 0x2
	s_or_b32 exec_lo, exec_lo, s24
	v_cmp_gt_i64_e32 vcc_lo, s[8:9], v[61:62]
	s_mov_b32 s0, 0
	s_delay_alu instid0(SALU_CYCLE_1)
	v_mov_b32_e32 v156, s0
	v_cndmask_b32_e64 v155, 0, 1, vcc_lo
.LBB1171_584:
	s_or_b32 exec_lo, exec_lo, s23
.LBB1171_585:
	s_delay_alu instid0(SALU_CYCLE_1) | instskip(SKIP_3) | instid1(VALU_DEP_2)
	s_or_b32 exec_lo, exec_lo, s22
	v_dual_mov_b32 v158, v20 :: v_dual_add_nc_u32 v57, 5, v64
	v_mov_b32_e32 v157, v19
	s_mov_b32 s22, exec_lo
	v_cmpx_gt_u32_e64 s3, v57
	s_cbranch_execz .LBB1171_596
; %bb.586:
	v_cmp_ne_u32_e32 vcc_lo, 1, v63
	s_cbranch_vccnz .LBB1171_593
; %bb.587:
	v_mul_lo_u32 v61, v18, s8
	v_mul_lo_u32 v62, v17, s9
	v_mad_u64_u32 v[57:58], null, v17, s8, 0
	v_mul_lo_u32 v65, v20, s8
	v_mul_lo_u32 v66, v19, s9
	v_mad_u64_u32 v[59:60], null, v19, s8, 0
	s_mov_b32 s23, exec_lo
	v_mov_b32_e32 v157, 1
	v_add3_u32 v58, v58, v62, v61
	v_mov_b32_e32 v158, 0
	s_delay_alu instid0(VALU_DEP_4) | instskip(NEXT) | instid1(VALU_DEP_3)
	v_add3_u32 v60, v60, v66, v65
	v_lshlrev_b64 v[57:58], 1, v[57:58]
	s_delay_alu instid0(VALU_DEP_2) | instskip(NEXT) | instid1(VALU_DEP_2)
	v_lshlrev_b64 v[59:60], 1, v[59:60]
	v_add_co_u32 v57, vcc_lo, s10, v57
	s_delay_alu instid0(VALU_DEP_3) | instskip(NEXT) | instid1(VALU_DEP_3)
	v_add_co_ci_u32_e32 v58, vcc_lo, s11, v58, vcc_lo
	v_add_co_u32 v59, vcc_lo, s10, v59
	s_delay_alu instid0(VALU_DEP_4)
	v_add_co_ci_u32_e32 v60, vcc_lo, s11, v60, vcc_lo
	s_clause 0x1
	global_load_u16 v61, v[57:58], off
	global_load_u16 v62, v[59:60], off
	s_waitcnt vmcnt(1)
	v_lshlrev_b32_e32 v61, 16, v61
	s_waitcnt vmcnt(0)
	v_lshlrev_b32_e32 v62, 16, v62
	s_delay_alu instid0(VALU_DEP_1)
	v_cmpx_eq_f32_e32 v62, v61
	s_cbranch_execz .LBB1171_595
; %bb.588:
	v_add_co_u32 v57, vcc_lo, v57, 2
	v_add_co_ci_u32_e32 v58, vcc_lo, 0, v58, vcc_lo
	v_add_co_u32 v59, vcc_lo, v59, 2
	v_add_co_ci_u32_e32 v60, vcc_lo, 0, v60, vcc_lo
	s_add_u32 s14, s8, -1
	s_addc_u32 s15, s9, -1
	s_mov_b64 s[20:21], 0
	s_mov_b32 s24, 0
                                        ; implicit-def: $sgpr25
	s_set_inst_prefetch_distance 0x1
	s_branch .LBB1171_591
	.p2align	6
.LBB1171_589:                           ;   in Loop: Header=BB1171_591 Depth=1
	global_load_u16 v61, v[57:58], off
	global_load_u16 v62, v[59:60], off
	v_add_co_u32 v57, vcc_lo, v57, 2
	v_add_co_ci_u32_e32 v58, vcc_lo, 0, v58, vcc_lo
	v_add_co_u32 v59, s0, v59, 2
	s_delay_alu instid0(VALU_DEP_1)
	v_add_co_ci_u32_e64 v60, s0, 0, v60, s0
	s_add_u32 s20, s20, 1
	s_addc_u32 s21, s21, 0
	s_and_not1_b32 s0, s25, exec_lo
	s_waitcnt vmcnt(1)
	v_lshlrev_b32_e32 v61, 16, v61
	s_waitcnt vmcnt(0)
	v_lshlrev_b32_e32 v62, 16, v62
	s_delay_alu instid0(VALU_DEP_1) | instskip(SKIP_1) | instid1(SALU_CYCLE_1)
	v_cmp_neq_f32_e32 vcc_lo, v62, v61
	s_and_b32 s25, vcc_lo, exec_lo
	s_or_b32 s25, s0, s25
.LBB1171_590:                           ;   in Loop: Header=BB1171_591 Depth=1
	v_dual_mov_b32 v62, s21 :: v_dual_mov_b32 v61, s20
	s_and_b32 s0, exec_lo, s25
	s_delay_alu instid0(SALU_CYCLE_1) | instskip(NEXT) | instid1(SALU_CYCLE_1)
	s_or_b32 s24, s0, s24
	s_and_not1_b32 exec_lo, exec_lo, s24
	s_cbranch_execz .LBB1171_594
.LBB1171_591:                           ; =>This Inner Loop Header: Depth=1
	s_or_b32 s25, s25, exec_lo
	s_cmp_eq_u64 s[14:15], s[20:21]
	s_cbranch_scc0 .LBB1171_589
; %bb.592:                              ;   in Loop: Header=BB1171_591 Depth=1
	s_mov_b64 s[20:21], s[8:9]
                                        ; implicit-def: $vgpr57_vgpr58
                                        ; implicit-def: $vgpr59_vgpr60
	s_branch .LBB1171_590
.LBB1171_593:
	v_mov_b32_e32 v157, 0
	v_mov_b32_e32 v158, 0
	s_branch .LBB1171_596
.LBB1171_594:
	s_set_inst_prefetch_distance 0x2
	s_or_b32 exec_lo, exec_lo, s24
	v_cmp_gt_i64_e32 vcc_lo, s[8:9], v[61:62]
	s_mov_b32 s0, 0
	s_delay_alu instid0(SALU_CYCLE_1)
	v_mov_b32_e32 v158, s0
	v_cndmask_b32_e64 v157, 0, 1, vcc_lo
.LBB1171_595:
	s_or_b32 exec_lo, exec_lo, s23
.LBB1171_596:
	s_delay_alu instid0(SALU_CYCLE_1) | instskip(SKIP_3) | instid1(VALU_DEP_2)
	s_or_b32 exec_lo, exec_lo, s22
	v_dual_mov_b32 v160, v18 :: v_dual_add_nc_u32 v57, 4, v64
	v_mov_b32_e32 v159, v17
	s_mov_b32 s22, exec_lo
	v_cmpx_gt_u32_e64 s3, v57
	s_cbranch_execz .LBB1171_607
; %bb.597:
	v_cmp_ne_u32_e32 vcc_lo, 1, v63
	s_cbranch_vccnz .LBB1171_604
; %bb.598:
	v_mul_lo_u32 v61, v16, s8
	v_mul_lo_u32 v62, v15, s9
	v_mad_u64_u32 v[57:58], null, v15, s8, 0
	v_mul_lo_u32 v65, v18, s8
	v_mul_lo_u32 v66, v17, s9
	v_mad_u64_u32 v[59:60], null, v17, s8, 0
	s_mov_b32 s23, exec_lo
	v_mov_b32_e32 v159, 1
	v_add3_u32 v58, v58, v62, v61
	v_mov_b32_e32 v160, 0
	s_delay_alu instid0(VALU_DEP_4) | instskip(NEXT) | instid1(VALU_DEP_3)
	v_add3_u32 v60, v60, v66, v65
	v_lshlrev_b64 v[57:58], 1, v[57:58]
	s_delay_alu instid0(VALU_DEP_2) | instskip(NEXT) | instid1(VALU_DEP_2)
	v_lshlrev_b64 v[59:60], 1, v[59:60]
	v_add_co_u32 v57, vcc_lo, s10, v57
	s_delay_alu instid0(VALU_DEP_3) | instskip(NEXT) | instid1(VALU_DEP_3)
	v_add_co_ci_u32_e32 v58, vcc_lo, s11, v58, vcc_lo
	v_add_co_u32 v59, vcc_lo, s10, v59
	s_delay_alu instid0(VALU_DEP_4)
	v_add_co_ci_u32_e32 v60, vcc_lo, s11, v60, vcc_lo
	s_clause 0x1
	global_load_u16 v61, v[57:58], off
	global_load_u16 v62, v[59:60], off
	s_waitcnt vmcnt(1)
	v_lshlrev_b32_e32 v61, 16, v61
	s_waitcnt vmcnt(0)
	v_lshlrev_b32_e32 v62, 16, v62
	s_delay_alu instid0(VALU_DEP_1)
	v_cmpx_eq_f32_e32 v62, v61
	s_cbranch_execz .LBB1171_606
; %bb.599:
	v_add_co_u32 v57, vcc_lo, v57, 2
	v_add_co_ci_u32_e32 v58, vcc_lo, 0, v58, vcc_lo
	v_add_co_u32 v59, vcc_lo, v59, 2
	v_add_co_ci_u32_e32 v60, vcc_lo, 0, v60, vcc_lo
	s_add_u32 s14, s8, -1
	s_addc_u32 s15, s9, -1
	s_mov_b64 s[20:21], 0
	s_mov_b32 s24, 0
                                        ; implicit-def: $sgpr25
	s_set_inst_prefetch_distance 0x1
	s_branch .LBB1171_602
	.p2align	6
.LBB1171_600:                           ;   in Loop: Header=BB1171_602 Depth=1
	global_load_u16 v61, v[57:58], off
	global_load_u16 v62, v[59:60], off
	v_add_co_u32 v57, vcc_lo, v57, 2
	v_add_co_ci_u32_e32 v58, vcc_lo, 0, v58, vcc_lo
	v_add_co_u32 v59, s0, v59, 2
	s_delay_alu instid0(VALU_DEP_1)
	v_add_co_ci_u32_e64 v60, s0, 0, v60, s0
	s_add_u32 s20, s20, 1
	s_addc_u32 s21, s21, 0
	s_and_not1_b32 s0, s25, exec_lo
	s_waitcnt vmcnt(1)
	v_lshlrev_b32_e32 v61, 16, v61
	s_waitcnt vmcnt(0)
	v_lshlrev_b32_e32 v62, 16, v62
	s_delay_alu instid0(VALU_DEP_1) | instskip(SKIP_1) | instid1(SALU_CYCLE_1)
	v_cmp_neq_f32_e32 vcc_lo, v62, v61
	s_and_b32 s25, vcc_lo, exec_lo
	s_or_b32 s25, s0, s25
.LBB1171_601:                           ;   in Loop: Header=BB1171_602 Depth=1
	v_dual_mov_b32 v62, s21 :: v_dual_mov_b32 v61, s20
	s_and_b32 s0, exec_lo, s25
	s_delay_alu instid0(SALU_CYCLE_1) | instskip(NEXT) | instid1(SALU_CYCLE_1)
	s_or_b32 s24, s0, s24
	s_and_not1_b32 exec_lo, exec_lo, s24
	s_cbranch_execz .LBB1171_605
.LBB1171_602:                           ; =>This Inner Loop Header: Depth=1
	s_or_b32 s25, s25, exec_lo
	s_cmp_eq_u64 s[14:15], s[20:21]
	s_cbranch_scc0 .LBB1171_600
; %bb.603:                              ;   in Loop: Header=BB1171_602 Depth=1
	s_mov_b64 s[20:21], s[8:9]
                                        ; implicit-def: $vgpr57_vgpr58
                                        ; implicit-def: $vgpr59_vgpr60
	s_branch .LBB1171_601
.LBB1171_604:
	v_mov_b32_e32 v159, 0
	v_mov_b32_e32 v160, 0
	s_branch .LBB1171_607
.LBB1171_605:
	s_set_inst_prefetch_distance 0x2
	s_or_b32 exec_lo, exec_lo, s24
	v_cmp_gt_i64_e32 vcc_lo, s[8:9], v[61:62]
	s_mov_b32 s0, 0
	s_delay_alu instid0(SALU_CYCLE_1)
	v_mov_b32_e32 v160, s0
	v_cndmask_b32_e64 v159, 0, 1, vcc_lo
.LBB1171_606:
	s_or_b32 exec_lo, exec_lo, s23
.LBB1171_607:
	s_delay_alu instid0(SALU_CYCLE_1) | instskip(SKIP_3) | instid1(VALU_DEP_2)
	s_or_b32 exec_lo, exec_lo, s22
	v_dual_mov_b32 v162, v16 :: v_dual_add_nc_u32 v57, 3, v64
	v_mov_b32_e32 v161, v15
	s_mov_b32 s22, exec_lo
	v_cmpx_gt_u32_e64 s3, v57
	s_cbranch_execz .LBB1171_618
; %bb.608:
	v_cmp_ne_u32_e32 vcc_lo, 1, v63
	s_cbranch_vccnz .LBB1171_615
; %bb.609:
	v_mul_lo_u32 v61, v14, s8
	v_mul_lo_u32 v62, v13, s9
	v_mad_u64_u32 v[57:58], null, v13, s8, 0
	v_mul_lo_u32 v65, v16, s8
	v_mul_lo_u32 v66, v15, s9
	v_mad_u64_u32 v[59:60], null, v15, s8, 0
	s_mov_b32 s23, exec_lo
	v_mov_b32_e32 v161, 1
	v_add3_u32 v58, v58, v62, v61
	v_mov_b32_e32 v162, 0
	s_delay_alu instid0(VALU_DEP_4) | instskip(NEXT) | instid1(VALU_DEP_3)
	v_add3_u32 v60, v60, v66, v65
	v_lshlrev_b64 v[57:58], 1, v[57:58]
	s_delay_alu instid0(VALU_DEP_2) | instskip(NEXT) | instid1(VALU_DEP_2)
	v_lshlrev_b64 v[59:60], 1, v[59:60]
	v_add_co_u32 v57, vcc_lo, s10, v57
	s_delay_alu instid0(VALU_DEP_3) | instskip(NEXT) | instid1(VALU_DEP_3)
	v_add_co_ci_u32_e32 v58, vcc_lo, s11, v58, vcc_lo
	v_add_co_u32 v59, vcc_lo, s10, v59
	s_delay_alu instid0(VALU_DEP_4)
	v_add_co_ci_u32_e32 v60, vcc_lo, s11, v60, vcc_lo
	s_clause 0x1
	global_load_u16 v61, v[57:58], off
	global_load_u16 v62, v[59:60], off
	s_waitcnt vmcnt(1)
	v_lshlrev_b32_e32 v61, 16, v61
	s_waitcnt vmcnt(0)
	v_lshlrev_b32_e32 v62, 16, v62
	s_delay_alu instid0(VALU_DEP_1)
	v_cmpx_eq_f32_e32 v62, v61
	s_cbranch_execz .LBB1171_617
; %bb.610:
	v_add_co_u32 v57, vcc_lo, v57, 2
	v_add_co_ci_u32_e32 v58, vcc_lo, 0, v58, vcc_lo
	v_add_co_u32 v59, vcc_lo, v59, 2
	v_add_co_ci_u32_e32 v60, vcc_lo, 0, v60, vcc_lo
	s_add_u32 s14, s8, -1
	s_addc_u32 s15, s9, -1
	s_mov_b64 s[20:21], 0
	s_mov_b32 s24, 0
                                        ; implicit-def: $sgpr25
	s_set_inst_prefetch_distance 0x1
	s_branch .LBB1171_613
	.p2align	6
.LBB1171_611:                           ;   in Loop: Header=BB1171_613 Depth=1
	global_load_u16 v61, v[57:58], off
	global_load_u16 v62, v[59:60], off
	v_add_co_u32 v57, vcc_lo, v57, 2
	v_add_co_ci_u32_e32 v58, vcc_lo, 0, v58, vcc_lo
	v_add_co_u32 v59, s0, v59, 2
	s_delay_alu instid0(VALU_DEP_1)
	v_add_co_ci_u32_e64 v60, s0, 0, v60, s0
	s_add_u32 s20, s20, 1
	s_addc_u32 s21, s21, 0
	s_and_not1_b32 s0, s25, exec_lo
	s_waitcnt vmcnt(1)
	v_lshlrev_b32_e32 v61, 16, v61
	s_waitcnt vmcnt(0)
	v_lshlrev_b32_e32 v62, 16, v62
	s_delay_alu instid0(VALU_DEP_1) | instskip(SKIP_1) | instid1(SALU_CYCLE_1)
	v_cmp_neq_f32_e32 vcc_lo, v62, v61
	s_and_b32 s25, vcc_lo, exec_lo
	s_or_b32 s25, s0, s25
.LBB1171_612:                           ;   in Loop: Header=BB1171_613 Depth=1
	v_dual_mov_b32 v62, s21 :: v_dual_mov_b32 v61, s20
	s_and_b32 s0, exec_lo, s25
	s_delay_alu instid0(SALU_CYCLE_1) | instskip(NEXT) | instid1(SALU_CYCLE_1)
	s_or_b32 s24, s0, s24
	s_and_not1_b32 exec_lo, exec_lo, s24
	s_cbranch_execz .LBB1171_616
.LBB1171_613:                           ; =>This Inner Loop Header: Depth=1
	s_or_b32 s25, s25, exec_lo
	s_cmp_eq_u64 s[14:15], s[20:21]
	s_cbranch_scc0 .LBB1171_611
; %bb.614:                              ;   in Loop: Header=BB1171_613 Depth=1
	s_mov_b64 s[20:21], s[8:9]
                                        ; implicit-def: $vgpr57_vgpr58
                                        ; implicit-def: $vgpr59_vgpr60
	s_branch .LBB1171_612
.LBB1171_615:
	v_mov_b32_e32 v161, 0
	v_mov_b32_e32 v162, 0
	s_branch .LBB1171_618
.LBB1171_616:
	s_set_inst_prefetch_distance 0x2
	s_or_b32 exec_lo, exec_lo, s24
	v_cmp_gt_i64_e32 vcc_lo, s[8:9], v[61:62]
	s_mov_b32 s0, 0
	s_delay_alu instid0(SALU_CYCLE_1)
	v_mov_b32_e32 v162, s0
	v_cndmask_b32_e64 v161, 0, 1, vcc_lo
.LBB1171_617:
	s_or_b32 exec_lo, exec_lo, s23
.LBB1171_618:
	s_delay_alu instid0(SALU_CYCLE_1) | instskip(SKIP_3) | instid1(VALU_DEP_2)
	s_or_b32 exec_lo, exec_lo, s22
	v_dual_mov_b32 v164, v14 :: v_dual_add_nc_u32 v57, 2, v64
	v_mov_b32_e32 v163, v13
	s_mov_b32 s22, exec_lo
	v_cmpx_gt_u32_e64 s3, v57
	s_cbranch_execz .LBB1171_629
; %bb.619:
	v_cmp_ne_u32_e32 vcc_lo, 1, v63
	s_cbranch_vccnz .LBB1171_626
; %bb.620:
	v_mul_lo_u32 v61, v4, s8
	v_mul_lo_u32 v62, v3, s9
	v_mad_u64_u32 v[57:58], null, v3, s8, 0
	v_mul_lo_u32 v65, v14, s8
	v_mul_lo_u32 v66, v13, s9
	v_mad_u64_u32 v[59:60], null, v13, s8, 0
	s_mov_b32 s23, exec_lo
	v_mov_b32_e32 v163, 1
	v_add3_u32 v58, v58, v62, v61
	v_mov_b32_e32 v164, 0
	s_delay_alu instid0(VALU_DEP_4) | instskip(NEXT) | instid1(VALU_DEP_3)
	v_add3_u32 v60, v60, v66, v65
	v_lshlrev_b64 v[57:58], 1, v[57:58]
	s_delay_alu instid0(VALU_DEP_2) | instskip(NEXT) | instid1(VALU_DEP_2)
	v_lshlrev_b64 v[59:60], 1, v[59:60]
	v_add_co_u32 v57, vcc_lo, s10, v57
	s_delay_alu instid0(VALU_DEP_3) | instskip(NEXT) | instid1(VALU_DEP_3)
	v_add_co_ci_u32_e32 v58, vcc_lo, s11, v58, vcc_lo
	v_add_co_u32 v59, vcc_lo, s10, v59
	s_delay_alu instid0(VALU_DEP_4)
	v_add_co_ci_u32_e32 v60, vcc_lo, s11, v60, vcc_lo
	s_clause 0x1
	global_load_u16 v61, v[57:58], off
	global_load_u16 v62, v[59:60], off
	s_waitcnt vmcnt(1)
	v_lshlrev_b32_e32 v61, 16, v61
	s_waitcnt vmcnt(0)
	v_lshlrev_b32_e32 v62, 16, v62
	s_delay_alu instid0(VALU_DEP_1)
	v_cmpx_eq_f32_e32 v62, v61
	s_cbranch_execz .LBB1171_628
; %bb.621:
	v_add_co_u32 v57, vcc_lo, v57, 2
	v_add_co_ci_u32_e32 v58, vcc_lo, 0, v58, vcc_lo
	v_add_co_u32 v59, vcc_lo, v59, 2
	v_add_co_ci_u32_e32 v60, vcc_lo, 0, v60, vcc_lo
	s_add_u32 s14, s8, -1
	s_addc_u32 s15, s9, -1
	s_mov_b64 s[20:21], 0
	s_mov_b32 s24, 0
                                        ; implicit-def: $sgpr25
	s_set_inst_prefetch_distance 0x1
	s_branch .LBB1171_624
	.p2align	6
.LBB1171_622:                           ;   in Loop: Header=BB1171_624 Depth=1
	global_load_u16 v61, v[57:58], off
	global_load_u16 v62, v[59:60], off
	v_add_co_u32 v57, vcc_lo, v57, 2
	v_add_co_ci_u32_e32 v58, vcc_lo, 0, v58, vcc_lo
	v_add_co_u32 v59, s0, v59, 2
	s_delay_alu instid0(VALU_DEP_1)
	v_add_co_ci_u32_e64 v60, s0, 0, v60, s0
	s_add_u32 s20, s20, 1
	s_addc_u32 s21, s21, 0
	s_and_not1_b32 s0, s25, exec_lo
	s_waitcnt vmcnt(1)
	v_lshlrev_b32_e32 v61, 16, v61
	s_waitcnt vmcnt(0)
	v_lshlrev_b32_e32 v62, 16, v62
	s_delay_alu instid0(VALU_DEP_1) | instskip(SKIP_1) | instid1(SALU_CYCLE_1)
	v_cmp_neq_f32_e32 vcc_lo, v62, v61
	s_and_b32 s25, vcc_lo, exec_lo
	s_or_b32 s25, s0, s25
.LBB1171_623:                           ;   in Loop: Header=BB1171_624 Depth=1
	v_dual_mov_b32 v62, s21 :: v_dual_mov_b32 v61, s20
	s_and_b32 s0, exec_lo, s25
	s_delay_alu instid0(SALU_CYCLE_1) | instskip(NEXT) | instid1(SALU_CYCLE_1)
	s_or_b32 s24, s0, s24
	s_and_not1_b32 exec_lo, exec_lo, s24
	s_cbranch_execz .LBB1171_627
.LBB1171_624:                           ; =>This Inner Loop Header: Depth=1
	s_or_b32 s25, s25, exec_lo
	s_cmp_eq_u64 s[14:15], s[20:21]
	s_cbranch_scc0 .LBB1171_622
; %bb.625:                              ;   in Loop: Header=BB1171_624 Depth=1
	s_mov_b64 s[20:21], s[8:9]
                                        ; implicit-def: $vgpr57_vgpr58
                                        ; implicit-def: $vgpr59_vgpr60
	s_branch .LBB1171_623
.LBB1171_626:
	v_mov_b32_e32 v163, 0
	v_mov_b32_e32 v164, 0
	s_branch .LBB1171_629
.LBB1171_627:
	s_set_inst_prefetch_distance 0x2
	s_or_b32 exec_lo, exec_lo, s24
	v_cmp_gt_i64_e32 vcc_lo, s[8:9], v[61:62]
	s_mov_b32 s0, 0
	s_delay_alu instid0(SALU_CYCLE_1)
	v_mov_b32_e32 v164, s0
	v_cndmask_b32_e64 v163, 0, 1, vcc_lo
.LBB1171_628:
	s_or_b32 exec_lo, exec_lo, s23
.LBB1171_629:
	s_delay_alu instid0(SALU_CYCLE_1) | instskip(SKIP_3) | instid1(VALU_DEP_2)
	s_or_b32 exec_lo, exec_lo, s22
	v_dual_mov_b32 v166, v4 :: v_dual_add_nc_u32 v57, 1, v64
	v_mov_b32_e32 v165, v3
	s_mov_b32 s22, exec_lo
	v_cmpx_gt_u32_e64 s3, v57
	s_cbranch_execz .LBB1171_640
; %bb.630:
	v_cmp_ne_u32_e32 vcc_lo, 1, v63
	s_cbranch_vccnz .LBB1171_637
; %bb.631:
	v_mul_lo_u32 v61, v2, s8
	v_mul_lo_u32 v62, v1, s9
	v_mad_u64_u32 v[57:58], null, v1, s8, 0
	v_mul_lo_u32 v65, v4, s8
	v_mul_lo_u32 v66, v3, s9
	v_mad_u64_u32 v[59:60], null, v3, s8, 0
	s_mov_b32 s23, exec_lo
	v_mov_b32_e32 v165, 1
	v_add3_u32 v58, v58, v62, v61
	v_mov_b32_e32 v166, 0
	s_delay_alu instid0(VALU_DEP_4) | instskip(NEXT) | instid1(VALU_DEP_3)
	v_add3_u32 v60, v60, v66, v65
	v_lshlrev_b64 v[57:58], 1, v[57:58]
	s_delay_alu instid0(VALU_DEP_2) | instskip(NEXT) | instid1(VALU_DEP_2)
	v_lshlrev_b64 v[59:60], 1, v[59:60]
	v_add_co_u32 v57, vcc_lo, s10, v57
	s_delay_alu instid0(VALU_DEP_3) | instskip(NEXT) | instid1(VALU_DEP_3)
	v_add_co_ci_u32_e32 v58, vcc_lo, s11, v58, vcc_lo
	v_add_co_u32 v59, vcc_lo, s10, v59
	s_delay_alu instid0(VALU_DEP_4)
	v_add_co_ci_u32_e32 v60, vcc_lo, s11, v60, vcc_lo
	s_clause 0x1
	global_load_u16 v61, v[57:58], off
	global_load_u16 v62, v[59:60], off
	s_waitcnt vmcnt(1)
	v_lshlrev_b32_e32 v61, 16, v61
	s_waitcnt vmcnt(0)
	v_lshlrev_b32_e32 v62, 16, v62
	s_delay_alu instid0(VALU_DEP_1)
	v_cmpx_eq_f32_e32 v62, v61
	s_cbranch_execz .LBB1171_639
; %bb.632:
	v_add_co_u32 v57, vcc_lo, v57, 2
	v_add_co_ci_u32_e32 v58, vcc_lo, 0, v58, vcc_lo
	v_add_co_u32 v59, vcc_lo, v59, 2
	v_add_co_ci_u32_e32 v60, vcc_lo, 0, v60, vcc_lo
	s_add_u32 s14, s8, -1
	s_addc_u32 s15, s9, -1
	s_mov_b64 s[20:21], 0
	s_mov_b32 s24, 0
                                        ; implicit-def: $sgpr25
	s_set_inst_prefetch_distance 0x1
	s_branch .LBB1171_635
	.p2align	6
.LBB1171_633:                           ;   in Loop: Header=BB1171_635 Depth=1
	global_load_u16 v61, v[57:58], off
	global_load_u16 v62, v[59:60], off
	v_add_co_u32 v57, vcc_lo, v57, 2
	v_add_co_ci_u32_e32 v58, vcc_lo, 0, v58, vcc_lo
	v_add_co_u32 v59, s0, v59, 2
	s_delay_alu instid0(VALU_DEP_1)
	v_add_co_ci_u32_e64 v60, s0, 0, v60, s0
	s_add_u32 s20, s20, 1
	s_addc_u32 s21, s21, 0
	s_and_not1_b32 s0, s25, exec_lo
	s_waitcnt vmcnt(1)
	v_lshlrev_b32_e32 v61, 16, v61
	s_waitcnt vmcnt(0)
	v_lshlrev_b32_e32 v62, 16, v62
	s_delay_alu instid0(VALU_DEP_1) | instskip(SKIP_1) | instid1(SALU_CYCLE_1)
	v_cmp_neq_f32_e32 vcc_lo, v62, v61
	s_and_b32 s25, vcc_lo, exec_lo
	s_or_b32 s25, s0, s25
.LBB1171_634:                           ;   in Loop: Header=BB1171_635 Depth=1
	v_dual_mov_b32 v62, s21 :: v_dual_mov_b32 v61, s20
	s_and_b32 s0, exec_lo, s25
	s_delay_alu instid0(SALU_CYCLE_1) | instskip(NEXT) | instid1(SALU_CYCLE_1)
	s_or_b32 s24, s0, s24
	s_and_not1_b32 exec_lo, exec_lo, s24
	s_cbranch_execz .LBB1171_638
.LBB1171_635:                           ; =>This Inner Loop Header: Depth=1
	s_or_b32 s25, s25, exec_lo
	s_cmp_eq_u64 s[14:15], s[20:21]
	s_cbranch_scc0 .LBB1171_633
; %bb.636:                              ;   in Loop: Header=BB1171_635 Depth=1
	s_mov_b64 s[20:21], s[8:9]
                                        ; implicit-def: $vgpr57_vgpr58
                                        ; implicit-def: $vgpr59_vgpr60
	s_branch .LBB1171_634
.LBB1171_637:
	v_mov_b32_e32 v165, 0
	v_mov_b32_e32 v166, 0
	s_branch .LBB1171_640
.LBB1171_638:
	s_set_inst_prefetch_distance 0x2
	s_or_b32 exec_lo, exec_lo, s24
	v_cmp_gt_i64_e32 vcc_lo, s[8:9], v[61:62]
	s_mov_b32 s0, 0
	s_delay_alu instid0(SALU_CYCLE_1)
	v_mov_b32_e32 v166, s0
	v_cndmask_b32_e64 v165, 0, 1, vcc_lo
.LBB1171_639:
	s_or_b32 exec_lo, exec_lo, s23
.LBB1171_640:
	s_delay_alu instid0(SALU_CYCLE_1)
	s_or_b32 exec_lo, exec_lo, s22
	v_dual_mov_b32 v58, s13 :: v_dual_mov_b32 v57, s12
	s_mov_b32 s0, exec_lo
	s_waitcnt lgkmcnt(0)
	s_barrier
	buffer_gl0_inv
	v_cmpx_ne_u32_e32 0, v0
	s_cbranch_execz .LBB1171_642
; %bb.641:
	v_add_nc_u32_e32 v57, -8, v195
	ds_load_b64 v[57:58], v57
.LBB1171_642:
	s_or_b32 exec_lo, exec_lo, s0
	v_cmp_gt_u32_e32 vcc_lo, s3, v64
                                        ; implicit-def: $sgpr0
	s_and_saveexec_b32 s3, vcc_lo
	s_cbranch_execz .LBB1171_654
; %bb.643:
	v_cmp_ne_u32_e32 vcc_lo, 1, v63
	s_cbranch_vccnz .LBB1171_650
; %bb.644:
	s_waitcnt lgkmcnt(0)
	v_mul_lo_u32 v62, v58, s8
	v_mul_lo_u32 v63, v57, s9
	v_mad_u64_u32 v[58:59], null, v57, s8, 0
	v_mul_lo_u32 v57, v2, s8
	v_mul_lo_u32 v64, v1, s9
	v_mad_u64_u32 v[60:61], null, v1, s8, 0
	s_mov_b32 s0, -1
	s_mov_b32 s20, exec_lo
	s_delay_alu instid0(VALU_DEP_4) | instskip(NEXT) | instid1(VALU_DEP_2)
	v_add3_u32 v59, v59, v63, v62
	v_add3_u32 v61, v61, v64, v57
	s_delay_alu instid0(VALU_DEP_2) | instskip(NEXT) | instid1(VALU_DEP_2)
	v_lshlrev_b64 v[57:58], 1, v[58:59]
	v_lshlrev_b64 v[59:60], 1, v[60:61]
	s_delay_alu instid0(VALU_DEP_2) | instskip(NEXT) | instid1(VALU_DEP_3)
	v_add_co_u32 v57, vcc_lo, s10, v57
	v_add_co_ci_u32_e32 v58, vcc_lo, s11, v58, vcc_lo
	s_delay_alu instid0(VALU_DEP_3) | instskip(NEXT) | instid1(VALU_DEP_4)
	v_add_co_u32 v59, vcc_lo, s10, v59
	v_add_co_ci_u32_e32 v60, vcc_lo, s11, v60, vcc_lo
	s_clause 0x1
	global_load_u16 v61, v[57:58], off
	global_load_u16 v62, v[59:60], off
	s_waitcnt vmcnt(1)
	v_lshlrev_b32_e32 v61, 16, v61
	s_waitcnt vmcnt(0)
	v_lshlrev_b32_e32 v62, 16, v62
	s_delay_alu instid0(VALU_DEP_1)
	v_cmpx_eq_f32_e32 v62, v61
	s_cbranch_execz .LBB1171_652
; %bb.645:
	v_add_co_u32 v57, vcc_lo, v57, 2
	v_add_co_ci_u32_e32 v58, vcc_lo, 0, v58, vcc_lo
	v_add_co_u32 v59, vcc_lo, v59, 2
	v_add_co_ci_u32_e32 v60, vcc_lo, 0, v60, vcc_lo
	s_add_u32 s12, s8, -1
	s_addc_u32 s13, s9, -1
	s_mov_b64 s[14:15], 0
	s_mov_b32 s21, 0
                                        ; implicit-def: $sgpr22
	s_set_inst_prefetch_distance 0x1
	s_branch .LBB1171_648
	.p2align	6
.LBB1171_646:                           ;   in Loop: Header=BB1171_648 Depth=1
	global_load_u16 v61, v[57:58], off
	global_load_u16 v62, v[59:60], off
	v_add_co_u32 v57, vcc_lo, v57, 2
	v_add_co_ci_u32_e32 v58, vcc_lo, 0, v58, vcc_lo
	v_add_co_u32 v59, s0, v59, 2
	s_delay_alu instid0(VALU_DEP_1)
	v_add_co_ci_u32_e64 v60, s0, 0, v60, s0
	s_add_u32 s14, s14, 1
	s_addc_u32 s15, s15, 0
	s_and_not1_b32 s0, s22, exec_lo
	s_waitcnt vmcnt(1)
	v_lshlrev_b32_e32 v61, 16, v61
	s_waitcnt vmcnt(0)
	v_lshlrev_b32_e32 v62, 16, v62
	s_delay_alu instid0(VALU_DEP_1) | instskip(SKIP_1) | instid1(SALU_CYCLE_1)
	v_cmp_neq_f32_e32 vcc_lo, v62, v61
	s_and_b32 s22, vcc_lo, exec_lo
	s_or_b32 s22, s0, s22
.LBB1171_647:                           ;   in Loop: Header=BB1171_648 Depth=1
	v_dual_mov_b32 v62, s15 :: v_dual_mov_b32 v61, s14
	s_and_b32 s0, exec_lo, s22
	s_delay_alu instid0(SALU_CYCLE_1) | instskip(NEXT) | instid1(SALU_CYCLE_1)
	s_or_b32 s21, s0, s21
	s_and_not1_b32 exec_lo, exec_lo, s21
	s_cbranch_execz .LBB1171_651
.LBB1171_648:                           ; =>This Inner Loop Header: Depth=1
	s_or_b32 s22, s22, exec_lo
	s_cmp_eq_u64 s[12:13], s[14:15]
	s_cbranch_scc0 .LBB1171_646
; %bb.649:                              ;   in Loop: Header=BB1171_648 Depth=1
	s_mov_b64 s[14:15], s[8:9]
                                        ; implicit-def: $vgpr57_vgpr58
                                        ; implicit-def: $vgpr59_vgpr60
	s_branch .LBB1171_647
.LBB1171_650:
	s_mov_b32 s0, 0
	s_branch .LBB1171_653
.LBB1171_651:
	s_set_inst_prefetch_distance 0x2
	s_or_b32 exec_lo, exec_lo, s21
	v_cmp_gt_i64_e32 vcc_lo, s[8:9], v[61:62]
	s_or_not1_b32 s0, vcc_lo, exec_lo
.LBB1171_652:
	s_or_b32 exec_lo, exec_lo, s20
.LBB1171_653:
	s_delay_alu instid0(SALU_CYCLE_1)
	s_and_b32 s0, s0, exec_lo
	s_or_b32 s1, s1, exec_lo
.LBB1171_654:
	s_or_b32 exec_lo, exec_lo, s3
	v_dual_mov_b32 v182, v166 :: v_dual_mov_b32 v181, v165
	v_dual_mov_b32 v168, v164 :: v_dual_mov_b32 v167, v163
	;; [unrolled: 1-line block ×27, first 2 shown]
	s_branch .LBB1171_1243
.LBB1171_655:
	s_cmp_lg_u64 s[18:19], 1
	s_cbranch_scc0 .LBB1171_663
; %bb.656:
	v_mul_lo_u32 v59, v8, s8
	v_mul_lo_u32 v60, v7, s9
	s_waitcnt lgkmcnt(0)
	v_mad_u64_u32 v[57:58], null, v7, s8, 0
	v_mov_b32_e32 v113, 0
	v_mov_b32_e32 v114, 0
	v_cmp_lt_i64_e64 s0, s[8:9], 1
	v_cmp_gt_i64_e64 s3, s[8:9], 0
	s_delay_alu instid0(VALU_DEP_4) | instskip(SKIP_4) | instid1(VALU_DEP_1)
	v_mov_b32_e32 v111, v113
	ds_store_b64 v195, v[109:110]
	v_mov_b32_e32 v112, v114
	v_add3_u32 v58, v58, v60, v59
	s_and_b32 vcc_lo, exec_lo, s0
	v_lshlrev_b64 v[57:58], 1, v[57:58]
	s_cbranch_vccnz .LBB1171_666
; %bb.657:
	v_mul_lo_u32 v61, v110, s8
	v_mul_lo_u32 v62, v109, s9
	v_mad_u64_u32 v[59:60], null, v109, s8, 0
	s_mov_b32 s18, exec_lo
	v_mov_b32_e32 v111, 1
	v_mov_b32_e32 v112, 0
	s_delay_alu instid0(VALU_DEP_3) | instskip(NEXT) | instid1(VALU_DEP_1)
	v_add3_u32 v60, v60, v62, v61
	v_lshlrev_b64 v[59:60], 1, v[59:60]
	s_delay_alu instid0(VALU_DEP_1) | instskip(NEXT) | instid1(VALU_DEP_2)
	v_add_co_u32 v61, vcc_lo, s10, v59
	v_add_co_ci_u32_e32 v62, vcc_lo, s11, v60, vcc_lo
	v_add_co_u32 v59, vcc_lo, s10, v57
	v_add_co_ci_u32_e32 v60, vcc_lo, s11, v58, vcc_lo
	s_clause 0x1
	global_load_u16 v63, v[61:62], off
	global_load_u16 v64, v[59:60], off
	s_waitcnt vmcnt(1)
	v_lshlrev_b32_e32 v63, 16, v63
	s_waitcnt vmcnt(0)
	v_lshlrev_b32_e32 v64, 16, v64
	s_delay_alu instid0(VALU_DEP_1)
	v_cmpx_eq_f32_e32 v63, v64
	s_cbranch_execz .LBB1171_665
; %bb.658:
	v_add_co_u32 v59, vcc_lo, v59, 2
	v_add_co_ci_u32_e32 v60, vcc_lo, 0, v60, vcc_lo
	v_add_co_u32 v61, vcc_lo, v61, 2
	v_add_co_ci_u32_e32 v62, vcc_lo, 0, v62, vcc_lo
	s_add_u32 s12, s8, -1
	s_addc_u32 s13, s9, -1
	s_mov_b64 s[14:15], 0
	s_mov_b32 s19, 0
                                        ; implicit-def: $sgpr20
	s_set_inst_prefetch_distance 0x1
	s_branch .LBB1171_661
	.p2align	6
.LBB1171_659:                           ;   in Loop: Header=BB1171_661 Depth=1
	global_load_u16 v63, v[59:60], off
	global_load_u16 v64, v[61:62], off
	v_add_co_u32 v59, vcc_lo, v59, 2
	v_add_co_ci_u32_e32 v60, vcc_lo, 0, v60, vcc_lo
	v_add_co_u32 v61, s0, v61, 2
	s_delay_alu instid0(VALU_DEP_1)
	v_add_co_ci_u32_e64 v62, s0, 0, v62, s0
	s_add_u32 s14, s14, 1
	s_addc_u32 s15, s15, 0
	s_and_not1_b32 s0, s20, exec_lo
	s_waitcnt vmcnt(1)
	v_lshlrev_b32_e32 v63, 16, v63
	s_waitcnt vmcnt(0)
	v_lshlrev_b32_e32 v64, 16, v64
	s_delay_alu instid0(VALU_DEP_1) | instskip(SKIP_1) | instid1(SALU_CYCLE_1)
	v_cmp_neq_f32_e32 vcc_lo, v64, v63
	s_and_b32 s20, vcc_lo, exec_lo
	s_or_b32 s20, s0, s20
.LBB1171_660:                           ;   in Loop: Header=BB1171_661 Depth=1
	v_dual_mov_b32 v64, s15 :: v_dual_mov_b32 v63, s14
	s_and_b32 s0, exec_lo, s20
	s_delay_alu instid0(SALU_CYCLE_1) | instskip(NEXT) | instid1(SALU_CYCLE_1)
	s_or_b32 s19, s0, s19
	s_and_not1_b32 exec_lo, exec_lo, s19
	s_cbranch_execz .LBB1171_664
.LBB1171_661:                           ; =>This Inner Loop Header: Depth=1
	s_or_b32 s20, s20, exec_lo
	s_cmp_eq_u64 s[12:13], s[14:15]
	s_cbranch_scc0 .LBB1171_659
; %bb.662:                              ;   in Loop: Header=BB1171_661 Depth=1
	s_mov_b64 s[14:15], s[8:9]
                                        ; implicit-def: $vgpr59_vgpr60
                                        ; implicit-def: $vgpr61_vgpr62
	s_branch .LBB1171_660
.LBB1171_663:
                                        ; implicit-def: $sgpr0
                                        ; implicit-def: $vgpr165_vgpr166
                                        ; implicit-def: $vgpr163_vgpr164
                                        ; implicit-def: $vgpr161_vgpr162
                                        ; implicit-def: $vgpr159_vgpr160
                                        ; implicit-def: $vgpr157_vgpr158
                                        ; implicit-def: $vgpr155_vgpr156
                                        ; implicit-def: $vgpr153_vgpr154
                                        ; implicit-def: $vgpr151_vgpr152
                                        ; implicit-def: $vgpr149_vgpr150
                                        ; implicit-def: $vgpr147_vgpr148
                                        ; implicit-def: $vgpr145_vgpr146
                                        ; implicit-def: $vgpr143_vgpr144
                                        ; implicit-def: $vgpr141_vgpr142
                                        ; implicit-def: $vgpr139_vgpr140
                                        ; implicit-def: $vgpr137_vgpr138
                                        ; implicit-def: $vgpr135_vgpr136
                                        ; implicit-def: $vgpr133_vgpr134
                                        ; implicit-def: $vgpr131_vgpr132
                                        ; implicit-def: $vgpr129_vgpr130
                                        ; implicit-def: $vgpr127_vgpr128
                                        ; implicit-def: $vgpr125_vgpr126
                                        ; implicit-def: $vgpr123_vgpr124
                                        ; implicit-def: $vgpr121_vgpr122
                                        ; implicit-def: $vgpr119_vgpr120
                                        ; implicit-def: $vgpr117_vgpr118
                                        ; implicit-def: $vgpr113_vgpr114
                                        ; implicit-def: $vgpr115_vgpr116
                                        ; implicit-def: $vgpr111_vgpr112
                                        ; implicit-def: $vgpr181_vgpr182
                                        ; implicit-def: $vgpr167_vgpr168
                                        ; implicit-def: $vgpr169_vgpr170
                                        ; implicit-def: $vgpr171_vgpr172
                                        ; implicit-def: $vgpr173_vgpr174
                                        ; implicit-def: $vgpr175_vgpr176
                                        ; implicit-def: $vgpr177_vgpr178
                                        ; implicit-def: $vgpr179_vgpr180
                                        ; implicit-def: $vgpr183_vgpr184
                                        ; implicit-def: $vgpr185_vgpr186
                                        ; implicit-def: $vgpr187_vgpr188
                                        ; implicit-def: $vgpr189_vgpr190
                                        ; implicit-def: $vgpr191_vgpr192
                                        ; implicit-def: $vgpr193_vgpr194
                                        ; implicit-def: $vgpr57_vgpr58_vgpr59_vgpr60
                                        ; implicit-def: $vgpr61_vgpr62_vgpr63_vgpr64
                                        ; implicit-def: $vgpr65_vgpr66_vgpr67_vgpr68
                                        ; implicit-def: $vgpr69_vgpr70_vgpr71_vgpr72
                                        ; implicit-def: $vgpr73_vgpr74_vgpr75_vgpr76
                                        ; implicit-def: $vgpr77_vgpr78_vgpr79_vgpr80
                                        ; implicit-def: $vgpr81_vgpr82_vgpr83_vgpr84
                                        ; implicit-def: $vgpr85_vgpr86_vgpr87_vgpr88
                                        ; implicit-def: $vgpr89_vgpr90_vgpr91_vgpr92
                                        ; implicit-def: $vgpr93_vgpr94_vgpr95_vgpr96
                                        ; implicit-def: $vgpr97_vgpr98_vgpr99_vgpr100
                                        ; implicit-def: $vgpr101_vgpr102_vgpr103_vgpr104
                                        ; implicit-def: $vgpr105_vgpr106_vgpr107_vgpr108
	s_cbranch_execnz .LBB1171_923
	s_branch .LBB1171_1243
.LBB1171_664:
	s_set_inst_prefetch_distance 0x2
	s_or_b32 exec_lo, exec_lo, s19
	v_cmp_gt_i64_e32 vcc_lo, s[8:9], v[63:64]
	s_mov_b32 s0, 0
	s_delay_alu instid0(SALU_CYCLE_1)
	v_mov_b32_e32 v112, s0
	v_cndmask_b32_e64 v111, 0, 1, vcc_lo
.LBB1171_665:
	s_or_b32 exec_lo, exec_lo, s18
.LBB1171_666:
	v_mul_lo_u32 v61, v6, s8
	v_mul_lo_u32 v62, v5, s9
	v_mad_u64_u32 v[59:60], null, v5, s8, 0
	v_cndmask_b32_e64 v65, 0, 1, s3
	v_dual_mov_b32 v116, v114 :: v_dual_mov_b32 v115, v113
	s_and_not1_b32 vcc_lo, exec_lo, s3
	s_delay_alu instid0(VALU_DEP_3) | instskip(NEXT) | instid1(VALU_DEP_1)
	v_add3_u32 v60, v60, v62, v61
	v_lshlrev_b64 v[59:60], 1, v[59:60]
	s_cbranch_vccnz .LBB1171_675
; %bb.667:
	s_delay_alu instid0(VALU_DEP_1) | instskip(NEXT) | instid1(VALU_DEP_2)
	v_add_co_u32 v63, vcc_lo, s10, v59
	v_add_co_ci_u32_e32 v64, vcc_lo, s11, v60, vcc_lo
	v_add_co_u32 v61, vcc_lo, s10, v57
	v_add_co_ci_u32_e32 v62, vcc_lo, s11, v58, vcc_lo
	s_mov_b32 s3, exec_lo
	s_clause 0x1
	global_load_u16 v57, v[63:64], off
	global_load_u16 v58, v[61:62], off
	v_mov_b32_e32 v115, 1
	s_waitcnt vmcnt(1)
	v_dual_mov_b32 v116, 0 :: v_dual_lshlrev_b32 v57, 16, v57
	s_waitcnt vmcnt(0)
	v_lshlrev_b32_e32 v58, 16, v58
	s_delay_alu instid0(VALU_DEP_1)
	v_cmpx_eq_f32_e32 v58, v57
	s_cbranch_execz .LBB1171_674
; %bb.668:
	v_add_co_u32 v57, vcc_lo, v63, 2
	v_add_co_ci_u32_e32 v58, vcc_lo, 0, v64, vcc_lo
	v_add_co_u32 v61, vcc_lo, v61, 2
	v_add_co_ci_u32_e32 v62, vcc_lo, 0, v62, vcc_lo
	s_add_u32 s12, s8, -1
	s_addc_u32 s13, s9, -1
	s_mov_b64 s[14:15], 0
	s_mov_b32 s18, 0
                                        ; implicit-def: $sgpr19
	s_set_inst_prefetch_distance 0x1
	s_branch .LBB1171_671
	.p2align	6
.LBB1171_669:                           ;   in Loop: Header=BB1171_671 Depth=1
	global_load_u16 v63, v[57:58], off
	global_load_u16 v64, v[61:62], off
	v_add_co_u32 v57, vcc_lo, v57, 2
	v_add_co_ci_u32_e32 v58, vcc_lo, 0, v58, vcc_lo
	v_add_co_u32 v61, s0, v61, 2
	s_delay_alu instid0(VALU_DEP_1)
	v_add_co_ci_u32_e64 v62, s0, 0, v62, s0
	s_add_u32 s14, s14, 1
	s_addc_u32 s15, s15, 0
	s_and_not1_b32 s0, s19, exec_lo
	s_waitcnt vmcnt(1)
	v_lshlrev_b32_e32 v63, 16, v63
	s_waitcnt vmcnt(0)
	v_lshlrev_b32_e32 v64, 16, v64
	s_delay_alu instid0(VALU_DEP_1) | instskip(SKIP_1) | instid1(SALU_CYCLE_1)
	v_cmp_neq_f32_e32 vcc_lo, v64, v63
	s_and_b32 s19, vcc_lo, exec_lo
	s_or_b32 s19, s0, s19
.LBB1171_670:                           ;   in Loop: Header=BB1171_671 Depth=1
	v_dual_mov_b32 v64, s15 :: v_dual_mov_b32 v63, s14
	s_and_b32 s0, exec_lo, s19
	s_delay_alu instid0(SALU_CYCLE_1) | instskip(NEXT) | instid1(SALU_CYCLE_1)
	s_or_b32 s18, s0, s18
	s_and_not1_b32 exec_lo, exec_lo, s18
	s_cbranch_execz .LBB1171_673
.LBB1171_671:                           ; =>This Inner Loop Header: Depth=1
	s_or_b32 s19, s19, exec_lo
	s_cmp_eq_u64 s[12:13], s[14:15]
	s_cbranch_scc0 .LBB1171_669
; %bb.672:                              ;   in Loop: Header=BB1171_671 Depth=1
	s_mov_b64 s[14:15], s[8:9]
                                        ; implicit-def: $vgpr57_vgpr58
                                        ; implicit-def: $vgpr61_vgpr62
	s_branch .LBB1171_670
.LBB1171_673:
	s_set_inst_prefetch_distance 0x2
	s_or_b32 exec_lo, exec_lo, s18
	v_cmp_gt_i64_e32 vcc_lo, s[8:9], v[63:64]
	s_mov_b32 s0, 0
	s_delay_alu instid0(SALU_CYCLE_1)
	v_mov_b32_e32 v116, s0
	v_cndmask_b32_e64 v115, 0, 1, vcc_lo
.LBB1171_674:
	s_or_b32 exec_lo, exec_lo, s3
.LBB1171_675:
	v_mul_lo_u32 v61, v12, s8
	v_mul_lo_u32 v62, v11, s9
	v_mad_u64_u32 v[57:58], null, v11, s8, 0
	v_cmp_ne_u32_e32 vcc_lo, 1, v65
	s_delay_alu instid0(VALU_DEP_2) | instskip(NEXT) | instid1(VALU_DEP_1)
	v_add3_u32 v58, v58, v62, v61
	v_lshlrev_b64 v[57:58], 1, v[57:58]
	s_cbranch_vccnz .LBB1171_684
; %bb.676:
	s_delay_alu instid0(VALU_DEP_1) | instskip(NEXT) | instid1(VALU_DEP_2)
	v_add_co_u32 v63, vcc_lo, s10, v57
	v_add_co_ci_u32_e32 v64, vcc_lo, s11, v58, vcc_lo
	v_add_co_u32 v61, vcc_lo, s10, v59
	v_add_co_ci_u32_e32 v62, vcc_lo, s11, v60, vcc_lo
	s_mov_b32 s3, exec_lo
	s_clause 0x1
	global_load_u16 v59, v[63:64], off
	global_load_u16 v60, v[61:62], off
	v_mov_b32_e32 v113, 1
	s_waitcnt vmcnt(1)
	v_dual_mov_b32 v114, 0 :: v_dual_lshlrev_b32 v59, 16, v59
	s_waitcnt vmcnt(0)
	v_lshlrev_b32_e32 v60, 16, v60
	s_delay_alu instid0(VALU_DEP_1)
	v_cmpx_eq_f32_e32 v60, v59
	s_cbranch_execz .LBB1171_683
; %bb.677:
	v_add_co_u32 v59, vcc_lo, v63, 2
	v_add_co_ci_u32_e32 v60, vcc_lo, 0, v64, vcc_lo
	v_add_co_u32 v61, vcc_lo, v61, 2
	v_add_co_ci_u32_e32 v62, vcc_lo, 0, v62, vcc_lo
	s_add_u32 s12, s8, -1
	s_addc_u32 s13, s9, -1
	s_mov_b64 s[14:15], 0
	s_mov_b32 s18, 0
                                        ; implicit-def: $sgpr19
	s_set_inst_prefetch_distance 0x1
	s_branch .LBB1171_680
	.p2align	6
.LBB1171_678:                           ;   in Loop: Header=BB1171_680 Depth=1
	global_load_u16 v63, v[59:60], off
	global_load_u16 v64, v[61:62], off
	v_add_co_u32 v59, vcc_lo, v59, 2
	v_add_co_ci_u32_e32 v60, vcc_lo, 0, v60, vcc_lo
	v_add_co_u32 v61, s0, v61, 2
	s_delay_alu instid0(VALU_DEP_1)
	v_add_co_ci_u32_e64 v62, s0, 0, v62, s0
	s_add_u32 s14, s14, 1
	s_addc_u32 s15, s15, 0
	s_and_not1_b32 s0, s19, exec_lo
	s_waitcnt vmcnt(1)
	v_lshlrev_b32_e32 v63, 16, v63
	s_waitcnt vmcnt(0)
	v_lshlrev_b32_e32 v64, 16, v64
	s_delay_alu instid0(VALU_DEP_1) | instskip(SKIP_1) | instid1(SALU_CYCLE_1)
	v_cmp_neq_f32_e32 vcc_lo, v64, v63
	s_and_b32 s19, vcc_lo, exec_lo
	s_or_b32 s19, s0, s19
.LBB1171_679:                           ;   in Loop: Header=BB1171_680 Depth=1
	v_dual_mov_b32 v64, s15 :: v_dual_mov_b32 v63, s14
	s_and_b32 s0, exec_lo, s19
	s_delay_alu instid0(SALU_CYCLE_1) | instskip(NEXT) | instid1(SALU_CYCLE_1)
	s_or_b32 s18, s0, s18
	s_and_not1_b32 exec_lo, exec_lo, s18
	s_cbranch_execz .LBB1171_682
.LBB1171_680:                           ; =>This Inner Loop Header: Depth=1
	s_or_b32 s19, s19, exec_lo
	s_cmp_eq_u64 s[12:13], s[14:15]
	s_cbranch_scc0 .LBB1171_678
; %bb.681:                              ;   in Loop: Header=BB1171_680 Depth=1
	s_mov_b64 s[14:15], s[8:9]
                                        ; implicit-def: $vgpr59_vgpr60
                                        ; implicit-def: $vgpr61_vgpr62
	s_branch .LBB1171_679
.LBB1171_682:
	s_set_inst_prefetch_distance 0x2
	s_or_b32 exec_lo, exec_lo, s18
	v_cmp_gt_i64_e32 vcc_lo, s[8:9], v[63:64]
	s_mov_b32 s0, 0
	s_delay_alu instid0(SALU_CYCLE_1)
	v_mov_b32_e32 v114, s0
	v_cndmask_b32_e64 v113, 0, 1, vcc_lo
.LBB1171_683:
	s_or_b32 exec_lo, exec_lo, s3
.LBB1171_684:
	v_mul_lo_u32 v61, v10, s8
	v_mul_lo_u32 v62, v9, s9
	v_mad_u64_u32 v[59:60], null, v9, s8, 0
	v_mov_b32_e32 v119, 0
	v_mov_b32_e32 v120, 0
	v_cmp_ne_u32_e32 vcc_lo, 1, v65
	s_delay_alu instid0(VALU_DEP_2) | instskip(SKIP_1) | instid1(VALU_DEP_1)
	v_dual_mov_b32 v117, v119 :: v_dual_mov_b32 v118, v120
	v_add3_u32 v60, v60, v62, v61
	v_lshlrev_b64 v[59:60], 1, v[59:60]
	s_cbranch_vccnz .LBB1171_693
; %bb.685:
	s_delay_alu instid0(VALU_DEP_1) | instskip(NEXT) | instid1(VALU_DEP_2)
	v_add_co_u32 v63, vcc_lo, s10, v59
	v_add_co_ci_u32_e32 v64, vcc_lo, s11, v60, vcc_lo
	v_add_co_u32 v61, vcc_lo, s10, v57
	v_add_co_ci_u32_e32 v62, vcc_lo, s11, v58, vcc_lo
	s_mov_b32 s3, exec_lo
	s_clause 0x1
	global_load_u16 v57, v[63:64], off
	global_load_u16 v58, v[61:62], off
	v_mov_b32_e32 v117, 1
	s_waitcnt vmcnt(1)
	v_dual_mov_b32 v118, 0 :: v_dual_lshlrev_b32 v57, 16, v57
	s_waitcnt vmcnt(0)
	v_lshlrev_b32_e32 v58, 16, v58
	s_delay_alu instid0(VALU_DEP_1)
	v_cmpx_eq_f32_e32 v58, v57
	s_cbranch_execz .LBB1171_692
; %bb.686:
	v_add_co_u32 v57, vcc_lo, v63, 2
	v_add_co_ci_u32_e32 v58, vcc_lo, 0, v64, vcc_lo
	v_add_co_u32 v61, vcc_lo, v61, 2
	v_add_co_ci_u32_e32 v62, vcc_lo, 0, v62, vcc_lo
	s_add_u32 s12, s8, -1
	s_addc_u32 s13, s9, -1
	s_mov_b64 s[14:15], 0
	s_mov_b32 s18, 0
                                        ; implicit-def: $sgpr19
	s_set_inst_prefetch_distance 0x1
	s_branch .LBB1171_689
	.p2align	6
.LBB1171_687:                           ;   in Loop: Header=BB1171_689 Depth=1
	global_load_u16 v63, v[57:58], off
	global_load_u16 v64, v[61:62], off
	v_add_co_u32 v57, vcc_lo, v57, 2
	v_add_co_ci_u32_e32 v58, vcc_lo, 0, v58, vcc_lo
	v_add_co_u32 v61, s0, v61, 2
	s_delay_alu instid0(VALU_DEP_1)
	v_add_co_ci_u32_e64 v62, s0, 0, v62, s0
	s_add_u32 s14, s14, 1
	s_addc_u32 s15, s15, 0
	s_and_not1_b32 s0, s19, exec_lo
	s_waitcnt vmcnt(1)
	v_lshlrev_b32_e32 v63, 16, v63
	s_waitcnt vmcnt(0)
	v_lshlrev_b32_e32 v64, 16, v64
	s_delay_alu instid0(VALU_DEP_1) | instskip(SKIP_1) | instid1(SALU_CYCLE_1)
	v_cmp_neq_f32_e32 vcc_lo, v64, v63
	s_and_b32 s19, vcc_lo, exec_lo
	s_or_b32 s19, s0, s19
.LBB1171_688:                           ;   in Loop: Header=BB1171_689 Depth=1
	v_dual_mov_b32 v64, s15 :: v_dual_mov_b32 v63, s14
	s_and_b32 s0, exec_lo, s19
	s_delay_alu instid0(SALU_CYCLE_1) | instskip(NEXT) | instid1(SALU_CYCLE_1)
	s_or_b32 s18, s0, s18
	s_and_not1_b32 exec_lo, exec_lo, s18
	s_cbranch_execz .LBB1171_691
.LBB1171_689:                           ; =>This Inner Loop Header: Depth=1
	s_or_b32 s19, s19, exec_lo
	s_cmp_eq_u64 s[12:13], s[14:15]
	s_cbranch_scc0 .LBB1171_687
; %bb.690:                              ;   in Loop: Header=BB1171_689 Depth=1
	s_mov_b64 s[14:15], s[8:9]
                                        ; implicit-def: $vgpr57_vgpr58
                                        ; implicit-def: $vgpr61_vgpr62
	s_branch .LBB1171_688
.LBB1171_691:
	s_set_inst_prefetch_distance 0x2
	s_or_b32 exec_lo, exec_lo, s18
	v_cmp_gt_i64_e32 vcc_lo, s[8:9], v[63:64]
	s_mov_b32 s0, 0
	s_delay_alu instid0(SALU_CYCLE_1)
	v_mov_b32_e32 v118, s0
	v_cndmask_b32_e64 v117, 0, 1, vcc_lo
.LBB1171_692:
	s_or_b32 exec_lo, exec_lo, s3
.LBB1171_693:
	v_mul_lo_u32 v61, v56, s8
	v_mul_lo_u32 v62, v55, s9
	v_mad_u64_u32 v[57:58], null, v55, s8, 0
	v_cmp_ne_u32_e32 vcc_lo, 1, v65
	s_delay_alu instid0(VALU_DEP_2) | instskip(NEXT) | instid1(VALU_DEP_1)
	v_add3_u32 v58, v58, v62, v61
	v_lshlrev_b64 v[57:58], 1, v[57:58]
	s_cbranch_vccnz .LBB1171_702
; %bb.694:
	s_delay_alu instid0(VALU_DEP_1) | instskip(NEXT) | instid1(VALU_DEP_2)
	v_add_co_u32 v63, vcc_lo, s10, v57
	v_add_co_ci_u32_e32 v64, vcc_lo, s11, v58, vcc_lo
	v_add_co_u32 v61, vcc_lo, s10, v59
	v_add_co_ci_u32_e32 v62, vcc_lo, s11, v60, vcc_lo
	s_mov_b32 s3, exec_lo
	s_clause 0x1
	global_load_u16 v59, v[63:64], off
	global_load_u16 v60, v[61:62], off
	v_mov_b32_e32 v119, 1
	s_waitcnt vmcnt(1)
	v_dual_mov_b32 v120, 0 :: v_dual_lshlrev_b32 v59, 16, v59
	s_waitcnt vmcnt(0)
	v_lshlrev_b32_e32 v60, 16, v60
	s_delay_alu instid0(VALU_DEP_1)
	v_cmpx_eq_f32_e32 v60, v59
	s_cbranch_execz .LBB1171_701
; %bb.695:
	v_add_co_u32 v59, vcc_lo, v63, 2
	v_add_co_ci_u32_e32 v60, vcc_lo, 0, v64, vcc_lo
	v_add_co_u32 v61, vcc_lo, v61, 2
	v_add_co_ci_u32_e32 v62, vcc_lo, 0, v62, vcc_lo
	s_add_u32 s12, s8, -1
	s_addc_u32 s13, s9, -1
	s_mov_b64 s[14:15], 0
	s_mov_b32 s18, 0
                                        ; implicit-def: $sgpr19
	s_set_inst_prefetch_distance 0x1
	s_branch .LBB1171_698
	.p2align	6
.LBB1171_696:                           ;   in Loop: Header=BB1171_698 Depth=1
	global_load_u16 v63, v[59:60], off
	global_load_u16 v64, v[61:62], off
	v_add_co_u32 v59, vcc_lo, v59, 2
	v_add_co_ci_u32_e32 v60, vcc_lo, 0, v60, vcc_lo
	v_add_co_u32 v61, s0, v61, 2
	s_delay_alu instid0(VALU_DEP_1)
	v_add_co_ci_u32_e64 v62, s0, 0, v62, s0
	s_add_u32 s14, s14, 1
	s_addc_u32 s15, s15, 0
	s_and_not1_b32 s0, s19, exec_lo
	s_waitcnt vmcnt(1)
	v_lshlrev_b32_e32 v63, 16, v63
	s_waitcnt vmcnt(0)
	v_lshlrev_b32_e32 v64, 16, v64
	s_delay_alu instid0(VALU_DEP_1) | instskip(SKIP_1) | instid1(SALU_CYCLE_1)
	v_cmp_neq_f32_e32 vcc_lo, v64, v63
	s_and_b32 s19, vcc_lo, exec_lo
	s_or_b32 s19, s0, s19
.LBB1171_697:                           ;   in Loop: Header=BB1171_698 Depth=1
	v_dual_mov_b32 v64, s15 :: v_dual_mov_b32 v63, s14
	s_and_b32 s0, exec_lo, s19
	s_delay_alu instid0(SALU_CYCLE_1) | instskip(NEXT) | instid1(SALU_CYCLE_1)
	s_or_b32 s18, s0, s18
	s_and_not1_b32 exec_lo, exec_lo, s18
	s_cbranch_execz .LBB1171_700
.LBB1171_698:                           ; =>This Inner Loop Header: Depth=1
	s_or_b32 s19, s19, exec_lo
	s_cmp_eq_u64 s[12:13], s[14:15]
	s_cbranch_scc0 .LBB1171_696
; %bb.699:                              ;   in Loop: Header=BB1171_698 Depth=1
	s_mov_b64 s[14:15], s[8:9]
                                        ; implicit-def: $vgpr59_vgpr60
                                        ; implicit-def: $vgpr61_vgpr62
	s_branch .LBB1171_697
.LBB1171_700:
	s_set_inst_prefetch_distance 0x2
	s_or_b32 exec_lo, exec_lo, s18
	v_cmp_gt_i64_e32 vcc_lo, s[8:9], v[63:64]
	s_mov_b32 s0, 0
	s_delay_alu instid0(SALU_CYCLE_1)
	v_mov_b32_e32 v120, s0
	v_cndmask_b32_e64 v119, 0, 1, vcc_lo
.LBB1171_701:
	s_or_b32 exec_lo, exec_lo, s3
.LBB1171_702:
	v_mul_lo_u32 v61, v54, s8
	v_mul_lo_u32 v62, v53, s9
	v_mad_u64_u32 v[59:60], null, v53, s8, 0
	v_mov_b32_e32 v123, 0
	v_mov_b32_e32 v124, 0
	v_cmp_ne_u32_e32 vcc_lo, 1, v65
	s_delay_alu instid0(VALU_DEP_2) | instskip(SKIP_1) | instid1(VALU_DEP_1)
	v_dual_mov_b32 v121, v123 :: v_dual_mov_b32 v122, v124
	v_add3_u32 v60, v60, v62, v61
	v_lshlrev_b64 v[59:60], 1, v[59:60]
	s_cbranch_vccnz .LBB1171_711
; %bb.703:
	s_delay_alu instid0(VALU_DEP_1) | instskip(NEXT) | instid1(VALU_DEP_2)
	v_add_co_u32 v63, vcc_lo, s10, v59
	v_add_co_ci_u32_e32 v64, vcc_lo, s11, v60, vcc_lo
	v_add_co_u32 v61, vcc_lo, s10, v57
	v_add_co_ci_u32_e32 v62, vcc_lo, s11, v58, vcc_lo
	s_mov_b32 s3, exec_lo
	s_clause 0x1
	global_load_u16 v57, v[63:64], off
	global_load_u16 v58, v[61:62], off
	v_mov_b32_e32 v121, 1
	s_waitcnt vmcnt(1)
	v_dual_mov_b32 v122, 0 :: v_dual_lshlrev_b32 v57, 16, v57
	s_waitcnt vmcnt(0)
	v_lshlrev_b32_e32 v58, 16, v58
	s_delay_alu instid0(VALU_DEP_1)
	v_cmpx_eq_f32_e32 v58, v57
	s_cbranch_execz .LBB1171_710
; %bb.704:
	v_add_co_u32 v57, vcc_lo, v63, 2
	v_add_co_ci_u32_e32 v58, vcc_lo, 0, v64, vcc_lo
	v_add_co_u32 v61, vcc_lo, v61, 2
	v_add_co_ci_u32_e32 v62, vcc_lo, 0, v62, vcc_lo
	s_add_u32 s12, s8, -1
	s_addc_u32 s13, s9, -1
	s_mov_b64 s[14:15], 0
	s_mov_b32 s18, 0
                                        ; implicit-def: $sgpr19
	s_set_inst_prefetch_distance 0x1
	s_branch .LBB1171_707
	.p2align	6
.LBB1171_705:                           ;   in Loop: Header=BB1171_707 Depth=1
	global_load_u16 v63, v[57:58], off
	global_load_u16 v64, v[61:62], off
	v_add_co_u32 v57, vcc_lo, v57, 2
	v_add_co_ci_u32_e32 v58, vcc_lo, 0, v58, vcc_lo
	v_add_co_u32 v61, s0, v61, 2
	s_delay_alu instid0(VALU_DEP_1)
	v_add_co_ci_u32_e64 v62, s0, 0, v62, s0
	s_add_u32 s14, s14, 1
	s_addc_u32 s15, s15, 0
	s_and_not1_b32 s0, s19, exec_lo
	s_waitcnt vmcnt(1)
	v_lshlrev_b32_e32 v63, 16, v63
	s_waitcnt vmcnt(0)
	v_lshlrev_b32_e32 v64, 16, v64
	s_delay_alu instid0(VALU_DEP_1) | instskip(SKIP_1) | instid1(SALU_CYCLE_1)
	v_cmp_neq_f32_e32 vcc_lo, v64, v63
	s_and_b32 s19, vcc_lo, exec_lo
	s_or_b32 s19, s0, s19
.LBB1171_706:                           ;   in Loop: Header=BB1171_707 Depth=1
	v_dual_mov_b32 v64, s15 :: v_dual_mov_b32 v63, s14
	s_and_b32 s0, exec_lo, s19
	s_delay_alu instid0(SALU_CYCLE_1) | instskip(NEXT) | instid1(SALU_CYCLE_1)
	s_or_b32 s18, s0, s18
	s_and_not1_b32 exec_lo, exec_lo, s18
	s_cbranch_execz .LBB1171_709
.LBB1171_707:                           ; =>This Inner Loop Header: Depth=1
	s_or_b32 s19, s19, exec_lo
	s_cmp_eq_u64 s[12:13], s[14:15]
	s_cbranch_scc0 .LBB1171_705
; %bb.708:                              ;   in Loop: Header=BB1171_707 Depth=1
	s_mov_b64 s[14:15], s[8:9]
                                        ; implicit-def: $vgpr57_vgpr58
                                        ; implicit-def: $vgpr61_vgpr62
	s_branch .LBB1171_706
.LBB1171_709:
	s_set_inst_prefetch_distance 0x2
	s_or_b32 exec_lo, exec_lo, s18
	v_cmp_gt_i64_e32 vcc_lo, s[8:9], v[63:64]
	s_mov_b32 s0, 0
	s_delay_alu instid0(SALU_CYCLE_1)
	v_mov_b32_e32 v122, s0
	v_cndmask_b32_e64 v121, 0, 1, vcc_lo
.LBB1171_710:
	s_or_b32 exec_lo, exec_lo, s3
.LBB1171_711:
	v_mul_lo_u32 v61, v52, s8
	v_mul_lo_u32 v62, v51, s9
	v_mad_u64_u32 v[57:58], null, v51, s8, 0
	v_cmp_ne_u32_e32 vcc_lo, 1, v65
	s_delay_alu instid0(VALU_DEP_2) | instskip(NEXT) | instid1(VALU_DEP_1)
	v_add3_u32 v58, v58, v62, v61
	v_lshlrev_b64 v[57:58], 1, v[57:58]
	s_cbranch_vccnz .LBB1171_720
; %bb.712:
	s_delay_alu instid0(VALU_DEP_1) | instskip(NEXT) | instid1(VALU_DEP_2)
	v_add_co_u32 v63, vcc_lo, s10, v57
	v_add_co_ci_u32_e32 v64, vcc_lo, s11, v58, vcc_lo
	v_add_co_u32 v61, vcc_lo, s10, v59
	v_add_co_ci_u32_e32 v62, vcc_lo, s11, v60, vcc_lo
	s_mov_b32 s3, exec_lo
	s_clause 0x1
	global_load_u16 v59, v[63:64], off
	global_load_u16 v60, v[61:62], off
	v_mov_b32_e32 v123, 1
	s_waitcnt vmcnt(1)
	v_dual_mov_b32 v124, 0 :: v_dual_lshlrev_b32 v59, 16, v59
	s_waitcnt vmcnt(0)
	v_lshlrev_b32_e32 v60, 16, v60
	s_delay_alu instid0(VALU_DEP_1)
	v_cmpx_eq_f32_e32 v60, v59
	s_cbranch_execz .LBB1171_719
; %bb.713:
	v_add_co_u32 v59, vcc_lo, v63, 2
	v_add_co_ci_u32_e32 v60, vcc_lo, 0, v64, vcc_lo
	v_add_co_u32 v61, vcc_lo, v61, 2
	v_add_co_ci_u32_e32 v62, vcc_lo, 0, v62, vcc_lo
	s_add_u32 s12, s8, -1
	s_addc_u32 s13, s9, -1
	s_mov_b64 s[14:15], 0
	s_mov_b32 s18, 0
                                        ; implicit-def: $sgpr19
	s_set_inst_prefetch_distance 0x1
	s_branch .LBB1171_716
	.p2align	6
.LBB1171_714:                           ;   in Loop: Header=BB1171_716 Depth=1
	global_load_u16 v63, v[59:60], off
	global_load_u16 v64, v[61:62], off
	v_add_co_u32 v59, vcc_lo, v59, 2
	v_add_co_ci_u32_e32 v60, vcc_lo, 0, v60, vcc_lo
	v_add_co_u32 v61, s0, v61, 2
	s_delay_alu instid0(VALU_DEP_1)
	v_add_co_ci_u32_e64 v62, s0, 0, v62, s0
	s_add_u32 s14, s14, 1
	s_addc_u32 s15, s15, 0
	s_and_not1_b32 s0, s19, exec_lo
	s_waitcnt vmcnt(1)
	v_lshlrev_b32_e32 v63, 16, v63
	s_waitcnt vmcnt(0)
	v_lshlrev_b32_e32 v64, 16, v64
	s_delay_alu instid0(VALU_DEP_1) | instskip(SKIP_1) | instid1(SALU_CYCLE_1)
	v_cmp_neq_f32_e32 vcc_lo, v64, v63
	s_and_b32 s19, vcc_lo, exec_lo
	s_or_b32 s19, s0, s19
.LBB1171_715:                           ;   in Loop: Header=BB1171_716 Depth=1
	v_dual_mov_b32 v64, s15 :: v_dual_mov_b32 v63, s14
	s_and_b32 s0, exec_lo, s19
	s_delay_alu instid0(SALU_CYCLE_1) | instskip(NEXT) | instid1(SALU_CYCLE_1)
	s_or_b32 s18, s0, s18
	s_and_not1_b32 exec_lo, exec_lo, s18
	s_cbranch_execz .LBB1171_718
.LBB1171_716:                           ; =>This Inner Loop Header: Depth=1
	s_or_b32 s19, s19, exec_lo
	s_cmp_eq_u64 s[12:13], s[14:15]
	s_cbranch_scc0 .LBB1171_714
; %bb.717:                              ;   in Loop: Header=BB1171_716 Depth=1
	s_mov_b64 s[14:15], s[8:9]
                                        ; implicit-def: $vgpr59_vgpr60
                                        ; implicit-def: $vgpr61_vgpr62
	s_branch .LBB1171_715
.LBB1171_718:
	s_set_inst_prefetch_distance 0x2
	s_or_b32 exec_lo, exec_lo, s18
	v_cmp_gt_i64_e32 vcc_lo, s[8:9], v[63:64]
	s_mov_b32 s0, 0
	s_delay_alu instid0(SALU_CYCLE_1)
	v_mov_b32_e32 v124, s0
	v_cndmask_b32_e64 v123, 0, 1, vcc_lo
.LBB1171_719:
	s_or_b32 exec_lo, exec_lo, s3
.LBB1171_720:
	v_mul_lo_u32 v61, v50, s8
	v_mul_lo_u32 v62, v49, s9
	v_mad_u64_u32 v[59:60], null, v49, s8, 0
	v_mov_b32_e32 v127, 0
	v_mov_b32_e32 v128, 0
	v_cmp_ne_u32_e32 vcc_lo, 1, v65
	s_delay_alu instid0(VALU_DEP_2) | instskip(SKIP_1) | instid1(VALU_DEP_1)
	v_dual_mov_b32 v125, v127 :: v_dual_mov_b32 v126, v128
	v_add3_u32 v60, v60, v62, v61
	v_lshlrev_b64 v[59:60], 1, v[59:60]
	s_cbranch_vccnz .LBB1171_729
; %bb.721:
	s_delay_alu instid0(VALU_DEP_1) | instskip(NEXT) | instid1(VALU_DEP_2)
	v_add_co_u32 v63, vcc_lo, s10, v59
	v_add_co_ci_u32_e32 v64, vcc_lo, s11, v60, vcc_lo
	v_add_co_u32 v61, vcc_lo, s10, v57
	v_add_co_ci_u32_e32 v62, vcc_lo, s11, v58, vcc_lo
	s_mov_b32 s3, exec_lo
	s_clause 0x1
	global_load_u16 v57, v[63:64], off
	global_load_u16 v58, v[61:62], off
	v_mov_b32_e32 v125, 1
	s_waitcnt vmcnt(1)
	v_dual_mov_b32 v126, 0 :: v_dual_lshlrev_b32 v57, 16, v57
	s_waitcnt vmcnt(0)
	v_lshlrev_b32_e32 v58, 16, v58
	s_delay_alu instid0(VALU_DEP_1)
	v_cmpx_eq_f32_e32 v58, v57
	s_cbranch_execz .LBB1171_728
; %bb.722:
	v_add_co_u32 v57, vcc_lo, v63, 2
	v_add_co_ci_u32_e32 v58, vcc_lo, 0, v64, vcc_lo
	v_add_co_u32 v61, vcc_lo, v61, 2
	v_add_co_ci_u32_e32 v62, vcc_lo, 0, v62, vcc_lo
	s_add_u32 s12, s8, -1
	s_addc_u32 s13, s9, -1
	s_mov_b64 s[14:15], 0
	s_mov_b32 s18, 0
                                        ; implicit-def: $sgpr19
	s_set_inst_prefetch_distance 0x1
	s_branch .LBB1171_725
	.p2align	6
.LBB1171_723:                           ;   in Loop: Header=BB1171_725 Depth=1
	global_load_u16 v63, v[57:58], off
	global_load_u16 v64, v[61:62], off
	v_add_co_u32 v57, vcc_lo, v57, 2
	v_add_co_ci_u32_e32 v58, vcc_lo, 0, v58, vcc_lo
	v_add_co_u32 v61, s0, v61, 2
	s_delay_alu instid0(VALU_DEP_1)
	v_add_co_ci_u32_e64 v62, s0, 0, v62, s0
	s_add_u32 s14, s14, 1
	s_addc_u32 s15, s15, 0
	s_and_not1_b32 s0, s19, exec_lo
	s_waitcnt vmcnt(1)
	v_lshlrev_b32_e32 v63, 16, v63
	s_waitcnt vmcnt(0)
	v_lshlrev_b32_e32 v64, 16, v64
	s_delay_alu instid0(VALU_DEP_1) | instskip(SKIP_1) | instid1(SALU_CYCLE_1)
	v_cmp_neq_f32_e32 vcc_lo, v64, v63
	s_and_b32 s19, vcc_lo, exec_lo
	s_or_b32 s19, s0, s19
.LBB1171_724:                           ;   in Loop: Header=BB1171_725 Depth=1
	v_dual_mov_b32 v64, s15 :: v_dual_mov_b32 v63, s14
	s_and_b32 s0, exec_lo, s19
	s_delay_alu instid0(SALU_CYCLE_1) | instskip(NEXT) | instid1(SALU_CYCLE_1)
	s_or_b32 s18, s0, s18
	s_and_not1_b32 exec_lo, exec_lo, s18
	s_cbranch_execz .LBB1171_727
.LBB1171_725:                           ; =>This Inner Loop Header: Depth=1
	s_or_b32 s19, s19, exec_lo
	s_cmp_eq_u64 s[12:13], s[14:15]
	s_cbranch_scc0 .LBB1171_723
; %bb.726:                              ;   in Loop: Header=BB1171_725 Depth=1
	s_mov_b64 s[14:15], s[8:9]
                                        ; implicit-def: $vgpr57_vgpr58
                                        ; implicit-def: $vgpr61_vgpr62
	s_branch .LBB1171_724
.LBB1171_727:
	s_set_inst_prefetch_distance 0x2
	s_or_b32 exec_lo, exec_lo, s18
	v_cmp_gt_i64_e32 vcc_lo, s[8:9], v[63:64]
	s_mov_b32 s0, 0
	s_delay_alu instid0(SALU_CYCLE_1)
	v_mov_b32_e32 v126, s0
	v_cndmask_b32_e64 v125, 0, 1, vcc_lo
.LBB1171_728:
	s_or_b32 exec_lo, exec_lo, s3
.LBB1171_729:
	v_mul_lo_u32 v61, v48, s8
	v_mul_lo_u32 v62, v47, s9
	v_mad_u64_u32 v[57:58], null, v47, s8, 0
	v_cmp_ne_u32_e32 vcc_lo, 1, v65
	s_delay_alu instid0(VALU_DEP_2) | instskip(NEXT) | instid1(VALU_DEP_1)
	v_add3_u32 v58, v58, v62, v61
	v_lshlrev_b64 v[57:58], 1, v[57:58]
	s_cbranch_vccnz .LBB1171_738
; %bb.730:
	s_delay_alu instid0(VALU_DEP_1) | instskip(NEXT) | instid1(VALU_DEP_2)
	v_add_co_u32 v63, vcc_lo, s10, v57
	v_add_co_ci_u32_e32 v64, vcc_lo, s11, v58, vcc_lo
	v_add_co_u32 v61, vcc_lo, s10, v59
	v_add_co_ci_u32_e32 v62, vcc_lo, s11, v60, vcc_lo
	s_mov_b32 s3, exec_lo
	s_clause 0x1
	global_load_u16 v59, v[63:64], off
	global_load_u16 v60, v[61:62], off
	v_mov_b32_e32 v127, 1
	s_waitcnt vmcnt(1)
	v_dual_mov_b32 v128, 0 :: v_dual_lshlrev_b32 v59, 16, v59
	s_waitcnt vmcnt(0)
	v_lshlrev_b32_e32 v60, 16, v60
	s_delay_alu instid0(VALU_DEP_1)
	v_cmpx_eq_f32_e32 v60, v59
	s_cbranch_execz .LBB1171_737
; %bb.731:
	v_add_co_u32 v59, vcc_lo, v63, 2
	v_add_co_ci_u32_e32 v60, vcc_lo, 0, v64, vcc_lo
	v_add_co_u32 v61, vcc_lo, v61, 2
	v_add_co_ci_u32_e32 v62, vcc_lo, 0, v62, vcc_lo
	s_add_u32 s12, s8, -1
	s_addc_u32 s13, s9, -1
	s_mov_b64 s[14:15], 0
	s_mov_b32 s18, 0
                                        ; implicit-def: $sgpr19
	s_set_inst_prefetch_distance 0x1
	s_branch .LBB1171_734
	.p2align	6
.LBB1171_732:                           ;   in Loop: Header=BB1171_734 Depth=1
	global_load_u16 v63, v[59:60], off
	global_load_u16 v64, v[61:62], off
	v_add_co_u32 v59, vcc_lo, v59, 2
	v_add_co_ci_u32_e32 v60, vcc_lo, 0, v60, vcc_lo
	v_add_co_u32 v61, s0, v61, 2
	s_delay_alu instid0(VALU_DEP_1)
	v_add_co_ci_u32_e64 v62, s0, 0, v62, s0
	s_add_u32 s14, s14, 1
	s_addc_u32 s15, s15, 0
	s_and_not1_b32 s0, s19, exec_lo
	s_waitcnt vmcnt(1)
	v_lshlrev_b32_e32 v63, 16, v63
	s_waitcnt vmcnt(0)
	v_lshlrev_b32_e32 v64, 16, v64
	s_delay_alu instid0(VALU_DEP_1) | instskip(SKIP_1) | instid1(SALU_CYCLE_1)
	v_cmp_neq_f32_e32 vcc_lo, v64, v63
	s_and_b32 s19, vcc_lo, exec_lo
	s_or_b32 s19, s0, s19
.LBB1171_733:                           ;   in Loop: Header=BB1171_734 Depth=1
	v_dual_mov_b32 v64, s15 :: v_dual_mov_b32 v63, s14
	s_and_b32 s0, exec_lo, s19
	s_delay_alu instid0(SALU_CYCLE_1) | instskip(NEXT) | instid1(SALU_CYCLE_1)
	s_or_b32 s18, s0, s18
	s_and_not1_b32 exec_lo, exec_lo, s18
	s_cbranch_execz .LBB1171_736
.LBB1171_734:                           ; =>This Inner Loop Header: Depth=1
	s_or_b32 s19, s19, exec_lo
	s_cmp_eq_u64 s[12:13], s[14:15]
	s_cbranch_scc0 .LBB1171_732
; %bb.735:                              ;   in Loop: Header=BB1171_734 Depth=1
	s_mov_b64 s[14:15], s[8:9]
                                        ; implicit-def: $vgpr59_vgpr60
                                        ; implicit-def: $vgpr61_vgpr62
	s_branch .LBB1171_733
.LBB1171_736:
	s_set_inst_prefetch_distance 0x2
	s_or_b32 exec_lo, exec_lo, s18
	v_cmp_gt_i64_e32 vcc_lo, s[8:9], v[63:64]
	s_mov_b32 s0, 0
	s_delay_alu instid0(SALU_CYCLE_1)
	v_mov_b32_e32 v128, s0
	v_cndmask_b32_e64 v127, 0, 1, vcc_lo
.LBB1171_737:
	s_or_b32 exec_lo, exec_lo, s3
.LBB1171_738:
	v_mul_lo_u32 v61, v46, s8
	v_mul_lo_u32 v62, v45, s9
	v_mad_u64_u32 v[59:60], null, v45, s8, 0
	v_mov_b32_e32 v131, 0
	v_mov_b32_e32 v132, 0
	v_cmp_ne_u32_e32 vcc_lo, 1, v65
	s_delay_alu instid0(VALU_DEP_2) | instskip(SKIP_1) | instid1(VALU_DEP_1)
	v_dual_mov_b32 v129, v131 :: v_dual_mov_b32 v130, v132
	v_add3_u32 v60, v60, v62, v61
	v_lshlrev_b64 v[59:60], 1, v[59:60]
	s_cbranch_vccnz .LBB1171_747
; %bb.739:
	s_delay_alu instid0(VALU_DEP_1) | instskip(NEXT) | instid1(VALU_DEP_2)
	v_add_co_u32 v63, vcc_lo, s10, v59
	v_add_co_ci_u32_e32 v64, vcc_lo, s11, v60, vcc_lo
	v_add_co_u32 v61, vcc_lo, s10, v57
	v_add_co_ci_u32_e32 v62, vcc_lo, s11, v58, vcc_lo
	s_mov_b32 s3, exec_lo
	s_clause 0x1
	global_load_u16 v57, v[63:64], off
	global_load_u16 v58, v[61:62], off
	v_mov_b32_e32 v129, 1
	s_waitcnt vmcnt(1)
	v_dual_mov_b32 v130, 0 :: v_dual_lshlrev_b32 v57, 16, v57
	s_waitcnt vmcnt(0)
	v_lshlrev_b32_e32 v58, 16, v58
	s_delay_alu instid0(VALU_DEP_1)
	v_cmpx_eq_f32_e32 v58, v57
	s_cbranch_execz .LBB1171_746
; %bb.740:
	v_add_co_u32 v57, vcc_lo, v63, 2
	v_add_co_ci_u32_e32 v58, vcc_lo, 0, v64, vcc_lo
	v_add_co_u32 v61, vcc_lo, v61, 2
	v_add_co_ci_u32_e32 v62, vcc_lo, 0, v62, vcc_lo
	s_add_u32 s12, s8, -1
	s_addc_u32 s13, s9, -1
	s_mov_b64 s[14:15], 0
	s_mov_b32 s18, 0
                                        ; implicit-def: $sgpr19
	s_set_inst_prefetch_distance 0x1
	s_branch .LBB1171_743
	.p2align	6
.LBB1171_741:                           ;   in Loop: Header=BB1171_743 Depth=1
	global_load_u16 v63, v[57:58], off
	global_load_u16 v64, v[61:62], off
	v_add_co_u32 v57, vcc_lo, v57, 2
	v_add_co_ci_u32_e32 v58, vcc_lo, 0, v58, vcc_lo
	v_add_co_u32 v61, s0, v61, 2
	s_delay_alu instid0(VALU_DEP_1)
	v_add_co_ci_u32_e64 v62, s0, 0, v62, s0
	s_add_u32 s14, s14, 1
	s_addc_u32 s15, s15, 0
	s_and_not1_b32 s0, s19, exec_lo
	s_waitcnt vmcnt(1)
	v_lshlrev_b32_e32 v63, 16, v63
	s_waitcnt vmcnt(0)
	v_lshlrev_b32_e32 v64, 16, v64
	s_delay_alu instid0(VALU_DEP_1) | instskip(SKIP_1) | instid1(SALU_CYCLE_1)
	v_cmp_neq_f32_e32 vcc_lo, v64, v63
	s_and_b32 s19, vcc_lo, exec_lo
	s_or_b32 s19, s0, s19
.LBB1171_742:                           ;   in Loop: Header=BB1171_743 Depth=1
	v_dual_mov_b32 v64, s15 :: v_dual_mov_b32 v63, s14
	s_and_b32 s0, exec_lo, s19
	s_delay_alu instid0(SALU_CYCLE_1) | instskip(NEXT) | instid1(SALU_CYCLE_1)
	s_or_b32 s18, s0, s18
	s_and_not1_b32 exec_lo, exec_lo, s18
	s_cbranch_execz .LBB1171_745
.LBB1171_743:                           ; =>This Inner Loop Header: Depth=1
	s_or_b32 s19, s19, exec_lo
	s_cmp_eq_u64 s[12:13], s[14:15]
	s_cbranch_scc0 .LBB1171_741
; %bb.744:                              ;   in Loop: Header=BB1171_743 Depth=1
	s_mov_b64 s[14:15], s[8:9]
                                        ; implicit-def: $vgpr57_vgpr58
                                        ; implicit-def: $vgpr61_vgpr62
	s_branch .LBB1171_742
.LBB1171_745:
	s_set_inst_prefetch_distance 0x2
	s_or_b32 exec_lo, exec_lo, s18
	v_cmp_gt_i64_e32 vcc_lo, s[8:9], v[63:64]
	s_mov_b32 s0, 0
	s_delay_alu instid0(SALU_CYCLE_1)
	v_mov_b32_e32 v130, s0
	v_cndmask_b32_e64 v129, 0, 1, vcc_lo
.LBB1171_746:
	s_or_b32 exec_lo, exec_lo, s3
.LBB1171_747:
	v_mul_lo_u32 v61, v44, s8
	v_mul_lo_u32 v62, v43, s9
	v_mad_u64_u32 v[57:58], null, v43, s8, 0
	v_cmp_ne_u32_e32 vcc_lo, 1, v65
	s_delay_alu instid0(VALU_DEP_2) | instskip(NEXT) | instid1(VALU_DEP_1)
	v_add3_u32 v58, v58, v62, v61
	v_lshlrev_b64 v[57:58], 1, v[57:58]
	s_cbranch_vccnz .LBB1171_756
; %bb.748:
	s_delay_alu instid0(VALU_DEP_1) | instskip(NEXT) | instid1(VALU_DEP_2)
	v_add_co_u32 v63, vcc_lo, s10, v57
	v_add_co_ci_u32_e32 v64, vcc_lo, s11, v58, vcc_lo
	v_add_co_u32 v61, vcc_lo, s10, v59
	v_add_co_ci_u32_e32 v62, vcc_lo, s11, v60, vcc_lo
	s_mov_b32 s3, exec_lo
	s_clause 0x1
	global_load_u16 v59, v[63:64], off
	global_load_u16 v60, v[61:62], off
	v_mov_b32_e32 v131, 1
	s_waitcnt vmcnt(1)
	v_dual_mov_b32 v132, 0 :: v_dual_lshlrev_b32 v59, 16, v59
	s_waitcnt vmcnt(0)
	v_lshlrev_b32_e32 v60, 16, v60
	s_delay_alu instid0(VALU_DEP_1)
	v_cmpx_eq_f32_e32 v60, v59
	s_cbranch_execz .LBB1171_755
; %bb.749:
	v_add_co_u32 v59, vcc_lo, v63, 2
	v_add_co_ci_u32_e32 v60, vcc_lo, 0, v64, vcc_lo
	v_add_co_u32 v61, vcc_lo, v61, 2
	v_add_co_ci_u32_e32 v62, vcc_lo, 0, v62, vcc_lo
	s_add_u32 s12, s8, -1
	s_addc_u32 s13, s9, -1
	s_mov_b64 s[14:15], 0
	s_mov_b32 s18, 0
                                        ; implicit-def: $sgpr19
	s_set_inst_prefetch_distance 0x1
	s_branch .LBB1171_752
	.p2align	6
.LBB1171_750:                           ;   in Loop: Header=BB1171_752 Depth=1
	global_load_u16 v63, v[59:60], off
	global_load_u16 v64, v[61:62], off
	v_add_co_u32 v59, vcc_lo, v59, 2
	v_add_co_ci_u32_e32 v60, vcc_lo, 0, v60, vcc_lo
	v_add_co_u32 v61, s0, v61, 2
	s_delay_alu instid0(VALU_DEP_1)
	v_add_co_ci_u32_e64 v62, s0, 0, v62, s0
	s_add_u32 s14, s14, 1
	s_addc_u32 s15, s15, 0
	s_and_not1_b32 s0, s19, exec_lo
	s_waitcnt vmcnt(1)
	v_lshlrev_b32_e32 v63, 16, v63
	s_waitcnt vmcnt(0)
	v_lshlrev_b32_e32 v64, 16, v64
	s_delay_alu instid0(VALU_DEP_1) | instskip(SKIP_1) | instid1(SALU_CYCLE_1)
	v_cmp_neq_f32_e32 vcc_lo, v64, v63
	s_and_b32 s19, vcc_lo, exec_lo
	s_or_b32 s19, s0, s19
.LBB1171_751:                           ;   in Loop: Header=BB1171_752 Depth=1
	v_dual_mov_b32 v64, s15 :: v_dual_mov_b32 v63, s14
	s_and_b32 s0, exec_lo, s19
	s_delay_alu instid0(SALU_CYCLE_1) | instskip(NEXT) | instid1(SALU_CYCLE_1)
	s_or_b32 s18, s0, s18
	s_and_not1_b32 exec_lo, exec_lo, s18
	s_cbranch_execz .LBB1171_754
.LBB1171_752:                           ; =>This Inner Loop Header: Depth=1
	s_or_b32 s19, s19, exec_lo
	s_cmp_eq_u64 s[12:13], s[14:15]
	s_cbranch_scc0 .LBB1171_750
; %bb.753:                              ;   in Loop: Header=BB1171_752 Depth=1
	s_mov_b64 s[14:15], s[8:9]
                                        ; implicit-def: $vgpr59_vgpr60
                                        ; implicit-def: $vgpr61_vgpr62
	s_branch .LBB1171_751
.LBB1171_754:
	s_set_inst_prefetch_distance 0x2
	s_or_b32 exec_lo, exec_lo, s18
	v_cmp_gt_i64_e32 vcc_lo, s[8:9], v[63:64]
	s_mov_b32 s0, 0
	s_delay_alu instid0(SALU_CYCLE_1)
	v_mov_b32_e32 v132, s0
	v_cndmask_b32_e64 v131, 0, 1, vcc_lo
.LBB1171_755:
	s_or_b32 exec_lo, exec_lo, s3
.LBB1171_756:
	v_mul_lo_u32 v61, v42, s8
	v_mul_lo_u32 v62, v41, s9
	v_mad_u64_u32 v[59:60], null, v41, s8, 0
	v_mov_b32_e32 v135, 0
	v_mov_b32_e32 v136, 0
	v_cmp_ne_u32_e32 vcc_lo, 1, v65
	s_delay_alu instid0(VALU_DEP_2) | instskip(SKIP_1) | instid1(VALU_DEP_1)
	v_dual_mov_b32 v133, v135 :: v_dual_mov_b32 v134, v136
	v_add3_u32 v60, v60, v62, v61
	v_lshlrev_b64 v[59:60], 1, v[59:60]
	s_cbranch_vccnz .LBB1171_765
; %bb.757:
	s_delay_alu instid0(VALU_DEP_1) | instskip(NEXT) | instid1(VALU_DEP_2)
	v_add_co_u32 v63, vcc_lo, s10, v59
	v_add_co_ci_u32_e32 v64, vcc_lo, s11, v60, vcc_lo
	v_add_co_u32 v61, vcc_lo, s10, v57
	v_add_co_ci_u32_e32 v62, vcc_lo, s11, v58, vcc_lo
	s_mov_b32 s3, exec_lo
	s_clause 0x1
	global_load_u16 v57, v[63:64], off
	global_load_u16 v58, v[61:62], off
	v_mov_b32_e32 v133, 1
	s_waitcnt vmcnt(1)
	v_dual_mov_b32 v134, 0 :: v_dual_lshlrev_b32 v57, 16, v57
	s_waitcnt vmcnt(0)
	v_lshlrev_b32_e32 v58, 16, v58
	s_delay_alu instid0(VALU_DEP_1)
	v_cmpx_eq_f32_e32 v58, v57
	s_cbranch_execz .LBB1171_764
; %bb.758:
	v_add_co_u32 v57, vcc_lo, v63, 2
	v_add_co_ci_u32_e32 v58, vcc_lo, 0, v64, vcc_lo
	v_add_co_u32 v61, vcc_lo, v61, 2
	v_add_co_ci_u32_e32 v62, vcc_lo, 0, v62, vcc_lo
	s_add_u32 s12, s8, -1
	s_addc_u32 s13, s9, -1
	s_mov_b64 s[14:15], 0
	s_mov_b32 s18, 0
                                        ; implicit-def: $sgpr19
	s_set_inst_prefetch_distance 0x1
	s_branch .LBB1171_761
	.p2align	6
.LBB1171_759:                           ;   in Loop: Header=BB1171_761 Depth=1
	global_load_u16 v63, v[57:58], off
	global_load_u16 v64, v[61:62], off
	v_add_co_u32 v57, vcc_lo, v57, 2
	v_add_co_ci_u32_e32 v58, vcc_lo, 0, v58, vcc_lo
	v_add_co_u32 v61, s0, v61, 2
	s_delay_alu instid0(VALU_DEP_1)
	v_add_co_ci_u32_e64 v62, s0, 0, v62, s0
	s_add_u32 s14, s14, 1
	s_addc_u32 s15, s15, 0
	s_and_not1_b32 s0, s19, exec_lo
	s_waitcnt vmcnt(1)
	v_lshlrev_b32_e32 v63, 16, v63
	s_waitcnt vmcnt(0)
	v_lshlrev_b32_e32 v64, 16, v64
	s_delay_alu instid0(VALU_DEP_1) | instskip(SKIP_1) | instid1(SALU_CYCLE_1)
	v_cmp_neq_f32_e32 vcc_lo, v64, v63
	s_and_b32 s19, vcc_lo, exec_lo
	s_or_b32 s19, s0, s19
.LBB1171_760:                           ;   in Loop: Header=BB1171_761 Depth=1
	v_dual_mov_b32 v64, s15 :: v_dual_mov_b32 v63, s14
	s_and_b32 s0, exec_lo, s19
	s_delay_alu instid0(SALU_CYCLE_1) | instskip(NEXT) | instid1(SALU_CYCLE_1)
	s_or_b32 s18, s0, s18
	s_and_not1_b32 exec_lo, exec_lo, s18
	s_cbranch_execz .LBB1171_763
.LBB1171_761:                           ; =>This Inner Loop Header: Depth=1
	s_or_b32 s19, s19, exec_lo
	s_cmp_eq_u64 s[12:13], s[14:15]
	s_cbranch_scc0 .LBB1171_759
; %bb.762:                              ;   in Loop: Header=BB1171_761 Depth=1
	s_mov_b64 s[14:15], s[8:9]
                                        ; implicit-def: $vgpr57_vgpr58
                                        ; implicit-def: $vgpr61_vgpr62
	s_branch .LBB1171_760
.LBB1171_763:
	s_set_inst_prefetch_distance 0x2
	s_or_b32 exec_lo, exec_lo, s18
	v_cmp_gt_i64_e32 vcc_lo, s[8:9], v[63:64]
	s_mov_b32 s0, 0
	s_delay_alu instid0(SALU_CYCLE_1)
	v_mov_b32_e32 v134, s0
	v_cndmask_b32_e64 v133, 0, 1, vcc_lo
.LBB1171_764:
	s_or_b32 exec_lo, exec_lo, s3
.LBB1171_765:
	v_mul_lo_u32 v61, v40, s8
	v_mul_lo_u32 v62, v39, s9
	v_mad_u64_u32 v[57:58], null, v39, s8, 0
	v_cmp_ne_u32_e32 vcc_lo, 1, v65
	s_delay_alu instid0(VALU_DEP_2) | instskip(NEXT) | instid1(VALU_DEP_1)
	v_add3_u32 v58, v58, v62, v61
	v_lshlrev_b64 v[57:58], 1, v[57:58]
	s_cbranch_vccnz .LBB1171_774
; %bb.766:
	s_delay_alu instid0(VALU_DEP_1) | instskip(NEXT) | instid1(VALU_DEP_2)
	v_add_co_u32 v63, vcc_lo, s10, v57
	v_add_co_ci_u32_e32 v64, vcc_lo, s11, v58, vcc_lo
	v_add_co_u32 v61, vcc_lo, s10, v59
	v_add_co_ci_u32_e32 v62, vcc_lo, s11, v60, vcc_lo
	s_mov_b32 s3, exec_lo
	s_clause 0x1
	global_load_u16 v59, v[63:64], off
	global_load_u16 v60, v[61:62], off
	v_mov_b32_e32 v135, 1
	s_waitcnt vmcnt(1)
	v_dual_mov_b32 v136, 0 :: v_dual_lshlrev_b32 v59, 16, v59
	s_waitcnt vmcnt(0)
	v_lshlrev_b32_e32 v60, 16, v60
	s_delay_alu instid0(VALU_DEP_1)
	v_cmpx_eq_f32_e32 v60, v59
	s_cbranch_execz .LBB1171_773
; %bb.767:
	v_add_co_u32 v59, vcc_lo, v63, 2
	v_add_co_ci_u32_e32 v60, vcc_lo, 0, v64, vcc_lo
	v_add_co_u32 v61, vcc_lo, v61, 2
	v_add_co_ci_u32_e32 v62, vcc_lo, 0, v62, vcc_lo
	s_add_u32 s12, s8, -1
	s_addc_u32 s13, s9, -1
	s_mov_b64 s[14:15], 0
	s_mov_b32 s18, 0
                                        ; implicit-def: $sgpr19
	s_set_inst_prefetch_distance 0x1
	s_branch .LBB1171_770
	.p2align	6
.LBB1171_768:                           ;   in Loop: Header=BB1171_770 Depth=1
	global_load_u16 v63, v[59:60], off
	global_load_u16 v64, v[61:62], off
	v_add_co_u32 v59, vcc_lo, v59, 2
	v_add_co_ci_u32_e32 v60, vcc_lo, 0, v60, vcc_lo
	v_add_co_u32 v61, s0, v61, 2
	s_delay_alu instid0(VALU_DEP_1)
	v_add_co_ci_u32_e64 v62, s0, 0, v62, s0
	s_add_u32 s14, s14, 1
	s_addc_u32 s15, s15, 0
	s_and_not1_b32 s0, s19, exec_lo
	s_waitcnt vmcnt(1)
	v_lshlrev_b32_e32 v63, 16, v63
	s_waitcnt vmcnt(0)
	v_lshlrev_b32_e32 v64, 16, v64
	s_delay_alu instid0(VALU_DEP_1) | instskip(SKIP_1) | instid1(SALU_CYCLE_1)
	v_cmp_neq_f32_e32 vcc_lo, v64, v63
	s_and_b32 s19, vcc_lo, exec_lo
	s_or_b32 s19, s0, s19
.LBB1171_769:                           ;   in Loop: Header=BB1171_770 Depth=1
	v_dual_mov_b32 v64, s15 :: v_dual_mov_b32 v63, s14
	s_and_b32 s0, exec_lo, s19
	s_delay_alu instid0(SALU_CYCLE_1) | instskip(NEXT) | instid1(SALU_CYCLE_1)
	s_or_b32 s18, s0, s18
	s_and_not1_b32 exec_lo, exec_lo, s18
	s_cbranch_execz .LBB1171_772
.LBB1171_770:                           ; =>This Inner Loop Header: Depth=1
	s_or_b32 s19, s19, exec_lo
	s_cmp_eq_u64 s[12:13], s[14:15]
	s_cbranch_scc0 .LBB1171_768
; %bb.771:                              ;   in Loop: Header=BB1171_770 Depth=1
	s_mov_b64 s[14:15], s[8:9]
                                        ; implicit-def: $vgpr59_vgpr60
                                        ; implicit-def: $vgpr61_vgpr62
	s_branch .LBB1171_769
.LBB1171_772:
	s_set_inst_prefetch_distance 0x2
	s_or_b32 exec_lo, exec_lo, s18
	v_cmp_gt_i64_e32 vcc_lo, s[8:9], v[63:64]
	s_mov_b32 s0, 0
	s_delay_alu instid0(SALU_CYCLE_1)
	v_mov_b32_e32 v136, s0
	v_cndmask_b32_e64 v135, 0, 1, vcc_lo
.LBB1171_773:
	s_or_b32 exec_lo, exec_lo, s3
.LBB1171_774:
	v_mul_lo_u32 v61, v38, s8
	v_mul_lo_u32 v62, v37, s9
	v_mad_u64_u32 v[59:60], null, v37, s8, 0
	v_mov_b32_e32 v139, 0
	v_mov_b32_e32 v140, 0
	v_cmp_ne_u32_e32 vcc_lo, 1, v65
	s_delay_alu instid0(VALU_DEP_2) | instskip(SKIP_1) | instid1(VALU_DEP_1)
	v_dual_mov_b32 v137, v139 :: v_dual_mov_b32 v138, v140
	v_add3_u32 v60, v60, v62, v61
	v_lshlrev_b64 v[59:60], 1, v[59:60]
	s_cbranch_vccnz .LBB1171_783
; %bb.775:
	s_delay_alu instid0(VALU_DEP_1) | instskip(NEXT) | instid1(VALU_DEP_2)
	v_add_co_u32 v63, vcc_lo, s10, v59
	v_add_co_ci_u32_e32 v64, vcc_lo, s11, v60, vcc_lo
	v_add_co_u32 v61, vcc_lo, s10, v57
	v_add_co_ci_u32_e32 v62, vcc_lo, s11, v58, vcc_lo
	s_mov_b32 s3, exec_lo
	s_clause 0x1
	global_load_u16 v57, v[63:64], off
	global_load_u16 v58, v[61:62], off
	v_mov_b32_e32 v137, 1
	s_waitcnt vmcnt(1)
	v_dual_mov_b32 v138, 0 :: v_dual_lshlrev_b32 v57, 16, v57
	s_waitcnt vmcnt(0)
	v_lshlrev_b32_e32 v58, 16, v58
	s_delay_alu instid0(VALU_DEP_1)
	v_cmpx_eq_f32_e32 v58, v57
	s_cbranch_execz .LBB1171_782
; %bb.776:
	v_add_co_u32 v57, vcc_lo, v63, 2
	v_add_co_ci_u32_e32 v58, vcc_lo, 0, v64, vcc_lo
	v_add_co_u32 v61, vcc_lo, v61, 2
	v_add_co_ci_u32_e32 v62, vcc_lo, 0, v62, vcc_lo
	s_add_u32 s12, s8, -1
	s_addc_u32 s13, s9, -1
	s_mov_b64 s[14:15], 0
	s_mov_b32 s18, 0
                                        ; implicit-def: $sgpr19
	s_set_inst_prefetch_distance 0x1
	s_branch .LBB1171_779
	.p2align	6
.LBB1171_777:                           ;   in Loop: Header=BB1171_779 Depth=1
	global_load_u16 v63, v[57:58], off
	global_load_u16 v64, v[61:62], off
	v_add_co_u32 v57, vcc_lo, v57, 2
	v_add_co_ci_u32_e32 v58, vcc_lo, 0, v58, vcc_lo
	v_add_co_u32 v61, s0, v61, 2
	s_delay_alu instid0(VALU_DEP_1)
	v_add_co_ci_u32_e64 v62, s0, 0, v62, s0
	s_add_u32 s14, s14, 1
	s_addc_u32 s15, s15, 0
	s_and_not1_b32 s0, s19, exec_lo
	s_waitcnt vmcnt(1)
	v_lshlrev_b32_e32 v63, 16, v63
	s_waitcnt vmcnt(0)
	v_lshlrev_b32_e32 v64, 16, v64
	s_delay_alu instid0(VALU_DEP_1) | instskip(SKIP_1) | instid1(SALU_CYCLE_1)
	v_cmp_neq_f32_e32 vcc_lo, v64, v63
	s_and_b32 s19, vcc_lo, exec_lo
	s_or_b32 s19, s0, s19
.LBB1171_778:                           ;   in Loop: Header=BB1171_779 Depth=1
	v_dual_mov_b32 v64, s15 :: v_dual_mov_b32 v63, s14
	s_and_b32 s0, exec_lo, s19
	s_delay_alu instid0(SALU_CYCLE_1) | instskip(NEXT) | instid1(SALU_CYCLE_1)
	s_or_b32 s18, s0, s18
	s_and_not1_b32 exec_lo, exec_lo, s18
	s_cbranch_execz .LBB1171_781
.LBB1171_779:                           ; =>This Inner Loop Header: Depth=1
	s_or_b32 s19, s19, exec_lo
	s_cmp_eq_u64 s[12:13], s[14:15]
	s_cbranch_scc0 .LBB1171_777
; %bb.780:                              ;   in Loop: Header=BB1171_779 Depth=1
	s_mov_b64 s[14:15], s[8:9]
                                        ; implicit-def: $vgpr57_vgpr58
                                        ; implicit-def: $vgpr61_vgpr62
	s_branch .LBB1171_778
.LBB1171_781:
	s_set_inst_prefetch_distance 0x2
	s_or_b32 exec_lo, exec_lo, s18
	v_cmp_gt_i64_e32 vcc_lo, s[8:9], v[63:64]
	s_mov_b32 s0, 0
	s_delay_alu instid0(SALU_CYCLE_1)
	v_mov_b32_e32 v138, s0
	v_cndmask_b32_e64 v137, 0, 1, vcc_lo
.LBB1171_782:
	s_or_b32 exec_lo, exec_lo, s3
.LBB1171_783:
	v_mul_lo_u32 v61, v36, s8
	v_mul_lo_u32 v62, v35, s9
	v_mad_u64_u32 v[57:58], null, v35, s8, 0
	v_cmp_ne_u32_e32 vcc_lo, 1, v65
	s_delay_alu instid0(VALU_DEP_2) | instskip(NEXT) | instid1(VALU_DEP_1)
	v_add3_u32 v58, v58, v62, v61
	v_lshlrev_b64 v[57:58], 1, v[57:58]
	s_cbranch_vccnz .LBB1171_792
; %bb.784:
	s_delay_alu instid0(VALU_DEP_1) | instskip(NEXT) | instid1(VALU_DEP_2)
	v_add_co_u32 v63, vcc_lo, s10, v57
	v_add_co_ci_u32_e32 v64, vcc_lo, s11, v58, vcc_lo
	v_add_co_u32 v61, vcc_lo, s10, v59
	v_add_co_ci_u32_e32 v62, vcc_lo, s11, v60, vcc_lo
	s_mov_b32 s3, exec_lo
	s_clause 0x1
	global_load_u16 v59, v[63:64], off
	global_load_u16 v60, v[61:62], off
	v_mov_b32_e32 v139, 1
	s_waitcnt vmcnt(1)
	v_dual_mov_b32 v140, 0 :: v_dual_lshlrev_b32 v59, 16, v59
	s_waitcnt vmcnt(0)
	v_lshlrev_b32_e32 v60, 16, v60
	s_delay_alu instid0(VALU_DEP_1)
	v_cmpx_eq_f32_e32 v60, v59
	s_cbranch_execz .LBB1171_791
; %bb.785:
	v_add_co_u32 v59, vcc_lo, v63, 2
	v_add_co_ci_u32_e32 v60, vcc_lo, 0, v64, vcc_lo
	v_add_co_u32 v61, vcc_lo, v61, 2
	v_add_co_ci_u32_e32 v62, vcc_lo, 0, v62, vcc_lo
	s_add_u32 s12, s8, -1
	s_addc_u32 s13, s9, -1
	s_mov_b64 s[14:15], 0
	s_mov_b32 s18, 0
                                        ; implicit-def: $sgpr19
	s_set_inst_prefetch_distance 0x1
	s_branch .LBB1171_788
	.p2align	6
.LBB1171_786:                           ;   in Loop: Header=BB1171_788 Depth=1
	global_load_u16 v63, v[59:60], off
	global_load_u16 v64, v[61:62], off
	v_add_co_u32 v59, vcc_lo, v59, 2
	v_add_co_ci_u32_e32 v60, vcc_lo, 0, v60, vcc_lo
	v_add_co_u32 v61, s0, v61, 2
	s_delay_alu instid0(VALU_DEP_1)
	v_add_co_ci_u32_e64 v62, s0, 0, v62, s0
	s_add_u32 s14, s14, 1
	s_addc_u32 s15, s15, 0
	s_and_not1_b32 s0, s19, exec_lo
	s_waitcnt vmcnt(1)
	v_lshlrev_b32_e32 v63, 16, v63
	s_waitcnt vmcnt(0)
	v_lshlrev_b32_e32 v64, 16, v64
	s_delay_alu instid0(VALU_DEP_1) | instskip(SKIP_1) | instid1(SALU_CYCLE_1)
	v_cmp_neq_f32_e32 vcc_lo, v64, v63
	s_and_b32 s19, vcc_lo, exec_lo
	s_or_b32 s19, s0, s19
.LBB1171_787:                           ;   in Loop: Header=BB1171_788 Depth=1
	v_dual_mov_b32 v64, s15 :: v_dual_mov_b32 v63, s14
	s_and_b32 s0, exec_lo, s19
	s_delay_alu instid0(SALU_CYCLE_1) | instskip(NEXT) | instid1(SALU_CYCLE_1)
	s_or_b32 s18, s0, s18
	s_and_not1_b32 exec_lo, exec_lo, s18
	s_cbranch_execz .LBB1171_790
.LBB1171_788:                           ; =>This Inner Loop Header: Depth=1
	s_or_b32 s19, s19, exec_lo
	s_cmp_eq_u64 s[12:13], s[14:15]
	s_cbranch_scc0 .LBB1171_786
; %bb.789:                              ;   in Loop: Header=BB1171_788 Depth=1
	s_mov_b64 s[14:15], s[8:9]
                                        ; implicit-def: $vgpr59_vgpr60
                                        ; implicit-def: $vgpr61_vgpr62
	s_branch .LBB1171_787
.LBB1171_790:
	s_set_inst_prefetch_distance 0x2
	s_or_b32 exec_lo, exec_lo, s18
	v_cmp_gt_i64_e32 vcc_lo, s[8:9], v[63:64]
	s_mov_b32 s0, 0
	s_delay_alu instid0(SALU_CYCLE_1)
	v_mov_b32_e32 v140, s0
	v_cndmask_b32_e64 v139, 0, 1, vcc_lo
.LBB1171_791:
	s_or_b32 exec_lo, exec_lo, s3
.LBB1171_792:
	v_mul_lo_u32 v61, v34, s8
	v_mul_lo_u32 v62, v33, s9
	v_mad_u64_u32 v[59:60], null, v33, s8, 0
	v_mov_b32_e32 v143, 0
	v_mov_b32_e32 v144, 0
	v_cmp_ne_u32_e32 vcc_lo, 1, v65
	s_delay_alu instid0(VALU_DEP_2) | instskip(SKIP_1) | instid1(VALU_DEP_1)
	v_dual_mov_b32 v141, v143 :: v_dual_mov_b32 v142, v144
	v_add3_u32 v60, v60, v62, v61
	v_lshlrev_b64 v[59:60], 1, v[59:60]
	s_cbranch_vccnz .LBB1171_801
; %bb.793:
	s_delay_alu instid0(VALU_DEP_1) | instskip(NEXT) | instid1(VALU_DEP_2)
	v_add_co_u32 v63, vcc_lo, s10, v59
	v_add_co_ci_u32_e32 v64, vcc_lo, s11, v60, vcc_lo
	v_add_co_u32 v61, vcc_lo, s10, v57
	v_add_co_ci_u32_e32 v62, vcc_lo, s11, v58, vcc_lo
	s_mov_b32 s3, exec_lo
	s_clause 0x1
	global_load_u16 v57, v[63:64], off
	global_load_u16 v58, v[61:62], off
	v_mov_b32_e32 v141, 1
	s_waitcnt vmcnt(1)
	v_dual_mov_b32 v142, 0 :: v_dual_lshlrev_b32 v57, 16, v57
	s_waitcnt vmcnt(0)
	v_lshlrev_b32_e32 v58, 16, v58
	s_delay_alu instid0(VALU_DEP_1)
	v_cmpx_eq_f32_e32 v58, v57
	s_cbranch_execz .LBB1171_800
; %bb.794:
	v_add_co_u32 v57, vcc_lo, v63, 2
	v_add_co_ci_u32_e32 v58, vcc_lo, 0, v64, vcc_lo
	v_add_co_u32 v61, vcc_lo, v61, 2
	v_add_co_ci_u32_e32 v62, vcc_lo, 0, v62, vcc_lo
	s_add_u32 s12, s8, -1
	s_addc_u32 s13, s9, -1
	s_mov_b64 s[14:15], 0
	s_mov_b32 s18, 0
                                        ; implicit-def: $sgpr19
	s_set_inst_prefetch_distance 0x1
	s_branch .LBB1171_797
	.p2align	6
.LBB1171_795:                           ;   in Loop: Header=BB1171_797 Depth=1
	global_load_u16 v63, v[57:58], off
	global_load_u16 v64, v[61:62], off
	v_add_co_u32 v57, vcc_lo, v57, 2
	v_add_co_ci_u32_e32 v58, vcc_lo, 0, v58, vcc_lo
	v_add_co_u32 v61, s0, v61, 2
	s_delay_alu instid0(VALU_DEP_1)
	v_add_co_ci_u32_e64 v62, s0, 0, v62, s0
	s_add_u32 s14, s14, 1
	s_addc_u32 s15, s15, 0
	s_and_not1_b32 s0, s19, exec_lo
	s_waitcnt vmcnt(1)
	v_lshlrev_b32_e32 v63, 16, v63
	s_waitcnt vmcnt(0)
	v_lshlrev_b32_e32 v64, 16, v64
	s_delay_alu instid0(VALU_DEP_1) | instskip(SKIP_1) | instid1(SALU_CYCLE_1)
	v_cmp_neq_f32_e32 vcc_lo, v64, v63
	s_and_b32 s19, vcc_lo, exec_lo
	s_or_b32 s19, s0, s19
.LBB1171_796:                           ;   in Loop: Header=BB1171_797 Depth=1
	v_dual_mov_b32 v64, s15 :: v_dual_mov_b32 v63, s14
	s_and_b32 s0, exec_lo, s19
	s_delay_alu instid0(SALU_CYCLE_1) | instskip(NEXT) | instid1(SALU_CYCLE_1)
	s_or_b32 s18, s0, s18
	s_and_not1_b32 exec_lo, exec_lo, s18
	s_cbranch_execz .LBB1171_799
.LBB1171_797:                           ; =>This Inner Loop Header: Depth=1
	s_or_b32 s19, s19, exec_lo
	s_cmp_eq_u64 s[12:13], s[14:15]
	s_cbranch_scc0 .LBB1171_795
; %bb.798:                              ;   in Loop: Header=BB1171_797 Depth=1
	s_mov_b64 s[14:15], s[8:9]
                                        ; implicit-def: $vgpr57_vgpr58
                                        ; implicit-def: $vgpr61_vgpr62
	s_branch .LBB1171_796
.LBB1171_799:
	s_set_inst_prefetch_distance 0x2
	s_or_b32 exec_lo, exec_lo, s18
	v_cmp_gt_i64_e32 vcc_lo, s[8:9], v[63:64]
	s_mov_b32 s0, 0
	s_delay_alu instid0(SALU_CYCLE_1)
	v_mov_b32_e32 v142, s0
	v_cndmask_b32_e64 v141, 0, 1, vcc_lo
.LBB1171_800:
	s_or_b32 exec_lo, exec_lo, s3
.LBB1171_801:
	v_mul_lo_u32 v61, v32, s8
	v_mul_lo_u32 v62, v31, s9
	v_mad_u64_u32 v[57:58], null, v31, s8, 0
	v_cmp_ne_u32_e32 vcc_lo, 1, v65
	s_delay_alu instid0(VALU_DEP_2) | instskip(NEXT) | instid1(VALU_DEP_1)
	v_add3_u32 v58, v58, v62, v61
	v_lshlrev_b64 v[57:58], 1, v[57:58]
	s_cbranch_vccnz .LBB1171_810
; %bb.802:
	s_delay_alu instid0(VALU_DEP_1) | instskip(NEXT) | instid1(VALU_DEP_2)
	v_add_co_u32 v63, vcc_lo, s10, v57
	v_add_co_ci_u32_e32 v64, vcc_lo, s11, v58, vcc_lo
	v_add_co_u32 v61, vcc_lo, s10, v59
	v_add_co_ci_u32_e32 v62, vcc_lo, s11, v60, vcc_lo
	s_mov_b32 s3, exec_lo
	s_clause 0x1
	global_load_u16 v59, v[63:64], off
	global_load_u16 v60, v[61:62], off
	v_mov_b32_e32 v143, 1
	s_waitcnt vmcnt(1)
	v_dual_mov_b32 v144, 0 :: v_dual_lshlrev_b32 v59, 16, v59
	s_waitcnt vmcnt(0)
	v_lshlrev_b32_e32 v60, 16, v60
	s_delay_alu instid0(VALU_DEP_1)
	v_cmpx_eq_f32_e32 v60, v59
	s_cbranch_execz .LBB1171_809
; %bb.803:
	v_add_co_u32 v59, vcc_lo, v63, 2
	v_add_co_ci_u32_e32 v60, vcc_lo, 0, v64, vcc_lo
	v_add_co_u32 v61, vcc_lo, v61, 2
	v_add_co_ci_u32_e32 v62, vcc_lo, 0, v62, vcc_lo
	s_add_u32 s12, s8, -1
	s_addc_u32 s13, s9, -1
	s_mov_b64 s[14:15], 0
	s_mov_b32 s18, 0
                                        ; implicit-def: $sgpr19
	s_set_inst_prefetch_distance 0x1
	s_branch .LBB1171_806
	.p2align	6
.LBB1171_804:                           ;   in Loop: Header=BB1171_806 Depth=1
	global_load_u16 v63, v[59:60], off
	global_load_u16 v64, v[61:62], off
	v_add_co_u32 v59, vcc_lo, v59, 2
	v_add_co_ci_u32_e32 v60, vcc_lo, 0, v60, vcc_lo
	v_add_co_u32 v61, s0, v61, 2
	s_delay_alu instid0(VALU_DEP_1)
	v_add_co_ci_u32_e64 v62, s0, 0, v62, s0
	s_add_u32 s14, s14, 1
	s_addc_u32 s15, s15, 0
	s_and_not1_b32 s0, s19, exec_lo
	s_waitcnt vmcnt(1)
	v_lshlrev_b32_e32 v63, 16, v63
	s_waitcnt vmcnt(0)
	v_lshlrev_b32_e32 v64, 16, v64
	s_delay_alu instid0(VALU_DEP_1) | instskip(SKIP_1) | instid1(SALU_CYCLE_1)
	v_cmp_neq_f32_e32 vcc_lo, v64, v63
	s_and_b32 s19, vcc_lo, exec_lo
	s_or_b32 s19, s0, s19
.LBB1171_805:                           ;   in Loop: Header=BB1171_806 Depth=1
	v_dual_mov_b32 v64, s15 :: v_dual_mov_b32 v63, s14
	s_and_b32 s0, exec_lo, s19
	s_delay_alu instid0(SALU_CYCLE_1) | instskip(NEXT) | instid1(SALU_CYCLE_1)
	s_or_b32 s18, s0, s18
	s_and_not1_b32 exec_lo, exec_lo, s18
	s_cbranch_execz .LBB1171_808
.LBB1171_806:                           ; =>This Inner Loop Header: Depth=1
	s_or_b32 s19, s19, exec_lo
	s_cmp_eq_u64 s[12:13], s[14:15]
	s_cbranch_scc0 .LBB1171_804
; %bb.807:                              ;   in Loop: Header=BB1171_806 Depth=1
	s_mov_b64 s[14:15], s[8:9]
                                        ; implicit-def: $vgpr59_vgpr60
                                        ; implicit-def: $vgpr61_vgpr62
	s_branch .LBB1171_805
.LBB1171_808:
	s_set_inst_prefetch_distance 0x2
	s_or_b32 exec_lo, exec_lo, s18
	v_cmp_gt_i64_e32 vcc_lo, s[8:9], v[63:64]
	s_mov_b32 s0, 0
	s_delay_alu instid0(SALU_CYCLE_1)
	v_mov_b32_e32 v144, s0
	v_cndmask_b32_e64 v143, 0, 1, vcc_lo
.LBB1171_809:
	s_or_b32 exec_lo, exec_lo, s3
.LBB1171_810:
	v_mul_lo_u32 v61, v30, s8
	v_mul_lo_u32 v62, v29, s9
	v_mad_u64_u32 v[59:60], null, v29, s8, 0
	v_mov_b32_e32 v147, 0
	v_mov_b32_e32 v148, 0
	v_cmp_ne_u32_e32 vcc_lo, 1, v65
	s_delay_alu instid0(VALU_DEP_2) | instskip(SKIP_1) | instid1(VALU_DEP_1)
	v_dual_mov_b32 v145, v147 :: v_dual_mov_b32 v146, v148
	v_add3_u32 v60, v60, v62, v61
	v_lshlrev_b64 v[59:60], 1, v[59:60]
	s_cbranch_vccnz .LBB1171_819
; %bb.811:
	s_delay_alu instid0(VALU_DEP_1) | instskip(NEXT) | instid1(VALU_DEP_2)
	v_add_co_u32 v63, vcc_lo, s10, v59
	v_add_co_ci_u32_e32 v64, vcc_lo, s11, v60, vcc_lo
	v_add_co_u32 v61, vcc_lo, s10, v57
	v_add_co_ci_u32_e32 v62, vcc_lo, s11, v58, vcc_lo
	s_mov_b32 s3, exec_lo
	s_clause 0x1
	global_load_u16 v57, v[63:64], off
	global_load_u16 v58, v[61:62], off
	v_mov_b32_e32 v145, 1
	s_waitcnt vmcnt(1)
	v_dual_mov_b32 v146, 0 :: v_dual_lshlrev_b32 v57, 16, v57
	s_waitcnt vmcnt(0)
	v_lshlrev_b32_e32 v58, 16, v58
	s_delay_alu instid0(VALU_DEP_1)
	v_cmpx_eq_f32_e32 v58, v57
	s_cbranch_execz .LBB1171_818
; %bb.812:
	v_add_co_u32 v57, vcc_lo, v63, 2
	v_add_co_ci_u32_e32 v58, vcc_lo, 0, v64, vcc_lo
	v_add_co_u32 v61, vcc_lo, v61, 2
	v_add_co_ci_u32_e32 v62, vcc_lo, 0, v62, vcc_lo
	s_add_u32 s12, s8, -1
	s_addc_u32 s13, s9, -1
	s_mov_b64 s[14:15], 0
	s_mov_b32 s18, 0
                                        ; implicit-def: $sgpr19
	s_set_inst_prefetch_distance 0x1
	s_branch .LBB1171_815
	.p2align	6
.LBB1171_813:                           ;   in Loop: Header=BB1171_815 Depth=1
	global_load_u16 v63, v[57:58], off
	global_load_u16 v64, v[61:62], off
	v_add_co_u32 v57, vcc_lo, v57, 2
	v_add_co_ci_u32_e32 v58, vcc_lo, 0, v58, vcc_lo
	v_add_co_u32 v61, s0, v61, 2
	s_delay_alu instid0(VALU_DEP_1)
	v_add_co_ci_u32_e64 v62, s0, 0, v62, s0
	s_add_u32 s14, s14, 1
	s_addc_u32 s15, s15, 0
	s_and_not1_b32 s0, s19, exec_lo
	s_waitcnt vmcnt(1)
	v_lshlrev_b32_e32 v63, 16, v63
	s_waitcnt vmcnt(0)
	v_lshlrev_b32_e32 v64, 16, v64
	s_delay_alu instid0(VALU_DEP_1) | instskip(SKIP_1) | instid1(SALU_CYCLE_1)
	v_cmp_neq_f32_e32 vcc_lo, v64, v63
	s_and_b32 s19, vcc_lo, exec_lo
	s_or_b32 s19, s0, s19
.LBB1171_814:                           ;   in Loop: Header=BB1171_815 Depth=1
	v_dual_mov_b32 v64, s15 :: v_dual_mov_b32 v63, s14
	s_and_b32 s0, exec_lo, s19
	s_delay_alu instid0(SALU_CYCLE_1) | instskip(NEXT) | instid1(SALU_CYCLE_1)
	s_or_b32 s18, s0, s18
	s_and_not1_b32 exec_lo, exec_lo, s18
	s_cbranch_execz .LBB1171_817
.LBB1171_815:                           ; =>This Inner Loop Header: Depth=1
	s_or_b32 s19, s19, exec_lo
	s_cmp_eq_u64 s[12:13], s[14:15]
	s_cbranch_scc0 .LBB1171_813
; %bb.816:                              ;   in Loop: Header=BB1171_815 Depth=1
	s_mov_b64 s[14:15], s[8:9]
                                        ; implicit-def: $vgpr57_vgpr58
                                        ; implicit-def: $vgpr61_vgpr62
	s_branch .LBB1171_814
.LBB1171_817:
	s_set_inst_prefetch_distance 0x2
	s_or_b32 exec_lo, exec_lo, s18
	v_cmp_gt_i64_e32 vcc_lo, s[8:9], v[63:64]
	s_mov_b32 s0, 0
	s_delay_alu instid0(SALU_CYCLE_1)
	v_mov_b32_e32 v146, s0
	v_cndmask_b32_e64 v145, 0, 1, vcc_lo
.LBB1171_818:
	s_or_b32 exec_lo, exec_lo, s3
.LBB1171_819:
	v_mul_lo_u32 v61, v28, s8
	v_mul_lo_u32 v62, v27, s9
	v_mad_u64_u32 v[57:58], null, v27, s8, 0
	v_cmp_ne_u32_e32 vcc_lo, 1, v65
	s_delay_alu instid0(VALU_DEP_2) | instskip(NEXT) | instid1(VALU_DEP_1)
	v_add3_u32 v58, v58, v62, v61
	v_lshlrev_b64 v[57:58], 1, v[57:58]
	s_cbranch_vccnz .LBB1171_828
; %bb.820:
	s_delay_alu instid0(VALU_DEP_1) | instskip(NEXT) | instid1(VALU_DEP_2)
	v_add_co_u32 v63, vcc_lo, s10, v57
	v_add_co_ci_u32_e32 v64, vcc_lo, s11, v58, vcc_lo
	v_add_co_u32 v61, vcc_lo, s10, v59
	v_add_co_ci_u32_e32 v62, vcc_lo, s11, v60, vcc_lo
	s_mov_b32 s3, exec_lo
	s_clause 0x1
	global_load_u16 v59, v[63:64], off
	global_load_u16 v60, v[61:62], off
	v_mov_b32_e32 v147, 1
	s_waitcnt vmcnt(1)
	v_dual_mov_b32 v148, 0 :: v_dual_lshlrev_b32 v59, 16, v59
	s_waitcnt vmcnt(0)
	v_lshlrev_b32_e32 v60, 16, v60
	s_delay_alu instid0(VALU_DEP_1)
	v_cmpx_eq_f32_e32 v60, v59
	s_cbranch_execz .LBB1171_827
; %bb.821:
	v_add_co_u32 v59, vcc_lo, v63, 2
	v_add_co_ci_u32_e32 v60, vcc_lo, 0, v64, vcc_lo
	v_add_co_u32 v61, vcc_lo, v61, 2
	v_add_co_ci_u32_e32 v62, vcc_lo, 0, v62, vcc_lo
	s_add_u32 s12, s8, -1
	s_addc_u32 s13, s9, -1
	s_mov_b64 s[14:15], 0
	s_mov_b32 s18, 0
                                        ; implicit-def: $sgpr19
	s_set_inst_prefetch_distance 0x1
	s_branch .LBB1171_824
	.p2align	6
.LBB1171_822:                           ;   in Loop: Header=BB1171_824 Depth=1
	global_load_u16 v63, v[59:60], off
	global_load_u16 v64, v[61:62], off
	v_add_co_u32 v59, vcc_lo, v59, 2
	v_add_co_ci_u32_e32 v60, vcc_lo, 0, v60, vcc_lo
	v_add_co_u32 v61, s0, v61, 2
	s_delay_alu instid0(VALU_DEP_1)
	v_add_co_ci_u32_e64 v62, s0, 0, v62, s0
	s_add_u32 s14, s14, 1
	s_addc_u32 s15, s15, 0
	s_and_not1_b32 s0, s19, exec_lo
	s_waitcnt vmcnt(1)
	v_lshlrev_b32_e32 v63, 16, v63
	s_waitcnt vmcnt(0)
	v_lshlrev_b32_e32 v64, 16, v64
	s_delay_alu instid0(VALU_DEP_1) | instskip(SKIP_1) | instid1(SALU_CYCLE_1)
	v_cmp_neq_f32_e32 vcc_lo, v64, v63
	s_and_b32 s19, vcc_lo, exec_lo
	s_or_b32 s19, s0, s19
.LBB1171_823:                           ;   in Loop: Header=BB1171_824 Depth=1
	v_dual_mov_b32 v64, s15 :: v_dual_mov_b32 v63, s14
	s_and_b32 s0, exec_lo, s19
	s_delay_alu instid0(SALU_CYCLE_1) | instskip(NEXT) | instid1(SALU_CYCLE_1)
	s_or_b32 s18, s0, s18
	s_and_not1_b32 exec_lo, exec_lo, s18
	s_cbranch_execz .LBB1171_826
.LBB1171_824:                           ; =>This Inner Loop Header: Depth=1
	s_or_b32 s19, s19, exec_lo
	s_cmp_eq_u64 s[12:13], s[14:15]
	s_cbranch_scc0 .LBB1171_822
; %bb.825:                              ;   in Loop: Header=BB1171_824 Depth=1
	s_mov_b64 s[14:15], s[8:9]
                                        ; implicit-def: $vgpr59_vgpr60
                                        ; implicit-def: $vgpr61_vgpr62
	s_branch .LBB1171_823
.LBB1171_826:
	s_set_inst_prefetch_distance 0x2
	s_or_b32 exec_lo, exec_lo, s18
	v_cmp_gt_i64_e32 vcc_lo, s[8:9], v[63:64]
	s_mov_b32 s0, 0
	s_delay_alu instid0(SALU_CYCLE_1)
	v_mov_b32_e32 v148, s0
	v_cndmask_b32_e64 v147, 0, 1, vcc_lo
.LBB1171_827:
	s_or_b32 exec_lo, exec_lo, s3
.LBB1171_828:
	v_mul_lo_u32 v61, v26, s8
	v_mul_lo_u32 v62, v25, s9
	v_mad_u64_u32 v[59:60], null, v25, s8, 0
	v_mov_b32_e32 v151, 0
	v_mov_b32_e32 v152, 0
	v_cmp_ne_u32_e32 vcc_lo, 1, v65
	s_delay_alu instid0(VALU_DEP_2) | instskip(SKIP_1) | instid1(VALU_DEP_1)
	v_dual_mov_b32 v149, v151 :: v_dual_mov_b32 v150, v152
	v_add3_u32 v60, v60, v62, v61
	v_lshlrev_b64 v[59:60], 1, v[59:60]
	s_cbranch_vccnz .LBB1171_837
; %bb.829:
	s_delay_alu instid0(VALU_DEP_1) | instskip(NEXT) | instid1(VALU_DEP_2)
	v_add_co_u32 v63, vcc_lo, s10, v59
	v_add_co_ci_u32_e32 v64, vcc_lo, s11, v60, vcc_lo
	v_add_co_u32 v61, vcc_lo, s10, v57
	v_add_co_ci_u32_e32 v62, vcc_lo, s11, v58, vcc_lo
	s_mov_b32 s3, exec_lo
	s_clause 0x1
	global_load_u16 v57, v[63:64], off
	global_load_u16 v58, v[61:62], off
	v_mov_b32_e32 v149, 1
	s_waitcnt vmcnt(1)
	v_dual_mov_b32 v150, 0 :: v_dual_lshlrev_b32 v57, 16, v57
	s_waitcnt vmcnt(0)
	v_lshlrev_b32_e32 v58, 16, v58
	s_delay_alu instid0(VALU_DEP_1)
	v_cmpx_eq_f32_e32 v58, v57
	s_cbranch_execz .LBB1171_836
; %bb.830:
	v_add_co_u32 v57, vcc_lo, v63, 2
	v_add_co_ci_u32_e32 v58, vcc_lo, 0, v64, vcc_lo
	v_add_co_u32 v61, vcc_lo, v61, 2
	v_add_co_ci_u32_e32 v62, vcc_lo, 0, v62, vcc_lo
	s_add_u32 s12, s8, -1
	s_addc_u32 s13, s9, -1
	s_mov_b64 s[14:15], 0
	s_mov_b32 s18, 0
                                        ; implicit-def: $sgpr19
	s_set_inst_prefetch_distance 0x1
	s_branch .LBB1171_833
	.p2align	6
.LBB1171_831:                           ;   in Loop: Header=BB1171_833 Depth=1
	global_load_u16 v63, v[57:58], off
	global_load_u16 v64, v[61:62], off
	v_add_co_u32 v57, vcc_lo, v57, 2
	v_add_co_ci_u32_e32 v58, vcc_lo, 0, v58, vcc_lo
	v_add_co_u32 v61, s0, v61, 2
	s_delay_alu instid0(VALU_DEP_1)
	v_add_co_ci_u32_e64 v62, s0, 0, v62, s0
	s_add_u32 s14, s14, 1
	s_addc_u32 s15, s15, 0
	s_and_not1_b32 s0, s19, exec_lo
	s_waitcnt vmcnt(1)
	v_lshlrev_b32_e32 v63, 16, v63
	s_waitcnt vmcnt(0)
	v_lshlrev_b32_e32 v64, 16, v64
	s_delay_alu instid0(VALU_DEP_1) | instskip(SKIP_1) | instid1(SALU_CYCLE_1)
	v_cmp_neq_f32_e32 vcc_lo, v64, v63
	s_and_b32 s19, vcc_lo, exec_lo
	s_or_b32 s19, s0, s19
.LBB1171_832:                           ;   in Loop: Header=BB1171_833 Depth=1
	v_dual_mov_b32 v64, s15 :: v_dual_mov_b32 v63, s14
	s_and_b32 s0, exec_lo, s19
	s_delay_alu instid0(SALU_CYCLE_1) | instskip(NEXT) | instid1(SALU_CYCLE_1)
	s_or_b32 s18, s0, s18
	s_and_not1_b32 exec_lo, exec_lo, s18
	s_cbranch_execz .LBB1171_835
.LBB1171_833:                           ; =>This Inner Loop Header: Depth=1
	s_or_b32 s19, s19, exec_lo
	s_cmp_eq_u64 s[12:13], s[14:15]
	s_cbranch_scc0 .LBB1171_831
; %bb.834:                              ;   in Loop: Header=BB1171_833 Depth=1
	s_mov_b64 s[14:15], s[8:9]
                                        ; implicit-def: $vgpr57_vgpr58
                                        ; implicit-def: $vgpr61_vgpr62
	s_branch .LBB1171_832
.LBB1171_835:
	s_set_inst_prefetch_distance 0x2
	s_or_b32 exec_lo, exec_lo, s18
	v_cmp_gt_i64_e32 vcc_lo, s[8:9], v[63:64]
	s_mov_b32 s0, 0
	s_delay_alu instid0(SALU_CYCLE_1)
	v_mov_b32_e32 v150, s0
	v_cndmask_b32_e64 v149, 0, 1, vcc_lo
.LBB1171_836:
	s_or_b32 exec_lo, exec_lo, s3
.LBB1171_837:
	v_mul_lo_u32 v61, v24, s8
	v_mul_lo_u32 v62, v23, s9
	v_mad_u64_u32 v[57:58], null, v23, s8, 0
	v_cmp_ne_u32_e32 vcc_lo, 1, v65
	s_delay_alu instid0(VALU_DEP_2) | instskip(NEXT) | instid1(VALU_DEP_1)
	v_add3_u32 v58, v58, v62, v61
	v_lshlrev_b64 v[57:58], 1, v[57:58]
	s_cbranch_vccnz .LBB1171_846
; %bb.838:
	s_delay_alu instid0(VALU_DEP_1) | instskip(NEXT) | instid1(VALU_DEP_2)
	v_add_co_u32 v63, vcc_lo, s10, v57
	v_add_co_ci_u32_e32 v64, vcc_lo, s11, v58, vcc_lo
	v_add_co_u32 v61, vcc_lo, s10, v59
	v_add_co_ci_u32_e32 v62, vcc_lo, s11, v60, vcc_lo
	s_mov_b32 s3, exec_lo
	s_clause 0x1
	global_load_u16 v59, v[63:64], off
	global_load_u16 v60, v[61:62], off
	v_mov_b32_e32 v151, 1
	s_waitcnt vmcnt(1)
	v_dual_mov_b32 v152, 0 :: v_dual_lshlrev_b32 v59, 16, v59
	s_waitcnt vmcnt(0)
	v_lshlrev_b32_e32 v60, 16, v60
	s_delay_alu instid0(VALU_DEP_1)
	v_cmpx_eq_f32_e32 v60, v59
	s_cbranch_execz .LBB1171_845
; %bb.839:
	v_add_co_u32 v59, vcc_lo, v63, 2
	v_add_co_ci_u32_e32 v60, vcc_lo, 0, v64, vcc_lo
	v_add_co_u32 v61, vcc_lo, v61, 2
	v_add_co_ci_u32_e32 v62, vcc_lo, 0, v62, vcc_lo
	s_add_u32 s12, s8, -1
	s_addc_u32 s13, s9, -1
	s_mov_b64 s[14:15], 0
	s_mov_b32 s18, 0
                                        ; implicit-def: $sgpr19
	s_set_inst_prefetch_distance 0x1
	s_branch .LBB1171_842
	.p2align	6
.LBB1171_840:                           ;   in Loop: Header=BB1171_842 Depth=1
	global_load_u16 v63, v[59:60], off
	global_load_u16 v64, v[61:62], off
	v_add_co_u32 v59, vcc_lo, v59, 2
	v_add_co_ci_u32_e32 v60, vcc_lo, 0, v60, vcc_lo
	v_add_co_u32 v61, s0, v61, 2
	s_delay_alu instid0(VALU_DEP_1)
	v_add_co_ci_u32_e64 v62, s0, 0, v62, s0
	s_add_u32 s14, s14, 1
	s_addc_u32 s15, s15, 0
	s_and_not1_b32 s0, s19, exec_lo
	s_waitcnt vmcnt(1)
	v_lshlrev_b32_e32 v63, 16, v63
	s_waitcnt vmcnt(0)
	v_lshlrev_b32_e32 v64, 16, v64
	s_delay_alu instid0(VALU_DEP_1) | instskip(SKIP_1) | instid1(SALU_CYCLE_1)
	v_cmp_neq_f32_e32 vcc_lo, v64, v63
	s_and_b32 s19, vcc_lo, exec_lo
	s_or_b32 s19, s0, s19
.LBB1171_841:                           ;   in Loop: Header=BB1171_842 Depth=1
	v_dual_mov_b32 v64, s15 :: v_dual_mov_b32 v63, s14
	s_and_b32 s0, exec_lo, s19
	s_delay_alu instid0(SALU_CYCLE_1) | instskip(NEXT) | instid1(SALU_CYCLE_1)
	s_or_b32 s18, s0, s18
	s_and_not1_b32 exec_lo, exec_lo, s18
	s_cbranch_execz .LBB1171_844
.LBB1171_842:                           ; =>This Inner Loop Header: Depth=1
	s_or_b32 s19, s19, exec_lo
	s_cmp_eq_u64 s[12:13], s[14:15]
	s_cbranch_scc0 .LBB1171_840
; %bb.843:                              ;   in Loop: Header=BB1171_842 Depth=1
	s_mov_b64 s[14:15], s[8:9]
                                        ; implicit-def: $vgpr59_vgpr60
                                        ; implicit-def: $vgpr61_vgpr62
	s_branch .LBB1171_841
.LBB1171_844:
	s_set_inst_prefetch_distance 0x2
	s_or_b32 exec_lo, exec_lo, s18
	v_cmp_gt_i64_e32 vcc_lo, s[8:9], v[63:64]
	s_mov_b32 s0, 0
	s_delay_alu instid0(SALU_CYCLE_1)
	v_mov_b32_e32 v152, s0
	v_cndmask_b32_e64 v151, 0, 1, vcc_lo
.LBB1171_845:
	s_or_b32 exec_lo, exec_lo, s3
.LBB1171_846:
	v_mul_lo_u32 v61, v22, s8
	v_mul_lo_u32 v62, v21, s9
	v_mad_u64_u32 v[59:60], null, v21, s8, 0
	v_mov_b32_e32 v155, 0
	v_mov_b32_e32 v156, 0
	v_cmp_ne_u32_e32 vcc_lo, 1, v65
	s_delay_alu instid0(VALU_DEP_2) | instskip(SKIP_1) | instid1(VALU_DEP_1)
	v_dual_mov_b32 v153, v155 :: v_dual_mov_b32 v154, v156
	v_add3_u32 v60, v60, v62, v61
	v_lshlrev_b64 v[59:60], 1, v[59:60]
	s_cbranch_vccnz .LBB1171_855
; %bb.847:
	s_delay_alu instid0(VALU_DEP_1) | instskip(NEXT) | instid1(VALU_DEP_2)
	v_add_co_u32 v63, vcc_lo, s10, v59
	v_add_co_ci_u32_e32 v64, vcc_lo, s11, v60, vcc_lo
	v_add_co_u32 v61, vcc_lo, s10, v57
	v_add_co_ci_u32_e32 v62, vcc_lo, s11, v58, vcc_lo
	s_mov_b32 s3, exec_lo
	s_clause 0x1
	global_load_u16 v57, v[63:64], off
	global_load_u16 v58, v[61:62], off
	v_mov_b32_e32 v153, 1
	s_waitcnt vmcnt(1)
	v_dual_mov_b32 v154, 0 :: v_dual_lshlrev_b32 v57, 16, v57
	s_waitcnt vmcnt(0)
	v_lshlrev_b32_e32 v58, 16, v58
	s_delay_alu instid0(VALU_DEP_1)
	v_cmpx_eq_f32_e32 v58, v57
	s_cbranch_execz .LBB1171_854
; %bb.848:
	v_add_co_u32 v57, vcc_lo, v63, 2
	v_add_co_ci_u32_e32 v58, vcc_lo, 0, v64, vcc_lo
	v_add_co_u32 v61, vcc_lo, v61, 2
	v_add_co_ci_u32_e32 v62, vcc_lo, 0, v62, vcc_lo
	s_add_u32 s12, s8, -1
	s_addc_u32 s13, s9, -1
	s_mov_b64 s[14:15], 0
	s_mov_b32 s18, 0
                                        ; implicit-def: $sgpr19
	s_set_inst_prefetch_distance 0x1
	s_branch .LBB1171_851
	.p2align	6
.LBB1171_849:                           ;   in Loop: Header=BB1171_851 Depth=1
	global_load_u16 v63, v[57:58], off
	global_load_u16 v64, v[61:62], off
	v_add_co_u32 v57, vcc_lo, v57, 2
	v_add_co_ci_u32_e32 v58, vcc_lo, 0, v58, vcc_lo
	v_add_co_u32 v61, s0, v61, 2
	s_delay_alu instid0(VALU_DEP_1)
	v_add_co_ci_u32_e64 v62, s0, 0, v62, s0
	s_add_u32 s14, s14, 1
	s_addc_u32 s15, s15, 0
	s_and_not1_b32 s0, s19, exec_lo
	s_waitcnt vmcnt(1)
	v_lshlrev_b32_e32 v63, 16, v63
	s_waitcnt vmcnt(0)
	v_lshlrev_b32_e32 v64, 16, v64
	s_delay_alu instid0(VALU_DEP_1) | instskip(SKIP_1) | instid1(SALU_CYCLE_1)
	v_cmp_neq_f32_e32 vcc_lo, v64, v63
	s_and_b32 s19, vcc_lo, exec_lo
	s_or_b32 s19, s0, s19
.LBB1171_850:                           ;   in Loop: Header=BB1171_851 Depth=1
	v_dual_mov_b32 v64, s15 :: v_dual_mov_b32 v63, s14
	s_and_b32 s0, exec_lo, s19
	s_delay_alu instid0(SALU_CYCLE_1) | instskip(NEXT) | instid1(SALU_CYCLE_1)
	s_or_b32 s18, s0, s18
	s_and_not1_b32 exec_lo, exec_lo, s18
	s_cbranch_execz .LBB1171_853
.LBB1171_851:                           ; =>This Inner Loop Header: Depth=1
	s_or_b32 s19, s19, exec_lo
	s_cmp_eq_u64 s[12:13], s[14:15]
	s_cbranch_scc0 .LBB1171_849
; %bb.852:                              ;   in Loop: Header=BB1171_851 Depth=1
	s_mov_b64 s[14:15], s[8:9]
                                        ; implicit-def: $vgpr57_vgpr58
                                        ; implicit-def: $vgpr61_vgpr62
	s_branch .LBB1171_850
.LBB1171_853:
	s_set_inst_prefetch_distance 0x2
	s_or_b32 exec_lo, exec_lo, s18
	v_cmp_gt_i64_e32 vcc_lo, s[8:9], v[63:64]
	s_mov_b32 s0, 0
	s_delay_alu instid0(SALU_CYCLE_1)
	v_mov_b32_e32 v154, s0
	v_cndmask_b32_e64 v153, 0, 1, vcc_lo
.LBB1171_854:
	s_or_b32 exec_lo, exec_lo, s3
.LBB1171_855:
	v_mul_lo_u32 v61, v20, s8
	v_mul_lo_u32 v62, v19, s9
	v_mad_u64_u32 v[57:58], null, v19, s8, 0
	v_cmp_ne_u32_e32 vcc_lo, 1, v65
	s_delay_alu instid0(VALU_DEP_2) | instskip(NEXT) | instid1(VALU_DEP_1)
	v_add3_u32 v58, v58, v62, v61
	v_lshlrev_b64 v[57:58], 1, v[57:58]
	s_cbranch_vccnz .LBB1171_864
; %bb.856:
	s_delay_alu instid0(VALU_DEP_1) | instskip(NEXT) | instid1(VALU_DEP_2)
	v_add_co_u32 v63, vcc_lo, s10, v57
	v_add_co_ci_u32_e32 v64, vcc_lo, s11, v58, vcc_lo
	v_add_co_u32 v61, vcc_lo, s10, v59
	v_add_co_ci_u32_e32 v62, vcc_lo, s11, v60, vcc_lo
	s_mov_b32 s3, exec_lo
	s_clause 0x1
	global_load_u16 v59, v[63:64], off
	global_load_u16 v60, v[61:62], off
	v_mov_b32_e32 v155, 1
	s_waitcnt vmcnt(1)
	v_dual_mov_b32 v156, 0 :: v_dual_lshlrev_b32 v59, 16, v59
	s_waitcnt vmcnt(0)
	v_lshlrev_b32_e32 v60, 16, v60
	s_delay_alu instid0(VALU_DEP_1)
	v_cmpx_eq_f32_e32 v60, v59
	s_cbranch_execz .LBB1171_863
; %bb.857:
	v_add_co_u32 v59, vcc_lo, v63, 2
	v_add_co_ci_u32_e32 v60, vcc_lo, 0, v64, vcc_lo
	v_add_co_u32 v61, vcc_lo, v61, 2
	v_add_co_ci_u32_e32 v62, vcc_lo, 0, v62, vcc_lo
	s_add_u32 s12, s8, -1
	s_addc_u32 s13, s9, -1
	s_mov_b64 s[14:15], 0
	s_mov_b32 s18, 0
                                        ; implicit-def: $sgpr19
	s_set_inst_prefetch_distance 0x1
	s_branch .LBB1171_860
	.p2align	6
.LBB1171_858:                           ;   in Loop: Header=BB1171_860 Depth=1
	global_load_u16 v63, v[59:60], off
	global_load_u16 v64, v[61:62], off
	v_add_co_u32 v59, vcc_lo, v59, 2
	v_add_co_ci_u32_e32 v60, vcc_lo, 0, v60, vcc_lo
	v_add_co_u32 v61, s0, v61, 2
	s_delay_alu instid0(VALU_DEP_1)
	v_add_co_ci_u32_e64 v62, s0, 0, v62, s0
	s_add_u32 s14, s14, 1
	s_addc_u32 s15, s15, 0
	s_and_not1_b32 s0, s19, exec_lo
	s_waitcnt vmcnt(1)
	v_lshlrev_b32_e32 v63, 16, v63
	s_waitcnt vmcnt(0)
	v_lshlrev_b32_e32 v64, 16, v64
	s_delay_alu instid0(VALU_DEP_1) | instskip(SKIP_1) | instid1(SALU_CYCLE_1)
	v_cmp_neq_f32_e32 vcc_lo, v64, v63
	s_and_b32 s19, vcc_lo, exec_lo
	s_or_b32 s19, s0, s19
.LBB1171_859:                           ;   in Loop: Header=BB1171_860 Depth=1
	v_dual_mov_b32 v64, s15 :: v_dual_mov_b32 v63, s14
	s_and_b32 s0, exec_lo, s19
	s_delay_alu instid0(SALU_CYCLE_1) | instskip(NEXT) | instid1(SALU_CYCLE_1)
	s_or_b32 s18, s0, s18
	s_and_not1_b32 exec_lo, exec_lo, s18
	s_cbranch_execz .LBB1171_862
.LBB1171_860:                           ; =>This Inner Loop Header: Depth=1
	s_or_b32 s19, s19, exec_lo
	s_cmp_eq_u64 s[12:13], s[14:15]
	s_cbranch_scc0 .LBB1171_858
; %bb.861:                              ;   in Loop: Header=BB1171_860 Depth=1
	s_mov_b64 s[14:15], s[8:9]
                                        ; implicit-def: $vgpr59_vgpr60
                                        ; implicit-def: $vgpr61_vgpr62
	s_branch .LBB1171_859
.LBB1171_862:
	s_set_inst_prefetch_distance 0x2
	s_or_b32 exec_lo, exec_lo, s18
	v_cmp_gt_i64_e32 vcc_lo, s[8:9], v[63:64]
	s_mov_b32 s0, 0
	s_delay_alu instid0(SALU_CYCLE_1)
	v_mov_b32_e32 v156, s0
	v_cndmask_b32_e64 v155, 0, 1, vcc_lo
.LBB1171_863:
	s_or_b32 exec_lo, exec_lo, s3
.LBB1171_864:
	v_mul_lo_u32 v61, v18, s8
	v_mul_lo_u32 v62, v17, s9
	v_mad_u64_u32 v[59:60], null, v17, s8, 0
	v_mov_b32_e32 v159, 0
	v_mov_b32_e32 v160, 0
	v_cmp_ne_u32_e32 vcc_lo, 1, v65
	s_delay_alu instid0(VALU_DEP_2) | instskip(SKIP_1) | instid1(VALU_DEP_1)
	v_dual_mov_b32 v157, v159 :: v_dual_mov_b32 v158, v160
	v_add3_u32 v60, v60, v62, v61
	v_lshlrev_b64 v[59:60], 1, v[59:60]
	s_cbranch_vccnz .LBB1171_873
; %bb.865:
	s_delay_alu instid0(VALU_DEP_1) | instskip(NEXT) | instid1(VALU_DEP_2)
	v_add_co_u32 v63, vcc_lo, s10, v59
	v_add_co_ci_u32_e32 v64, vcc_lo, s11, v60, vcc_lo
	v_add_co_u32 v61, vcc_lo, s10, v57
	v_add_co_ci_u32_e32 v62, vcc_lo, s11, v58, vcc_lo
	s_mov_b32 s3, exec_lo
	s_clause 0x1
	global_load_u16 v57, v[63:64], off
	global_load_u16 v58, v[61:62], off
	v_mov_b32_e32 v157, 1
	s_waitcnt vmcnt(1)
	v_dual_mov_b32 v158, 0 :: v_dual_lshlrev_b32 v57, 16, v57
	s_waitcnt vmcnt(0)
	v_lshlrev_b32_e32 v58, 16, v58
	s_delay_alu instid0(VALU_DEP_1)
	v_cmpx_eq_f32_e32 v58, v57
	s_cbranch_execz .LBB1171_872
; %bb.866:
	v_add_co_u32 v57, vcc_lo, v63, 2
	v_add_co_ci_u32_e32 v58, vcc_lo, 0, v64, vcc_lo
	v_add_co_u32 v61, vcc_lo, v61, 2
	v_add_co_ci_u32_e32 v62, vcc_lo, 0, v62, vcc_lo
	s_add_u32 s12, s8, -1
	s_addc_u32 s13, s9, -1
	s_mov_b64 s[14:15], 0
	s_mov_b32 s18, 0
                                        ; implicit-def: $sgpr19
	s_set_inst_prefetch_distance 0x1
	s_branch .LBB1171_869
	.p2align	6
.LBB1171_867:                           ;   in Loop: Header=BB1171_869 Depth=1
	global_load_u16 v63, v[57:58], off
	global_load_u16 v64, v[61:62], off
	v_add_co_u32 v57, vcc_lo, v57, 2
	v_add_co_ci_u32_e32 v58, vcc_lo, 0, v58, vcc_lo
	v_add_co_u32 v61, s0, v61, 2
	s_delay_alu instid0(VALU_DEP_1)
	v_add_co_ci_u32_e64 v62, s0, 0, v62, s0
	s_add_u32 s14, s14, 1
	s_addc_u32 s15, s15, 0
	s_and_not1_b32 s0, s19, exec_lo
	s_waitcnt vmcnt(1)
	v_lshlrev_b32_e32 v63, 16, v63
	s_waitcnt vmcnt(0)
	v_lshlrev_b32_e32 v64, 16, v64
	s_delay_alu instid0(VALU_DEP_1) | instskip(SKIP_1) | instid1(SALU_CYCLE_1)
	v_cmp_neq_f32_e32 vcc_lo, v64, v63
	s_and_b32 s19, vcc_lo, exec_lo
	s_or_b32 s19, s0, s19
.LBB1171_868:                           ;   in Loop: Header=BB1171_869 Depth=1
	v_dual_mov_b32 v64, s15 :: v_dual_mov_b32 v63, s14
	s_and_b32 s0, exec_lo, s19
	s_delay_alu instid0(SALU_CYCLE_1) | instskip(NEXT) | instid1(SALU_CYCLE_1)
	s_or_b32 s18, s0, s18
	s_and_not1_b32 exec_lo, exec_lo, s18
	s_cbranch_execz .LBB1171_871
.LBB1171_869:                           ; =>This Inner Loop Header: Depth=1
	s_or_b32 s19, s19, exec_lo
	s_cmp_eq_u64 s[12:13], s[14:15]
	s_cbranch_scc0 .LBB1171_867
; %bb.870:                              ;   in Loop: Header=BB1171_869 Depth=1
	s_mov_b64 s[14:15], s[8:9]
                                        ; implicit-def: $vgpr57_vgpr58
                                        ; implicit-def: $vgpr61_vgpr62
	s_branch .LBB1171_868
.LBB1171_871:
	s_set_inst_prefetch_distance 0x2
	s_or_b32 exec_lo, exec_lo, s18
	v_cmp_gt_i64_e32 vcc_lo, s[8:9], v[63:64]
	s_mov_b32 s0, 0
	s_delay_alu instid0(SALU_CYCLE_1)
	v_mov_b32_e32 v158, s0
	v_cndmask_b32_e64 v157, 0, 1, vcc_lo
.LBB1171_872:
	s_or_b32 exec_lo, exec_lo, s3
.LBB1171_873:
	v_mul_lo_u32 v61, v16, s8
	v_mul_lo_u32 v62, v15, s9
	v_mad_u64_u32 v[57:58], null, v15, s8, 0
	v_cmp_ne_u32_e32 vcc_lo, 1, v65
	s_delay_alu instid0(VALU_DEP_2) | instskip(NEXT) | instid1(VALU_DEP_1)
	v_add3_u32 v58, v58, v62, v61
	v_lshlrev_b64 v[57:58], 1, v[57:58]
	s_cbranch_vccnz .LBB1171_882
; %bb.874:
	s_delay_alu instid0(VALU_DEP_1) | instskip(NEXT) | instid1(VALU_DEP_2)
	v_add_co_u32 v63, vcc_lo, s10, v57
	v_add_co_ci_u32_e32 v64, vcc_lo, s11, v58, vcc_lo
	v_add_co_u32 v61, vcc_lo, s10, v59
	v_add_co_ci_u32_e32 v62, vcc_lo, s11, v60, vcc_lo
	s_mov_b32 s3, exec_lo
	s_clause 0x1
	global_load_u16 v59, v[63:64], off
	global_load_u16 v60, v[61:62], off
	v_mov_b32_e32 v159, 1
	s_waitcnt vmcnt(1)
	v_dual_mov_b32 v160, 0 :: v_dual_lshlrev_b32 v59, 16, v59
	s_waitcnt vmcnt(0)
	v_lshlrev_b32_e32 v60, 16, v60
	s_delay_alu instid0(VALU_DEP_1)
	v_cmpx_eq_f32_e32 v60, v59
	s_cbranch_execz .LBB1171_881
; %bb.875:
	v_add_co_u32 v59, vcc_lo, v63, 2
	v_add_co_ci_u32_e32 v60, vcc_lo, 0, v64, vcc_lo
	v_add_co_u32 v61, vcc_lo, v61, 2
	v_add_co_ci_u32_e32 v62, vcc_lo, 0, v62, vcc_lo
	s_add_u32 s12, s8, -1
	s_addc_u32 s13, s9, -1
	s_mov_b64 s[14:15], 0
	s_mov_b32 s18, 0
                                        ; implicit-def: $sgpr19
	s_set_inst_prefetch_distance 0x1
	s_branch .LBB1171_878
	.p2align	6
.LBB1171_876:                           ;   in Loop: Header=BB1171_878 Depth=1
	global_load_u16 v63, v[59:60], off
	global_load_u16 v64, v[61:62], off
	v_add_co_u32 v59, vcc_lo, v59, 2
	v_add_co_ci_u32_e32 v60, vcc_lo, 0, v60, vcc_lo
	v_add_co_u32 v61, s0, v61, 2
	s_delay_alu instid0(VALU_DEP_1)
	v_add_co_ci_u32_e64 v62, s0, 0, v62, s0
	s_add_u32 s14, s14, 1
	s_addc_u32 s15, s15, 0
	s_and_not1_b32 s0, s19, exec_lo
	s_waitcnt vmcnt(1)
	v_lshlrev_b32_e32 v63, 16, v63
	s_waitcnt vmcnt(0)
	v_lshlrev_b32_e32 v64, 16, v64
	s_delay_alu instid0(VALU_DEP_1) | instskip(SKIP_1) | instid1(SALU_CYCLE_1)
	v_cmp_neq_f32_e32 vcc_lo, v64, v63
	s_and_b32 s19, vcc_lo, exec_lo
	s_or_b32 s19, s0, s19
.LBB1171_877:                           ;   in Loop: Header=BB1171_878 Depth=1
	v_dual_mov_b32 v64, s15 :: v_dual_mov_b32 v63, s14
	s_and_b32 s0, exec_lo, s19
	s_delay_alu instid0(SALU_CYCLE_1) | instskip(NEXT) | instid1(SALU_CYCLE_1)
	s_or_b32 s18, s0, s18
	s_and_not1_b32 exec_lo, exec_lo, s18
	s_cbranch_execz .LBB1171_880
.LBB1171_878:                           ; =>This Inner Loop Header: Depth=1
	s_or_b32 s19, s19, exec_lo
	s_cmp_eq_u64 s[12:13], s[14:15]
	s_cbranch_scc0 .LBB1171_876
; %bb.879:                              ;   in Loop: Header=BB1171_878 Depth=1
	s_mov_b64 s[14:15], s[8:9]
                                        ; implicit-def: $vgpr59_vgpr60
                                        ; implicit-def: $vgpr61_vgpr62
	s_branch .LBB1171_877
.LBB1171_880:
	s_set_inst_prefetch_distance 0x2
	s_or_b32 exec_lo, exec_lo, s18
	v_cmp_gt_i64_e32 vcc_lo, s[8:9], v[63:64]
	s_mov_b32 s0, 0
	s_delay_alu instid0(SALU_CYCLE_1)
	v_mov_b32_e32 v160, s0
	v_cndmask_b32_e64 v159, 0, 1, vcc_lo
.LBB1171_881:
	s_or_b32 exec_lo, exec_lo, s3
.LBB1171_882:
	v_mul_lo_u32 v61, v14, s8
	v_mul_lo_u32 v62, v13, s9
	v_mad_u64_u32 v[59:60], null, v13, s8, 0
	v_mov_b32_e32 v163, 0
	v_mov_b32_e32 v164, 0
	v_cmp_ne_u32_e32 vcc_lo, 1, v65
	s_delay_alu instid0(VALU_DEP_2) | instskip(SKIP_1) | instid1(VALU_DEP_1)
	v_dual_mov_b32 v161, v163 :: v_dual_mov_b32 v162, v164
	v_add3_u32 v60, v60, v62, v61
	v_lshlrev_b64 v[59:60], 1, v[59:60]
	s_cbranch_vccnz .LBB1171_891
; %bb.883:
	s_delay_alu instid0(VALU_DEP_1) | instskip(NEXT) | instid1(VALU_DEP_2)
	v_add_co_u32 v63, vcc_lo, s10, v59
	v_add_co_ci_u32_e32 v64, vcc_lo, s11, v60, vcc_lo
	v_add_co_u32 v61, vcc_lo, s10, v57
	v_add_co_ci_u32_e32 v62, vcc_lo, s11, v58, vcc_lo
	s_mov_b32 s3, exec_lo
	s_clause 0x1
	global_load_u16 v57, v[63:64], off
	global_load_u16 v58, v[61:62], off
	v_mov_b32_e32 v161, 1
	s_waitcnt vmcnt(1)
	v_dual_mov_b32 v162, 0 :: v_dual_lshlrev_b32 v57, 16, v57
	s_waitcnt vmcnt(0)
	v_lshlrev_b32_e32 v58, 16, v58
	s_delay_alu instid0(VALU_DEP_1)
	v_cmpx_eq_f32_e32 v58, v57
	s_cbranch_execz .LBB1171_890
; %bb.884:
	v_add_co_u32 v57, vcc_lo, v63, 2
	v_add_co_ci_u32_e32 v58, vcc_lo, 0, v64, vcc_lo
	v_add_co_u32 v61, vcc_lo, v61, 2
	v_add_co_ci_u32_e32 v62, vcc_lo, 0, v62, vcc_lo
	s_add_u32 s12, s8, -1
	s_addc_u32 s13, s9, -1
	s_mov_b64 s[14:15], 0
	s_mov_b32 s18, 0
                                        ; implicit-def: $sgpr19
	s_set_inst_prefetch_distance 0x1
	s_branch .LBB1171_887
	.p2align	6
.LBB1171_885:                           ;   in Loop: Header=BB1171_887 Depth=1
	global_load_u16 v63, v[57:58], off
	global_load_u16 v64, v[61:62], off
	v_add_co_u32 v57, vcc_lo, v57, 2
	v_add_co_ci_u32_e32 v58, vcc_lo, 0, v58, vcc_lo
	v_add_co_u32 v61, s0, v61, 2
	s_delay_alu instid0(VALU_DEP_1)
	v_add_co_ci_u32_e64 v62, s0, 0, v62, s0
	s_add_u32 s14, s14, 1
	s_addc_u32 s15, s15, 0
	s_and_not1_b32 s0, s19, exec_lo
	s_waitcnt vmcnt(1)
	v_lshlrev_b32_e32 v63, 16, v63
	s_waitcnt vmcnt(0)
	v_lshlrev_b32_e32 v64, 16, v64
	s_delay_alu instid0(VALU_DEP_1) | instskip(SKIP_1) | instid1(SALU_CYCLE_1)
	v_cmp_neq_f32_e32 vcc_lo, v64, v63
	s_and_b32 s19, vcc_lo, exec_lo
	s_or_b32 s19, s0, s19
.LBB1171_886:                           ;   in Loop: Header=BB1171_887 Depth=1
	v_dual_mov_b32 v64, s15 :: v_dual_mov_b32 v63, s14
	s_and_b32 s0, exec_lo, s19
	s_delay_alu instid0(SALU_CYCLE_1) | instskip(NEXT) | instid1(SALU_CYCLE_1)
	s_or_b32 s18, s0, s18
	s_and_not1_b32 exec_lo, exec_lo, s18
	s_cbranch_execz .LBB1171_889
.LBB1171_887:                           ; =>This Inner Loop Header: Depth=1
	s_or_b32 s19, s19, exec_lo
	s_cmp_eq_u64 s[12:13], s[14:15]
	s_cbranch_scc0 .LBB1171_885
; %bb.888:                              ;   in Loop: Header=BB1171_887 Depth=1
	s_mov_b64 s[14:15], s[8:9]
                                        ; implicit-def: $vgpr57_vgpr58
                                        ; implicit-def: $vgpr61_vgpr62
	s_branch .LBB1171_886
.LBB1171_889:
	s_set_inst_prefetch_distance 0x2
	s_or_b32 exec_lo, exec_lo, s18
	v_cmp_gt_i64_e32 vcc_lo, s[8:9], v[63:64]
	s_mov_b32 s0, 0
	s_delay_alu instid0(SALU_CYCLE_1)
	v_mov_b32_e32 v162, s0
	v_cndmask_b32_e64 v161, 0, 1, vcc_lo
.LBB1171_890:
	s_or_b32 exec_lo, exec_lo, s3
.LBB1171_891:
	v_mul_lo_u32 v61, v4, s8
	v_mul_lo_u32 v62, v3, s9
	v_mad_u64_u32 v[57:58], null, v3, s8, 0
	v_cmp_ne_u32_e32 vcc_lo, 1, v65
	s_delay_alu instid0(VALU_DEP_2) | instskip(NEXT) | instid1(VALU_DEP_1)
	v_add3_u32 v58, v58, v62, v61
	v_lshlrev_b64 v[57:58], 1, v[57:58]
	s_cbranch_vccnz .LBB1171_900
; %bb.892:
	s_delay_alu instid0(VALU_DEP_1) | instskip(NEXT) | instid1(VALU_DEP_2)
	v_add_co_u32 v63, vcc_lo, s10, v57
	v_add_co_ci_u32_e32 v64, vcc_lo, s11, v58, vcc_lo
	v_add_co_u32 v61, vcc_lo, s10, v59
	v_add_co_ci_u32_e32 v62, vcc_lo, s11, v60, vcc_lo
	s_mov_b32 s3, exec_lo
	s_clause 0x1
	global_load_u16 v59, v[63:64], off
	global_load_u16 v60, v[61:62], off
	v_mov_b32_e32 v163, 1
	s_waitcnt vmcnt(1)
	v_dual_mov_b32 v164, 0 :: v_dual_lshlrev_b32 v59, 16, v59
	s_waitcnt vmcnt(0)
	v_lshlrev_b32_e32 v60, 16, v60
	s_delay_alu instid0(VALU_DEP_1)
	v_cmpx_eq_f32_e32 v60, v59
	s_cbranch_execz .LBB1171_899
; %bb.893:
	v_add_co_u32 v59, vcc_lo, v63, 2
	v_add_co_ci_u32_e32 v60, vcc_lo, 0, v64, vcc_lo
	v_add_co_u32 v61, vcc_lo, v61, 2
	v_add_co_ci_u32_e32 v62, vcc_lo, 0, v62, vcc_lo
	s_add_u32 s12, s8, -1
	s_addc_u32 s13, s9, -1
	s_mov_b64 s[14:15], 0
	s_mov_b32 s18, 0
                                        ; implicit-def: $sgpr19
	s_set_inst_prefetch_distance 0x1
	s_branch .LBB1171_896
	.p2align	6
.LBB1171_894:                           ;   in Loop: Header=BB1171_896 Depth=1
	global_load_u16 v63, v[59:60], off
	global_load_u16 v64, v[61:62], off
	v_add_co_u32 v59, vcc_lo, v59, 2
	v_add_co_ci_u32_e32 v60, vcc_lo, 0, v60, vcc_lo
	v_add_co_u32 v61, s0, v61, 2
	s_delay_alu instid0(VALU_DEP_1)
	v_add_co_ci_u32_e64 v62, s0, 0, v62, s0
	s_add_u32 s14, s14, 1
	s_addc_u32 s15, s15, 0
	s_and_not1_b32 s0, s19, exec_lo
	s_waitcnt vmcnt(1)
	v_lshlrev_b32_e32 v63, 16, v63
	s_waitcnt vmcnt(0)
	v_lshlrev_b32_e32 v64, 16, v64
	s_delay_alu instid0(VALU_DEP_1) | instskip(SKIP_1) | instid1(SALU_CYCLE_1)
	v_cmp_neq_f32_e32 vcc_lo, v64, v63
	s_and_b32 s19, vcc_lo, exec_lo
	s_or_b32 s19, s0, s19
.LBB1171_895:                           ;   in Loop: Header=BB1171_896 Depth=1
	v_dual_mov_b32 v64, s15 :: v_dual_mov_b32 v63, s14
	s_and_b32 s0, exec_lo, s19
	s_delay_alu instid0(SALU_CYCLE_1) | instskip(NEXT) | instid1(SALU_CYCLE_1)
	s_or_b32 s18, s0, s18
	s_and_not1_b32 exec_lo, exec_lo, s18
	s_cbranch_execz .LBB1171_898
.LBB1171_896:                           ; =>This Inner Loop Header: Depth=1
	s_or_b32 s19, s19, exec_lo
	s_cmp_eq_u64 s[12:13], s[14:15]
	s_cbranch_scc0 .LBB1171_894
; %bb.897:                              ;   in Loop: Header=BB1171_896 Depth=1
	s_mov_b64 s[14:15], s[8:9]
                                        ; implicit-def: $vgpr59_vgpr60
                                        ; implicit-def: $vgpr61_vgpr62
	s_branch .LBB1171_895
.LBB1171_898:
	s_set_inst_prefetch_distance 0x2
	s_or_b32 exec_lo, exec_lo, s18
	v_cmp_gt_i64_e32 vcc_lo, s[8:9], v[63:64]
	s_mov_b32 s0, 0
	s_delay_alu instid0(SALU_CYCLE_1)
	v_mov_b32_e32 v164, s0
	v_cndmask_b32_e64 v163, 0, 1, vcc_lo
.LBB1171_899:
	s_or_b32 exec_lo, exec_lo, s3
.LBB1171_900:
	v_cmp_ne_u32_e32 vcc_lo, 1, v65
	s_cbranch_vccnz .LBB1171_907
; %bb.901:
	v_mul_lo_u32 v61, v2, s8
	v_mul_lo_u32 v62, v1, s9
	v_mad_u64_u32 v[59:60], null, v1, s8, 0
	s_mov_b32 s3, exec_lo
	v_mov_b32_e32 v165, 1
	v_mov_b32_e32 v166, 0
	s_delay_alu instid0(VALU_DEP_3) | instskip(NEXT) | instid1(VALU_DEP_1)
	v_add3_u32 v60, v60, v62, v61
	v_lshlrev_b64 v[59:60], 1, v[59:60]
	s_delay_alu instid0(VALU_DEP_1) | instskip(NEXT) | instid1(VALU_DEP_2)
	v_add_co_u32 v61, vcc_lo, s10, v59
	v_add_co_ci_u32_e32 v62, vcc_lo, s11, v60, vcc_lo
	v_add_co_u32 v59, vcc_lo, s10, v57
	v_add_co_ci_u32_e32 v60, vcc_lo, s11, v58, vcc_lo
	s_clause 0x1
	global_load_u16 v57, v[61:62], off
	global_load_u16 v58, v[59:60], off
	s_waitcnt vmcnt(1)
	v_lshlrev_b32_e32 v57, 16, v57
	s_waitcnt vmcnt(0)
	v_lshlrev_b32_e32 v58, 16, v58
	s_delay_alu instid0(VALU_DEP_1)
	v_cmpx_eq_f32_e32 v58, v57
	s_cbranch_execz .LBB1171_909
; %bb.902:
	v_add_co_u32 v57, vcc_lo, v61, 2
	v_add_co_ci_u32_e32 v58, vcc_lo, 0, v62, vcc_lo
	v_add_co_u32 v59, vcc_lo, v59, 2
	v_add_co_ci_u32_e32 v60, vcc_lo, 0, v60, vcc_lo
	s_add_u32 s12, s8, -1
	s_addc_u32 s13, s9, -1
	s_mov_b64 s[14:15], 0
	s_mov_b32 s18, 0
                                        ; implicit-def: $sgpr19
	s_set_inst_prefetch_distance 0x1
	s_branch .LBB1171_905
	.p2align	6
.LBB1171_903:                           ;   in Loop: Header=BB1171_905 Depth=1
	global_load_u16 v61, v[57:58], off
	global_load_u16 v62, v[59:60], off
	v_add_co_u32 v57, vcc_lo, v57, 2
	v_add_co_ci_u32_e32 v58, vcc_lo, 0, v58, vcc_lo
	v_add_co_u32 v59, s0, v59, 2
	s_delay_alu instid0(VALU_DEP_1)
	v_add_co_ci_u32_e64 v60, s0, 0, v60, s0
	s_add_u32 s14, s14, 1
	s_addc_u32 s15, s15, 0
	s_and_not1_b32 s0, s19, exec_lo
	s_waitcnt vmcnt(1)
	v_lshlrev_b32_e32 v61, 16, v61
	s_waitcnt vmcnt(0)
	v_lshlrev_b32_e32 v62, 16, v62
	s_delay_alu instid0(VALU_DEP_1) | instskip(SKIP_1) | instid1(SALU_CYCLE_1)
	v_cmp_neq_f32_e32 vcc_lo, v62, v61
	s_and_b32 s19, vcc_lo, exec_lo
	s_or_b32 s19, s0, s19
.LBB1171_904:                           ;   in Loop: Header=BB1171_905 Depth=1
	v_dual_mov_b32 v62, s15 :: v_dual_mov_b32 v61, s14
	s_and_b32 s0, exec_lo, s19
	s_delay_alu instid0(SALU_CYCLE_1) | instskip(NEXT) | instid1(SALU_CYCLE_1)
	s_or_b32 s18, s0, s18
	s_and_not1_b32 exec_lo, exec_lo, s18
	s_cbranch_execz .LBB1171_908
.LBB1171_905:                           ; =>This Inner Loop Header: Depth=1
	s_or_b32 s19, s19, exec_lo
	s_cmp_eq_u64 s[12:13], s[14:15]
	s_cbranch_scc0 .LBB1171_903
; %bb.906:                              ;   in Loop: Header=BB1171_905 Depth=1
	s_mov_b64 s[14:15], s[8:9]
                                        ; implicit-def: $vgpr57_vgpr58
                                        ; implicit-def: $vgpr59_vgpr60
	s_branch .LBB1171_904
.LBB1171_907:
	v_mov_b32_e32 v165, 0
	v_mov_b32_e32 v166, 0
	s_branch .LBB1171_910
.LBB1171_908:
	s_set_inst_prefetch_distance 0x2
	s_or_b32 exec_lo, exec_lo, s18
	v_cmp_gt_i64_e32 vcc_lo, s[8:9], v[61:62]
	s_mov_b32 s0, 0
	s_delay_alu instid0(SALU_CYCLE_1)
	v_mov_b32_e32 v166, s0
	v_cndmask_b32_e64 v165, 0, 1, vcc_lo
.LBB1171_909:
	s_or_b32 exec_lo, exec_lo, s3
.LBB1171_910:
	s_mov_b32 s3, 0
	s_mov_b32 s18, exec_lo
	s_waitcnt lgkmcnt(0)
	s_barrier
	buffer_gl0_inv
                                        ; implicit-def: $sgpr0
	v_cmpx_ne_u32_e32 0, v0
	s_cbranch_execz .LBB1171_922
; %bb.911:
	v_cmp_ne_u32_e32 vcc_lo, 1, v65
	s_cbranch_vccnz .LBB1171_918
; %bb.912:
	v_add_nc_u32_e32 v57, -8, v195
	v_mul_lo_u32 v63, v2, s8
	v_mul_lo_u32 v64, v1, s9
	v_mad_u64_u32 v[59:60], null, v1, s8, 0
	ds_load_b64 v[57:58], v57
	s_mov_b32 s0, -1
	s_mov_b32 s19, exec_lo
	v_add3_u32 v60, v60, v64, v63
	s_waitcnt lgkmcnt(0)
	v_mul_lo_u32 v58, v58, s8
	v_mul_lo_u32 v65, v57, s9
	v_mad_u64_u32 v[61:62], null, v57, s8, 0
	s_delay_alu instid0(VALU_DEP_1) | instskip(SKIP_1) | instid1(VALU_DEP_2)
	v_add3_u32 v62, v62, v65, v58
	v_lshlrev_b64 v[57:58], 1, v[59:60]
	v_lshlrev_b64 v[61:62], 1, v[61:62]
	s_delay_alu instid0(VALU_DEP_2) | instskip(NEXT) | instid1(VALU_DEP_3)
	v_add_co_u32 v59, vcc_lo, s10, v57
	v_add_co_ci_u32_e32 v60, vcc_lo, s11, v58, vcc_lo
	s_delay_alu instid0(VALU_DEP_3) | instskip(NEXT) | instid1(VALU_DEP_4)
	v_add_co_u32 v57, vcc_lo, s10, v61
	v_add_co_ci_u32_e32 v58, vcc_lo, s11, v62, vcc_lo
	s_clause 0x1
	global_load_u16 v61, v[59:60], off
	global_load_u16 v62, v[57:58], off
	s_waitcnt vmcnt(1)
	v_lshlrev_b32_e32 v61, 16, v61
	s_waitcnt vmcnt(0)
	v_lshlrev_b32_e32 v62, 16, v62
	s_delay_alu instid0(VALU_DEP_1)
	v_cmpx_eq_f32_e32 v61, v62
	s_cbranch_execz .LBB1171_920
; %bb.913:
	v_add_co_u32 v57, vcc_lo, v57, 2
	v_add_co_ci_u32_e32 v58, vcc_lo, 0, v58, vcc_lo
	v_add_co_u32 v59, vcc_lo, v59, 2
	v_add_co_ci_u32_e32 v60, vcc_lo, 0, v60, vcc_lo
	s_add_u32 s12, s8, -1
	s_addc_u32 s13, s9, -1
	s_mov_b64 s[14:15], 0
	s_mov_b32 s20, 0
                                        ; implicit-def: $sgpr21
	s_set_inst_prefetch_distance 0x1
	s_branch .LBB1171_916
	.p2align	6
.LBB1171_914:                           ;   in Loop: Header=BB1171_916 Depth=1
	global_load_u16 v61, v[57:58], off
	global_load_u16 v62, v[59:60], off
	v_add_co_u32 v57, vcc_lo, v57, 2
	v_add_co_ci_u32_e32 v58, vcc_lo, 0, v58, vcc_lo
	v_add_co_u32 v59, s0, v59, 2
	s_delay_alu instid0(VALU_DEP_1)
	v_add_co_ci_u32_e64 v60, s0, 0, v60, s0
	s_add_u32 s14, s14, 1
	s_addc_u32 s15, s15, 0
	s_and_not1_b32 s0, s21, exec_lo
	s_waitcnt vmcnt(1)
	v_lshlrev_b32_e32 v61, 16, v61
	s_waitcnt vmcnt(0)
	v_lshlrev_b32_e32 v62, 16, v62
	s_delay_alu instid0(VALU_DEP_1) | instskip(SKIP_1) | instid1(SALU_CYCLE_1)
	v_cmp_neq_f32_e32 vcc_lo, v62, v61
	s_and_b32 s21, vcc_lo, exec_lo
	s_or_b32 s21, s0, s21
.LBB1171_915:                           ;   in Loop: Header=BB1171_916 Depth=1
	v_dual_mov_b32 v62, s15 :: v_dual_mov_b32 v61, s14
	s_and_b32 s0, exec_lo, s21
	s_delay_alu instid0(SALU_CYCLE_1) | instskip(NEXT) | instid1(SALU_CYCLE_1)
	s_or_b32 s20, s0, s20
	s_and_not1_b32 exec_lo, exec_lo, s20
	s_cbranch_execz .LBB1171_919
.LBB1171_916:                           ; =>This Inner Loop Header: Depth=1
	s_or_b32 s21, s21, exec_lo
	s_cmp_eq_u64 s[12:13], s[14:15]
	s_cbranch_scc0 .LBB1171_914
; %bb.917:                              ;   in Loop: Header=BB1171_916 Depth=1
	s_mov_b64 s[14:15], s[8:9]
                                        ; implicit-def: $vgpr57_vgpr58
                                        ; implicit-def: $vgpr59_vgpr60
	s_branch .LBB1171_915
.LBB1171_918:
	s_mov_b32 s0, 0
	s_branch .LBB1171_921
.LBB1171_919:
	s_set_inst_prefetch_distance 0x2
	s_or_b32 exec_lo, exec_lo, s20
	v_cmp_gt_i64_e32 vcc_lo, s[8:9], v[61:62]
	s_or_not1_b32 s0, vcc_lo, exec_lo
.LBB1171_920:
	s_or_b32 exec_lo, exec_lo, s19
.LBB1171_921:
	s_delay_alu instid0(SALU_CYCLE_1)
	s_and_b32 s0, s0, exec_lo
	s_or_b32 s1, s1, exec_lo
.LBB1171_922:
	s_or_b32 exec_lo, exec_lo, s18
	v_dual_mov_b32 v182, v166 :: v_dual_mov_b32 v181, v165
	v_dual_mov_b32 v168, v164 :: v_dual_mov_b32 v167, v163
	;; [unrolled: 1-line block ×27, first 2 shown]
	s_and_b32 vcc_lo, exec_lo, s3
	s_cbranch_vccz .LBB1171_1243
.LBB1171_923:
	v_cmp_gt_i64_e64 s0, s[8:9], 0
	s_waitcnt lgkmcnt(0)
	v_mad_u32_u24 v57, v0, 29, 28
	v_mul_u32_u24_e32 v64, 29, v0
	s_mov_b32 s3, exec_lo
	ds_store_b64 v195, v[109:110]
	v_cndmask_b32_e64 v63, 0, 1, s0
	v_cmpx_gt_u32_e64 s6, v57
	s_cbranch_execz .LBB1171_934
; %bb.924:
	s_and_not1_b32 vcc_lo, exec_lo, s0
	s_cbranch_vccnz .LBB1171_931
; %bb.925:
	v_mul_lo_u32 v61, v8, s8
	v_mul_lo_u32 v62, v7, s9
	v_mad_u64_u32 v[57:58], null, v7, s8, 0
	v_mul_lo_u32 v65, v110, s8
	v_mul_lo_u32 v66, v109, s9
	v_mad_u64_u32 v[59:60], null, v109, s8, 0
	s_mov_b32 s18, exec_lo
	v_mov_b32_e32 v109, 1
	v_add3_u32 v58, v58, v62, v61
	v_mov_b32_e32 v110, 0
	s_delay_alu instid0(VALU_DEP_4) | instskip(NEXT) | instid1(VALU_DEP_3)
	v_add3_u32 v60, v60, v66, v65
	v_lshlrev_b64 v[57:58], 1, v[57:58]
	s_delay_alu instid0(VALU_DEP_2) | instskip(NEXT) | instid1(VALU_DEP_2)
	v_lshlrev_b64 v[59:60], 1, v[59:60]
	v_add_co_u32 v57, vcc_lo, s10, v57
	s_delay_alu instid0(VALU_DEP_3) | instskip(NEXT) | instid1(VALU_DEP_3)
	v_add_co_ci_u32_e32 v58, vcc_lo, s11, v58, vcc_lo
	v_add_co_u32 v59, vcc_lo, s10, v59
	s_delay_alu instid0(VALU_DEP_4)
	v_add_co_ci_u32_e32 v60, vcc_lo, s11, v60, vcc_lo
	s_clause 0x1
	global_load_u16 v61, v[57:58], off
	global_load_u16 v62, v[59:60], off
	s_waitcnt vmcnt(1)
	v_lshlrev_b32_e32 v61, 16, v61
	s_waitcnt vmcnt(0)
	v_lshlrev_b32_e32 v62, 16, v62
	s_delay_alu instid0(VALU_DEP_1)
	v_cmpx_eq_f32_e32 v62, v61
	s_cbranch_execz .LBB1171_933
; %bb.926:
	v_add_co_u32 v57, vcc_lo, v57, 2
	v_add_co_ci_u32_e32 v58, vcc_lo, 0, v58, vcc_lo
	v_add_co_u32 v59, vcc_lo, v59, 2
	v_add_co_ci_u32_e32 v60, vcc_lo, 0, v60, vcc_lo
	s_add_u32 s12, s8, -1
	s_addc_u32 s13, s9, -1
	s_mov_b64 s[14:15], 0
	s_mov_b32 s19, 0
                                        ; implicit-def: $sgpr20
	s_set_inst_prefetch_distance 0x1
	s_branch .LBB1171_929
	.p2align	6
.LBB1171_927:                           ;   in Loop: Header=BB1171_929 Depth=1
	global_load_u16 v61, v[57:58], off
	global_load_u16 v62, v[59:60], off
	v_add_co_u32 v57, vcc_lo, v57, 2
	v_add_co_ci_u32_e32 v58, vcc_lo, 0, v58, vcc_lo
	v_add_co_u32 v59, s0, v59, 2
	s_delay_alu instid0(VALU_DEP_1)
	v_add_co_ci_u32_e64 v60, s0, 0, v60, s0
	s_add_u32 s14, s14, 1
	s_addc_u32 s15, s15, 0
	s_and_not1_b32 s0, s20, exec_lo
	s_waitcnt vmcnt(1)
	v_lshlrev_b32_e32 v61, 16, v61
	s_waitcnt vmcnt(0)
	v_lshlrev_b32_e32 v62, 16, v62
	s_delay_alu instid0(VALU_DEP_1) | instskip(SKIP_1) | instid1(SALU_CYCLE_1)
	v_cmp_neq_f32_e32 vcc_lo, v62, v61
	s_and_b32 s20, vcc_lo, exec_lo
	s_or_b32 s20, s0, s20
.LBB1171_928:                           ;   in Loop: Header=BB1171_929 Depth=1
	v_dual_mov_b32 v62, s15 :: v_dual_mov_b32 v61, s14
	s_and_b32 s0, exec_lo, s20
	s_delay_alu instid0(SALU_CYCLE_1) | instskip(NEXT) | instid1(SALU_CYCLE_1)
	s_or_b32 s19, s0, s19
	s_and_not1_b32 exec_lo, exec_lo, s19
	s_cbranch_execz .LBB1171_932
.LBB1171_929:                           ; =>This Inner Loop Header: Depth=1
	s_or_b32 s20, s20, exec_lo
	s_cmp_eq_u64 s[12:13], s[14:15]
	s_cbranch_scc0 .LBB1171_927
; %bb.930:                              ;   in Loop: Header=BB1171_929 Depth=1
	s_mov_b64 s[14:15], s[8:9]
                                        ; implicit-def: $vgpr57_vgpr58
                                        ; implicit-def: $vgpr59_vgpr60
	s_branch .LBB1171_928
.LBB1171_931:
	v_mov_b32_e32 v109, 0
	v_mov_b32_e32 v110, 0
	s_branch .LBB1171_934
.LBB1171_932:
	s_set_inst_prefetch_distance 0x2
	s_or_b32 exec_lo, exec_lo, s19
	v_cmp_gt_i64_e32 vcc_lo, s[8:9], v[61:62]
	s_mov_b32 s0, 0
	s_delay_alu instid0(SALU_CYCLE_1)
	v_mov_b32_e32 v110, s0
	v_cndmask_b32_e64 v109, 0, 1, vcc_lo
.LBB1171_933:
	s_or_b32 exec_lo, exec_lo, s18
.LBB1171_934:
	s_delay_alu instid0(SALU_CYCLE_1) | instskip(SKIP_2) | instid1(VALU_DEP_1)
	s_or_b32 exec_lo, exec_lo, s3
	v_add_nc_u32_e32 v57, 27, v64
	s_mov_b32 s3, exec_lo
	v_cmpx_gt_u32_e64 s6, v57
	s_cbranch_execz .LBB1171_945
; %bb.935:
	v_cmp_ne_u32_e32 vcc_lo, 1, v63
	s_cbranch_vccnz .LBB1171_942
; %bb.936:
	v_mul_lo_u32 v61, v6, s8
	v_mul_lo_u32 v62, v5, s9
	v_mad_u64_u32 v[57:58], null, v5, s8, 0
	v_mul_lo_u32 v8, v8, s8
	v_mul_lo_u32 v65, v7, s9
	v_mad_u64_u32 v[59:60], null, v7, s8, 0
	s_mov_b32 s18, exec_lo
	s_delay_alu instid0(VALU_DEP_4) | instskip(NEXT) | instid1(VALU_DEP_2)
	v_add3_u32 v58, v58, v62, v61
	v_add3_u32 v60, v60, v65, v8
	s_delay_alu instid0(VALU_DEP_2) | instskip(NEXT) | instid1(VALU_DEP_2)
	v_lshlrev_b64 v[7:8], 1, v[57:58]
	v_lshlrev_b64 v[57:58], 1, v[59:60]
	s_delay_alu instid0(VALU_DEP_2) | instskip(NEXT) | instid1(VALU_DEP_3)
	v_add_co_u32 v59, vcc_lo, s10, v7
	v_add_co_ci_u32_e32 v60, vcc_lo, s11, v8, vcc_lo
	s_delay_alu instid0(VALU_DEP_3) | instskip(NEXT) | instid1(VALU_DEP_4)
	v_add_co_u32 v57, vcc_lo, s10, v57
	v_add_co_ci_u32_e32 v58, vcc_lo, s11, v58, vcc_lo
	s_clause 0x1
	global_load_u16 v7, v[59:60], off
	global_load_u16 v8, v[57:58], off
	s_waitcnt vmcnt(1)
	v_lshlrev_b32_e32 v61, 16, v7
	s_waitcnt vmcnt(0)
	v_dual_mov_b32 v7, 1 :: v_dual_lshlrev_b32 v62, 16, v8
	v_mov_b32_e32 v8, 0
	s_delay_alu instid0(VALU_DEP_2)
	v_cmpx_eq_f32_e32 v62, v61
	s_cbranch_execz .LBB1171_944
; %bb.937:
	v_add_co_u32 v7, vcc_lo, v59, 2
	v_add_co_ci_u32_e32 v8, vcc_lo, 0, v60, vcc_lo
	v_add_co_u32 v57, vcc_lo, v57, 2
	v_add_co_ci_u32_e32 v58, vcc_lo, 0, v58, vcc_lo
	s_add_u32 s12, s8, -1
	s_addc_u32 s13, s9, -1
	s_mov_b64 s[14:15], 0
	s_mov_b32 s19, 0
                                        ; implicit-def: $sgpr20
	s_set_inst_prefetch_distance 0x1
	s_branch .LBB1171_940
	.p2align	6
.LBB1171_938:                           ;   in Loop: Header=BB1171_940 Depth=1
	global_load_u16 v59, v[7:8], off
	global_load_u16 v60, v[57:58], off
	v_add_co_u32 v7, vcc_lo, v7, 2
	v_add_co_ci_u32_e32 v8, vcc_lo, 0, v8, vcc_lo
	v_add_co_u32 v57, s0, v57, 2
	s_delay_alu instid0(VALU_DEP_1)
	v_add_co_ci_u32_e64 v58, s0, 0, v58, s0
	s_add_u32 s14, s14, 1
	s_addc_u32 s15, s15, 0
	s_and_not1_b32 s0, s20, exec_lo
	s_waitcnt vmcnt(1)
	v_lshlrev_b32_e32 v59, 16, v59
	s_waitcnt vmcnt(0)
	v_lshlrev_b32_e32 v60, 16, v60
	s_delay_alu instid0(VALU_DEP_1) | instskip(SKIP_1) | instid1(SALU_CYCLE_1)
	v_cmp_neq_f32_e32 vcc_lo, v60, v59
	s_and_b32 s20, vcc_lo, exec_lo
	s_or_b32 s20, s0, s20
.LBB1171_939:                           ;   in Loop: Header=BB1171_940 Depth=1
	v_dual_mov_b32 v60, s15 :: v_dual_mov_b32 v59, s14
	s_and_b32 s0, exec_lo, s20
	s_delay_alu instid0(SALU_CYCLE_1) | instskip(NEXT) | instid1(SALU_CYCLE_1)
	s_or_b32 s19, s0, s19
	s_and_not1_b32 exec_lo, exec_lo, s19
	s_cbranch_execz .LBB1171_943
.LBB1171_940:                           ; =>This Inner Loop Header: Depth=1
	s_or_b32 s20, s20, exec_lo
	s_cmp_eq_u64 s[12:13], s[14:15]
	s_cbranch_scc0 .LBB1171_938
; %bb.941:                              ;   in Loop: Header=BB1171_940 Depth=1
	s_mov_b64 s[14:15], s[8:9]
                                        ; implicit-def: $vgpr7_vgpr8
                                        ; implicit-def: $vgpr57_vgpr58
	s_branch .LBB1171_939
.LBB1171_942:
	v_mov_b32_e32 v7, 0
	v_mov_b32_e32 v8, 0
	s_branch .LBB1171_945
.LBB1171_943:
	s_set_inst_prefetch_distance 0x2
	s_or_b32 exec_lo, exec_lo, s19
	v_cmp_gt_i64_e32 vcc_lo, s[8:9], v[59:60]
	s_mov_b32 s0, 0
	s_delay_alu instid0(SALU_CYCLE_1)
	v_mov_b32_e32 v8, s0
	v_cndmask_b32_e64 v7, 0, 1, vcc_lo
.LBB1171_944:
	s_or_b32 exec_lo, exec_lo, s18
.LBB1171_945:
	s_delay_alu instid0(SALU_CYCLE_1) | instskip(SKIP_2) | instid1(VALU_DEP_1)
	s_or_b32 exec_lo, exec_lo, s3
	v_add_nc_u32_e32 v57, 26, v64
	s_mov_b32 s3, exec_lo
	v_cmpx_gt_u32_e64 s6, v57
	s_cbranch_execz .LBB1171_956
; %bb.946:
	v_cmp_ne_u32_e32 vcc_lo, 1, v63
	s_cbranch_vccnz .LBB1171_953
; %bb.947:
	v_mul_lo_u32 v61, v12, s8
	v_mul_lo_u32 v62, v11, s9
	v_mad_u64_u32 v[57:58], null, v11, s8, 0
	v_mul_lo_u32 v6, v6, s8
	v_mul_lo_u32 v65, v5, s9
	v_mad_u64_u32 v[59:60], null, v5, s8, 0
	s_mov_b32 s18, exec_lo
	s_delay_alu instid0(VALU_DEP_4) | instskip(NEXT) | instid1(VALU_DEP_2)
	v_add3_u32 v58, v58, v62, v61
	v_add3_u32 v60, v60, v65, v6
	s_delay_alu instid0(VALU_DEP_2) | instskip(NEXT) | instid1(VALU_DEP_2)
	v_lshlrev_b64 v[5:6], 1, v[57:58]
	v_lshlrev_b64 v[57:58], 1, v[59:60]
	s_delay_alu instid0(VALU_DEP_2) | instskip(NEXT) | instid1(VALU_DEP_3)
	v_add_co_u32 v59, vcc_lo, s10, v5
	v_add_co_ci_u32_e32 v60, vcc_lo, s11, v6, vcc_lo
	s_delay_alu instid0(VALU_DEP_3) | instskip(NEXT) | instid1(VALU_DEP_4)
	v_add_co_u32 v57, vcc_lo, s10, v57
	v_add_co_ci_u32_e32 v58, vcc_lo, s11, v58, vcc_lo
	s_clause 0x1
	global_load_u16 v5, v[59:60], off
	global_load_u16 v6, v[57:58], off
	s_waitcnt vmcnt(1)
	v_lshlrev_b32_e32 v61, 16, v5
	s_waitcnt vmcnt(0)
	v_dual_mov_b32 v5, 1 :: v_dual_lshlrev_b32 v62, 16, v6
	v_mov_b32_e32 v6, 0
	s_delay_alu instid0(VALU_DEP_2)
	v_cmpx_eq_f32_e32 v62, v61
	s_cbranch_execz .LBB1171_955
; %bb.948:
	v_add_co_u32 v5, vcc_lo, v59, 2
	v_add_co_ci_u32_e32 v6, vcc_lo, 0, v60, vcc_lo
	v_add_co_u32 v57, vcc_lo, v57, 2
	v_add_co_ci_u32_e32 v58, vcc_lo, 0, v58, vcc_lo
	s_add_u32 s12, s8, -1
	s_addc_u32 s13, s9, -1
	s_mov_b64 s[14:15], 0
	s_mov_b32 s19, 0
                                        ; implicit-def: $sgpr20
	s_set_inst_prefetch_distance 0x1
	s_branch .LBB1171_951
	.p2align	6
.LBB1171_949:                           ;   in Loop: Header=BB1171_951 Depth=1
	global_load_u16 v59, v[5:6], off
	global_load_u16 v60, v[57:58], off
	v_add_co_u32 v5, vcc_lo, v5, 2
	v_add_co_ci_u32_e32 v6, vcc_lo, 0, v6, vcc_lo
	v_add_co_u32 v57, s0, v57, 2
	s_delay_alu instid0(VALU_DEP_1)
	v_add_co_ci_u32_e64 v58, s0, 0, v58, s0
	s_add_u32 s14, s14, 1
	s_addc_u32 s15, s15, 0
	s_and_not1_b32 s0, s20, exec_lo
	s_waitcnt vmcnt(1)
	v_lshlrev_b32_e32 v59, 16, v59
	s_waitcnt vmcnt(0)
	v_lshlrev_b32_e32 v60, 16, v60
	s_delay_alu instid0(VALU_DEP_1) | instskip(SKIP_1) | instid1(SALU_CYCLE_1)
	v_cmp_neq_f32_e32 vcc_lo, v60, v59
	s_and_b32 s20, vcc_lo, exec_lo
	s_or_b32 s20, s0, s20
.LBB1171_950:                           ;   in Loop: Header=BB1171_951 Depth=1
	v_dual_mov_b32 v60, s15 :: v_dual_mov_b32 v59, s14
	s_and_b32 s0, exec_lo, s20
	s_delay_alu instid0(SALU_CYCLE_1) | instskip(NEXT) | instid1(SALU_CYCLE_1)
	s_or_b32 s19, s0, s19
	s_and_not1_b32 exec_lo, exec_lo, s19
	s_cbranch_execz .LBB1171_954
.LBB1171_951:                           ; =>This Inner Loop Header: Depth=1
	s_or_b32 s20, s20, exec_lo
	s_cmp_eq_u64 s[12:13], s[14:15]
	s_cbranch_scc0 .LBB1171_949
; %bb.952:                              ;   in Loop: Header=BB1171_951 Depth=1
	s_mov_b64 s[14:15], s[8:9]
                                        ; implicit-def: $vgpr5_vgpr6
                                        ; implicit-def: $vgpr57_vgpr58
	s_branch .LBB1171_950
.LBB1171_953:
	v_mov_b32_e32 v5, 0
	v_mov_b32_e32 v6, 0
	s_branch .LBB1171_956
.LBB1171_954:
	s_set_inst_prefetch_distance 0x2
	s_or_b32 exec_lo, exec_lo, s19
	v_cmp_gt_i64_e32 vcc_lo, s[8:9], v[59:60]
	s_mov_b32 s0, 0
	s_delay_alu instid0(SALU_CYCLE_1)
	v_mov_b32_e32 v6, s0
	v_cndmask_b32_e64 v5, 0, 1, vcc_lo
.LBB1171_955:
	s_or_b32 exec_lo, exec_lo, s18
.LBB1171_956:
	s_delay_alu instid0(SALU_CYCLE_1) | instskip(SKIP_2) | instid1(VALU_DEP_1)
	s_or_b32 exec_lo, exec_lo, s3
	v_add_nc_u32_e32 v57, 25, v64
	s_mov_b32 s3, exec_lo
	v_cmpx_gt_u32_e64 s6, v57
	s_cbranch_execz .LBB1171_967
; %bb.957:
	v_cmp_ne_u32_e32 vcc_lo, 1, v63
	s_cbranch_vccnz .LBB1171_964
; %bb.958:
	v_mul_lo_u32 v61, v10, s8
	v_mul_lo_u32 v62, v9, s9
	v_mad_u64_u32 v[57:58], null, v9, s8, 0
	v_mul_lo_u32 v12, v12, s8
	v_mul_lo_u32 v65, v11, s9
	v_mad_u64_u32 v[59:60], null, v11, s8, 0
	s_mov_b32 s18, exec_lo
	s_delay_alu instid0(VALU_DEP_4) | instskip(NEXT) | instid1(VALU_DEP_2)
	v_add3_u32 v58, v58, v62, v61
	v_add3_u32 v60, v60, v65, v12
	s_delay_alu instid0(VALU_DEP_2) | instskip(NEXT) | instid1(VALU_DEP_2)
	v_lshlrev_b64 v[11:12], 1, v[57:58]
	v_lshlrev_b64 v[57:58], 1, v[59:60]
	s_delay_alu instid0(VALU_DEP_2) | instskip(NEXT) | instid1(VALU_DEP_3)
	v_add_co_u32 v59, vcc_lo, s10, v11
	v_add_co_ci_u32_e32 v60, vcc_lo, s11, v12, vcc_lo
	s_delay_alu instid0(VALU_DEP_3) | instskip(NEXT) | instid1(VALU_DEP_4)
	v_add_co_u32 v57, vcc_lo, s10, v57
	v_add_co_ci_u32_e32 v58, vcc_lo, s11, v58, vcc_lo
	s_clause 0x1
	global_load_u16 v11, v[59:60], off
	global_load_u16 v12, v[57:58], off
	s_waitcnt vmcnt(1)
	v_lshlrev_b32_e32 v61, 16, v11
	s_waitcnt vmcnt(0)
	v_dual_mov_b32 v11, 1 :: v_dual_lshlrev_b32 v62, 16, v12
	v_mov_b32_e32 v12, 0
	s_delay_alu instid0(VALU_DEP_2)
	v_cmpx_eq_f32_e32 v62, v61
	s_cbranch_execz .LBB1171_966
; %bb.959:
	v_add_co_u32 v11, vcc_lo, v59, 2
	v_add_co_ci_u32_e32 v12, vcc_lo, 0, v60, vcc_lo
	v_add_co_u32 v57, vcc_lo, v57, 2
	v_add_co_ci_u32_e32 v58, vcc_lo, 0, v58, vcc_lo
	s_add_u32 s12, s8, -1
	s_addc_u32 s13, s9, -1
	s_mov_b64 s[14:15], 0
	s_mov_b32 s19, 0
                                        ; implicit-def: $sgpr20
	s_set_inst_prefetch_distance 0x1
	s_branch .LBB1171_962
	.p2align	6
.LBB1171_960:                           ;   in Loop: Header=BB1171_962 Depth=1
	global_load_u16 v59, v[11:12], off
	global_load_u16 v60, v[57:58], off
	v_add_co_u32 v11, vcc_lo, v11, 2
	v_add_co_ci_u32_e32 v12, vcc_lo, 0, v12, vcc_lo
	v_add_co_u32 v57, s0, v57, 2
	s_delay_alu instid0(VALU_DEP_1)
	v_add_co_ci_u32_e64 v58, s0, 0, v58, s0
	s_add_u32 s14, s14, 1
	s_addc_u32 s15, s15, 0
	s_and_not1_b32 s0, s20, exec_lo
	s_waitcnt vmcnt(1)
	v_lshlrev_b32_e32 v59, 16, v59
	s_waitcnt vmcnt(0)
	v_lshlrev_b32_e32 v60, 16, v60
	s_delay_alu instid0(VALU_DEP_1) | instskip(SKIP_1) | instid1(SALU_CYCLE_1)
	v_cmp_neq_f32_e32 vcc_lo, v60, v59
	s_and_b32 s20, vcc_lo, exec_lo
	s_or_b32 s20, s0, s20
.LBB1171_961:                           ;   in Loop: Header=BB1171_962 Depth=1
	v_dual_mov_b32 v60, s15 :: v_dual_mov_b32 v59, s14
	s_and_b32 s0, exec_lo, s20
	s_delay_alu instid0(SALU_CYCLE_1) | instskip(NEXT) | instid1(SALU_CYCLE_1)
	s_or_b32 s19, s0, s19
	s_and_not1_b32 exec_lo, exec_lo, s19
	s_cbranch_execz .LBB1171_965
.LBB1171_962:                           ; =>This Inner Loop Header: Depth=1
	s_or_b32 s20, s20, exec_lo
	s_cmp_eq_u64 s[12:13], s[14:15]
	s_cbranch_scc0 .LBB1171_960
; %bb.963:                              ;   in Loop: Header=BB1171_962 Depth=1
	s_mov_b64 s[14:15], s[8:9]
                                        ; implicit-def: $vgpr11_vgpr12
                                        ; implicit-def: $vgpr57_vgpr58
	s_branch .LBB1171_961
.LBB1171_964:
	v_mov_b32_e32 v11, 0
	v_mov_b32_e32 v12, 0
	s_branch .LBB1171_967
.LBB1171_965:
	s_set_inst_prefetch_distance 0x2
	s_or_b32 exec_lo, exec_lo, s19
	v_cmp_gt_i64_e32 vcc_lo, s[8:9], v[59:60]
	s_mov_b32 s0, 0
	s_delay_alu instid0(SALU_CYCLE_1)
	v_mov_b32_e32 v12, s0
	v_cndmask_b32_e64 v11, 0, 1, vcc_lo
.LBB1171_966:
	s_or_b32 exec_lo, exec_lo, s18
.LBB1171_967:
	s_delay_alu instid0(SALU_CYCLE_1) | instskip(SKIP_2) | instid1(VALU_DEP_1)
	s_or_b32 exec_lo, exec_lo, s3
	v_add_nc_u32_e32 v57, 24, v64
	s_mov_b32 s3, exec_lo
	v_cmpx_gt_u32_e64 s6, v57
	s_cbranch_execz .LBB1171_978
; %bb.968:
	v_cmp_ne_u32_e32 vcc_lo, 1, v63
	s_cbranch_vccnz .LBB1171_975
; %bb.969:
	v_mul_lo_u32 v61, v56, s8
	v_mul_lo_u32 v62, v55, s9
	v_mad_u64_u32 v[57:58], null, v55, s8, 0
	v_mul_lo_u32 v10, v10, s8
	v_mul_lo_u32 v65, v9, s9
	v_mad_u64_u32 v[59:60], null, v9, s8, 0
	s_mov_b32 s18, exec_lo
	s_delay_alu instid0(VALU_DEP_4) | instskip(NEXT) | instid1(VALU_DEP_2)
	v_add3_u32 v58, v58, v62, v61
	v_add3_u32 v60, v60, v65, v10
	s_delay_alu instid0(VALU_DEP_2) | instskip(NEXT) | instid1(VALU_DEP_2)
	v_lshlrev_b64 v[9:10], 1, v[57:58]
	v_lshlrev_b64 v[57:58], 1, v[59:60]
	s_delay_alu instid0(VALU_DEP_2) | instskip(NEXT) | instid1(VALU_DEP_3)
	v_add_co_u32 v59, vcc_lo, s10, v9
	v_add_co_ci_u32_e32 v60, vcc_lo, s11, v10, vcc_lo
	s_delay_alu instid0(VALU_DEP_3) | instskip(NEXT) | instid1(VALU_DEP_4)
	v_add_co_u32 v57, vcc_lo, s10, v57
	v_add_co_ci_u32_e32 v58, vcc_lo, s11, v58, vcc_lo
	s_clause 0x1
	global_load_u16 v9, v[59:60], off
	global_load_u16 v10, v[57:58], off
	s_waitcnt vmcnt(1)
	v_lshlrev_b32_e32 v61, 16, v9
	s_waitcnt vmcnt(0)
	v_dual_mov_b32 v9, 1 :: v_dual_lshlrev_b32 v62, 16, v10
	v_mov_b32_e32 v10, 0
	s_delay_alu instid0(VALU_DEP_2)
	v_cmpx_eq_f32_e32 v62, v61
	s_cbranch_execz .LBB1171_977
; %bb.970:
	v_add_co_u32 v9, vcc_lo, v59, 2
	v_add_co_ci_u32_e32 v10, vcc_lo, 0, v60, vcc_lo
	v_add_co_u32 v57, vcc_lo, v57, 2
	v_add_co_ci_u32_e32 v58, vcc_lo, 0, v58, vcc_lo
	s_add_u32 s12, s8, -1
	s_addc_u32 s13, s9, -1
	s_mov_b64 s[14:15], 0
	s_mov_b32 s19, 0
                                        ; implicit-def: $sgpr20
	s_set_inst_prefetch_distance 0x1
	s_branch .LBB1171_973
	.p2align	6
.LBB1171_971:                           ;   in Loop: Header=BB1171_973 Depth=1
	global_load_u16 v59, v[9:10], off
	global_load_u16 v60, v[57:58], off
	v_add_co_u32 v9, vcc_lo, v9, 2
	v_add_co_ci_u32_e32 v10, vcc_lo, 0, v10, vcc_lo
	v_add_co_u32 v57, s0, v57, 2
	s_delay_alu instid0(VALU_DEP_1)
	v_add_co_ci_u32_e64 v58, s0, 0, v58, s0
	s_add_u32 s14, s14, 1
	s_addc_u32 s15, s15, 0
	s_and_not1_b32 s0, s20, exec_lo
	s_waitcnt vmcnt(1)
	v_lshlrev_b32_e32 v59, 16, v59
	s_waitcnt vmcnt(0)
	v_lshlrev_b32_e32 v60, 16, v60
	s_delay_alu instid0(VALU_DEP_1) | instskip(SKIP_1) | instid1(SALU_CYCLE_1)
	v_cmp_neq_f32_e32 vcc_lo, v60, v59
	s_and_b32 s20, vcc_lo, exec_lo
	s_or_b32 s20, s0, s20
.LBB1171_972:                           ;   in Loop: Header=BB1171_973 Depth=1
	v_dual_mov_b32 v60, s15 :: v_dual_mov_b32 v59, s14
	s_and_b32 s0, exec_lo, s20
	s_delay_alu instid0(SALU_CYCLE_1) | instskip(NEXT) | instid1(SALU_CYCLE_1)
	s_or_b32 s19, s0, s19
	s_and_not1_b32 exec_lo, exec_lo, s19
	s_cbranch_execz .LBB1171_976
.LBB1171_973:                           ; =>This Inner Loop Header: Depth=1
	s_or_b32 s20, s20, exec_lo
	s_cmp_eq_u64 s[12:13], s[14:15]
	s_cbranch_scc0 .LBB1171_971
; %bb.974:                              ;   in Loop: Header=BB1171_973 Depth=1
	s_mov_b64 s[14:15], s[8:9]
                                        ; implicit-def: $vgpr9_vgpr10
                                        ; implicit-def: $vgpr57_vgpr58
	s_branch .LBB1171_972
.LBB1171_975:
	v_mov_b32_e32 v9, 0
	v_mov_b32_e32 v10, 0
	s_branch .LBB1171_978
.LBB1171_976:
	s_set_inst_prefetch_distance 0x2
	s_or_b32 exec_lo, exec_lo, s19
	v_cmp_gt_i64_e32 vcc_lo, s[8:9], v[59:60]
	s_mov_b32 s0, 0
	s_delay_alu instid0(SALU_CYCLE_1)
	v_mov_b32_e32 v10, s0
	v_cndmask_b32_e64 v9, 0, 1, vcc_lo
.LBB1171_977:
	s_or_b32 exec_lo, exec_lo, s18
.LBB1171_978:
	s_delay_alu instid0(SALU_CYCLE_1) | instskip(SKIP_2) | instid1(VALU_DEP_1)
	s_or_b32 exec_lo, exec_lo, s3
	v_add_nc_u32_e32 v57, 23, v64
	s_mov_b32 s3, exec_lo
	v_cmpx_gt_u32_e64 s6, v57
	s_cbranch_execz .LBB1171_989
; %bb.979:
	v_cmp_ne_u32_e32 vcc_lo, 1, v63
	s_cbranch_vccnz .LBB1171_986
; %bb.980:
	v_mul_lo_u32 v61, v54, s8
	v_mul_lo_u32 v62, v53, s9
	v_mad_u64_u32 v[57:58], null, v53, s8, 0
	v_mul_lo_u32 v56, v56, s8
	v_mul_lo_u32 v65, v55, s9
	v_mad_u64_u32 v[59:60], null, v55, s8, 0
	s_mov_b32 s18, exec_lo
	s_delay_alu instid0(VALU_DEP_4) | instskip(NEXT) | instid1(VALU_DEP_2)
	v_add3_u32 v58, v58, v62, v61
	v_add3_u32 v60, v60, v65, v56
	s_delay_alu instid0(VALU_DEP_2) | instskip(NEXT) | instid1(VALU_DEP_2)
	v_lshlrev_b64 v[55:56], 1, v[57:58]
	v_lshlrev_b64 v[57:58], 1, v[59:60]
	s_delay_alu instid0(VALU_DEP_2) | instskip(NEXT) | instid1(VALU_DEP_3)
	v_add_co_u32 v59, vcc_lo, s10, v55
	v_add_co_ci_u32_e32 v60, vcc_lo, s11, v56, vcc_lo
	s_delay_alu instid0(VALU_DEP_3) | instskip(NEXT) | instid1(VALU_DEP_4)
	v_add_co_u32 v57, vcc_lo, s10, v57
	v_add_co_ci_u32_e32 v58, vcc_lo, s11, v58, vcc_lo
	s_clause 0x1
	global_load_u16 v55, v[59:60], off
	global_load_u16 v56, v[57:58], off
	s_waitcnt vmcnt(1)
	v_lshlrev_b32_e32 v61, 16, v55
	s_waitcnt vmcnt(0)
	v_dual_mov_b32 v55, 1 :: v_dual_lshlrev_b32 v62, 16, v56
	v_mov_b32_e32 v56, 0
	s_delay_alu instid0(VALU_DEP_2)
	v_cmpx_eq_f32_e32 v62, v61
	s_cbranch_execz .LBB1171_988
; %bb.981:
	v_add_co_u32 v55, vcc_lo, v59, 2
	v_add_co_ci_u32_e32 v56, vcc_lo, 0, v60, vcc_lo
	v_add_co_u32 v57, vcc_lo, v57, 2
	v_add_co_ci_u32_e32 v58, vcc_lo, 0, v58, vcc_lo
	s_add_u32 s12, s8, -1
	s_addc_u32 s13, s9, -1
	s_mov_b64 s[14:15], 0
	s_mov_b32 s19, 0
                                        ; implicit-def: $sgpr20
	s_set_inst_prefetch_distance 0x1
	s_branch .LBB1171_984
	.p2align	6
.LBB1171_982:                           ;   in Loop: Header=BB1171_984 Depth=1
	global_load_u16 v59, v[55:56], off
	global_load_u16 v60, v[57:58], off
	v_add_co_u32 v55, vcc_lo, v55, 2
	v_add_co_ci_u32_e32 v56, vcc_lo, 0, v56, vcc_lo
	v_add_co_u32 v57, s0, v57, 2
	s_delay_alu instid0(VALU_DEP_1)
	v_add_co_ci_u32_e64 v58, s0, 0, v58, s0
	s_add_u32 s14, s14, 1
	s_addc_u32 s15, s15, 0
	s_and_not1_b32 s0, s20, exec_lo
	s_waitcnt vmcnt(1)
	v_lshlrev_b32_e32 v59, 16, v59
	s_waitcnt vmcnt(0)
	v_lshlrev_b32_e32 v60, 16, v60
	s_delay_alu instid0(VALU_DEP_1) | instskip(SKIP_1) | instid1(SALU_CYCLE_1)
	v_cmp_neq_f32_e32 vcc_lo, v60, v59
	s_and_b32 s20, vcc_lo, exec_lo
	s_or_b32 s20, s0, s20
.LBB1171_983:                           ;   in Loop: Header=BB1171_984 Depth=1
	v_dual_mov_b32 v60, s15 :: v_dual_mov_b32 v59, s14
	s_and_b32 s0, exec_lo, s20
	s_delay_alu instid0(SALU_CYCLE_1) | instskip(NEXT) | instid1(SALU_CYCLE_1)
	s_or_b32 s19, s0, s19
	s_and_not1_b32 exec_lo, exec_lo, s19
	s_cbranch_execz .LBB1171_987
.LBB1171_984:                           ; =>This Inner Loop Header: Depth=1
	s_or_b32 s20, s20, exec_lo
	s_cmp_eq_u64 s[12:13], s[14:15]
	s_cbranch_scc0 .LBB1171_982
; %bb.985:                              ;   in Loop: Header=BB1171_984 Depth=1
	s_mov_b64 s[14:15], s[8:9]
                                        ; implicit-def: $vgpr55_vgpr56
                                        ; implicit-def: $vgpr57_vgpr58
	s_branch .LBB1171_983
.LBB1171_986:
	v_mov_b32_e32 v55, 0
	v_mov_b32_e32 v56, 0
	s_branch .LBB1171_989
.LBB1171_987:
	s_set_inst_prefetch_distance 0x2
	s_or_b32 exec_lo, exec_lo, s19
	v_cmp_gt_i64_e32 vcc_lo, s[8:9], v[59:60]
	s_mov_b32 s0, 0
	s_delay_alu instid0(SALU_CYCLE_1)
	v_mov_b32_e32 v56, s0
	v_cndmask_b32_e64 v55, 0, 1, vcc_lo
.LBB1171_988:
	s_or_b32 exec_lo, exec_lo, s18
.LBB1171_989:
	s_delay_alu instid0(SALU_CYCLE_1) | instskip(SKIP_2) | instid1(VALU_DEP_1)
	s_or_b32 exec_lo, exec_lo, s3
	v_add_nc_u32_e32 v57, 22, v64
	s_mov_b32 s3, exec_lo
	v_cmpx_gt_u32_e64 s6, v57
	s_cbranch_execz .LBB1171_1000
; %bb.990:
	v_cmp_ne_u32_e32 vcc_lo, 1, v63
	s_cbranch_vccnz .LBB1171_997
; %bb.991:
	v_mul_lo_u32 v61, v52, s8
	v_mul_lo_u32 v62, v51, s9
	v_mad_u64_u32 v[57:58], null, v51, s8, 0
	v_mul_lo_u32 v54, v54, s8
	v_mul_lo_u32 v65, v53, s9
	v_mad_u64_u32 v[59:60], null, v53, s8, 0
	s_mov_b32 s18, exec_lo
	s_delay_alu instid0(VALU_DEP_4) | instskip(NEXT) | instid1(VALU_DEP_2)
	v_add3_u32 v58, v58, v62, v61
	v_add3_u32 v60, v60, v65, v54
	s_delay_alu instid0(VALU_DEP_2) | instskip(NEXT) | instid1(VALU_DEP_2)
	v_lshlrev_b64 v[53:54], 1, v[57:58]
	v_lshlrev_b64 v[57:58], 1, v[59:60]
	s_delay_alu instid0(VALU_DEP_2) | instskip(NEXT) | instid1(VALU_DEP_3)
	v_add_co_u32 v59, vcc_lo, s10, v53
	v_add_co_ci_u32_e32 v60, vcc_lo, s11, v54, vcc_lo
	s_delay_alu instid0(VALU_DEP_3) | instskip(NEXT) | instid1(VALU_DEP_4)
	v_add_co_u32 v57, vcc_lo, s10, v57
	v_add_co_ci_u32_e32 v58, vcc_lo, s11, v58, vcc_lo
	s_clause 0x1
	global_load_u16 v53, v[59:60], off
	global_load_u16 v54, v[57:58], off
	s_waitcnt vmcnt(1)
	v_lshlrev_b32_e32 v61, 16, v53
	s_waitcnt vmcnt(0)
	v_dual_mov_b32 v53, 1 :: v_dual_lshlrev_b32 v62, 16, v54
	v_mov_b32_e32 v54, 0
	s_delay_alu instid0(VALU_DEP_2)
	v_cmpx_eq_f32_e32 v62, v61
	s_cbranch_execz .LBB1171_999
; %bb.992:
	v_add_co_u32 v53, vcc_lo, v59, 2
	v_add_co_ci_u32_e32 v54, vcc_lo, 0, v60, vcc_lo
	v_add_co_u32 v57, vcc_lo, v57, 2
	v_add_co_ci_u32_e32 v58, vcc_lo, 0, v58, vcc_lo
	s_add_u32 s12, s8, -1
	s_addc_u32 s13, s9, -1
	s_mov_b64 s[14:15], 0
	s_mov_b32 s19, 0
                                        ; implicit-def: $sgpr20
	s_set_inst_prefetch_distance 0x1
	s_branch .LBB1171_995
	.p2align	6
.LBB1171_993:                           ;   in Loop: Header=BB1171_995 Depth=1
	global_load_u16 v59, v[53:54], off
	global_load_u16 v60, v[57:58], off
	v_add_co_u32 v53, vcc_lo, v53, 2
	v_add_co_ci_u32_e32 v54, vcc_lo, 0, v54, vcc_lo
	v_add_co_u32 v57, s0, v57, 2
	s_delay_alu instid0(VALU_DEP_1)
	v_add_co_ci_u32_e64 v58, s0, 0, v58, s0
	s_add_u32 s14, s14, 1
	s_addc_u32 s15, s15, 0
	s_and_not1_b32 s0, s20, exec_lo
	s_waitcnt vmcnt(1)
	v_lshlrev_b32_e32 v59, 16, v59
	s_waitcnt vmcnt(0)
	v_lshlrev_b32_e32 v60, 16, v60
	s_delay_alu instid0(VALU_DEP_1) | instskip(SKIP_1) | instid1(SALU_CYCLE_1)
	v_cmp_neq_f32_e32 vcc_lo, v60, v59
	s_and_b32 s20, vcc_lo, exec_lo
	s_or_b32 s20, s0, s20
.LBB1171_994:                           ;   in Loop: Header=BB1171_995 Depth=1
	v_dual_mov_b32 v60, s15 :: v_dual_mov_b32 v59, s14
	s_and_b32 s0, exec_lo, s20
	s_delay_alu instid0(SALU_CYCLE_1) | instskip(NEXT) | instid1(SALU_CYCLE_1)
	s_or_b32 s19, s0, s19
	s_and_not1_b32 exec_lo, exec_lo, s19
	s_cbranch_execz .LBB1171_998
.LBB1171_995:                           ; =>This Inner Loop Header: Depth=1
	s_or_b32 s20, s20, exec_lo
	s_cmp_eq_u64 s[12:13], s[14:15]
	s_cbranch_scc0 .LBB1171_993
; %bb.996:                              ;   in Loop: Header=BB1171_995 Depth=1
	s_mov_b64 s[14:15], s[8:9]
                                        ; implicit-def: $vgpr53_vgpr54
                                        ; implicit-def: $vgpr57_vgpr58
	s_branch .LBB1171_994
.LBB1171_997:
	v_mov_b32_e32 v53, 0
	v_mov_b32_e32 v54, 0
	s_branch .LBB1171_1000
.LBB1171_998:
	s_set_inst_prefetch_distance 0x2
	s_or_b32 exec_lo, exec_lo, s19
	v_cmp_gt_i64_e32 vcc_lo, s[8:9], v[59:60]
	s_mov_b32 s0, 0
	s_delay_alu instid0(SALU_CYCLE_1)
	v_mov_b32_e32 v54, s0
	v_cndmask_b32_e64 v53, 0, 1, vcc_lo
.LBB1171_999:
	s_or_b32 exec_lo, exec_lo, s18
.LBB1171_1000:
	s_delay_alu instid0(SALU_CYCLE_1) | instskip(SKIP_2) | instid1(VALU_DEP_1)
	s_or_b32 exec_lo, exec_lo, s3
	v_add_nc_u32_e32 v57, 21, v64
	s_mov_b32 s3, exec_lo
	v_cmpx_gt_u32_e64 s6, v57
	s_cbranch_execz .LBB1171_1011
; %bb.1001:
	v_cmp_ne_u32_e32 vcc_lo, 1, v63
	s_cbranch_vccnz .LBB1171_1008
; %bb.1002:
	v_mul_lo_u32 v61, v50, s8
	v_mul_lo_u32 v62, v49, s9
	v_mad_u64_u32 v[57:58], null, v49, s8, 0
	v_mul_lo_u32 v52, v52, s8
	v_mul_lo_u32 v65, v51, s9
	v_mad_u64_u32 v[59:60], null, v51, s8, 0
	s_mov_b32 s18, exec_lo
	s_delay_alu instid0(VALU_DEP_4) | instskip(NEXT) | instid1(VALU_DEP_2)
	v_add3_u32 v58, v58, v62, v61
	v_add3_u32 v60, v60, v65, v52
	s_delay_alu instid0(VALU_DEP_2) | instskip(NEXT) | instid1(VALU_DEP_2)
	v_lshlrev_b64 v[51:52], 1, v[57:58]
	v_lshlrev_b64 v[57:58], 1, v[59:60]
	s_delay_alu instid0(VALU_DEP_2) | instskip(NEXT) | instid1(VALU_DEP_3)
	v_add_co_u32 v59, vcc_lo, s10, v51
	v_add_co_ci_u32_e32 v60, vcc_lo, s11, v52, vcc_lo
	s_delay_alu instid0(VALU_DEP_3) | instskip(NEXT) | instid1(VALU_DEP_4)
	v_add_co_u32 v57, vcc_lo, s10, v57
	v_add_co_ci_u32_e32 v58, vcc_lo, s11, v58, vcc_lo
	s_clause 0x1
	global_load_u16 v51, v[59:60], off
	global_load_u16 v52, v[57:58], off
	s_waitcnt vmcnt(1)
	v_lshlrev_b32_e32 v61, 16, v51
	s_waitcnt vmcnt(0)
	v_dual_mov_b32 v51, 1 :: v_dual_lshlrev_b32 v62, 16, v52
	v_mov_b32_e32 v52, 0
	s_delay_alu instid0(VALU_DEP_2)
	v_cmpx_eq_f32_e32 v62, v61
	s_cbranch_execz .LBB1171_1010
; %bb.1003:
	v_add_co_u32 v51, vcc_lo, v59, 2
	v_add_co_ci_u32_e32 v52, vcc_lo, 0, v60, vcc_lo
	v_add_co_u32 v57, vcc_lo, v57, 2
	v_add_co_ci_u32_e32 v58, vcc_lo, 0, v58, vcc_lo
	s_add_u32 s12, s8, -1
	s_addc_u32 s13, s9, -1
	s_mov_b64 s[14:15], 0
	s_mov_b32 s19, 0
                                        ; implicit-def: $sgpr20
	s_set_inst_prefetch_distance 0x1
	s_branch .LBB1171_1006
	.p2align	6
.LBB1171_1004:                          ;   in Loop: Header=BB1171_1006 Depth=1
	global_load_u16 v59, v[51:52], off
	global_load_u16 v60, v[57:58], off
	v_add_co_u32 v51, vcc_lo, v51, 2
	v_add_co_ci_u32_e32 v52, vcc_lo, 0, v52, vcc_lo
	v_add_co_u32 v57, s0, v57, 2
	s_delay_alu instid0(VALU_DEP_1)
	v_add_co_ci_u32_e64 v58, s0, 0, v58, s0
	s_add_u32 s14, s14, 1
	s_addc_u32 s15, s15, 0
	s_and_not1_b32 s0, s20, exec_lo
	s_waitcnt vmcnt(1)
	v_lshlrev_b32_e32 v59, 16, v59
	s_waitcnt vmcnt(0)
	v_lshlrev_b32_e32 v60, 16, v60
	s_delay_alu instid0(VALU_DEP_1) | instskip(SKIP_1) | instid1(SALU_CYCLE_1)
	v_cmp_neq_f32_e32 vcc_lo, v60, v59
	s_and_b32 s20, vcc_lo, exec_lo
	s_or_b32 s20, s0, s20
.LBB1171_1005:                          ;   in Loop: Header=BB1171_1006 Depth=1
	v_dual_mov_b32 v60, s15 :: v_dual_mov_b32 v59, s14
	s_and_b32 s0, exec_lo, s20
	s_delay_alu instid0(SALU_CYCLE_1) | instskip(NEXT) | instid1(SALU_CYCLE_1)
	s_or_b32 s19, s0, s19
	s_and_not1_b32 exec_lo, exec_lo, s19
	s_cbranch_execz .LBB1171_1009
.LBB1171_1006:                          ; =>This Inner Loop Header: Depth=1
	s_or_b32 s20, s20, exec_lo
	s_cmp_eq_u64 s[12:13], s[14:15]
	s_cbranch_scc0 .LBB1171_1004
; %bb.1007:                             ;   in Loop: Header=BB1171_1006 Depth=1
	s_mov_b64 s[14:15], s[8:9]
                                        ; implicit-def: $vgpr51_vgpr52
                                        ; implicit-def: $vgpr57_vgpr58
	s_branch .LBB1171_1005
.LBB1171_1008:
	v_mov_b32_e32 v51, 0
	v_mov_b32_e32 v52, 0
	s_branch .LBB1171_1011
.LBB1171_1009:
	s_set_inst_prefetch_distance 0x2
	s_or_b32 exec_lo, exec_lo, s19
	v_cmp_gt_i64_e32 vcc_lo, s[8:9], v[59:60]
	s_mov_b32 s0, 0
	s_delay_alu instid0(SALU_CYCLE_1)
	v_mov_b32_e32 v52, s0
	v_cndmask_b32_e64 v51, 0, 1, vcc_lo
.LBB1171_1010:
	s_or_b32 exec_lo, exec_lo, s18
.LBB1171_1011:
	s_delay_alu instid0(SALU_CYCLE_1) | instskip(SKIP_2) | instid1(VALU_DEP_1)
	s_or_b32 exec_lo, exec_lo, s3
	v_add_nc_u32_e32 v57, 20, v64
	s_mov_b32 s3, exec_lo
	v_cmpx_gt_u32_e64 s6, v57
	s_cbranch_execz .LBB1171_1022
; %bb.1012:
	v_cmp_ne_u32_e32 vcc_lo, 1, v63
	s_cbranch_vccnz .LBB1171_1019
; %bb.1013:
	v_mul_lo_u32 v61, v48, s8
	v_mul_lo_u32 v62, v47, s9
	v_mad_u64_u32 v[57:58], null, v47, s8, 0
	v_mul_lo_u32 v50, v50, s8
	v_mul_lo_u32 v65, v49, s9
	v_mad_u64_u32 v[59:60], null, v49, s8, 0
	s_mov_b32 s18, exec_lo
	s_delay_alu instid0(VALU_DEP_4) | instskip(NEXT) | instid1(VALU_DEP_2)
	v_add3_u32 v58, v58, v62, v61
	v_add3_u32 v60, v60, v65, v50
	s_delay_alu instid0(VALU_DEP_2) | instskip(NEXT) | instid1(VALU_DEP_2)
	v_lshlrev_b64 v[49:50], 1, v[57:58]
	v_lshlrev_b64 v[57:58], 1, v[59:60]
	s_delay_alu instid0(VALU_DEP_2) | instskip(NEXT) | instid1(VALU_DEP_3)
	v_add_co_u32 v59, vcc_lo, s10, v49
	v_add_co_ci_u32_e32 v60, vcc_lo, s11, v50, vcc_lo
	s_delay_alu instid0(VALU_DEP_3) | instskip(NEXT) | instid1(VALU_DEP_4)
	v_add_co_u32 v57, vcc_lo, s10, v57
	v_add_co_ci_u32_e32 v58, vcc_lo, s11, v58, vcc_lo
	s_clause 0x1
	global_load_u16 v49, v[59:60], off
	global_load_u16 v50, v[57:58], off
	s_waitcnt vmcnt(1)
	v_lshlrev_b32_e32 v61, 16, v49
	s_waitcnt vmcnt(0)
	v_dual_mov_b32 v49, 1 :: v_dual_lshlrev_b32 v62, 16, v50
	v_mov_b32_e32 v50, 0
	s_delay_alu instid0(VALU_DEP_2)
	v_cmpx_eq_f32_e32 v62, v61
	s_cbranch_execz .LBB1171_1021
; %bb.1014:
	v_add_co_u32 v49, vcc_lo, v59, 2
	v_add_co_ci_u32_e32 v50, vcc_lo, 0, v60, vcc_lo
	v_add_co_u32 v57, vcc_lo, v57, 2
	v_add_co_ci_u32_e32 v58, vcc_lo, 0, v58, vcc_lo
	s_add_u32 s12, s8, -1
	s_addc_u32 s13, s9, -1
	s_mov_b64 s[14:15], 0
	s_mov_b32 s19, 0
                                        ; implicit-def: $sgpr20
	s_set_inst_prefetch_distance 0x1
	s_branch .LBB1171_1017
	.p2align	6
.LBB1171_1015:                          ;   in Loop: Header=BB1171_1017 Depth=1
	global_load_u16 v59, v[49:50], off
	global_load_u16 v60, v[57:58], off
	v_add_co_u32 v49, vcc_lo, v49, 2
	v_add_co_ci_u32_e32 v50, vcc_lo, 0, v50, vcc_lo
	v_add_co_u32 v57, s0, v57, 2
	s_delay_alu instid0(VALU_DEP_1)
	v_add_co_ci_u32_e64 v58, s0, 0, v58, s0
	s_add_u32 s14, s14, 1
	s_addc_u32 s15, s15, 0
	s_and_not1_b32 s0, s20, exec_lo
	s_waitcnt vmcnt(1)
	v_lshlrev_b32_e32 v59, 16, v59
	s_waitcnt vmcnt(0)
	v_lshlrev_b32_e32 v60, 16, v60
	s_delay_alu instid0(VALU_DEP_1) | instskip(SKIP_1) | instid1(SALU_CYCLE_1)
	v_cmp_neq_f32_e32 vcc_lo, v60, v59
	s_and_b32 s20, vcc_lo, exec_lo
	s_or_b32 s20, s0, s20
.LBB1171_1016:                          ;   in Loop: Header=BB1171_1017 Depth=1
	v_dual_mov_b32 v60, s15 :: v_dual_mov_b32 v59, s14
	s_and_b32 s0, exec_lo, s20
	s_delay_alu instid0(SALU_CYCLE_1) | instskip(NEXT) | instid1(SALU_CYCLE_1)
	s_or_b32 s19, s0, s19
	s_and_not1_b32 exec_lo, exec_lo, s19
	s_cbranch_execz .LBB1171_1020
.LBB1171_1017:                          ; =>This Inner Loop Header: Depth=1
	s_or_b32 s20, s20, exec_lo
	s_cmp_eq_u64 s[12:13], s[14:15]
	s_cbranch_scc0 .LBB1171_1015
; %bb.1018:                             ;   in Loop: Header=BB1171_1017 Depth=1
	s_mov_b64 s[14:15], s[8:9]
                                        ; implicit-def: $vgpr49_vgpr50
                                        ; implicit-def: $vgpr57_vgpr58
	s_branch .LBB1171_1016
.LBB1171_1019:
	v_mov_b32_e32 v49, 0
	v_mov_b32_e32 v50, 0
	s_branch .LBB1171_1022
.LBB1171_1020:
	s_set_inst_prefetch_distance 0x2
	s_or_b32 exec_lo, exec_lo, s19
	v_cmp_gt_i64_e32 vcc_lo, s[8:9], v[59:60]
	s_mov_b32 s0, 0
	s_delay_alu instid0(SALU_CYCLE_1)
	v_mov_b32_e32 v50, s0
	v_cndmask_b32_e64 v49, 0, 1, vcc_lo
.LBB1171_1021:
	s_or_b32 exec_lo, exec_lo, s18
.LBB1171_1022:
	s_delay_alu instid0(SALU_CYCLE_1) | instskip(SKIP_2) | instid1(VALU_DEP_1)
	s_or_b32 exec_lo, exec_lo, s3
	v_add_nc_u32_e32 v57, 19, v64
	s_mov_b32 s3, exec_lo
	v_cmpx_gt_u32_e64 s6, v57
	s_cbranch_execz .LBB1171_1033
; %bb.1023:
	v_cmp_ne_u32_e32 vcc_lo, 1, v63
	s_cbranch_vccnz .LBB1171_1030
; %bb.1024:
	v_mul_lo_u32 v61, v46, s8
	v_mul_lo_u32 v62, v45, s9
	v_mad_u64_u32 v[57:58], null, v45, s8, 0
	v_mul_lo_u32 v48, v48, s8
	v_mul_lo_u32 v65, v47, s9
	v_mad_u64_u32 v[59:60], null, v47, s8, 0
	s_mov_b32 s18, exec_lo
	s_delay_alu instid0(VALU_DEP_4) | instskip(NEXT) | instid1(VALU_DEP_2)
	v_add3_u32 v58, v58, v62, v61
	v_add3_u32 v60, v60, v65, v48
	s_delay_alu instid0(VALU_DEP_2) | instskip(NEXT) | instid1(VALU_DEP_2)
	v_lshlrev_b64 v[47:48], 1, v[57:58]
	v_lshlrev_b64 v[57:58], 1, v[59:60]
	s_delay_alu instid0(VALU_DEP_2) | instskip(NEXT) | instid1(VALU_DEP_3)
	v_add_co_u32 v59, vcc_lo, s10, v47
	v_add_co_ci_u32_e32 v60, vcc_lo, s11, v48, vcc_lo
	s_delay_alu instid0(VALU_DEP_3) | instskip(NEXT) | instid1(VALU_DEP_4)
	v_add_co_u32 v57, vcc_lo, s10, v57
	v_add_co_ci_u32_e32 v58, vcc_lo, s11, v58, vcc_lo
	s_clause 0x1
	global_load_u16 v47, v[59:60], off
	global_load_u16 v48, v[57:58], off
	s_waitcnt vmcnt(1)
	v_lshlrev_b32_e32 v61, 16, v47
	s_waitcnt vmcnt(0)
	v_dual_mov_b32 v47, 1 :: v_dual_lshlrev_b32 v62, 16, v48
	v_mov_b32_e32 v48, 0
	s_delay_alu instid0(VALU_DEP_2)
	v_cmpx_eq_f32_e32 v62, v61
	s_cbranch_execz .LBB1171_1032
; %bb.1025:
	v_add_co_u32 v47, vcc_lo, v59, 2
	v_add_co_ci_u32_e32 v48, vcc_lo, 0, v60, vcc_lo
	v_add_co_u32 v57, vcc_lo, v57, 2
	v_add_co_ci_u32_e32 v58, vcc_lo, 0, v58, vcc_lo
	s_add_u32 s12, s8, -1
	s_addc_u32 s13, s9, -1
	s_mov_b64 s[14:15], 0
	s_mov_b32 s19, 0
                                        ; implicit-def: $sgpr20
	s_set_inst_prefetch_distance 0x1
	s_branch .LBB1171_1028
	.p2align	6
.LBB1171_1026:                          ;   in Loop: Header=BB1171_1028 Depth=1
	global_load_u16 v59, v[47:48], off
	global_load_u16 v60, v[57:58], off
	v_add_co_u32 v47, vcc_lo, v47, 2
	v_add_co_ci_u32_e32 v48, vcc_lo, 0, v48, vcc_lo
	v_add_co_u32 v57, s0, v57, 2
	s_delay_alu instid0(VALU_DEP_1)
	v_add_co_ci_u32_e64 v58, s0, 0, v58, s0
	s_add_u32 s14, s14, 1
	s_addc_u32 s15, s15, 0
	s_and_not1_b32 s0, s20, exec_lo
	s_waitcnt vmcnt(1)
	v_lshlrev_b32_e32 v59, 16, v59
	s_waitcnt vmcnt(0)
	v_lshlrev_b32_e32 v60, 16, v60
	s_delay_alu instid0(VALU_DEP_1) | instskip(SKIP_1) | instid1(SALU_CYCLE_1)
	v_cmp_neq_f32_e32 vcc_lo, v60, v59
	s_and_b32 s20, vcc_lo, exec_lo
	s_or_b32 s20, s0, s20
.LBB1171_1027:                          ;   in Loop: Header=BB1171_1028 Depth=1
	v_dual_mov_b32 v60, s15 :: v_dual_mov_b32 v59, s14
	s_and_b32 s0, exec_lo, s20
	s_delay_alu instid0(SALU_CYCLE_1) | instskip(NEXT) | instid1(SALU_CYCLE_1)
	s_or_b32 s19, s0, s19
	s_and_not1_b32 exec_lo, exec_lo, s19
	s_cbranch_execz .LBB1171_1031
.LBB1171_1028:                          ; =>This Inner Loop Header: Depth=1
	s_or_b32 s20, s20, exec_lo
	s_cmp_eq_u64 s[12:13], s[14:15]
	s_cbranch_scc0 .LBB1171_1026
; %bb.1029:                             ;   in Loop: Header=BB1171_1028 Depth=1
	s_mov_b64 s[14:15], s[8:9]
                                        ; implicit-def: $vgpr47_vgpr48
                                        ; implicit-def: $vgpr57_vgpr58
	s_branch .LBB1171_1027
.LBB1171_1030:
	v_mov_b32_e32 v47, 0
	v_mov_b32_e32 v48, 0
	s_branch .LBB1171_1033
.LBB1171_1031:
	s_set_inst_prefetch_distance 0x2
	s_or_b32 exec_lo, exec_lo, s19
	v_cmp_gt_i64_e32 vcc_lo, s[8:9], v[59:60]
	s_mov_b32 s0, 0
	s_delay_alu instid0(SALU_CYCLE_1)
	v_mov_b32_e32 v48, s0
	v_cndmask_b32_e64 v47, 0, 1, vcc_lo
.LBB1171_1032:
	s_or_b32 exec_lo, exec_lo, s18
.LBB1171_1033:
	s_delay_alu instid0(SALU_CYCLE_1) | instskip(SKIP_2) | instid1(VALU_DEP_1)
	s_or_b32 exec_lo, exec_lo, s3
	v_add_nc_u32_e32 v57, 18, v64
	s_mov_b32 s3, exec_lo
	v_cmpx_gt_u32_e64 s6, v57
	s_cbranch_execz .LBB1171_1044
; %bb.1034:
	v_cmp_ne_u32_e32 vcc_lo, 1, v63
	s_cbranch_vccnz .LBB1171_1041
; %bb.1035:
	v_mul_lo_u32 v61, v44, s8
	v_mul_lo_u32 v62, v43, s9
	v_mad_u64_u32 v[57:58], null, v43, s8, 0
	v_mul_lo_u32 v46, v46, s8
	v_mul_lo_u32 v65, v45, s9
	v_mad_u64_u32 v[59:60], null, v45, s8, 0
	s_mov_b32 s18, exec_lo
	s_delay_alu instid0(VALU_DEP_4) | instskip(NEXT) | instid1(VALU_DEP_2)
	v_add3_u32 v58, v58, v62, v61
	v_add3_u32 v60, v60, v65, v46
	s_delay_alu instid0(VALU_DEP_2) | instskip(NEXT) | instid1(VALU_DEP_2)
	v_lshlrev_b64 v[45:46], 1, v[57:58]
	v_lshlrev_b64 v[57:58], 1, v[59:60]
	s_delay_alu instid0(VALU_DEP_2) | instskip(NEXT) | instid1(VALU_DEP_3)
	v_add_co_u32 v59, vcc_lo, s10, v45
	v_add_co_ci_u32_e32 v60, vcc_lo, s11, v46, vcc_lo
	s_delay_alu instid0(VALU_DEP_3) | instskip(NEXT) | instid1(VALU_DEP_4)
	v_add_co_u32 v57, vcc_lo, s10, v57
	v_add_co_ci_u32_e32 v58, vcc_lo, s11, v58, vcc_lo
	s_clause 0x1
	global_load_u16 v45, v[59:60], off
	global_load_u16 v46, v[57:58], off
	s_waitcnt vmcnt(1)
	v_lshlrev_b32_e32 v61, 16, v45
	s_waitcnt vmcnt(0)
	v_dual_mov_b32 v45, 1 :: v_dual_lshlrev_b32 v62, 16, v46
	v_mov_b32_e32 v46, 0
	s_delay_alu instid0(VALU_DEP_2)
	v_cmpx_eq_f32_e32 v62, v61
	s_cbranch_execz .LBB1171_1043
; %bb.1036:
	v_add_co_u32 v45, vcc_lo, v59, 2
	v_add_co_ci_u32_e32 v46, vcc_lo, 0, v60, vcc_lo
	v_add_co_u32 v57, vcc_lo, v57, 2
	v_add_co_ci_u32_e32 v58, vcc_lo, 0, v58, vcc_lo
	s_add_u32 s12, s8, -1
	s_addc_u32 s13, s9, -1
	s_mov_b64 s[14:15], 0
	s_mov_b32 s19, 0
                                        ; implicit-def: $sgpr20
	s_set_inst_prefetch_distance 0x1
	s_branch .LBB1171_1039
	.p2align	6
.LBB1171_1037:                          ;   in Loop: Header=BB1171_1039 Depth=1
	global_load_u16 v59, v[45:46], off
	global_load_u16 v60, v[57:58], off
	v_add_co_u32 v45, vcc_lo, v45, 2
	v_add_co_ci_u32_e32 v46, vcc_lo, 0, v46, vcc_lo
	v_add_co_u32 v57, s0, v57, 2
	s_delay_alu instid0(VALU_DEP_1)
	v_add_co_ci_u32_e64 v58, s0, 0, v58, s0
	s_add_u32 s14, s14, 1
	s_addc_u32 s15, s15, 0
	s_and_not1_b32 s0, s20, exec_lo
	s_waitcnt vmcnt(1)
	v_lshlrev_b32_e32 v59, 16, v59
	s_waitcnt vmcnt(0)
	v_lshlrev_b32_e32 v60, 16, v60
	s_delay_alu instid0(VALU_DEP_1) | instskip(SKIP_1) | instid1(SALU_CYCLE_1)
	v_cmp_neq_f32_e32 vcc_lo, v60, v59
	s_and_b32 s20, vcc_lo, exec_lo
	s_or_b32 s20, s0, s20
.LBB1171_1038:                          ;   in Loop: Header=BB1171_1039 Depth=1
	v_dual_mov_b32 v60, s15 :: v_dual_mov_b32 v59, s14
	s_and_b32 s0, exec_lo, s20
	s_delay_alu instid0(SALU_CYCLE_1) | instskip(NEXT) | instid1(SALU_CYCLE_1)
	s_or_b32 s19, s0, s19
	s_and_not1_b32 exec_lo, exec_lo, s19
	s_cbranch_execz .LBB1171_1042
.LBB1171_1039:                          ; =>This Inner Loop Header: Depth=1
	s_or_b32 s20, s20, exec_lo
	s_cmp_eq_u64 s[12:13], s[14:15]
	s_cbranch_scc0 .LBB1171_1037
; %bb.1040:                             ;   in Loop: Header=BB1171_1039 Depth=1
	s_mov_b64 s[14:15], s[8:9]
                                        ; implicit-def: $vgpr45_vgpr46
                                        ; implicit-def: $vgpr57_vgpr58
	s_branch .LBB1171_1038
.LBB1171_1041:
	v_mov_b32_e32 v45, 0
	v_mov_b32_e32 v46, 0
	s_branch .LBB1171_1044
.LBB1171_1042:
	s_set_inst_prefetch_distance 0x2
	s_or_b32 exec_lo, exec_lo, s19
	v_cmp_gt_i64_e32 vcc_lo, s[8:9], v[59:60]
	s_mov_b32 s0, 0
	s_delay_alu instid0(SALU_CYCLE_1)
	v_mov_b32_e32 v46, s0
	v_cndmask_b32_e64 v45, 0, 1, vcc_lo
.LBB1171_1043:
	s_or_b32 exec_lo, exec_lo, s18
.LBB1171_1044:
	s_delay_alu instid0(SALU_CYCLE_1) | instskip(SKIP_2) | instid1(VALU_DEP_1)
	s_or_b32 exec_lo, exec_lo, s3
	v_add_nc_u32_e32 v57, 17, v64
	s_mov_b32 s3, exec_lo
	v_cmpx_gt_u32_e64 s6, v57
	s_cbranch_execz .LBB1171_1055
; %bb.1045:
	v_cmp_ne_u32_e32 vcc_lo, 1, v63
	s_cbranch_vccnz .LBB1171_1052
; %bb.1046:
	v_mul_lo_u32 v61, v42, s8
	v_mul_lo_u32 v62, v41, s9
	v_mad_u64_u32 v[57:58], null, v41, s8, 0
	v_mul_lo_u32 v44, v44, s8
	v_mul_lo_u32 v65, v43, s9
	v_mad_u64_u32 v[59:60], null, v43, s8, 0
	s_mov_b32 s18, exec_lo
	s_delay_alu instid0(VALU_DEP_4) | instskip(NEXT) | instid1(VALU_DEP_2)
	v_add3_u32 v58, v58, v62, v61
	v_add3_u32 v60, v60, v65, v44
	s_delay_alu instid0(VALU_DEP_2) | instskip(NEXT) | instid1(VALU_DEP_2)
	v_lshlrev_b64 v[43:44], 1, v[57:58]
	v_lshlrev_b64 v[57:58], 1, v[59:60]
	s_delay_alu instid0(VALU_DEP_2) | instskip(NEXT) | instid1(VALU_DEP_3)
	v_add_co_u32 v59, vcc_lo, s10, v43
	v_add_co_ci_u32_e32 v60, vcc_lo, s11, v44, vcc_lo
	s_delay_alu instid0(VALU_DEP_3) | instskip(NEXT) | instid1(VALU_DEP_4)
	v_add_co_u32 v57, vcc_lo, s10, v57
	v_add_co_ci_u32_e32 v58, vcc_lo, s11, v58, vcc_lo
	s_clause 0x1
	global_load_u16 v43, v[59:60], off
	global_load_u16 v44, v[57:58], off
	s_waitcnt vmcnt(1)
	v_lshlrev_b32_e32 v61, 16, v43
	s_waitcnt vmcnt(0)
	v_dual_mov_b32 v43, 1 :: v_dual_lshlrev_b32 v62, 16, v44
	v_mov_b32_e32 v44, 0
	s_delay_alu instid0(VALU_DEP_2)
	v_cmpx_eq_f32_e32 v62, v61
	s_cbranch_execz .LBB1171_1054
; %bb.1047:
	v_add_co_u32 v43, vcc_lo, v59, 2
	v_add_co_ci_u32_e32 v44, vcc_lo, 0, v60, vcc_lo
	v_add_co_u32 v57, vcc_lo, v57, 2
	v_add_co_ci_u32_e32 v58, vcc_lo, 0, v58, vcc_lo
	s_add_u32 s12, s8, -1
	s_addc_u32 s13, s9, -1
	s_mov_b64 s[14:15], 0
	s_mov_b32 s19, 0
                                        ; implicit-def: $sgpr20
	s_set_inst_prefetch_distance 0x1
	s_branch .LBB1171_1050
	.p2align	6
.LBB1171_1048:                          ;   in Loop: Header=BB1171_1050 Depth=1
	global_load_u16 v59, v[43:44], off
	global_load_u16 v60, v[57:58], off
	v_add_co_u32 v43, vcc_lo, v43, 2
	v_add_co_ci_u32_e32 v44, vcc_lo, 0, v44, vcc_lo
	v_add_co_u32 v57, s0, v57, 2
	s_delay_alu instid0(VALU_DEP_1)
	v_add_co_ci_u32_e64 v58, s0, 0, v58, s0
	s_add_u32 s14, s14, 1
	s_addc_u32 s15, s15, 0
	s_and_not1_b32 s0, s20, exec_lo
	s_waitcnt vmcnt(1)
	v_lshlrev_b32_e32 v59, 16, v59
	s_waitcnt vmcnt(0)
	v_lshlrev_b32_e32 v60, 16, v60
	s_delay_alu instid0(VALU_DEP_1) | instskip(SKIP_1) | instid1(SALU_CYCLE_1)
	v_cmp_neq_f32_e32 vcc_lo, v60, v59
	s_and_b32 s20, vcc_lo, exec_lo
	s_or_b32 s20, s0, s20
.LBB1171_1049:                          ;   in Loop: Header=BB1171_1050 Depth=1
	v_dual_mov_b32 v60, s15 :: v_dual_mov_b32 v59, s14
	s_and_b32 s0, exec_lo, s20
	s_delay_alu instid0(SALU_CYCLE_1) | instskip(NEXT) | instid1(SALU_CYCLE_1)
	s_or_b32 s19, s0, s19
	s_and_not1_b32 exec_lo, exec_lo, s19
	s_cbranch_execz .LBB1171_1053
.LBB1171_1050:                          ; =>This Inner Loop Header: Depth=1
	s_or_b32 s20, s20, exec_lo
	s_cmp_eq_u64 s[12:13], s[14:15]
	s_cbranch_scc0 .LBB1171_1048
; %bb.1051:                             ;   in Loop: Header=BB1171_1050 Depth=1
	s_mov_b64 s[14:15], s[8:9]
                                        ; implicit-def: $vgpr43_vgpr44
                                        ; implicit-def: $vgpr57_vgpr58
	s_branch .LBB1171_1049
.LBB1171_1052:
	v_mov_b32_e32 v43, 0
	v_mov_b32_e32 v44, 0
	s_branch .LBB1171_1055
.LBB1171_1053:
	s_set_inst_prefetch_distance 0x2
	s_or_b32 exec_lo, exec_lo, s19
	v_cmp_gt_i64_e32 vcc_lo, s[8:9], v[59:60]
	s_mov_b32 s0, 0
	s_delay_alu instid0(SALU_CYCLE_1)
	v_mov_b32_e32 v44, s0
	v_cndmask_b32_e64 v43, 0, 1, vcc_lo
.LBB1171_1054:
	s_or_b32 exec_lo, exec_lo, s18
.LBB1171_1055:
	s_delay_alu instid0(SALU_CYCLE_1) | instskip(SKIP_2) | instid1(VALU_DEP_1)
	s_or_b32 exec_lo, exec_lo, s3
	v_add_nc_u32_e32 v57, 16, v64
	s_mov_b32 s3, exec_lo
	v_cmpx_gt_u32_e64 s6, v57
	s_cbranch_execz .LBB1171_1066
; %bb.1056:
	v_cmp_ne_u32_e32 vcc_lo, 1, v63
	s_cbranch_vccnz .LBB1171_1063
; %bb.1057:
	v_mul_lo_u32 v61, v40, s8
	v_mul_lo_u32 v62, v39, s9
	v_mad_u64_u32 v[57:58], null, v39, s8, 0
	v_mul_lo_u32 v42, v42, s8
	v_mul_lo_u32 v65, v41, s9
	v_mad_u64_u32 v[59:60], null, v41, s8, 0
	s_mov_b32 s18, exec_lo
	s_delay_alu instid0(VALU_DEP_4) | instskip(NEXT) | instid1(VALU_DEP_2)
	v_add3_u32 v58, v58, v62, v61
	v_add3_u32 v60, v60, v65, v42
	s_delay_alu instid0(VALU_DEP_2) | instskip(NEXT) | instid1(VALU_DEP_2)
	v_lshlrev_b64 v[41:42], 1, v[57:58]
	v_lshlrev_b64 v[57:58], 1, v[59:60]
	s_delay_alu instid0(VALU_DEP_2) | instskip(NEXT) | instid1(VALU_DEP_3)
	v_add_co_u32 v59, vcc_lo, s10, v41
	v_add_co_ci_u32_e32 v60, vcc_lo, s11, v42, vcc_lo
	s_delay_alu instid0(VALU_DEP_3) | instskip(NEXT) | instid1(VALU_DEP_4)
	v_add_co_u32 v57, vcc_lo, s10, v57
	v_add_co_ci_u32_e32 v58, vcc_lo, s11, v58, vcc_lo
	s_clause 0x1
	global_load_u16 v41, v[59:60], off
	global_load_u16 v42, v[57:58], off
	s_waitcnt vmcnt(1)
	v_lshlrev_b32_e32 v61, 16, v41
	s_waitcnt vmcnt(0)
	v_dual_mov_b32 v41, 1 :: v_dual_lshlrev_b32 v62, 16, v42
	v_mov_b32_e32 v42, 0
	s_delay_alu instid0(VALU_DEP_2)
	v_cmpx_eq_f32_e32 v62, v61
	s_cbranch_execz .LBB1171_1065
; %bb.1058:
	v_add_co_u32 v41, vcc_lo, v59, 2
	v_add_co_ci_u32_e32 v42, vcc_lo, 0, v60, vcc_lo
	v_add_co_u32 v57, vcc_lo, v57, 2
	v_add_co_ci_u32_e32 v58, vcc_lo, 0, v58, vcc_lo
	s_add_u32 s12, s8, -1
	s_addc_u32 s13, s9, -1
	s_mov_b64 s[14:15], 0
	s_mov_b32 s19, 0
                                        ; implicit-def: $sgpr20
	s_set_inst_prefetch_distance 0x1
	s_branch .LBB1171_1061
	.p2align	6
.LBB1171_1059:                          ;   in Loop: Header=BB1171_1061 Depth=1
	global_load_u16 v59, v[41:42], off
	global_load_u16 v60, v[57:58], off
	v_add_co_u32 v41, vcc_lo, v41, 2
	v_add_co_ci_u32_e32 v42, vcc_lo, 0, v42, vcc_lo
	v_add_co_u32 v57, s0, v57, 2
	s_delay_alu instid0(VALU_DEP_1)
	v_add_co_ci_u32_e64 v58, s0, 0, v58, s0
	s_add_u32 s14, s14, 1
	s_addc_u32 s15, s15, 0
	s_and_not1_b32 s0, s20, exec_lo
	s_waitcnt vmcnt(1)
	v_lshlrev_b32_e32 v59, 16, v59
	s_waitcnt vmcnt(0)
	v_lshlrev_b32_e32 v60, 16, v60
	s_delay_alu instid0(VALU_DEP_1) | instskip(SKIP_1) | instid1(SALU_CYCLE_1)
	v_cmp_neq_f32_e32 vcc_lo, v60, v59
	s_and_b32 s20, vcc_lo, exec_lo
	s_or_b32 s20, s0, s20
.LBB1171_1060:                          ;   in Loop: Header=BB1171_1061 Depth=1
	v_dual_mov_b32 v60, s15 :: v_dual_mov_b32 v59, s14
	s_and_b32 s0, exec_lo, s20
	s_delay_alu instid0(SALU_CYCLE_1) | instskip(NEXT) | instid1(SALU_CYCLE_1)
	s_or_b32 s19, s0, s19
	s_and_not1_b32 exec_lo, exec_lo, s19
	s_cbranch_execz .LBB1171_1064
.LBB1171_1061:                          ; =>This Inner Loop Header: Depth=1
	s_or_b32 s20, s20, exec_lo
	s_cmp_eq_u64 s[12:13], s[14:15]
	s_cbranch_scc0 .LBB1171_1059
; %bb.1062:                             ;   in Loop: Header=BB1171_1061 Depth=1
	s_mov_b64 s[14:15], s[8:9]
                                        ; implicit-def: $vgpr41_vgpr42
                                        ; implicit-def: $vgpr57_vgpr58
	s_branch .LBB1171_1060
.LBB1171_1063:
	v_mov_b32_e32 v41, 0
	v_mov_b32_e32 v42, 0
	s_branch .LBB1171_1066
.LBB1171_1064:
	s_set_inst_prefetch_distance 0x2
	s_or_b32 exec_lo, exec_lo, s19
	v_cmp_gt_i64_e32 vcc_lo, s[8:9], v[59:60]
	s_mov_b32 s0, 0
	s_delay_alu instid0(SALU_CYCLE_1)
	v_mov_b32_e32 v42, s0
	v_cndmask_b32_e64 v41, 0, 1, vcc_lo
.LBB1171_1065:
	s_or_b32 exec_lo, exec_lo, s18
.LBB1171_1066:
	s_delay_alu instid0(SALU_CYCLE_1) | instskip(SKIP_2) | instid1(VALU_DEP_1)
	s_or_b32 exec_lo, exec_lo, s3
	v_add_nc_u32_e32 v57, 15, v64
	s_mov_b32 s3, exec_lo
	v_cmpx_gt_u32_e64 s6, v57
	s_cbranch_execz .LBB1171_1077
; %bb.1067:
	v_cmp_ne_u32_e32 vcc_lo, 1, v63
	s_cbranch_vccnz .LBB1171_1074
; %bb.1068:
	v_mul_lo_u32 v61, v38, s8
	v_mul_lo_u32 v62, v37, s9
	v_mad_u64_u32 v[57:58], null, v37, s8, 0
	v_mul_lo_u32 v40, v40, s8
	v_mul_lo_u32 v65, v39, s9
	v_mad_u64_u32 v[59:60], null, v39, s8, 0
	s_mov_b32 s18, exec_lo
	s_delay_alu instid0(VALU_DEP_4) | instskip(NEXT) | instid1(VALU_DEP_2)
	v_add3_u32 v58, v58, v62, v61
	v_add3_u32 v60, v60, v65, v40
	s_delay_alu instid0(VALU_DEP_2) | instskip(NEXT) | instid1(VALU_DEP_2)
	v_lshlrev_b64 v[39:40], 1, v[57:58]
	v_lshlrev_b64 v[57:58], 1, v[59:60]
	s_delay_alu instid0(VALU_DEP_2) | instskip(NEXT) | instid1(VALU_DEP_3)
	v_add_co_u32 v59, vcc_lo, s10, v39
	v_add_co_ci_u32_e32 v60, vcc_lo, s11, v40, vcc_lo
	s_delay_alu instid0(VALU_DEP_3) | instskip(NEXT) | instid1(VALU_DEP_4)
	v_add_co_u32 v57, vcc_lo, s10, v57
	v_add_co_ci_u32_e32 v58, vcc_lo, s11, v58, vcc_lo
	s_clause 0x1
	global_load_u16 v39, v[59:60], off
	global_load_u16 v40, v[57:58], off
	s_waitcnt vmcnt(1)
	v_lshlrev_b32_e32 v61, 16, v39
	s_waitcnt vmcnt(0)
	v_dual_mov_b32 v39, 1 :: v_dual_lshlrev_b32 v62, 16, v40
	v_mov_b32_e32 v40, 0
	s_delay_alu instid0(VALU_DEP_2)
	v_cmpx_eq_f32_e32 v62, v61
	s_cbranch_execz .LBB1171_1076
; %bb.1069:
	v_add_co_u32 v39, vcc_lo, v59, 2
	v_add_co_ci_u32_e32 v40, vcc_lo, 0, v60, vcc_lo
	v_add_co_u32 v57, vcc_lo, v57, 2
	v_add_co_ci_u32_e32 v58, vcc_lo, 0, v58, vcc_lo
	s_add_u32 s12, s8, -1
	s_addc_u32 s13, s9, -1
	s_mov_b64 s[14:15], 0
	s_mov_b32 s19, 0
                                        ; implicit-def: $sgpr20
	s_set_inst_prefetch_distance 0x1
	s_branch .LBB1171_1072
	.p2align	6
.LBB1171_1070:                          ;   in Loop: Header=BB1171_1072 Depth=1
	global_load_u16 v59, v[39:40], off
	global_load_u16 v60, v[57:58], off
	v_add_co_u32 v39, vcc_lo, v39, 2
	v_add_co_ci_u32_e32 v40, vcc_lo, 0, v40, vcc_lo
	v_add_co_u32 v57, s0, v57, 2
	s_delay_alu instid0(VALU_DEP_1)
	v_add_co_ci_u32_e64 v58, s0, 0, v58, s0
	s_add_u32 s14, s14, 1
	s_addc_u32 s15, s15, 0
	s_and_not1_b32 s0, s20, exec_lo
	s_waitcnt vmcnt(1)
	v_lshlrev_b32_e32 v59, 16, v59
	s_waitcnt vmcnt(0)
	v_lshlrev_b32_e32 v60, 16, v60
	s_delay_alu instid0(VALU_DEP_1) | instskip(SKIP_1) | instid1(SALU_CYCLE_1)
	v_cmp_neq_f32_e32 vcc_lo, v60, v59
	s_and_b32 s20, vcc_lo, exec_lo
	s_or_b32 s20, s0, s20
.LBB1171_1071:                          ;   in Loop: Header=BB1171_1072 Depth=1
	v_dual_mov_b32 v60, s15 :: v_dual_mov_b32 v59, s14
	s_and_b32 s0, exec_lo, s20
	s_delay_alu instid0(SALU_CYCLE_1) | instskip(NEXT) | instid1(SALU_CYCLE_1)
	s_or_b32 s19, s0, s19
	s_and_not1_b32 exec_lo, exec_lo, s19
	s_cbranch_execz .LBB1171_1075
.LBB1171_1072:                          ; =>This Inner Loop Header: Depth=1
	s_or_b32 s20, s20, exec_lo
	s_cmp_eq_u64 s[12:13], s[14:15]
	s_cbranch_scc0 .LBB1171_1070
; %bb.1073:                             ;   in Loop: Header=BB1171_1072 Depth=1
	s_mov_b64 s[14:15], s[8:9]
                                        ; implicit-def: $vgpr39_vgpr40
                                        ; implicit-def: $vgpr57_vgpr58
	s_branch .LBB1171_1071
.LBB1171_1074:
	v_mov_b32_e32 v39, 0
	v_mov_b32_e32 v40, 0
	s_branch .LBB1171_1077
.LBB1171_1075:
	s_set_inst_prefetch_distance 0x2
	s_or_b32 exec_lo, exec_lo, s19
	v_cmp_gt_i64_e32 vcc_lo, s[8:9], v[59:60]
	s_mov_b32 s0, 0
	s_delay_alu instid0(SALU_CYCLE_1)
	v_mov_b32_e32 v40, s0
	v_cndmask_b32_e64 v39, 0, 1, vcc_lo
.LBB1171_1076:
	s_or_b32 exec_lo, exec_lo, s18
.LBB1171_1077:
	s_delay_alu instid0(SALU_CYCLE_1) | instskip(SKIP_2) | instid1(VALU_DEP_1)
	s_or_b32 exec_lo, exec_lo, s3
	v_add_nc_u32_e32 v57, 14, v64
	s_mov_b32 s3, exec_lo
	v_cmpx_gt_u32_e64 s6, v57
	s_cbranch_execz .LBB1171_1088
; %bb.1078:
	v_cmp_ne_u32_e32 vcc_lo, 1, v63
	s_cbranch_vccnz .LBB1171_1085
; %bb.1079:
	v_mul_lo_u32 v61, v36, s8
	v_mul_lo_u32 v62, v35, s9
	v_mad_u64_u32 v[57:58], null, v35, s8, 0
	v_mul_lo_u32 v38, v38, s8
	v_mul_lo_u32 v65, v37, s9
	v_mad_u64_u32 v[59:60], null, v37, s8, 0
	s_mov_b32 s18, exec_lo
	s_delay_alu instid0(VALU_DEP_4) | instskip(NEXT) | instid1(VALU_DEP_2)
	v_add3_u32 v58, v58, v62, v61
	v_add3_u32 v60, v60, v65, v38
	s_delay_alu instid0(VALU_DEP_2) | instskip(NEXT) | instid1(VALU_DEP_2)
	v_lshlrev_b64 v[37:38], 1, v[57:58]
	v_lshlrev_b64 v[57:58], 1, v[59:60]
	s_delay_alu instid0(VALU_DEP_2) | instskip(NEXT) | instid1(VALU_DEP_3)
	v_add_co_u32 v59, vcc_lo, s10, v37
	v_add_co_ci_u32_e32 v60, vcc_lo, s11, v38, vcc_lo
	s_delay_alu instid0(VALU_DEP_3) | instskip(NEXT) | instid1(VALU_DEP_4)
	v_add_co_u32 v57, vcc_lo, s10, v57
	v_add_co_ci_u32_e32 v58, vcc_lo, s11, v58, vcc_lo
	s_clause 0x1
	global_load_u16 v37, v[59:60], off
	global_load_u16 v38, v[57:58], off
	s_waitcnt vmcnt(1)
	v_lshlrev_b32_e32 v61, 16, v37
	s_waitcnt vmcnt(0)
	v_dual_mov_b32 v37, 1 :: v_dual_lshlrev_b32 v62, 16, v38
	v_mov_b32_e32 v38, 0
	s_delay_alu instid0(VALU_DEP_2)
	v_cmpx_eq_f32_e32 v62, v61
	s_cbranch_execz .LBB1171_1087
; %bb.1080:
	v_add_co_u32 v37, vcc_lo, v59, 2
	v_add_co_ci_u32_e32 v38, vcc_lo, 0, v60, vcc_lo
	v_add_co_u32 v57, vcc_lo, v57, 2
	v_add_co_ci_u32_e32 v58, vcc_lo, 0, v58, vcc_lo
	s_add_u32 s12, s8, -1
	s_addc_u32 s13, s9, -1
	s_mov_b64 s[14:15], 0
	s_mov_b32 s19, 0
                                        ; implicit-def: $sgpr20
	s_set_inst_prefetch_distance 0x1
	s_branch .LBB1171_1083
	.p2align	6
.LBB1171_1081:                          ;   in Loop: Header=BB1171_1083 Depth=1
	global_load_u16 v59, v[37:38], off
	global_load_u16 v60, v[57:58], off
	v_add_co_u32 v37, vcc_lo, v37, 2
	v_add_co_ci_u32_e32 v38, vcc_lo, 0, v38, vcc_lo
	v_add_co_u32 v57, s0, v57, 2
	s_delay_alu instid0(VALU_DEP_1)
	v_add_co_ci_u32_e64 v58, s0, 0, v58, s0
	s_add_u32 s14, s14, 1
	s_addc_u32 s15, s15, 0
	s_and_not1_b32 s0, s20, exec_lo
	s_waitcnt vmcnt(1)
	v_lshlrev_b32_e32 v59, 16, v59
	s_waitcnt vmcnt(0)
	v_lshlrev_b32_e32 v60, 16, v60
	s_delay_alu instid0(VALU_DEP_1) | instskip(SKIP_1) | instid1(SALU_CYCLE_1)
	v_cmp_neq_f32_e32 vcc_lo, v60, v59
	s_and_b32 s20, vcc_lo, exec_lo
	s_or_b32 s20, s0, s20
.LBB1171_1082:                          ;   in Loop: Header=BB1171_1083 Depth=1
	v_dual_mov_b32 v60, s15 :: v_dual_mov_b32 v59, s14
	s_and_b32 s0, exec_lo, s20
	s_delay_alu instid0(SALU_CYCLE_1) | instskip(NEXT) | instid1(SALU_CYCLE_1)
	s_or_b32 s19, s0, s19
	s_and_not1_b32 exec_lo, exec_lo, s19
	s_cbranch_execz .LBB1171_1086
.LBB1171_1083:                          ; =>This Inner Loop Header: Depth=1
	s_or_b32 s20, s20, exec_lo
	s_cmp_eq_u64 s[12:13], s[14:15]
	s_cbranch_scc0 .LBB1171_1081
; %bb.1084:                             ;   in Loop: Header=BB1171_1083 Depth=1
	s_mov_b64 s[14:15], s[8:9]
                                        ; implicit-def: $vgpr37_vgpr38
                                        ; implicit-def: $vgpr57_vgpr58
	s_branch .LBB1171_1082
.LBB1171_1085:
	v_mov_b32_e32 v37, 0
	v_mov_b32_e32 v38, 0
	s_branch .LBB1171_1088
.LBB1171_1086:
	s_set_inst_prefetch_distance 0x2
	s_or_b32 exec_lo, exec_lo, s19
	v_cmp_gt_i64_e32 vcc_lo, s[8:9], v[59:60]
	s_mov_b32 s0, 0
	s_delay_alu instid0(SALU_CYCLE_1)
	v_mov_b32_e32 v38, s0
	v_cndmask_b32_e64 v37, 0, 1, vcc_lo
.LBB1171_1087:
	s_or_b32 exec_lo, exec_lo, s18
.LBB1171_1088:
	s_delay_alu instid0(SALU_CYCLE_1) | instskip(SKIP_2) | instid1(VALU_DEP_1)
	s_or_b32 exec_lo, exec_lo, s3
	v_add_nc_u32_e32 v57, 13, v64
	s_mov_b32 s3, exec_lo
	v_cmpx_gt_u32_e64 s6, v57
	s_cbranch_execz .LBB1171_1099
; %bb.1089:
	v_cmp_ne_u32_e32 vcc_lo, 1, v63
	s_cbranch_vccnz .LBB1171_1096
; %bb.1090:
	v_mul_lo_u32 v61, v34, s8
	v_mul_lo_u32 v62, v33, s9
	v_mad_u64_u32 v[57:58], null, v33, s8, 0
	v_mul_lo_u32 v36, v36, s8
	v_mul_lo_u32 v65, v35, s9
	v_mad_u64_u32 v[59:60], null, v35, s8, 0
	s_mov_b32 s18, exec_lo
	s_delay_alu instid0(VALU_DEP_4) | instskip(NEXT) | instid1(VALU_DEP_2)
	v_add3_u32 v58, v58, v62, v61
	v_add3_u32 v60, v60, v65, v36
	s_delay_alu instid0(VALU_DEP_2) | instskip(NEXT) | instid1(VALU_DEP_2)
	v_lshlrev_b64 v[35:36], 1, v[57:58]
	v_lshlrev_b64 v[57:58], 1, v[59:60]
	s_delay_alu instid0(VALU_DEP_2) | instskip(NEXT) | instid1(VALU_DEP_3)
	v_add_co_u32 v59, vcc_lo, s10, v35
	v_add_co_ci_u32_e32 v60, vcc_lo, s11, v36, vcc_lo
	s_delay_alu instid0(VALU_DEP_3) | instskip(NEXT) | instid1(VALU_DEP_4)
	v_add_co_u32 v57, vcc_lo, s10, v57
	v_add_co_ci_u32_e32 v58, vcc_lo, s11, v58, vcc_lo
	s_clause 0x1
	global_load_u16 v35, v[59:60], off
	global_load_u16 v36, v[57:58], off
	s_waitcnt vmcnt(1)
	v_lshlrev_b32_e32 v61, 16, v35
	s_waitcnt vmcnt(0)
	v_dual_mov_b32 v35, 1 :: v_dual_lshlrev_b32 v62, 16, v36
	v_mov_b32_e32 v36, 0
	s_delay_alu instid0(VALU_DEP_2)
	v_cmpx_eq_f32_e32 v62, v61
	s_cbranch_execz .LBB1171_1098
; %bb.1091:
	v_add_co_u32 v35, vcc_lo, v59, 2
	v_add_co_ci_u32_e32 v36, vcc_lo, 0, v60, vcc_lo
	v_add_co_u32 v57, vcc_lo, v57, 2
	v_add_co_ci_u32_e32 v58, vcc_lo, 0, v58, vcc_lo
	s_add_u32 s12, s8, -1
	s_addc_u32 s13, s9, -1
	s_mov_b64 s[14:15], 0
	s_mov_b32 s19, 0
                                        ; implicit-def: $sgpr20
	s_set_inst_prefetch_distance 0x1
	s_branch .LBB1171_1094
	.p2align	6
.LBB1171_1092:                          ;   in Loop: Header=BB1171_1094 Depth=1
	global_load_u16 v59, v[35:36], off
	global_load_u16 v60, v[57:58], off
	v_add_co_u32 v35, vcc_lo, v35, 2
	v_add_co_ci_u32_e32 v36, vcc_lo, 0, v36, vcc_lo
	v_add_co_u32 v57, s0, v57, 2
	s_delay_alu instid0(VALU_DEP_1)
	v_add_co_ci_u32_e64 v58, s0, 0, v58, s0
	s_add_u32 s14, s14, 1
	s_addc_u32 s15, s15, 0
	s_and_not1_b32 s0, s20, exec_lo
	s_waitcnt vmcnt(1)
	v_lshlrev_b32_e32 v59, 16, v59
	s_waitcnt vmcnt(0)
	v_lshlrev_b32_e32 v60, 16, v60
	s_delay_alu instid0(VALU_DEP_1) | instskip(SKIP_1) | instid1(SALU_CYCLE_1)
	v_cmp_neq_f32_e32 vcc_lo, v60, v59
	s_and_b32 s20, vcc_lo, exec_lo
	s_or_b32 s20, s0, s20
.LBB1171_1093:                          ;   in Loop: Header=BB1171_1094 Depth=1
	v_dual_mov_b32 v60, s15 :: v_dual_mov_b32 v59, s14
	s_and_b32 s0, exec_lo, s20
	s_delay_alu instid0(SALU_CYCLE_1) | instskip(NEXT) | instid1(SALU_CYCLE_1)
	s_or_b32 s19, s0, s19
	s_and_not1_b32 exec_lo, exec_lo, s19
	s_cbranch_execz .LBB1171_1097
.LBB1171_1094:                          ; =>This Inner Loop Header: Depth=1
	s_or_b32 s20, s20, exec_lo
	s_cmp_eq_u64 s[12:13], s[14:15]
	s_cbranch_scc0 .LBB1171_1092
; %bb.1095:                             ;   in Loop: Header=BB1171_1094 Depth=1
	s_mov_b64 s[14:15], s[8:9]
                                        ; implicit-def: $vgpr35_vgpr36
                                        ; implicit-def: $vgpr57_vgpr58
	s_branch .LBB1171_1093
.LBB1171_1096:
	v_mov_b32_e32 v35, 0
	v_mov_b32_e32 v36, 0
	s_branch .LBB1171_1099
.LBB1171_1097:
	s_set_inst_prefetch_distance 0x2
	s_or_b32 exec_lo, exec_lo, s19
	v_cmp_gt_i64_e32 vcc_lo, s[8:9], v[59:60]
	s_mov_b32 s0, 0
	s_delay_alu instid0(SALU_CYCLE_1)
	v_mov_b32_e32 v36, s0
	v_cndmask_b32_e64 v35, 0, 1, vcc_lo
.LBB1171_1098:
	s_or_b32 exec_lo, exec_lo, s18
.LBB1171_1099:
	s_delay_alu instid0(SALU_CYCLE_1) | instskip(SKIP_2) | instid1(VALU_DEP_1)
	s_or_b32 exec_lo, exec_lo, s3
	v_add_nc_u32_e32 v57, 12, v64
	s_mov_b32 s3, exec_lo
	v_cmpx_gt_u32_e64 s6, v57
	s_cbranch_execz .LBB1171_1110
; %bb.1100:
	v_cmp_ne_u32_e32 vcc_lo, 1, v63
	s_cbranch_vccnz .LBB1171_1107
; %bb.1101:
	v_mul_lo_u32 v61, v32, s8
	v_mul_lo_u32 v62, v31, s9
	v_mad_u64_u32 v[57:58], null, v31, s8, 0
	v_mul_lo_u32 v34, v34, s8
	v_mul_lo_u32 v65, v33, s9
	v_mad_u64_u32 v[59:60], null, v33, s8, 0
	s_mov_b32 s18, exec_lo
	s_delay_alu instid0(VALU_DEP_4) | instskip(NEXT) | instid1(VALU_DEP_2)
	v_add3_u32 v58, v58, v62, v61
	v_add3_u32 v60, v60, v65, v34
	s_delay_alu instid0(VALU_DEP_2) | instskip(NEXT) | instid1(VALU_DEP_2)
	v_lshlrev_b64 v[33:34], 1, v[57:58]
	v_lshlrev_b64 v[57:58], 1, v[59:60]
	s_delay_alu instid0(VALU_DEP_2) | instskip(NEXT) | instid1(VALU_DEP_3)
	v_add_co_u32 v59, vcc_lo, s10, v33
	v_add_co_ci_u32_e32 v60, vcc_lo, s11, v34, vcc_lo
	s_delay_alu instid0(VALU_DEP_3) | instskip(NEXT) | instid1(VALU_DEP_4)
	v_add_co_u32 v57, vcc_lo, s10, v57
	v_add_co_ci_u32_e32 v58, vcc_lo, s11, v58, vcc_lo
	s_clause 0x1
	global_load_u16 v33, v[59:60], off
	global_load_u16 v34, v[57:58], off
	s_waitcnt vmcnt(1)
	v_lshlrev_b32_e32 v61, 16, v33
	s_waitcnt vmcnt(0)
	v_dual_mov_b32 v33, 1 :: v_dual_lshlrev_b32 v62, 16, v34
	v_mov_b32_e32 v34, 0
	s_delay_alu instid0(VALU_DEP_2)
	v_cmpx_eq_f32_e32 v62, v61
	s_cbranch_execz .LBB1171_1109
; %bb.1102:
	v_add_co_u32 v33, vcc_lo, v59, 2
	v_add_co_ci_u32_e32 v34, vcc_lo, 0, v60, vcc_lo
	v_add_co_u32 v57, vcc_lo, v57, 2
	v_add_co_ci_u32_e32 v58, vcc_lo, 0, v58, vcc_lo
	s_add_u32 s12, s8, -1
	s_addc_u32 s13, s9, -1
	s_mov_b64 s[14:15], 0
	s_mov_b32 s19, 0
                                        ; implicit-def: $sgpr20
	s_set_inst_prefetch_distance 0x1
	s_branch .LBB1171_1105
	.p2align	6
.LBB1171_1103:                          ;   in Loop: Header=BB1171_1105 Depth=1
	global_load_u16 v59, v[33:34], off
	global_load_u16 v60, v[57:58], off
	v_add_co_u32 v33, vcc_lo, v33, 2
	v_add_co_ci_u32_e32 v34, vcc_lo, 0, v34, vcc_lo
	v_add_co_u32 v57, s0, v57, 2
	s_delay_alu instid0(VALU_DEP_1)
	v_add_co_ci_u32_e64 v58, s0, 0, v58, s0
	s_add_u32 s14, s14, 1
	s_addc_u32 s15, s15, 0
	s_and_not1_b32 s0, s20, exec_lo
	s_waitcnt vmcnt(1)
	v_lshlrev_b32_e32 v59, 16, v59
	s_waitcnt vmcnt(0)
	v_lshlrev_b32_e32 v60, 16, v60
	s_delay_alu instid0(VALU_DEP_1) | instskip(SKIP_1) | instid1(SALU_CYCLE_1)
	v_cmp_neq_f32_e32 vcc_lo, v60, v59
	s_and_b32 s20, vcc_lo, exec_lo
	s_or_b32 s20, s0, s20
.LBB1171_1104:                          ;   in Loop: Header=BB1171_1105 Depth=1
	v_dual_mov_b32 v60, s15 :: v_dual_mov_b32 v59, s14
	s_and_b32 s0, exec_lo, s20
	s_delay_alu instid0(SALU_CYCLE_1) | instskip(NEXT) | instid1(SALU_CYCLE_1)
	s_or_b32 s19, s0, s19
	s_and_not1_b32 exec_lo, exec_lo, s19
	s_cbranch_execz .LBB1171_1108
.LBB1171_1105:                          ; =>This Inner Loop Header: Depth=1
	s_or_b32 s20, s20, exec_lo
	s_cmp_eq_u64 s[12:13], s[14:15]
	s_cbranch_scc0 .LBB1171_1103
; %bb.1106:                             ;   in Loop: Header=BB1171_1105 Depth=1
	s_mov_b64 s[14:15], s[8:9]
                                        ; implicit-def: $vgpr33_vgpr34
                                        ; implicit-def: $vgpr57_vgpr58
	s_branch .LBB1171_1104
.LBB1171_1107:
	v_mov_b32_e32 v33, 0
	v_mov_b32_e32 v34, 0
	s_branch .LBB1171_1110
.LBB1171_1108:
	s_set_inst_prefetch_distance 0x2
	s_or_b32 exec_lo, exec_lo, s19
	v_cmp_gt_i64_e32 vcc_lo, s[8:9], v[59:60]
	s_mov_b32 s0, 0
	s_delay_alu instid0(SALU_CYCLE_1)
	v_mov_b32_e32 v34, s0
	v_cndmask_b32_e64 v33, 0, 1, vcc_lo
.LBB1171_1109:
	s_or_b32 exec_lo, exec_lo, s18
.LBB1171_1110:
	s_delay_alu instid0(SALU_CYCLE_1) | instskip(SKIP_2) | instid1(VALU_DEP_1)
	s_or_b32 exec_lo, exec_lo, s3
	v_add_nc_u32_e32 v57, 11, v64
	s_mov_b32 s3, exec_lo
	v_cmpx_gt_u32_e64 s6, v57
	s_cbranch_execz .LBB1171_1121
; %bb.1111:
	v_cmp_ne_u32_e32 vcc_lo, 1, v63
	s_cbranch_vccnz .LBB1171_1118
; %bb.1112:
	v_mul_lo_u32 v61, v30, s8
	v_mul_lo_u32 v62, v29, s9
	v_mad_u64_u32 v[57:58], null, v29, s8, 0
	v_mul_lo_u32 v32, v32, s8
	v_mul_lo_u32 v65, v31, s9
	v_mad_u64_u32 v[59:60], null, v31, s8, 0
	s_mov_b32 s18, exec_lo
	s_delay_alu instid0(VALU_DEP_4) | instskip(NEXT) | instid1(VALU_DEP_2)
	v_add3_u32 v58, v58, v62, v61
	v_add3_u32 v60, v60, v65, v32
	s_delay_alu instid0(VALU_DEP_2) | instskip(NEXT) | instid1(VALU_DEP_2)
	v_lshlrev_b64 v[31:32], 1, v[57:58]
	v_lshlrev_b64 v[57:58], 1, v[59:60]
	s_delay_alu instid0(VALU_DEP_2) | instskip(NEXT) | instid1(VALU_DEP_3)
	v_add_co_u32 v59, vcc_lo, s10, v31
	v_add_co_ci_u32_e32 v60, vcc_lo, s11, v32, vcc_lo
	s_delay_alu instid0(VALU_DEP_3) | instskip(NEXT) | instid1(VALU_DEP_4)
	v_add_co_u32 v57, vcc_lo, s10, v57
	v_add_co_ci_u32_e32 v58, vcc_lo, s11, v58, vcc_lo
	s_clause 0x1
	global_load_u16 v31, v[59:60], off
	global_load_u16 v32, v[57:58], off
	s_waitcnt vmcnt(1)
	v_lshlrev_b32_e32 v61, 16, v31
	s_waitcnt vmcnt(0)
	v_dual_mov_b32 v31, 1 :: v_dual_lshlrev_b32 v62, 16, v32
	v_mov_b32_e32 v32, 0
	s_delay_alu instid0(VALU_DEP_2)
	v_cmpx_eq_f32_e32 v62, v61
	s_cbranch_execz .LBB1171_1120
; %bb.1113:
	v_add_co_u32 v31, vcc_lo, v59, 2
	v_add_co_ci_u32_e32 v32, vcc_lo, 0, v60, vcc_lo
	v_add_co_u32 v57, vcc_lo, v57, 2
	v_add_co_ci_u32_e32 v58, vcc_lo, 0, v58, vcc_lo
	s_add_u32 s12, s8, -1
	s_addc_u32 s13, s9, -1
	s_mov_b64 s[14:15], 0
	s_mov_b32 s19, 0
                                        ; implicit-def: $sgpr20
	s_set_inst_prefetch_distance 0x1
	s_branch .LBB1171_1116
	.p2align	6
.LBB1171_1114:                          ;   in Loop: Header=BB1171_1116 Depth=1
	global_load_u16 v59, v[31:32], off
	global_load_u16 v60, v[57:58], off
	v_add_co_u32 v31, vcc_lo, v31, 2
	v_add_co_ci_u32_e32 v32, vcc_lo, 0, v32, vcc_lo
	v_add_co_u32 v57, s0, v57, 2
	s_delay_alu instid0(VALU_DEP_1)
	v_add_co_ci_u32_e64 v58, s0, 0, v58, s0
	s_add_u32 s14, s14, 1
	s_addc_u32 s15, s15, 0
	s_and_not1_b32 s0, s20, exec_lo
	s_waitcnt vmcnt(1)
	v_lshlrev_b32_e32 v59, 16, v59
	s_waitcnt vmcnt(0)
	v_lshlrev_b32_e32 v60, 16, v60
	s_delay_alu instid0(VALU_DEP_1) | instskip(SKIP_1) | instid1(SALU_CYCLE_1)
	v_cmp_neq_f32_e32 vcc_lo, v60, v59
	s_and_b32 s20, vcc_lo, exec_lo
	s_or_b32 s20, s0, s20
.LBB1171_1115:                          ;   in Loop: Header=BB1171_1116 Depth=1
	v_dual_mov_b32 v60, s15 :: v_dual_mov_b32 v59, s14
	s_and_b32 s0, exec_lo, s20
	s_delay_alu instid0(SALU_CYCLE_1) | instskip(NEXT) | instid1(SALU_CYCLE_1)
	s_or_b32 s19, s0, s19
	s_and_not1_b32 exec_lo, exec_lo, s19
	s_cbranch_execz .LBB1171_1119
.LBB1171_1116:                          ; =>This Inner Loop Header: Depth=1
	s_or_b32 s20, s20, exec_lo
	s_cmp_eq_u64 s[12:13], s[14:15]
	s_cbranch_scc0 .LBB1171_1114
; %bb.1117:                             ;   in Loop: Header=BB1171_1116 Depth=1
	s_mov_b64 s[14:15], s[8:9]
                                        ; implicit-def: $vgpr31_vgpr32
                                        ; implicit-def: $vgpr57_vgpr58
	s_branch .LBB1171_1115
.LBB1171_1118:
	v_mov_b32_e32 v31, 0
	v_mov_b32_e32 v32, 0
	s_branch .LBB1171_1121
.LBB1171_1119:
	s_set_inst_prefetch_distance 0x2
	s_or_b32 exec_lo, exec_lo, s19
	v_cmp_gt_i64_e32 vcc_lo, s[8:9], v[59:60]
	s_mov_b32 s0, 0
	s_delay_alu instid0(SALU_CYCLE_1)
	v_mov_b32_e32 v32, s0
	v_cndmask_b32_e64 v31, 0, 1, vcc_lo
.LBB1171_1120:
	s_or_b32 exec_lo, exec_lo, s18
.LBB1171_1121:
	s_delay_alu instid0(SALU_CYCLE_1) | instskip(SKIP_2) | instid1(VALU_DEP_1)
	s_or_b32 exec_lo, exec_lo, s3
	v_add_nc_u32_e32 v57, 10, v64
	s_mov_b32 s3, exec_lo
	v_cmpx_gt_u32_e64 s6, v57
	s_cbranch_execz .LBB1171_1132
; %bb.1122:
	v_cmp_ne_u32_e32 vcc_lo, 1, v63
	s_cbranch_vccnz .LBB1171_1129
; %bb.1123:
	v_mul_lo_u32 v61, v28, s8
	v_mul_lo_u32 v62, v27, s9
	v_mad_u64_u32 v[57:58], null, v27, s8, 0
	v_mul_lo_u32 v30, v30, s8
	v_mul_lo_u32 v65, v29, s9
	v_mad_u64_u32 v[59:60], null, v29, s8, 0
	s_mov_b32 s18, exec_lo
	s_delay_alu instid0(VALU_DEP_4) | instskip(NEXT) | instid1(VALU_DEP_2)
	v_add3_u32 v58, v58, v62, v61
	v_add3_u32 v60, v60, v65, v30
	s_delay_alu instid0(VALU_DEP_2) | instskip(NEXT) | instid1(VALU_DEP_2)
	v_lshlrev_b64 v[29:30], 1, v[57:58]
	v_lshlrev_b64 v[57:58], 1, v[59:60]
	s_delay_alu instid0(VALU_DEP_2) | instskip(NEXT) | instid1(VALU_DEP_3)
	v_add_co_u32 v59, vcc_lo, s10, v29
	v_add_co_ci_u32_e32 v60, vcc_lo, s11, v30, vcc_lo
	s_delay_alu instid0(VALU_DEP_3) | instskip(NEXT) | instid1(VALU_DEP_4)
	v_add_co_u32 v57, vcc_lo, s10, v57
	v_add_co_ci_u32_e32 v58, vcc_lo, s11, v58, vcc_lo
	s_clause 0x1
	global_load_u16 v29, v[59:60], off
	global_load_u16 v30, v[57:58], off
	s_waitcnt vmcnt(1)
	v_lshlrev_b32_e32 v61, 16, v29
	s_waitcnt vmcnt(0)
	v_dual_mov_b32 v29, 1 :: v_dual_lshlrev_b32 v62, 16, v30
	v_mov_b32_e32 v30, 0
	s_delay_alu instid0(VALU_DEP_2)
	v_cmpx_eq_f32_e32 v62, v61
	s_cbranch_execz .LBB1171_1131
; %bb.1124:
	v_add_co_u32 v29, vcc_lo, v59, 2
	v_add_co_ci_u32_e32 v30, vcc_lo, 0, v60, vcc_lo
	v_add_co_u32 v57, vcc_lo, v57, 2
	v_add_co_ci_u32_e32 v58, vcc_lo, 0, v58, vcc_lo
	s_add_u32 s12, s8, -1
	s_addc_u32 s13, s9, -1
	s_mov_b64 s[14:15], 0
	s_mov_b32 s19, 0
                                        ; implicit-def: $sgpr20
	s_set_inst_prefetch_distance 0x1
	s_branch .LBB1171_1127
	.p2align	6
.LBB1171_1125:                          ;   in Loop: Header=BB1171_1127 Depth=1
	global_load_u16 v59, v[29:30], off
	global_load_u16 v60, v[57:58], off
	v_add_co_u32 v29, vcc_lo, v29, 2
	v_add_co_ci_u32_e32 v30, vcc_lo, 0, v30, vcc_lo
	v_add_co_u32 v57, s0, v57, 2
	s_delay_alu instid0(VALU_DEP_1)
	v_add_co_ci_u32_e64 v58, s0, 0, v58, s0
	s_add_u32 s14, s14, 1
	s_addc_u32 s15, s15, 0
	s_and_not1_b32 s0, s20, exec_lo
	s_waitcnt vmcnt(1)
	v_lshlrev_b32_e32 v59, 16, v59
	s_waitcnt vmcnt(0)
	v_lshlrev_b32_e32 v60, 16, v60
	s_delay_alu instid0(VALU_DEP_1) | instskip(SKIP_1) | instid1(SALU_CYCLE_1)
	v_cmp_neq_f32_e32 vcc_lo, v60, v59
	s_and_b32 s20, vcc_lo, exec_lo
	s_or_b32 s20, s0, s20
.LBB1171_1126:                          ;   in Loop: Header=BB1171_1127 Depth=1
	v_dual_mov_b32 v60, s15 :: v_dual_mov_b32 v59, s14
	s_and_b32 s0, exec_lo, s20
	s_delay_alu instid0(SALU_CYCLE_1) | instskip(NEXT) | instid1(SALU_CYCLE_1)
	s_or_b32 s19, s0, s19
	s_and_not1_b32 exec_lo, exec_lo, s19
	s_cbranch_execz .LBB1171_1130
.LBB1171_1127:                          ; =>This Inner Loop Header: Depth=1
	s_or_b32 s20, s20, exec_lo
	s_cmp_eq_u64 s[12:13], s[14:15]
	s_cbranch_scc0 .LBB1171_1125
; %bb.1128:                             ;   in Loop: Header=BB1171_1127 Depth=1
	s_mov_b64 s[14:15], s[8:9]
                                        ; implicit-def: $vgpr29_vgpr30
                                        ; implicit-def: $vgpr57_vgpr58
	s_branch .LBB1171_1126
.LBB1171_1129:
	v_mov_b32_e32 v29, 0
	v_mov_b32_e32 v30, 0
	s_branch .LBB1171_1132
.LBB1171_1130:
	s_set_inst_prefetch_distance 0x2
	s_or_b32 exec_lo, exec_lo, s19
	v_cmp_gt_i64_e32 vcc_lo, s[8:9], v[59:60]
	s_mov_b32 s0, 0
	s_delay_alu instid0(SALU_CYCLE_1)
	v_mov_b32_e32 v30, s0
	v_cndmask_b32_e64 v29, 0, 1, vcc_lo
.LBB1171_1131:
	s_or_b32 exec_lo, exec_lo, s18
.LBB1171_1132:
	s_delay_alu instid0(SALU_CYCLE_1) | instskip(SKIP_2) | instid1(VALU_DEP_1)
	s_or_b32 exec_lo, exec_lo, s3
	v_add_nc_u32_e32 v57, 9, v64
	s_mov_b32 s3, exec_lo
	v_cmpx_gt_u32_e64 s6, v57
	s_cbranch_execz .LBB1171_1143
; %bb.1133:
	v_cmp_ne_u32_e32 vcc_lo, 1, v63
	s_cbranch_vccnz .LBB1171_1140
; %bb.1134:
	v_mul_lo_u32 v61, v26, s8
	v_mul_lo_u32 v62, v25, s9
	v_mad_u64_u32 v[57:58], null, v25, s8, 0
	v_mul_lo_u32 v28, v28, s8
	v_mul_lo_u32 v65, v27, s9
	v_mad_u64_u32 v[59:60], null, v27, s8, 0
	s_mov_b32 s18, exec_lo
	s_delay_alu instid0(VALU_DEP_4) | instskip(NEXT) | instid1(VALU_DEP_2)
	v_add3_u32 v58, v58, v62, v61
	v_add3_u32 v60, v60, v65, v28
	s_delay_alu instid0(VALU_DEP_2) | instskip(NEXT) | instid1(VALU_DEP_2)
	v_lshlrev_b64 v[27:28], 1, v[57:58]
	v_lshlrev_b64 v[57:58], 1, v[59:60]
	s_delay_alu instid0(VALU_DEP_2) | instskip(NEXT) | instid1(VALU_DEP_3)
	v_add_co_u32 v59, vcc_lo, s10, v27
	v_add_co_ci_u32_e32 v60, vcc_lo, s11, v28, vcc_lo
	s_delay_alu instid0(VALU_DEP_3) | instskip(NEXT) | instid1(VALU_DEP_4)
	v_add_co_u32 v57, vcc_lo, s10, v57
	v_add_co_ci_u32_e32 v58, vcc_lo, s11, v58, vcc_lo
	s_clause 0x1
	global_load_u16 v27, v[59:60], off
	global_load_u16 v28, v[57:58], off
	s_waitcnt vmcnt(1)
	v_lshlrev_b32_e32 v61, 16, v27
	s_waitcnt vmcnt(0)
	v_dual_mov_b32 v27, 1 :: v_dual_lshlrev_b32 v62, 16, v28
	v_mov_b32_e32 v28, 0
	s_delay_alu instid0(VALU_DEP_2)
	v_cmpx_eq_f32_e32 v62, v61
	s_cbranch_execz .LBB1171_1142
; %bb.1135:
	v_add_co_u32 v27, vcc_lo, v59, 2
	v_add_co_ci_u32_e32 v28, vcc_lo, 0, v60, vcc_lo
	v_add_co_u32 v57, vcc_lo, v57, 2
	v_add_co_ci_u32_e32 v58, vcc_lo, 0, v58, vcc_lo
	s_add_u32 s12, s8, -1
	s_addc_u32 s13, s9, -1
	s_mov_b64 s[14:15], 0
	s_mov_b32 s19, 0
                                        ; implicit-def: $sgpr20
	s_set_inst_prefetch_distance 0x1
	s_branch .LBB1171_1138
	.p2align	6
.LBB1171_1136:                          ;   in Loop: Header=BB1171_1138 Depth=1
	global_load_u16 v59, v[27:28], off
	global_load_u16 v60, v[57:58], off
	v_add_co_u32 v27, vcc_lo, v27, 2
	v_add_co_ci_u32_e32 v28, vcc_lo, 0, v28, vcc_lo
	v_add_co_u32 v57, s0, v57, 2
	s_delay_alu instid0(VALU_DEP_1)
	v_add_co_ci_u32_e64 v58, s0, 0, v58, s0
	s_add_u32 s14, s14, 1
	s_addc_u32 s15, s15, 0
	s_and_not1_b32 s0, s20, exec_lo
	s_waitcnt vmcnt(1)
	v_lshlrev_b32_e32 v59, 16, v59
	s_waitcnt vmcnt(0)
	v_lshlrev_b32_e32 v60, 16, v60
	s_delay_alu instid0(VALU_DEP_1) | instskip(SKIP_1) | instid1(SALU_CYCLE_1)
	v_cmp_neq_f32_e32 vcc_lo, v60, v59
	s_and_b32 s20, vcc_lo, exec_lo
	s_or_b32 s20, s0, s20
.LBB1171_1137:                          ;   in Loop: Header=BB1171_1138 Depth=1
	v_dual_mov_b32 v60, s15 :: v_dual_mov_b32 v59, s14
	s_and_b32 s0, exec_lo, s20
	s_delay_alu instid0(SALU_CYCLE_1) | instskip(NEXT) | instid1(SALU_CYCLE_1)
	s_or_b32 s19, s0, s19
	s_and_not1_b32 exec_lo, exec_lo, s19
	s_cbranch_execz .LBB1171_1141
.LBB1171_1138:                          ; =>This Inner Loop Header: Depth=1
	s_or_b32 s20, s20, exec_lo
	s_cmp_eq_u64 s[12:13], s[14:15]
	s_cbranch_scc0 .LBB1171_1136
; %bb.1139:                             ;   in Loop: Header=BB1171_1138 Depth=1
	s_mov_b64 s[14:15], s[8:9]
                                        ; implicit-def: $vgpr27_vgpr28
                                        ; implicit-def: $vgpr57_vgpr58
	s_branch .LBB1171_1137
.LBB1171_1140:
	v_mov_b32_e32 v27, 0
	v_mov_b32_e32 v28, 0
	s_branch .LBB1171_1143
.LBB1171_1141:
	s_set_inst_prefetch_distance 0x2
	s_or_b32 exec_lo, exec_lo, s19
	v_cmp_gt_i64_e32 vcc_lo, s[8:9], v[59:60]
	s_mov_b32 s0, 0
	s_delay_alu instid0(SALU_CYCLE_1)
	v_mov_b32_e32 v28, s0
	v_cndmask_b32_e64 v27, 0, 1, vcc_lo
.LBB1171_1142:
	s_or_b32 exec_lo, exec_lo, s18
.LBB1171_1143:
	s_delay_alu instid0(SALU_CYCLE_1) | instskip(SKIP_2) | instid1(VALU_DEP_1)
	s_or_b32 exec_lo, exec_lo, s3
	v_add_nc_u32_e32 v57, 8, v64
	s_mov_b32 s3, exec_lo
	v_cmpx_gt_u32_e64 s6, v57
	s_cbranch_execz .LBB1171_1154
; %bb.1144:
	v_cmp_ne_u32_e32 vcc_lo, 1, v63
	s_cbranch_vccnz .LBB1171_1151
; %bb.1145:
	v_mul_lo_u32 v61, v24, s8
	v_mul_lo_u32 v62, v23, s9
	v_mad_u64_u32 v[57:58], null, v23, s8, 0
	v_mul_lo_u32 v26, v26, s8
	v_mul_lo_u32 v65, v25, s9
	v_mad_u64_u32 v[59:60], null, v25, s8, 0
	s_mov_b32 s18, exec_lo
	s_delay_alu instid0(VALU_DEP_4) | instskip(NEXT) | instid1(VALU_DEP_2)
	v_add3_u32 v58, v58, v62, v61
	v_add3_u32 v60, v60, v65, v26
	s_delay_alu instid0(VALU_DEP_2) | instskip(NEXT) | instid1(VALU_DEP_2)
	v_lshlrev_b64 v[25:26], 1, v[57:58]
	v_lshlrev_b64 v[57:58], 1, v[59:60]
	s_delay_alu instid0(VALU_DEP_2) | instskip(NEXT) | instid1(VALU_DEP_3)
	v_add_co_u32 v59, vcc_lo, s10, v25
	v_add_co_ci_u32_e32 v60, vcc_lo, s11, v26, vcc_lo
	s_delay_alu instid0(VALU_DEP_3) | instskip(NEXT) | instid1(VALU_DEP_4)
	v_add_co_u32 v57, vcc_lo, s10, v57
	v_add_co_ci_u32_e32 v58, vcc_lo, s11, v58, vcc_lo
	s_clause 0x1
	global_load_u16 v25, v[59:60], off
	global_load_u16 v26, v[57:58], off
	s_waitcnt vmcnt(1)
	v_lshlrev_b32_e32 v61, 16, v25
	s_waitcnt vmcnt(0)
	v_dual_mov_b32 v25, 1 :: v_dual_lshlrev_b32 v62, 16, v26
	v_mov_b32_e32 v26, 0
	s_delay_alu instid0(VALU_DEP_2)
	v_cmpx_eq_f32_e32 v62, v61
	s_cbranch_execz .LBB1171_1153
; %bb.1146:
	v_add_co_u32 v25, vcc_lo, v59, 2
	v_add_co_ci_u32_e32 v26, vcc_lo, 0, v60, vcc_lo
	v_add_co_u32 v57, vcc_lo, v57, 2
	v_add_co_ci_u32_e32 v58, vcc_lo, 0, v58, vcc_lo
	s_add_u32 s12, s8, -1
	s_addc_u32 s13, s9, -1
	s_mov_b64 s[14:15], 0
	s_mov_b32 s19, 0
                                        ; implicit-def: $sgpr20
	s_set_inst_prefetch_distance 0x1
	s_branch .LBB1171_1149
	.p2align	6
.LBB1171_1147:                          ;   in Loop: Header=BB1171_1149 Depth=1
	global_load_u16 v59, v[25:26], off
	global_load_u16 v60, v[57:58], off
	v_add_co_u32 v25, vcc_lo, v25, 2
	v_add_co_ci_u32_e32 v26, vcc_lo, 0, v26, vcc_lo
	v_add_co_u32 v57, s0, v57, 2
	s_delay_alu instid0(VALU_DEP_1)
	v_add_co_ci_u32_e64 v58, s0, 0, v58, s0
	s_add_u32 s14, s14, 1
	s_addc_u32 s15, s15, 0
	s_and_not1_b32 s0, s20, exec_lo
	s_waitcnt vmcnt(1)
	v_lshlrev_b32_e32 v59, 16, v59
	s_waitcnt vmcnt(0)
	v_lshlrev_b32_e32 v60, 16, v60
	s_delay_alu instid0(VALU_DEP_1) | instskip(SKIP_1) | instid1(SALU_CYCLE_1)
	v_cmp_neq_f32_e32 vcc_lo, v60, v59
	s_and_b32 s20, vcc_lo, exec_lo
	s_or_b32 s20, s0, s20
.LBB1171_1148:                          ;   in Loop: Header=BB1171_1149 Depth=1
	v_dual_mov_b32 v60, s15 :: v_dual_mov_b32 v59, s14
	s_and_b32 s0, exec_lo, s20
	s_delay_alu instid0(SALU_CYCLE_1) | instskip(NEXT) | instid1(SALU_CYCLE_1)
	s_or_b32 s19, s0, s19
	s_and_not1_b32 exec_lo, exec_lo, s19
	s_cbranch_execz .LBB1171_1152
.LBB1171_1149:                          ; =>This Inner Loop Header: Depth=1
	s_or_b32 s20, s20, exec_lo
	s_cmp_eq_u64 s[12:13], s[14:15]
	s_cbranch_scc0 .LBB1171_1147
; %bb.1150:                             ;   in Loop: Header=BB1171_1149 Depth=1
	s_mov_b64 s[14:15], s[8:9]
                                        ; implicit-def: $vgpr25_vgpr26
                                        ; implicit-def: $vgpr57_vgpr58
	s_branch .LBB1171_1148
.LBB1171_1151:
	v_mov_b32_e32 v25, 0
	v_mov_b32_e32 v26, 0
	s_branch .LBB1171_1154
.LBB1171_1152:
	s_set_inst_prefetch_distance 0x2
	s_or_b32 exec_lo, exec_lo, s19
	v_cmp_gt_i64_e32 vcc_lo, s[8:9], v[59:60]
	s_mov_b32 s0, 0
	s_delay_alu instid0(SALU_CYCLE_1)
	v_mov_b32_e32 v26, s0
	v_cndmask_b32_e64 v25, 0, 1, vcc_lo
.LBB1171_1153:
	s_or_b32 exec_lo, exec_lo, s18
.LBB1171_1154:
	s_delay_alu instid0(SALU_CYCLE_1) | instskip(SKIP_2) | instid1(VALU_DEP_1)
	s_or_b32 exec_lo, exec_lo, s3
	v_add_nc_u32_e32 v57, 7, v64
	s_mov_b32 s3, exec_lo
	v_cmpx_gt_u32_e64 s6, v57
	s_cbranch_execz .LBB1171_1165
; %bb.1155:
	v_cmp_ne_u32_e32 vcc_lo, 1, v63
	s_cbranch_vccnz .LBB1171_1162
; %bb.1156:
	v_mul_lo_u32 v61, v22, s8
	v_mul_lo_u32 v62, v21, s9
	v_mad_u64_u32 v[57:58], null, v21, s8, 0
	v_mul_lo_u32 v24, v24, s8
	v_mul_lo_u32 v65, v23, s9
	v_mad_u64_u32 v[59:60], null, v23, s8, 0
	s_mov_b32 s18, exec_lo
	s_delay_alu instid0(VALU_DEP_4) | instskip(NEXT) | instid1(VALU_DEP_2)
	v_add3_u32 v58, v58, v62, v61
	v_add3_u32 v60, v60, v65, v24
	s_delay_alu instid0(VALU_DEP_2) | instskip(NEXT) | instid1(VALU_DEP_2)
	v_lshlrev_b64 v[23:24], 1, v[57:58]
	v_lshlrev_b64 v[57:58], 1, v[59:60]
	s_delay_alu instid0(VALU_DEP_2) | instskip(NEXT) | instid1(VALU_DEP_3)
	v_add_co_u32 v59, vcc_lo, s10, v23
	v_add_co_ci_u32_e32 v60, vcc_lo, s11, v24, vcc_lo
	s_delay_alu instid0(VALU_DEP_3) | instskip(NEXT) | instid1(VALU_DEP_4)
	v_add_co_u32 v57, vcc_lo, s10, v57
	v_add_co_ci_u32_e32 v58, vcc_lo, s11, v58, vcc_lo
	s_clause 0x1
	global_load_u16 v23, v[59:60], off
	global_load_u16 v24, v[57:58], off
	s_waitcnt vmcnt(1)
	v_lshlrev_b32_e32 v61, 16, v23
	s_waitcnt vmcnt(0)
	v_dual_mov_b32 v23, 1 :: v_dual_lshlrev_b32 v62, 16, v24
	v_mov_b32_e32 v24, 0
	s_delay_alu instid0(VALU_DEP_2)
	v_cmpx_eq_f32_e32 v62, v61
	s_cbranch_execz .LBB1171_1164
; %bb.1157:
	v_add_co_u32 v23, vcc_lo, v59, 2
	v_add_co_ci_u32_e32 v24, vcc_lo, 0, v60, vcc_lo
	v_add_co_u32 v57, vcc_lo, v57, 2
	v_add_co_ci_u32_e32 v58, vcc_lo, 0, v58, vcc_lo
	s_add_u32 s12, s8, -1
	s_addc_u32 s13, s9, -1
	s_mov_b64 s[14:15], 0
	s_mov_b32 s19, 0
                                        ; implicit-def: $sgpr20
	s_set_inst_prefetch_distance 0x1
	s_branch .LBB1171_1160
	.p2align	6
.LBB1171_1158:                          ;   in Loop: Header=BB1171_1160 Depth=1
	global_load_u16 v59, v[23:24], off
	global_load_u16 v60, v[57:58], off
	v_add_co_u32 v23, vcc_lo, v23, 2
	v_add_co_ci_u32_e32 v24, vcc_lo, 0, v24, vcc_lo
	v_add_co_u32 v57, s0, v57, 2
	s_delay_alu instid0(VALU_DEP_1)
	v_add_co_ci_u32_e64 v58, s0, 0, v58, s0
	s_add_u32 s14, s14, 1
	s_addc_u32 s15, s15, 0
	s_and_not1_b32 s0, s20, exec_lo
	s_waitcnt vmcnt(1)
	v_lshlrev_b32_e32 v59, 16, v59
	s_waitcnt vmcnt(0)
	v_lshlrev_b32_e32 v60, 16, v60
	s_delay_alu instid0(VALU_DEP_1) | instskip(SKIP_1) | instid1(SALU_CYCLE_1)
	v_cmp_neq_f32_e32 vcc_lo, v60, v59
	s_and_b32 s20, vcc_lo, exec_lo
	s_or_b32 s20, s0, s20
.LBB1171_1159:                          ;   in Loop: Header=BB1171_1160 Depth=1
	v_dual_mov_b32 v60, s15 :: v_dual_mov_b32 v59, s14
	s_and_b32 s0, exec_lo, s20
	s_delay_alu instid0(SALU_CYCLE_1) | instskip(NEXT) | instid1(SALU_CYCLE_1)
	s_or_b32 s19, s0, s19
	s_and_not1_b32 exec_lo, exec_lo, s19
	s_cbranch_execz .LBB1171_1163
.LBB1171_1160:                          ; =>This Inner Loop Header: Depth=1
	s_or_b32 s20, s20, exec_lo
	s_cmp_eq_u64 s[12:13], s[14:15]
	s_cbranch_scc0 .LBB1171_1158
; %bb.1161:                             ;   in Loop: Header=BB1171_1160 Depth=1
	s_mov_b64 s[14:15], s[8:9]
                                        ; implicit-def: $vgpr23_vgpr24
                                        ; implicit-def: $vgpr57_vgpr58
	s_branch .LBB1171_1159
.LBB1171_1162:
	v_mov_b32_e32 v23, 0
	v_mov_b32_e32 v24, 0
	s_branch .LBB1171_1165
.LBB1171_1163:
	s_set_inst_prefetch_distance 0x2
	s_or_b32 exec_lo, exec_lo, s19
	v_cmp_gt_i64_e32 vcc_lo, s[8:9], v[59:60]
	s_mov_b32 s0, 0
	s_delay_alu instid0(SALU_CYCLE_1)
	v_mov_b32_e32 v24, s0
	v_cndmask_b32_e64 v23, 0, 1, vcc_lo
.LBB1171_1164:
	s_or_b32 exec_lo, exec_lo, s18
.LBB1171_1165:
	s_delay_alu instid0(SALU_CYCLE_1) | instskip(SKIP_2) | instid1(VALU_DEP_1)
	s_or_b32 exec_lo, exec_lo, s3
	v_add_nc_u32_e32 v57, 6, v64
	s_mov_b32 s3, exec_lo
	v_cmpx_gt_u32_e64 s6, v57
	s_cbranch_execz .LBB1171_1176
; %bb.1166:
	v_cmp_ne_u32_e32 vcc_lo, 1, v63
	s_cbranch_vccnz .LBB1171_1173
; %bb.1167:
	v_mul_lo_u32 v61, v20, s8
	v_mul_lo_u32 v62, v19, s9
	v_mad_u64_u32 v[57:58], null, v19, s8, 0
	v_mul_lo_u32 v22, v22, s8
	v_mul_lo_u32 v65, v21, s9
	v_mad_u64_u32 v[59:60], null, v21, s8, 0
	s_mov_b32 s18, exec_lo
	s_delay_alu instid0(VALU_DEP_4) | instskip(NEXT) | instid1(VALU_DEP_2)
	v_add3_u32 v58, v58, v62, v61
	v_add3_u32 v60, v60, v65, v22
	s_delay_alu instid0(VALU_DEP_2) | instskip(NEXT) | instid1(VALU_DEP_2)
	v_lshlrev_b64 v[21:22], 1, v[57:58]
	v_lshlrev_b64 v[57:58], 1, v[59:60]
	s_delay_alu instid0(VALU_DEP_2) | instskip(NEXT) | instid1(VALU_DEP_3)
	v_add_co_u32 v59, vcc_lo, s10, v21
	v_add_co_ci_u32_e32 v60, vcc_lo, s11, v22, vcc_lo
	s_delay_alu instid0(VALU_DEP_3) | instskip(NEXT) | instid1(VALU_DEP_4)
	v_add_co_u32 v57, vcc_lo, s10, v57
	v_add_co_ci_u32_e32 v58, vcc_lo, s11, v58, vcc_lo
	s_clause 0x1
	global_load_u16 v21, v[59:60], off
	global_load_u16 v22, v[57:58], off
	s_waitcnt vmcnt(1)
	v_lshlrev_b32_e32 v61, 16, v21
	s_waitcnt vmcnt(0)
	v_dual_mov_b32 v21, 1 :: v_dual_lshlrev_b32 v62, 16, v22
	v_mov_b32_e32 v22, 0
	s_delay_alu instid0(VALU_DEP_2)
	v_cmpx_eq_f32_e32 v62, v61
	s_cbranch_execz .LBB1171_1175
; %bb.1168:
	v_add_co_u32 v21, vcc_lo, v59, 2
	v_add_co_ci_u32_e32 v22, vcc_lo, 0, v60, vcc_lo
	v_add_co_u32 v57, vcc_lo, v57, 2
	v_add_co_ci_u32_e32 v58, vcc_lo, 0, v58, vcc_lo
	s_add_u32 s12, s8, -1
	s_addc_u32 s13, s9, -1
	s_mov_b64 s[14:15], 0
	s_mov_b32 s19, 0
                                        ; implicit-def: $sgpr20
	s_set_inst_prefetch_distance 0x1
	s_branch .LBB1171_1171
	.p2align	6
.LBB1171_1169:                          ;   in Loop: Header=BB1171_1171 Depth=1
	global_load_u16 v59, v[21:22], off
	global_load_u16 v60, v[57:58], off
	v_add_co_u32 v21, vcc_lo, v21, 2
	v_add_co_ci_u32_e32 v22, vcc_lo, 0, v22, vcc_lo
	v_add_co_u32 v57, s0, v57, 2
	s_delay_alu instid0(VALU_DEP_1)
	v_add_co_ci_u32_e64 v58, s0, 0, v58, s0
	s_add_u32 s14, s14, 1
	s_addc_u32 s15, s15, 0
	s_and_not1_b32 s0, s20, exec_lo
	s_waitcnt vmcnt(1)
	v_lshlrev_b32_e32 v59, 16, v59
	s_waitcnt vmcnt(0)
	v_lshlrev_b32_e32 v60, 16, v60
	s_delay_alu instid0(VALU_DEP_1) | instskip(SKIP_1) | instid1(SALU_CYCLE_1)
	v_cmp_neq_f32_e32 vcc_lo, v60, v59
	s_and_b32 s20, vcc_lo, exec_lo
	s_or_b32 s20, s0, s20
.LBB1171_1170:                          ;   in Loop: Header=BB1171_1171 Depth=1
	v_dual_mov_b32 v60, s15 :: v_dual_mov_b32 v59, s14
	s_and_b32 s0, exec_lo, s20
	s_delay_alu instid0(SALU_CYCLE_1) | instskip(NEXT) | instid1(SALU_CYCLE_1)
	s_or_b32 s19, s0, s19
	s_and_not1_b32 exec_lo, exec_lo, s19
	s_cbranch_execz .LBB1171_1174
.LBB1171_1171:                          ; =>This Inner Loop Header: Depth=1
	s_or_b32 s20, s20, exec_lo
	s_cmp_eq_u64 s[12:13], s[14:15]
	s_cbranch_scc0 .LBB1171_1169
; %bb.1172:                             ;   in Loop: Header=BB1171_1171 Depth=1
	s_mov_b64 s[14:15], s[8:9]
                                        ; implicit-def: $vgpr21_vgpr22
                                        ; implicit-def: $vgpr57_vgpr58
	s_branch .LBB1171_1170
.LBB1171_1173:
	v_mov_b32_e32 v21, 0
	v_mov_b32_e32 v22, 0
	s_branch .LBB1171_1176
.LBB1171_1174:
	s_set_inst_prefetch_distance 0x2
	s_or_b32 exec_lo, exec_lo, s19
	v_cmp_gt_i64_e32 vcc_lo, s[8:9], v[59:60]
	s_mov_b32 s0, 0
	s_delay_alu instid0(SALU_CYCLE_1)
	v_mov_b32_e32 v22, s0
	v_cndmask_b32_e64 v21, 0, 1, vcc_lo
.LBB1171_1175:
	s_or_b32 exec_lo, exec_lo, s18
.LBB1171_1176:
	s_delay_alu instid0(SALU_CYCLE_1) | instskip(SKIP_2) | instid1(VALU_DEP_1)
	s_or_b32 exec_lo, exec_lo, s3
	v_add_nc_u32_e32 v57, 5, v64
	s_mov_b32 s3, exec_lo
	v_cmpx_gt_u32_e64 s6, v57
	s_cbranch_execz .LBB1171_1187
; %bb.1177:
	v_cmp_ne_u32_e32 vcc_lo, 1, v63
	s_cbranch_vccnz .LBB1171_1184
; %bb.1178:
	v_mul_lo_u32 v61, v18, s8
	v_mul_lo_u32 v62, v17, s9
	v_mad_u64_u32 v[57:58], null, v17, s8, 0
	v_mul_lo_u32 v20, v20, s8
	v_mul_lo_u32 v65, v19, s9
	v_mad_u64_u32 v[59:60], null, v19, s8, 0
	s_mov_b32 s18, exec_lo
	s_delay_alu instid0(VALU_DEP_4) | instskip(NEXT) | instid1(VALU_DEP_2)
	v_add3_u32 v58, v58, v62, v61
	v_add3_u32 v60, v60, v65, v20
	s_delay_alu instid0(VALU_DEP_2) | instskip(NEXT) | instid1(VALU_DEP_2)
	v_lshlrev_b64 v[19:20], 1, v[57:58]
	v_lshlrev_b64 v[57:58], 1, v[59:60]
	s_delay_alu instid0(VALU_DEP_2) | instskip(NEXT) | instid1(VALU_DEP_3)
	v_add_co_u32 v59, vcc_lo, s10, v19
	v_add_co_ci_u32_e32 v60, vcc_lo, s11, v20, vcc_lo
	s_delay_alu instid0(VALU_DEP_3) | instskip(NEXT) | instid1(VALU_DEP_4)
	v_add_co_u32 v57, vcc_lo, s10, v57
	v_add_co_ci_u32_e32 v58, vcc_lo, s11, v58, vcc_lo
	s_clause 0x1
	global_load_u16 v19, v[59:60], off
	global_load_u16 v20, v[57:58], off
	s_waitcnt vmcnt(1)
	v_lshlrev_b32_e32 v61, 16, v19
	s_waitcnt vmcnt(0)
	v_dual_mov_b32 v19, 1 :: v_dual_lshlrev_b32 v62, 16, v20
	v_mov_b32_e32 v20, 0
	s_delay_alu instid0(VALU_DEP_2)
	v_cmpx_eq_f32_e32 v62, v61
	s_cbranch_execz .LBB1171_1186
; %bb.1179:
	v_add_co_u32 v19, vcc_lo, v59, 2
	v_add_co_ci_u32_e32 v20, vcc_lo, 0, v60, vcc_lo
	v_add_co_u32 v57, vcc_lo, v57, 2
	v_add_co_ci_u32_e32 v58, vcc_lo, 0, v58, vcc_lo
	s_add_u32 s12, s8, -1
	s_addc_u32 s13, s9, -1
	s_mov_b64 s[14:15], 0
	s_mov_b32 s19, 0
                                        ; implicit-def: $sgpr20
	s_set_inst_prefetch_distance 0x1
	s_branch .LBB1171_1182
	.p2align	6
.LBB1171_1180:                          ;   in Loop: Header=BB1171_1182 Depth=1
	global_load_u16 v59, v[19:20], off
	global_load_u16 v60, v[57:58], off
	v_add_co_u32 v19, vcc_lo, v19, 2
	v_add_co_ci_u32_e32 v20, vcc_lo, 0, v20, vcc_lo
	v_add_co_u32 v57, s0, v57, 2
	s_delay_alu instid0(VALU_DEP_1)
	v_add_co_ci_u32_e64 v58, s0, 0, v58, s0
	s_add_u32 s14, s14, 1
	s_addc_u32 s15, s15, 0
	s_and_not1_b32 s0, s20, exec_lo
	s_waitcnt vmcnt(1)
	v_lshlrev_b32_e32 v59, 16, v59
	s_waitcnt vmcnt(0)
	v_lshlrev_b32_e32 v60, 16, v60
	s_delay_alu instid0(VALU_DEP_1) | instskip(SKIP_1) | instid1(SALU_CYCLE_1)
	v_cmp_neq_f32_e32 vcc_lo, v60, v59
	s_and_b32 s20, vcc_lo, exec_lo
	s_or_b32 s20, s0, s20
.LBB1171_1181:                          ;   in Loop: Header=BB1171_1182 Depth=1
	v_dual_mov_b32 v60, s15 :: v_dual_mov_b32 v59, s14
	s_and_b32 s0, exec_lo, s20
	s_delay_alu instid0(SALU_CYCLE_1) | instskip(NEXT) | instid1(SALU_CYCLE_1)
	s_or_b32 s19, s0, s19
	s_and_not1_b32 exec_lo, exec_lo, s19
	s_cbranch_execz .LBB1171_1185
.LBB1171_1182:                          ; =>This Inner Loop Header: Depth=1
	s_or_b32 s20, s20, exec_lo
	s_cmp_eq_u64 s[12:13], s[14:15]
	s_cbranch_scc0 .LBB1171_1180
; %bb.1183:                             ;   in Loop: Header=BB1171_1182 Depth=1
	s_mov_b64 s[14:15], s[8:9]
                                        ; implicit-def: $vgpr19_vgpr20
                                        ; implicit-def: $vgpr57_vgpr58
	s_branch .LBB1171_1181
.LBB1171_1184:
	v_mov_b32_e32 v19, 0
	v_mov_b32_e32 v20, 0
	s_branch .LBB1171_1187
.LBB1171_1185:
	s_set_inst_prefetch_distance 0x2
	s_or_b32 exec_lo, exec_lo, s19
	v_cmp_gt_i64_e32 vcc_lo, s[8:9], v[59:60]
	s_mov_b32 s0, 0
	s_delay_alu instid0(SALU_CYCLE_1)
	v_mov_b32_e32 v20, s0
	v_cndmask_b32_e64 v19, 0, 1, vcc_lo
.LBB1171_1186:
	s_or_b32 exec_lo, exec_lo, s18
.LBB1171_1187:
	s_delay_alu instid0(SALU_CYCLE_1) | instskip(SKIP_2) | instid1(VALU_DEP_1)
	s_or_b32 exec_lo, exec_lo, s3
	v_add_nc_u32_e32 v57, 4, v64
	s_mov_b32 s3, exec_lo
	v_cmpx_gt_u32_e64 s6, v57
	s_cbranch_execz .LBB1171_1198
; %bb.1188:
	v_cmp_ne_u32_e32 vcc_lo, 1, v63
	s_cbranch_vccnz .LBB1171_1195
; %bb.1189:
	v_mul_lo_u32 v61, v16, s8
	v_mul_lo_u32 v62, v15, s9
	v_mad_u64_u32 v[57:58], null, v15, s8, 0
	v_mul_lo_u32 v18, v18, s8
	v_mul_lo_u32 v65, v17, s9
	v_mad_u64_u32 v[59:60], null, v17, s8, 0
	s_mov_b32 s18, exec_lo
	s_delay_alu instid0(VALU_DEP_4) | instskip(NEXT) | instid1(VALU_DEP_2)
	v_add3_u32 v58, v58, v62, v61
	v_add3_u32 v60, v60, v65, v18
	s_delay_alu instid0(VALU_DEP_2) | instskip(NEXT) | instid1(VALU_DEP_2)
	v_lshlrev_b64 v[17:18], 1, v[57:58]
	v_lshlrev_b64 v[57:58], 1, v[59:60]
	s_delay_alu instid0(VALU_DEP_2) | instskip(NEXT) | instid1(VALU_DEP_3)
	v_add_co_u32 v59, vcc_lo, s10, v17
	v_add_co_ci_u32_e32 v60, vcc_lo, s11, v18, vcc_lo
	s_delay_alu instid0(VALU_DEP_3) | instskip(NEXT) | instid1(VALU_DEP_4)
	v_add_co_u32 v57, vcc_lo, s10, v57
	v_add_co_ci_u32_e32 v58, vcc_lo, s11, v58, vcc_lo
	s_clause 0x1
	global_load_u16 v17, v[59:60], off
	global_load_u16 v18, v[57:58], off
	s_waitcnt vmcnt(1)
	v_lshlrev_b32_e32 v61, 16, v17
	s_waitcnt vmcnt(0)
	v_dual_mov_b32 v17, 1 :: v_dual_lshlrev_b32 v62, 16, v18
	v_mov_b32_e32 v18, 0
	s_delay_alu instid0(VALU_DEP_2)
	v_cmpx_eq_f32_e32 v62, v61
	s_cbranch_execz .LBB1171_1197
; %bb.1190:
	v_add_co_u32 v17, vcc_lo, v59, 2
	v_add_co_ci_u32_e32 v18, vcc_lo, 0, v60, vcc_lo
	v_add_co_u32 v57, vcc_lo, v57, 2
	v_add_co_ci_u32_e32 v58, vcc_lo, 0, v58, vcc_lo
	s_add_u32 s12, s8, -1
	s_addc_u32 s13, s9, -1
	s_mov_b64 s[14:15], 0
	s_mov_b32 s19, 0
                                        ; implicit-def: $sgpr20
	s_set_inst_prefetch_distance 0x1
	s_branch .LBB1171_1193
	.p2align	6
.LBB1171_1191:                          ;   in Loop: Header=BB1171_1193 Depth=1
	global_load_u16 v59, v[17:18], off
	global_load_u16 v60, v[57:58], off
	v_add_co_u32 v17, vcc_lo, v17, 2
	v_add_co_ci_u32_e32 v18, vcc_lo, 0, v18, vcc_lo
	v_add_co_u32 v57, s0, v57, 2
	s_delay_alu instid0(VALU_DEP_1)
	v_add_co_ci_u32_e64 v58, s0, 0, v58, s0
	s_add_u32 s14, s14, 1
	s_addc_u32 s15, s15, 0
	s_and_not1_b32 s0, s20, exec_lo
	s_waitcnt vmcnt(1)
	v_lshlrev_b32_e32 v59, 16, v59
	s_waitcnt vmcnt(0)
	v_lshlrev_b32_e32 v60, 16, v60
	s_delay_alu instid0(VALU_DEP_1) | instskip(SKIP_1) | instid1(SALU_CYCLE_1)
	v_cmp_neq_f32_e32 vcc_lo, v60, v59
	s_and_b32 s20, vcc_lo, exec_lo
	s_or_b32 s20, s0, s20
.LBB1171_1192:                          ;   in Loop: Header=BB1171_1193 Depth=1
	v_dual_mov_b32 v60, s15 :: v_dual_mov_b32 v59, s14
	s_and_b32 s0, exec_lo, s20
	s_delay_alu instid0(SALU_CYCLE_1) | instskip(NEXT) | instid1(SALU_CYCLE_1)
	s_or_b32 s19, s0, s19
	s_and_not1_b32 exec_lo, exec_lo, s19
	s_cbranch_execz .LBB1171_1196
.LBB1171_1193:                          ; =>This Inner Loop Header: Depth=1
	s_or_b32 s20, s20, exec_lo
	s_cmp_eq_u64 s[12:13], s[14:15]
	s_cbranch_scc0 .LBB1171_1191
; %bb.1194:                             ;   in Loop: Header=BB1171_1193 Depth=1
	s_mov_b64 s[14:15], s[8:9]
                                        ; implicit-def: $vgpr17_vgpr18
                                        ; implicit-def: $vgpr57_vgpr58
	s_branch .LBB1171_1192
.LBB1171_1195:
	v_mov_b32_e32 v17, 0
	v_mov_b32_e32 v18, 0
	s_branch .LBB1171_1198
.LBB1171_1196:
	s_set_inst_prefetch_distance 0x2
	s_or_b32 exec_lo, exec_lo, s19
	v_cmp_gt_i64_e32 vcc_lo, s[8:9], v[59:60]
	s_mov_b32 s0, 0
	s_delay_alu instid0(SALU_CYCLE_1)
	v_mov_b32_e32 v18, s0
	v_cndmask_b32_e64 v17, 0, 1, vcc_lo
.LBB1171_1197:
	s_or_b32 exec_lo, exec_lo, s18
.LBB1171_1198:
	s_delay_alu instid0(SALU_CYCLE_1) | instskip(SKIP_2) | instid1(VALU_DEP_1)
	s_or_b32 exec_lo, exec_lo, s3
	v_add_nc_u32_e32 v57, 3, v64
	s_mov_b32 s3, exec_lo
	v_cmpx_gt_u32_e64 s6, v57
	s_cbranch_execz .LBB1171_1209
; %bb.1199:
	v_cmp_ne_u32_e32 vcc_lo, 1, v63
	s_cbranch_vccnz .LBB1171_1206
; %bb.1200:
	v_mul_lo_u32 v61, v14, s8
	v_mul_lo_u32 v62, v13, s9
	v_mad_u64_u32 v[57:58], null, v13, s8, 0
	v_mul_lo_u32 v16, v16, s8
	v_mul_lo_u32 v65, v15, s9
	v_mad_u64_u32 v[59:60], null, v15, s8, 0
	s_mov_b32 s18, exec_lo
	s_delay_alu instid0(VALU_DEP_4) | instskip(NEXT) | instid1(VALU_DEP_2)
	v_add3_u32 v58, v58, v62, v61
	v_add3_u32 v60, v60, v65, v16
	s_delay_alu instid0(VALU_DEP_2) | instskip(NEXT) | instid1(VALU_DEP_2)
	v_lshlrev_b64 v[15:16], 1, v[57:58]
	v_lshlrev_b64 v[57:58], 1, v[59:60]
	s_delay_alu instid0(VALU_DEP_2) | instskip(NEXT) | instid1(VALU_DEP_3)
	v_add_co_u32 v59, vcc_lo, s10, v15
	v_add_co_ci_u32_e32 v60, vcc_lo, s11, v16, vcc_lo
	s_delay_alu instid0(VALU_DEP_3) | instskip(NEXT) | instid1(VALU_DEP_4)
	v_add_co_u32 v57, vcc_lo, s10, v57
	v_add_co_ci_u32_e32 v58, vcc_lo, s11, v58, vcc_lo
	s_clause 0x1
	global_load_u16 v15, v[59:60], off
	global_load_u16 v16, v[57:58], off
	s_waitcnt vmcnt(1)
	v_lshlrev_b32_e32 v61, 16, v15
	s_waitcnt vmcnt(0)
	v_dual_mov_b32 v15, 1 :: v_dual_lshlrev_b32 v62, 16, v16
	v_mov_b32_e32 v16, 0
	s_delay_alu instid0(VALU_DEP_2)
	v_cmpx_eq_f32_e32 v62, v61
	s_cbranch_execz .LBB1171_1208
; %bb.1201:
	v_add_co_u32 v15, vcc_lo, v59, 2
	v_add_co_ci_u32_e32 v16, vcc_lo, 0, v60, vcc_lo
	v_add_co_u32 v57, vcc_lo, v57, 2
	v_add_co_ci_u32_e32 v58, vcc_lo, 0, v58, vcc_lo
	s_add_u32 s12, s8, -1
	s_addc_u32 s13, s9, -1
	s_mov_b64 s[14:15], 0
	s_mov_b32 s19, 0
                                        ; implicit-def: $sgpr20
	s_set_inst_prefetch_distance 0x1
	s_branch .LBB1171_1204
	.p2align	6
.LBB1171_1202:                          ;   in Loop: Header=BB1171_1204 Depth=1
	global_load_u16 v59, v[15:16], off
	global_load_u16 v60, v[57:58], off
	v_add_co_u32 v15, vcc_lo, v15, 2
	v_add_co_ci_u32_e32 v16, vcc_lo, 0, v16, vcc_lo
	v_add_co_u32 v57, s0, v57, 2
	s_delay_alu instid0(VALU_DEP_1)
	v_add_co_ci_u32_e64 v58, s0, 0, v58, s0
	s_add_u32 s14, s14, 1
	s_addc_u32 s15, s15, 0
	s_and_not1_b32 s0, s20, exec_lo
	s_waitcnt vmcnt(1)
	v_lshlrev_b32_e32 v59, 16, v59
	s_waitcnt vmcnt(0)
	v_lshlrev_b32_e32 v60, 16, v60
	s_delay_alu instid0(VALU_DEP_1) | instskip(SKIP_1) | instid1(SALU_CYCLE_1)
	v_cmp_neq_f32_e32 vcc_lo, v60, v59
	s_and_b32 s20, vcc_lo, exec_lo
	s_or_b32 s20, s0, s20
.LBB1171_1203:                          ;   in Loop: Header=BB1171_1204 Depth=1
	v_dual_mov_b32 v60, s15 :: v_dual_mov_b32 v59, s14
	s_and_b32 s0, exec_lo, s20
	s_delay_alu instid0(SALU_CYCLE_1) | instskip(NEXT) | instid1(SALU_CYCLE_1)
	s_or_b32 s19, s0, s19
	s_and_not1_b32 exec_lo, exec_lo, s19
	s_cbranch_execz .LBB1171_1207
.LBB1171_1204:                          ; =>This Inner Loop Header: Depth=1
	s_or_b32 s20, s20, exec_lo
	s_cmp_eq_u64 s[12:13], s[14:15]
	s_cbranch_scc0 .LBB1171_1202
; %bb.1205:                             ;   in Loop: Header=BB1171_1204 Depth=1
	s_mov_b64 s[14:15], s[8:9]
                                        ; implicit-def: $vgpr15_vgpr16
                                        ; implicit-def: $vgpr57_vgpr58
	s_branch .LBB1171_1203
.LBB1171_1206:
	v_mov_b32_e32 v15, 0
	v_mov_b32_e32 v16, 0
	s_branch .LBB1171_1209
.LBB1171_1207:
	s_set_inst_prefetch_distance 0x2
	s_or_b32 exec_lo, exec_lo, s19
	v_cmp_gt_i64_e32 vcc_lo, s[8:9], v[59:60]
	s_mov_b32 s0, 0
	s_delay_alu instid0(SALU_CYCLE_1)
	v_mov_b32_e32 v16, s0
	v_cndmask_b32_e64 v15, 0, 1, vcc_lo
.LBB1171_1208:
	s_or_b32 exec_lo, exec_lo, s18
.LBB1171_1209:
	s_delay_alu instid0(SALU_CYCLE_1) | instskip(SKIP_2) | instid1(VALU_DEP_1)
	s_or_b32 exec_lo, exec_lo, s3
	v_add_nc_u32_e32 v57, 2, v64
	s_mov_b32 s3, exec_lo
	v_cmpx_gt_u32_e64 s6, v57
	s_cbranch_execz .LBB1171_1220
; %bb.1210:
	v_cmp_ne_u32_e32 vcc_lo, 1, v63
	s_cbranch_vccnz .LBB1171_1217
; %bb.1211:
	v_mul_lo_u32 v61, v4, s8
	v_mul_lo_u32 v62, v3, s9
	v_mad_u64_u32 v[57:58], null, v3, s8, 0
	v_mul_lo_u32 v14, v14, s8
	v_mul_lo_u32 v65, v13, s9
	v_mad_u64_u32 v[59:60], null, v13, s8, 0
	s_mov_b32 s18, exec_lo
	s_delay_alu instid0(VALU_DEP_4) | instskip(NEXT) | instid1(VALU_DEP_2)
	v_add3_u32 v58, v58, v62, v61
	v_add3_u32 v60, v60, v65, v14
	s_delay_alu instid0(VALU_DEP_2) | instskip(NEXT) | instid1(VALU_DEP_2)
	v_lshlrev_b64 v[13:14], 1, v[57:58]
	v_lshlrev_b64 v[57:58], 1, v[59:60]
	s_delay_alu instid0(VALU_DEP_2) | instskip(NEXT) | instid1(VALU_DEP_3)
	v_add_co_u32 v59, vcc_lo, s10, v13
	v_add_co_ci_u32_e32 v60, vcc_lo, s11, v14, vcc_lo
	s_delay_alu instid0(VALU_DEP_3) | instskip(NEXT) | instid1(VALU_DEP_4)
	v_add_co_u32 v57, vcc_lo, s10, v57
	v_add_co_ci_u32_e32 v58, vcc_lo, s11, v58, vcc_lo
	s_clause 0x1
	global_load_u16 v13, v[59:60], off
	global_load_u16 v14, v[57:58], off
	s_waitcnt vmcnt(1)
	v_lshlrev_b32_e32 v61, 16, v13
	s_waitcnt vmcnt(0)
	v_dual_mov_b32 v13, 1 :: v_dual_lshlrev_b32 v62, 16, v14
	v_mov_b32_e32 v14, 0
	s_delay_alu instid0(VALU_DEP_2)
	v_cmpx_eq_f32_e32 v62, v61
	s_cbranch_execz .LBB1171_1219
; %bb.1212:
	v_add_co_u32 v13, vcc_lo, v59, 2
	v_add_co_ci_u32_e32 v14, vcc_lo, 0, v60, vcc_lo
	v_add_co_u32 v57, vcc_lo, v57, 2
	v_add_co_ci_u32_e32 v58, vcc_lo, 0, v58, vcc_lo
	s_add_u32 s12, s8, -1
	s_addc_u32 s13, s9, -1
	s_mov_b64 s[14:15], 0
	s_mov_b32 s19, 0
                                        ; implicit-def: $sgpr20
	s_set_inst_prefetch_distance 0x1
	s_branch .LBB1171_1215
	.p2align	6
.LBB1171_1213:                          ;   in Loop: Header=BB1171_1215 Depth=1
	global_load_u16 v59, v[13:14], off
	global_load_u16 v60, v[57:58], off
	v_add_co_u32 v13, vcc_lo, v13, 2
	v_add_co_ci_u32_e32 v14, vcc_lo, 0, v14, vcc_lo
	v_add_co_u32 v57, s0, v57, 2
	s_delay_alu instid0(VALU_DEP_1)
	v_add_co_ci_u32_e64 v58, s0, 0, v58, s0
	s_add_u32 s14, s14, 1
	s_addc_u32 s15, s15, 0
	s_and_not1_b32 s0, s20, exec_lo
	s_waitcnt vmcnt(1)
	v_lshlrev_b32_e32 v59, 16, v59
	s_waitcnt vmcnt(0)
	v_lshlrev_b32_e32 v60, 16, v60
	s_delay_alu instid0(VALU_DEP_1) | instskip(SKIP_1) | instid1(SALU_CYCLE_1)
	v_cmp_neq_f32_e32 vcc_lo, v60, v59
	s_and_b32 s20, vcc_lo, exec_lo
	s_or_b32 s20, s0, s20
.LBB1171_1214:                          ;   in Loop: Header=BB1171_1215 Depth=1
	v_dual_mov_b32 v60, s15 :: v_dual_mov_b32 v59, s14
	s_and_b32 s0, exec_lo, s20
	s_delay_alu instid0(SALU_CYCLE_1) | instskip(NEXT) | instid1(SALU_CYCLE_1)
	s_or_b32 s19, s0, s19
	s_and_not1_b32 exec_lo, exec_lo, s19
	s_cbranch_execz .LBB1171_1218
.LBB1171_1215:                          ; =>This Inner Loop Header: Depth=1
	s_or_b32 s20, s20, exec_lo
	s_cmp_eq_u64 s[12:13], s[14:15]
	s_cbranch_scc0 .LBB1171_1213
; %bb.1216:                             ;   in Loop: Header=BB1171_1215 Depth=1
	s_mov_b64 s[14:15], s[8:9]
                                        ; implicit-def: $vgpr13_vgpr14
                                        ; implicit-def: $vgpr57_vgpr58
	s_branch .LBB1171_1214
.LBB1171_1217:
	v_mov_b32_e32 v13, 0
	v_mov_b32_e32 v14, 0
	s_branch .LBB1171_1220
.LBB1171_1218:
	s_set_inst_prefetch_distance 0x2
	s_or_b32 exec_lo, exec_lo, s19
	v_cmp_gt_i64_e32 vcc_lo, s[8:9], v[59:60]
	s_mov_b32 s0, 0
	s_delay_alu instid0(SALU_CYCLE_1)
	v_mov_b32_e32 v14, s0
	v_cndmask_b32_e64 v13, 0, 1, vcc_lo
.LBB1171_1219:
	s_or_b32 exec_lo, exec_lo, s18
.LBB1171_1220:
	s_delay_alu instid0(SALU_CYCLE_1) | instskip(SKIP_2) | instid1(VALU_DEP_1)
	s_or_b32 exec_lo, exec_lo, s3
	v_add_nc_u32_e32 v57, 1, v64
	s_mov_b32 s3, exec_lo
	v_cmpx_gt_u32_e64 s6, v57
	s_cbranch_execz .LBB1171_1231
; %bb.1221:
	v_cmp_ne_u32_e32 vcc_lo, 1, v63
	s_cbranch_vccnz .LBB1171_1228
; %bb.1222:
	v_mul_lo_u32 v61, v2, s8
	v_mul_lo_u32 v62, v1, s9
	v_mad_u64_u32 v[57:58], null, v1, s8, 0
	v_mul_lo_u32 v4, v4, s8
	v_mul_lo_u32 v65, v3, s9
	v_mad_u64_u32 v[59:60], null, v3, s8, 0
	s_mov_b32 s18, exec_lo
	s_delay_alu instid0(VALU_DEP_4) | instskip(NEXT) | instid1(VALU_DEP_2)
	v_add3_u32 v58, v58, v62, v61
	v_add3_u32 v60, v60, v65, v4
	s_delay_alu instid0(VALU_DEP_2) | instskip(NEXT) | instid1(VALU_DEP_2)
	v_lshlrev_b64 v[3:4], 1, v[57:58]
	v_lshlrev_b64 v[57:58], 1, v[59:60]
	s_delay_alu instid0(VALU_DEP_2) | instskip(NEXT) | instid1(VALU_DEP_3)
	v_add_co_u32 v59, vcc_lo, s10, v3
	v_add_co_ci_u32_e32 v60, vcc_lo, s11, v4, vcc_lo
	s_delay_alu instid0(VALU_DEP_3) | instskip(NEXT) | instid1(VALU_DEP_4)
	v_add_co_u32 v57, vcc_lo, s10, v57
	v_add_co_ci_u32_e32 v58, vcc_lo, s11, v58, vcc_lo
	s_clause 0x1
	global_load_u16 v3, v[59:60], off
	global_load_u16 v4, v[57:58], off
	s_waitcnt vmcnt(1)
	v_lshlrev_b32_e32 v61, 16, v3
	s_waitcnt vmcnt(0)
	v_dual_mov_b32 v3, 1 :: v_dual_lshlrev_b32 v62, 16, v4
	v_mov_b32_e32 v4, 0
	s_delay_alu instid0(VALU_DEP_2)
	v_cmpx_eq_f32_e32 v62, v61
	s_cbranch_execz .LBB1171_1230
; %bb.1223:
	v_add_co_u32 v3, vcc_lo, v59, 2
	v_add_co_ci_u32_e32 v4, vcc_lo, 0, v60, vcc_lo
	v_add_co_u32 v57, vcc_lo, v57, 2
	v_add_co_ci_u32_e32 v58, vcc_lo, 0, v58, vcc_lo
	s_add_u32 s12, s8, -1
	s_addc_u32 s13, s9, -1
	s_mov_b64 s[14:15], 0
	s_mov_b32 s19, 0
                                        ; implicit-def: $sgpr20
	s_set_inst_prefetch_distance 0x1
	s_branch .LBB1171_1226
	.p2align	6
.LBB1171_1224:                          ;   in Loop: Header=BB1171_1226 Depth=1
	global_load_u16 v59, v[3:4], off
	global_load_u16 v60, v[57:58], off
	v_add_co_u32 v3, vcc_lo, v3, 2
	v_add_co_ci_u32_e32 v4, vcc_lo, 0, v4, vcc_lo
	v_add_co_u32 v57, s0, v57, 2
	s_delay_alu instid0(VALU_DEP_1)
	v_add_co_ci_u32_e64 v58, s0, 0, v58, s0
	s_add_u32 s14, s14, 1
	s_addc_u32 s15, s15, 0
	s_and_not1_b32 s0, s20, exec_lo
	s_waitcnt vmcnt(1)
	v_lshlrev_b32_e32 v59, 16, v59
	s_waitcnt vmcnt(0)
	v_lshlrev_b32_e32 v60, 16, v60
	s_delay_alu instid0(VALU_DEP_1) | instskip(SKIP_1) | instid1(SALU_CYCLE_1)
	v_cmp_neq_f32_e32 vcc_lo, v60, v59
	s_and_b32 s20, vcc_lo, exec_lo
	s_or_b32 s20, s0, s20
.LBB1171_1225:                          ;   in Loop: Header=BB1171_1226 Depth=1
	v_dual_mov_b32 v60, s15 :: v_dual_mov_b32 v59, s14
	s_and_b32 s0, exec_lo, s20
	s_delay_alu instid0(SALU_CYCLE_1) | instskip(NEXT) | instid1(SALU_CYCLE_1)
	s_or_b32 s19, s0, s19
	s_and_not1_b32 exec_lo, exec_lo, s19
	s_cbranch_execz .LBB1171_1229
.LBB1171_1226:                          ; =>This Inner Loop Header: Depth=1
	s_or_b32 s20, s20, exec_lo
	s_cmp_eq_u64 s[12:13], s[14:15]
	s_cbranch_scc0 .LBB1171_1224
; %bb.1227:                             ;   in Loop: Header=BB1171_1226 Depth=1
	s_mov_b64 s[14:15], s[8:9]
                                        ; implicit-def: $vgpr3_vgpr4
                                        ; implicit-def: $vgpr57_vgpr58
	s_branch .LBB1171_1225
.LBB1171_1228:
	v_mov_b32_e32 v3, 0
	v_mov_b32_e32 v4, 0
	s_branch .LBB1171_1231
.LBB1171_1229:
	s_set_inst_prefetch_distance 0x2
	s_or_b32 exec_lo, exec_lo, s19
	v_cmp_gt_i64_e32 vcc_lo, s[8:9], v[59:60]
	s_mov_b32 s0, 0
	s_delay_alu instid0(SALU_CYCLE_1)
	v_mov_b32_e32 v4, s0
	v_cndmask_b32_e64 v3, 0, 1, vcc_lo
.LBB1171_1230:
	s_or_b32 exec_lo, exec_lo, s18
.LBB1171_1231:
	s_delay_alu instid0(SALU_CYCLE_1)
	s_or_b32 exec_lo, exec_lo, s3
	v_cmp_ne_u32_e32 vcc_lo, 0, v0
	v_cmp_gt_u32_e64 s0, s6, v64
	s_mov_b32 s12, 0
	s_waitcnt lgkmcnt(0)
	s_barrier
	buffer_gl0_inv
	s_and_b32 s13, vcc_lo, s0
                                        ; implicit-def: $sgpr0
	s_delay_alu instid0(SALU_CYCLE_1)
	s_and_saveexec_b32 s3, s13
	s_cbranch_execz .LBB1171_1242
; %bb.1232:
	v_cmp_ne_u32_e32 vcc_lo, 1, v63
	s_cbranch_vccnz .LBB1171_1241
; %bb.1233:
	v_add_nc_u32_e32 v57, -8, v195
	v_mul_lo_u32 v61, v2, s8
	v_mul_lo_u32 v62, v1, s9
	v_mad_u64_u32 v[59:60], null, v1, s8, 0
	ds_load_b64 v[57:58], v57
	s_mov_b32 s12, -1
	s_mov_b32 s14, exec_lo
	v_add3_u32 v60, v60, v62, v61
	s_waitcnt lgkmcnt(0)
	v_mul_lo_u32 v58, v58, s8
	v_mul_lo_u32 v63, v57, s9
	v_mad_u64_u32 v[1:2], null, v57, s8, 0
	s_delay_alu instid0(VALU_DEP_1) | instskip(SKIP_1) | instid1(VALU_DEP_2)
	v_add3_u32 v2, v2, v63, v58
	v_lshlrev_b64 v[57:58], 1, v[59:60]
	v_lshlrev_b64 v[1:2], 1, v[1:2]
	s_delay_alu instid0(VALU_DEP_2) | instskip(NEXT) | instid1(VALU_DEP_3)
	v_add_co_u32 v57, vcc_lo, s10, v57
	v_add_co_ci_u32_e32 v58, vcc_lo, s11, v58, vcc_lo
	s_delay_alu instid0(VALU_DEP_3) | instskip(NEXT) | instid1(VALU_DEP_4)
	v_add_co_u32 v1, vcc_lo, s10, v1
	v_add_co_ci_u32_e32 v2, vcc_lo, s11, v2, vcc_lo
	s_clause 0x1
	global_load_u16 v59, v[57:58], off
	global_load_u16 v60, v[1:2], off
	s_waitcnt vmcnt(1)
	v_lshlrev_b32_e32 v59, 16, v59
	s_waitcnt vmcnt(0)
	v_lshlrev_b32_e32 v60, 16, v60
	s_delay_alu instid0(VALU_DEP_1)
	v_cmpx_eq_f32_e32 v59, v60
	s_cbranch_execz .LBB1171_1240
; %bb.1234:
	v_add_co_u32 v1, vcc_lo, v1, 2
	v_add_co_ci_u32_e32 v2, vcc_lo, 0, v2, vcc_lo
	v_add_co_u32 v57, vcc_lo, v57, 2
	v_add_co_ci_u32_e32 v58, vcc_lo, 0, v58, vcc_lo
	s_add_u32 s10, s8, -1
	s_addc_u32 s11, s9, -1
	s_mov_b64 s[12:13], 0
	s_mov_b32 s15, 0
                                        ; implicit-def: $sgpr18
	s_set_inst_prefetch_distance 0x1
	s_branch .LBB1171_1237
	.p2align	6
.LBB1171_1235:                          ;   in Loop: Header=BB1171_1237 Depth=1
	global_load_u16 v59, v[1:2], off
	global_load_u16 v60, v[57:58], off
	v_add_co_u32 v1, vcc_lo, v1, 2
	v_add_co_ci_u32_e32 v2, vcc_lo, 0, v2, vcc_lo
	v_add_co_u32 v57, s0, v57, 2
	s_delay_alu instid0(VALU_DEP_1)
	v_add_co_ci_u32_e64 v58, s0, 0, v58, s0
	s_add_u32 s12, s12, 1
	s_addc_u32 s13, s13, 0
	s_and_not1_b32 s0, s18, exec_lo
	s_waitcnt vmcnt(1)
	v_lshlrev_b32_e32 v59, 16, v59
	s_waitcnt vmcnt(0)
	v_lshlrev_b32_e32 v60, 16, v60
	s_delay_alu instid0(VALU_DEP_1) | instskip(SKIP_1) | instid1(SALU_CYCLE_1)
	v_cmp_neq_f32_e32 vcc_lo, v60, v59
	s_and_b32 s18, vcc_lo, exec_lo
	s_or_b32 s18, s0, s18
.LBB1171_1236:                          ;   in Loop: Header=BB1171_1237 Depth=1
	v_dual_mov_b32 v60, s13 :: v_dual_mov_b32 v59, s12
	s_and_b32 s0, exec_lo, s18
	s_delay_alu instid0(SALU_CYCLE_1) | instskip(NEXT) | instid1(SALU_CYCLE_1)
	s_or_b32 s15, s0, s15
	s_and_not1_b32 exec_lo, exec_lo, s15
	s_cbranch_execz .LBB1171_1239
.LBB1171_1237:                          ; =>This Inner Loop Header: Depth=1
	s_or_b32 s18, s18, exec_lo
	s_cmp_eq_u64 s[10:11], s[12:13]
	s_cbranch_scc0 .LBB1171_1235
; %bb.1238:                             ;   in Loop: Header=BB1171_1237 Depth=1
	s_mov_b64 s[12:13], s[8:9]
                                        ; implicit-def: $vgpr1_vgpr2
                                        ; implicit-def: $vgpr57_vgpr58
	s_branch .LBB1171_1236
.LBB1171_1239:
	s_set_inst_prefetch_distance 0x2
	s_or_b32 exec_lo, exec_lo, s15
	v_cmp_gt_i64_e32 vcc_lo, s[8:9], v[59:60]
	s_or_not1_b32 s12, vcc_lo, exec_lo
.LBB1171_1240:
	s_or_b32 exec_lo, exec_lo, s14
.LBB1171_1241:
	s_delay_alu instid0(SALU_CYCLE_1)
	s_and_b32 s0, s12, exec_lo
	s_or_b32 s1, s1, exec_lo
.LBB1171_1242:
	s_or_b32 exec_lo, exec_lo, s3
	v_dual_mov_b32 v166, v4 :: v_dual_mov_b32 v165, v3
	v_dual_mov_b32 v164, v14 :: v_dual_mov_b32 v163, v13
	;; [unrolled: 1-line block ×55, first 2 shown]
.LBB1171_1243:
	s_and_saveexec_b32 s3, s1
	s_cbranch_execz .LBB1171_1245
; %bb.1244:
	s_mov_b32 s1, 0
	v_dual_mov_b32 v194, v114 :: v_dual_mov_b32 v63, v117
	v_dual_mov_b32 v2, s1 :: v_dual_mov_b32 v59, v115
	;; [unrolled: 1-line block ×13, first 2 shown]
	v_mov_b32_e32 v168, v164
	v_dual_mov_b32 v182, v166 :: v_dual_mov_b32 v181, v165
	v_cndmask_b32_e64 v1, 0, 1, s0
	v_dual_mov_b32 v60, v116 :: v_dual_mov_b32 v193, v113
	v_dual_mov_b32 v64, v118 :: v_dual_mov_b32 v191, v119
	;; [unrolled: 1-line block ×13, first 2 shown]
.LBB1171_1245:
	s_or_b32 exec_lo, exec_lo, s3
	v_mul_u32_u24_e32 v65, 0xe8, v0
	v_mul_i32_i24_e32 v66, 0xffffff20, v0
	s_add_u32 s8, s4, s16
	s_addc_u32 s4, s5, s17
	s_and_b32 vcc_lo, exec_lo, s26
	s_waitcnt lgkmcnt(0)
	s_barrier
	buffer_gl0_inv
	s_cbranch_vccz .LBB1171_1303
; %bb.1246:
	v_dual_mov_b32 v3, v181 :: v_dual_mov_b32 v4, v182
	s_mov_b32 s3, 0
	ds_store_2addr_b64 v65, v[169:170], v[103:104] offset0:4 offset1:5
	ds_store_2addr_b64 v65, v[171:172], v[99:100] offset0:6 offset1:7
	ds_store_2addr_b64 v65, v[1:2], v[3:4] offset1:1
	ds_store_2addr_b64 v65, v[167:168], v[107:108] offset0:2 offset1:3
	ds_store_2addr_b64 v65, v[173:174], v[95:96] offset0:8 offset1:9
	ds_store_2addr_b64 v65, v[175:176], v[91:92] offset0:10 offset1:11
	ds_store_2addr_b64 v65, v[177:178], v[87:88] offset0:12 offset1:13
	ds_store_2addr_b64 v65, v[179:180], v[83:84] offset0:14 offset1:15
	ds_store_2addr_b64 v65, v[183:184], v[79:80] offset0:16 offset1:17
	ds_store_2addr_b64 v65, v[185:186], v[75:76] offset0:18 offset1:19
	ds_store_2addr_b64 v65, v[187:188], v[71:72] offset0:20 offset1:21
	ds_store_2addr_b64 v65, v[189:190], v[67:68] offset0:22 offset1:23
	ds_store_2addr_b64 v65, v[191:192], v[63:64] offset0:24 offset1:25
	ds_store_2addr_b64 v65, v[193:194], v[59:60] offset0:26 offset1:27
	v_mad_u32_u24 v3, 0xe8, v0, v66
	ds_store_b64 v65, v[111:112] offset:224
	s_waitcnt lgkmcnt(0)
	s_barrier
	buffer_gl0_inv
	ds_load_2addr_stride64_b64 v[55:58], v3 offset0:2 offset1:4
	ds_load_2addr_stride64_b64 v[51:54], v3 offset0:6 offset1:8
	;; [unrolled: 1-line block ×14, first 2 shown]
	s_lshl_b64 s[0:1], s[2:3], 3
	s_add_i32 s7, s7, s6
	s_add_u32 s0, s8, s0
	s_addc_u32 s1, s4, s1
	v_add_co_u32 v61, s0, s0, v195
	s_delay_alu instid0(VALU_DEP_1)
	v_add_co_ci_u32_e64 v62, null, s1, 0, s0
	s_mov_b32 s0, exec_lo
	v_cmpx_gt_u32_e64 s7, v0
	s_cbranch_execz .LBB1171_1248
; %bb.1247:
	v_add_nc_u32_e32 v69, v65, v66
	ds_load_b64 v[69:70], v69
	s_waitcnt lgkmcnt(0)
	global_store_b64 v[61:62], v[69:70], off
.LBB1171_1248:
	s_or_b32 exec_lo, exec_lo, s0
	v_or_b32_e32 v69, 0x80, v0
	s_mov_b32 s0, exec_lo
	s_delay_alu instid0(VALU_DEP_1)
	v_cmpx_gt_u32_e64 s7, v69
	s_cbranch_execz .LBB1171_1250
; %bb.1249:
	s_waitcnt lgkmcnt(13)
	global_store_b64 v[61:62], v[55:56], off offset:1024
.LBB1171_1250:
	s_or_b32 exec_lo, exec_lo, s0
	s_waitcnt lgkmcnt(13)
	v_or_b32_e32 v55, 0x100, v0
	s_mov_b32 s0, exec_lo
	s_delay_alu instid0(VALU_DEP_1)
	v_cmpx_gt_u32_e64 s7, v55
	s_cbranch_execz .LBB1171_1252
; %bb.1251:
	global_store_b64 v[61:62], v[57:58], off offset:2048
.LBB1171_1252:
	s_or_b32 exec_lo, exec_lo, s0
	v_or_b32_e32 v55, 0x180, v0
	s_mov_b32 s0, exec_lo
	s_delay_alu instid0(VALU_DEP_1)
	v_cmpx_gt_u32_e64 s7, v55
	s_cbranch_execz .LBB1171_1254
; %bb.1253:
	s_waitcnt lgkmcnt(12)
	global_store_b64 v[61:62], v[51:52], off offset:3072
.LBB1171_1254:
	s_or_b32 exec_lo, exec_lo, s0
	s_waitcnt lgkmcnt(12)
	v_or_b32_e32 v51, 0x200, v0
	s_mov_b32 s0, exec_lo
	s_delay_alu instid0(VALU_DEP_1)
	v_cmpx_gt_u32_e64 s7, v51
	s_cbranch_execz .LBB1171_1256
; %bb.1255:
	v_add_co_u32 v51, vcc_lo, 0x1000, v61
	v_add_co_ci_u32_e32 v52, vcc_lo, 0, v62, vcc_lo
	global_store_b64 v[51:52], v[53:54], off
.LBB1171_1256:
	s_or_b32 exec_lo, exec_lo, s0
	v_or_b32_e32 v51, 0x280, v0
	s_mov_b32 s0, exec_lo
	s_delay_alu instid0(VALU_DEP_1)
	v_cmpx_gt_u32_e64 s7, v51
	s_cbranch_execz .LBB1171_1258
; %bb.1257:
	v_add_co_u32 v51, vcc_lo, 0x1000, v61
	v_add_co_ci_u32_e32 v52, vcc_lo, 0, v62, vcc_lo
	s_waitcnt lgkmcnt(11)
	global_store_b64 v[51:52], v[47:48], off offset:1024
.LBB1171_1258:
	s_or_b32 exec_lo, exec_lo, s0
	s_waitcnt lgkmcnt(11)
	v_or_b32_e32 v47, 0x300, v0
	s_mov_b32 s0, exec_lo
	s_delay_alu instid0(VALU_DEP_1)
	v_cmpx_gt_u32_e64 s7, v47
	s_cbranch_execz .LBB1171_1260
; %bb.1259:
	v_add_co_u32 v47, vcc_lo, 0x1000, v61
	v_add_co_ci_u32_e32 v48, vcc_lo, 0, v62, vcc_lo
	global_store_b64 v[47:48], v[49:50], off offset:2048
.LBB1171_1260:
	s_or_b32 exec_lo, exec_lo, s0
	v_or_b32_e32 v47, 0x380, v0
	s_mov_b32 s0, exec_lo
	s_delay_alu instid0(VALU_DEP_1)
	v_cmpx_gt_u32_e64 s7, v47
	s_cbranch_execz .LBB1171_1262
; %bb.1261:
	v_add_co_u32 v47, vcc_lo, 0x1000, v61
	v_add_co_ci_u32_e32 v48, vcc_lo, 0, v62, vcc_lo
	s_waitcnt lgkmcnt(10)
	global_store_b64 v[47:48], v[43:44], off offset:3072
.LBB1171_1262:
	s_or_b32 exec_lo, exec_lo, s0
	s_waitcnt lgkmcnt(10)
	v_or_b32_e32 v43, 0x400, v0
	s_mov_b32 s0, exec_lo
	s_delay_alu instid0(VALU_DEP_1)
	v_cmpx_gt_u32_e64 s7, v43
	s_cbranch_execz .LBB1171_1264
; %bb.1263:
	v_add_co_u32 v43, vcc_lo, 0x2000, v61
	v_add_co_ci_u32_e32 v44, vcc_lo, 0, v62, vcc_lo
	global_store_b64 v[43:44], v[45:46], off
.LBB1171_1264:
	s_or_b32 exec_lo, exec_lo, s0
	v_or_b32_e32 v43, 0x480, v0
	s_mov_b32 s0, exec_lo
	s_delay_alu instid0(VALU_DEP_1)
	v_cmpx_gt_u32_e64 s7, v43
	s_cbranch_execz .LBB1171_1266
; %bb.1265:
	v_add_co_u32 v43, vcc_lo, 0x2000, v61
	v_add_co_ci_u32_e32 v44, vcc_lo, 0, v62, vcc_lo
	s_waitcnt lgkmcnt(9)
	global_store_b64 v[43:44], v[39:40], off offset:1024
.LBB1171_1266:
	s_or_b32 exec_lo, exec_lo, s0
	s_waitcnt lgkmcnt(9)
	v_or_b32_e32 v39, 0x500, v0
	s_mov_b32 s0, exec_lo
	s_delay_alu instid0(VALU_DEP_1)
	v_cmpx_gt_u32_e64 s7, v39
	s_cbranch_execz .LBB1171_1268
; %bb.1267:
	v_add_co_u32 v39, vcc_lo, 0x2000, v61
	v_add_co_ci_u32_e32 v40, vcc_lo, 0, v62, vcc_lo
	global_store_b64 v[39:40], v[41:42], off offset:2048
.LBB1171_1268:
	s_or_b32 exec_lo, exec_lo, s0
	v_or_b32_e32 v39, 0x580, v0
	s_mov_b32 s0, exec_lo
	s_delay_alu instid0(VALU_DEP_1)
	v_cmpx_gt_u32_e64 s7, v39
	s_cbranch_execz .LBB1171_1270
; %bb.1269:
	v_add_co_u32 v39, vcc_lo, 0x2000, v61
	v_add_co_ci_u32_e32 v40, vcc_lo, 0, v62, vcc_lo
	s_waitcnt lgkmcnt(8)
	global_store_b64 v[39:40], v[35:36], off offset:3072
.LBB1171_1270:
	;; [unrolled: 48-line block ×6, first 2 shown]
	s_or_b32 exec_lo, exec_lo, s0
	s_waitcnt lgkmcnt(0)
	v_or_b32_e32 v3, 0xe00, v0
	s_delay_alu instid0(VALU_DEP_1)
	v_cmp_gt_u32_e64 s5, s7, v3
	s_branch .LBB1171_1305
.LBB1171_1303:
	s_mov_b32 s5, 0
                                        ; implicit-def: $vgpr5_vgpr6
                                        ; implicit-def: $vgpr61_vgpr62
	s_cbranch_execz .LBB1171_1305
; %bb.1304:
	v_mad_u32_u24 v4, 0xe8, v0, v66
	ds_store_2addr_b64 v65, v[1:2], v[181:182] offset1:1
	ds_store_2addr_b64 v65, v[167:168], v[107:108] offset0:2 offset1:3
	ds_store_2addr_b64 v65, v[169:170], v[103:104] offset0:4 offset1:5
	;; [unrolled: 1-line block ×13, first 2 shown]
	ds_store_b64 v65, v[111:112] offset:224
	s_waitcnt lgkmcnt(0)
	s_waitcnt_vscnt null, 0x0
	s_barrier
	buffer_gl0_inv
	ds_load_2addr_stride64_b64 v[0:3], v4 offset1:2
	s_mov_b32 s3, 0
	ds_load_2addr_stride64_b64 v[7:10], v4 offset0:4 offset1:6
	ds_load_2addr_stride64_b64 v[11:14], v4 offset0:8 offset1:10
	;; [unrolled: 1-line block ×13, first 2 shown]
	ds_load_b64 v[5:6], v4 offset:28672
	s_lshl_b64 s[0:1], s[2:3], 3
	s_delay_alu instid0(SALU_CYCLE_1) | instskip(SKIP_2) | instid1(VALU_DEP_1)
	s_add_u32 s0, s8, s0
	s_addc_u32 s1, s4, s1
	v_add_co_u32 v61, s2, s0, v195
	v_add_co_ci_u32_e64 v62, null, s1, 0, s2
	s_or_b32 s5, s5, exec_lo
	s_waitcnt lgkmcnt(14)
	s_clause 0x1
	global_store_b64 v195, v[0:1], s[0:1]
	global_store_b64 v195, v[2:3], s[0:1] offset:1024
	s_waitcnt lgkmcnt(13)
	s_clause 0x1
	global_store_b64 v195, v[7:8], s[0:1] offset:2048
	global_store_b64 v195, v[9:10], s[0:1] offset:3072
	v_add_co_u32 v0, vcc_lo, 0x1000, v61
	v_add_co_ci_u32_e32 v1, vcc_lo, 0, v62, vcc_lo
	v_add_co_u32 v2, vcc_lo, v61, 0x2000
	v_add_co_ci_u32_e32 v3, vcc_lo, 0, v62, vcc_lo
	;; [unrolled: 2-line block ×3, first 2 shown]
	s_waitcnt lgkmcnt(10)
	s_clause 0x4
	global_store_b64 v[2:3], v[19:20], off
	global_store_b64 v[0:1], v[13:14], off offset:1024
	global_store_b64 v[0:1], v[15:16], off offset:2048
	;; [unrolled: 1-line block ×4, first 2 shown]
	v_add_co_u32 v0, vcc_lo, 0x3000, v61
	v_add_co_ci_u32_e32 v1, vcc_lo, 0, v62, vcc_lo
	v_add_co_u32 v9, vcc_lo, v61, 0x4000
	v_add_co_ci_u32_e32 v10, vcc_lo, 0, v62, vcc_lo
	;; [unrolled: 2-line block ×3, first 2 shown]
	s_waitcnt lgkmcnt(9)
	s_clause 0x1
	global_store_b64 v[7:8], v[23:24], off offset:2048
	global_store_b64 v[7:8], v[25:26], off offset:3072
	s_waitcnt lgkmcnt(8)
	global_store_b64 v[0:1], v[29:30], off offset:1024
	s_waitcnt lgkmcnt(7)
	s_clause 0x1
	global_store_b64 v[0:1], v[31:32], off offset:2048
	global_store_b64 v[0:1], v[33:34], off offset:3072
	s_waitcnt lgkmcnt(6)
	global_store_b64 v[13:14], v[37:38], off offset:1024
	s_waitcnt lgkmcnt(5)
	s_clause 0x1
	global_store_b64 v[13:14], v[39:40], off offset:2048
	global_store_b64 v[13:14], v[41:42], off offset:3072
	v_add_co_u32 v0, vcc_lo, 0x5000, v61
	v_add_co_ci_u32_e32 v1, vcc_lo, 0, v62, vcc_lo
	v_add_co_u32 v7, vcc_lo, v61, 0x6000
	v_add_co_ci_u32_e32 v8, vcc_lo, 0, v62, vcc_lo
	;; [unrolled: 2-line block ×3, first 2 shown]
	s_clause 0x1
	global_store_b64 v[9:10], v[27:28], off offset:-4096
	global_store_b64 v[9:10], v[35:36], off
	s_waitcnt lgkmcnt(4)
	global_store_b64 v[7:8], v[43:44], off offset:-4096
	s_waitcnt lgkmcnt(2)
	s_clause 0x4
	global_store_b64 v[7:8], v[51:52], off
	global_store_b64 v[0:1], v[45:46], off offset:1024
	global_store_b64 v[0:1], v[47:48], off offset:2048
	;; [unrolled: 1-line block ×4, first 2 shown]
	s_waitcnt lgkmcnt(1)
	s_clause 0x2
	global_store_b64 v[13:14], v[55:56], off offset:2048
	global_store_b64 v[2:3], v[11:12], off offset:-4096
	global_store_b64 v[13:14], v[57:58], off offset:3072
.LBB1171_1305:
	s_delay_alu instid0(VALU_DEP_1)
	s_and_saveexec_b32 s0, s5
	s_cbranch_execnz .LBB1171_1307
; %bb.1306:
	s_nop 0
	s_sendmsg sendmsg(MSG_DEALLOC_VGPRS)
	s_endpgm
.LBB1171_1307:
	v_add_co_u32 v0, vcc_lo, 0x7000, v61
	v_add_co_ci_u32_e32 v1, vcc_lo, 0, v62, vcc_lo
	s_waitcnt lgkmcnt(0)
	global_store_b64 v[0:1], v[5:6], off
	s_nop 0
	s_sendmsg sendmsg(MSG_DEALLOC_VGPRS)
	s_endpgm
	.section	.rodata,"a",@progbits
	.p2align	6, 0x0
	.amdhsa_kernel _ZN7rocprim17ROCPRIM_400000_NS6detail17trampoline_kernelINS0_14default_configENS1_35adjacent_difference_config_selectorILb1ElEEZNS1_24adjacent_difference_implIS3_Lb1ELb0EPlS7_ZN2at6native12_GLOBAL__N_124unique_dim_cuda_templateIN3c108BFloat16EEESt5tupleIJNS8_6TensorESF_SF_EERKSF_lbbbEUlllE1_EE10hipError_tPvRmT2_T3_mT4_P12ihipStream_tbEUlT_E_NS1_11comp_targetILNS1_3genE9ELNS1_11target_archE1100ELNS1_3gpuE3ELNS1_3repE0EEENS1_30default_config_static_selectorELNS0_4arch9wavefront6targetE0EEEvT1_
		.amdhsa_group_segment_fixed_size 29696
		.amdhsa_private_segment_fixed_size 0
		.amdhsa_kernarg_size 64
		.amdhsa_user_sgpr_count 15
		.amdhsa_user_sgpr_dispatch_ptr 0
		.amdhsa_user_sgpr_queue_ptr 0
		.amdhsa_user_sgpr_kernarg_segment_ptr 1
		.amdhsa_user_sgpr_dispatch_id 0
		.amdhsa_user_sgpr_private_segment_size 0
		.amdhsa_wavefront_size32 1
		.amdhsa_uses_dynamic_stack 0
		.amdhsa_enable_private_segment 0
		.amdhsa_system_sgpr_workgroup_id_x 1
		.amdhsa_system_sgpr_workgroup_id_y 0
		.amdhsa_system_sgpr_workgroup_id_z 0
		.amdhsa_system_sgpr_workgroup_info 0
		.amdhsa_system_vgpr_workitem_id 0
		.amdhsa_next_free_vgpr 196
		.amdhsa_next_free_sgpr 30
		.amdhsa_reserve_vcc 1
		.amdhsa_float_round_mode_32 0
		.amdhsa_float_round_mode_16_64 0
		.amdhsa_float_denorm_mode_32 3
		.amdhsa_float_denorm_mode_16_64 3
		.amdhsa_dx10_clamp 1
		.amdhsa_ieee_mode 1
		.amdhsa_fp16_overflow 0
		.amdhsa_workgroup_processor_mode 1
		.amdhsa_memory_ordered 1
		.amdhsa_forward_progress 0
		.amdhsa_shared_vgpr_count 0
		.amdhsa_exception_fp_ieee_invalid_op 0
		.amdhsa_exception_fp_denorm_src 0
		.amdhsa_exception_fp_ieee_div_zero 0
		.amdhsa_exception_fp_ieee_overflow 0
		.amdhsa_exception_fp_ieee_underflow 0
		.amdhsa_exception_fp_ieee_inexact 0
		.amdhsa_exception_int_div_zero 0
	.end_amdhsa_kernel
	.section	.text._ZN7rocprim17ROCPRIM_400000_NS6detail17trampoline_kernelINS0_14default_configENS1_35adjacent_difference_config_selectorILb1ElEEZNS1_24adjacent_difference_implIS3_Lb1ELb0EPlS7_ZN2at6native12_GLOBAL__N_124unique_dim_cuda_templateIN3c108BFloat16EEESt5tupleIJNS8_6TensorESF_SF_EERKSF_lbbbEUlllE1_EE10hipError_tPvRmT2_T3_mT4_P12ihipStream_tbEUlT_E_NS1_11comp_targetILNS1_3genE9ELNS1_11target_archE1100ELNS1_3gpuE3ELNS1_3repE0EEENS1_30default_config_static_selectorELNS0_4arch9wavefront6targetE0EEEvT1_,"axG",@progbits,_ZN7rocprim17ROCPRIM_400000_NS6detail17trampoline_kernelINS0_14default_configENS1_35adjacent_difference_config_selectorILb1ElEEZNS1_24adjacent_difference_implIS3_Lb1ELb0EPlS7_ZN2at6native12_GLOBAL__N_124unique_dim_cuda_templateIN3c108BFloat16EEESt5tupleIJNS8_6TensorESF_SF_EERKSF_lbbbEUlllE1_EE10hipError_tPvRmT2_T3_mT4_P12ihipStream_tbEUlT_E_NS1_11comp_targetILNS1_3genE9ELNS1_11target_archE1100ELNS1_3gpuE3ELNS1_3repE0EEENS1_30default_config_static_selectorELNS0_4arch9wavefront6targetE0EEEvT1_,comdat
.Lfunc_end1171:
	.size	_ZN7rocprim17ROCPRIM_400000_NS6detail17trampoline_kernelINS0_14default_configENS1_35adjacent_difference_config_selectorILb1ElEEZNS1_24adjacent_difference_implIS3_Lb1ELb0EPlS7_ZN2at6native12_GLOBAL__N_124unique_dim_cuda_templateIN3c108BFloat16EEESt5tupleIJNS8_6TensorESF_SF_EERKSF_lbbbEUlllE1_EE10hipError_tPvRmT2_T3_mT4_P12ihipStream_tbEUlT_E_NS1_11comp_targetILNS1_3genE9ELNS1_11target_archE1100ELNS1_3gpuE3ELNS1_3repE0EEENS1_30default_config_static_selectorELNS0_4arch9wavefront6targetE0EEEvT1_, .Lfunc_end1171-_ZN7rocprim17ROCPRIM_400000_NS6detail17trampoline_kernelINS0_14default_configENS1_35adjacent_difference_config_selectorILb1ElEEZNS1_24adjacent_difference_implIS3_Lb1ELb0EPlS7_ZN2at6native12_GLOBAL__N_124unique_dim_cuda_templateIN3c108BFloat16EEESt5tupleIJNS8_6TensorESF_SF_EERKSF_lbbbEUlllE1_EE10hipError_tPvRmT2_T3_mT4_P12ihipStream_tbEUlT_E_NS1_11comp_targetILNS1_3genE9ELNS1_11target_archE1100ELNS1_3gpuE3ELNS1_3repE0EEENS1_30default_config_static_selectorELNS0_4arch9wavefront6targetE0EEEvT1_
                                        ; -- End function
	.section	.AMDGPU.csdata,"",@progbits
; Kernel info:
; codeLenInByte = 55280
; NumSgprs: 32
; NumVgprs: 196
; ScratchSize: 0
; MemoryBound: 0
; FloatMode: 240
; IeeeMode: 1
; LDSByteSize: 29696 bytes/workgroup (compile time only)
; SGPRBlocks: 3
; VGPRBlocks: 24
; NumSGPRsForWavesPerEU: 32
; NumVGPRsForWavesPerEU: 196
; Occupancy: 4
; WaveLimiterHint : 1
; COMPUTE_PGM_RSRC2:SCRATCH_EN: 0
; COMPUTE_PGM_RSRC2:USER_SGPR: 15
; COMPUTE_PGM_RSRC2:TRAP_HANDLER: 0
; COMPUTE_PGM_RSRC2:TGID_X_EN: 1
; COMPUTE_PGM_RSRC2:TGID_Y_EN: 0
; COMPUTE_PGM_RSRC2:TGID_Z_EN: 0
; COMPUTE_PGM_RSRC2:TIDIG_COMP_CNT: 0
	.section	.text._ZN7rocprim17ROCPRIM_400000_NS6detail17trampoline_kernelINS0_14default_configENS1_35adjacent_difference_config_selectorILb1ElEEZNS1_24adjacent_difference_implIS3_Lb1ELb0EPlS7_ZN2at6native12_GLOBAL__N_124unique_dim_cuda_templateIN3c108BFloat16EEESt5tupleIJNS8_6TensorESF_SF_EERKSF_lbbbEUlllE1_EE10hipError_tPvRmT2_T3_mT4_P12ihipStream_tbEUlT_E_NS1_11comp_targetILNS1_3genE8ELNS1_11target_archE1030ELNS1_3gpuE2ELNS1_3repE0EEENS1_30default_config_static_selectorELNS0_4arch9wavefront6targetE0EEEvT1_,"axG",@progbits,_ZN7rocprim17ROCPRIM_400000_NS6detail17trampoline_kernelINS0_14default_configENS1_35adjacent_difference_config_selectorILb1ElEEZNS1_24adjacent_difference_implIS3_Lb1ELb0EPlS7_ZN2at6native12_GLOBAL__N_124unique_dim_cuda_templateIN3c108BFloat16EEESt5tupleIJNS8_6TensorESF_SF_EERKSF_lbbbEUlllE1_EE10hipError_tPvRmT2_T3_mT4_P12ihipStream_tbEUlT_E_NS1_11comp_targetILNS1_3genE8ELNS1_11target_archE1030ELNS1_3gpuE2ELNS1_3repE0EEENS1_30default_config_static_selectorELNS0_4arch9wavefront6targetE0EEEvT1_,comdat
	.globl	_ZN7rocprim17ROCPRIM_400000_NS6detail17trampoline_kernelINS0_14default_configENS1_35adjacent_difference_config_selectorILb1ElEEZNS1_24adjacent_difference_implIS3_Lb1ELb0EPlS7_ZN2at6native12_GLOBAL__N_124unique_dim_cuda_templateIN3c108BFloat16EEESt5tupleIJNS8_6TensorESF_SF_EERKSF_lbbbEUlllE1_EE10hipError_tPvRmT2_T3_mT4_P12ihipStream_tbEUlT_E_NS1_11comp_targetILNS1_3genE8ELNS1_11target_archE1030ELNS1_3gpuE2ELNS1_3repE0EEENS1_30default_config_static_selectorELNS0_4arch9wavefront6targetE0EEEvT1_ ; -- Begin function _ZN7rocprim17ROCPRIM_400000_NS6detail17trampoline_kernelINS0_14default_configENS1_35adjacent_difference_config_selectorILb1ElEEZNS1_24adjacent_difference_implIS3_Lb1ELb0EPlS7_ZN2at6native12_GLOBAL__N_124unique_dim_cuda_templateIN3c108BFloat16EEESt5tupleIJNS8_6TensorESF_SF_EERKSF_lbbbEUlllE1_EE10hipError_tPvRmT2_T3_mT4_P12ihipStream_tbEUlT_E_NS1_11comp_targetILNS1_3genE8ELNS1_11target_archE1030ELNS1_3gpuE2ELNS1_3repE0EEENS1_30default_config_static_selectorELNS0_4arch9wavefront6targetE0EEEvT1_
	.p2align	8
	.type	_ZN7rocprim17ROCPRIM_400000_NS6detail17trampoline_kernelINS0_14default_configENS1_35adjacent_difference_config_selectorILb1ElEEZNS1_24adjacent_difference_implIS3_Lb1ELb0EPlS7_ZN2at6native12_GLOBAL__N_124unique_dim_cuda_templateIN3c108BFloat16EEESt5tupleIJNS8_6TensorESF_SF_EERKSF_lbbbEUlllE1_EE10hipError_tPvRmT2_T3_mT4_P12ihipStream_tbEUlT_E_NS1_11comp_targetILNS1_3genE8ELNS1_11target_archE1030ELNS1_3gpuE2ELNS1_3repE0EEENS1_30default_config_static_selectorELNS0_4arch9wavefront6targetE0EEEvT1_,@function
_ZN7rocprim17ROCPRIM_400000_NS6detail17trampoline_kernelINS0_14default_configENS1_35adjacent_difference_config_selectorILb1ElEEZNS1_24adjacent_difference_implIS3_Lb1ELb0EPlS7_ZN2at6native12_GLOBAL__N_124unique_dim_cuda_templateIN3c108BFloat16EEESt5tupleIJNS8_6TensorESF_SF_EERKSF_lbbbEUlllE1_EE10hipError_tPvRmT2_T3_mT4_P12ihipStream_tbEUlT_E_NS1_11comp_targetILNS1_3genE8ELNS1_11target_archE1030ELNS1_3gpuE2ELNS1_3repE0EEENS1_30default_config_static_selectorELNS0_4arch9wavefront6targetE0EEEvT1_: ; @_ZN7rocprim17ROCPRIM_400000_NS6detail17trampoline_kernelINS0_14default_configENS1_35adjacent_difference_config_selectorILb1ElEEZNS1_24adjacent_difference_implIS3_Lb1ELb0EPlS7_ZN2at6native12_GLOBAL__N_124unique_dim_cuda_templateIN3c108BFloat16EEESt5tupleIJNS8_6TensorESF_SF_EERKSF_lbbbEUlllE1_EE10hipError_tPvRmT2_T3_mT4_P12ihipStream_tbEUlT_E_NS1_11comp_targetILNS1_3genE8ELNS1_11target_archE1030ELNS1_3gpuE2ELNS1_3repE0EEENS1_30default_config_static_selectorELNS0_4arch9wavefront6targetE0EEEvT1_
; %bb.0:
	.section	.rodata,"a",@progbits
	.p2align	6, 0x0
	.amdhsa_kernel _ZN7rocprim17ROCPRIM_400000_NS6detail17trampoline_kernelINS0_14default_configENS1_35adjacent_difference_config_selectorILb1ElEEZNS1_24adjacent_difference_implIS3_Lb1ELb0EPlS7_ZN2at6native12_GLOBAL__N_124unique_dim_cuda_templateIN3c108BFloat16EEESt5tupleIJNS8_6TensorESF_SF_EERKSF_lbbbEUlllE1_EE10hipError_tPvRmT2_T3_mT4_P12ihipStream_tbEUlT_E_NS1_11comp_targetILNS1_3genE8ELNS1_11target_archE1030ELNS1_3gpuE2ELNS1_3repE0EEENS1_30default_config_static_selectorELNS0_4arch9wavefront6targetE0EEEvT1_
		.amdhsa_group_segment_fixed_size 0
		.amdhsa_private_segment_fixed_size 0
		.amdhsa_kernarg_size 64
		.amdhsa_user_sgpr_count 15
		.amdhsa_user_sgpr_dispatch_ptr 0
		.amdhsa_user_sgpr_queue_ptr 0
		.amdhsa_user_sgpr_kernarg_segment_ptr 1
		.amdhsa_user_sgpr_dispatch_id 0
		.amdhsa_user_sgpr_private_segment_size 0
		.amdhsa_wavefront_size32 1
		.amdhsa_uses_dynamic_stack 0
		.amdhsa_enable_private_segment 0
		.amdhsa_system_sgpr_workgroup_id_x 1
		.amdhsa_system_sgpr_workgroup_id_y 0
		.amdhsa_system_sgpr_workgroup_id_z 0
		.amdhsa_system_sgpr_workgroup_info 0
		.amdhsa_system_vgpr_workitem_id 0
		.amdhsa_next_free_vgpr 1
		.amdhsa_next_free_sgpr 1
		.amdhsa_reserve_vcc 0
		.amdhsa_float_round_mode_32 0
		.amdhsa_float_round_mode_16_64 0
		.amdhsa_float_denorm_mode_32 3
		.amdhsa_float_denorm_mode_16_64 3
		.amdhsa_dx10_clamp 1
		.amdhsa_ieee_mode 1
		.amdhsa_fp16_overflow 0
		.amdhsa_workgroup_processor_mode 1
		.amdhsa_memory_ordered 1
		.amdhsa_forward_progress 0
		.amdhsa_shared_vgpr_count 0
		.amdhsa_exception_fp_ieee_invalid_op 0
		.amdhsa_exception_fp_denorm_src 0
		.amdhsa_exception_fp_ieee_div_zero 0
		.amdhsa_exception_fp_ieee_overflow 0
		.amdhsa_exception_fp_ieee_underflow 0
		.amdhsa_exception_fp_ieee_inexact 0
		.amdhsa_exception_int_div_zero 0
	.end_amdhsa_kernel
	.section	.text._ZN7rocprim17ROCPRIM_400000_NS6detail17trampoline_kernelINS0_14default_configENS1_35adjacent_difference_config_selectorILb1ElEEZNS1_24adjacent_difference_implIS3_Lb1ELb0EPlS7_ZN2at6native12_GLOBAL__N_124unique_dim_cuda_templateIN3c108BFloat16EEESt5tupleIJNS8_6TensorESF_SF_EERKSF_lbbbEUlllE1_EE10hipError_tPvRmT2_T3_mT4_P12ihipStream_tbEUlT_E_NS1_11comp_targetILNS1_3genE8ELNS1_11target_archE1030ELNS1_3gpuE2ELNS1_3repE0EEENS1_30default_config_static_selectorELNS0_4arch9wavefront6targetE0EEEvT1_,"axG",@progbits,_ZN7rocprim17ROCPRIM_400000_NS6detail17trampoline_kernelINS0_14default_configENS1_35adjacent_difference_config_selectorILb1ElEEZNS1_24adjacent_difference_implIS3_Lb1ELb0EPlS7_ZN2at6native12_GLOBAL__N_124unique_dim_cuda_templateIN3c108BFloat16EEESt5tupleIJNS8_6TensorESF_SF_EERKSF_lbbbEUlllE1_EE10hipError_tPvRmT2_T3_mT4_P12ihipStream_tbEUlT_E_NS1_11comp_targetILNS1_3genE8ELNS1_11target_archE1030ELNS1_3gpuE2ELNS1_3repE0EEENS1_30default_config_static_selectorELNS0_4arch9wavefront6targetE0EEEvT1_,comdat
.Lfunc_end1172:
	.size	_ZN7rocprim17ROCPRIM_400000_NS6detail17trampoline_kernelINS0_14default_configENS1_35adjacent_difference_config_selectorILb1ElEEZNS1_24adjacent_difference_implIS3_Lb1ELb0EPlS7_ZN2at6native12_GLOBAL__N_124unique_dim_cuda_templateIN3c108BFloat16EEESt5tupleIJNS8_6TensorESF_SF_EERKSF_lbbbEUlllE1_EE10hipError_tPvRmT2_T3_mT4_P12ihipStream_tbEUlT_E_NS1_11comp_targetILNS1_3genE8ELNS1_11target_archE1030ELNS1_3gpuE2ELNS1_3repE0EEENS1_30default_config_static_selectorELNS0_4arch9wavefront6targetE0EEEvT1_, .Lfunc_end1172-_ZN7rocprim17ROCPRIM_400000_NS6detail17trampoline_kernelINS0_14default_configENS1_35adjacent_difference_config_selectorILb1ElEEZNS1_24adjacent_difference_implIS3_Lb1ELb0EPlS7_ZN2at6native12_GLOBAL__N_124unique_dim_cuda_templateIN3c108BFloat16EEESt5tupleIJNS8_6TensorESF_SF_EERKSF_lbbbEUlllE1_EE10hipError_tPvRmT2_T3_mT4_P12ihipStream_tbEUlT_E_NS1_11comp_targetILNS1_3genE8ELNS1_11target_archE1030ELNS1_3gpuE2ELNS1_3repE0EEENS1_30default_config_static_selectorELNS0_4arch9wavefront6targetE0EEEvT1_
                                        ; -- End function
	.section	.AMDGPU.csdata,"",@progbits
; Kernel info:
; codeLenInByte = 0
; NumSgprs: 0
; NumVgprs: 0
; ScratchSize: 0
; MemoryBound: 0
; FloatMode: 240
; IeeeMode: 1
; LDSByteSize: 0 bytes/workgroup (compile time only)
; SGPRBlocks: 0
; VGPRBlocks: 0
; NumSGPRsForWavesPerEU: 1
; NumVGPRsForWavesPerEU: 1
; Occupancy: 16
; WaveLimiterHint : 0
; COMPUTE_PGM_RSRC2:SCRATCH_EN: 0
; COMPUTE_PGM_RSRC2:USER_SGPR: 15
; COMPUTE_PGM_RSRC2:TRAP_HANDLER: 0
; COMPUTE_PGM_RSRC2:TGID_X_EN: 1
; COMPUTE_PGM_RSRC2:TGID_Y_EN: 0
; COMPUTE_PGM_RSRC2:TGID_Z_EN: 0
; COMPUTE_PGM_RSRC2:TIDIG_COMP_CNT: 0
	.section	.text._ZN7rocprim17ROCPRIM_400000_NS6detail17trampoline_kernelINS0_14default_configENS1_25partition_config_selectorILNS1_17partition_subalgoE8ElNS0_10empty_typeEbEEZZNS1_14partition_implILS5_8ELb0ES3_jPlPS6_PKS6_NS0_5tupleIJS9_S6_EEENSD_IJSA_SA_EEENS0_18inequality_wrapperIZN2at6native12_GLOBAL__N_124unique_dim_cuda_templateIN3c108BFloat16EEESt5tupleIJNSH_6TensorESO_SO_EERKSO_lbbbEUlllE0_EEPmJS6_EEE10hipError_tPvRmT3_T4_T5_T6_T7_T9_mT8_P12ihipStream_tbDpT10_ENKUlT_T0_E_clISt17integral_constantIbLb0EES1E_EEDaS19_S1A_EUlS19_E_NS1_11comp_targetILNS1_3genE0ELNS1_11target_archE4294967295ELNS1_3gpuE0ELNS1_3repE0EEENS1_30default_config_static_selectorELNS0_4arch9wavefront6targetE0EEEvT1_,"axG",@progbits,_ZN7rocprim17ROCPRIM_400000_NS6detail17trampoline_kernelINS0_14default_configENS1_25partition_config_selectorILNS1_17partition_subalgoE8ElNS0_10empty_typeEbEEZZNS1_14partition_implILS5_8ELb0ES3_jPlPS6_PKS6_NS0_5tupleIJS9_S6_EEENSD_IJSA_SA_EEENS0_18inequality_wrapperIZN2at6native12_GLOBAL__N_124unique_dim_cuda_templateIN3c108BFloat16EEESt5tupleIJNSH_6TensorESO_SO_EERKSO_lbbbEUlllE0_EEPmJS6_EEE10hipError_tPvRmT3_T4_T5_T6_T7_T9_mT8_P12ihipStream_tbDpT10_ENKUlT_T0_E_clISt17integral_constantIbLb0EES1E_EEDaS19_S1A_EUlS19_E_NS1_11comp_targetILNS1_3genE0ELNS1_11target_archE4294967295ELNS1_3gpuE0ELNS1_3repE0EEENS1_30default_config_static_selectorELNS0_4arch9wavefront6targetE0EEEvT1_,comdat
	.globl	_ZN7rocprim17ROCPRIM_400000_NS6detail17trampoline_kernelINS0_14default_configENS1_25partition_config_selectorILNS1_17partition_subalgoE8ElNS0_10empty_typeEbEEZZNS1_14partition_implILS5_8ELb0ES3_jPlPS6_PKS6_NS0_5tupleIJS9_S6_EEENSD_IJSA_SA_EEENS0_18inequality_wrapperIZN2at6native12_GLOBAL__N_124unique_dim_cuda_templateIN3c108BFloat16EEESt5tupleIJNSH_6TensorESO_SO_EERKSO_lbbbEUlllE0_EEPmJS6_EEE10hipError_tPvRmT3_T4_T5_T6_T7_T9_mT8_P12ihipStream_tbDpT10_ENKUlT_T0_E_clISt17integral_constantIbLb0EES1E_EEDaS19_S1A_EUlS19_E_NS1_11comp_targetILNS1_3genE0ELNS1_11target_archE4294967295ELNS1_3gpuE0ELNS1_3repE0EEENS1_30default_config_static_selectorELNS0_4arch9wavefront6targetE0EEEvT1_ ; -- Begin function _ZN7rocprim17ROCPRIM_400000_NS6detail17trampoline_kernelINS0_14default_configENS1_25partition_config_selectorILNS1_17partition_subalgoE8ElNS0_10empty_typeEbEEZZNS1_14partition_implILS5_8ELb0ES3_jPlPS6_PKS6_NS0_5tupleIJS9_S6_EEENSD_IJSA_SA_EEENS0_18inequality_wrapperIZN2at6native12_GLOBAL__N_124unique_dim_cuda_templateIN3c108BFloat16EEESt5tupleIJNSH_6TensorESO_SO_EERKSO_lbbbEUlllE0_EEPmJS6_EEE10hipError_tPvRmT3_T4_T5_T6_T7_T9_mT8_P12ihipStream_tbDpT10_ENKUlT_T0_E_clISt17integral_constantIbLb0EES1E_EEDaS19_S1A_EUlS19_E_NS1_11comp_targetILNS1_3genE0ELNS1_11target_archE4294967295ELNS1_3gpuE0ELNS1_3repE0EEENS1_30default_config_static_selectorELNS0_4arch9wavefront6targetE0EEEvT1_
	.p2align	8
	.type	_ZN7rocprim17ROCPRIM_400000_NS6detail17trampoline_kernelINS0_14default_configENS1_25partition_config_selectorILNS1_17partition_subalgoE8ElNS0_10empty_typeEbEEZZNS1_14partition_implILS5_8ELb0ES3_jPlPS6_PKS6_NS0_5tupleIJS9_S6_EEENSD_IJSA_SA_EEENS0_18inequality_wrapperIZN2at6native12_GLOBAL__N_124unique_dim_cuda_templateIN3c108BFloat16EEESt5tupleIJNSH_6TensorESO_SO_EERKSO_lbbbEUlllE0_EEPmJS6_EEE10hipError_tPvRmT3_T4_T5_T6_T7_T9_mT8_P12ihipStream_tbDpT10_ENKUlT_T0_E_clISt17integral_constantIbLb0EES1E_EEDaS19_S1A_EUlS19_E_NS1_11comp_targetILNS1_3genE0ELNS1_11target_archE4294967295ELNS1_3gpuE0ELNS1_3repE0EEENS1_30default_config_static_selectorELNS0_4arch9wavefront6targetE0EEEvT1_,@function
_ZN7rocprim17ROCPRIM_400000_NS6detail17trampoline_kernelINS0_14default_configENS1_25partition_config_selectorILNS1_17partition_subalgoE8ElNS0_10empty_typeEbEEZZNS1_14partition_implILS5_8ELb0ES3_jPlPS6_PKS6_NS0_5tupleIJS9_S6_EEENSD_IJSA_SA_EEENS0_18inequality_wrapperIZN2at6native12_GLOBAL__N_124unique_dim_cuda_templateIN3c108BFloat16EEESt5tupleIJNSH_6TensorESO_SO_EERKSO_lbbbEUlllE0_EEPmJS6_EEE10hipError_tPvRmT3_T4_T5_T6_T7_T9_mT8_P12ihipStream_tbDpT10_ENKUlT_T0_E_clISt17integral_constantIbLb0EES1E_EEDaS19_S1A_EUlS19_E_NS1_11comp_targetILNS1_3genE0ELNS1_11target_archE4294967295ELNS1_3gpuE0ELNS1_3repE0EEENS1_30default_config_static_selectorELNS0_4arch9wavefront6targetE0EEEvT1_: ; @_ZN7rocprim17ROCPRIM_400000_NS6detail17trampoline_kernelINS0_14default_configENS1_25partition_config_selectorILNS1_17partition_subalgoE8ElNS0_10empty_typeEbEEZZNS1_14partition_implILS5_8ELb0ES3_jPlPS6_PKS6_NS0_5tupleIJS9_S6_EEENSD_IJSA_SA_EEENS0_18inequality_wrapperIZN2at6native12_GLOBAL__N_124unique_dim_cuda_templateIN3c108BFloat16EEESt5tupleIJNSH_6TensorESO_SO_EERKSO_lbbbEUlllE0_EEPmJS6_EEE10hipError_tPvRmT3_T4_T5_T6_T7_T9_mT8_P12ihipStream_tbDpT10_ENKUlT_T0_E_clISt17integral_constantIbLb0EES1E_EEDaS19_S1A_EUlS19_E_NS1_11comp_targetILNS1_3genE0ELNS1_11target_archE4294967295ELNS1_3gpuE0ELNS1_3repE0EEENS1_30default_config_static_selectorELNS0_4arch9wavefront6targetE0EEEvT1_
; %bb.0:
	.section	.rodata,"a",@progbits
	.p2align	6, 0x0
	.amdhsa_kernel _ZN7rocprim17ROCPRIM_400000_NS6detail17trampoline_kernelINS0_14default_configENS1_25partition_config_selectorILNS1_17partition_subalgoE8ElNS0_10empty_typeEbEEZZNS1_14partition_implILS5_8ELb0ES3_jPlPS6_PKS6_NS0_5tupleIJS9_S6_EEENSD_IJSA_SA_EEENS0_18inequality_wrapperIZN2at6native12_GLOBAL__N_124unique_dim_cuda_templateIN3c108BFloat16EEESt5tupleIJNSH_6TensorESO_SO_EERKSO_lbbbEUlllE0_EEPmJS6_EEE10hipError_tPvRmT3_T4_T5_T6_T7_T9_mT8_P12ihipStream_tbDpT10_ENKUlT_T0_E_clISt17integral_constantIbLb0EES1E_EEDaS19_S1A_EUlS19_E_NS1_11comp_targetILNS1_3genE0ELNS1_11target_archE4294967295ELNS1_3gpuE0ELNS1_3repE0EEENS1_30default_config_static_selectorELNS0_4arch9wavefront6targetE0EEEvT1_
		.amdhsa_group_segment_fixed_size 0
		.amdhsa_private_segment_fixed_size 0
		.amdhsa_kernarg_size 120
		.amdhsa_user_sgpr_count 15
		.amdhsa_user_sgpr_dispatch_ptr 0
		.amdhsa_user_sgpr_queue_ptr 0
		.amdhsa_user_sgpr_kernarg_segment_ptr 1
		.amdhsa_user_sgpr_dispatch_id 0
		.amdhsa_user_sgpr_private_segment_size 0
		.amdhsa_wavefront_size32 1
		.amdhsa_uses_dynamic_stack 0
		.amdhsa_enable_private_segment 0
		.amdhsa_system_sgpr_workgroup_id_x 1
		.amdhsa_system_sgpr_workgroup_id_y 0
		.amdhsa_system_sgpr_workgroup_id_z 0
		.amdhsa_system_sgpr_workgroup_info 0
		.amdhsa_system_vgpr_workitem_id 0
		.amdhsa_next_free_vgpr 1
		.amdhsa_next_free_sgpr 1
		.amdhsa_reserve_vcc 0
		.amdhsa_float_round_mode_32 0
		.amdhsa_float_round_mode_16_64 0
		.amdhsa_float_denorm_mode_32 3
		.amdhsa_float_denorm_mode_16_64 3
		.amdhsa_dx10_clamp 1
		.amdhsa_ieee_mode 1
		.amdhsa_fp16_overflow 0
		.amdhsa_workgroup_processor_mode 1
		.amdhsa_memory_ordered 1
		.amdhsa_forward_progress 0
		.amdhsa_shared_vgpr_count 0
		.amdhsa_exception_fp_ieee_invalid_op 0
		.amdhsa_exception_fp_denorm_src 0
		.amdhsa_exception_fp_ieee_div_zero 0
		.amdhsa_exception_fp_ieee_overflow 0
		.amdhsa_exception_fp_ieee_underflow 0
		.amdhsa_exception_fp_ieee_inexact 0
		.amdhsa_exception_int_div_zero 0
	.end_amdhsa_kernel
	.section	.text._ZN7rocprim17ROCPRIM_400000_NS6detail17trampoline_kernelINS0_14default_configENS1_25partition_config_selectorILNS1_17partition_subalgoE8ElNS0_10empty_typeEbEEZZNS1_14partition_implILS5_8ELb0ES3_jPlPS6_PKS6_NS0_5tupleIJS9_S6_EEENSD_IJSA_SA_EEENS0_18inequality_wrapperIZN2at6native12_GLOBAL__N_124unique_dim_cuda_templateIN3c108BFloat16EEESt5tupleIJNSH_6TensorESO_SO_EERKSO_lbbbEUlllE0_EEPmJS6_EEE10hipError_tPvRmT3_T4_T5_T6_T7_T9_mT8_P12ihipStream_tbDpT10_ENKUlT_T0_E_clISt17integral_constantIbLb0EES1E_EEDaS19_S1A_EUlS19_E_NS1_11comp_targetILNS1_3genE0ELNS1_11target_archE4294967295ELNS1_3gpuE0ELNS1_3repE0EEENS1_30default_config_static_selectorELNS0_4arch9wavefront6targetE0EEEvT1_,"axG",@progbits,_ZN7rocprim17ROCPRIM_400000_NS6detail17trampoline_kernelINS0_14default_configENS1_25partition_config_selectorILNS1_17partition_subalgoE8ElNS0_10empty_typeEbEEZZNS1_14partition_implILS5_8ELb0ES3_jPlPS6_PKS6_NS0_5tupleIJS9_S6_EEENSD_IJSA_SA_EEENS0_18inequality_wrapperIZN2at6native12_GLOBAL__N_124unique_dim_cuda_templateIN3c108BFloat16EEESt5tupleIJNSH_6TensorESO_SO_EERKSO_lbbbEUlllE0_EEPmJS6_EEE10hipError_tPvRmT3_T4_T5_T6_T7_T9_mT8_P12ihipStream_tbDpT10_ENKUlT_T0_E_clISt17integral_constantIbLb0EES1E_EEDaS19_S1A_EUlS19_E_NS1_11comp_targetILNS1_3genE0ELNS1_11target_archE4294967295ELNS1_3gpuE0ELNS1_3repE0EEENS1_30default_config_static_selectorELNS0_4arch9wavefront6targetE0EEEvT1_,comdat
.Lfunc_end1173:
	.size	_ZN7rocprim17ROCPRIM_400000_NS6detail17trampoline_kernelINS0_14default_configENS1_25partition_config_selectorILNS1_17partition_subalgoE8ElNS0_10empty_typeEbEEZZNS1_14partition_implILS5_8ELb0ES3_jPlPS6_PKS6_NS0_5tupleIJS9_S6_EEENSD_IJSA_SA_EEENS0_18inequality_wrapperIZN2at6native12_GLOBAL__N_124unique_dim_cuda_templateIN3c108BFloat16EEESt5tupleIJNSH_6TensorESO_SO_EERKSO_lbbbEUlllE0_EEPmJS6_EEE10hipError_tPvRmT3_T4_T5_T6_T7_T9_mT8_P12ihipStream_tbDpT10_ENKUlT_T0_E_clISt17integral_constantIbLb0EES1E_EEDaS19_S1A_EUlS19_E_NS1_11comp_targetILNS1_3genE0ELNS1_11target_archE4294967295ELNS1_3gpuE0ELNS1_3repE0EEENS1_30default_config_static_selectorELNS0_4arch9wavefront6targetE0EEEvT1_, .Lfunc_end1173-_ZN7rocprim17ROCPRIM_400000_NS6detail17trampoline_kernelINS0_14default_configENS1_25partition_config_selectorILNS1_17partition_subalgoE8ElNS0_10empty_typeEbEEZZNS1_14partition_implILS5_8ELb0ES3_jPlPS6_PKS6_NS0_5tupleIJS9_S6_EEENSD_IJSA_SA_EEENS0_18inequality_wrapperIZN2at6native12_GLOBAL__N_124unique_dim_cuda_templateIN3c108BFloat16EEESt5tupleIJNSH_6TensorESO_SO_EERKSO_lbbbEUlllE0_EEPmJS6_EEE10hipError_tPvRmT3_T4_T5_T6_T7_T9_mT8_P12ihipStream_tbDpT10_ENKUlT_T0_E_clISt17integral_constantIbLb0EES1E_EEDaS19_S1A_EUlS19_E_NS1_11comp_targetILNS1_3genE0ELNS1_11target_archE4294967295ELNS1_3gpuE0ELNS1_3repE0EEENS1_30default_config_static_selectorELNS0_4arch9wavefront6targetE0EEEvT1_
                                        ; -- End function
	.section	.AMDGPU.csdata,"",@progbits
; Kernel info:
; codeLenInByte = 0
; NumSgprs: 0
; NumVgprs: 0
; ScratchSize: 0
; MemoryBound: 0
; FloatMode: 240
; IeeeMode: 1
; LDSByteSize: 0 bytes/workgroup (compile time only)
; SGPRBlocks: 0
; VGPRBlocks: 0
; NumSGPRsForWavesPerEU: 1
; NumVGPRsForWavesPerEU: 1
; Occupancy: 16
; WaveLimiterHint : 0
; COMPUTE_PGM_RSRC2:SCRATCH_EN: 0
; COMPUTE_PGM_RSRC2:USER_SGPR: 15
; COMPUTE_PGM_RSRC2:TRAP_HANDLER: 0
; COMPUTE_PGM_RSRC2:TGID_X_EN: 1
; COMPUTE_PGM_RSRC2:TGID_Y_EN: 0
; COMPUTE_PGM_RSRC2:TGID_Z_EN: 0
; COMPUTE_PGM_RSRC2:TIDIG_COMP_CNT: 0
	.section	.text._ZN7rocprim17ROCPRIM_400000_NS6detail17trampoline_kernelINS0_14default_configENS1_25partition_config_selectorILNS1_17partition_subalgoE8ElNS0_10empty_typeEbEEZZNS1_14partition_implILS5_8ELb0ES3_jPlPS6_PKS6_NS0_5tupleIJS9_S6_EEENSD_IJSA_SA_EEENS0_18inequality_wrapperIZN2at6native12_GLOBAL__N_124unique_dim_cuda_templateIN3c108BFloat16EEESt5tupleIJNSH_6TensorESO_SO_EERKSO_lbbbEUlllE0_EEPmJS6_EEE10hipError_tPvRmT3_T4_T5_T6_T7_T9_mT8_P12ihipStream_tbDpT10_ENKUlT_T0_E_clISt17integral_constantIbLb0EES1E_EEDaS19_S1A_EUlS19_E_NS1_11comp_targetILNS1_3genE5ELNS1_11target_archE942ELNS1_3gpuE9ELNS1_3repE0EEENS1_30default_config_static_selectorELNS0_4arch9wavefront6targetE0EEEvT1_,"axG",@progbits,_ZN7rocprim17ROCPRIM_400000_NS6detail17trampoline_kernelINS0_14default_configENS1_25partition_config_selectorILNS1_17partition_subalgoE8ElNS0_10empty_typeEbEEZZNS1_14partition_implILS5_8ELb0ES3_jPlPS6_PKS6_NS0_5tupleIJS9_S6_EEENSD_IJSA_SA_EEENS0_18inequality_wrapperIZN2at6native12_GLOBAL__N_124unique_dim_cuda_templateIN3c108BFloat16EEESt5tupleIJNSH_6TensorESO_SO_EERKSO_lbbbEUlllE0_EEPmJS6_EEE10hipError_tPvRmT3_T4_T5_T6_T7_T9_mT8_P12ihipStream_tbDpT10_ENKUlT_T0_E_clISt17integral_constantIbLb0EES1E_EEDaS19_S1A_EUlS19_E_NS1_11comp_targetILNS1_3genE5ELNS1_11target_archE942ELNS1_3gpuE9ELNS1_3repE0EEENS1_30default_config_static_selectorELNS0_4arch9wavefront6targetE0EEEvT1_,comdat
	.globl	_ZN7rocprim17ROCPRIM_400000_NS6detail17trampoline_kernelINS0_14default_configENS1_25partition_config_selectorILNS1_17partition_subalgoE8ElNS0_10empty_typeEbEEZZNS1_14partition_implILS5_8ELb0ES3_jPlPS6_PKS6_NS0_5tupleIJS9_S6_EEENSD_IJSA_SA_EEENS0_18inequality_wrapperIZN2at6native12_GLOBAL__N_124unique_dim_cuda_templateIN3c108BFloat16EEESt5tupleIJNSH_6TensorESO_SO_EERKSO_lbbbEUlllE0_EEPmJS6_EEE10hipError_tPvRmT3_T4_T5_T6_T7_T9_mT8_P12ihipStream_tbDpT10_ENKUlT_T0_E_clISt17integral_constantIbLb0EES1E_EEDaS19_S1A_EUlS19_E_NS1_11comp_targetILNS1_3genE5ELNS1_11target_archE942ELNS1_3gpuE9ELNS1_3repE0EEENS1_30default_config_static_selectorELNS0_4arch9wavefront6targetE0EEEvT1_ ; -- Begin function _ZN7rocprim17ROCPRIM_400000_NS6detail17trampoline_kernelINS0_14default_configENS1_25partition_config_selectorILNS1_17partition_subalgoE8ElNS0_10empty_typeEbEEZZNS1_14partition_implILS5_8ELb0ES3_jPlPS6_PKS6_NS0_5tupleIJS9_S6_EEENSD_IJSA_SA_EEENS0_18inequality_wrapperIZN2at6native12_GLOBAL__N_124unique_dim_cuda_templateIN3c108BFloat16EEESt5tupleIJNSH_6TensorESO_SO_EERKSO_lbbbEUlllE0_EEPmJS6_EEE10hipError_tPvRmT3_T4_T5_T6_T7_T9_mT8_P12ihipStream_tbDpT10_ENKUlT_T0_E_clISt17integral_constantIbLb0EES1E_EEDaS19_S1A_EUlS19_E_NS1_11comp_targetILNS1_3genE5ELNS1_11target_archE942ELNS1_3gpuE9ELNS1_3repE0EEENS1_30default_config_static_selectorELNS0_4arch9wavefront6targetE0EEEvT1_
	.p2align	8
	.type	_ZN7rocprim17ROCPRIM_400000_NS6detail17trampoline_kernelINS0_14default_configENS1_25partition_config_selectorILNS1_17partition_subalgoE8ElNS0_10empty_typeEbEEZZNS1_14partition_implILS5_8ELb0ES3_jPlPS6_PKS6_NS0_5tupleIJS9_S6_EEENSD_IJSA_SA_EEENS0_18inequality_wrapperIZN2at6native12_GLOBAL__N_124unique_dim_cuda_templateIN3c108BFloat16EEESt5tupleIJNSH_6TensorESO_SO_EERKSO_lbbbEUlllE0_EEPmJS6_EEE10hipError_tPvRmT3_T4_T5_T6_T7_T9_mT8_P12ihipStream_tbDpT10_ENKUlT_T0_E_clISt17integral_constantIbLb0EES1E_EEDaS19_S1A_EUlS19_E_NS1_11comp_targetILNS1_3genE5ELNS1_11target_archE942ELNS1_3gpuE9ELNS1_3repE0EEENS1_30default_config_static_selectorELNS0_4arch9wavefront6targetE0EEEvT1_,@function
_ZN7rocprim17ROCPRIM_400000_NS6detail17trampoline_kernelINS0_14default_configENS1_25partition_config_selectorILNS1_17partition_subalgoE8ElNS0_10empty_typeEbEEZZNS1_14partition_implILS5_8ELb0ES3_jPlPS6_PKS6_NS0_5tupleIJS9_S6_EEENSD_IJSA_SA_EEENS0_18inequality_wrapperIZN2at6native12_GLOBAL__N_124unique_dim_cuda_templateIN3c108BFloat16EEESt5tupleIJNSH_6TensorESO_SO_EERKSO_lbbbEUlllE0_EEPmJS6_EEE10hipError_tPvRmT3_T4_T5_T6_T7_T9_mT8_P12ihipStream_tbDpT10_ENKUlT_T0_E_clISt17integral_constantIbLb0EES1E_EEDaS19_S1A_EUlS19_E_NS1_11comp_targetILNS1_3genE5ELNS1_11target_archE942ELNS1_3gpuE9ELNS1_3repE0EEENS1_30default_config_static_selectorELNS0_4arch9wavefront6targetE0EEEvT1_: ; @_ZN7rocprim17ROCPRIM_400000_NS6detail17trampoline_kernelINS0_14default_configENS1_25partition_config_selectorILNS1_17partition_subalgoE8ElNS0_10empty_typeEbEEZZNS1_14partition_implILS5_8ELb0ES3_jPlPS6_PKS6_NS0_5tupleIJS9_S6_EEENSD_IJSA_SA_EEENS0_18inequality_wrapperIZN2at6native12_GLOBAL__N_124unique_dim_cuda_templateIN3c108BFloat16EEESt5tupleIJNSH_6TensorESO_SO_EERKSO_lbbbEUlllE0_EEPmJS6_EEE10hipError_tPvRmT3_T4_T5_T6_T7_T9_mT8_P12ihipStream_tbDpT10_ENKUlT_T0_E_clISt17integral_constantIbLb0EES1E_EEDaS19_S1A_EUlS19_E_NS1_11comp_targetILNS1_3genE5ELNS1_11target_archE942ELNS1_3gpuE9ELNS1_3repE0EEENS1_30default_config_static_selectorELNS0_4arch9wavefront6targetE0EEEvT1_
; %bb.0:
	.section	.rodata,"a",@progbits
	.p2align	6, 0x0
	.amdhsa_kernel _ZN7rocprim17ROCPRIM_400000_NS6detail17trampoline_kernelINS0_14default_configENS1_25partition_config_selectorILNS1_17partition_subalgoE8ElNS0_10empty_typeEbEEZZNS1_14partition_implILS5_8ELb0ES3_jPlPS6_PKS6_NS0_5tupleIJS9_S6_EEENSD_IJSA_SA_EEENS0_18inequality_wrapperIZN2at6native12_GLOBAL__N_124unique_dim_cuda_templateIN3c108BFloat16EEESt5tupleIJNSH_6TensorESO_SO_EERKSO_lbbbEUlllE0_EEPmJS6_EEE10hipError_tPvRmT3_T4_T5_T6_T7_T9_mT8_P12ihipStream_tbDpT10_ENKUlT_T0_E_clISt17integral_constantIbLb0EES1E_EEDaS19_S1A_EUlS19_E_NS1_11comp_targetILNS1_3genE5ELNS1_11target_archE942ELNS1_3gpuE9ELNS1_3repE0EEENS1_30default_config_static_selectorELNS0_4arch9wavefront6targetE0EEEvT1_
		.amdhsa_group_segment_fixed_size 0
		.amdhsa_private_segment_fixed_size 0
		.amdhsa_kernarg_size 120
		.amdhsa_user_sgpr_count 15
		.amdhsa_user_sgpr_dispatch_ptr 0
		.amdhsa_user_sgpr_queue_ptr 0
		.amdhsa_user_sgpr_kernarg_segment_ptr 1
		.amdhsa_user_sgpr_dispatch_id 0
		.amdhsa_user_sgpr_private_segment_size 0
		.amdhsa_wavefront_size32 1
		.amdhsa_uses_dynamic_stack 0
		.amdhsa_enable_private_segment 0
		.amdhsa_system_sgpr_workgroup_id_x 1
		.amdhsa_system_sgpr_workgroup_id_y 0
		.amdhsa_system_sgpr_workgroup_id_z 0
		.amdhsa_system_sgpr_workgroup_info 0
		.amdhsa_system_vgpr_workitem_id 0
		.amdhsa_next_free_vgpr 1
		.amdhsa_next_free_sgpr 1
		.amdhsa_reserve_vcc 0
		.amdhsa_float_round_mode_32 0
		.amdhsa_float_round_mode_16_64 0
		.amdhsa_float_denorm_mode_32 3
		.amdhsa_float_denorm_mode_16_64 3
		.amdhsa_dx10_clamp 1
		.amdhsa_ieee_mode 1
		.amdhsa_fp16_overflow 0
		.amdhsa_workgroup_processor_mode 1
		.amdhsa_memory_ordered 1
		.amdhsa_forward_progress 0
		.amdhsa_shared_vgpr_count 0
		.amdhsa_exception_fp_ieee_invalid_op 0
		.amdhsa_exception_fp_denorm_src 0
		.amdhsa_exception_fp_ieee_div_zero 0
		.amdhsa_exception_fp_ieee_overflow 0
		.amdhsa_exception_fp_ieee_underflow 0
		.amdhsa_exception_fp_ieee_inexact 0
		.amdhsa_exception_int_div_zero 0
	.end_amdhsa_kernel
	.section	.text._ZN7rocprim17ROCPRIM_400000_NS6detail17trampoline_kernelINS0_14default_configENS1_25partition_config_selectorILNS1_17partition_subalgoE8ElNS0_10empty_typeEbEEZZNS1_14partition_implILS5_8ELb0ES3_jPlPS6_PKS6_NS0_5tupleIJS9_S6_EEENSD_IJSA_SA_EEENS0_18inequality_wrapperIZN2at6native12_GLOBAL__N_124unique_dim_cuda_templateIN3c108BFloat16EEESt5tupleIJNSH_6TensorESO_SO_EERKSO_lbbbEUlllE0_EEPmJS6_EEE10hipError_tPvRmT3_T4_T5_T6_T7_T9_mT8_P12ihipStream_tbDpT10_ENKUlT_T0_E_clISt17integral_constantIbLb0EES1E_EEDaS19_S1A_EUlS19_E_NS1_11comp_targetILNS1_3genE5ELNS1_11target_archE942ELNS1_3gpuE9ELNS1_3repE0EEENS1_30default_config_static_selectorELNS0_4arch9wavefront6targetE0EEEvT1_,"axG",@progbits,_ZN7rocprim17ROCPRIM_400000_NS6detail17trampoline_kernelINS0_14default_configENS1_25partition_config_selectorILNS1_17partition_subalgoE8ElNS0_10empty_typeEbEEZZNS1_14partition_implILS5_8ELb0ES3_jPlPS6_PKS6_NS0_5tupleIJS9_S6_EEENSD_IJSA_SA_EEENS0_18inequality_wrapperIZN2at6native12_GLOBAL__N_124unique_dim_cuda_templateIN3c108BFloat16EEESt5tupleIJNSH_6TensorESO_SO_EERKSO_lbbbEUlllE0_EEPmJS6_EEE10hipError_tPvRmT3_T4_T5_T6_T7_T9_mT8_P12ihipStream_tbDpT10_ENKUlT_T0_E_clISt17integral_constantIbLb0EES1E_EEDaS19_S1A_EUlS19_E_NS1_11comp_targetILNS1_3genE5ELNS1_11target_archE942ELNS1_3gpuE9ELNS1_3repE0EEENS1_30default_config_static_selectorELNS0_4arch9wavefront6targetE0EEEvT1_,comdat
.Lfunc_end1174:
	.size	_ZN7rocprim17ROCPRIM_400000_NS6detail17trampoline_kernelINS0_14default_configENS1_25partition_config_selectorILNS1_17partition_subalgoE8ElNS0_10empty_typeEbEEZZNS1_14partition_implILS5_8ELb0ES3_jPlPS6_PKS6_NS0_5tupleIJS9_S6_EEENSD_IJSA_SA_EEENS0_18inequality_wrapperIZN2at6native12_GLOBAL__N_124unique_dim_cuda_templateIN3c108BFloat16EEESt5tupleIJNSH_6TensorESO_SO_EERKSO_lbbbEUlllE0_EEPmJS6_EEE10hipError_tPvRmT3_T4_T5_T6_T7_T9_mT8_P12ihipStream_tbDpT10_ENKUlT_T0_E_clISt17integral_constantIbLb0EES1E_EEDaS19_S1A_EUlS19_E_NS1_11comp_targetILNS1_3genE5ELNS1_11target_archE942ELNS1_3gpuE9ELNS1_3repE0EEENS1_30default_config_static_selectorELNS0_4arch9wavefront6targetE0EEEvT1_, .Lfunc_end1174-_ZN7rocprim17ROCPRIM_400000_NS6detail17trampoline_kernelINS0_14default_configENS1_25partition_config_selectorILNS1_17partition_subalgoE8ElNS0_10empty_typeEbEEZZNS1_14partition_implILS5_8ELb0ES3_jPlPS6_PKS6_NS0_5tupleIJS9_S6_EEENSD_IJSA_SA_EEENS0_18inequality_wrapperIZN2at6native12_GLOBAL__N_124unique_dim_cuda_templateIN3c108BFloat16EEESt5tupleIJNSH_6TensorESO_SO_EERKSO_lbbbEUlllE0_EEPmJS6_EEE10hipError_tPvRmT3_T4_T5_T6_T7_T9_mT8_P12ihipStream_tbDpT10_ENKUlT_T0_E_clISt17integral_constantIbLb0EES1E_EEDaS19_S1A_EUlS19_E_NS1_11comp_targetILNS1_3genE5ELNS1_11target_archE942ELNS1_3gpuE9ELNS1_3repE0EEENS1_30default_config_static_selectorELNS0_4arch9wavefront6targetE0EEEvT1_
                                        ; -- End function
	.section	.AMDGPU.csdata,"",@progbits
; Kernel info:
; codeLenInByte = 0
; NumSgprs: 0
; NumVgprs: 0
; ScratchSize: 0
; MemoryBound: 0
; FloatMode: 240
; IeeeMode: 1
; LDSByteSize: 0 bytes/workgroup (compile time only)
; SGPRBlocks: 0
; VGPRBlocks: 0
; NumSGPRsForWavesPerEU: 1
; NumVGPRsForWavesPerEU: 1
; Occupancy: 16
; WaveLimiterHint : 0
; COMPUTE_PGM_RSRC2:SCRATCH_EN: 0
; COMPUTE_PGM_RSRC2:USER_SGPR: 15
; COMPUTE_PGM_RSRC2:TRAP_HANDLER: 0
; COMPUTE_PGM_RSRC2:TGID_X_EN: 1
; COMPUTE_PGM_RSRC2:TGID_Y_EN: 0
; COMPUTE_PGM_RSRC2:TGID_Z_EN: 0
; COMPUTE_PGM_RSRC2:TIDIG_COMP_CNT: 0
	.section	.text._ZN7rocprim17ROCPRIM_400000_NS6detail17trampoline_kernelINS0_14default_configENS1_25partition_config_selectorILNS1_17partition_subalgoE8ElNS0_10empty_typeEbEEZZNS1_14partition_implILS5_8ELb0ES3_jPlPS6_PKS6_NS0_5tupleIJS9_S6_EEENSD_IJSA_SA_EEENS0_18inequality_wrapperIZN2at6native12_GLOBAL__N_124unique_dim_cuda_templateIN3c108BFloat16EEESt5tupleIJNSH_6TensorESO_SO_EERKSO_lbbbEUlllE0_EEPmJS6_EEE10hipError_tPvRmT3_T4_T5_T6_T7_T9_mT8_P12ihipStream_tbDpT10_ENKUlT_T0_E_clISt17integral_constantIbLb0EES1E_EEDaS19_S1A_EUlS19_E_NS1_11comp_targetILNS1_3genE4ELNS1_11target_archE910ELNS1_3gpuE8ELNS1_3repE0EEENS1_30default_config_static_selectorELNS0_4arch9wavefront6targetE0EEEvT1_,"axG",@progbits,_ZN7rocprim17ROCPRIM_400000_NS6detail17trampoline_kernelINS0_14default_configENS1_25partition_config_selectorILNS1_17partition_subalgoE8ElNS0_10empty_typeEbEEZZNS1_14partition_implILS5_8ELb0ES3_jPlPS6_PKS6_NS0_5tupleIJS9_S6_EEENSD_IJSA_SA_EEENS0_18inequality_wrapperIZN2at6native12_GLOBAL__N_124unique_dim_cuda_templateIN3c108BFloat16EEESt5tupleIJNSH_6TensorESO_SO_EERKSO_lbbbEUlllE0_EEPmJS6_EEE10hipError_tPvRmT3_T4_T5_T6_T7_T9_mT8_P12ihipStream_tbDpT10_ENKUlT_T0_E_clISt17integral_constantIbLb0EES1E_EEDaS19_S1A_EUlS19_E_NS1_11comp_targetILNS1_3genE4ELNS1_11target_archE910ELNS1_3gpuE8ELNS1_3repE0EEENS1_30default_config_static_selectorELNS0_4arch9wavefront6targetE0EEEvT1_,comdat
	.globl	_ZN7rocprim17ROCPRIM_400000_NS6detail17trampoline_kernelINS0_14default_configENS1_25partition_config_selectorILNS1_17partition_subalgoE8ElNS0_10empty_typeEbEEZZNS1_14partition_implILS5_8ELb0ES3_jPlPS6_PKS6_NS0_5tupleIJS9_S6_EEENSD_IJSA_SA_EEENS0_18inequality_wrapperIZN2at6native12_GLOBAL__N_124unique_dim_cuda_templateIN3c108BFloat16EEESt5tupleIJNSH_6TensorESO_SO_EERKSO_lbbbEUlllE0_EEPmJS6_EEE10hipError_tPvRmT3_T4_T5_T6_T7_T9_mT8_P12ihipStream_tbDpT10_ENKUlT_T0_E_clISt17integral_constantIbLb0EES1E_EEDaS19_S1A_EUlS19_E_NS1_11comp_targetILNS1_3genE4ELNS1_11target_archE910ELNS1_3gpuE8ELNS1_3repE0EEENS1_30default_config_static_selectorELNS0_4arch9wavefront6targetE0EEEvT1_ ; -- Begin function _ZN7rocprim17ROCPRIM_400000_NS6detail17trampoline_kernelINS0_14default_configENS1_25partition_config_selectorILNS1_17partition_subalgoE8ElNS0_10empty_typeEbEEZZNS1_14partition_implILS5_8ELb0ES3_jPlPS6_PKS6_NS0_5tupleIJS9_S6_EEENSD_IJSA_SA_EEENS0_18inequality_wrapperIZN2at6native12_GLOBAL__N_124unique_dim_cuda_templateIN3c108BFloat16EEESt5tupleIJNSH_6TensorESO_SO_EERKSO_lbbbEUlllE0_EEPmJS6_EEE10hipError_tPvRmT3_T4_T5_T6_T7_T9_mT8_P12ihipStream_tbDpT10_ENKUlT_T0_E_clISt17integral_constantIbLb0EES1E_EEDaS19_S1A_EUlS19_E_NS1_11comp_targetILNS1_3genE4ELNS1_11target_archE910ELNS1_3gpuE8ELNS1_3repE0EEENS1_30default_config_static_selectorELNS0_4arch9wavefront6targetE0EEEvT1_
	.p2align	8
	.type	_ZN7rocprim17ROCPRIM_400000_NS6detail17trampoline_kernelINS0_14default_configENS1_25partition_config_selectorILNS1_17partition_subalgoE8ElNS0_10empty_typeEbEEZZNS1_14partition_implILS5_8ELb0ES3_jPlPS6_PKS6_NS0_5tupleIJS9_S6_EEENSD_IJSA_SA_EEENS0_18inequality_wrapperIZN2at6native12_GLOBAL__N_124unique_dim_cuda_templateIN3c108BFloat16EEESt5tupleIJNSH_6TensorESO_SO_EERKSO_lbbbEUlllE0_EEPmJS6_EEE10hipError_tPvRmT3_T4_T5_T6_T7_T9_mT8_P12ihipStream_tbDpT10_ENKUlT_T0_E_clISt17integral_constantIbLb0EES1E_EEDaS19_S1A_EUlS19_E_NS1_11comp_targetILNS1_3genE4ELNS1_11target_archE910ELNS1_3gpuE8ELNS1_3repE0EEENS1_30default_config_static_selectorELNS0_4arch9wavefront6targetE0EEEvT1_,@function
_ZN7rocprim17ROCPRIM_400000_NS6detail17trampoline_kernelINS0_14default_configENS1_25partition_config_selectorILNS1_17partition_subalgoE8ElNS0_10empty_typeEbEEZZNS1_14partition_implILS5_8ELb0ES3_jPlPS6_PKS6_NS0_5tupleIJS9_S6_EEENSD_IJSA_SA_EEENS0_18inequality_wrapperIZN2at6native12_GLOBAL__N_124unique_dim_cuda_templateIN3c108BFloat16EEESt5tupleIJNSH_6TensorESO_SO_EERKSO_lbbbEUlllE0_EEPmJS6_EEE10hipError_tPvRmT3_T4_T5_T6_T7_T9_mT8_P12ihipStream_tbDpT10_ENKUlT_T0_E_clISt17integral_constantIbLb0EES1E_EEDaS19_S1A_EUlS19_E_NS1_11comp_targetILNS1_3genE4ELNS1_11target_archE910ELNS1_3gpuE8ELNS1_3repE0EEENS1_30default_config_static_selectorELNS0_4arch9wavefront6targetE0EEEvT1_: ; @_ZN7rocprim17ROCPRIM_400000_NS6detail17trampoline_kernelINS0_14default_configENS1_25partition_config_selectorILNS1_17partition_subalgoE8ElNS0_10empty_typeEbEEZZNS1_14partition_implILS5_8ELb0ES3_jPlPS6_PKS6_NS0_5tupleIJS9_S6_EEENSD_IJSA_SA_EEENS0_18inequality_wrapperIZN2at6native12_GLOBAL__N_124unique_dim_cuda_templateIN3c108BFloat16EEESt5tupleIJNSH_6TensorESO_SO_EERKSO_lbbbEUlllE0_EEPmJS6_EEE10hipError_tPvRmT3_T4_T5_T6_T7_T9_mT8_P12ihipStream_tbDpT10_ENKUlT_T0_E_clISt17integral_constantIbLb0EES1E_EEDaS19_S1A_EUlS19_E_NS1_11comp_targetILNS1_3genE4ELNS1_11target_archE910ELNS1_3gpuE8ELNS1_3repE0EEENS1_30default_config_static_selectorELNS0_4arch9wavefront6targetE0EEEvT1_
; %bb.0:
	.section	.rodata,"a",@progbits
	.p2align	6, 0x0
	.amdhsa_kernel _ZN7rocprim17ROCPRIM_400000_NS6detail17trampoline_kernelINS0_14default_configENS1_25partition_config_selectorILNS1_17partition_subalgoE8ElNS0_10empty_typeEbEEZZNS1_14partition_implILS5_8ELb0ES3_jPlPS6_PKS6_NS0_5tupleIJS9_S6_EEENSD_IJSA_SA_EEENS0_18inequality_wrapperIZN2at6native12_GLOBAL__N_124unique_dim_cuda_templateIN3c108BFloat16EEESt5tupleIJNSH_6TensorESO_SO_EERKSO_lbbbEUlllE0_EEPmJS6_EEE10hipError_tPvRmT3_T4_T5_T6_T7_T9_mT8_P12ihipStream_tbDpT10_ENKUlT_T0_E_clISt17integral_constantIbLb0EES1E_EEDaS19_S1A_EUlS19_E_NS1_11comp_targetILNS1_3genE4ELNS1_11target_archE910ELNS1_3gpuE8ELNS1_3repE0EEENS1_30default_config_static_selectorELNS0_4arch9wavefront6targetE0EEEvT1_
		.amdhsa_group_segment_fixed_size 0
		.amdhsa_private_segment_fixed_size 0
		.amdhsa_kernarg_size 120
		.amdhsa_user_sgpr_count 15
		.amdhsa_user_sgpr_dispatch_ptr 0
		.amdhsa_user_sgpr_queue_ptr 0
		.amdhsa_user_sgpr_kernarg_segment_ptr 1
		.amdhsa_user_sgpr_dispatch_id 0
		.amdhsa_user_sgpr_private_segment_size 0
		.amdhsa_wavefront_size32 1
		.amdhsa_uses_dynamic_stack 0
		.amdhsa_enable_private_segment 0
		.amdhsa_system_sgpr_workgroup_id_x 1
		.amdhsa_system_sgpr_workgroup_id_y 0
		.amdhsa_system_sgpr_workgroup_id_z 0
		.amdhsa_system_sgpr_workgroup_info 0
		.amdhsa_system_vgpr_workitem_id 0
		.amdhsa_next_free_vgpr 1
		.amdhsa_next_free_sgpr 1
		.amdhsa_reserve_vcc 0
		.amdhsa_float_round_mode_32 0
		.amdhsa_float_round_mode_16_64 0
		.amdhsa_float_denorm_mode_32 3
		.amdhsa_float_denorm_mode_16_64 3
		.amdhsa_dx10_clamp 1
		.amdhsa_ieee_mode 1
		.amdhsa_fp16_overflow 0
		.amdhsa_workgroup_processor_mode 1
		.amdhsa_memory_ordered 1
		.amdhsa_forward_progress 0
		.amdhsa_shared_vgpr_count 0
		.amdhsa_exception_fp_ieee_invalid_op 0
		.amdhsa_exception_fp_denorm_src 0
		.amdhsa_exception_fp_ieee_div_zero 0
		.amdhsa_exception_fp_ieee_overflow 0
		.amdhsa_exception_fp_ieee_underflow 0
		.amdhsa_exception_fp_ieee_inexact 0
		.amdhsa_exception_int_div_zero 0
	.end_amdhsa_kernel
	.section	.text._ZN7rocprim17ROCPRIM_400000_NS6detail17trampoline_kernelINS0_14default_configENS1_25partition_config_selectorILNS1_17partition_subalgoE8ElNS0_10empty_typeEbEEZZNS1_14partition_implILS5_8ELb0ES3_jPlPS6_PKS6_NS0_5tupleIJS9_S6_EEENSD_IJSA_SA_EEENS0_18inequality_wrapperIZN2at6native12_GLOBAL__N_124unique_dim_cuda_templateIN3c108BFloat16EEESt5tupleIJNSH_6TensorESO_SO_EERKSO_lbbbEUlllE0_EEPmJS6_EEE10hipError_tPvRmT3_T4_T5_T6_T7_T9_mT8_P12ihipStream_tbDpT10_ENKUlT_T0_E_clISt17integral_constantIbLb0EES1E_EEDaS19_S1A_EUlS19_E_NS1_11comp_targetILNS1_3genE4ELNS1_11target_archE910ELNS1_3gpuE8ELNS1_3repE0EEENS1_30default_config_static_selectorELNS0_4arch9wavefront6targetE0EEEvT1_,"axG",@progbits,_ZN7rocprim17ROCPRIM_400000_NS6detail17trampoline_kernelINS0_14default_configENS1_25partition_config_selectorILNS1_17partition_subalgoE8ElNS0_10empty_typeEbEEZZNS1_14partition_implILS5_8ELb0ES3_jPlPS6_PKS6_NS0_5tupleIJS9_S6_EEENSD_IJSA_SA_EEENS0_18inequality_wrapperIZN2at6native12_GLOBAL__N_124unique_dim_cuda_templateIN3c108BFloat16EEESt5tupleIJNSH_6TensorESO_SO_EERKSO_lbbbEUlllE0_EEPmJS6_EEE10hipError_tPvRmT3_T4_T5_T6_T7_T9_mT8_P12ihipStream_tbDpT10_ENKUlT_T0_E_clISt17integral_constantIbLb0EES1E_EEDaS19_S1A_EUlS19_E_NS1_11comp_targetILNS1_3genE4ELNS1_11target_archE910ELNS1_3gpuE8ELNS1_3repE0EEENS1_30default_config_static_selectorELNS0_4arch9wavefront6targetE0EEEvT1_,comdat
.Lfunc_end1175:
	.size	_ZN7rocprim17ROCPRIM_400000_NS6detail17trampoline_kernelINS0_14default_configENS1_25partition_config_selectorILNS1_17partition_subalgoE8ElNS0_10empty_typeEbEEZZNS1_14partition_implILS5_8ELb0ES3_jPlPS6_PKS6_NS0_5tupleIJS9_S6_EEENSD_IJSA_SA_EEENS0_18inequality_wrapperIZN2at6native12_GLOBAL__N_124unique_dim_cuda_templateIN3c108BFloat16EEESt5tupleIJNSH_6TensorESO_SO_EERKSO_lbbbEUlllE0_EEPmJS6_EEE10hipError_tPvRmT3_T4_T5_T6_T7_T9_mT8_P12ihipStream_tbDpT10_ENKUlT_T0_E_clISt17integral_constantIbLb0EES1E_EEDaS19_S1A_EUlS19_E_NS1_11comp_targetILNS1_3genE4ELNS1_11target_archE910ELNS1_3gpuE8ELNS1_3repE0EEENS1_30default_config_static_selectorELNS0_4arch9wavefront6targetE0EEEvT1_, .Lfunc_end1175-_ZN7rocprim17ROCPRIM_400000_NS6detail17trampoline_kernelINS0_14default_configENS1_25partition_config_selectorILNS1_17partition_subalgoE8ElNS0_10empty_typeEbEEZZNS1_14partition_implILS5_8ELb0ES3_jPlPS6_PKS6_NS0_5tupleIJS9_S6_EEENSD_IJSA_SA_EEENS0_18inequality_wrapperIZN2at6native12_GLOBAL__N_124unique_dim_cuda_templateIN3c108BFloat16EEESt5tupleIJNSH_6TensorESO_SO_EERKSO_lbbbEUlllE0_EEPmJS6_EEE10hipError_tPvRmT3_T4_T5_T6_T7_T9_mT8_P12ihipStream_tbDpT10_ENKUlT_T0_E_clISt17integral_constantIbLb0EES1E_EEDaS19_S1A_EUlS19_E_NS1_11comp_targetILNS1_3genE4ELNS1_11target_archE910ELNS1_3gpuE8ELNS1_3repE0EEENS1_30default_config_static_selectorELNS0_4arch9wavefront6targetE0EEEvT1_
                                        ; -- End function
	.section	.AMDGPU.csdata,"",@progbits
; Kernel info:
; codeLenInByte = 0
; NumSgprs: 0
; NumVgprs: 0
; ScratchSize: 0
; MemoryBound: 0
; FloatMode: 240
; IeeeMode: 1
; LDSByteSize: 0 bytes/workgroup (compile time only)
; SGPRBlocks: 0
; VGPRBlocks: 0
; NumSGPRsForWavesPerEU: 1
; NumVGPRsForWavesPerEU: 1
; Occupancy: 16
; WaveLimiterHint : 0
; COMPUTE_PGM_RSRC2:SCRATCH_EN: 0
; COMPUTE_PGM_RSRC2:USER_SGPR: 15
; COMPUTE_PGM_RSRC2:TRAP_HANDLER: 0
; COMPUTE_PGM_RSRC2:TGID_X_EN: 1
; COMPUTE_PGM_RSRC2:TGID_Y_EN: 0
; COMPUTE_PGM_RSRC2:TGID_Z_EN: 0
; COMPUTE_PGM_RSRC2:TIDIG_COMP_CNT: 0
	.section	.text._ZN7rocprim17ROCPRIM_400000_NS6detail17trampoline_kernelINS0_14default_configENS1_25partition_config_selectorILNS1_17partition_subalgoE8ElNS0_10empty_typeEbEEZZNS1_14partition_implILS5_8ELb0ES3_jPlPS6_PKS6_NS0_5tupleIJS9_S6_EEENSD_IJSA_SA_EEENS0_18inequality_wrapperIZN2at6native12_GLOBAL__N_124unique_dim_cuda_templateIN3c108BFloat16EEESt5tupleIJNSH_6TensorESO_SO_EERKSO_lbbbEUlllE0_EEPmJS6_EEE10hipError_tPvRmT3_T4_T5_T6_T7_T9_mT8_P12ihipStream_tbDpT10_ENKUlT_T0_E_clISt17integral_constantIbLb0EES1E_EEDaS19_S1A_EUlS19_E_NS1_11comp_targetILNS1_3genE3ELNS1_11target_archE908ELNS1_3gpuE7ELNS1_3repE0EEENS1_30default_config_static_selectorELNS0_4arch9wavefront6targetE0EEEvT1_,"axG",@progbits,_ZN7rocprim17ROCPRIM_400000_NS6detail17trampoline_kernelINS0_14default_configENS1_25partition_config_selectorILNS1_17partition_subalgoE8ElNS0_10empty_typeEbEEZZNS1_14partition_implILS5_8ELb0ES3_jPlPS6_PKS6_NS0_5tupleIJS9_S6_EEENSD_IJSA_SA_EEENS0_18inequality_wrapperIZN2at6native12_GLOBAL__N_124unique_dim_cuda_templateIN3c108BFloat16EEESt5tupleIJNSH_6TensorESO_SO_EERKSO_lbbbEUlllE0_EEPmJS6_EEE10hipError_tPvRmT3_T4_T5_T6_T7_T9_mT8_P12ihipStream_tbDpT10_ENKUlT_T0_E_clISt17integral_constantIbLb0EES1E_EEDaS19_S1A_EUlS19_E_NS1_11comp_targetILNS1_3genE3ELNS1_11target_archE908ELNS1_3gpuE7ELNS1_3repE0EEENS1_30default_config_static_selectorELNS0_4arch9wavefront6targetE0EEEvT1_,comdat
	.globl	_ZN7rocprim17ROCPRIM_400000_NS6detail17trampoline_kernelINS0_14default_configENS1_25partition_config_selectorILNS1_17partition_subalgoE8ElNS0_10empty_typeEbEEZZNS1_14partition_implILS5_8ELb0ES3_jPlPS6_PKS6_NS0_5tupleIJS9_S6_EEENSD_IJSA_SA_EEENS0_18inequality_wrapperIZN2at6native12_GLOBAL__N_124unique_dim_cuda_templateIN3c108BFloat16EEESt5tupleIJNSH_6TensorESO_SO_EERKSO_lbbbEUlllE0_EEPmJS6_EEE10hipError_tPvRmT3_T4_T5_T6_T7_T9_mT8_P12ihipStream_tbDpT10_ENKUlT_T0_E_clISt17integral_constantIbLb0EES1E_EEDaS19_S1A_EUlS19_E_NS1_11comp_targetILNS1_3genE3ELNS1_11target_archE908ELNS1_3gpuE7ELNS1_3repE0EEENS1_30default_config_static_selectorELNS0_4arch9wavefront6targetE0EEEvT1_ ; -- Begin function _ZN7rocprim17ROCPRIM_400000_NS6detail17trampoline_kernelINS0_14default_configENS1_25partition_config_selectorILNS1_17partition_subalgoE8ElNS0_10empty_typeEbEEZZNS1_14partition_implILS5_8ELb0ES3_jPlPS6_PKS6_NS0_5tupleIJS9_S6_EEENSD_IJSA_SA_EEENS0_18inequality_wrapperIZN2at6native12_GLOBAL__N_124unique_dim_cuda_templateIN3c108BFloat16EEESt5tupleIJNSH_6TensorESO_SO_EERKSO_lbbbEUlllE0_EEPmJS6_EEE10hipError_tPvRmT3_T4_T5_T6_T7_T9_mT8_P12ihipStream_tbDpT10_ENKUlT_T0_E_clISt17integral_constantIbLb0EES1E_EEDaS19_S1A_EUlS19_E_NS1_11comp_targetILNS1_3genE3ELNS1_11target_archE908ELNS1_3gpuE7ELNS1_3repE0EEENS1_30default_config_static_selectorELNS0_4arch9wavefront6targetE0EEEvT1_
	.p2align	8
	.type	_ZN7rocprim17ROCPRIM_400000_NS6detail17trampoline_kernelINS0_14default_configENS1_25partition_config_selectorILNS1_17partition_subalgoE8ElNS0_10empty_typeEbEEZZNS1_14partition_implILS5_8ELb0ES3_jPlPS6_PKS6_NS0_5tupleIJS9_S6_EEENSD_IJSA_SA_EEENS0_18inequality_wrapperIZN2at6native12_GLOBAL__N_124unique_dim_cuda_templateIN3c108BFloat16EEESt5tupleIJNSH_6TensorESO_SO_EERKSO_lbbbEUlllE0_EEPmJS6_EEE10hipError_tPvRmT3_T4_T5_T6_T7_T9_mT8_P12ihipStream_tbDpT10_ENKUlT_T0_E_clISt17integral_constantIbLb0EES1E_EEDaS19_S1A_EUlS19_E_NS1_11comp_targetILNS1_3genE3ELNS1_11target_archE908ELNS1_3gpuE7ELNS1_3repE0EEENS1_30default_config_static_selectorELNS0_4arch9wavefront6targetE0EEEvT1_,@function
_ZN7rocprim17ROCPRIM_400000_NS6detail17trampoline_kernelINS0_14default_configENS1_25partition_config_selectorILNS1_17partition_subalgoE8ElNS0_10empty_typeEbEEZZNS1_14partition_implILS5_8ELb0ES3_jPlPS6_PKS6_NS0_5tupleIJS9_S6_EEENSD_IJSA_SA_EEENS0_18inequality_wrapperIZN2at6native12_GLOBAL__N_124unique_dim_cuda_templateIN3c108BFloat16EEESt5tupleIJNSH_6TensorESO_SO_EERKSO_lbbbEUlllE0_EEPmJS6_EEE10hipError_tPvRmT3_T4_T5_T6_T7_T9_mT8_P12ihipStream_tbDpT10_ENKUlT_T0_E_clISt17integral_constantIbLb0EES1E_EEDaS19_S1A_EUlS19_E_NS1_11comp_targetILNS1_3genE3ELNS1_11target_archE908ELNS1_3gpuE7ELNS1_3repE0EEENS1_30default_config_static_selectorELNS0_4arch9wavefront6targetE0EEEvT1_: ; @_ZN7rocprim17ROCPRIM_400000_NS6detail17trampoline_kernelINS0_14default_configENS1_25partition_config_selectorILNS1_17partition_subalgoE8ElNS0_10empty_typeEbEEZZNS1_14partition_implILS5_8ELb0ES3_jPlPS6_PKS6_NS0_5tupleIJS9_S6_EEENSD_IJSA_SA_EEENS0_18inequality_wrapperIZN2at6native12_GLOBAL__N_124unique_dim_cuda_templateIN3c108BFloat16EEESt5tupleIJNSH_6TensorESO_SO_EERKSO_lbbbEUlllE0_EEPmJS6_EEE10hipError_tPvRmT3_T4_T5_T6_T7_T9_mT8_P12ihipStream_tbDpT10_ENKUlT_T0_E_clISt17integral_constantIbLb0EES1E_EEDaS19_S1A_EUlS19_E_NS1_11comp_targetILNS1_3genE3ELNS1_11target_archE908ELNS1_3gpuE7ELNS1_3repE0EEENS1_30default_config_static_selectorELNS0_4arch9wavefront6targetE0EEEvT1_
; %bb.0:
	.section	.rodata,"a",@progbits
	.p2align	6, 0x0
	.amdhsa_kernel _ZN7rocprim17ROCPRIM_400000_NS6detail17trampoline_kernelINS0_14default_configENS1_25partition_config_selectorILNS1_17partition_subalgoE8ElNS0_10empty_typeEbEEZZNS1_14partition_implILS5_8ELb0ES3_jPlPS6_PKS6_NS0_5tupleIJS9_S6_EEENSD_IJSA_SA_EEENS0_18inequality_wrapperIZN2at6native12_GLOBAL__N_124unique_dim_cuda_templateIN3c108BFloat16EEESt5tupleIJNSH_6TensorESO_SO_EERKSO_lbbbEUlllE0_EEPmJS6_EEE10hipError_tPvRmT3_T4_T5_T6_T7_T9_mT8_P12ihipStream_tbDpT10_ENKUlT_T0_E_clISt17integral_constantIbLb0EES1E_EEDaS19_S1A_EUlS19_E_NS1_11comp_targetILNS1_3genE3ELNS1_11target_archE908ELNS1_3gpuE7ELNS1_3repE0EEENS1_30default_config_static_selectorELNS0_4arch9wavefront6targetE0EEEvT1_
		.amdhsa_group_segment_fixed_size 0
		.amdhsa_private_segment_fixed_size 0
		.amdhsa_kernarg_size 120
		.amdhsa_user_sgpr_count 15
		.amdhsa_user_sgpr_dispatch_ptr 0
		.amdhsa_user_sgpr_queue_ptr 0
		.amdhsa_user_sgpr_kernarg_segment_ptr 1
		.amdhsa_user_sgpr_dispatch_id 0
		.amdhsa_user_sgpr_private_segment_size 0
		.amdhsa_wavefront_size32 1
		.amdhsa_uses_dynamic_stack 0
		.amdhsa_enable_private_segment 0
		.amdhsa_system_sgpr_workgroup_id_x 1
		.amdhsa_system_sgpr_workgroup_id_y 0
		.amdhsa_system_sgpr_workgroup_id_z 0
		.amdhsa_system_sgpr_workgroup_info 0
		.amdhsa_system_vgpr_workitem_id 0
		.amdhsa_next_free_vgpr 1
		.amdhsa_next_free_sgpr 1
		.amdhsa_reserve_vcc 0
		.amdhsa_float_round_mode_32 0
		.amdhsa_float_round_mode_16_64 0
		.amdhsa_float_denorm_mode_32 3
		.amdhsa_float_denorm_mode_16_64 3
		.amdhsa_dx10_clamp 1
		.amdhsa_ieee_mode 1
		.amdhsa_fp16_overflow 0
		.amdhsa_workgroup_processor_mode 1
		.amdhsa_memory_ordered 1
		.amdhsa_forward_progress 0
		.amdhsa_shared_vgpr_count 0
		.amdhsa_exception_fp_ieee_invalid_op 0
		.amdhsa_exception_fp_denorm_src 0
		.amdhsa_exception_fp_ieee_div_zero 0
		.amdhsa_exception_fp_ieee_overflow 0
		.amdhsa_exception_fp_ieee_underflow 0
		.amdhsa_exception_fp_ieee_inexact 0
		.amdhsa_exception_int_div_zero 0
	.end_amdhsa_kernel
	.section	.text._ZN7rocprim17ROCPRIM_400000_NS6detail17trampoline_kernelINS0_14default_configENS1_25partition_config_selectorILNS1_17partition_subalgoE8ElNS0_10empty_typeEbEEZZNS1_14partition_implILS5_8ELb0ES3_jPlPS6_PKS6_NS0_5tupleIJS9_S6_EEENSD_IJSA_SA_EEENS0_18inequality_wrapperIZN2at6native12_GLOBAL__N_124unique_dim_cuda_templateIN3c108BFloat16EEESt5tupleIJNSH_6TensorESO_SO_EERKSO_lbbbEUlllE0_EEPmJS6_EEE10hipError_tPvRmT3_T4_T5_T6_T7_T9_mT8_P12ihipStream_tbDpT10_ENKUlT_T0_E_clISt17integral_constantIbLb0EES1E_EEDaS19_S1A_EUlS19_E_NS1_11comp_targetILNS1_3genE3ELNS1_11target_archE908ELNS1_3gpuE7ELNS1_3repE0EEENS1_30default_config_static_selectorELNS0_4arch9wavefront6targetE0EEEvT1_,"axG",@progbits,_ZN7rocprim17ROCPRIM_400000_NS6detail17trampoline_kernelINS0_14default_configENS1_25partition_config_selectorILNS1_17partition_subalgoE8ElNS0_10empty_typeEbEEZZNS1_14partition_implILS5_8ELb0ES3_jPlPS6_PKS6_NS0_5tupleIJS9_S6_EEENSD_IJSA_SA_EEENS0_18inequality_wrapperIZN2at6native12_GLOBAL__N_124unique_dim_cuda_templateIN3c108BFloat16EEESt5tupleIJNSH_6TensorESO_SO_EERKSO_lbbbEUlllE0_EEPmJS6_EEE10hipError_tPvRmT3_T4_T5_T6_T7_T9_mT8_P12ihipStream_tbDpT10_ENKUlT_T0_E_clISt17integral_constantIbLb0EES1E_EEDaS19_S1A_EUlS19_E_NS1_11comp_targetILNS1_3genE3ELNS1_11target_archE908ELNS1_3gpuE7ELNS1_3repE0EEENS1_30default_config_static_selectorELNS0_4arch9wavefront6targetE0EEEvT1_,comdat
.Lfunc_end1176:
	.size	_ZN7rocprim17ROCPRIM_400000_NS6detail17trampoline_kernelINS0_14default_configENS1_25partition_config_selectorILNS1_17partition_subalgoE8ElNS0_10empty_typeEbEEZZNS1_14partition_implILS5_8ELb0ES3_jPlPS6_PKS6_NS0_5tupleIJS9_S6_EEENSD_IJSA_SA_EEENS0_18inequality_wrapperIZN2at6native12_GLOBAL__N_124unique_dim_cuda_templateIN3c108BFloat16EEESt5tupleIJNSH_6TensorESO_SO_EERKSO_lbbbEUlllE0_EEPmJS6_EEE10hipError_tPvRmT3_T4_T5_T6_T7_T9_mT8_P12ihipStream_tbDpT10_ENKUlT_T0_E_clISt17integral_constantIbLb0EES1E_EEDaS19_S1A_EUlS19_E_NS1_11comp_targetILNS1_3genE3ELNS1_11target_archE908ELNS1_3gpuE7ELNS1_3repE0EEENS1_30default_config_static_selectorELNS0_4arch9wavefront6targetE0EEEvT1_, .Lfunc_end1176-_ZN7rocprim17ROCPRIM_400000_NS6detail17trampoline_kernelINS0_14default_configENS1_25partition_config_selectorILNS1_17partition_subalgoE8ElNS0_10empty_typeEbEEZZNS1_14partition_implILS5_8ELb0ES3_jPlPS6_PKS6_NS0_5tupleIJS9_S6_EEENSD_IJSA_SA_EEENS0_18inequality_wrapperIZN2at6native12_GLOBAL__N_124unique_dim_cuda_templateIN3c108BFloat16EEESt5tupleIJNSH_6TensorESO_SO_EERKSO_lbbbEUlllE0_EEPmJS6_EEE10hipError_tPvRmT3_T4_T5_T6_T7_T9_mT8_P12ihipStream_tbDpT10_ENKUlT_T0_E_clISt17integral_constantIbLb0EES1E_EEDaS19_S1A_EUlS19_E_NS1_11comp_targetILNS1_3genE3ELNS1_11target_archE908ELNS1_3gpuE7ELNS1_3repE0EEENS1_30default_config_static_selectorELNS0_4arch9wavefront6targetE0EEEvT1_
                                        ; -- End function
	.section	.AMDGPU.csdata,"",@progbits
; Kernel info:
; codeLenInByte = 0
; NumSgprs: 0
; NumVgprs: 0
; ScratchSize: 0
; MemoryBound: 0
; FloatMode: 240
; IeeeMode: 1
; LDSByteSize: 0 bytes/workgroup (compile time only)
; SGPRBlocks: 0
; VGPRBlocks: 0
; NumSGPRsForWavesPerEU: 1
; NumVGPRsForWavesPerEU: 1
; Occupancy: 16
; WaveLimiterHint : 0
; COMPUTE_PGM_RSRC2:SCRATCH_EN: 0
; COMPUTE_PGM_RSRC2:USER_SGPR: 15
; COMPUTE_PGM_RSRC2:TRAP_HANDLER: 0
; COMPUTE_PGM_RSRC2:TGID_X_EN: 1
; COMPUTE_PGM_RSRC2:TGID_Y_EN: 0
; COMPUTE_PGM_RSRC2:TGID_Z_EN: 0
; COMPUTE_PGM_RSRC2:TIDIG_COMP_CNT: 0
	.section	.text._ZN7rocprim17ROCPRIM_400000_NS6detail17trampoline_kernelINS0_14default_configENS1_25partition_config_selectorILNS1_17partition_subalgoE8ElNS0_10empty_typeEbEEZZNS1_14partition_implILS5_8ELb0ES3_jPlPS6_PKS6_NS0_5tupleIJS9_S6_EEENSD_IJSA_SA_EEENS0_18inequality_wrapperIZN2at6native12_GLOBAL__N_124unique_dim_cuda_templateIN3c108BFloat16EEESt5tupleIJNSH_6TensorESO_SO_EERKSO_lbbbEUlllE0_EEPmJS6_EEE10hipError_tPvRmT3_T4_T5_T6_T7_T9_mT8_P12ihipStream_tbDpT10_ENKUlT_T0_E_clISt17integral_constantIbLb0EES1E_EEDaS19_S1A_EUlS19_E_NS1_11comp_targetILNS1_3genE2ELNS1_11target_archE906ELNS1_3gpuE6ELNS1_3repE0EEENS1_30default_config_static_selectorELNS0_4arch9wavefront6targetE0EEEvT1_,"axG",@progbits,_ZN7rocprim17ROCPRIM_400000_NS6detail17trampoline_kernelINS0_14default_configENS1_25partition_config_selectorILNS1_17partition_subalgoE8ElNS0_10empty_typeEbEEZZNS1_14partition_implILS5_8ELb0ES3_jPlPS6_PKS6_NS0_5tupleIJS9_S6_EEENSD_IJSA_SA_EEENS0_18inequality_wrapperIZN2at6native12_GLOBAL__N_124unique_dim_cuda_templateIN3c108BFloat16EEESt5tupleIJNSH_6TensorESO_SO_EERKSO_lbbbEUlllE0_EEPmJS6_EEE10hipError_tPvRmT3_T4_T5_T6_T7_T9_mT8_P12ihipStream_tbDpT10_ENKUlT_T0_E_clISt17integral_constantIbLb0EES1E_EEDaS19_S1A_EUlS19_E_NS1_11comp_targetILNS1_3genE2ELNS1_11target_archE906ELNS1_3gpuE6ELNS1_3repE0EEENS1_30default_config_static_selectorELNS0_4arch9wavefront6targetE0EEEvT1_,comdat
	.globl	_ZN7rocprim17ROCPRIM_400000_NS6detail17trampoline_kernelINS0_14default_configENS1_25partition_config_selectorILNS1_17partition_subalgoE8ElNS0_10empty_typeEbEEZZNS1_14partition_implILS5_8ELb0ES3_jPlPS6_PKS6_NS0_5tupleIJS9_S6_EEENSD_IJSA_SA_EEENS0_18inequality_wrapperIZN2at6native12_GLOBAL__N_124unique_dim_cuda_templateIN3c108BFloat16EEESt5tupleIJNSH_6TensorESO_SO_EERKSO_lbbbEUlllE0_EEPmJS6_EEE10hipError_tPvRmT3_T4_T5_T6_T7_T9_mT8_P12ihipStream_tbDpT10_ENKUlT_T0_E_clISt17integral_constantIbLb0EES1E_EEDaS19_S1A_EUlS19_E_NS1_11comp_targetILNS1_3genE2ELNS1_11target_archE906ELNS1_3gpuE6ELNS1_3repE0EEENS1_30default_config_static_selectorELNS0_4arch9wavefront6targetE0EEEvT1_ ; -- Begin function _ZN7rocprim17ROCPRIM_400000_NS6detail17trampoline_kernelINS0_14default_configENS1_25partition_config_selectorILNS1_17partition_subalgoE8ElNS0_10empty_typeEbEEZZNS1_14partition_implILS5_8ELb0ES3_jPlPS6_PKS6_NS0_5tupleIJS9_S6_EEENSD_IJSA_SA_EEENS0_18inequality_wrapperIZN2at6native12_GLOBAL__N_124unique_dim_cuda_templateIN3c108BFloat16EEESt5tupleIJNSH_6TensorESO_SO_EERKSO_lbbbEUlllE0_EEPmJS6_EEE10hipError_tPvRmT3_T4_T5_T6_T7_T9_mT8_P12ihipStream_tbDpT10_ENKUlT_T0_E_clISt17integral_constantIbLb0EES1E_EEDaS19_S1A_EUlS19_E_NS1_11comp_targetILNS1_3genE2ELNS1_11target_archE906ELNS1_3gpuE6ELNS1_3repE0EEENS1_30default_config_static_selectorELNS0_4arch9wavefront6targetE0EEEvT1_
	.p2align	8
	.type	_ZN7rocprim17ROCPRIM_400000_NS6detail17trampoline_kernelINS0_14default_configENS1_25partition_config_selectorILNS1_17partition_subalgoE8ElNS0_10empty_typeEbEEZZNS1_14partition_implILS5_8ELb0ES3_jPlPS6_PKS6_NS0_5tupleIJS9_S6_EEENSD_IJSA_SA_EEENS0_18inequality_wrapperIZN2at6native12_GLOBAL__N_124unique_dim_cuda_templateIN3c108BFloat16EEESt5tupleIJNSH_6TensorESO_SO_EERKSO_lbbbEUlllE0_EEPmJS6_EEE10hipError_tPvRmT3_T4_T5_T6_T7_T9_mT8_P12ihipStream_tbDpT10_ENKUlT_T0_E_clISt17integral_constantIbLb0EES1E_EEDaS19_S1A_EUlS19_E_NS1_11comp_targetILNS1_3genE2ELNS1_11target_archE906ELNS1_3gpuE6ELNS1_3repE0EEENS1_30default_config_static_selectorELNS0_4arch9wavefront6targetE0EEEvT1_,@function
_ZN7rocprim17ROCPRIM_400000_NS6detail17trampoline_kernelINS0_14default_configENS1_25partition_config_selectorILNS1_17partition_subalgoE8ElNS0_10empty_typeEbEEZZNS1_14partition_implILS5_8ELb0ES3_jPlPS6_PKS6_NS0_5tupleIJS9_S6_EEENSD_IJSA_SA_EEENS0_18inequality_wrapperIZN2at6native12_GLOBAL__N_124unique_dim_cuda_templateIN3c108BFloat16EEESt5tupleIJNSH_6TensorESO_SO_EERKSO_lbbbEUlllE0_EEPmJS6_EEE10hipError_tPvRmT3_T4_T5_T6_T7_T9_mT8_P12ihipStream_tbDpT10_ENKUlT_T0_E_clISt17integral_constantIbLb0EES1E_EEDaS19_S1A_EUlS19_E_NS1_11comp_targetILNS1_3genE2ELNS1_11target_archE906ELNS1_3gpuE6ELNS1_3repE0EEENS1_30default_config_static_selectorELNS0_4arch9wavefront6targetE0EEEvT1_: ; @_ZN7rocprim17ROCPRIM_400000_NS6detail17trampoline_kernelINS0_14default_configENS1_25partition_config_selectorILNS1_17partition_subalgoE8ElNS0_10empty_typeEbEEZZNS1_14partition_implILS5_8ELb0ES3_jPlPS6_PKS6_NS0_5tupleIJS9_S6_EEENSD_IJSA_SA_EEENS0_18inequality_wrapperIZN2at6native12_GLOBAL__N_124unique_dim_cuda_templateIN3c108BFloat16EEESt5tupleIJNSH_6TensorESO_SO_EERKSO_lbbbEUlllE0_EEPmJS6_EEE10hipError_tPvRmT3_T4_T5_T6_T7_T9_mT8_P12ihipStream_tbDpT10_ENKUlT_T0_E_clISt17integral_constantIbLb0EES1E_EEDaS19_S1A_EUlS19_E_NS1_11comp_targetILNS1_3genE2ELNS1_11target_archE906ELNS1_3gpuE6ELNS1_3repE0EEENS1_30default_config_static_selectorELNS0_4arch9wavefront6targetE0EEEvT1_
; %bb.0:
	.section	.rodata,"a",@progbits
	.p2align	6, 0x0
	.amdhsa_kernel _ZN7rocprim17ROCPRIM_400000_NS6detail17trampoline_kernelINS0_14default_configENS1_25partition_config_selectorILNS1_17partition_subalgoE8ElNS0_10empty_typeEbEEZZNS1_14partition_implILS5_8ELb0ES3_jPlPS6_PKS6_NS0_5tupleIJS9_S6_EEENSD_IJSA_SA_EEENS0_18inequality_wrapperIZN2at6native12_GLOBAL__N_124unique_dim_cuda_templateIN3c108BFloat16EEESt5tupleIJNSH_6TensorESO_SO_EERKSO_lbbbEUlllE0_EEPmJS6_EEE10hipError_tPvRmT3_T4_T5_T6_T7_T9_mT8_P12ihipStream_tbDpT10_ENKUlT_T0_E_clISt17integral_constantIbLb0EES1E_EEDaS19_S1A_EUlS19_E_NS1_11comp_targetILNS1_3genE2ELNS1_11target_archE906ELNS1_3gpuE6ELNS1_3repE0EEENS1_30default_config_static_selectorELNS0_4arch9wavefront6targetE0EEEvT1_
		.amdhsa_group_segment_fixed_size 0
		.amdhsa_private_segment_fixed_size 0
		.amdhsa_kernarg_size 120
		.amdhsa_user_sgpr_count 15
		.amdhsa_user_sgpr_dispatch_ptr 0
		.amdhsa_user_sgpr_queue_ptr 0
		.amdhsa_user_sgpr_kernarg_segment_ptr 1
		.amdhsa_user_sgpr_dispatch_id 0
		.amdhsa_user_sgpr_private_segment_size 0
		.amdhsa_wavefront_size32 1
		.amdhsa_uses_dynamic_stack 0
		.amdhsa_enable_private_segment 0
		.amdhsa_system_sgpr_workgroup_id_x 1
		.amdhsa_system_sgpr_workgroup_id_y 0
		.amdhsa_system_sgpr_workgroup_id_z 0
		.amdhsa_system_sgpr_workgroup_info 0
		.amdhsa_system_vgpr_workitem_id 0
		.amdhsa_next_free_vgpr 1
		.amdhsa_next_free_sgpr 1
		.amdhsa_reserve_vcc 0
		.amdhsa_float_round_mode_32 0
		.amdhsa_float_round_mode_16_64 0
		.amdhsa_float_denorm_mode_32 3
		.amdhsa_float_denorm_mode_16_64 3
		.amdhsa_dx10_clamp 1
		.amdhsa_ieee_mode 1
		.amdhsa_fp16_overflow 0
		.amdhsa_workgroup_processor_mode 1
		.amdhsa_memory_ordered 1
		.amdhsa_forward_progress 0
		.amdhsa_shared_vgpr_count 0
		.amdhsa_exception_fp_ieee_invalid_op 0
		.amdhsa_exception_fp_denorm_src 0
		.amdhsa_exception_fp_ieee_div_zero 0
		.amdhsa_exception_fp_ieee_overflow 0
		.amdhsa_exception_fp_ieee_underflow 0
		.amdhsa_exception_fp_ieee_inexact 0
		.amdhsa_exception_int_div_zero 0
	.end_amdhsa_kernel
	.section	.text._ZN7rocprim17ROCPRIM_400000_NS6detail17trampoline_kernelINS0_14default_configENS1_25partition_config_selectorILNS1_17partition_subalgoE8ElNS0_10empty_typeEbEEZZNS1_14partition_implILS5_8ELb0ES3_jPlPS6_PKS6_NS0_5tupleIJS9_S6_EEENSD_IJSA_SA_EEENS0_18inequality_wrapperIZN2at6native12_GLOBAL__N_124unique_dim_cuda_templateIN3c108BFloat16EEESt5tupleIJNSH_6TensorESO_SO_EERKSO_lbbbEUlllE0_EEPmJS6_EEE10hipError_tPvRmT3_T4_T5_T6_T7_T9_mT8_P12ihipStream_tbDpT10_ENKUlT_T0_E_clISt17integral_constantIbLb0EES1E_EEDaS19_S1A_EUlS19_E_NS1_11comp_targetILNS1_3genE2ELNS1_11target_archE906ELNS1_3gpuE6ELNS1_3repE0EEENS1_30default_config_static_selectorELNS0_4arch9wavefront6targetE0EEEvT1_,"axG",@progbits,_ZN7rocprim17ROCPRIM_400000_NS6detail17trampoline_kernelINS0_14default_configENS1_25partition_config_selectorILNS1_17partition_subalgoE8ElNS0_10empty_typeEbEEZZNS1_14partition_implILS5_8ELb0ES3_jPlPS6_PKS6_NS0_5tupleIJS9_S6_EEENSD_IJSA_SA_EEENS0_18inequality_wrapperIZN2at6native12_GLOBAL__N_124unique_dim_cuda_templateIN3c108BFloat16EEESt5tupleIJNSH_6TensorESO_SO_EERKSO_lbbbEUlllE0_EEPmJS6_EEE10hipError_tPvRmT3_T4_T5_T6_T7_T9_mT8_P12ihipStream_tbDpT10_ENKUlT_T0_E_clISt17integral_constantIbLb0EES1E_EEDaS19_S1A_EUlS19_E_NS1_11comp_targetILNS1_3genE2ELNS1_11target_archE906ELNS1_3gpuE6ELNS1_3repE0EEENS1_30default_config_static_selectorELNS0_4arch9wavefront6targetE0EEEvT1_,comdat
.Lfunc_end1177:
	.size	_ZN7rocprim17ROCPRIM_400000_NS6detail17trampoline_kernelINS0_14default_configENS1_25partition_config_selectorILNS1_17partition_subalgoE8ElNS0_10empty_typeEbEEZZNS1_14partition_implILS5_8ELb0ES3_jPlPS6_PKS6_NS0_5tupleIJS9_S6_EEENSD_IJSA_SA_EEENS0_18inequality_wrapperIZN2at6native12_GLOBAL__N_124unique_dim_cuda_templateIN3c108BFloat16EEESt5tupleIJNSH_6TensorESO_SO_EERKSO_lbbbEUlllE0_EEPmJS6_EEE10hipError_tPvRmT3_T4_T5_T6_T7_T9_mT8_P12ihipStream_tbDpT10_ENKUlT_T0_E_clISt17integral_constantIbLb0EES1E_EEDaS19_S1A_EUlS19_E_NS1_11comp_targetILNS1_3genE2ELNS1_11target_archE906ELNS1_3gpuE6ELNS1_3repE0EEENS1_30default_config_static_selectorELNS0_4arch9wavefront6targetE0EEEvT1_, .Lfunc_end1177-_ZN7rocprim17ROCPRIM_400000_NS6detail17trampoline_kernelINS0_14default_configENS1_25partition_config_selectorILNS1_17partition_subalgoE8ElNS0_10empty_typeEbEEZZNS1_14partition_implILS5_8ELb0ES3_jPlPS6_PKS6_NS0_5tupleIJS9_S6_EEENSD_IJSA_SA_EEENS0_18inequality_wrapperIZN2at6native12_GLOBAL__N_124unique_dim_cuda_templateIN3c108BFloat16EEESt5tupleIJNSH_6TensorESO_SO_EERKSO_lbbbEUlllE0_EEPmJS6_EEE10hipError_tPvRmT3_T4_T5_T6_T7_T9_mT8_P12ihipStream_tbDpT10_ENKUlT_T0_E_clISt17integral_constantIbLb0EES1E_EEDaS19_S1A_EUlS19_E_NS1_11comp_targetILNS1_3genE2ELNS1_11target_archE906ELNS1_3gpuE6ELNS1_3repE0EEENS1_30default_config_static_selectorELNS0_4arch9wavefront6targetE0EEEvT1_
                                        ; -- End function
	.section	.AMDGPU.csdata,"",@progbits
; Kernel info:
; codeLenInByte = 0
; NumSgprs: 0
; NumVgprs: 0
; ScratchSize: 0
; MemoryBound: 0
; FloatMode: 240
; IeeeMode: 1
; LDSByteSize: 0 bytes/workgroup (compile time only)
; SGPRBlocks: 0
; VGPRBlocks: 0
; NumSGPRsForWavesPerEU: 1
; NumVGPRsForWavesPerEU: 1
; Occupancy: 16
; WaveLimiterHint : 0
; COMPUTE_PGM_RSRC2:SCRATCH_EN: 0
; COMPUTE_PGM_RSRC2:USER_SGPR: 15
; COMPUTE_PGM_RSRC2:TRAP_HANDLER: 0
; COMPUTE_PGM_RSRC2:TGID_X_EN: 1
; COMPUTE_PGM_RSRC2:TGID_Y_EN: 0
; COMPUTE_PGM_RSRC2:TGID_Z_EN: 0
; COMPUTE_PGM_RSRC2:TIDIG_COMP_CNT: 0
	.section	.text._ZN7rocprim17ROCPRIM_400000_NS6detail17trampoline_kernelINS0_14default_configENS1_25partition_config_selectorILNS1_17partition_subalgoE8ElNS0_10empty_typeEbEEZZNS1_14partition_implILS5_8ELb0ES3_jPlPS6_PKS6_NS0_5tupleIJS9_S6_EEENSD_IJSA_SA_EEENS0_18inequality_wrapperIZN2at6native12_GLOBAL__N_124unique_dim_cuda_templateIN3c108BFloat16EEESt5tupleIJNSH_6TensorESO_SO_EERKSO_lbbbEUlllE0_EEPmJS6_EEE10hipError_tPvRmT3_T4_T5_T6_T7_T9_mT8_P12ihipStream_tbDpT10_ENKUlT_T0_E_clISt17integral_constantIbLb0EES1E_EEDaS19_S1A_EUlS19_E_NS1_11comp_targetILNS1_3genE10ELNS1_11target_archE1200ELNS1_3gpuE4ELNS1_3repE0EEENS1_30default_config_static_selectorELNS0_4arch9wavefront6targetE0EEEvT1_,"axG",@progbits,_ZN7rocprim17ROCPRIM_400000_NS6detail17trampoline_kernelINS0_14default_configENS1_25partition_config_selectorILNS1_17partition_subalgoE8ElNS0_10empty_typeEbEEZZNS1_14partition_implILS5_8ELb0ES3_jPlPS6_PKS6_NS0_5tupleIJS9_S6_EEENSD_IJSA_SA_EEENS0_18inequality_wrapperIZN2at6native12_GLOBAL__N_124unique_dim_cuda_templateIN3c108BFloat16EEESt5tupleIJNSH_6TensorESO_SO_EERKSO_lbbbEUlllE0_EEPmJS6_EEE10hipError_tPvRmT3_T4_T5_T6_T7_T9_mT8_P12ihipStream_tbDpT10_ENKUlT_T0_E_clISt17integral_constantIbLb0EES1E_EEDaS19_S1A_EUlS19_E_NS1_11comp_targetILNS1_3genE10ELNS1_11target_archE1200ELNS1_3gpuE4ELNS1_3repE0EEENS1_30default_config_static_selectorELNS0_4arch9wavefront6targetE0EEEvT1_,comdat
	.globl	_ZN7rocprim17ROCPRIM_400000_NS6detail17trampoline_kernelINS0_14default_configENS1_25partition_config_selectorILNS1_17partition_subalgoE8ElNS0_10empty_typeEbEEZZNS1_14partition_implILS5_8ELb0ES3_jPlPS6_PKS6_NS0_5tupleIJS9_S6_EEENSD_IJSA_SA_EEENS0_18inequality_wrapperIZN2at6native12_GLOBAL__N_124unique_dim_cuda_templateIN3c108BFloat16EEESt5tupleIJNSH_6TensorESO_SO_EERKSO_lbbbEUlllE0_EEPmJS6_EEE10hipError_tPvRmT3_T4_T5_T6_T7_T9_mT8_P12ihipStream_tbDpT10_ENKUlT_T0_E_clISt17integral_constantIbLb0EES1E_EEDaS19_S1A_EUlS19_E_NS1_11comp_targetILNS1_3genE10ELNS1_11target_archE1200ELNS1_3gpuE4ELNS1_3repE0EEENS1_30default_config_static_selectorELNS0_4arch9wavefront6targetE0EEEvT1_ ; -- Begin function _ZN7rocprim17ROCPRIM_400000_NS6detail17trampoline_kernelINS0_14default_configENS1_25partition_config_selectorILNS1_17partition_subalgoE8ElNS0_10empty_typeEbEEZZNS1_14partition_implILS5_8ELb0ES3_jPlPS6_PKS6_NS0_5tupleIJS9_S6_EEENSD_IJSA_SA_EEENS0_18inequality_wrapperIZN2at6native12_GLOBAL__N_124unique_dim_cuda_templateIN3c108BFloat16EEESt5tupleIJNSH_6TensorESO_SO_EERKSO_lbbbEUlllE0_EEPmJS6_EEE10hipError_tPvRmT3_T4_T5_T6_T7_T9_mT8_P12ihipStream_tbDpT10_ENKUlT_T0_E_clISt17integral_constantIbLb0EES1E_EEDaS19_S1A_EUlS19_E_NS1_11comp_targetILNS1_3genE10ELNS1_11target_archE1200ELNS1_3gpuE4ELNS1_3repE0EEENS1_30default_config_static_selectorELNS0_4arch9wavefront6targetE0EEEvT1_
	.p2align	8
	.type	_ZN7rocprim17ROCPRIM_400000_NS6detail17trampoline_kernelINS0_14default_configENS1_25partition_config_selectorILNS1_17partition_subalgoE8ElNS0_10empty_typeEbEEZZNS1_14partition_implILS5_8ELb0ES3_jPlPS6_PKS6_NS0_5tupleIJS9_S6_EEENSD_IJSA_SA_EEENS0_18inequality_wrapperIZN2at6native12_GLOBAL__N_124unique_dim_cuda_templateIN3c108BFloat16EEESt5tupleIJNSH_6TensorESO_SO_EERKSO_lbbbEUlllE0_EEPmJS6_EEE10hipError_tPvRmT3_T4_T5_T6_T7_T9_mT8_P12ihipStream_tbDpT10_ENKUlT_T0_E_clISt17integral_constantIbLb0EES1E_EEDaS19_S1A_EUlS19_E_NS1_11comp_targetILNS1_3genE10ELNS1_11target_archE1200ELNS1_3gpuE4ELNS1_3repE0EEENS1_30default_config_static_selectorELNS0_4arch9wavefront6targetE0EEEvT1_,@function
_ZN7rocprim17ROCPRIM_400000_NS6detail17trampoline_kernelINS0_14default_configENS1_25partition_config_selectorILNS1_17partition_subalgoE8ElNS0_10empty_typeEbEEZZNS1_14partition_implILS5_8ELb0ES3_jPlPS6_PKS6_NS0_5tupleIJS9_S6_EEENSD_IJSA_SA_EEENS0_18inequality_wrapperIZN2at6native12_GLOBAL__N_124unique_dim_cuda_templateIN3c108BFloat16EEESt5tupleIJNSH_6TensorESO_SO_EERKSO_lbbbEUlllE0_EEPmJS6_EEE10hipError_tPvRmT3_T4_T5_T6_T7_T9_mT8_P12ihipStream_tbDpT10_ENKUlT_T0_E_clISt17integral_constantIbLb0EES1E_EEDaS19_S1A_EUlS19_E_NS1_11comp_targetILNS1_3genE10ELNS1_11target_archE1200ELNS1_3gpuE4ELNS1_3repE0EEENS1_30default_config_static_selectorELNS0_4arch9wavefront6targetE0EEEvT1_: ; @_ZN7rocprim17ROCPRIM_400000_NS6detail17trampoline_kernelINS0_14default_configENS1_25partition_config_selectorILNS1_17partition_subalgoE8ElNS0_10empty_typeEbEEZZNS1_14partition_implILS5_8ELb0ES3_jPlPS6_PKS6_NS0_5tupleIJS9_S6_EEENSD_IJSA_SA_EEENS0_18inequality_wrapperIZN2at6native12_GLOBAL__N_124unique_dim_cuda_templateIN3c108BFloat16EEESt5tupleIJNSH_6TensorESO_SO_EERKSO_lbbbEUlllE0_EEPmJS6_EEE10hipError_tPvRmT3_T4_T5_T6_T7_T9_mT8_P12ihipStream_tbDpT10_ENKUlT_T0_E_clISt17integral_constantIbLb0EES1E_EEDaS19_S1A_EUlS19_E_NS1_11comp_targetILNS1_3genE10ELNS1_11target_archE1200ELNS1_3gpuE4ELNS1_3repE0EEENS1_30default_config_static_selectorELNS0_4arch9wavefront6targetE0EEEvT1_
; %bb.0:
	.section	.rodata,"a",@progbits
	.p2align	6, 0x0
	.amdhsa_kernel _ZN7rocprim17ROCPRIM_400000_NS6detail17trampoline_kernelINS0_14default_configENS1_25partition_config_selectorILNS1_17partition_subalgoE8ElNS0_10empty_typeEbEEZZNS1_14partition_implILS5_8ELb0ES3_jPlPS6_PKS6_NS0_5tupleIJS9_S6_EEENSD_IJSA_SA_EEENS0_18inequality_wrapperIZN2at6native12_GLOBAL__N_124unique_dim_cuda_templateIN3c108BFloat16EEESt5tupleIJNSH_6TensorESO_SO_EERKSO_lbbbEUlllE0_EEPmJS6_EEE10hipError_tPvRmT3_T4_T5_T6_T7_T9_mT8_P12ihipStream_tbDpT10_ENKUlT_T0_E_clISt17integral_constantIbLb0EES1E_EEDaS19_S1A_EUlS19_E_NS1_11comp_targetILNS1_3genE10ELNS1_11target_archE1200ELNS1_3gpuE4ELNS1_3repE0EEENS1_30default_config_static_selectorELNS0_4arch9wavefront6targetE0EEEvT1_
		.amdhsa_group_segment_fixed_size 0
		.amdhsa_private_segment_fixed_size 0
		.amdhsa_kernarg_size 120
		.amdhsa_user_sgpr_count 15
		.amdhsa_user_sgpr_dispatch_ptr 0
		.amdhsa_user_sgpr_queue_ptr 0
		.amdhsa_user_sgpr_kernarg_segment_ptr 1
		.amdhsa_user_sgpr_dispatch_id 0
		.amdhsa_user_sgpr_private_segment_size 0
		.amdhsa_wavefront_size32 1
		.amdhsa_uses_dynamic_stack 0
		.amdhsa_enable_private_segment 0
		.amdhsa_system_sgpr_workgroup_id_x 1
		.amdhsa_system_sgpr_workgroup_id_y 0
		.amdhsa_system_sgpr_workgroup_id_z 0
		.amdhsa_system_sgpr_workgroup_info 0
		.amdhsa_system_vgpr_workitem_id 0
		.amdhsa_next_free_vgpr 1
		.amdhsa_next_free_sgpr 1
		.amdhsa_reserve_vcc 0
		.amdhsa_float_round_mode_32 0
		.amdhsa_float_round_mode_16_64 0
		.amdhsa_float_denorm_mode_32 3
		.amdhsa_float_denorm_mode_16_64 3
		.amdhsa_dx10_clamp 1
		.amdhsa_ieee_mode 1
		.amdhsa_fp16_overflow 0
		.amdhsa_workgroup_processor_mode 1
		.amdhsa_memory_ordered 1
		.amdhsa_forward_progress 0
		.amdhsa_shared_vgpr_count 0
		.amdhsa_exception_fp_ieee_invalid_op 0
		.amdhsa_exception_fp_denorm_src 0
		.amdhsa_exception_fp_ieee_div_zero 0
		.amdhsa_exception_fp_ieee_overflow 0
		.amdhsa_exception_fp_ieee_underflow 0
		.amdhsa_exception_fp_ieee_inexact 0
		.amdhsa_exception_int_div_zero 0
	.end_amdhsa_kernel
	.section	.text._ZN7rocprim17ROCPRIM_400000_NS6detail17trampoline_kernelINS0_14default_configENS1_25partition_config_selectorILNS1_17partition_subalgoE8ElNS0_10empty_typeEbEEZZNS1_14partition_implILS5_8ELb0ES3_jPlPS6_PKS6_NS0_5tupleIJS9_S6_EEENSD_IJSA_SA_EEENS0_18inequality_wrapperIZN2at6native12_GLOBAL__N_124unique_dim_cuda_templateIN3c108BFloat16EEESt5tupleIJNSH_6TensorESO_SO_EERKSO_lbbbEUlllE0_EEPmJS6_EEE10hipError_tPvRmT3_T4_T5_T6_T7_T9_mT8_P12ihipStream_tbDpT10_ENKUlT_T0_E_clISt17integral_constantIbLb0EES1E_EEDaS19_S1A_EUlS19_E_NS1_11comp_targetILNS1_3genE10ELNS1_11target_archE1200ELNS1_3gpuE4ELNS1_3repE0EEENS1_30default_config_static_selectorELNS0_4arch9wavefront6targetE0EEEvT1_,"axG",@progbits,_ZN7rocprim17ROCPRIM_400000_NS6detail17trampoline_kernelINS0_14default_configENS1_25partition_config_selectorILNS1_17partition_subalgoE8ElNS0_10empty_typeEbEEZZNS1_14partition_implILS5_8ELb0ES3_jPlPS6_PKS6_NS0_5tupleIJS9_S6_EEENSD_IJSA_SA_EEENS0_18inequality_wrapperIZN2at6native12_GLOBAL__N_124unique_dim_cuda_templateIN3c108BFloat16EEESt5tupleIJNSH_6TensorESO_SO_EERKSO_lbbbEUlllE0_EEPmJS6_EEE10hipError_tPvRmT3_T4_T5_T6_T7_T9_mT8_P12ihipStream_tbDpT10_ENKUlT_T0_E_clISt17integral_constantIbLb0EES1E_EEDaS19_S1A_EUlS19_E_NS1_11comp_targetILNS1_3genE10ELNS1_11target_archE1200ELNS1_3gpuE4ELNS1_3repE0EEENS1_30default_config_static_selectorELNS0_4arch9wavefront6targetE0EEEvT1_,comdat
.Lfunc_end1178:
	.size	_ZN7rocprim17ROCPRIM_400000_NS6detail17trampoline_kernelINS0_14default_configENS1_25partition_config_selectorILNS1_17partition_subalgoE8ElNS0_10empty_typeEbEEZZNS1_14partition_implILS5_8ELb0ES3_jPlPS6_PKS6_NS0_5tupleIJS9_S6_EEENSD_IJSA_SA_EEENS0_18inequality_wrapperIZN2at6native12_GLOBAL__N_124unique_dim_cuda_templateIN3c108BFloat16EEESt5tupleIJNSH_6TensorESO_SO_EERKSO_lbbbEUlllE0_EEPmJS6_EEE10hipError_tPvRmT3_T4_T5_T6_T7_T9_mT8_P12ihipStream_tbDpT10_ENKUlT_T0_E_clISt17integral_constantIbLb0EES1E_EEDaS19_S1A_EUlS19_E_NS1_11comp_targetILNS1_3genE10ELNS1_11target_archE1200ELNS1_3gpuE4ELNS1_3repE0EEENS1_30default_config_static_selectorELNS0_4arch9wavefront6targetE0EEEvT1_, .Lfunc_end1178-_ZN7rocprim17ROCPRIM_400000_NS6detail17trampoline_kernelINS0_14default_configENS1_25partition_config_selectorILNS1_17partition_subalgoE8ElNS0_10empty_typeEbEEZZNS1_14partition_implILS5_8ELb0ES3_jPlPS6_PKS6_NS0_5tupleIJS9_S6_EEENSD_IJSA_SA_EEENS0_18inequality_wrapperIZN2at6native12_GLOBAL__N_124unique_dim_cuda_templateIN3c108BFloat16EEESt5tupleIJNSH_6TensorESO_SO_EERKSO_lbbbEUlllE0_EEPmJS6_EEE10hipError_tPvRmT3_T4_T5_T6_T7_T9_mT8_P12ihipStream_tbDpT10_ENKUlT_T0_E_clISt17integral_constantIbLb0EES1E_EEDaS19_S1A_EUlS19_E_NS1_11comp_targetILNS1_3genE10ELNS1_11target_archE1200ELNS1_3gpuE4ELNS1_3repE0EEENS1_30default_config_static_selectorELNS0_4arch9wavefront6targetE0EEEvT1_
                                        ; -- End function
	.section	.AMDGPU.csdata,"",@progbits
; Kernel info:
; codeLenInByte = 0
; NumSgprs: 0
; NumVgprs: 0
; ScratchSize: 0
; MemoryBound: 0
; FloatMode: 240
; IeeeMode: 1
; LDSByteSize: 0 bytes/workgroup (compile time only)
; SGPRBlocks: 0
; VGPRBlocks: 0
; NumSGPRsForWavesPerEU: 1
; NumVGPRsForWavesPerEU: 1
; Occupancy: 15
; WaveLimiterHint : 0
; COMPUTE_PGM_RSRC2:SCRATCH_EN: 0
; COMPUTE_PGM_RSRC2:USER_SGPR: 15
; COMPUTE_PGM_RSRC2:TRAP_HANDLER: 0
; COMPUTE_PGM_RSRC2:TGID_X_EN: 1
; COMPUTE_PGM_RSRC2:TGID_Y_EN: 0
; COMPUTE_PGM_RSRC2:TGID_Z_EN: 0
; COMPUTE_PGM_RSRC2:TIDIG_COMP_CNT: 0
	.section	.text._ZN7rocprim17ROCPRIM_400000_NS6detail17trampoline_kernelINS0_14default_configENS1_25partition_config_selectorILNS1_17partition_subalgoE8ElNS0_10empty_typeEbEEZZNS1_14partition_implILS5_8ELb0ES3_jPlPS6_PKS6_NS0_5tupleIJS9_S6_EEENSD_IJSA_SA_EEENS0_18inequality_wrapperIZN2at6native12_GLOBAL__N_124unique_dim_cuda_templateIN3c108BFloat16EEESt5tupleIJNSH_6TensorESO_SO_EERKSO_lbbbEUlllE0_EEPmJS6_EEE10hipError_tPvRmT3_T4_T5_T6_T7_T9_mT8_P12ihipStream_tbDpT10_ENKUlT_T0_E_clISt17integral_constantIbLb0EES1E_EEDaS19_S1A_EUlS19_E_NS1_11comp_targetILNS1_3genE9ELNS1_11target_archE1100ELNS1_3gpuE3ELNS1_3repE0EEENS1_30default_config_static_selectorELNS0_4arch9wavefront6targetE0EEEvT1_,"axG",@progbits,_ZN7rocprim17ROCPRIM_400000_NS6detail17trampoline_kernelINS0_14default_configENS1_25partition_config_selectorILNS1_17partition_subalgoE8ElNS0_10empty_typeEbEEZZNS1_14partition_implILS5_8ELb0ES3_jPlPS6_PKS6_NS0_5tupleIJS9_S6_EEENSD_IJSA_SA_EEENS0_18inequality_wrapperIZN2at6native12_GLOBAL__N_124unique_dim_cuda_templateIN3c108BFloat16EEESt5tupleIJNSH_6TensorESO_SO_EERKSO_lbbbEUlllE0_EEPmJS6_EEE10hipError_tPvRmT3_T4_T5_T6_T7_T9_mT8_P12ihipStream_tbDpT10_ENKUlT_T0_E_clISt17integral_constantIbLb0EES1E_EEDaS19_S1A_EUlS19_E_NS1_11comp_targetILNS1_3genE9ELNS1_11target_archE1100ELNS1_3gpuE3ELNS1_3repE0EEENS1_30default_config_static_selectorELNS0_4arch9wavefront6targetE0EEEvT1_,comdat
	.globl	_ZN7rocprim17ROCPRIM_400000_NS6detail17trampoline_kernelINS0_14default_configENS1_25partition_config_selectorILNS1_17partition_subalgoE8ElNS0_10empty_typeEbEEZZNS1_14partition_implILS5_8ELb0ES3_jPlPS6_PKS6_NS0_5tupleIJS9_S6_EEENSD_IJSA_SA_EEENS0_18inequality_wrapperIZN2at6native12_GLOBAL__N_124unique_dim_cuda_templateIN3c108BFloat16EEESt5tupleIJNSH_6TensorESO_SO_EERKSO_lbbbEUlllE0_EEPmJS6_EEE10hipError_tPvRmT3_T4_T5_T6_T7_T9_mT8_P12ihipStream_tbDpT10_ENKUlT_T0_E_clISt17integral_constantIbLb0EES1E_EEDaS19_S1A_EUlS19_E_NS1_11comp_targetILNS1_3genE9ELNS1_11target_archE1100ELNS1_3gpuE3ELNS1_3repE0EEENS1_30default_config_static_selectorELNS0_4arch9wavefront6targetE0EEEvT1_ ; -- Begin function _ZN7rocprim17ROCPRIM_400000_NS6detail17trampoline_kernelINS0_14default_configENS1_25partition_config_selectorILNS1_17partition_subalgoE8ElNS0_10empty_typeEbEEZZNS1_14partition_implILS5_8ELb0ES3_jPlPS6_PKS6_NS0_5tupleIJS9_S6_EEENSD_IJSA_SA_EEENS0_18inequality_wrapperIZN2at6native12_GLOBAL__N_124unique_dim_cuda_templateIN3c108BFloat16EEESt5tupleIJNSH_6TensorESO_SO_EERKSO_lbbbEUlllE0_EEPmJS6_EEE10hipError_tPvRmT3_T4_T5_T6_T7_T9_mT8_P12ihipStream_tbDpT10_ENKUlT_T0_E_clISt17integral_constantIbLb0EES1E_EEDaS19_S1A_EUlS19_E_NS1_11comp_targetILNS1_3genE9ELNS1_11target_archE1100ELNS1_3gpuE3ELNS1_3repE0EEENS1_30default_config_static_selectorELNS0_4arch9wavefront6targetE0EEEvT1_
	.p2align	8
	.type	_ZN7rocprim17ROCPRIM_400000_NS6detail17trampoline_kernelINS0_14default_configENS1_25partition_config_selectorILNS1_17partition_subalgoE8ElNS0_10empty_typeEbEEZZNS1_14partition_implILS5_8ELb0ES3_jPlPS6_PKS6_NS0_5tupleIJS9_S6_EEENSD_IJSA_SA_EEENS0_18inequality_wrapperIZN2at6native12_GLOBAL__N_124unique_dim_cuda_templateIN3c108BFloat16EEESt5tupleIJNSH_6TensorESO_SO_EERKSO_lbbbEUlllE0_EEPmJS6_EEE10hipError_tPvRmT3_T4_T5_T6_T7_T9_mT8_P12ihipStream_tbDpT10_ENKUlT_T0_E_clISt17integral_constantIbLb0EES1E_EEDaS19_S1A_EUlS19_E_NS1_11comp_targetILNS1_3genE9ELNS1_11target_archE1100ELNS1_3gpuE3ELNS1_3repE0EEENS1_30default_config_static_selectorELNS0_4arch9wavefront6targetE0EEEvT1_,@function
_ZN7rocprim17ROCPRIM_400000_NS6detail17trampoline_kernelINS0_14default_configENS1_25partition_config_selectorILNS1_17partition_subalgoE8ElNS0_10empty_typeEbEEZZNS1_14partition_implILS5_8ELb0ES3_jPlPS6_PKS6_NS0_5tupleIJS9_S6_EEENSD_IJSA_SA_EEENS0_18inequality_wrapperIZN2at6native12_GLOBAL__N_124unique_dim_cuda_templateIN3c108BFloat16EEESt5tupleIJNSH_6TensorESO_SO_EERKSO_lbbbEUlllE0_EEPmJS6_EEE10hipError_tPvRmT3_T4_T5_T6_T7_T9_mT8_P12ihipStream_tbDpT10_ENKUlT_T0_E_clISt17integral_constantIbLb0EES1E_EEDaS19_S1A_EUlS19_E_NS1_11comp_targetILNS1_3genE9ELNS1_11target_archE1100ELNS1_3gpuE3ELNS1_3repE0EEENS1_30default_config_static_selectorELNS0_4arch9wavefront6targetE0EEEvT1_: ; @_ZN7rocprim17ROCPRIM_400000_NS6detail17trampoline_kernelINS0_14default_configENS1_25partition_config_selectorILNS1_17partition_subalgoE8ElNS0_10empty_typeEbEEZZNS1_14partition_implILS5_8ELb0ES3_jPlPS6_PKS6_NS0_5tupleIJS9_S6_EEENSD_IJSA_SA_EEENS0_18inequality_wrapperIZN2at6native12_GLOBAL__N_124unique_dim_cuda_templateIN3c108BFloat16EEESt5tupleIJNSH_6TensorESO_SO_EERKSO_lbbbEUlllE0_EEPmJS6_EEE10hipError_tPvRmT3_T4_T5_T6_T7_T9_mT8_P12ihipStream_tbDpT10_ENKUlT_T0_E_clISt17integral_constantIbLb0EES1E_EEDaS19_S1A_EUlS19_E_NS1_11comp_targetILNS1_3genE9ELNS1_11target_archE1100ELNS1_3gpuE3ELNS1_3repE0EEENS1_30default_config_static_selectorELNS0_4arch9wavefront6targetE0EEEvT1_
; %bb.0:
	s_clause 0x3
	s_load_b128 s[4:7], s[0:1], 0x8
	s_load_b256 s[16:23], s[0:1], 0x40
	s_load_b32 s14, s[0:1], 0x70
	s_load_b128 s[8:11], s[0:1], 0x60
	s_mov_b32 s3, 0
	v_lshlrev_b32_e32 v39, 3, v0
	v_lshrrev_b32_e32 v17, 2, v0
	v_or_b32_e32 v24, 0x200, v0
	v_or_b32_e32 v22, 0x400, v0
	;; [unrolled: 1-line block ×7, first 2 shown]
	s_waitcnt lgkmcnt(0)
	s_lshl_b64 s[24:25], s[6:7], 3
	s_load_b64 s[12:13], s[18:19], 0x0
	s_add_u32 s26, s4, s24
	s_addc_u32 s5, s5, s25
	s_add_i32 s24, s14, -1
	s_lshl_b32 s14, s14, 12
	s_lshl_b32 s4, s24, 12
	;; [unrolled: 1-line block ×3, first 2 shown]
	s_add_i32 s4, s6, s4
	s_add_u32 s18, s6, s14
	s_addc_u32 s19, s7, 0
	s_cmp_eq_u32 s15, s24
	v_cmp_ge_u64_e64 s18, s[18:19], s[20:21]
	s_cselect_b32 s14, -1, 0
	s_lshl_b64 s[2:3], s[2:3], 3
	s_delay_alu instid0(VALU_DEP_1) | instskip(NEXT) | instid1(SALU_CYCLE_1)
	s_and_b32 s24, s14, s18
	s_xor_b32 s21, s24, -1
	s_add_u32 s2, s26, s2
	s_addc_u32 s3, s5, s3
	s_and_b32 vcc_lo, exec_lo, s21
	s_mov_b32 s5, -1
	s_cbranch_vccz .LBB1179_2
; %bb.1:
	v_add_co_u32 v9, s5, s2, v39
	s_delay_alu instid0(VALU_DEP_1)
	v_add_co_ci_u32_e64 v10, null, s3, 0, s5
	global_load_b64 v[1:2], v39, s[2:3]
	v_add_co_u32 v3, vcc_lo, v9, 0x2000
	v_add_co_ci_u32_e32 v4, vcc_lo, 0, v10, vcc_lo
	v_add_co_u32 v5, vcc_lo, v9, 0x4000
	v_add_co_ci_u32_e32 v6, vcc_lo, 0, v10, vcc_lo
	;; [unrolled: 2-line block ×4, first 2 shown]
	s_clause 0x6
	global_load_b64 v[11:12], v[3:4], off offset:-4096
	global_load_b64 v[3:4], v[3:4], off
	global_load_b64 v[13:14], v[5:6], off offset:-4096
	global_load_b64 v[5:6], v[5:6], off
	;; [unrolled: 2-line block ×3, first 2 shown]
	global_load_b64 v[9:10], v[9:10], off
	v_lshrrev_b32_e32 v26, 2, v24
	v_lshrrev_b32_e32 v27, 2, v22
	;; [unrolled: 1-line block ×4, first 2 shown]
	v_and_b32_e32 v25, 0x78, v17
	v_lshrrev_b32_e32 v30, 2, v20
	v_lshrrev_b32_e32 v31, 2, v19
	v_lshrrev_b32_e32 v32, 2, v18
	v_and_b32_e32 v26, 0xf8, v26
	v_and_b32_e32 v27, 0x178, v27
	;; [unrolled: 1-line block ×4, first 2 shown]
	v_add_nc_u32_e32 v25, v25, v39
	v_and_b32_e32 v30, 0x2f8, v30
	v_and_b32_e32 v31, 0x378, v31
	;; [unrolled: 1-line block ×3, first 2 shown]
	v_add_nc_u32_e32 v26, v26, v39
	v_add_nc_u32_e32 v27, v27, v39
	;; [unrolled: 1-line block ×4, first 2 shown]
	s_mov_b32 s5, 0
	v_add_nc_u32_e32 v30, v30, v39
	v_add_nc_u32_e32 v31, v31, v39
	;; [unrolled: 1-line block ×3, first 2 shown]
	s_waitcnt vmcnt(7)
	ds_store_b64 v25, v[1:2]
	s_waitcnt vmcnt(6)
	ds_store_b64 v26, v[11:12] offset:4096
	s_waitcnt vmcnt(5)
	ds_store_b64 v27, v[3:4] offset:8192
	;; [unrolled: 2-line block ×7, first 2 shown]
	s_waitcnt lgkmcnt(0)
	s_barrier
.LBB1179_2:
	s_and_not1_b32 vcc_lo, exec_lo, s5
	s_sub_i32 s20, s20, s4
	s_cbranch_vccnz .LBB1179_13
; %bb.3:
	s_mov_b32 s4, exec_lo
                                        ; implicit-def: $vgpr1_vgpr2_vgpr3_vgpr4_vgpr5_vgpr6_vgpr7_vgpr8_vgpr9_vgpr10_vgpr11_vgpr12_vgpr13_vgpr14_vgpr15_vgpr16
	v_cmpx_gt_u32_e64 s20, v0
	s_cbranch_execnz .LBB1179_23
; %bb.4:
	s_or_b32 exec_lo, exec_lo, s4
	s_delay_alu instid0(SALU_CYCLE_1)
	s_mov_b32 s4, exec_lo
	v_cmpx_gt_u32_e64 s20, v24
	s_cbranch_execnz .LBB1179_24
.LBB1179_5:
	s_or_b32 exec_lo, exec_lo, s4
	s_delay_alu instid0(SALU_CYCLE_1)
	s_mov_b32 s4, exec_lo
	v_cmpx_gt_u32_e64 s20, v22
	s_cbranch_execnz .LBB1179_25
.LBB1179_6:
	s_or_b32 exec_lo, exec_lo, s4
	s_delay_alu instid0(SALU_CYCLE_1)
	s_mov_b32 s4, exec_lo
	v_cmpx_gt_u32_e64 s20, v23
	s_cbranch_execnz .LBB1179_26
.LBB1179_7:
	s_or_b32 exec_lo, exec_lo, s4
	s_delay_alu instid0(SALU_CYCLE_1)
	s_mov_b32 s4, exec_lo
	v_cmpx_gt_u32_e64 s20, v21
	s_cbranch_execnz .LBB1179_27
.LBB1179_8:
	s_or_b32 exec_lo, exec_lo, s4
	s_delay_alu instid0(SALU_CYCLE_1)
	s_mov_b32 s4, exec_lo
	v_cmpx_gt_u32_e64 s20, v20
	s_cbranch_execnz .LBB1179_28
.LBB1179_9:
	s_or_b32 exec_lo, exec_lo, s4
	s_delay_alu instid0(SALU_CYCLE_1)
	s_mov_b32 s4, exec_lo
	v_cmpx_gt_u32_e64 s20, v19
	s_cbranch_execnz .LBB1179_29
.LBB1179_10:
	s_or_b32 exec_lo, exec_lo, s4
	s_delay_alu instid0(SALU_CYCLE_1)
	s_mov_b32 s4, exec_lo
	v_cmpx_gt_u32_e64 s20, v18
	s_cbranch_execz .LBB1179_12
.LBB1179_11:
	v_lshlrev_b32_e32 v15, 3, v18
	global_load_b64 v[15:16], v15, s[2:3]
.LBB1179_12:
	s_or_b32 exec_lo, exec_lo, s4
	v_lshrrev_b32_e32 v24, 2, v24
	v_lshrrev_b32_e32 v22, 2, v22
	;; [unrolled: 1-line block ×4, first 2 shown]
	v_and_b32_e32 v25, 0x78, v17
	v_lshrrev_b32_e32 v20, 2, v20
	v_lshrrev_b32_e32 v19, 2, v19
	;; [unrolled: 1-line block ×3, first 2 shown]
	v_and_b32_e32 v24, 0xf8, v24
	v_and_b32_e32 v22, 0x1f8, v22
	;; [unrolled: 1-line block ×4, first 2 shown]
	v_add_nc_u32_e32 v25, v25, v39
	v_and_b32_e32 v20, 0x3f8, v20
	v_and_b32_e32 v19, 0x3f8, v19
	;; [unrolled: 1-line block ×3, first 2 shown]
	v_add_nc_u32_e32 v24, v24, v39
	v_add_nc_u32_e32 v22, v22, v39
	;; [unrolled: 1-line block ×7, first 2 shown]
	s_waitcnt vmcnt(0)
	ds_store_b64 v25, v[1:2]
	ds_store_b64 v24, v[3:4] offset:4096
	ds_store_b64 v22, v[5:6] offset:8192
	;; [unrolled: 1-line block ×7, first 2 shown]
	s_waitcnt lgkmcnt(0)
	s_barrier
.LBB1179_13:
	v_add_lshl_u32 v1, v17, v39, 3
	s_waitcnt lgkmcnt(0)
	buffer_gl0_inv
	s_cmp_lg_u32 s15, 0
	v_cmp_gt_i64_e64 s26, s[22:23], 0
	s_cselect_b32 s25, -1, 0
	ds_load_2addr_b64 v[13:16], v1 offset1:1
	ds_load_2addr_b64 v[9:12], v1 offset0:2 offset1:3
	ds_load_2addr_b64 v[5:8], v1 offset0:4 offset1:5
	;; [unrolled: 1-line block ×3, first 2 shown]
	s_cmp_lg_u64 s[6:7], 0
	s_mov_b32 s18, 0
	s_cselect_b32 s4, -1, 0
	s_waitcnt lgkmcnt(0)
	s_or_b32 s4, s25, s4
	s_barrier
	s_and_b32 vcc_lo, exec_lo, s4
	buffer_gl0_inv
	s_cbranch_vccz .LBB1179_22
; %bb.14:
	s_add_u32 s2, s2, -8
	s_addc_u32 s3, s3, -1
	v_cndmask_b32_e64 v25, 0, 1, s26
	s_load_b64 s[4:5], s[2:3], 0x0
	s_and_b32 vcc_lo, exec_lo, s21
	ds_store_b64 v39, v[3:4]
	v_cmp_ne_u32_e64 s2, 1, v25
	s_cbranch_vccz .LBB1179_30
; %bb.15:
	v_mul_lo_u32 v19, v2, s22
	v_mul_lo_u32 v20, v1, s23
	v_mad_u64_u32 v[17:18], null, v1, s22, 0
	s_mov_b32 s3, 0
	s_and_b32 vcc_lo, exec_lo, s2
	s_mov_b32 s27, 0
	s_delay_alu instid0(VALU_DEP_1) | instskip(NEXT) | instid1(VALU_DEP_1)
	v_add3_u32 v18, v18, v20, v19
	v_lshlrev_b64 v[17:18], 1, v[17:18]
	s_cbranch_vccnz .LBB1179_33
; %bb.16:
	v_mul_lo_u32 v21, v4, s22
	v_mul_lo_u32 v22, v3, s23
	v_mad_u64_u32 v[19:20], null, v3, s22, 0
	s_mov_b32 s27, -1
	s_mov_b32 s28, exec_lo
	s_delay_alu instid0(VALU_DEP_1) | instskip(NEXT) | instid1(VALU_DEP_1)
	v_add3_u32 v20, v20, v22, v21
	v_lshlrev_b64 v[19:20], 1, v[19:20]
	s_delay_alu instid0(VALU_DEP_1) | instskip(NEXT) | instid1(VALU_DEP_2)
	v_add_co_u32 v19, vcc_lo, s8, v19
	v_add_co_ci_u32_e32 v20, vcc_lo, s9, v20, vcc_lo
	v_add_co_u32 v21, vcc_lo, s8, v17
	v_add_co_ci_u32_e32 v22, vcc_lo, s9, v18, vcc_lo
	s_clause 0x1
	global_load_u16 v23, v[19:20], off
	global_load_u16 v24, v[21:22], off
	s_waitcnt vmcnt(1)
	v_lshlrev_b32_e32 v23, 16, v23
	s_waitcnt vmcnt(0)
	v_lshlrev_b32_e32 v24, 16, v24
	s_delay_alu instid0(VALU_DEP_1)
	v_cmpx_eq_f32_e32 v24, v23
	s_cbranch_execz .LBB1179_32
; %bb.17:
	v_add_co_u32 v19, vcc_lo, v19, 2
	v_add_co_ci_u32_e32 v20, vcc_lo, 0, v20, vcc_lo
	v_add_co_u32 v21, vcc_lo, v21, 2
	v_add_co_ci_u32_e32 v22, vcc_lo, 0, v22, vcc_lo
	s_add_u32 s6, s22, -1
	s_addc_u32 s7, s23, -1
	s_mov_b64 s[18:19], 0
	s_mov_b32 s27, 0
                                        ; implicit-def: $sgpr29
	s_set_inst_prefetch_distance 0x1
	s_branch .LBB1179_20
	.p2align	6
.LBB1179_18:                            ;   in Loop: Header=BB1179_20 Depth=1
	global_load_u16 v23, v[19:20], off
	global_load_u16 v24, v[21:22], off
	v_add_co_u32 v19, vcc_lo, v19, 2
	v_add_co_ci_u32_e32 v20, vcc_lo, 0, v20, vcc_lo
	v_add_co_u32 v21, s2, v21, 2
	s_delay_alu instid0(VALU_DEP_1)
	v_add_co_ci_u32_e64 v22, s2, 0, v22, s2
	s_add_u32 s18, s18, 1
	s_addc_u32 s19, s19, 0
	s_and_not1_b32 s2, s29, exec_lo
	s_waitcnt vmcnt(1)
	v_lshlrev_b32_e32 v23, 16, v23
	s_waitcnt vmcnt(0)
	v_lshlrev_b32_e32 v24, 16, v24
	s_delay_alu instid0(VALU_DEP_1) | instskip(SKIP_1) | instid1(SALU_CYCLE_1)
	v_cmp_neq_f32_e32 vcc_lo, v24, v23
	s_and_b32 s29, vcc_lo, exec_lo
	s_or_b32 s29, s2, s29
.LBB1179_19:                            ;   in Loop: Header=BB1179_20 Depth=1
	v_dual_mov_b32 v24, s19 :: v_dual_mov_b32 v23, s18
	s_and_b32 s2, exec_lo, s29
	s_delay_alu instid0(SALU_CYCLE_1) | instskip(NEXT) | instid1(SALU_CYCLE_1)
	s_or_b32 s27, s2, s27
	s_and_not1_b32 exec_lo, exec_lo, s27
	s_cbranch_execz .LBB1179_31
.LBB1179_20:                            ; =>This Inner Loop Header: Depth=1
	s_or_b32 s29, s29, exec_lo
	s_cmp_eq_u64 s[6:7], s[18:19]
	s_cbranch_scc0 .LBB1179_18
; %bb.21:                               ;   in Loop: Header=BB1179_20 Depth=1
	s_mov_b64 s[18:19], s[22:23]
                                        ; implicit-def: $vgpr19_vgpr20
                                        ; implicit-def: $vgpr21_vgpr22
	s_branch .LBB1179_19
.LBB1179_22:
                                        ; implicit-def: $sgpr2
                                        ; implicit-def: $vgpr18
	s_branch .LBB1179_191
.LBB1179_23:
	global_load_b64 v[1:2], v39, s[2:3]
	s_or_b32 exec_lo, exec_lo, s4
	s_delay_alu instid0(SALU_CYCLE_1)
	s_mov_b32 s4, exec_lo
	v_cmpx_gt_u32_e64 s20, v24
	s_cbranch_execz .LBB1179_5
.LBB1179_24:
	v_lshlrev_b32_e32 v3, 3, v24
	global_load_b64 v[3:4], v3, s[2:3]
	s_or_b32 exec_lo, exec_lo, s4
	s_delay_alu instid0(SALU_CYCLE_1)
	s_mov_b32 s4, exec_lo
	v_cmpx_gt_u32_e64 s20, v22
	s_cbranch_execz .LBB1179_6
.LBB1179_25:
	v_lshlrev_b32_e32 v5, 3, v22
	global_load_b64 v[5:6], v5, s[2:3]
	s_or_b32 exec_lo, exec_lo, s4
	s_delay_alu instid0(SALU_CYCLE_1)
	s_mov_b32 s4, exec_lo
	v_cmpx_gt_u32_e64 s20, v23
	s_cbranch_execz .LBB1179_7
.LBB1179_26:
	v_lshlrev_b32_e32 v7, 3, v23
	global_load_b64 v[7:8], v7, s[2:3]
	s_or_b32 exec_lo, exec_lo, s4
	s_delay_alu instid0(SALU_CYCLE_1)
	s_mov_b32 s4, exec_lo
	v_cmpx_gt_u32_e64 s20, v21
	s_cbranch_execz .LBB1179_8
.LBB1179_27:
	v_lshlrev_b32_e32 v9, 3, v21
	global_load_b64 v[9:10], v9, s[2:3]
	s_or_b32 exec_lo, exec_lo, s4
	s_delay_alu instid0(SALU_CYCLE_1)
	s_mov_b32 s4, exec_lo
	v_cmpx_gt_u32_e64 s20, v20
	s_cbranch_execz .LBB1179_9
.LBB1179_28:
	v_lshlrev_b32_e32 v11, 3, v20
	global_load_b64 v[11:12], v11, s[2:3]
	s_or_b32 exec_lo, exec_lo, s4
	s_delay_alu instid0(SALU_CYCLE_1)
	s_mov_b32 s4, exec_lo
	v_cmpx_gt_u32_e64 s20, v19
	s_cbranch_execz .LBB1179_10
.LBB1179_29:
	v_lshlrev_b32_e32 v13, 3, v19
	global_load_b64 v[13:14], v13, s[2:3]
	s_or_b32 exec_lo, exec_lo, s4
	s_delay_alu instid0(SALU_CYCLE_1)
	s_mov_b32 s4, exec_lo
	v_cmpx_gt_u32_e64 s20, v18
	s_cbranch_execnz .LBB1179_11
	s_branch .LBB1179_12
.LBB1179_30:
                                        ; implicit-def: $sgpr2
                                        ; implicit-def: $vgpr18
	s_cbranch_execnz .LBB1179_99
	s_branch .LBB1179_190
.LBB1179_31:
	s_set_inst_prefetch_distance 0x2
	s_or_b32 exec_lo, exec_lo, s27
	v_cmp_gt_i64_e32 vcc_lo, s[22:23], v[23:24]
	s_or_not1_b32 s27, vcc_lo, exec_lo
.LBB1179_32:
	s_or_b32 exec_lo, exec_lo, s28
.LBB1179_33:
	v_mul_lo_u32 v21, v8, s22
	v_mul_lo_u32 v22, v7, s23
	v_mad_u64_u32 v[19:20], null, v7, s22, 0
	s_and_not1_b32 vcc_lo, exec_lo, s26
	s_delay_alu instid0(VALU_DEP_1) | instskip(NEXT) | instid1(VALU_DEP_1)
	v_add3_u32 v20, v20, v22, v21
	v_lshlrev_b64 v[19:20], 1, v[19:20]
	s_cbranch_vccnz .LBB1179_42
; %bb.34:
	v_add_co_u32 v17, vcc_lo, s8, v17
	v_add_co_ci_u32_e32 v18, vcc_lo, s9, v18, vcc_lo
	s_delay_alu instid0(VALU_DEP_3) | instskip(NEXT) | instid1(VALU_DEP_4)
	v_add_co_u32 v21, vcc_lo, s8, v19
	v_add_co_ci_u32_e32 v22, vcc_lo, s9, v20, vcc_lo
	s_mov_b32 s3, -1
	s_clause 0x1
	global_load_u16 v23, v[17:18], off
	global_load_u16 v24, v[21:22], off
	s_mov_b32 s28, exec_lo
	s_waitcnt vmcnt(1)
	v_lshlrev_b32_e32 v23, 16, v23
	s_waitcnt vmcnt(0)
	v_lshlrev_b32_e32 v24, 16, v24
	s_delay_alu instid0(VALU_DEP_1)
	v_cmpx_eq_f32_e32 v24, v23
	s_cbranch_execz .LBB1179_41
; %bb.35:
	v_add_co_u32 v17, vcc_lo, v17, 2
	v_add_co_ci_u32_e32 v18, vcc_lo, 0, v18, vcc_lo
	v_add_co_u32 v21, vcc_lo, v21, 2
	v_add_co_ci_u32_e32 v22, vcc_lo, 0, v22, vcc_lo
	s_add_u32 s6, s22, -1
	s_addc_u32 s7, s23, -1
	s_mov_b64 s[18:19], 0
	s_mov_b32 s3, 0
                                        ; implicit-def: $sgpr29
	s_set_inst_prefetch_distance 0x1
	s_branch .LBB1179_38
	.p2align	6
.LBB1179_36:                            ;   in Loop: Header=BB1179_38 Depth=1
	global_load_u16 v23, v[17:18], off
	global_load_u16 v24, v[21:22], off
	v_add_co_u32 v17, vcc_lo, v17, 2
	v_add_co_ci_u32_e32 v18, vcc_lo, 0, v18, vcc_lo
	v_add_co_u32 v21, s2, v21, 2
	s_delay_alu instid0(VALU_DEP_1)
	v_add_co_ci_u32_e64 v22, s2, 0, v22, s2
	s_add_u32 s18, s18, 1
	s_addc_u32 s19, s19, 0
	s_and_not1_b32 s2, s29, exec_lo
	s_waitcnt vmcnt(1)
	v_lshlrev_b32_e32 v23, 16, v23
	s_waitcnt vmcnt(0)
	v_lshlrev_b32_e32 v24, 16, v24
	s_delay_alu instid0(VALU_DEP_1) | instskip(SKIP_1) | instid1(SALU_CYCLE_1)
	v_cmp_neq_f32_e32 vcc_lo, v24, v23
	s_and_b32 s29, vcc_lo, exec_lo
	s_or_b32 s29, s2, s29
.LBB1179_37:                            ;   in Loop: Header=BB1179_38 Depth=1
	v_dual_mov_b32 v24, s19 :: v_dual_mov_b32 v23, s18
	s_and_b32 s2, exec_lo, s29
	s_delay_alu instid0(SALU_CYCLE_1) | instskip(NEXT) | instid1(SALU_CYCLE_1)
	s_or_b32 s3, s2, s3
	s_and_not1_b32 exec_lo, exec_lo, s3
	s_cbranch_execz .LBB1179_40
.LBB1179_38:                            ; =>This Inner Loop Header: Depth=1
	s_or_b32 s29, s29, exec_lo
	s_cmp_eq_u64 s[6:7], s[18:19]
	s_cbranch_scc0 .LBB1179_36
; %bb.39:                               ;   in Loop: Header=BB1179_38 Depth=1
	s_mov_b64 s[18:19], s[22:23]
                                        ; implicit-def: $vgpr17_vgpr18
                                        ; implicit-def: $vgpr21_vgpr22
	s_branch .LBB1179_37
.LBB1179_40:
	s_set_inst_prefetch_distance 0x2
	s_or_b32 exec_lo, exec_lo, s3
	v_cmp_gt_i64_e32 vcc_lo, s[22:23], v[23:24]
	s_or_not1_b32 s3, vcc_lo, exec_lo
.LBB1179_41:
	s_or_b32 exec_lo, exec_lo, s28
.LBB1179_42:
	v_mul_lo_u32 v21, v6, s22
	v_mul_lo_u32 v22, v5, s23
	v_mad_u64_u32 v[17:18], null, v5, s22, 0
	s_mov_b32 s28, 0
	s_and_not1_b32 vcc_lo, exec_lo, s26
	s_mov_b32 s29, 0
	s_delay_alu instid0(VALU_DEP_1) | instskip(NEXT) | instid1(VALU_DEP_1)
	v_add3_u32 v18, v18, v22, v21
	v_lshlrev_b64 v[21:22], 1, v[17:18]
	s_cbranch_vccnz .LBB1179_51
; %bb.43:
	v_add_co_u32 v17, vcc_lo, s8, v19
	v_add_co_ci_u32_e32 v18, vcc_lo, s9, v20, vcc_lo
	s_delay_alu instid0(VALU_DEP_3) | instskip(NEXT) | instid1(VALU_DEP_4)
	v_add_co_u32 v19, vcc_lo, s8, v21
	v_add_co_ci_u32_e32 v20, vcc_lo, s9, v22, vcc_lo
	s_mov_b32 s29, -1
	s_clause 0x1
	global_load_u16 v23, v[17:18], off
	global_load_u16 v24, v[19:20], off
	s_mov_b32 s30, exec_lo
	s_waitcnt vmcnt(1)
	v_lshlrev_b32_e32 v23, 16, v23
	s_waitcnt vmcnt(0)
	v_lshlrev_b32_e32 v24, 16, v24
	s_delay_alu instid0(VALU_DEP_1)
	v_cmpx_eq_f32_e32 v24, v23
	s_cbranch_execz .LBB1179_50
; %bb.44:
	v_add_co_u32 v17, vcc_lo, v17, 2
	v_add_co_ci_u32_e32 v18, vcc_lo, 0, v18, vcc_lo
	v_add_co_u32 v19, vcc_lo, v19, 2
	v_add_co_ci_u32_e32 v20, vcc_lo, 0, v20, vcc_lo
	s_add_u32 s6, s22, -1
	s_addc_u32 s7, s23, -1
	s_mov_b64 s[18:19], 0
	s_mov_b32 s29, 0
                                        ; implicit-def: $sgpr31
	s_set_inst_prefetch_distance 0x1
	s_branch .LBB1179_47
	.p2align	6
.LBB1179_45:                            ;   in Loop: Header=BB1179_47 Depth=1
	global_load_u16 v23, v[17:18], off
	global_load_u16 v24, v[19:20], off
	v_add_co_u32 v17, vcc_lo, v17, 2
	v_add_co_ci_u32_e32 v18, vcc_lo, 0, v18, vcc_lo
	v_add_co_u32 v19, s2, v19, 2
	s_delay_alu instid0(VALU_DEP_1)
	v_add_co_ci_u32_e64 v20, s2, 0, v20, s2
	s_add_u32 s18, s18, 1
	s_addc_u32 s19, s19, 0
	s_and_not1_b32 s2, s31, exec_lo
	s_waitcnt vmcnt(1)
	v_lshlrev_b32_e32 v23, 16, v23
	s_waitcnt vmcnt(0)
	v_lshlrev_b32_e32 v24, 16, v24
	s_delay_alu instid0(VALU_DEP_1) | instskip(SKIP_1) | instid1(SALU_CYCLE_1)
	v_cmp_neq_f32_e32 vcc_lo, v24, v23
	s_and_b32 s31, vcc_lo, exec_lo
	s_or_b32 s31, s2, s31
.LBB1179_46:                            ;   in Loop: Header=BB1179_47 Depth=1
	v_dual_mov_b32 v24, s19 :: v_dual_mov_b32 v23, s18
	s_and_b32 s2, exec_lo, s31
	s_delay_alu instid0(SALU_CYCLE_1) | instskip(NEXT) | instid1(SALU_CYCLE_1)
	s_or_b32 s29, s2, s29
	s_and_not1_b32 exec_lo, exec_lo, s29
	s_cbranch_execz .LBB1179_49
.LBB1179_47:                            ; =>This Inner Loop Header: Depth=1
	s_or_b32 s31, s31, exec_lo
	s_cmp_eq_u64 s[6:7], s[18:19]
	s_cbranch_scc0 .LBB1179_45
; %bb.48:                               ;   in Loop: Header=BB1179_47 Depth=1
	s_mov_b64 s[18:19], s[22:23]
                                        ; implicit-def: $vgpr17_vgpr18
                                        ; implicit-def: $vgpr19_vgpr20
	s_branch .LBB1179_46
.LBB1179_49:
	s_set_inst_prefetch_distance 0x2
	s_or_b32 exec_lo, exec_lo, s29
	v_cmp_gt_i64_e32 vcc_lo, s[22:23], v[23:24]
	s_or_not1_b32 s29, vcc_lo, exec_lo
.LBB1179_50:
	s_or_b32 exec_lo, exec_lo, s30
.LBB1179_51:
	v_mul_lo_u32 v19, v12, s22
	v_mul_lo_u32 v20, v11, s23
	v_mad_u64_u32 v[17:18], null, v11, s22, 0
	s_and_not1_b32 vcc_lo, exec_lo, s26
	s_delay_alu instid0(VALU_DEP_1) | instskip(NEXT) | instid1(VALU_DEP_1)
	v_add3_u32 v18, v18, v20, v19
	v_lshlrev_b64 v[17:18], 1, v[17:18]
	s_cbranch_vccnz .LBB1179_60
; %bb.52:
	v_add_co_u32 v19, vcc_lo, s8, v21
	v_add_co_ci_u32_e32 v20, vcc_lo, s9, v22, vcc_lo
	s_delay_alu instid0(VALU_DEP_3) | instskip(NEXT) | instid1(VALU_DEP_4)
	v_add_co_u32 v21, vcc_lo, s8, v17
	v_add_co_ci_u32_e32 v22, vcc_lo, s9, v18, vcc_lo
	s_mov_b32 s28, -1
	s_clause 0x1
	global_load_u16 v23, v[19:20], off
	global_load_u16 v24, v[21:22], off
	s_mov_b32 s30, exec_lo
	s_waitcnt vmcnt(1)
	v_lshlrev_b32_e32 v23, 16, v23
	s_waitcnt vmcnt(0)
	v_lshlrev_b32_e32 v24, 16, v24
	s_delay_alu instid0(VALU_DEP_1)
	v_cmpx_eq_f32_e32 v24, v23
	s_cbranch_execz .LBB1179_59
; %bb.53:
	v_add_co_u32 v19, vcc_lo, v19, 2
	v_add_co_ci_u32_e32 v20, vcc_lo, 0, v20, vcc_lo
	v_add_co_u32 v21, vcc_lo, v21, 2
	v_add_co_ci_u32_e32 v22, vcc_lo, 0, v22, vcc_lo
	s_add_u32 s6, s22, -1
	s_addc_u32 s7, s23, -1
	s_mov_b64 s[18:19], 0
	s_mov_b32 s28, 0
                                        ; implicit-def: $sgpr31
	s_set_inst_prefetch_distance 0x1
	s_branch .LBB1179_56
	.p2align	6
.LBB1179_54:                            ;   in Loop: Header=BB1179_56 Depth=1
	global_load_u16 v23, v[19:20], off
	global_load_u16 v24, v[21:22], off
	v_add_co_u32 v19, vcc_lo, v19, 2
	v_add_co_ci_u32_e32 v20, vcc_lo, 0, v20, vcc_lo
	v_add_co_u32 v21, s2, v21, 2
	s_delay_alu instid0(VALU_DEP_1)
	v_add_co_ci_u32_e64 v22, s2, 0, v22, s2
	s_add_u32 s18, s18, 1
	s_addc_u32 s19, s19, 0
	s_and_not1_b32 s2, s31, exec_lo
	s_waitcnt vmcnt(1)
	v_lshlrev_b32_e32 v23, 16, v23
	s_waitcnt vmcnt(0)
	v_lshlrev_b32_e32 v24, 16, v24
	s_delay_alu instid0(VALU_DEP_1) | instskip(SKIP_1) | instid1(SALU_CYCLE_1)
	v_cmp_neq_f32_e32 vcc_lo, v24, v23
	s_and_b32 s31, vcc_lo, exec_lo
	s_or_b32 s31, s2, s31
.LBB1179_55:                            ;   in Loop: Header=BB1179_56 Depth=1
	v_dual_mov_b32 v24, s19 :: v_dual_mov_b32 v23, s18
	s_and_b32 s2, exec_lo, s31
	s_delay_alu instid0(SALU_CYCLE_1) | instskip(NEXT) | instid1(SALU_CYCLE_1)
	s_or_b32 s28, s2, s28
	s_and_not1_b32 exec_lo, exec_lo, s28
	s_cbranch_execz .LBB1179_58
.LBB1179_56:                            ; =>This Inner Loop Header: Depth=1
	s_or_b32 s31, s31, exec_lo
	s_cmp_eq_u64 s[6:7], s[18:19]
	s_cbranch_scc0 .LBB1179_54
; %bb.57:                               ;   in Loop: Header=BB1179_56 Depth=1
	s_mov_b64 s[18:19], s[22:23]
                                        ; implicit-def: $vgpr19_vgpr20
                                        ; implicit-def: $vgpr21_vgpr22
	s_branch .LBB1179_55
.LBB1179_58:
	s_set_inst_prefetch_distance 0x2
	s_or_b32 exec_lo, exec_lo, s28
	v_cmp_gt_i64_e32 vcc_lo, s[22:23], v[23:24]
	s_or_not1_b32 s28, vcc_lo, exec_lo
.LBB1179_59:
	s_or_b32 exec_lo, exec_lo, s30
.LBB1179_60:
	v_mul_lo_u32 v21, v10, s22
	v_mul_lo_u32 v22, v9, s23
	v_mad_u64_u32 v[19:20], null, v9, s22, 0
	s_mov_b32 s30, 0
	s_and_not1_b32 vcc_lo, exec_lo, s26
	s_mov_b32 s31, 0
	s_delay_alu instid0(VALU_DEP_1) | instskip(NEXT) | instid1(VALU_DEP_1)
	v_add3_u32 v20, v20, v22, v21
	v_lshlrev_b64 v[21:22], 1, v[19:20]
	s_cbranch_vccnz .LBB1179_69
; %bb.61:
	v_add_co_u32 v17, vcc_lo, s8, v17
	v_add_co_ci_u32_e32 v18, vcc_lo, s9, v18, vcc_lo
	s_delay_alu instid0(VALU_DEP_3) | instskip(NEXT) | instid1(VALU_DEP_4)
	v_add_co_u32 v19, vcc_lo, s8, v21
	v_add_co_ci_u32_e32 v20, vcc_lo, s9, v22, vcc_lo
	s_mov_b32 s31, -1
	s_clause 0x1
	global_load_u16 v23, v[17:18], off
	global_load_u16 v24, v[19:20], off
	s_mov_b32 s33, exec_lo
	s_waitcnt vmcnt(1)
	v_lshlrev_b32_e32 v23, 16, v23
	s_waitcnt vmcnt(0)
	v_lshlrev_b32_e32 v24, 16, v24
	s_delay_alu instid0(VALU_DEP_1)
	v_cmpx_eq_f32_e32 v24, v23
	s_cbranch_execz .LBB1179_68
; %bb.62:
	v_add_co_u32 v17, vcc_lo, v17, 2
	v_add_co_ci_u32_e32 v18, vcc_lo, 0, v18, vcc_lo
	v_add_co_u32 v19, vcc_lo, v19, 2
	v_add_co_ci_u32_e32 v20, vcc_lo, 0, v20, vcc_lo
	s_add_u32 s6, s22, -1
	s_addc_u32 s7, s23, -1
	s_mov_b64 s[18:19], 0
	s_mov_b32 s31, 0
                                        ; implicit-def: $sgpr34
	s_set_inst_prefetch_distance 0x1
	s_branch .LBB1179_65
	.p2align	6
.LBB1179_63:                            ;   in Loop: Header=BB1179_65 Depth=1
	global_load_u16 v23, v[17:18], off
	global_load_u16 v24, v[19:20], off
	v_add_co_u32 v17, vcc_lo, v17, 2
	v_add_co_ci_u32_e32 v18, vcc_lo, 0, v18, vcc_lo
	v_add_co_u32 v19, s2, v19, 2
	s_delay_alu instid0(VALU_DEP_1)
	v_add_co_ci_u32_e64 v20, s2, 0, v20, s2
	s_add_u32 s18, s18, 1
	s_addc_u32 s19, s19, 0
	s_and_not1_b32 s2, s34, exec_lo
	s_waitcnt vmcnt(1)
	v_lshlrev_b32_e32 v23, 16, v23
	s_waitcnt vmcnt(0)
	v_lshlrev_b32_e32 v24, 16, v24
	s_delay_alu instid0(VALU_DEP_1) | instskip(SKIP_1) | instid1(SALU_CYCLE_1)
	v_cmp_neq_f32_e32 vcc_lo, v24, v23
	s_and_b32 s34, vcc_lo, exec_lo
	s_or_b32 s34, s2, s34
.LBB1179_64:                            ;   in Loop: Header=BB1179_65 Depth=1
	v_dual_mov_b32 v24, s19 :: v_dual_mov_b32 v23, s18
	s_and_b32 s2, exec_lo, s34
	s_delay_alu instid0(SALU_CYCLE_1) | instskip(NEXT) | instid1(SALU_CYCLE_1)
	s_or_b32 s31, s2, s31
	s_and_not1_b32 exec_lo, exec_lo, s31
	s_cbranch_execz .LBB1179_67
.LBB1179_65:                            ; =>This Inner Loop Header: Depth=1
	s_or_b32 s34, s34, exec_lo
	s_cmp_eq_u64 s[6:7], s[18:19]
	s_cbranch_scc0 .LBB1179_63
; %bb.66:                               ;   in Loop: Header=BB1179_65 Depth=1
	s_mov_b64 s[18:19], s[22:23]
                                        ; implicit-def: $vgpr17_vgpr18
                                        ; implicit-def: $vgpr19_vgpr20
	s_branch .LBB1179_64
.LBB1179_67:
	s_set_inst_prefetch_distance 0x2
	s_or_b32 exec_lo, exec_lo, s31
	v_cmp_gt_i64_e32 vcc_lo, s[22:23], v[23:24]
	s_or_not1_b32 s31, vcc_lo, exec_lo
.LBB1179_68:
	s_or_b32 exec_lo, exec_lo, s33
.LBB1179_69:
	v_mul_lo_u32 v19, v16, s22
	v_mul_lo_u32 v20, v15, s23
	v_mad_u64_u32 v[17:18], null, v15, s22, 0
	s_and_not1_b32 vcc_lo, exec_lo, s26
	s_delay_alu instid0(VALU_DEP_1) | instskip(NEXT) | instid1(VALU_DEP_1)
	v_add3_u32 v18, v18, v20, v19
	v_lshlrev_b64 v[19:20], 1, v[17:18]
	s_cbranch_vccnz .LBB1179_78
; %bb.70:
	v_add_co_u32 v17, vcc_lo, s8, v21
	v_add_co_ci_u32_e32 v18, vcc_lo, s9, v22, vcc_lo
	s_delay_alu instid0(VALU_DEP_3) | instskip(NEXT) | instid1(VALU_DEP_4)
	v_add_co_u32 v21, vcc_lo, s8, v19
	v_add_co_ci_u32_e32 v22, vcc_lo, s9, v20, vcc_lo
	s_mov_b32 s30, -1
	s_clause 0x1
	global_load_u16 v23, v[17:18], off
	global_load_u16 v24, v[21:22], off
	s_mov_b32 s33, exec_lo
	s_waitcnt vmcnt(1)
	v_lshlrev_b32_e32 v23, 16, v23
	s_waitcnt vmcnt(0)
	v_lshlrev_b32_e32 v24, 16, v24
	s_delay_alu instid0(VALU_DEP_1)
	v_cmpx_eq_f32_e32 v24, v23
	s_cbranch_execz .LBB1179_77
; %bb.71:
	v_add_co_u32 v17, vcc_lo, v17, 2
	v_add_co_ci_u32_e32 v18, vcc_lo, 0, v18, vcc_lo
	v_add_co_u32 v21, vcc_lo, v21, 2
	v_add_co_ci_u32_e32 v22, vcc_lo, 0, v22, vcc_lo
	s_add_u32 s6, s22, -1
	s_addc_u32 s7, s23, -1
	s_mov_b64 s[18:19], 0
	s_mov_b32 s30, 0
                                        ; implicit-def: $sgpr34
	s_set_inst_prefetch_distance 0x1
	s_branch .LBB1179_74
	.p2align	6
.LBB1179_72:                            ;   in Loop: Header=BB1179_74 Depth=1
	global_load_u16 v23, v[17:18], off
	global_load_u16 v24, v[21:22], off
	v_add_co_u32 v17, vcc_lo, v17, 2
	v_add_co_ci_u32_e32 v18, vcc_lo, 0, v18, vcc_lo
	v_add_co_u32 v21, s2, v21, 2
	s_delay_alu instid0(VALU_DEP_1)
	v_add_co_ci_u32_e64 v22, s2, 0, v22, s2
	s_add_u32 s18, s18, 1
	s_addc_u32 s19, s19, 0
	s_and_not1_b32 s2, s34, exec_lo
	s_waitcnt vmcnt(1)
	v_lshlrev_b32_e32 v23, 16, v23
	s_waitcnt vmcnt(0)
	v_lshlrev_b32_e32 v24, 16, v24
	s_delay_alu instid0(VALU_DEP_1) | instskip(SKIP_1) | instid1(SALU_CYCLE_1)
	v_cmp_neq_f32_e32 vcc_lo, v24, v23
	s_and_b32 s34, vcc_lo, exec_lo
	s_or_b32 s34, s2, s34
.LBB1179_73:                            ;   in Loop: Header=BB1179_74 Depth=1
	v_dual_mov_b32 v24, s19 :: v_dual_mov_b32 v23, s18
	s_and_b32 s2, exec_lo, s34
	s_delay_alu instid0(SALU_CYCLE_1) | instskip(NEXT) | instid1(SALU_CYCLE_1)
	s_or_b32 s30, s2, s30
	s_and_not1_b32 exec_lo, exec_lo, s30
	s_cbranch_execz .LBB1179_76
.LBB1179_74:                            ; =>This Inner Loop Header: Depth=1
	s_or_b32 s34, s34, exec_lo
	s_cmp_eq_u64 s[6:7], s[18:19]
	s_cbranch_scc0 .LBB1179_72
; %bb.75:                               ;   in Loop: Header=BB1179_74 Depth=1
	s_mov_b64 s[18:19], s[22:23]
                                        ; implicit-def: $vgpr17_vgpr18
                                        ; implicit-def: $vgpr21_vgpr22
	s_branch .LBB1179_73
.LBB1179_76:
	s_set_inst_prefetch_distance 0x2
	s_or_b32 exec_lo, exec_lo, s30
	v_cmp_gt_i64_e32 vcc_lo, s[22:23], v[23:24]
	s_or_not1_b32 s30, vcc_lo, exec_lo
.LBB1179_77:
	s_or_b32 exec_lo, exec_lo, s33
.LBB1179_78:
	v_mul_lo_u32 v21, v14, s22
	v_mul_lo_u32 v22, v13, s23
	v_mad_u64_u32 v[17:18], null, v13, s22, 0
	s_and_not1_b32 vcc_lo, exec_lo, s26
	s_mov_b32 s2, 0
	s_delay_alu instid0(VALU_DEP_1) | instskip(NEXT) | instid1(VALU_DEP_1)
	v_add3_u32 v18, v18, v22, v21
	v_lshlrev_b64 v[17:18], 1, v[17:18]
	s_cbranch_vccnz .LBB1179_87
; %bb.79:
	v_add_co_u32 v19, vcc_lo, s8, v19
	v_add_co_ci_u32_e32 v20, vcc_lo, s9, v20, vcc_lo
	s_delay_alu instid0(VALU_DEP_3) | instskip(NEXT) | instid1(VALU_DEP_4)
	v_add_co_u32 v21, vcc_lo, s8, v17
	v_add_co_ci_u32_e32 v22, vcc_lo, s9, v18, vcc_lo
	s_mov_b32 s2, -1
	s_clause 0x1
	global_load_u16 v23, v[19:20], off
	global_load_u16 v24, v[21:22], off
	s_mov_b32 s33, exec_lo
	s_waitcnt vmcnt(1)
	v_lshlrev_b32_e32 v23, 16, v23
	s_waitcnt vmcnt(0)
	v_lshlrev_b32_e32 v24, 16, v24
	s_delay_alu instid0(VALU_DEP_1)
	v_cmpx_eq_f32_e32 v24, v23
	s_cbranch_execz .LBB1179_86
; %bb.80:
	v_add_co_u32 v19, vcc_lo, v19, 2
	v_add_co_ci_u32_e32 v20, vcc_lo, 0, v20, vcc_lo
	v_add_co_u32 v21, vcc_lo, v21, 2
	v_add_co_ci_u32_e32 v22, vcc_lo, 0, v22, vcc_lo
	s_add_u32 s6, s22, -1
	s_addc_u32 s7, s23, -1
	s_mov_b64 s[18:19], 0
	s_mov_b32 s34, 0
                                        ; implicit-def: $sgpr35
	s_set_inst_prefetch_distance 0x1
	s_branch .LBB1179_83
	.p2align	6
.LBB1179_81:                            ;   in Loop: Header=BB1179_83 Depth=1
	global_load_u16 v23, v[19:20], off
	global_load_u16 v24, v[21:22], off
	v_add_co_u32 v19, vcc_lo, v19, 2
	v_add_co_ci_u32_e32 v20, vcc_lo, 0, v20, vcc_lo
	v_add_co_u32 v21, s2, v21, 2
	s_delay_alu instid0(VALU_DEP_1)
	v_add_co_ci_u32_e64 v22, s2, 0, v22, s2
	s_add_u32 s18, s18, 1
	s_addc_u32 s19, s19, 0
	s_and_not1_b32 s2, s35, exec_lo
	s_waitcnt vmcnt(1)
	v_lshlrev_b32_e32 v23, 16, v23
	s_waitcnt vmcnt(0)
	v_lshlrev_b32_e32 v24, 16, v24
	s_delay_alu instid0(VALU_DEP_1) | instskip(SKIP_1) | instid1(SALU_CYCLE_1)
	v_cmp_neq_f32_e32 vcc_lo, v24, v23
	s_and_b32 s35, vcc_lo, exec_lo
	s_or_b32 s35, s2, s35
.LBB1179_82:                            ;   in Loop: Header=BB1179_83 Depth=1
	v_dual_mov_b32 v24, s19 :: v_dual_mov_b32 v23, s18
	s_and_b32 s2, exec_lo, s35
	s_delay_alu instid0(SALU_CYCLE_1) | instskip(NEXT) | instid1(SALU_CYCLE_1)
	s_or_b32 s34, s2, s34
	s_and_not1_b32 exec_lo, exec_lo, s34
	s_cbranch_execz .LBB1179_85
.LBB1179_83:                            ; =>This Inner Loop Header: Depth=1
	s_or_b32 s35, s35, exec_lo
	s_cmp_eq_u64 s[6:7], s[18:19]
	s_cbranch_scc0 .LBB1179_81
; %bb.84:                               ;   in Loop: Header=BB1179_83 Depth=1
	s_mov_b64 s[18:19], s[22:23]
                                        ; implicit-def: $vgpr19_vgpr20
                                        ; implicit-def: $vgpr21_vgpr22
	s_branch .LBB1179_82
.LBB1179_85:
	s_set_inst_prefetch_distance 0x2
	s_or_b32 exec_lo, exec_lo, s34
	v_cmp_gt_i64_e32 vcc_lo, s[22:23], v[23:24]
	s_or_not1_b32 s2, vcc_lo, exec_lo
.LBB1179_86:
	s_or_b32 exec_lo, exec_lo, s33
.LBB1179_87:
	s_waitcnt lgkmcnt(0)
	v_dual_mov_b32 v20, s5 :: v_dual_mov_b32 v19, s4
	s_mov_b32 s6, exec_lo
	s_barrier
	buffer_gl0_inv
	v_cmpx_ne_u32_e32 0, v0
	s_cbranch_execz .LBB1179_89
; %bb.88:
	v_add_nc_u32_e32 v19, -8, v39
	ds_load_b64 v[19:20], v19
.LBB1179_89:
	s_or_b32 exec_lo, exec_lo, s6
	v_cndmask_b32_e64 v22, 0, 1, s31
	v_cndmask_b32_e64 v24, 0, 1, s29
	;; [unrolled: 1-line block ×7, first 2 shown]
	v_lshlrev_b16 v22, 8, v22
	v_lshlrev_b16 v24, 8, v24
	;; [unrolled: 1-line block ×4, first 2 shown]
	s_mov_b32 s3, 0
	v_or_b32_e32 v21, v21, v22
	v_or_b32_e32 v22, v23, v24
	;; [unrolled: 1-line block ×3, first 2 shown]
	v_and_b32_e32 v23, 0xffff, v27
	s_and_not1_b32 vcc_lo, exec_lo, s26
	v_lshlrev_b32_e32 v24, 16, v21
	v_and_b32_e32 v26, 0xffff, v22
	v_lshlrev_b32_e32 v27, 16, v28
	s_mov_b32 s2, 0
	s_cbranch_vccnz .LBB1179_98
; %bb.90:
	s_waitcnt lgkmcnt(0)
	v_mul_lo_u32 v22, v20, s22
	v_mul_lo_u32 v28, v19, s23
	v_mad_u64_u32 v[20:21], null, v19, s22, 0
	s_mov_b32 s2, -1
	s_mov_b32 s27, exec_lo
	s_delay_alu instid0(VALU_DEP_1) | instskip(NEXT) | instid1(VALU_DEP_1)
	v_add3_u32 v21, v21, v28, v22
	v_lshlrev_b64 v[19:20], 1, v[20:21]
	s_delay_alu instid0(VALU_DEP_1) | instskip(NEXT) | instid1(VALU_DEP_2)
	v_add_co_u32 v19, vcc_lo, s8, v19
	v_add_co_ci_u32_e32 v20, vcc_lo, s9, v20, vcc_lo
	v_add_co_u32 v17, vcc_lo, s8, v17
	v_add_co_ci_u32_e32 v18, vcc_lo, s9, v18, vcc_lo
	s_clause 0x1
	global_load_u16 v21, v[19:20], off
	global_load_u16 v22, v[17:18], off
	s_waitcnt vmcnt(1)
	v_lshlrev_b32_e32 v21, 16, v21
	s_waitcnt vmcnt(0)
	v_lshlrev_b32_e32 v22, 16, v22
	s_delay_alu instid0(VALU_DEP_1)
	v_cmpx_eq_f32_e32 v21, v22
	s_cbranch_execz .LBB1179_97
; %bb.91:
	v_add_co_u32 v17, vcc_lo, v17, 2
	v_add_co_ci_u32_e32 v18, vcc_lo, 0, v18, vcc_lo
	v_add_co_u32 v19, vcc_lo, v19, 2
	v_add_co_ci_u32_e32 v20, vcc_lo, 0, v20, vcc_lo
	s_add_u32 s6, s22, -1
	s_addc_u32 s7, s23, -1
	s_mov_b64 s[18:19], 0
	s_mov_b32 s28, 0
                                        ; implicit-def: $sgpr29
	s_set_inst_prefetch_distance 0x1
	s_branch .LBB1179_94
	.p2align	6
.LBB1179_92:                            ;   in Loop: Header=BB1179_94 Depth=1
	global_load_u16 v21, v[17:18], off
	global_load_u16 v22, v[19:20], off
	v_add_co_u32 v17, vcc_lo, v17, 2
	v_add_co_ci_u32_e32 v18, vcc_lo, 0, v18, vcc_lo
	v_add_co_u32 v19, s2, v19, 2
	s_delay_alu instid0(VALU_DEP_1)
	v_add_co_ci_u32_e64 v20, s2, 0, v20, s2
	s_add_u32 s18, s18, 1
	s_addc_u32 s19, s19, 0
	s_and_not1_b32 s2, s29, exec_lo
	s_waitcnt vmcnt(1)
	v_lshlrev_b32_e32 v21, 16, v21
	s_waitcnt vmcnt(0)
	v_lshlrev_b32_e32 v22, 16, v22
	s_delay_alu instid0(VALU_DEP_1) | instskip(SKIP_1) | instid1(SALU_CYCLE_1)
	v_cmp_neq_f32_e32 vcc_lo, v22, v21
	s_and_b32 s29, vcc_lo, exec_lo
	s_or_b32 s29, s2, s29
.LBB1179_93:                            ;   in Loop: Header=BB1179_94 Depth=1
	v_dual_mov_b32 v22, s19 :: v_dual_mov_b32 v21, s18
	s_and_b32 s2, exec_lo, s29
	s_delay_alu instid0(SALU_CYCLE_1) | instskip(NEXT) | instid1(SALU_CYCLE_1)
	s_or_b32 s28, s2, s28
	s_and_not1_b32 exec_lo, exec_lo, s28
	s_cbranch_execz .LBB1179_96
.LBB1179_94:                            ; =>This Inner Loop Header: Depth=1
	s_or_b32 s29, s29, exec_lo
	s_cmp_eq_u64 s[6:7], s[18:19]
	s_cbranch_scc0 .LBB1179_92
; %bb.95:                               ;   in Loop: Header=BB1179_94 Depth=1
	s_mov_b64 s[18:19], s[22:23]
                                        ; implicit-def: $vgpr17_vgpr18
                                        ; implicit-def: $vgpr19_vgpr20
	s_branch .LBB1179_93
.LBB1179_96:
	s_set_inst_prefetch_distance 0x2
	s_or_b32 exec_lo, exec_lo, s28
	v_cmp_gt_i64_e32 vcc_lo, s[22:23], v[21:22]
	s_or_not1_b32 s2, vcc_lo, exec_lo
.LBB1179_97:
	s_or_b32 exec_lo, exec_lo, s27
.LBB1179_98:
	v_or_b32_e32 v17, v23, v24
	s_delay_alu instid0(VALU_DEP_2)
	v_or_b32_e32 v18, v26, v27
	s_and_b32 vcc_lo, exec_lo, s3
	s_cbranch_vccz .LBB1179_190
.LBB1179_99:
	v_or_b32_e32 v17, 7, v39
	s_mov_b32 s3, 0
	s_mov_b32 s27, 0
	s_mov_b32 s28, exec_lo
	s_delay_alu instid0(VALU_DEP_1)
	v_cmpx_gt_u32_e64 s20, v17
	s_cbranch_execz .LBB1179_110
; %bb.100:
	s_and_not1_b32 vcc_lo, exec_lo, s26
	s_mov_b32 s2, 0
	s_cbranch_vccnz .LBB1179_109
; %bb.101:
	v_mul_lo_u32 v21, v4, s22
	v_mul_lo_u32 v22, v3, s23
	v_mad_u64_u32 v[17:18], null, v3, s22, 0
	v_mul_lo_u32 v23, v2, s22
	v_mul_lo_u32 v24, v1, s23
	s_waitcnt lgkmcnt(0)
	v_mad_u64_u32 v[19:20], null, v1, s22, 0
	s_mov_b32 s2, -1
	s_mov_b32 s26, exec_lo
	s_delay_alu instid0(VALU_DEP_4) | instskip(NEXT) | instid1(VALU_DEP_2)
	v_add3_u32 v18, v18, v22, v21
	v_add3_u32 v20, v20, v24, v23
	s_delay_alu instid0(VALU_DEP_2) | instskip(NEXT) | instid1(VALU_DEP_2)
	v_lshlrev_b64 v[17:18], 1, v[17:18]
	v_lshlrev_b64 v[19:20], 1, v[19:20]
	s_delay_alu instid0(VALU_DEP_2) | instskip(NEXT) | instid1(VALU_DEP_3)
	v_add_co_u32 v17, vcc_lo, s8, v17
	v_add_co_ci_u32_e32 v18, vcc_lo, s9, v18, vcc_lo
	s_delay_alu instid0(VALU_DEP_3) | instskip(NEXT) | instid1(VALU_DEP_4)
	v_add_co_u32 v19, vcc_lo, s8, v19
	v_add_co_ci_u32_e32 v20, vcc_lo, s9, v20, vcc_lo
	s_clause 0x1
	global_load_u16 v21, v[17:18], off
	global_load_u16 v22, v[19:20], off
	s_waitcnt vmcnt(1)
	v_lshlrev_b32_e32 v21, 16, v21
	s_waitcnt vmcnt(0)
	v_lshlrev_b32_e32 v22, 16, v22
	s_delay_alu instid0(VALU_DEP_1)
	v_cmpx_eq_f32_e32 v22, v21
	s_cbranch_execz .LBB1179_108
; %bb.102:
	v_add_co_u32 v17, vcc_lo, v17, 2
	v_add_co_ci_u32_e32 v18, vcc_lo, 0, v18, vcc_lo
	v_add_co_u32 v19, vcc_lo, v19, 2
	v_add_co_ci_u32_e32 v20, vcc_lo, 0, v20, vcc_lo
	s_add_u32 s6, s22, -1
	s_addc_u32 s7, s23, -1
	s_mov_b64 s[18:19], 0
                                        ; implicit-def: $sgpr29
	s_set_inst_prefetch_distance 0x1
	s_branch .LBB1179_105
	.p2align	6
.LBB1179_103:                           ;   in Loop: Header=BB1179_105 Depth=1
	global_load_u16 v21, v[17:18], off
	global_load_u16 v22, v[19:20], off
	v_add_co_u32 v17, vcc_lo, v17, 2
	v_add_co_ci_u32_e32 v18, vcc_lo, 0, v18, vcc_lo
	v_add_co_u32 v19, s2, v19, 2
	s_delay_alu instid0(VALU_DEP_1)
	v_add_co_ci_u32_e64 v20, s2, 0, v20, s2
	s_add_u32 s18, s18, 1
	s_addc_u32 s19, s19, 0
	s_and_not1_b32 s2, s29, exec_lo
	s_waitcnt vmcnt(1)
	v_lshlrev_b32_e32 v21, 16, v21
	s_waitcnt vmcnt(0)
	v_lshlrev_b32_e32 v22, 16, v22
	s_delay_alu instid0(VALU_DEP_1) | instskip(SKIP_1) | instid1(SALU_CYCLE_1)
	v_cmp_neq_f32_e32 vcc_lo, v22, v21
	s_and_b32 s29, vcc_lo, exec_lo
	s_or_b32 s29, s2, s29
.LBB1179_104:                           ;   in Loop: Header=BB1179_105 Depth=1
	v_dual_mov_b32 v22, s19 :: v_dual_mov_b32 v21, s18
	s_and_b32 s2, exec_lo, s29
	s_delay_alu instid0(SALU_CYCLE_1) | instskip(NEXT) | instid1(SALU_CYCLE_1)
	s_or_b32 s27, s2, s27
	s_and_not1_b32 exec_lo, exec_lo, s27
	s_cbranch_execz .LBB1179_107
.LBB1179_105:                           ; =>This Inner Loop Header: Depth=1
	s_or_b32 s29, s29, exec_lo
	s_cmp_eq_u64 s[6:7], s[18:19]
	s_cbranch_scc0 .LBB1179_103
; %bb.106:                              ;   in Loop: Header=BB1179_105 Depth=1
	s_mov_b64 s[18:19], s[22:23]
                                        ; implicit-def: $vgpr17_vgpr18
                                        ; implicit-def: $vgpr19_vgpr20
	s_branch .LBB1179_104
.LBB1179_107:
	s_set_inst_prefetch_distance 0x2
	s_or_b32 exec_lo, exec_lo, s27
	v_cmp_gt_i64_e32 vcc_lo, s[22:23], v[21:22]
	s_or_not1_b32 s2, vcc_lo, exec_lo
.LBB1179_108:
	s_or_b32 exec_lo, exec_lo, s26
.LBB1179_109:
	s_delay_alu instid0(SALU_CYCLE_1)
	s_and_b32 s27, s2, exec_lo
.LBB1179_110:
	s_or_b32 exec_lo, exec_lo, s28
	v_or_b32_e32 v17, 6, v39
	s_mov_b32 s26, exec_lo
	s_delay_alu instid0(VALU_DEP_1)
	v_cmpx_gt_u32_e64 s20, v17
	s_cbranch_execz .LBB1179_121
; %bb.111:
	v_cmp_ne_u32_e32 vcc_lo, 1, v25
	s_mov_b32 s2, 0
	s_cbranch_vccnz .LBB1179_120
; %bb.112:
	v_mul_lo_u32 v21, v2, s22
	v_mul_lo_u32 v22, v1, s23
	v_mad_u64_u32 v[17:18], null, v1, s22, 0
	v_mul_lo_u32 v23, v8, s22
	v_mul_lo_u32 v24, v7, s23
	s_waitcnt lgkmcnt(0)
	v_mad_u64_u32 v[19:20], null, v7, s22, 0
	s_mov_b32 s2, -1
	s_mov_b32 s3, exec_lo
	s_delay_alu instid0(VALU_DEP_4) | instskip(NEXT) | instid1(VALU_DEP_2)
	v_add3_u32 v18, v18, v22, v21
	v_add3_u32 v20, v20, v24, v23
	s_delay_alu instid0(VALU_DEP_2) | instskip(NEXT) | instid1(VALU_DEP_2)
	v_lshlrev_b64 v[17:18], 1, v[17:18]
	v_lshlrev_b64 v[19:20], 1, v[19:20]
	s_delay_alu instid0(VALU_DEP_2) | instskip(NEXT) | instid1(VALU_DEP_3)
	v_add_co_u32 v17, vcc_lo, s8, v17
	v_add_co_ci_u32_e32 v18, vcc_lo, s9, v18, vcc_lo
	s_delay_alu instid0(VALU_DEP_3) | instskip(NEXT) | instid1(VALU_DEP_4)
	v_add_co_u32 v19, vcc_lo, s8, v19
	v_add_co_ci_u32_e32 v20, vcc_lo, s9, v20, vcc_lo
	s_clause 0x1
	global_load_u16 v21, v[17:18], off
	global_load_u16 v22, v[19:20], off
	s_waitcnt vmcnt(1)
	v_lshlrev_b32_e32 v21, 16, v21
	s_waitcnt vmcnt(0)
	v_lshlrev_b32_e32 v22, 16, v22
	s_delay_alu instid0(VALU_DEP_1)
	v_cmpx_eq_f32_e32 v22, v21
	s_cbranch_execz .LBB1179_119
; %bb.113:
	v_add_co_u32 v17, vcc_lo, v17, 2
	v_add_co_ci_u32_e32 v18, vcc_lo, 0, v18, vcc_lo
	v_add_co_u32 v19, vcc_lo, v19, 2
	v_add_co_ci_u32_e32 v20, vcc_lo, 0, v20, vcc_lo
	s_add_u32 s6, s22, -1
	s_addc_u32 s7, s23, -1
	s_mov_b64 s[18:19], 0
	s_mov_b32 s28, 0
                                        ; implicit-def: $sgpr29
	s_set_inst_prefetch_distance 0x1
	s_branch .LBB1179_116
	.p2align	6
.LBB1179_114:                           ;   in Loop: Header=BB1179_116 Depth=1
	global_load_u16 v21, v[17:18], off
	global_load_u16 v22, v[19:20], off
	v_add_co_u32 v17, vcc_lo, v17, 2
	v_add_co_ci_u32_e32 v18, vcc_lo, 0, v18, vcc_lo
	v_add_co_u32 v19, s2, v19, 2
	s_delay_alu instid0(VALU_DEP_1)
	v_add_co_ci_u32_e64 v20, s2, 0, v20, s2
	s_add_u32 s18, s18, 1
	s_addc_u32 s19, s19, 0
	s_and_not1_b32 s2, s29, exec_lo
	s_waitcnt vmcnt(1)
	v_lshlrev_b32_e32 v21, 16, v21
	s_waitcnt vmcnt(0)
	v_lshlrev_b32_e32 v22, 16, v22
	s_delay_alu instid0(VALU_DEP_1) | instskip(SKIP_1) | instid1(SALU_CYCLE_1)
	v_cmp_neq_f32_e32 vcc_lo, v22, v21
	s_and_b32 s29, vcc_lo, exec_lo
	s_or_b32 s29, s2, s29
.LBB1179_115:                           ;   in Loop: Header=BB1179_116 Depth=1
	v_dual_mov_b32 v22, s19 :: v_dual_mov_b32 v21, s18
	s_and_b32 s2, exec_lo, s29
	s_delay_alu instid0(SALU_CYCLE_1) | instskip(NEXT) | instid1(SALU_CYCLE_1)
	s_or_b32 s28, s2, s28
	s_and_not1_b32 exec_lo, exec_lo, s28
	s_cbranch_execz .LBB1179_118
.LBB1179_116:                           ; =>This Inner Loop Header: Depth=1
	s_or_b32 s29, s29, exec_lo
	s_cmp_eq_u64 s[6:7], s[18:19]
	s_cbranch_scc0 .LBB1179_114
; %bb.117:                              ;   in Loop: Header=BB1179_116 Depth=1
	s_mov_b64 s[18:19], s[22:23]
                                        ; implicit-def: $vgpr17_vgpr18
                                        ; implicit-def: $vgpr19_vgpr20
	s_branch .LBB1179_115
.LBB1179_118:
	s_set_inst_prefetch_distance 0x2
	s_or_b32 exec_lo, exec_lo, s28
	v_cmp_gt_i64_e32 vcc_lo, s[22:23], v[21:22]
	s_or_not1_b32 s2, vcc_lo, exec_lo
.LBB1179_119:
	s_or_b32 exec_lo, exec_lo, s3
.LBB1179_120:
	s_delay_alu instid0(SALU_CYCLE_1)
	s_and_b32 s3, s2, exec_lo
.LBB1179_121:
	s_or_b32 exec_lo, exec_lo, s26
	v_or_b32_e32 v17, 5, v39
	s_mov_b32 s28, 0
	s_mov_b32 s26, 0
	s_mov_b32 s29, exec_lo
	s_delay_alu instid0(VALU_DEP_1)
	v_cmpx_gt_u32_e64 s20, v17
	s_cbranch_execz .LBB1179_132
; %bb.122:
	v_cmp_ne_u32_e32 vcc_lo, 1, v25
	s_mov_b32 s2, 0
	s_cbranch_vccnz .LBB1179_131
; %bb.123:
	v_mul_lo_u32 v21, v8, s22
	v_mul_lo_u32 v22, v7, s23
	v_mad_u64_u32 v[17:18], null, v7, s22, 0
	v_mul_lo_u32 v23, v6, s22
	v_mul_lo_u32 v24, v5, s23
	s_waitcnt lgkmcnt(0)
	v_mad_u64_u32 v[19:20], null, v5, s22, 0
	s_mov_b32 s2, -1
	s_mov_b32 s26, exec_lo
	s_delay_alu instid0(VALU_DEP_4) | instskip(NEXT) | instid1(VALU_DEP_2)
	v_add3_u32 v18, v18, v22, v21
	v_add3_u32 v20, v20, v24, v23
	s_delay_alu instid0(VALU_DEP_2) | instskip(NEXT) | instid1(VALU_DEP_2)
	v_lshlrev_b64 v[17:18], 1, v[17:18]
	v_lshlrev_b64 v[19:20], 1, v[19:20]
	s_delay_alu instid0(VALU_DEP_2) | instskip(NEXT) | instid1(VALU_DEP_3)
	v_add_co_u32 v17, vcc_lo, s8, v17
	v_add_co_ci_u32_e32 v18, vcc_lo, s9, v18, vcc_lo
	s_delay_alu instid0(VALU_DEP_3) | instskip(NEXT) | instid1(VALU_DEP_4)
	v_add_co_u32 v19, vcc_lo, s8, v19
	v_add_co_ci_u32_e32 v20, vcc_lo, s9, v20, vcc_lo
	s_clause 0x1
	global_load_u16 v21, v[17:18], off
	global_load_u16 v22, v[19:20], off
	s_waitcnt vmcnt(1)
	v_lshlrev_b32_e32 v21, 16, v21
	s_waitcnt vmcnt(0)
	v_lshlrev_b32_e32 v22, 16, v22
	s_delay_alu instid0(VALU_DEP_1)
	v_cmpx_eq_f32_e32 v22, v21
	s_cbranch_execz .LBB1179_130
; %bb.124:
	v_add_co_u32 v17, vcc_lo, v17, 2
	v_add_co_ci_u32_e32 v18, vcc_lo, 0, v18, vcc_lo
	v_add_co_u32 v19, vcc_lo, v19, 2
	v_add_co_ci_u32_e32 v20, vcc_lo, 0, v20, vcc_lo
	s_add_u32 s6, s22, -1
	s_addc_u32 s7, s23, -1
	s_mov_b64 s[18:19], 0
	s_mov_b32 s30, 0
                                        ; implicit-def: $sgpr31
	s_set_inst_prefetch_distance 0x1
	s_branch .LBB1179_127
	.p2align	6
.LBB1179_125:                           ;   in Loop: Header=BB1179_127 Depth=1
	global_load_u16 v21, v[17:18], off
	global_load_u16 v22, v[19:20], off
	v_add_co_u32 v17, vcc_lo, v17, 2
	v_add_co_ci_u32_e32 v18, vcc_lo, 0, v18, vcc_lo
	v_add_co_u32 v19, s2, v19, 2
	s_delay_alu instid0(VALU_DEP_1)
	v_add_co_ci_u32_e64 v20, s2, 0, v20, s2
	s_add_u32 s18, s18, 1
	s_addc_u32 s19, s19, 0
	s_and_not1_b32 s2, s31, exec_lo
	s_waitcnt vmcnt(1)
	v_lshlrev_b32_e32 v21, 16, v21
	s_waitcnt vmcnt(0)
	v_lshlrev_b32_e32 v22, 16, v22
	s_delay_alu instid0(VALU_DEP_1) | instskip(SKIP_1) | instid1(SALU_CYCLE_1)
	v_cmp_neq_f32_e32 vcc_lo, v22, v21
	s_and_b32 s31, vcc_lo, exec_lo
	s_or_b32 s31, s2, s31
.LBB1179_126:                           ;   in Loop: Header=BB1179_127 Depth=1
	v_dual_mov_b32 v22, s19 :: v_dual_mov_b32 v21, s18
	s_and_b32 s2, exec_lo, s31
	s_delay_alu instid0(SALU_CYCLE_1) | instskip(NEXT) | instid1(SALU_CYCLE_1)
	s_or_b32 s30, s2, s30
	s_and_not1_b32 exec_lo, exec_lo, s30
	s_cbranch_execz .LBB1179_129
.LBB1179_127:                           ; =>This Inner Loop Header: Depth=1
	s_or_b32 s31, s31, exec_lo
	s_cmp_eq_u64 s[6:7], s[18:19]
	s_cbranch_scc0 .LBB1179_125
; %bb.128:                              ;   in Loop: Header=BB1179_127 Depth=1
	s_mov_b64 s[18:19], s[22:23]
                                        ; implicit-def: $vgpr17_vgpr18
                                        ; implicit-def: $vgpr19_vgpr20
	s_branch .LBB1179_126
.LBB1179_129:
	s_set_inst_prefetch_distance 0x2
	s_or_b32 exec_lo, exec_lo, s30
	v_cmp_gt_i64_e32 vcc_lo, s[22:23], v[21:22]
	s_or_not1_b32 s2, vcc_lo, exec_lo
.LBB1179_130:
	s_or_b32 exec_lo, exec_lo, s26
.LBB1179_131:
	s_delay_alu instid0(SALU_CYCLE_1)
	s_and_b32 s26, s2, exec_lo
.LBB1179_132:
	s_or_b32 exec_lo, exec_lo, s29
	v_or_b32_e32 v17, 4, v39
	s_mov_b32 s29, exec_lo
	s_delay_alu instid0(VALU_DEP_1)
	v_cmpx_gt_u32_e64 s20, v17
	s_cbranch_execz .LBB1179_143
; %bb.133:
	v_cmp_ne_u32_e32 vcc_lo, 1, v25
	s_mov_b32 s2, 0
	s_cbranch_vccnz .LBB1179_142
; %bb.134:
	v_mul_lo_u32 v21, v6, s22
	v_mul_lo_u32 v22, v5, s23
	v_mad_u64_u32 v[17:18], null, v5, s22, 0
	v_mul_lo_u32 v23, v12, s22
	v_mul_lo_u32 v24, v11, s23
	s_waitcnt lgkmcnt(0)
	v_mad_u64_u32 v[19:20], null, v11, s22, 0
	s_mov_b32 s2, -1
	s_mov_b32 s28, exec_lo
	s_delay_alu instid0(VALU_DEP_4) | instskip(NEXT) | instid1(VALU_DEP_2)
	v_add3_u32 v18, v18, v22, v21
	v_add3_u32 v20, v20, v24, v23
	s_delay_alu instid0(VALU_DEP_2) | instskip(NEXT) | instid1(VALU_DEP_2)
	v_lshlrev_b64 v[17:18], 1, v[17:18]
	v_lshlrev_b64 v[19:20], 1, v[19:20]
	s_delay_alu instid0(VALU_DEP_2) | instskip(NEXT) | instid1(VALU_DEP_3)
	v_add_co_u32 v17, vcc_lo, s8, v17
	v_add_co_ci_u32_e32 v18, vcc_lo, s9, v18, vcc_lo
	s_delay_alu instid0(VALU_DEP_3) | instskip(NEXT) | instid1(VALU_DEP_4)
	v_add_co_u32 v19, vcc_lo, s8, v19
	v_add_co_ci_u32_e32 v20, vcc_lo, s9, v20, vcc_lo
	s_clause 0x1
	global_load_u16 v21, v[17:18], off
	global_load_u16 v22, v[19:20], off
	s_waitcnt vmcnt(1)
	v_lshlrev_b32_e32 v21, 16, v21
	s_waitcnt vmcnt(0)
	v_lshlrev_b32_e32 v22, 16, v22
	s_delay_alu instid0(VALU_DEP_1)
	v_cmpx_eq_f32_e32 v22, v21
	s_cbranch_execz .LBB1179_141
; %bb.135:
	v_add_co_u32 v17, vcc_lo, v17, 2
	v_add_co_ci_u32_e32 v18, vcc_lo, 0, v18, vcc_lo
	v_add_co_u32 v19, vcc_lo, v19, 2
	v_add_co_ci_u32_e32 v20, vcc_lo, 0, v20, vcc_lo
	s_add_u32 s6, s22, -1
	s_addc_u32 s7, s23, -1
	s_mov_b64 s[18:19], 0
	s_mov_b32 s30, 0
                                        ; implicit-def: $sgpr31
	s_set_inst_prefetch_distance 0x1
	s_branch .LBB1179_138
	.p2align	6
.LBB1179_136:                           ;   in Loop: Header=BB1179_138 Depth=1
	global_load_u16 v21, v[17:18], off
	global_load_u16 v22, v[19:20], off
	v_add_co_u32 v17, vcc_lo, v17, 2
	v_add_co_ci_u32_e32 v18, vcc_lo, 0, v18, vcc_lo
	v_add_co_u32 v19, s2, v19, 2
	s_delay_alu instid0(VALU_DEP_1)
	v_add_co_ci_u32_e64 v20, s2, 0, v20, s2
	s_add_u32 s18, s18, 1
	s_addc_u32 s19, s19, 0
	s_and_not1_b32 s2, s31, exec_lo
	s_waitcnt vmcnt(1)
	v_lshlrev_b32_e32 v21, 16, v21
	s_waitcnt vmcnt(0)
	v_lshlrev_b32_e32 v22, 16, v22
	s_delay_alu instid0(VALU_DEP_1) | instskip(SKIP_1) | instid1(SALU_CYCLE_1)
	v_cmp_neq_f32_e32 vcc_lo, v22, v21
	s_and_b32 s31, vcc_lo, exec_lo
	s_or_b32 s31, s2, s31
.LBB1179_137:                           ;   in Loop: Header=BB1179_138 Depth=1
	v_dual_mov_b32 v22, s19 :: v_dual_mov_b32 v21, s18
	s_and_b32 s2, exec_lo, s31
	s_delay_alu instid0(SALU_CYCLE_1) | instskip(NEXT) | instid1(SALU_CYCLE_1)
	s_or_b32 s30, s2, s30
	s_and_not1_b32 exec_lo, exec_lo, s30
	s_cbranch_execz .LBB1179_140
.LBB1179_138:                           ; =>This Inner Loop Header: Depth=1
	s_or_b32 s31, s31, exec_lo
	s_cmp_eq_u64 s[6:7], s[18:19]
	s_cbranch_scc0 .LBB1179_136
; %bb.139:                              ;   in Loop: Header=BB1179_138 Depth=1
	s_mov_b64 s[18:19], s[22:23]
                                        ; implicit-def: $vgpr17_vgpr18
                                        ; implicit-def: $vgpr19_vgpr20
	s_branch .LBB1179_137
.LBB1179_140:
	s_set_inst_prefetch_distance 0x2
	s_or_b32 exec_lo, exec_lo, s30
	v_cmp_gt_i64_e32 vcc_lo, s[22:23], v[21:22]
	s_or_not1_b32 s2, vcc_lo, exec_lo
.LBB1179_141:
	s_or_b32 exec_lo, exec_lo, s28
.LBB1179_142:
	s_delay_alu instid0(SALU_CYCLE_1)
	s_and_b32 s28, s2, exec_lo
.LBB1179_143:
	s_or_b32 exec_lo, exec_lo, s29
	v_or_b32_e32 v17, 3, v39
	s_mov_b32 s30, 0
	s_mov_b32 s29, 0
	s_mov_b32 s31, exec_lo
	s_delay_alu instid0(VALU_DEP_1)
	v_cmpx_gt_u32_e64 s20, v17
	s_cbranch_execz .LBB1179_154
; %bb.144:
	v_cmp_ne_u32_e32 vcc_lo, 1, v25
	s_mov_b32 s2, 0
	s_cbranch_vccnz .LBB1179_153
; %bb.145:
	v_mul_lo_u32 v21, v12, s22
	v_mul_lo_u32 v22, v11, s23
	v_mad_u64_u32 v[17:18], null, v11, s22, 0
	v_mul_lo_u32 v23, v10, s22
	v_mul_lo_u32 v24, v9, s23
	s_waitcnt lgkmcnt(0)
	v_mad_u64_u32 v[19:20], null, v9, s22, 0
	s_mov_b32 s2, -1
	s_mov_b32 s29, exec_lo
	s_delay_alu instid0(VALU_DEP_4) | instskip(NEXT) | instid1(VALU_DEP_2)
	v_add3_u32 v18, v18, v22, v21
	v_add3_u32 v20, v20, v24, v23
	s_delay_alu instid0(VALU_DEP_2) | instskip(NEXT) | instid1(VALU_DEP_2)
	v_lshlrev_b64 v[17:18], 1, v[17:18]
	v_lshlrev_b64 v[19:20], 1, v[19:20]
	s_delay_alu instid0(VALU_DEP_2) | instskip(NEXT) | instid1(VALU_DEP_3)
	v_add_co_u32 v17, vcc_lo, s8, v17
	v_add_co_ci_u32_e32 v18, vcc_lo, s9, v18, vcc_lo
	s_delay_alu instid0(VALU_DEP_3) | instskip(NEXT) | instid1(VALU_DEP_4)
	v_add_co_u32 v19, vcc_lo, s8, v19
	v_add_co_ci_u32_e32 v20, vcc_lo, s9, v20, vcc_lo
	s_clause 0x1
	global_load_u16 v21, v[17:18], off
	global_load_u16 v22, v[19:20], off
	s_waitcnt vmcnt(1)
	v_lshlrev_b32_e32 v21, 16, v21
	s_waitcnt vmcnt(0)
	v_lshlrev_b32_e32 v22, 16, v22
	s_delay_alu instid0(VALU_DEP_1)
	v_cmpx_eq_f32_e32 v22, v21
	s_cbranch_execz .LBB1179_152
; %bb.146:
	v_add_co_u32 v17, vcc_lo, v17, 2
	v_add_co_ci_u32_e32 v18, vcc_lo, 0, v18, vcc_lo
	v_add_co_u32 v19, vcc_lo, v19, 2
	v_add_co_ci_u32_e32 v20, vcc_lo, 0, v20, vcc_lo
	s_add_u32 s6, s22, -1
	s_addc_u32 s7, s23, -1
	s_mov_b64 s[18:19], 0
	s_mov_b32 s33, 0
                                        ; implicit-def: $sgpr34
	s_set_inst_prefetch_distance 0x1
	s_branch .LBB1179_149
	.p2align	6
.LBB1179_147:                           ;   in Loop: Header=BB1179_149 Depth=1
	global_load_u16 v21, v[17:18], off
	global_load_u16 v22, v[19:20], off
	v_add_co_u32 v17, vcc_lo, v17, 2
	v_add_co_ci_u32_e32 v18, vcc_lo, 0, v18, vcc_lo
	v_add_co_u32 v19, s2, v19, 2
	s_delay_alu instid0(VALU_DEP_1)
	v_add_co_ci_u32_e64 v20, s2, 0, v20, s2
	s_add_u32 s18, s18, 1
	s_addc_u32 s19, s19, 0
	s_and_not1_b32 s2, s34, exec_lo
	s_waitcnt vmcnt(1)
	v_lshlrev_b32_e32 v21, 16, v21
	s_waitcnt vmcnt(0)
	v_lshlrev_b32_e32 v22, 16, v22
	s_delay_alu instid0(VALU_DEP_1) | instskip(SKIP_1) | instid1(SALU_CYCLE_1)
	v_cmp_neq_f32_e32 vcc_lo, v22, v21
	s_and_b32 s34, vcc_lo, exec_lo
	s_or_b32 s34, s2, s34
.LBB1179_148:                           ;   in Loop: Header=BB1179_149 Depth=1
	v_dual_mov_b32 v22, s19 :: v_dual_mov_b32 v21, s18
	s_and_b32 s2, exec_lo, s34
	s_delay_alu instid0(SALU_CYCLE_1) | instskip(NEXT) | instid1(SALU_CYCLE_1)
	s_or_b32 s33, s2, s33
	s_and_not1_b32 exec_lo, exec_lo, s33
	s_cbranch_execz .LBB1179_151
.LBB1179_149:                           ; =>This Inner Loop Header: Depth=1
	s_or_b32 s34, s34, exec_lo
	s_cmp_eq_u64 s[6:7], s[18:19]
	s_cbranch_scc0 .LBB1179_147
; %bb.150:                              ;   in Loop: Header=BB1179_149 Depth=1
	s_mov_b64 s[18:19], s[22:23]
                                        ; implicit-def: $vgpr17_vgpr18
                                        ; implicit-def: $vgpr19_vgpr20
	s_branch .LBB1179_148
.LBB1179_151:
	s_set_inst_prefetch_distance 0x2
	s_or_b32 exec_lo, exec_lo, s33
	v_cmp_gt_i64_e32 vcc_lo, s[22:23], v[21:22]
	s_or_not1_b32 s2, vcc_lo, exec_lo
.LBB1179_152:
	s_or_b32 exec_lo, exec_lo, s29
.LBB1179_153:
	s_delay_alu instid0(SALU_CYCLE_1)
	s_and_b32 s29, s2, exec_lo
.LBB1179_154:
	s_or_b32 exec_lo, exec_lo, s31
	v_or_b32_e32 v17, 2, v39
	s_mov_b32 s31, exec_lo
	s_delay_alu instid0(VALU_DEP_1)
	v_cmpx_gt_u32_e64 s20, v17
	s_cbranch_execz .LBB1179_165
; %bb.155:
	v_cmp_ne_u32_e32 vcc_lo, 1, v25
	s_mov_b32 s2, 0
	s_cbranch_vccnz .LBB1179_164
; %bb.156:
	v_mul_lo_u32 v21, v10, s22
	v_mul_lo_u32 v22, v9, s23
	v_mad_u64_u32 v[17:18], null, v9, s22, 0
	v_mul_lo_u32 v23, v16, s22
	v_mul_lo_u32 v24, v15, s23
	s_waitcnt lgkmcnt(0)
	v_mad_u64_u32 v[19:20], null, v15, s22, 0
	s_mov_b32 s2, -1
	s_mov_b32 s30, exec_lo
	s_delay_alu instid0(VALU_DEP_4) | instskip(NEXT) | instid1(VALU_DEP_2)
	v_add3_u32 v18, v18, v22, v21
	v_add3_u32 v20, v20, v24, v23
	s_delay_alu instid0(VALU_DEP_2) | instskip(NEXT) | instid1(VALU_DEP_2)
	v_lshlrev_b64 v[17:18], 1, v[17:18]
	v_lshlrev_b64 v[19:20], 1, v[19:20]
	s_delay_alu instid0(VALU_DEP_2) | instskip(NEXT) | instid1(VALU_DEP_3)
	v_add_co_u32 v17, vcc_lo, s8, v17
	v_add_co_ci_u32_e32 v18, vcc_lo, s9, v18, vcc_lo
	s_delay_alu instid0(VALU_DEP_3) | instskip(NEXT) | instid1(VALU_DEP_4)
	v_add_co_u32 v19, vcc_lo, s8, v19
	v_add_co_ci_u32_e32 v20, vcc_lo, s9, v20, vcc_lo
	s_clause 0x1
	global_load_u16 v21, v[17:18], off
	global_load_u16 v22, v[19:20], off
	s_waitcnt vmcnt(1)
	v_lshlrev_b32_e32 v21, 16, v21
	s_waitcnt vmcnt(0)
	v_lshlrev_b32_e32 v22, 16, v22
	s_delay_alu instid0(VALU_DEP_1)
	v_cmpx_eq_f32_e32 v22, v21
	s_cbranch_execz .LBB1179_163
; %bb.157:
	v_add_co_u32 v17, vcc_lo, v17, 2
	v_add_co_ci_u32_e32 v18, vcc_lo, 0, v18, vcc_lo
	v_add_co_u32 v19, vcc_lo, v19, 2
	v_add_co_ci_u32_e32 v20, vcc_lo, 0, v20, vcc_lo
	s_add_u32 s6, s22, -1
	s_addc_u32 s7, s23, -1
	s_mov_b64 s[18:19], 0
	s_mov_b32 s33, 0
                                        ; implicit-def: $sgpr34
	s_set_inst_prefetch_distance 0x1
	s_branch .LBB1179_160
	.p2align	6
.LBB1179_158:                           ;   in Loop: Header=BB1179_160 Depth=1
	global_load_u16 v21, v[17:18], off
	global_load_u16 v22, v[19:20], off
	v_add_co_u32 v17, vcc_lo, v17, 2
	v_add_co_ci_u32_e32 v18, vcc_lo, 0, v18, vcc_lo
	v_add_co_u32 v19, s2, v19, 2
	s_delay_alu instid0(VALU_DEP_1)
	v_add_co_ci_u32_e64 v20, s2, 0, v20, s2
	s_add_u32 s18, s18, 1
	s_addc_u32 s19, s19, 0
	s_and_not1_b32 s2, s34, exec_lo
	s_waitcnt vmcnt(1)
	v_lshlrev_b32_e32 v21, 16, v21
	s_waitcnt vmcnt(0)
	v_lshlrev_b32_e32 v22, 16, v22
	s_delay_alu instid0(VALU_DEP_1) | instskip(SKIP_1) | instid1(SALU_CYCLE_1)
	v_cmp_neq_f32_e32 vcc_lo, v22, v21
	s_and_b32 s34, vcc_lo, exec_lo
	s_or_b32 s34, s2, s34
.LBB1179_159:                           ;   in Loop: Header=BB1179_160 Depth=1
	v_dual_mov_b32 v22, s19 :: v_dual_mov_b32 v21, s18
	s_and_b32 s2, exec_lo, s34
	s_delay_alu instid0(SALU_CYCLE_1) | instskip(NEXT) | instid1(SALU_CYCLE_1)
	s_or_b32 s33, s2, s33
	s_and_not1_b32 exec_lo, exec_lo, s33
	s_cbranch_execz .LBB1179_162
.LBB1179_160:                           ; =>This Inner Loop Header: Depth=1
	s_or_b32 s34, s34, exec_lo
	s_cmp_eq_u64 s[6:7], s[18:19]
	s_cbranch_scc0 .LBB1179_158
; %bb.161:                              ;   in Loop: Header=BB1179_160 Depth=1
	s_mov_b64 s[18:19], s[22:23]
                                        ; implicit-def: $vgpr17_vgpr18
                                        ; implicit-def: $vgpr19_vgpr20
	s_branch .LBB1179_159
.LBB1179_162:
	s_set_inst_prefetch_distance 0x2
	s_or_b32 exec_lo, exec_lo, s33
	v_cmp_gt_i64_e32 vcc_lo, s[22:23], v[21:22]
	s_or_not1_b32 s2, vcc_lo, exec_lo
.LBB1179_163:
	s_or_b32 exec_lo, exec_lo, s30
.LBB1179_164:
	s_delay_alu instid0(SALU_CYCLE_1)
	s_and_b32 s30, s2, exec_lo
.LBB1179_165:
	s_or_b32 exec_lo, exec_lo, s31
	v_or_b32_e32 v17, 1, v39
	s_mov_b32 s2, 0
	s_mov_b32 s31, exec_lo
	s_delay_alu instid0(VALU_DEP_1)
	v_cmpx_gt_u32_e64 s20, v17
	s_cbranch_execz .LBB1179_176
; %bb.166:
	v_cmp_ne_u32_e32 vcc_lo, 1, v25
	s_cbranch_vccnz .LBB1179_175
; %bb.167:
	v_mul_lo_u32 v21, v16, s22
	v_mul_lo_u32 v22, v15, s23
	v_mad_u64_u32 v[17:18], null, v15, s22, 0
	v_mul_lo_u32 v23, v14, s22
	v_mul_lo_u32 v24, v13, s23
	s_waitcnt lgkmcnt(0)
	v_mad_u64_u32 v[19:20], null, v13, s22, 0
	s_mov_b32 s2, -1
	s_mov_b32 s33, exec_lo
	s_delay_alu instid0(VALU_DEP_4) | instskip(NEXT) | instid1(VALU_DEP_2)
	v_add3_u32 v18, v18, v22, v21
	v_add3_u32 v20, v20, v24, v23
	s_delay_alu instid0(VALU_DEP_2) | instskip(NEXT) | instid1(VALU_DEP_2)
	v_lshlrev_b64 v[17:18], 1, v[17:18]
	v_lshlrev_b64 v[19:20], 1, v[19:20]
	s_delay_alu instid0(VALU_DEP_2) | instskip(NEXT) | instid1(VALU_DEP_3)
	v_add_co_u32 v17, vcc_lo, s8, v17
	v_add_co_ci_u32_e32 v18, vcc_lo, s9, v18, vcc_lo
	s_delay_alu instid0(VALU_DEP_3) | instskip(NEXT) | instid1(VALU_DEP_4)
	v_add_co_u32 v19, vcc_lo, s8, v19
	v_add_co_ci_u32_e32 v20, vcc_lo, s9, v20, vcc_lo
	s_clause 0x1
	global_load_u16 v21, v[17:18], off
	global_load_u16 v22, v[19:20], off
	s_waitcnt vmcnt(1)
	v_lshlrev_b32_e32 v21, 16, v21
	s_waitcnt vmcnt(0)
	v_lshlrev_b32_e32 v22, 16, v22
	s_delay_alu instid0(VALU_DEP_1)
	v_cmpx_eq_f32_e32 v22, v21
	s_cbranch_execz .LBB1179_174
; %bb.168:
	v_add_co_u32 v17, vcc_lo, v17, 2
	v_add_co_ci_u32_e32 v18, vcc_lo, 0, v18, vcc_lo
	v_add_co_u32 v19, vcc_lo, v19, 2
	v_add_co_ci_u32_e32 v20, vcc_lo, 0, v20, vcc_lo
	s_add_u32 s6, s22, -1
	s_addc_u32 s7, s23, -1
	s_mov_b64 s[18:19], 0
	s_mov_b32 s34, 0
                                        ; implicit-def: $sgpr35
	s_set_inst_prefetch_distance 0x1
	s_branch .LBB1179_171
	.p2align	6
.LBB1179_169:                           ;   in Loop: Header=BB1179_171 Depth=1
	global_load_u16 v21, v[17:18], off
	global_load_u16 v22, v[19:20], off
	v_add_co_u32 v17, vcc_lo, v17, 2
	v_add_co_ci_u32_e32 v18, vcc_lo, 0, v18, vcc_lo
	v_add_co_u32 v19, s2, v19, 2
	s_delay_alu instid0(VALU_DEP_1)
	v_add_co_ci_u32_e64 v20, s2, 0, v20, s2
	s_add_u32 s18, s18, 1
	s_addc_u32 s19, s19, 0
	s_and_not1_b32 s2, s35, exec_lo
	s_waitcnt vmcnt(1)
	v_lshlrev_b32_e32 v21, 16, v21
	s_waitcnt vmcnt(0)
	v_lshlrev_b32_e32 v22, 16, v22
	s_delay_alu instid0(VALU_DEP_1) | instskip(SKIP_1) | instid1(SALU_CYCLE_1)
	v_cmp_neq_f32_e32 vcc_lo, v22, v21
	s_and_b32 s35, vcc_lo, exec_lo
	s_or_b32 s35, s2, s35
.LBB1179_170:                           ;   in Loop: Header=BB1179_171 Depth=1
	v_dual_mov_b32 v22, s19 :: v_dual_mov_b32 v21, s18
	s_and_b32 s2, exec_lo, s35
	s_delay_alu instid0(SALU_CYCLE_1) | instskip(NEXT) | instid1(SALU_CYCLE_1)
	s_or_b32 s34, s2, s34
	s_and_not1_b32 exec_lo, exec_lo, s34
	s_cbranch_execz .LBB1179_173
.LBB1179_171:                           ; =>This Inner Loop Header: Depth=1
	s_or_b32 s35, s35, exec_lo
	s_cmp_eq_u64 s[6:7], s[18:19]
	s_cbranch_scc0 .LBB1179_169
; %bb.172:                              ;   in Loop: Header=BB1179_171 Depth=1
	s_mov_b64 s[18:19], s[22:23]
                                        ; implicit-def: $vgpr17_vgpr18
                                        ; implicit-def: $vgpr19_vgpr20
	s_branch .LBB1179_170
.LBB1179_173:
	s_set_inst_prefetch_distance 0x2
	s_or_b32 exec_lo, exec_lo, s34
	v_cmp_gt_i64_e32 vcc_lo, s[22:23], v[21:22]
	s_or_not1_b32 s2, vcc_lo, exec_lo
.LBB1179_174:
	s_or_b32 exec_lo, exec_lo, s33
.LBB1179_175:
	s_delay_alu instid0(SALU_CYCLE_1)
	s_and_b32 s2, s2, exec_lo
.LBB1179_176:
	s_or_b32 exec_lo, exec_lo, s31
	s_waitcnt lgkmcnt(0)
	v_dual_mov_b32 v18, s5 :: v_dual_mov_b32 v17, s4
	s_mov_b32 s4, exec_lo
	s_barrier
	buffer_gl0_inv
	v_cmpx_ne_u32_e32 0, v0
	s_cbranch_execz .LBB1179_178
; %bb.177:
	v_add_nc_u32_e32 v17, -8, v39
	ds_load_b64 v[17:18], v17
.LBB1179_178:
	s_or_b32 exec_lo, exec_lo, s4
	v_cndmask_b32_e64 v20, 0, 1, s29
	v_cndmask_b32_e64 v22, 0, 1, s26
	v_cndmask_b32_e64 v23, 0, 1, s27
	v_cndmask_b32_e64 v19, 0, 1, s30
	v_cndmask_b32_e64 v21, 0, 1, s28
	v_cndmask_b32_e64 v24, 0, 1, s3
	v_cndmask_b32_e64 v26, 0, 1, s2
	v_lshlrev_b16 v20, 8, v20
	v_lshlrev_b16 v22, 8, v22
	;; [unrolled: 1-line block ×3, first 2 shown]
	s_mov_b32 s2, 0
	v_lshlrev_b16 v26, 8, v26
	v_or_b32_e32 v19, v19, v20
	v_or_b32_e32 v20, v21, v22
	;; [unrolled: 1-line block ×3, first 2 shown]
	s_mov_b32 s3, exec_lo
	v_and_b32_e32 v23, 0xffff, v26
	v_lshlrev_b32_e32 v24, 16, v19
	v_and_b32_e32 v26, 0xffff, v20
	v_lshlrev_b32_e32 v27, 16, v21
	v_cmpx_gt_u32_e64 s20, v39
	s_cbranch_execz .LBB1179_189
; %bb.179:
	v_cmp_ne_u32_e32 vcc_lo, 1, v25
	s_cbranch_vccnz .LBB1179_188
; %bb.180:
	v_mul_lo_u32 v25, v14, s22
	v_mul_lo_u32 v28, v13, s23
	v_mad_u64_u32 v[19:20], null, v13, s22, 0
	s_waitcnt lgkmcnt(0)
	v_mul_lo_u32 v18, v18, s22
	v_mul_lo_u32 v29, v17, s23
	v_mad_u64_u32 v[21:22], null, v17, s22, 0
	s_mov_b32 s2, -1
	s_mov_b32 s18, exec_lo
	s_delay_alu instid0(VALU_DEP_4) | instskip(NEXT) | instid1(VALU_DEP_2)
	v_add3_u32 v20, v20, v28, v25
	v_add3_u32 v22, v22, v29, v18
	s_delay_alu instid0(VALU_DEP_2) | instskip(NEXT) | instid1(VALU_DEP_2)
	v_lshlrev_b64 v[17:18], 1, v[19:20]
	v_lshlrev_b64 v[19:20], 1, v[21:22]
	s_delay_alu instid0(VALU_DEP_2) | instskip(NEXT) | instid1(VALU_DEP_3)
	v_add_co_u32 v17, vcc_lo, s8, v17
	v_add_co_ci_u32_e32 v18, vcc_lo, s9, v18, vcc_lo
	s_delay_alu instid0(VALU_DEP_3) | instskip(NEXT) | instid1(VALU_DEP_4)
	v_add_co_u32 v19, vcc_lo, s8, v19
	v_add_co_ci_u32_e32 v20, vcc_lo, s9, v20, vcc_lo
	s_clause 0x1
	global_load_u16 v21, v[17:18], off
	global_load_u16 v22, v[19:20], off
	s_waitcnt vmcnt(1)
	v_lshlrev_b32_e32 v21, 16, v21
	s_waitcnt vmcnt(0)
	v_lshlrev_b32_e32 v22, 16, v22
	s_delay_alu instid0(VALU_DEP_1)
	v_cmpx_eq_f32_e32 v22, v21
	s_cbranch_execz .LBB1179_187
; %bb.181:
	v_add_co_u32 v17, vcc_lo, v17, 2
	v_add_co_ci_u32_e32 v18, vcc_lo, 0, v18, vcc_lo
	v_add_co_u32 v19, vcc_lo, v19, 2
	v_add_co_ci_u32_e32 v20, vcc_lo, 0, v20, vcc_lo
	s_add_u32 s4, s22, -1
	s_addc_u32 s5, s23, -1
	s_mov_b64 s[6:7], 0
	s_mov_b32 s19, 0
                                        ; implicit-def: $sgpr26
	s_set_inst_prefetch_distance 0x1
	s_branch .LBB1179_184
	.p2align	6
.LBB1179_182:                           ;   in Loop: Header=BB1179_184 Depth=1
	global_load_u16 v21, v[17:18], off
	global_load_u16 v22, v[19:20], off
	v_add_co_u32 v17, vcc_lo, v17, 2
	v_add_co_ci_u32_e32 v18, vcc_lo, 0, v18, vcc_lo
	v_add_co_u32 v19, s2, v19, 2
	s_delay_alu instid0(VALU_DEP_1)
	v_add_co_ci_u32_e64 v20, s2, 0, v20, s2
	s_add_u32 s6, s6, 1
	s_addc_u32 s7, s7, 0
	s_and_not1_b32 s2, s26, exec_lo
	s_waitcnt vmcnt(1)
	v_lshlrev_b32_e32 v21, 16, v21
	s_waitcnt vmcnt(0)
	v_lshlrev_b32_e32 v22, 16, v22
	s_delay_alu instid0(VALU_DEP_1) | instskip(SKIP_1) | instid1(SALU_CYCLE_1)
	v_cmp_neq_f32_e32 vcc_lo, v22, v21
	s_and_b32 s26, vcc_lo, exec_lo
	s_or_b32 s26, s2, s26
.LBB1179_183:                           ;   in Loop: Header=BB1179_184 Depth=1
	v_dual_mov_b32 v22, s7 :: v_dual_mov_b32 v21, s6
	s_and_b32 s2, exec_lo, s26
	s_delay_alu instid0(SALU_CYCLE_1) | instskip(NEXT) | instid1(SALU_CYCLE_1)
	s_or_b32 s19, s2, s19
	s_and_not1_b32 exec_lo, exec_lo, s19
	s_cbranch_execz .LBB1179_186
.LBB1179_184:                           ; =>This Inner Loop Header: Depth=1
	s_or_b32 s26, s26, exec_lo
	s_cmp_eq_u64 s[4:5], s[6:7]
	s_cbranch_scc0 .LBB1179_182
; %bb.185:                              ;   in Loop: Header=BB1179_184 Depth=1
	s_mov_b64 s[6:7], s[22:23]
                                        ; implicit-def: $vgpr17_vgpr18
                                        ; implicit-def: $vgpr19_vgpr20
	s_branch .LBB1179_183
.LBB1179_186:
	s_set_inst_prefetch_distance 0x2
	s_or_b32 exec_lo, exec_lo, s19
	v_cmp_gt_i64_e32 vcc_lo, s[22:23], v[21:22]
	s_or_not1_b32 s2, vcc_lo, exec_lo
.LBB1179_187:
	s_or_b32 exec_lo, exec_lo, s18
.LBB1179_188:
	s_delay_alu instid0(SALU_CYCLE_1)
	s_and_b32 s2, s2, exec_lo
.LBB1179_189:
	s_or_b32 exec_lo, exec_lo, s3
	s_waitcnt lgkmcnt(0)
	v_or_b32_e32 v17, v23, v24
	v_or_b32_e32 v18, v26, v27
.LBB1179_190:
	s_mov_b32 s18, -1
	s_cbranch_execnz .LBB1179_359
.LBB1179_191:
	v_cmp_gt_i64_e64 s3, s[22:23], 0
	s_and_b32 vcc_lo, exec_lo, s21
	ds_store_b64 v39, v[3:4]
	s_cbranch_vccz .LBB1179_199
; %bb.192:
	s_waitcnt lgkmcnt(0)
	v_mul_lo_u32 v19, v2, s22
	v_mul_lo_u32 v20, v1, s23
	v_mad_u64_u32 v[17:18], null, v1, s22, 0
	s_mov_b32 s19, 0
	s_and_not1_b32 vcc_lo, exec_lo, s3
	s_mov_b32 s26, 0
	s_delay_alu instid0(VALU_DEP_1) | instskip(NEXT) | instid1(VALU_DEP_1)
	v_add3_u32 v18, v18, v20, v19
	v_lshlrev_b64 v[17:18], 1, v[17:18]
	s_cbranch_vccnz .LBB1179_202
; %bb.193:
	v_mul_lo_u32 v21, v4, s22
	v_mul_lo_u32 v22, v3, s23
	v_mad_u64_u32 v[19:20], null, v3, s22, 0
	s_mov_b32 s26, -1
	s_mov_b32 s27, exec_lo
	s_delay_alu instid0(VALU_DEP_1) | instskip(NEXT) | instid1(VALU_DEP_1)
	v_add3_u32 v20, v20, v22, v21
	v_lshlrev_b64 v[19:20], 1, v[19:20]
	s_delay_alu instid0(VALU_DEP_1) | instskip(NEXT) | instid1(VALU_DEP_2)
	v_add_co_u32 v19, vcc_lo, s8, v19
	v_add_co_ci_u32_e32 v20, vcc_lo, s9, v20, vcc_lo
	v_add_co_u32 v21, vcc_lo, s8, v17
	v_add_co_ci_u32_e32 v22, vcc_lo, s9, v18, vcc_lo
	s_clause 0x1
	global_load_u16 v23, v[19:20], off
	global_load_u16 v24, v[21:22], off
	s_waitcnt vmcnt(1)
	v_lshlrev_b32_e32 v23, 16, v23
	s_waitcnt vmcnt(0)
	v_lshlrev_b32_e32 v24, 16, v24
	s_delay_alu instid0(VALU_DEP_1)
	v_cmpx_eq_f32_e32 v24, v23
	s_cbranch_execz .LBB1179_201
; %bb.194:
	v_add_co_u32 v19, vcc_lo, v19, 2
	v_add_co_ci_u32_e32 v20, vcc_lo, 0, v20, vcc_lo
	v_add_co_u32 v21, vcc_lo, v21, 2
	v_add_co_ci_u32_e32 v22, vcc_lo, 0, v22, vcc_lo
	s_add_u32 s4, s22, -1
	s_addc_u32 s5, s23, -1
	s_mov_b64 s[6:7], 0
	s_mov_b32 s26, 0
                                        ; implicit-def: $sgpr28
	s_set_inst_prefetch_distance 0x1
	s_branch .LBB1179_197
	.p2align	6
.LBB1179_195:                           ;   in Loop: Header=BB1179_197 Depth=1
	global_load_u16 v23, v[19:20], off
	global_load_u16 v24, v[21:22], off
	v_add_co_u32 v19, vcc_lo, v19, 2
	v_add_co_ci_u32_e32 v20, vcc_lo, 0, v20, vcc_lo
	v_add_co_u32 v21, s2, v21, 2
	s_delay_alu instid0(VALU_DEP_1)
	v_add_co_ci_u32_e64 v22, s2, 0, v22, s2
	s_add_u32 s6, s6, 1
	s_addc_u32 s7, s7, 0
	s_and_not1_b32 s2, s28, exec_lo
	s_waitcnt vmcnt(1)
	v_lshlrev_b32_e32 v23, 16, v23
	s_waitcnt vmcnt(0)
	v_lshlrev_b32_e32 v24, 16, v24
	s_delay_alu instid0(VALU_DEP_1) | instskip(SKIP_1) | instid1(SALU_CYCLE_1)
	v_cmp_neq_f32_e32 vcc_lo, v24, v23
	s_and_b32 s28, vcc_lo, exec_lo
	s_or_b32 s28, s2, s28
.LBB1179_196:                           ;   in Loop: Header=BB1179_197 Depth=1
	v_dual_mov_b32 v24, s7 :: v_dual_mov_b32 v23, s6
	s_and_b32 s2, exec_lo, s28
	s_delay_alu instid0(SALU_CYCLE_1) | instskip(NEXT) | instid1(SALU_CYCLE_1)
	s_or_b32 s26, s2, s26
	s_and_not1_b32 exec_lo, exec_lo, s26
	s_cbranch_execz .LBB1179_200
.LBB1179_197:                           ; =>This Inner Loop Header: Depth=1
	s_or_b32 s28, s28, exec_lo
	s_cmp_eq_u64 s[4:5], s[6:7]
	s_cbranch_scc0 .LBB1179_195
; %bb.198:                              ;   in Loop: Header=BB1179_197 Depth=1
	s_mov_b64 s[6:7], s[22:23]
                                        ; implicit-def: $vgpr19_vgpr20
                                        ; implicit-def: $vgpr21_vgpr22
	s_branch .LBB1179_196
.LBB1179_199:
	s_waitcnt lgkmcnt(0)
                                        ; implicit-def: $sgpr2
                                        ; implicit-def: $vgpr18
	s_cbranch_execnz .LBB1179_268
	s_branch .LBB1179_359
.LBB1179_200:
	s_set_inst_prefetch_distance 0x2
	s_or_b32 exec_lo, exec_lo, s26
	v_cmp_gt_i64_e32 vcc_lo, s[22:23], v[23:24]
	s_or_not1_b32 s26, vcc_lo, exec_lo
.LBB1179_201:
	s_or_b32 exec_lo, exec_lo, s27
.LBB1179_202:
	v_mul_lo_u32 v21, v8, s22
	v_mul_lo_u32 v22, v7, s23
	v_mad_u64_u32 v[19:20], null, v7, s22, 0
	s_and_not1_b32 vcc_lo, exec_lo, s3
	s_delay_alu instid0(VALU_DEP_1) | instskip(NEXT) | instid1(VALU_DEP_1)
	v_add3_u32 v20, v20, v22, v21
	v_lshlrev_b64 v[19:20], 1, v[19:20]
	s_cbranch_vccnz .LBB1179_211
; %bb.203:
	v_add_co_u32 v17, vcc_lo, s8, v17
	v_add_co_ci_u32_e32 v18, vcc_lo, s9, v18, vcc_lo
	s_delay_alu instid0(VALU_DEP_3) | instskip(NEXT) | instid1(VALU_DEP_4)
	v_add_co_u32 v21, vcc_lo, s8, v19
	v_add_co_ci_u32_e32 v22, vcc_lo, s9, v20, vcc_lo
	s_mov_b32 s19, -1
	s_clause 0x1
	global_load_u16 v23, v[17:18], off
	global_load_u16 v24, v[21:22], off
	s_mov_b32 s27, exec_lo
	s_waitcnt vmcnt(1)
	v_lshlrev_b32_e32 v23, 16, v23
	s_waitcnt vmcnt(0)
	v_lshlrev_b32_e32 v24, 16, v24
	s_delay_alu instid0(VALU_DEP_1)
	v_cmpx_eq_f32_e32 v24, v23
	s_cbranch_execz .LBB1179_210
; %bb.204:
	v_add_co_u32 v17, vcc_lo, v17, 2
	v_add_co_ci_u32_e32 v18, vcc_lo, 0, v18, vcc_lo
	v_add_co_u32 v21, vcc_lo, v21, 2
	v_add_co_ci_u32_e32 v22, vcc_lo, 0, v22, vcc_lo
	s_add_u32 s4, s22, -1
	s_addc_u32 s5, s23, -1
	s_mov_b64 s[6:7], 0
	s_mov_b32 s19, 0
                                        ; implicit-def: $sgpr28
	s_set_inst_prefetch_distance 0x1
	s_branch .LBB1179_207
	.p2align	6
.LBB1179_205:                           ;   in Loop: Header=BB1179_207 Depth=1
	global_load_u16 v23, v[17:18], off
	global_load_u16 v24, v[21:22], off
	v_add_co_u32 v17, vcc_lo, v17, 2
	v_add_co_ci_u32_e32 v18, vcc_lo, 0, v18, vcc_lo
	v_add_co_u32 v21, s2, v21, 2
	s_delay_alu instid0(VALU_DEP_1)
	v_add_co_ci_u32_e64 v22, s2, 0, v22, s2
	s_add_u32 s6, s6, 1
	s_addc_u32 s7, s7, 0
	s_and_not1_b32 s2, s28, exec_lo
	s_waitcnt vmcnt(1)
	v_lshlrev_b32_e32 v23, 16, v23
	s_waitcnt vmcnt(0)
	v_lshlrev_b32_e32 v24, 16, v24
	s_delay_alu instid0(VALU_DEP_1) | instskip(SKIP_1) | instid1(SALU_CYCLE_1)
	v_cmp_neq_f32_e32 vcc_lo, v24, v23
	s_and_b32 s28, vcc_lo, exec_lo
	s_or_b32 s28, s2, s28
.LBB1179_206:                           ;   in Loop: Header=BB1179_207 Depth=1
	v_dual_mov_b32 v24, s7 :: v_dual_mov_b32 v23, s6
	s_and_b32 s2, exec_lo, s28
	s_delay_alu instid0(SALU_CYCLE_1) | instskip(NEXT) | instid1(SALU_CYCLE_1)
	s_or_b32 s19, s2, s19
	s_and_not1_b32 exec_lo, exec_lo, s19
	s_cbranch_execz .LBB1179_209
.LBB1179_207:                           ; =>This Inner Loop Header: Depth=1
	s_or_b32 s28, s28, exec_lo
	s_cmp_eq_u64 s[4:5], s[6:7]
	s_cbranch_scc0 .LBB1179_205
; %bb.208:                              ;   in Loop: Header=BB1179_207 Depth=1
	s_mov_b64 s[6:7], s[22:23]
                                        ; implicit-def: $vgpr17_vgpr18
                                        ; implicit-def: $vgpr21_vgpr22
	s_branch .LBB1179_206
.LBB1179_209:
	s_set_inst_prefetch_distance 0x2
	s_or_b32 exec_lo, exec_lo, s19
	v_cmp_gt_i64_e32 vcc_lo, s[22:23], v[23:24]
	s_or_not1_b32 s19, vcc_lo, exec_lo
.LBB1179_210:
	s_or_b32 exec_lo, exec_lo, s27
.LBB1179_211:
	v_mul_lo_u32 v21, v6, s22
	v_mul_lo_u32 v22, v5, s23
	v_mad_u64_u32 v[17:18], null, v5, s22, 0
	s_mov_b32 s27, 0
	s_and_not1_b32 vcc_lo, exec_lo, s3
	s_mov_b32 s28, 0
	s_delay_alu instid0(VALU_DEP_1) | instskip(NEXT) | instid1(VALU_DEP_1)
	v_add3_u32 v18, v18, v22, v21
	v_lshlrev_b64 v[21:22], 1, v[17:18]
	s_cbranch_vccnz .LBB1179_220
; %bb.212:
	v_add_co_u32 v17, vcc_lo, s8, v19
	v_add_co_ci_u32_e32 v18, vcc_lo, s9, v20, vcc_lo
	s_delay_alu instid0(VALU_DEP_3) | instskip(NEXT) | instid1(VALU_DEP_4)
	v_add_co_u32 v19, vcc_lo, s8, v21
	v_add_co_ci_u32_e32 v20, vcc_lo, s9, v22, vcc_lo
	s_mov_b32 s28, -1
	s_clause 0x1
	global_load_u16 v23, v[17:18], off
	global_load_u16 v24, v[19:20], off
	s_mov_b32 s29, exec_lo
	s_waitcnt vmcnt(1)
	v_lshlrev_b32_e32 v23, 16, v23
	s_waitcnt vmcnt(0)
	v_lshlrev_b32_e32 v24, 16, v24
	s_delay_alu instid0(VALU_DEP_1)
	v_cmpx_eq_f32_e32 v24, v23
	s_cbranch_execz .LBB1179_219
; %bb.213:
	v_add_co_u32 v17, vcc_lo, v17, 2
	v_add_co_ci_u32_e32 v18, vcc_lo, 0, v18, vcc_lo
	v_add_co_u32 v19, vcc_lo, v19, 2
	v_add_co_ci_u32_e32 v20, vcc_lo, 0, v20, vcc_lo
	s_add_u32 s4, s22, -1
	s_addc_u32 s5, s23, -1
	s_mov_b64 s[6:7], 0
	s_mov_b32 s28, 0
                                        ; implicit-def: $sgpr30
	s_set_inst_prefetch_distance 0x1
	s_branch .LBB1179_216
	.p2align	6
.LBB1179_214:                           ;   in Loop: Header=BB1179_216 Depth=1
	global_load_u16 v23, v[17:18], off
	global_load_u16 v24, v[19:20], off
	v_add_co_u32 v17, vcc_lo, v17, 2
	v_add_co_ci_u32_e32 v18, vcc_lo, 0, v18, vcc_lo
	v_add_co_u32 v19, s2, v19, 2
	s_delay_alu instid0(VALU_DEP_1)
	v_add_co_ci_u32_e64 v20, s2, 0, v20, s2
	s_add_u32 s6, s6, 1
	s_addc_u32 s7, s7, 0
	s_and_not1_b32 s2, s30, exec_lo
	s_waitcnt vmcnt(1)
	v_lshlrev_b32_e32 v23, 16, v23
	s_waitcnt vmcnt(0)
	v_lshlrev_b32_e32 v24, 16, v24
	s_delay_alu instid0(VALU_DEP_1) | instskip(SKIP_1) | instid1(SALU_CYCLE_1)
	v_cmp_neq_f32_e32 vcc_lo, v24, v23
	s_and_b32 s30, vcc_lo, exec_lo
	s_or_b32 s30, s2, s30
.LBB1179_215:                           ;   in Loop: Header=BB1179_216 Depth=1
	v_dual_mov_b32 v24, s7 :: v_dual_mov_b32 v23, s6
	s_and_b32 s2, exec_lo, s30
	s_delay_alu instid0(SALU_CYCLE_1) | instskip(NEXT) | instid1(SALU_CYCLE_1)
	s_or_b32 s28, s2, s28
	s_and_not1_b32 exec_lo, exec_lo, s28
	s_cbranch_execz .LBB1179_218
.LBB1179_216:                           ; =>This Inner Loop Header: Depth=1
	s_or_b32 s30, s30, exec_lo
	s_cmp_eq_u64 s[4:5], s[6:7]
	s_cbranch_scc0 .LBB1179_214
; %bb.217:                              ;   in Loop: Header=BB1179_216 Depth=1
	s_mov_b64 s[6:7], s[22:23]
                                        ; implicit-def: $vgpr17_vgpr18
                                        ; implicit-def: $vgpr19_vgpr20
	s_branch .LBB1179_215
.LBB1179_218:
	s_set_inst_prefetch_distance 0x2
	s_or_b32 exec_lo, exec_lo, s28
	v_cmp_gt_i64_e32 vcc_lo, s[22:23], v[23:24]
	s_or_not1_b32 s28, vcc_lo, exec_lo
.LBB1179_219:
	s_or_b32 exec_lo, exec_lo, s29
.LBB1179_220:
	v_mul_lo_u32 v19, v12, s22
	v_mul_lo_u32 v20, v11, s23
	v_mad_u64_u32 v[17:18], null, v11, s22, 0
	s_and_not1_b32 vcc_lo, exec_lo, s3
	s_delay_alu instid0(VALU_DEP_1) | instskip(NEXT) | instid1(VALU_DEP_1)
	v_add3_u32 v18, v18, v20, v19
	v_lshlrev_b64 v[17:18], 1, v[17:18]
	s_cbranch_vccnz .LBB1179_229
; %bb.221:
	v_add_co_u32 v19, vcc_lo, s8, v21
	v_add_co_ci_u32_e32 v20, vcc_lo, s9, v22, vcc_lo
	s_delay_alu instid0(VALU_DEP_3) | instskip(NEXT) | instid1(VALU_DEP_4)
	v_add_co_u32 v21, vcc_lo, s8, v17
	v_add_co_ci_u32_e32 v22, vcc_lo, s9, v18, vcc_lo
	s_mov_b32 s27, -1
	s_clause 0x1
	global_load_u16 v23, v[19:20], off
	global_load_u16 v24, v[21:22], off
	s_mov_b32 s29, exec_lo
	s_waitcnt vmcnt(1)
	v_lshlrev_b32_e32 v23, 16, v23
	s_waitcnt vmcnt(0)
	v_lshlrev_b32_e32 v24, 16, v24
	s_delay_alu instid0(VALU_DEP_1)
	v_cmpx_eq_f32_e32 v24, v23
	s_cbranch_execz .LBB1179_228
; %bb.222:
	v_add_co_u32 v19, vcc_lo, v19, 2
	v_add_co_ci_u32_e32 v20, vcc_lo, 0, v20, vcc_lo
	v_add_co_u32 v21, vcc_lo, v21, 2
	v_add_co_ci_u32_e32 v22, vcc_lo, 0, v22, vcc_lo
	s_add_u32 s4, s22, -1
	s_addc_u32 s5, s23, -1
	s_mov_b64 s[6:7], 0
	s_mov_b32 s27, 0
                                        ; implicit-def: $sgpr30
	s_set_inst_prefetch_distance 0x1
	s_branch .LBB1179_225
	.p2align	6
.LBB1179_223:                           ;   in Loop: Header=BB1179_225 Depth=1
	global_load_u16 v23, v[19:20], off
	global_load_u16 v24, v[21:22], off
	v_add_co_u32 v19, vcc_lo, v19, 2
	v_add_co_ci_u32_e32 v20, vcc_lo, 0, v20, vcc_lo
	v_add_co_u32 v21, s2, v21, 2
	s_delay_alu instid0(VALU_DEP_1)
	v_add_co_ci_u32_e64 v22, s2, 0, v22, s2
	s_add_u32 s6, s6, 1
	s_addc_u32 s7, s7, 0
	s_and_not1_b32 s2, s30, exec_lo
	s_waitcnt vmcnt(1)
	v_lshlrev_b32_e32 v23, 16, v23
	s_waitcnt vmcnt(0)
	v_lshlrev_b32_e32 v24, 16, v24
	s_delay_alu instid0(VALU_DEP_1) | instskip(SKIP_1) | instid1(SALU_CYCLE_1)
	v_cmp_neq_f32_e32 vcc_lo, v24, v23
	s_and_b32 s30, vcc_lo, exec_lo
	s_or_b32 s30, s2, s30
.LBB1179_224:                           ;   in Loop: Header=BB1179_225 Depth=1
	v_dual_mov_b32 v24, s7 :: v_dual_mov_b32 v23, s6
	s_and_b32 s2, exec_lo, s30
	s_delay_alu instid0(SALU_CYCLE_1) | instskip(NEXT) | instid1(SALU_CYCLE_1)
	s_or_b32 s27, s2, s27
	s_and_not1_b32 exec_lo, exec_lo, s27
	s_cbranch_execz .LBB1179_227
.LBB1179_225:                           ; =>This Inner Loop Header: Depth=1
	s_or_b32 s30, s30, exec_lo
	s_cmp_eq_u64 s[4:5], s[6:7]
	s_cbranch_scc0 .LBB1179_223
; %bb.226:                              ;   in Loop: Header=BB1179_225 Depth=1
	s_mov_b64 s[6:7], s[22:23]
                                        ; implicit-def: $vgpr19_vgpr20
                                        ; implicit-def: $vgpr21_vgpr22
	s_branch .LBB1179_224
.LBB1179_227:
	s_set_inst_prefetch_distance 0x2
	s_or_b32 exec_lo, exec_lo, s27
	v_cmp_gt_i64_e32 vcc_lo, s[22:23], v[23:24]
	s_or_not1_b32 s27, vcc_lo, exec_lo
.LBB1179_228:
	s_or_b32 exec_lo, exec_lo, s29
.LBB1179_229:
	v_mul_lo_u32 v21, v10, s22
	v_mul_lo_u32 v22, v9, s23
	v_mad_u64_u32 v[19:20], null, v9, s22, 0
	s_mov_b32 s29, 0
	s_and_not1_b32 vcc_lo, exec_lo, s3
	s_mov_b32 s30, 0
	s_delay_alu instid0(VALU_DEP_1) | instskip(NEXT) | instid1(VALU_DEP_1)
	v_add3_u32 v20, v20, v22, v21
	v_lshlrev_b64 v[19:20], 1, v[19:20]
	s_cbranch_vccnz .LBB1179_238
; %bb.230:
	v_add_co_u32 v17, vcc_lo, s8, v17
	v_add_co_ci_u32_e32 v18, vcc_lo, s9, v18, vcc_lo
	s_delay_alu instid0(VALU_DEP_3) | instskip(NEXT) | instid1(VALU_DEP_4)
	v_add_co_u32 v21, vcc_lo, s8, v19
	v_add_co_ci_u32_e32 v22, vcc_lo, s9, v20, vcc_lo
	s_mov_b32 s30, -1
	s_clause 0x1
	global_load_u16 v23, v[17:18], off
	global_load_u16 v24, v[21:22], off
	s_mov_b32 s31, exec_lo
	s_waitcnt vmcnt(1)
	v_lshlrev_b32_e32 v23, 16, v23
	s_waitcnt vmcnt(0)
	v_lshlrev_b32_e32 v24, 16, v24
	s_delay_alu instid0(VALU_DEP_1)
	v_cmpx_eq_f32_e32 v24, v23
	s_cbranch_execz .LBB1179_237
; %bb.231:
	v_add_co_u32 v17, vcc_lo, v17, 2
	v_add_co_ci_u32_e32 v18, vcc_lo, 0, v18, vcc_lo
	v_add_co_u32 v21, vcc_lo, v21, 2
	v_add_co_ci_u32_e32 v22, vcc_lo, 0, v22, vcc_lo
	s_add_u32 s4, s22, -1
	s_addc_u32 s5, s23, -1
	s_mov_b64 s[6:7], 0
	s_mov_b32 s30, 0
                                        ; implicit-def: $sgpr33
	s_set_inst_prefetch_distance 0x1
	s_branch .LBB1179_234
	.p2align	6
.LBB1179_232:                           ;   in Loop: Header=BB1179_234 Depth=1
	global_load_u16 v23, v[17:18], off
	global_load_u16 v24, v[21:22], off
	v_add_co_u32 v17, vcc_lo, v17, 2
	v_add_co_ci_u32_e32 v18, vcc_lo, 0, v18, vcc_lo
	v_add_co_u32 v21, s2, v21, 2
	s_delay_alu instid0(VALU_DEP_1)
	v_add_co_ci_u32_e64 v22, s2, 0, v22, s2
	s_add_u32 s6, s6, 1
	s_addc_u32 s7, s7, 0
	s_and_not1_b32 s2, s33, exec_lo
	s_waitcnt vmcnt(1)
	v_lshlrev_b32_e32 v23, 16, v23
	s_waitcnt vmcnt(0)
	v_lshlrev_b32_e32 v24, 16, v24
	s_delay_alu instid0(VALU_DEP_1) | instskip(SKIP_1) | instid1(SALU_CYCLE_1)
	v_cmp_neq_f32_e32 vcc_lo, v24, v23
	s_and_b32 s33, vcc_lo, exec_lo
	s_or_b32 s33, s2, s33
.LBB1179_233:                           ;   in Loop: Header=BB1179_234 Depth=1
	v_dual_mov_b32 v24, s7 :: v_dual_mov_b32 v23, s6
	s_and_b32 s2, exec_lo, s33
	s_delay_alu instid0(SALU_CYCLE_1) | instskip(NEXT) | instid1(SALU_CYCLE_1)
	s_or_b32 s30, s2, s30
	s_and_not1_b32 exec_lo, exec_lo, s30
	s_cbranch_execz .LBB1179_236
.LBB1179_234:                           ; =>This Inner Loop Header: Depth=1
	s_or_b32 s33, s33, exec_lo
	s_cmp_eq_u64 s[4:5], s[6:7]
	s_cbranch_scc0 .LBB1179_232
; %bb.235:                              ;   in Loop: Header=BB1179_234 Depth=1
	s_mov_b64 s[6:7], s[22:23]
                                        ; implicit-def: $vgpr17_vgpr18
                                        ; implicit-def: $vgpr21_vgpr22
	s_branch .LBB1179_233
.LBB1179_236:
	s_set_inst_prefetch_distance 0x2
	s_or_b32 exec_lo, exec_lo, s30
	v_cmp_gt_i64_e32 vcc_lo, s[22:23], v[23:24]
	s_or_not1_b32 s30, vcc_lo, exec_lo
.LBB1179_237:
	s_or_b32 exec_lo, exec_lo, s31
.LBB1179_238:
	v_mul_lo_u32 v21, v16, s22
	v_mul_lo_u32 v22, v15, s23
	v_mad_u64_u32 v[17:18], null, v15, s22, 0
	s_and_not1_b32 vcc_lo, exec_lo, s3
	s_delay_alu instid0(VALU_DEP_1) | instskip(NEXT) | instid1(VALU_DEP_1)
	v_add3_u32 v18, v18, v22, v21
	v_lshlrev_b64 v[17:18], 1, v[17:18]
	s_cbranch_vccnz .LBB1179_247
; %bb.239:
	v_add_co_u32 v19, vcc_lo, s8, v19
	v_add_co_ci_u32_e32 v20, vcc_lo, s9, v20, vcc_lo
	s_delay_alu instid0(VALU_DEP_3) | instskip(NEXT) | instid1(VALU_DEP_4)
	v_add_co_u32 v21, vcc_lo, s8, v17
	v_add_co_ci_u32_e32 v22, vcc_lo, s9, v18, vcc_lo
	s_mov_b32 s29, -1
	s_clause 0x1
	global_load_u16 v23, v[19:20], off
	global_load_u16 v24, v[21:22], off
	s_mov_b32 s31, exec_lo
	s_waitcnt vmcnt(1)
	v_lshlrev_b32_e32 v23, 16, v23
	s_waitcnt vmcnt(0)
	v_lshlrev_b32_e32 v24, 16, v24
	s_delay_alu instid0(VALU_DEP_1)
	v_cmpx_eq_f32_e32 v24, v23
	s_cbranch_execz .LBB1179_246
; %bb.240:
	v_add_co_u32 v19, vcc_lo, v19, 2
	v_add_co_ci_u32_e32 v20, vcc_lo, 0, v20, vcc_lo
	v_add_co_u32 v21, vcc_lo, v21, 2
	v_add_co_ci_u32_e32 v22, vcc_lo, 0, v22, vcc_lo
	s_add_u32 s4, s22, -1
	s_addc_u32 s5, s23, -1
	s_mov_b64 s[6:7], 0
	s_mov_b32 s29, 0
                                        ; implicit-def: $sgpr33
	s_set_inst_prefetch_distance 0x1
	s_branch .LBB1179_243
	.p2align	6
.LBB1179_241:                           ;   in Loop: Header=BB1179_243 Depth=1
	global_load_u16 v23, v[19:20], off
	global_load_u16 v24, v[21:22], off
	v_add_co_u32 v19, vcc_lo, v19, 2
	v_add_co_ci_u32_e32 v20, vcc_lo, 0, v20, vcc_lo
	v_add_co_u32 v21, s2, v21, 2
	s_delay_alu instid0(VALU_DEP_1)
	v_add_co_ci_u32_e64 v22, s2, 0, v22, s2
	s_add_u32 s6, s6, 1
	s_addc_u32 s7, s7, 0
	s_and_not1_b32 s2, s33, exec_lo
	s_waitcnt vmcnt(1)
	v_lshlrev_b32_e32 v23, 16, v23
	s_waitcnt vmcnt(0)
	v_lshlrev_b32_e32 v24, 16, v24
	s_delay_alu instid0(VALU_DEP_1) | instskip(SKIP_1) | instid1(SALU_CYCLE_1)
	v_cmp_neq_f32_e32 vcc_lo, v24, v23
	s_and_b32 s33, vcc_lo, exec_lo
	s_or_b32 s33, s2, s33
.LBB1179_242:                           ;   in Loop: Header=BB1179_243 Depth=1
	v_dual_mov_b32 v24, s7 :: v_dual_mov_b32 v23, s6
	s_and_b32 s2, exec_lo, s33
	s_delay_alu instid0(SALU_CYCLE_1) | instskip(NEXT) | instid1(SALU_CYCLE_1)
	s_or_b32 s29, s2, s29
	s_and_not1_b32 exec_lo, exec_lo, s29
	s_cbranch_execz .LBB1179_245
.LBB1179_243:                           ; =>This Inner Loop Header: Depth=1
	s_or_b32 s33, s33, exec_lo
	s_cmp_eq_u64 s[4:5], s[6:7]
	s_cbranch_scc0 .LBB1179_241
; %bb.244:                              ;   in Loop: Header=BB1179_243 Depth=1
	s_mov_b64 s[6:7], s[22:23]
                                        ; implicit-def: $vgpr19_vgpr20
                                        ; implicit-def: $vgpr21_vgpr22
	s_branch .LBB1179_242
.LBB1179_245:
	s_set_inst_prefetch_distance 0x2
	s_or_b32 exec_lo, exec_lo, s29
	v_cmp_gt_i64_e32 vcc_lo, s[22:23], v[23:24]
	s_or_not1_b32 s29, vcc_lo, exec_lo
.LBB1179_246:
	s_or_b32 exec_lo, exec_lo, s31
.LBB1179_247:
	v_mul_lo_u32 v21, v14, s22
	v_mul_lo_u32 v22, v13, s23
	v_mad_u64_u32 v[19:20], null, v13, s22, 0
	s_and_not1_b32 vcc_lo, exec_lo, s3
	s_mov_b32 s2, 0
	s_delay_alu instid0(VALU_DEP_1)
	v_add3_u32 v20, v20, v22, v21
	s_cbranch_vccnz .LBB1179_256
; %bb.248:
	s_delay_alu instid0(VALU_DEP_1) | instskip(SKIP_3) | instid1(VALU_DEP_3)
	v_lshlrev_b64 v[21:22], 1, v[19:20]
	v_add_co_u32 v17, vcc_lo, s8, v17
	v_add_co_ci_u32_e32 v18, vcc_lo, s9, v18, vcc_lo
	s_mov_b32 s2, -1
	v_add_co_u32 v21, vcc_lo, s8, v21
	s_delay_alu instid0(VALU_DEP_4)
	v_add_co_ci_u32_e32 v22, vcc_lo, s9, v22, vcc_lo
	s_mov_b32 s31, exec_lo
	s_clause 0x1
	global_load_u16 v23, v[17:18], off
	global_load_u16 v24, v[21:22], off
	s_waitcnt vmcnt(1)
	v_lshlrev_b32_e32 v23, 16, v23
	s_waitcnt vmcnt(0)
	v_lshlrev_b32_e32 v24, 16, v24
	s_delay_alu instid0(VALU_DEP_1)
	v_cmpx_eq_f32_e32 v24, v23
	s_cbranch_execz .LBB1179_255
; %bb.249:
	v_add_co_u32 v17, vcc_lo, v17, 2
	v_add_co_ci_u32_e32 v18, vcc_lo, 0, v18, vcc_lo
	v_add_co_u32 v21, vcc_lo, v21, 2
	v_add_co_ci_u32_e32 v22, vcc_lo, 0, v22, vcc_lo
	s_add_u32 s4, s22, -1
	s_addc_u32 s5, s23, -1
	s_mov_b64 s[6:7], 0
	s_mov_b32 s33, 0
                                        ; implicit-def: $sgpr34
	s_set_inst_prefetch_distance 0x1
	s_branch .LBB1179_252
	.p2align	6
.LBB1179_250:                           ;   in Loop: Header=BB1179_252 Depth=1
	global_load_u16 v23, v[17:18], off
	global_load_u16 v24, v[21:22], off
	v_add_co_u32 v17, vcc_lo, v17, 2
	v_add_co_ci_u32_e32 v18, vcc_lo, 0, v18, vcc_lo
	v_add_co_u32 v21, s2, v21, 2
	s_delay_alu instid0(VALU_DEP_1)
	v_add_co_ci_u32_e64 v22, s2, 0, v22, s2
	s_add_u32 s6, s6, 1
	s_addc_u32 s7, s7, 0
	s_and_not1_b32 s2, s34, exec_lo
	s_waitcnt vmcnt(1)
	v_lshlrev_b32_e32 v23, 16, v23
	s_waitcnt vmcnt(0)
	v_lshlrev_b32_e32 v24, 16, v24
	s_delay_alu instid0(VALU_DEP_1) | instskip(SKIP_1) | instid1(SALU_CYCLE_1)
	v_cmp_neq_f32_e32 vcc_lo, v24, v23
	s_and_b32 s34, vcc_lo, exec_lo
	s_or_b32 s34, s2, s34
.LBB1179_251:                           ;   in Loop: Header=BB1179_252 Depth=1
	v_dual_mov_b32 v24, s7 :: v_dual_mov_b32 v23, s6
	s_and_b32 s2, exec_lo, s34
	s_delay_alu instid0(SALU_CYCLE_1) | instskip(NEXT) | instid1(SALU_CYCLE_1)
	s_or_b32 s33, s2, s33
	s_and_not1_b32 exec_lo, exec_lo, s33
	s_cbranch_execz .LBB1179_254
.LBB1179_252:                           ; =>This Inner Loop Header: Depth=1
	s_or_b32 s34, s34, exec_lo
	s_cmp_eq_u64 s[4:5], s[6:7]
	s_cbranch_scc0 .LBB1179_250
; %bb.253:                              ;   in Loop: Header=BB1179_252 Depth=1
	s_mov_b64 s[6:7], s[22:23]
                                        ; implicit-def: $vgpr17_vgpr18
                                        ; implicit-def: $vgpr21_vgpr22
	s_branch .LBB1179_251
.LBB1179_254:
	s_set_inst_prefetch_distance 0x2
	s_or_b32 exec_lo, exec_lo, s33
	v_cmp_gt_i64_e32 vcc_lo, s[22:23], v[23:24]
	s_or_not1_b32 s2, vcc_lo, exec_lo
.LBB1179_255:
	s_or_b32 exec_lo, exec_lo, s31
.LBB1179_256:
	v_cndmask_b32_e64 v18, 0, 1, s30
	v_cndmask_b32_e64 v21, 0, 1, s28
	;; [unrolled: 1-line block ×7, first 2 shown]
	v_lshlrev_b16 v21, 8, v21
	v_lshlrev_b16 v22, 8, v22
	;; [unrolled: 1-line block ×4, first 2 shown]
	s_delay_alu instid0(VALU_DEP_4) | instskip(NEXT) | instid1(VALU_DEP_4)
	v_or_b32_e32 v21, v24, v21
	v_or_b32_e32 v22, v25, v22
	s_delay_alu instid0(VALU_DEP_4) | instskip(NEXT) | instid1(VALU_DEP_4)
	v_or_b32_e32 v23, 1, v23
	v_or_b32_e32 v17, v17, v18
	s_barrier
	v_and_b32_e32 v18, 0xffff, v21
	v_lshlrev_b32_e32 v21, 16, v22
	v_and_b32_e32 v22, 0xffff, v23
	v_lshlrev_b32_e32 v17, 16, v17
	buffer_gl0_inv
                                        ; implicit-def: $sgpr2
	s_mov_b32 s4, exec_lo
	v_or_b32_e32 v18, v18, v21
	v_or_b32_e32 v17, v22, v17
	v_cmpx_ne_u32_e32 0, v0
	s_xor_b32 s19, exec_lo, s4
	s_cbranch_execz .LBB1179_267
; %bb.257:
	s_and_not1_b32 vcc_lo, exec_lo, s3
	s_mov_b32 s2, 0
	s_cbranch_vccnz .LBB1179_266
; %bb.258:
	v_add_nc_u32_e32 v21, -8, v39
	v_lshlrev_b64 v[19:20], 1, v[19:20]
	s_mov_b32 s2, -1
	s_mov_b32 s26, exec_lo
	ds_load_b64 v[21:22], v21
	s_waitcnt lgkmcnt(0)
	v_mul_lo_u32 v24, v22, s22
	v_mul_lo_u32 v25, v21, s23
	v_mad_u64_u32 v[22:23], null, v21, s22, 0
	s_delay_alu instid0(VALU_DEP_1) | instskip(NEXT) | instid1(VALU_DEP_1)
	v_add3_u32 v23, v23, v25, v24
	v_lshlrev_b64 v[21:22], 1, v[22:23]
	s_delay_alu instid0(VALU_DEP_1) | instskip(NEXT) | instid1(VALU_DEP_2)
	v_add_co_u32 v21, vcc_lo, s8, v21
	v_add_co_ci_u32_e32 v22, vcc_lo, s9, v22, vcc_lo
	v_add_co_u32 v19, vcc_lo, s8, v19
	v_add_co_ci_u32_e32 v20, vcc_lo, s9, v20, vcc_lo
	s_clause 0x1
	global_load_u16 v23, v[21:22], off
	global_load_u16 v24, v[19:20], off
	s_waitcnt vmcnt(1)
	v_lshlrev_b32_e32 v23, 16, v23
	s_waitcnt vmcnt(0)
	v_lshlrev_b32_e32 v24, 16, v24
	s_delay_alu instid0(VALU_DEP_1)
	v_cmpx_eq_f32_e32 v23, v24
	s_cbranch_execz .LBB1179_265
; %bb.259:
	v_add_co_u32 v19, vcc_lo, v19, 2
	v_add_co_ci_u32_e32 v20, vcc_lo, 0, v20, vcc_lo
	v_add_co_u32 v21, vcc_lo, v21, 2
	v_add_co_ci_u32_e32 v22, vcc_lo, 0, v22, vcc_lo
	s_add_u32 s4, s22, -1
	s_addc_u32 s5, s23, -1
	s_mov_b64 s[6:7], 0
	s_mov_b32 s27, 0
                                        ; implicit-def: $sgpr28
	s_set_inst_prefetch_distance 0x1
	s_branch .LBB1179_262
	.p2align	6
.LBB1179_260:                           ;   in Loop: Header=BB1179_262 Depth=1
	global_load_u16 v23, v[19:20], off
	global_load_u16 v24, v[21:22], off
	v_add_co_u32 v19, vcc_lo, v19, 2
	v_add_co_ci_u32_e32 v20, vcc_lo, 0, v20, vcc_lo
	v_add_co_u32 v21, s2, v21, 2
	s_delay_alu instid0(VALU_DEP_1)
	v_add_co_ci_u32_e64 v22, s2, 0, v22, s2
	s_add_u32 s6, s6, 1
	s_addc_u32 s7, s7, 0
	s_and_not1_b32 s2, s28, exec_lo
	s_waitcnt vmcnt(1)
	v_lshlrev_b32_e32 v23, 16, v23
	s_waitcnt vmcnt(0)
	v_lshlrev_b32_e32 v24, 16, v24
	s_delay_alu instid0(VALU_DEP_1) | instskip(SKIP_1) | instid1(SALU_CYCLE_1)
	v_cmp_neq_f32_e32 vcc_lo, v24, v23
	s_and_b32 s28, vcc_lo, exec_lo
	s_or_b32 s28, s2, s28
.LBB1179_261:                           ;   in Loop: Header=BB1179_262 Depth=1
	v_dual_mov_b32 v24, s7 :: v_dual_mov_b32 v23, s6
	s_and_b32 s2, exec_lo, s28
	s_delay_alu instid0(SALU_CYCLE_1) | instskip(NEXT) | instid1(SALU_CYCLE_1)
	s_or_b32 s27, s2, s27
	s_and_not1_b32 exec_lo, exec_lo, s27
	s_cbranch_execz .LBB1179_264
.LBB1179_262:                           ; =>This Inner Loop Header: Depth=1
	s_or_b32 s28, s28, exec_lo
	s_cmp_eq_u64 s[4:5], s[6:7]
	s_cbranch_scc0 .LBB1179_260
; %bb.263:                              ;   in Loop: Header=BB1179_262 Depth=1
	s_mov_b64 s[6:7], s[22:23]
                                        ; implicit-def: $vgpr19_vgpr20
                                        ; implicit-def: $vgpr21_vgpr22
	s_branch .LBB1179_261
.LBB1179_264:
	s_set_inst_prefetch_distance 0x2
	s_or_b32 exec_lo, exec_lo, s27
	v_cmp_gt_i64_e32 vcc_lo, s[22:23], v[23:24]
	s_or_not1_b32 s2, vcc_lo, exec_lo
.LBB1179_265:
	s_or_b32 exec_lo, exec_lo, s26
.LBB1179_266:
	s_delay_alu instid0(SALU_CYCLE_1)
	s_and_b32 s2, s2, exec_lo
	s_or_b32 s18, s18, exec_lo
.LBB1179_267:
	s_or_b32 exec_lo, exec_lo, s19
	s_branch .LBB1179_359
.LBB1179_268:
	v_or_b32_e32 v17, 7, v39
	s_mov_b32 s19, 0
	s_mov_b32 s26, 0
	s_mov_b32 s27, exec_lo
	s_delay_alu instid0(VALU_DEP_1)
	v_cmpx_gt_u32_e64 s20, v17
	s_cbranch_execz .LBB1179_279
; %bb.269:
	s_and_not1_b32 vcc_lo, exec_lo, s3
	s_mov_b32 s2, 0
	s_cbranch_vccnz .LBB1179_278
; %bb.270:
	v_mul_lo_u32 v21, v4, s22
	v_mul_lo_u32 v22, v3, s23
	v_mad_u64_u32 v[17:18], null, v3, s22, 0
	v_mul_lo_u32 v23, v2, s22
	v_mul_lo_u32 v24, v1, s23
	v_mad_u64_u32 v[19:20], null, v1, s22, 0
	s_mov_b32 s2, -1
	s_mov_b32 s26, exec_lo
	s_delay_alu instid0(VALU_DEP_4) | instskip(NEXT) | instid1(VALU_DEP_2)
	v_add3_u32 v18, v18, v22, v21
	v_add3_u32 v20, v20, v24, v23
	s_delay_alu instid0(VALU_DEP_2) | instskip(NEXT) | instid1(VALU_DEP_2)
	v_lshlrev_b64 v[17:18], 1, v[17:18]
	v_lshlrev_b64 v[19:20], 1, v[19:20]
	s_delay_alu instid0(VALU_DEP_2) | instskip(NEXT) | instid1(VALU_DEP_3)
	v_add_co_u32 v17, vcc_lo, s8, v17
	v_add_co_ci_u32_e32 v18, vcc_lo, s9, v18, vcc_lo
	s_delay_alu instid0(VALU_DEP_3) | instskip(NEXT) | instid1(VALU_DEP_4)
	v_add_co_u32 v19, vcc_lo, s8, v19
	v_add_co_ci_u32_e32 v20, vcc_lo, s9, v20, vcc_lo
	s_clause 0x1
	global_load_u16 v21, v[17:18], off
	global_load_u16 v22, v[19:20], off
	s_waitcnt vmcnt(1)
	v_lshlrev_b32_e32 v21, 16, v21
	s_waitcnt vmcnt(0)
	v_lshlrev_b32_e32 v22, 16, v22
	s_delay_alu instid0(VALU_DEP_1)
	v_cmpx_eq_f32_e32 v22, v21
	s_cbranch_execz .LBB1179_277
; %bb.271:
	v_add_co_u32 v17, vcc_lo, v17, 2
	v_add_co_ci_u32_e32 v18, vcc_lo, 0, v18, vcc_lo
	v_add_co_u32 v19, vcc_lo, v19, 2
	v_add_co_ci_u32_e32 v20, vcc_lo, 0, v20, vcc_lo
	s_add_u32 s4, s22, -1
	s_addc_u32 s5, s23, -1
	s_mov_b64 s[6:7], 0
	s_mov_b32 s28, 0
                                        ; implicit-def: $sgpr29
	s_set_inst_prefetch_distance 0x1
	s_branch .LBB1179_274
	.p2align	6
.LBB1179_272:                           ;   in Loop: Header=BB1179_274 Depth=1
	global_load_u16 v21, v[17:18], off
	global_load_u16 v22, v[19:20], off
	v_add_co_u32 v17, vcc_lo, v17, 2
	v_add_co_ci_u32_e32 v18, vcc_lo, 0, v18, vcc_lo
	v_add_co_u32 v19, s2, v19, 2
	s_delay_alu instid0(VALU_DEP_1)
	v_add_co_ci_u32_e64 v20, s2, 0, v20, s2
	s_add_u32 s6, s6, 1
	s_addc_u32 s7, s7, 0
	s_and_not1_b32 s2, s29, exec_lo
	s_waitcnt vmcnt(1)
	v_lshlrev_b32_e32 v21, 16, v21
	s_waitcnt vmcnt(0)
	v_lshlrev_b32_e32 v22, 16, v22
	s_delay_alu instid0(VALU_DEP_1) | instskip(SKIP_1) | instid1(SALU_CYCLE_1)
	v_cmp_neq_f32_e32 vcc_lo, v22, v21
	s_and_b32 s29, vcc_lo, exec_lo
	s_or_b32 s29, s2, s29
.LBB1179_273:                           ;   in Loop: Header=BB1179_274 Depth=1
	v_dual_mov_b32 v22, s7 :: v_dual_mov_b32 v21, s6
	s_and_b32 s2, exec_lo, s29
	s_delay_alu instid0(SALU_CYCLE_1) | instskip(NEXT) | instid1(SALU_CYCLE_1)
	s_or_b32 s28, s2, s28
	s_and_not1_b32 exec_lo, exec_lo, s28
	s_cbranch_execz .LBB1179_276
.LBB1179_274:                           ; =>This Inner Loop Header: Depth=1
	s_or_b32 s29, s29, exec_lo
	s_cmp_eq_u64 s[4:5], s[6:7]
	s_cbranch_scc0 .LBB1179_272
; %bb.275:                              ;   in Loop: Header=BB1179_274 Depth=1
	s_mov_b64 s[6:7], s[22:23]
                                        ; implicit-def: $vgpr17_vgpr18
                                        ; implicit-def: $vgpr19_vgpr20
	s_branch .LBB1179_273
.LBB1179_276:
	s_set_inst_prefetch_distance 0x2
	s_or_b32 exec_lo, exec_lo, s28
	v_cmp_gt_i64_e32 vcc_lo, s[22:23], v[21:22]
	s_or_not1_b32 s2, vcc_lo, exec_lo
.LBB1179_277:
	s_or_b32 exec_lo, exec_lo, s26
.LBB1179_278:
	s_delay_alu instid0(SALU_CYCLE_1)
	s_and_b32 s26, s2, exec_lo
.LBB1179_279:
	s_or_b32 exec_lo, exec_lo, s27
	v_or_b32_e32 v17, 6, v39
	s_mov_b32 s27, exec_lo
	s_delay_alu instid0(VALU_DEP_1)
	v_cmpx_gt_u32_e64 s20, v17
	s_cbranch_execz .LBB1179_290
; %bb.280:
	s_and_not1_b32 vcc_lo, exec_lo, s3
	s_mov_b32 s2, 0
	s_cbranch_vccnz .LBB1179_289
; %bb.281:
	v_mul_lo_u32 v21, v2, s22
	v_mul_lo_u32 v22, v1, s23
	v_mad_u64_u32 v[17:18], null, v1, s22, 0
	v_mul_lo_u32 v23, v8, s22
	v_mul_lo_u32 v24, v7, s23
	v_mad_u64_u32 v[19:20], null, v7, s22, 0
	s_mov_b32 s2, -1
	s_mov_b32 s19, exec_lo
	s_delay_alu instid0(VALU_DEP_4) | instskip(NEXT) | instid1(VALU_DEP_2)
	v_add3_u32 v18, v18, v22, v21
	v_add3_u32 v20, v20, v24, v23
	s_delay_alu instid0(VALU_DEP_2) | instskip(NEXT) | instid1(VALU_DEP_2)
	v_lshlrev_b64 v[17:18], 1, v[17:18]
	v_lshlrev_b64 v[19:20], 1, v[19:20]
	s_delay_alu instid0(VALU_DEP_2) | instskip(NEXT) | instid1(VALU_DEP_3)
	v_add_co_u32 v17, vcc_lo, s8, v17
	v_add_co_ci_u32_e32 v18, vcc_lo, s9, v18, vcc_lo
	s_delay_alu instid0(VALU_DEP_3) | instskip(NEXT) | instid1(VALU_DEP_4)
	v_add_co_u32 v19, vcc_lo, s8, v19
	v_add_co_ci_u32_e32 v20, vcc_lo, s9, v20, vcc_lo
	s_clause 0x1
	global_load_u16 v21, v[17:18], off
	global_load_u16 v22, v[19:20], off
	s_waitcnt vmcnt(1)
	v_lshlrev_b32_e32 v21, 16, v21
	s_waitcnt vmcnt(0)
	v_lshlrev_b32_e32 v22, 16, v22
	s_delay_alu instid0(VALU_DEP_1)
	v_cmpx_eq_f32_e32 v22, v21
	s_cbranch_execz .LBB1179_288
; %bb.282:
	v_add_co_u32 v17, vcc_lo, v17, 2
	v_add_co_ci_u32_e32 v18, vcc_lo, 0, v18, vcc_lo
	v_add_co_u32 v19, vcc_lo, v19, 2
	v_add_co_ci_u32_e32 v20, vcc_lo, 0, v20, vcc_lo
	s_add_u32 s4, s22, -1
	s_addc_u32 s5, s23, -1
	s_mov_b64 s[6:7], 0
	s_mov_b32 s28, 0
                                        ; implicit-def: $sgpr29
	s_set_inst_prefetch_distance 0x1
	s_branch .LBB1179_285
	.p2align	6
.LBB1179_283:                           ;   in Loop: Header=BB1179_285 Depth=1
	global_load_u16 v21, v[17:18], off
	global_load_u16 v22, v[19:20], off
	v_add_co_u32 v17, vcc_lo, v17, 2
	v_add_co_ci_u32_e32 v18, vcc_lo, 0, v18, vcc_lo
	v_add_co_u32 v19, s2, v19, 2
	s_delay_alu instid0(VALU_DEP_1)
	v_add_co_ci_u32_e64 v20, s2, 0, v20, s2
	s_add_u32 s6, s6, 1
	s_addc_u32 s7, s7, 0
	s_and_not1_b32 s2, s29, exec_lo
	s_waitcnt vmcnt(1)
	v_lshlrev_b32_e32 v21, 16, v21
	s_waitcnt vmcnt(0)
	v_lshlrev_b32_e32 v22, 16, v22
	s_delay_alu instid0(VALU_DEP_1) | instskip(SKIP_1) | instid1(SALU_CYCLE_1)
	v_cmp_neq_f32_e32 vcc_lo, v22, v21
	s_and_b32 s29, vcc_lo, exec_lo
	s_or_b32 s29, s2, s29
.LBB1179_284:                           ;   in Loop: Header=BB1179_285 Depth=1
	v_dual_mov_b32 v22, s7 :: v_dual_mov_b32 v21, s6
	s_and_b32 s2, exec_lo, s29
	s_delay_alu instid0(SALU_CYCLE_1) | instskip(NEXT) | instid1(SALU_CYCLE_1)
	s_or_b32 s28, s2, s28
	s_and_not1_b32 exec_lo, exec_lo, s28
	s_cbranch_execz .LBB1179_287
.LBB1179_285:                           ; =>This Inner Loop Header: Depth=1
	s_or_b32 s29, s29, exec_lo
	s_cmp_eq_u64 s[4:5], s[6:7]
	s_cbranch_scc0 .LBB1179_283
; %bb.286:                              ;   in Loop: Header=BB1179_285 Depth=1
	s_mov_b64 s[6:7], s[22:23]
                                        ; implicit-def: $vgpr17_vgpr18
                                        ; implicit-def: $vgpr19_vgpr20
	s_branch .LBB1179_284
.LBB1179_287:
	s_set_inst_prefetch_distance 0x2
	s_or_b32 exec_lo, exec_lo, s28
	v_cmp_gt_i64_e32 vcc_lo, s[22:23], v[21:22]
	s_or_not1_b32 s2, vcc_lo, exec_lo
.LBB1179_288:
	s_or_b32 exec_lo, exec_lo, s19
.LBB1179_289:
	s_delay_alu instid0(SALU_CYCLE_1)
	s_and_b32 s19, s2, exec_lo
.LBB1179_290:
	s_or_b32 exec_lo, exec_lo, s27
	v_or_b32_e32 v17, 5, v39
	s_mov_b32 s27, 0
	s_mov_b32 s28, 0
	s_mov_b32 s29, exec_lo
	s_delay_alu instid0(VALU_DEP_1)
	v_cmpx_gt_u32_e64 s20, v17
	s_cbranch_execz .LBB1179_301
; %bb.291:
	s_and_not1_b32 vcc_lo, exec_lo, s3
	s_mov_b32 s2, 0
	s_cbranch_vccnz .LBB1179_300
; %bb.292:
	v_mul_lo_u32 v21, v8, s22
	v_mul_lo_u32 v22, v7, s23
	v_mad_u64_u32 v[17:18], null, v7, s22, 0
	v_mul_lo_u32 v23, v6, s22
	v_mul_lo_u32 v24, v5, s23
	v_mad_u64_u32 v[19:20], null, v5, s22, 0
	s_mov_b32 s2, -1
	s_mov_b32 s28, exec_lo
	s_delay_alu instid0(VALU_DEP_4) | instskip(NEXT) | instid1(VALU_DEP_2)
	v_add3_u32 v18, v18, v22, v21
	v_add3_u32 v20, v20, v24, v23
	s_delay_alu instid0(VALU_DEP_2) | instskip(NEXT) | instid1(VALU_DEP_2)
	v_lshlrev_b64 v[17:18], 1, v[17:18]
	v_lshlrev_b64 v[19:20], 1, v[19:20]
	s_delay_alu instid0(VALU_DEP_2) | instskip(NEXT) | instid1(VALU_DEP_3)
	v_add_co_u32 v17, vcc_lo, s8, v17
	v_add_co_ci_u32_e32 v18, vcc_lo, s9, v18, vcc_lo
	s_delay_alu instid0(VALU_DEP_3) | instskip(NEXT) | instid1(VALU_DEP_4)
	v_add_co_u32 v19, vcc_lo, s8, v19
	v_add_co_ci_u32_e32 v20, vcc_lo, s9, v20, vcc_lo
	s_clause 0x1
	global_load_u16 v21, v[17:18], off
	global_load_u16 v22, v[19:20], off
	s_waitcnt vmcnt(1)
	v_lshlrev_b32_e32 v21, 16, v21
	s_waitcnt vmcnt(0)
	v_lshlrev_b32_e32 v22, 16, v22
	s_delay_alu instid0(VALU_DEP_1)
	v_cmpx_eq_f32_e32 v22, v21
	s_cbranch_execz .LBB1179_299
; %bb.293:
	v_add_co_u32 v17, vcc_lo, v17, 2
	v_add_co_ci_u32_e32 v18, vcc_lo, 0, v18, vcc_lo
	v_add_co_u32 v19, vcc_lo, v19, 2
	v_add_co_ci_u32_e32 v20, vcc_lo, 0, v20, vcc_lo
	s_add_u32 s4, s22, -1
	s_addc_u32 s5, s23, -1
	s_mov_b64 s[6:7], 0
	s_mov_b32 s30, 0
                                        ; implicit-def: $sgpr31
	s_set_inst_prefetch_distance 0x1
	s_branch .LBB1179_296
	.p2align	6
.LBB1179_294:                           ;   in Loop: Header=BB1179_296 Depth=1
	global_load_u16 v21, v[17:18], off
	global_load_u16 v22, v[19:20], off
	v_add_co_u32 v17, vcc_lo, v17, 2
	v_add_co_ci_u32_e32 v18, vcc_lo, 0, v18, vcc_lo
	v_add_co_u32 v19, s2, v19, 2
	s_delay_alu instid0(VALU_DEP_1)
	v_add_co_ci_u32_e64 v20, s2, 0, v20, s2
	s_add_u32 s6, s6, 1
	s_addc_u32 s7, s7, 0
	s_and_not1_b32 s2, s31, exec_lo
	s_waitcnt vmcnt(1)
	v_lshlrev_b32_e32 v21, 16, v21
	s_waitcnt vmcnt(0)
	v_lshlrev_b32_e32 v22, 16, v22
	s_delay_alu instid0(VALU_DEP_1) | instskip(SKIP_1) | instid1(SALU_CYCLE_1)
	v_cmp_neq_f32_e32 vcc_lo, v22, v21
	s_and_b32 s31, vcc_lo, exec_lo
	s_or_b32 s31, s2, s31
.LBB1179_295:                           ;   in Loop: Header=BB1179_296 Depth=1
	v_dual_mov_b32 v22, s7 :: v_dual_mov_b32 v21, s6
	s_and_b32 s2, exec_lo, s31
	s_delay_alu instid0(SALU_CYCLE_1) | instskip(NEXT) | instid1(SALU_CYCLE_1)
	s_or_b32 s30, s2, s30
	s_and_not1_b32 exec_lo, exec_lo, s30
	s_cbranch_execz .LBB1179_298
.LBB1179_296:                           ; =>This Inner Loop Header: Depth=1
	s_or_b32 s31, s31, exec_lo
	s_cmp_eq_u64 s[4:5], s[6:7]
	s_cbranch_scc0 .LBB1179_294
; %bb.297:                              ;   in Loop: Header=BB1179_296 Depth=1
	s_mov_b64 s[6:7], s[22:23]
                                        ; implicit-def: $vgpr17_vgpr18
                                        ; implicit-def: $vgpr19_vgpr20
	s_branch .LBB1179_295
.LBB1179_298:
	s_set_inst_prefetch_distance 0x2
	s_or_b32 exec_lo, exec_lo, s30
	v_cmp_gt_i64_e32 vcc_lo, s[22:23], v[21:22]
	s_or_not1_b32 s2, vcc_lo, exec_lo
.LBB1179_299:
	s_or_b32 exec_lo, exec_lo, s28
.LBB1179_300:
	s_delay_alu instid0(SALU_CYCLE_1)
	s_and_b32 s28, s2, exec_lo
.LBB1179_301:
	s_or_b32 exec_lo, exec_lo, s29
	v_or_b32_e32 v17, 4, v39
	s_mov_b32 s29, exec_lo
	s_delay_alu instid0(VALU_DEP_1)
	v_cmpx_gt_u32_e64 s20, v17
	s_cbranch_execz .LBB1179_312
; %bb.302:
	s_and_not1_b32 vcc_lo, exec_lo, s3
	s_mov_b32 s2, 0
	s_cbranch_vccnz .LBB1179_311
; %bb.303:
	v_mul_lo_u32 v21, v6, s22
	v_mul_lo_u32 v22, v5, s23
	v_mad_u64_u32 v[17:18], null, v5, s22, 0
	v_mul_lo_u32 v23, v12, s22
	v_mul_lo_u32 v24, v11, s23
	v_mad_u64_u32 v[19:20], null, v11, s22, 0
	s_mov_b32 s2, -1
	s_mov_b32 s27, exec_lo
	s_delay_alu instid0(VALU_DEP_4) | instskip(NEXT) | instid1(VALU_DEP_2)
	v_add3_u32 v18, v18, v22, v21
	v_add3_u32 v20, v20, v24, v23
	s_delay_alu instid0(VALU_DEP_2) | instskip(NEXT) | instid1(VALU_DEP_2)
	v_lshlrev_b64 v[17:18], 1, v[17:18]
	v_lshlrev_b64 v[19:20], 1, v[19:20]
	s_delay_alu instid0(VALU_DEP_2) | instskip(NEXT) | instid1(VALU_DEP_3)
	v_add_co_u32 v17, vcc_lo, s8, v17
	v_add_co_ci_u32_e32 v18, vcc_lo, s9, v18, vcc_lo
	s_delay_alu instid0(VALU_DEP_3) | instskip(NEXT) | instid1(VALU_DEP_4)
	v_add_co_u32 v19, vcc_lo, s8, v19
	v_add_co_ci_u32_e32 v20, vcc_lo, s9, v20, vcc_lo
	s_clause 0x1
	global_load_u16 v21, v[17:18], off
	global_load_u16 v22, v[19:20], off
	s_waitcnt vmcnt(1)
	v_lshlrev_b32_e32 v21, 16, v21
	s_waitcnt vmcnt(0)
	v_lshlrev_b32_e32 v22, 16, v22
	s_delay_alu instid0(VALU_DEP_1)
	v_cmpx_eq_f32_e32 v22, v21
	s_cbranch_execz .LBB1179_310
; %bb.304:
	v_add_co_u32 v17, vcc_lo, v17, 2
	v_add_co_ci_u32_e32 v18, vcc_lo, 0, v18, vcc_lo
	v_add_co_u32 v19, vcc_lo, v19, 2
	v_add_co_ci_u32_e32 v20, vcc_lo, 0, v20, vcc_lo
	s_add_u32 s4, s22, -1
	s_addc_u32 s5, s23, -1
	s_mov_b64 s[6:7], 0
	s_mov_b32 s30, 0
                                        ; implicit-def: $sgpr31
	s_set_inst_prefetch_distance 0x1
	s_branch .LBB1179_307
	.p2align	6
.LBB1179_305:                           ;   in Loop: Header=BB1179_307 Depth=1
	global_load_u16 v21, v[17:18], off
	global_load_u16 v22, v[19:20], off
	v_add_co_u32 v17, vcc_lo, v17, 2
	v_add_co_ci_u32_e32 v18, vcc_lo, 0, v18, vcc_lo
	v_add_co_u32 v19, s2, v19, 2
	s_delay_alu instid0(VALU_DEP_1)
	v_add_co_ci_u32_e64 v20, s2, 0, v20, s2
	s_add_u32 s6, s6, 1
	s_addc_u32 s7, s7, 0
	s_and_not1_b32 s2, s31, exec_lo
	s_waitcnt vmcnt(1)
	v_lshlrev_b32_e32 v21, 16, v21
	s_waitcnt vmcnt(0)
	v_lshlrev_b32_e32 v22, 16, v22
	s_delay_alu instid0(VALU_DEP_1) | instskip(SKIP_1) | instid1(SALU_CYCLE_1)
	v_cmp_neq_f32_e32 vcc_lo, v22, v21
	s_and_b32 s31, vcc_lo, exec_lo
	s_or_b32 s31, s2, s31
.LBB1179_306:                           ;   in Loop: Header=BB1179_307 Depth=1
	v_dual_mov_b32 v22, s7 :: v_dual_mov_b32 v21, s6
	s_and_b32 s2, exec_lo, s31
	s_delay_alu instid0(SALU_CYCLE_1) | instskip(NEXT) | instid1(SALU_CYCLE_1)
	s_or_b32 s30, s2, s30
	s_and_not1_b32 exec_lo, exec_lo, s30
	s_cbranch_execz .LBB1179_309
.LBB1179_307:                           ; =>This Inner Loop Header: Depth=1
	s_or_b32 s31, s31, exec_lo
	s_cmp_eq_u64 s[4:5], s[6:7]
	s_cbranch_scc0 .LBB1179_305
; %bb.308:                              ;   in Loop: Header=BB1179_307 Depth=1
	s_mov_b64 s[6:7], s[22:23]
                                        ; implicit-def: $vgpr17_vgpr18
                                        ; implicit-def: $vgpr19_vgpr20
	s_branch .LBB1179_306
.LBB1179_309:
	s_set_inst_prefetch_distance 0x2
	s_or_b32 exec_lo, exec_lo, s30
	v_cmp_gt_i64_e32 vcc_lo, s[22:23], v[21:22]
	s_or_not1_b32 s2, vcc_lo, exec_lo
.LBB1179_310:
	s_or_b32 exec_lo, exec_lo, s27
.LBB1179_311:
	s_delay_alu instid0(SALU_CYCLE_1)
	s_and_b32 s27, s2, exec_lo
.LBB1179_312:
	s_or_b32 exec_lo, exec_lo, s29
	v_or_b32_e32 v17, 3, v39
	s_mov_b32 s30, 0
	s_mov_b32 s29, 0
	s_mov_b32 s31, exec_lo
	s_delay_alu instid0(VALU_DEP_1)
	v_cmpx_gt_u32_e64 s20, v17
	s_cbranch_execz .LBB1179_323
; %bb.313:
	s_and_not1_b32 vcc_lo, exec_lo, s3
	s_mov_b32 s2, 0
	s_cbranch_vccnz .LBB1179_322
; %bb.314:
	v_mul_lo_u32 v21, v12, s22
	v_mul_lo_u32 v22, v11, s23
	v_mad_u64_u32 v[17:18], null, v11, s22, 0
	v_mul_lo_u32 v23, v10, s22
	v_mul_lo_u32 v24, v9, s23
	v_mad_u64_u32 v[19:20], null, v9, s22, 0
	s_mov_b32 s2, -1
	s_mov_b32 s29, exec_lo
	s_delay_alu instid0(VALU_DEP_4) | instskip(NEXT) | instid1(VALU_DEP_2)
	v_add3_u32 v18, v18, v22, v21
	v_add3_u32 v20, v20, v24, v23
	s_delay_alu instid0(VALU_DEP_2) | instskip(NEXT) | instid1(VALU_DEP_2)
	v_lshlrev_b64 v[17:18], 1, v[17:18]
	v_lshlrev_b64 v[19:20], 1, v[19:20]
	s_delay_alu instid0(VALU_DEP_2) | instskip(NEXT) | instid1(VALU_DEP_3)
	v_add_co_u32 v17, vcc_lo, s8, v17
	v_add_co_ci_u32_e32 v18, vcc_lo, s9, v18, vcc_lo
	s_delay_alu instid0(VALU_DEP_3) | instskip(NEXT) | instid1(VALU_DEP_4)
	v_add_co_u32 v19, vcc_lo, s8, v19
	v_add_co_ci_u32_e32 v20, vcc_lo, s9, v20, vcc_lo
	s_clause 0x1
	global_load_u16 v21, v[17:18], off
	global_load_u16 v22, v[19:20], off
	s_waitcnt vmcnt(1)
	v_lshlrev_b32_e32 v21, 16, v21
	s_waitcnt vmcnt(0)
	v_lshlrev_b32_e32 v22, 16, v22
	s_delay_alu instid0(VALU_DEP_1)
	v_cmpx_eq_f32_e32 v22, v21
	s_cbranch_execz .LBB1179_321
; %bb.315:
	v_add_co_u32 v17, vcc_lo, v17, 2
	v_add_co_ci_u32_e32 v18, vcc_lo, 0, v18, vcc_lo
	v_add_co_u32 v19, vcc_lo, v19, 2
	v_add_co_ci_u32_e32 v20, vcc_lo, 0, v20, vcc_lo
	s_add_u32 s4, s22, -1
	s_addc_u32 s5, s23, -1
	s_mov_b64 s[6:7], 0
	s_mov_b32 s33, 0
                                        ; implicit-def: $sgpr34
	s_set_inst_prefetch_distance 0x1
	s_branch .LBB1179_318
	.p2align	6
.LBB1179_316:                           ;   in Loop: Header=BB1179_318 Depth=1
	global_load_u16 v21, v[17:18], off
	global_load_u16 v22, v[19:20], off
	v_add_co_u32 v17, vcc_lo, v17, 2
	v_add_co_ci_u32_e32 v18, vcc_lo, 0, v18, vcc_lo
	v_add_co_u32 v19, s2, v19, 2
	s_delay_alu instid0(VALU_DEP_1)
	v_add_co_ci_u32_e64 v20, s2, 0, v20, s2
	s_add_u32 s6, s6, 1
	s_addc_u32 s7, s7, 0
	s_and_not1_b32 s2, s34, exec_lo
	s_waitcnt vmcnt(1)
	v_lshlrev_b32_e32 v21, 16, v21
	s_waitcnt vmcnt(0)
	v_lshlrev_b32_e32 v22, 16, v22
	s_delay_alu instid0(VALU_DEP_1) | instskip(SKIP_1) | instid1(SALU_CYCLE_1)
	v_cmp_neq_f32_e32 vcc_lo, v22, v21
	s_and_b32 s34, vcc_lo, exec_lo
	s_or_b32 s34, s2, s34
.LBB1179_317:                           ;   in Loop: Header=BB1179_318 Depth=1
	v_dual_mov_b32 v22, s7 :: v_dual_mov_b32 v21, s6
	s_and_b32 s2, exec_lo, s34
	s_delay_alu instid0(SALU_CYCLE_1) | instskip(NEXT) | instid1(SALU_CYCLE_1)
	s_or_b32 s33, s2, s33
	s_and_not1_b32 exec_lo, exec_lo, s33
	s_cbranch_execz .LBB1179_320
.LBB1179_318:                           ; =>This Inner Loop Header: Depth=1
	s_or_b32 s34, s34, exec_lo
	s_cmp_eq_u64 s[4:5], s[6:7]
	s_cbranch_scc0 .LBB1179_316
; %bb.319:                              ;   in Loop: Header=BB1179_318 Depth=1
	s_mov_b64 s[6:7], s[22:23]
                                        ; implicit-def: $vgpr17_vgpr18
                                        ; implicit-def: $vgpr19_vgpr20
	s_branch .LBB1179_317
.LBB1179_320:
	s_set_inst_prefetch_distance 0x2
	s_or_b32 exec_lo, exec_lo, s33
	v_cmp_gt_i64_e32 vcc_lo, s[22:23], v[21:22]
	s_or_not1_b32 s2, vcc_lo, exec_lo
.LBB1179_321:
	s_or_b32 exec_lo, exec_lo, s29
.LBB1179_322:
	s_delay_alu instid0(SALU_CYCLE_1)
	s_and_b32 s29, s2, exec_lo
.LBB1179_323:
	s_or_b32 exec_lo, exec_lo, s31
	v_or_b32_e32 v17, 2, v39
	s_mov_b32 s31, exec_lo
	s_delay_alu instid0(VALU_DEP_1)
	v_cmpx_gt_u32_e64 s20, v17
	s_cbranch_execz .LBB1179_334
; %bb.324:
	s_and_not1_b32 vcc_lo, exec_lo, s3
	s_mov_b32 s2, 0
	s_cbranch_vccnz .LBB1179_333
; %bb.325:
	v_mul_lo_u32 v21, v10, s22
	v_mul_lo_u32 v22, v9, s23
	v_mad_u64_u32 v[17:18], null, v9, s22, 0
	v_mul_lo_u32 v23, v16, s22
	v_mul_lo_u32 v24, v15, s23
	v_mad_u64_u32 v[19:20], null, v15, s22, 0
	s_mov_b32 s2, -1
	s_mov_b32 s30, exec_lo
	s_delay_alu instid0(VALU_DEP_4) | instskip(NEXT) | instid1(VALU_DEP_2)
	v_add3_u32 v18, v18, v22, v21
	v_add3_u32 v20, v20, v24, v23
	s_delay_alu instid0(VALU_DEP_2) | instskip(NEXT) | instid1(VALU_DEP_2)
	v_lshlrev_b64 v[17:18], 1, v[17:18]
	v_lshlrev_b64 v[19:20], 1, v[19:20]
	s_delay_alu instid0(VALU_DEP_2) | instskip(NEXT) | instid1(VALU_DEP_3)
	v_add_co_u32 v17, vcc_lo, s8, v17
	v_add_co_ci_u32_e32 v18, vcc_lo, s9, v18, vcc_lo
	s_delay_alu instid0(VALU_DEP_3) | instskip(NEXT) | instid1(VALU_DEP_4)
	v_add_co_u32 v19, vcc_lo, s8, v19
	v_add_co_ci_u32_e32 v20, vcc_lo, s9, v20, vcc_lo
	s_clause 0x1
	global_load_u16 v21, v[17:18], off
	global_load_u16 v22, v[19:20], off
	s_waitcnt vmcnt(1)
	v_lshlrev_b32_e32 v21, 16, v21
	s_waitcnt vmcnt(0)
	v_lshlrev_b32_e32 v22, 16, v22
	s_delay_alu instid0(VALU_DEP_1)
	v_cmpx_eq_f32_e32 v22, v21
	s_cbranch_execz .LBB1179_332
; %bb.326:
	v_add_co_u32 v17, vcc_lo, v17, 2
	v_add_co_ci_u32_e32 v18, vcc_lo, 0, v18, vcc_lo
	v_add_co_u32 v19, vcc_lo, v19, 2
	v_add_co_ci_u32_e32 v20, vcc_lo, 0, v20, vcc_lo
	s_add_u32 s4, s22, -1
	s_addc_u32 s5, s23, -1
	s_mov_b64 s[6:7], 0
	s_mov_b32 s33, 0
                                        ; implicit-def: $sgpr34
	s_set_inst_prefetch_distance 0x1
	s_branch .LBB1179_329
	.p2align	6
.LBB1179_327:                           ;   in Loop: Header=BB1179_329 Depth=1
	global_load_u16 v21, v[17:18], off
	global_load_u16 v22, v[19:20], off
	v_add_co_u32 v17, vcc_lo, v17, 2
	v_add_co_ci_u32_e32 v18, vcc_lo, 0, v18, vcc_lo
	v_add_co_u32 v19, s2, v19, 2
	s_delay_alu instid0(VALU_DEP_1)
	v_add_co_ci_u32_e64 v20, s2, 0, v20, s2
	s_add_u32 s6, s6, 1
	s_addc_u32 s7, s7, 0
	s_and_not1_b32 s2, s34, exec_lo
	s_waitcnt vmcnt(1)
	v_lshlrev_b32_e32 v21, 16, v21
	s_waitcnt vmcnt(0)
	v_lshlrev_b32_e32 v22, 16, v22
	s_delay_alu instid0(VALU_DEP_1) | instskip(SKIP_1) | instid1(SALU_CYCLE_1)
	v_cmp_neq_f32_e32 vcc_lo, v22, v21
	s_and_b32 s34, vcc_lo, exec_lo
	s_or_b32 s34, s2, s34
.LBB1179_328:                           ;   in Loop: Header=BB1179_329 Depth=1
	v_dual_mov_b32 v22, s7 :: v_dual_mov_b32 v21, s6
	s_and_b32 s2, exec_lo, s34
	s_delay_alu instid0(SALU_CYCLE_1) | instskip(NEXT) | instid1(SALU_CYCLE_1)
	s_or_b32 s33, s2, s33
	s_and_not1_b32 exec_lo, exec_lo, s33
	s_cbranch_execz .LBB1179_331
.LBB1179_329:                           ; =>This Inner Loop Header: Depth=1
	s_or_b32 s34, s34, exec_lo
	s_cmp_eq_u64 s[4:5], s[6:7]
	s_cbranch_scc0 .LBB1179_327
; %bb.330:                              ;   in Loop: Header=BB1179_329 Depth=1
	s_mov_b64 s[6:7], s[22:23]
                                        ; implicit-def: $vgpr17_vgpr18
                                        ; implicit-def: $vgpr19_vgpr20
	s_branch .LBB1179_328
.LBB1179_331:
	s_set_inst_prefetch_distance 0x2
	s_or_b32 exec_lo, exec_lo, s33
	v_cmp_gt_i64_e32 vcc_lo, s[22:23], v[21:22]
	s_or_not1_b32 s2, vcc_lo, exec_lo
.LBB1179_332:
	s_or_b32 exec_lo, exec_lo, s30
.LBB1179_333:
	s_delay_alu instid0(SALU_CYCLE_1)
	s_and_b32 s30, s2, exec_lo
.LBB1179_334:
	s_or_b32 exec_lo, exec_lo, s31
	v_or_b32_e32 v17, 1, v39
	s_mov_b32 s2, 0
	s_mov_b32 s31, exec_lo
	s_delay_alu instid0(VALU_DEP_1)
	v_cmpx_gt_u32_e64 s20, v17
	s_cbranch_execz .LBB1179_345
; %bb.335:
	s_and_not1_b32 vcc_lo, exec_lo, s3
	s_cbranch_vccnz .LBB1179_344
; %bb.336:
	v_mul_lo_u32 v21, v16, s22
	v_mul_lo_u32 v22, v15, s23
	v_mad_u64_u32 v[17:18], null, v15, s22, 0
	v_mul_lo_u32 v23, v14, s22
	v_mul_lo_u32 v24, v13, s23
	v_mad_u64_u32 v[19:20], null, v13, s22, 0
	s_mov_b32 s2, -1
	s_mov_b32 s33, exec_lo
	s_delay_alu instid0(VALU_DEP_4) | instskip(NEXT) | instid1(VALU_DEP_2)
	v_add3_u32 v18, v18, v22, v21
	v_add3_u32 v20, v20, v24, v23
	s_delay_alu instid0(VALU_DEP_2) | instskip(NEXT) | instid1(VALU_DEP_2)
	v_lshlrev_b64 v[17:18], 1, v[17:18]
	v_lshlrev_b64 v[19:20], 1, v[19:20]
	s_delay_alu instid0(VALU_DEP_2) | instskip(NEXT) | instid1(VALU_DEP_3)
	v_add_co_u32 v17, vcc_lo, s8, v17
	v_add_co_ci_u32_e32 v18, vcc_lo, s9, v18, vcc_lo
	s_delay_alu instid0(VALU_DEP_3) | instskip(NEXT) | instid1(VALU_DEP_4)
	v_add_co_u32 v19, vcc_lo, s8, v19
	v_add_co_ci_u32_e32 v20, vcc_lo, s9, v20, vcc_lo
	s_clause 0x1
	global_load_u16 v21, v[17:18], off
	global_load_u16 v22, v[19:20], off
	s_waitcnt vmcnt(1)
	v_lshlrev_b32_e32 v21, 16, v21
	s_waitcnt vmcnt(0)
	v_lshlrev_b32_e32 v22, 16, v22
	s_delay_alu instid0(VALU_DEP_1)
	v_cmpx_eq_f32_e32 v22, v21
	s_cbranch_execz .LBB1179_343
; %bb.337:
	v_add_co_u32 v17, vcc_lo, v17, 2
	v_add_co_ci_u32_e32 v18, vcc_lo, 0, v18, vcc_lo
	v_add_co_u32 v19, vcc_lo, v19, 2
	v_add_co_ci_u32_e32 v20, vcc_lo, 0, v20, vcc_lo
	s_add_u32 s4, s22, -1
	s_addc_u32 s5, s23, -1
	s_mov_b64 s[6:7], 0
	s_mov_b32 s34, 0
                                        ; implicit-def: $sgpr35
	s_set_inst_prefetch_distance 0x1
	s_branch .LBB1179_340
	.p2align	6
.LBB1179_338:                           ;   in Loop: Header=BB1179_340 Depth=1
	global_load_u16 v21, v[17:18], off
	global_load_u16 v22, v[19:20], off
	v_add_co_u32 v17, vcc_lo, v17, 2
	v_add_co_ci_u32_e32 v18, vcc_lo, 0, v18, vcc_lo
	v_add_co_u32 v19, s2, v19, 2
	s_delay_alu instid0(VALU_DEP_1)
	v_add_co_ci_u32_e64 v20, s2, 0, v20, s2
	s_add_u32 s6, s6, 1
	s_addc_u32 s7, s7, 0
	s_and_not1_b32 s2, s35, exec_lo
	s_waitcnt vmcnt(1)
	v_lshlrev_b32_e32 v21, 16, v21
	s_waitcnt vmcnt(0)
	v_lshlrev_b32_e32 v22, 16, v22
	s_delay_alu instid0(VALU_DEP_1) | instskip(SKIP_1) | instid1(SALU_CYCLE_1)
	v_cmp_neq_f32_e32 vcc_lo, v22, v21
	s_and_b32 s35, vcc_lo, exec_lo
	s_or_b32 s35, s2, s35
.LBB1179_339:                           ;   in Loop: Header=BB1179_340 Depth=1
	v_dual_mov_b32 v22, s7 :: v_dual_mov_b32 v21, s6
	s_and_b32 s2, exec_lo, s35
	s_delay_alu instid0(SALU_CYCLE_1) | instskip(NEXT) | instid1(SALU_CYCLE_1)
	s_or_b32 s34, s2, s34
	s_and_not1_b32 exec_lo, exec_lo, s34
	s_cbranch_execz .LBB1179_342
.LBB1179_340:                           ; =>This Inner Loop Header: Depth=1
	s_or_b32 s35, s35, exec_lo
	s_cmp_eq_u64 s[4:5], s[6:7]
	s_cbranch_scc0 .LBB1179_338
; %bb.341:                              ;   in Loop: Header=BB1179_340 Depth=1
	s_mov_b64 s[6:7], s[22:23]
                                        ; implicit-def: $vgpr17_vgpr18
                                        ; implicit-def: $vgpr19_vgpr20
	s_branch .LBB1179_339
.LBB1179_342:
	s_set_inst_prefetch_distance 0x2
	s_or_b32 exec_lo, exec_lo, s34
	v_cmp_gt_i64_e32 vcc_lo, s[22:23], v[21:22]
	s_or_not1_b32 s2, vcc_lo, exec_lo
.LBB1179_343:
	s_or_b32 exec_lo, exec_lo, s33
.LBB1179_344:
	s_delay_alu instid0(SALU_CYCLE_1)
	s_and_b32 s2, s2, exec_lo
.LBB1179_345:
	s_or_b32 exec_lo, exec_lo, s31
	v_cndmask_b32_e64 v18, 0, 1, s29
	v_cndmask_b32_e64 v19, 0, 1, s28
	;; [unrolled: 1-line block ×7, first 2 shown]
	v_lshlrev_b16 v19, 8, v19
	v_lshlrev_b16 v20, 8, v20
	;; [unrolled: 1-line block ×4, first 2 shown]
	s_mov_b32 s19, exec_lo
	v_or_b32_e32 v19, v22, v19
	v_or_b32_e32 v20, v23, v20
	;; [unrolled: 1-line block ×4, first 2 shown]
	s_delay_alu instid0(VALU_DEP_4) | instskip(NEXT) | instid1(VALU_DEP_4)
	v_and_b32_e32 v18, 0xffff, v19
	v_lshlrev_b32_e32 v19, 16, v20
	s_delay_alu instid0(VALU_DEP_4) | instskip(NEXT) | instid1(VALU_DEP_4)
	v_and_b32_e32 v20, 0xffff, v21
	v_lshlrev_b32_e32 v17, 16, v17
	s_barrier
	buffer_gl0_inv
	v_or_b32_e32 v18, v18, v19
                                        ; implicit-def: $sgpr2
	v_or_b32_e32 v17, v20, v17
	v_cmpx_ne_u32_e32 0, v0
	s_cbranch_execz .LBB1179_358
; %bb.346:
	s_mov_b32 s2, 0
	s_mov_b32 s26, exec_lo
	v_cmpx_gt_u32_e64 s20, v39
	s_cbranch_execz .LBB1179_357
; %bb.347:
	s_and_not1_b32 vcc_lo, exec_lo, s3
	s_cbranch_vccnz .LBB1179_356
; %bb.348:
	v_add_nc_u32_e32 v19, -8, v39
	v_mul_lo_u32 v25, v14, s22
	v_mul_lo_u32 v26, v13, s23
	v_mad_u64_u32 v[21:22], null, v13, s22, 0
	ds_load_b64 v[19:20], v19
	s_mov_b32 s2, -1
	s_mov_b32 s3, exec_lo
	v_add3_u32 v22, v22, v26, v25
	s_waitcnt lgkmcnt(0)
	v_mul_lo_u32 v20, v20, s22
	v_mul_lo_u32 v27, v19, s23
	v_mad_u64_u32 v[23:24], null, v19, s22, 0
	s_delay_alu instid0(VALU_DEP_1) | instskip(SKIP_1) | instid1(VALU_DEP_2)
	v_add3_u32 v24, v24, v27, v20
	v_lshlrev_b64 v[19:20], 1, v[21:22]
	v_lshlrev_b64 v[21:22], 1, v[23:24]
	s_delay_alu instid0(VALU_DEP_2) | instskip(NEXT) | instid1(VALU_DEP_3)
	v_add_co_u32 v19, vcc_lo, s8, v19
	v_add_co_ci_u32_e32 v20, vcc_lo, s9, v20, vcc_lo
	s_delay_alu instid0(VALU_DEP_3) | instskip(NEXT) | instid1(VALU_DEP_4)
	v_add_co_u32 v21, vcc_lo, s8, v21
	v_add_co_ci_u32_e32 v22, vcc_lo, s9, v22, vcc_lo
	s_clause 0x1
	global_load_u16 v23, v[19:20], off
	global_load_u16 v24, v[21:22], off
	s_waitcnt vmcnt(1)
	v_lshlrev_b32_e32 v23, 16, v23
	s_waitcnt vmcnt(0)
	v_lshlrev_b32_e32 v24, 16, v24
	s_delay_alu instid0(VALU_DEP_1)
	v_cmpx_eq_f32_e32 v24, v23
	s_cbranch_execz .LBB1179_355
; %bb.349:
	v_add_co_u32 v19, vcc_lo, v19, 2
	v_add_co_ci_u32_e32 v20, vcc_lo, 0, v20, vcc_lo
	v_add_co_u32 v21, vcc_lo, v21, 2
	v_add_co_ci_u32_e32 v22, vcc_lo, 0, v22, vcc_lo
	s_add_u32 s4, s22, -1
	s_addc_u32 s5, s23, -1
	s_mov_b64 s[6:7], 0
	s_mov_b32 s8, 0
                                        ; implicit-def: $sgpr9
	s_set_inst_prefetch_distance 0x1
	s_branch .LBB1179_352
	.p2align	6
.LBB1179_350:                           ;   in Loop: Header=BB1179_352 Depth=1
	global_load_u16 v23, v[19:20], off
	global_load_u16 v24, v[21:22], off
	v_add_co_u32 v19, vcc_lo, v19, 2
	v_add_co_ci_u32_e32 v20, vcc_lo, 0, v20, vcc_lo
	v_add_co_u32 v21, s2, v21, 2
	s_delay_alu instid0(VALU_DEP_1)
	v_add_co_ci_u32_e64 v22, s2, 0, v22, s2
	s_add_u32 s6, s6, 1
	s_addc_u32 s7, s7, 0
	s_and_not1_b32 s2, s9, exec_lo
	s_waitcnt vmcnt(1)
	v_lshlrev_b32_e32 v23, 16, v23
	s_waitcnt vmcnt(0)
	v_lshlrev_b32_e32 v24, 16, v24
	s_delay_alu instid0(VALU_DEP_1) | instskip(SKIP_1) | instid1(SALU_CYCLE_1)
	v_cmp_neq_f32_e32 vcc_lo, v24, v23
	s_and_b32 s9, vcc_lo, exec_lo
	s_or_b32 s9, s2, s9
.LBB1179_351:                           ;   in Loop: Header=BB1179_352 Depth=1
	v_dual_mov_b32 v24, s7 :: v_dual_mov_b32 v23, s6
	s_and_b32 s2, exec_lo, s9
	s_delay_alu instid0(SALU_CYCLE_1) | instskip(NEXT) | instid1(SALU_CYCLE_1)
	s_or_b32 s8, s2, s8
	s_and_not1_b32 exec_lo, exec_lo, s8
	s_cbranch_execz .LBB1179_354
.LBB1179_352:                           ; =>This Inner Loop Header: Depth=1
	s_or_b32 s9, s9, exec_lo
	s_cmp_eq_u64 s[4:5], s[6:7]
	s_cbranch_scc0 .LBB1179_350
; %bb.353:                              ;   in Loop: Header=BB1179_352 Depth=1
	s_mov_b64 s[6:7], s[22:23]
                                        ; implicit-def: $vgpr19_vgpr20
                                        ; implicit-def: $vgpr21_vgpr22
	s_branch .LBB1179_351
.LBB1179_354:
	s_set_inst_prefetch_distance 0x2
	s_or_b32 exec_lo, exec_lo, s8
	v_cmp_gt_i64_e32 vcc_lo, s[22:23], v[23:24]
	s_or_not1_b32 s2, vcc_lo, exec_lo
.LBB1179_355:
	s_or_b32 exec_lo, exec_lo, s3
.LBB1179_356:
	s_delay_alu instid0(SALU_CYCLE_1)
	s_and_b32 s2, s2, exec_lo
.LBB1179_357:
	s_or_b32 exec_lo, exec_lo, s26
	s_delay_alu instid0(SALU_CYCLE_1)
	s_and_b32 s2, s2, exec_lo
	s_or_b32 s18, s18, exec_lo
.LBB1179_358:
	s_or_b32 exec_lo, exec_lo, s19
.LBB1179_359:
	s_and_saveexec_b32 s3, s18
	s_cbranch_execz .LBB1179_361
; %bb.360:
	s_waitcnt lgkmcnt(0)
	v_and_b32_e32 v19, 0xffffff00, v17
	v_cndmask_b32_e64 v20, 0, 1, s2
	s_delay_alu instid0(VALU_DEP_1) | instskip(NEXT) | instid1(VALU_DEP_1)
	v_or_b32_e32 v19, v20, v19
	v_and_b32_e32 v19, 0xffff, v19
	s_delay_alu instid0(VALU_DEP_1)
	v_and_or_b32 v17, 0xffff0000, v17, v19
.LBB1179_361:
	s_or_b32 exec_lo, exec_lo, s3
	s_delay_alu instid0(SALU_CYCLE_1)
	s_and_not1_b32 vcc_lo, exec_lo, s24
	s_cbranch_vccnz .LBB1179_363
; %bb.362:
	v_cmp_gt_u32_e32 vcc_lo, s20, v39
	s_waitcnt lgkmcnt(0)
	v_or_b32_e32 v20, 1, v39
	v_and_b32_e32 v21, 0xffffff00, v18
	v_or_b32_e32 v22, 2, v39
	v_cndmask_b32_e32 v19, 0, v17, vcc_lo
	s_delay_alu instid0(VALU_DEP_4) | instskip(SKIP_1) | instid1(VALU_DEP_4)
	v_cmp_gt_u32_e32 vcc_lo, s20, v20
	v_or_b32_e32 v20, 4, v39
	v_cmp_gt_u32_e64 s2, s20, v22
	v_or_b32_e32 v22, 3, v39
	v_and_b32_e32 v19, 0xff, v19
	s_delay_alu instid0(VALU_DEP_2) | instskip(NEXT) | instid1(VALU_DEP_2)
	v_cmp_gt_u32_e64 s3, s20, v22
	v_cndmask_b32_e32 v19, v19, v17, vcc_lo
	v_cmp_gt_u32_e32 vcc_lo, s20, v20
	v_cndmask_b32_e32 v20, v21, v18, vcc_lo
	v_or_b32_e32 v21, 5, v39
	s_delay_alu instid0(VALU_DEP_2) | instskip(SKIP_1) | instid1(VALU_DEP_1)
	v_and_b32_e32 v20, 0xffff00ff, v20
	v_and_b32_e32 v19, 0xffff, v19
	v_cndmask_b32_e64 v19, v19, v17, s2
	s_delay_alu instid0(VALU_DEP_4) | instskip(SKIP_1) | instid1(VALU_DEP_3)
	v_cmp_gt_u32_e64 s2, s20, v21
	v_or_b32_e32 v21, 6, v39
	v_and_b32_e32 v19, 0xffffff, v19
	s_delay_alu instid0(VALU_DEP_3) | instskip(NEXT) | instid1(VALU_DEP_2)
	v_cndmask_b32_e64 v20, v20, v18, s2
	v_cndmask_b32_e64 v19, v19, v17, s3
	s_delay_alu instid0(VALU_DEP_1) | instskip(SKIP_2) | instid1(VALU_DEP_3)
	v_dual_cndmask_b32 v19, v19, v17 :: v_dual_and_b32 v20, 0xff00ffff, v20
	v_cmp_gt_u32_e32 vcc_lo, s20, v21
	v_or_b32_e32 v21, 7, v39
	v_cndmask_b32_e64 v19, v19, v17, s2
	s_delay_alu instid0(VALU_DEP_1) | instskip(NEXT) | instid1(VALU_DEP_1)
	v_dual_cndmask_b32 v20, v20, v18 :: v_dual_cndmask_b32 v19, v19, v17
	v_and_b32_e32 v20, 0xffffff, v20
	s_delay_alu instid0(VALU_DEP_4) | instskip(NEXT) | instid1(VALU_DEP_2)
	v_cmp_gt_u32_e32 vcc_lo, s20, v21
	v_dual_cndmask_b32 v18, v20, v18 :: v_dual_cndmask_b32 v17, v19, v17
.LBB1179_363:
	s_delay_alu instid0(VALU_DEP_1) | instskip(SKIP_1) | instid1(VALU_DEP_2)
	v_and_b32_e32 v26, 0xff, v17
	s_waitcnt lgkmcnt(0)
	v_alignbit_b32 v19, v18, v17, 24
	v_bfe_u32 v28, v17, 8, 8
	v_bfe_u32 v30, v17, 16, 8
	v_and_b32_e32 v34, 0xff, v18
	v_bfe_u32 v36, v18, 8, 8
	v_and_b32_e32 v32, 0xff, v19
	v_add_nc_u32_e32 v19, v28, v26
	v_mbcnt_lo_u32_b32 v41, -1, 0
	v_bfe_u32 v38, v18, 16, 8
	v_lshrrev_b32_e32 v40, 24, v18
	v_lshrrev_b32_e32 v42, 5, v0
	v_add3_u32 v19, v19, v30, v32
	v_and_b32_e32 v20, 15, v41
	v_and_b32_e32 v21, 16, v41
	s_and_b32 vcc_lo, exec_lo, s25
	s_mov_b32 s18, -1
	v_add3_u32 v19, v19, v34, v36
	v_cmp_eq_u32_e64 s4, 0, v20
	v_cmp_lt_u32_e64 s2, 1, v20
	v_cmp_lt_u32_e64 s5, 3, v20
	;; [unrolled: 1-line block ×3, first 2 shown]
	v_add3_u32 v43, v19, v38, v40
	v_or_b32_e32 v19, 31, v0
	v_cmp_eq_u32_e64 s7, 0, v21
	s_barrier
	buffer_gl0_inv
	v_cmp_eq_u32_e64 s6, v19, v0
	s_cbranch_vccz .LBB1179_389
; %bb.364:
	v_mov_b32_dpp v19, v43 row_shr:1 row_mask:0xf bank_mask:0xf
	s_delay_alu instid0(VALU_DEP_1) | instskip(NEXT) | instid1(VALU_DEP_1)
	v_cndmask_b32_e64 v19, v19, 0, s4
	v_add_nc_u32_e32 v19, v19, v43
	s_delay_alu instid0(VALU_DEP_1) | instskip(NEXT) | instid1(VALU_DEP_1)
	v_mov_b32_dpp v20, v19 row_shr:2 row_mask:0xf bank_mask:0xf
	v_cndmask_b32_e64 v20, 0, v20, s2
	s_delay_alu instid0(VALU_DEP_1) | instskip(NEXT) | instid1(VALU_DEP_1)
	v_add_nc_u32_e32 v19, v19, v20
	v_mov_b32_dpp v20, v19 row_shr:4 row_mask:0xf bank_mask:0xf
	s_delay_alu instid0(VALU_DEP_1) | instskip(NEXT) | instid1(VALU_DEP_1)
	v_cndmask_b32_e64 v20, 0, v20, s5
	v_add_nc_u32_e32 v19, v19, v20
	s_delay_alu instid0(VALU_DEP_1) | instskip(NEXT) | instid1(VALU_DEP_1)
	v_mov_b32_dpp v20, v19 row_shr:8 row_mask:0xf bank_mask:0xf
	v_cndmask_b32_e64 v20, 0, v20, s3
	s_delay_alu instid0(VALU_DEP_1) | instskip(SKIP_3) | instid1(VALU_DEP_1)
	v_add_nc_u32_e32 v19, v19, v20
	ds_swizzle_b32 v20, v19 offset:swizzle(BROADCAST,32,15)
	s_waitcnt lgkmcnt(0)
	v_cndmask_b32_e64 v20, v20, 0, s7
	v_add_nc_u32_e32 v19, v19, v20
	s_and_saveexec_b32 s8, s6
	s_cbranch_execz .LBB1179_366
; %bb.365:
	v_lshlrev_b32_e32 v20, 2, v42
	ds_store_b32 v20, v19
.LBB1179_366:
	s_or_b32 exec_lo, exec_lo, s8
	s_delay_alu instid0(SALU_CYCLE_1)
	s_mov_b32 s8, exec_lo
	s_waitcnt lgkmcnt(0)
	s_barrier
	buffer_gl0_inv
	v_cmpx_gt_u32_e32 16, v0
	s_cbranch_execz .LBB1179_368
; %bb.367:
	v_lshlrev_b32_e32 v20, 2, v0
	ds_load_b32 v21, v20
	s_waitcnt lgkmcnt(0)
	v_mov_b32_dpp v22, v21 row_shr:1 row_mask:0xf bank_mask:0xf
	s_delay_alu instid0(VALU_DEP_1) | instskip(NEXT) | instid1(VALU_DEP_1)
	v_cndmask_b32_e64 v22, v22, 0, s4
	v_add_nc_u32_e32 v21, v22, v21
	s_delay_alu instid0(VALU_DEP_1) | instskip(NEXT) | instid1(VALU_DEP_1)
	v_mov_b32_dpp v22, v21 row_shr:2 row_mask:0xf bank_mask:0xf
	v_cndmask_b32_e64 v22, 0, v22, s2
	s_delay_alu instid0(VALU_DEP_1) | instskip(NEXT) | instid1(VALU_DEP_1)
	v_add_nc_u32_e32 v21, v21, v22
	v_mov_b32_dpp v22, v21 row_shr:4 row_mask:0xf bank_mask:0xf
	s_delay_alu instid0(VALU_DEP_1) | instskip(NEXT) | instid1(VALU_DEP_1)
	v_cndmask_b32_e64 v22, 0, v22, s5
	v_add_nc_u32_e32 v21, v21, v22
	s_delay_alu instid0(VALU_DEP_1) | instskip(NEXT) | instid1(VALU_DEP_1)
	v_mov_b32_dpp v22, v21 row_shr:8 row_mask:0xf bank_mask:0xf
	v_cndmask_b32_e64 v22, 0, v22, s3
	s_delay_alu instid0(VALU_DEP_1)
	v_add_nc_u32_e32 v21, v21, v22
	ds_store_b32 v20, v21
.LBB1179_368:
	s_or_b32 exec_lo, exec_lo, s8
	v_cmp_gt_u32_e32 vcc_lo, 32, v0
	s_mov_b32 s9, exec_lo
	s_waitcnt lgkmcnt(0)
	s_barrier
	buffer_gl0_inv
                                        ; implicit-def: $vgpr27
	v_cmpx_lt_u32_e32 31, v0
	s_cbranch_execz .LBB1179_370
; %bb.369:
	v_lshl_add_u32 v20, v42, 2, -4
	ds_load_b32 v27, v20
	s_waitcnt lgkmcnt(0)
	v_add_nc_u32_e32 v19, v27, v19
.LBB1179_370:
	s_or_b32 exec_lo, exec_lo, s9
	v_add_nc_u32_e32 v20, -1, v41
	s_delay_alu instid0(VALU_DEP_1) | instskip(NEXT) | instid1(VALU_DEP_1)
	v_cmp_gt_i32_e64 s8, 0, v20
	v_cndmask_b32_e64 v20, v20, v41, s8
	v_cmp_eq_u32_e64 s8, 0, v41
	s_delay_alu instid0(VALU_DEP_2)
	v_lshlrev_b32_e32 v20, 2, v20
	ds_bpermute_b32 v29, v20, v19
	s_and_saveexec_b32 s9, vcc_lo
	s_cbranch_execz .LBB1179_388
; %bb.371:
	v_mov_b32_e32 v22, 0
	ds_load_b32 v19, v22 offset:60
	s_and_saveexec_b32 s18, s8
	s_cbranch_execz .LBB1179_373
; %bb.372:
	s_add_i32 s22, s15, 32
	s_mov_b32 s23, 0
	v_mov_b32_e32 v20, 1
	s_lshl_b64 s[22:23], s[22:23], 3
	s_delay_alu instid0(SALU_CYCLE_1)
	s_add_u32 s22, s10, s22
	s_addc_u32 s23, s11, s23
	s_waitcnt lgkmcnt(0)
	global_store_b64 v22, v[19:20], s[22:23]
.LBB1179_373:
	s_or_b32 exec_lo, exec_lo, s18
	v_xad_u32 v20, v41, -1, s15
	s_mov_b32 s19, 0
	s_mov_b32 s18, exec_lo
	s_delay_alu instid0(VALU_DEP_1) | instskip(NEXT) | instid1(VALU_DEP_1)
	v_add_nc_u32_e32 v21, 32, v20
	v_lshlrev_b64 v[21:22], 3, v[21:22]
	s_delay_alu instid0(VALU_DEP_1) | instskip(NEXT) | instid1(VALU_DEP_2)
	v_add_co_u32 v24, vcc_lo, s10, v21
	v_add_co_ci_u32_e32 v25, vcc_lo, s11, v22, vcc_lo
	global_load_b64 v[22:23], v[24:25], off glc
	s_waitcnt vmcnt(0)
	v_and_b32_e32 v21, 0xff, v23
	s_delay_alu instid0(VALU_DEP_1)
	v_cmpx_eq_u16_e32 0, v21
	s_cbranch_execz .LBB1179_376
.LBB1179_374:                           ; =>This Inner Loop Header: Depth=1
	global_load_b64 v[22:23], v[24:25], off glc
	s_waitcnt vmcnt(0)
	v_and_b32_e32 v21, 0xff, v23
	s_delay_alu instid0(VALU_DEP_1) | instskip(SKIP_1) | instid1(SALU_CYCLE_1)
	v_cmp_ne_u16_e32 vcc_lo, 0, v21
	s_or_b32 s19, vcc_lo, s19
	s_and_not1_b32 exec_lo, exec_lo, s19
	s_cbranch_execnz .LBB1179_374
; %bb.375:
	s_or_b32 exec_lo, exec_lo, s19
.LBB1179_376:
	s_delay_alu instid0(SALU_CYCLE_1)
	s_or_b32 exec_lo, exec_lo, s18
	v_cmp_ne_u32_e32 vcc_lo, 31, v41
	v_lshlrev_b32_e64 v33, v41, -1
	v_add_nc_u32_e32 v37, 2, v41
	v_add_nc_u32_e32 v46, 4, v41
	;; [unrolled: 1-line block ×3, first 2 shown]
	v_add_co_ci_u32_e32 v21, vcc_lo, 0, v41, vcc_lo
	v_add_nc_u32_e32 v50, 16, v41
	s_delay_alu instid0(VALU_DEP_2)
	v_lshlrev_b32_e32 v31, 2, v21
	v_and_b32_e32 v21, 0xff, v23
	ds_bpermute_b32 v24, v31, v22
	v_cmp_eq_u16_e32 vcc_lo, 2, v21
	v_and_or_b32 v21, vcc_lo, v33, 0x80000000
	v_cmp_gt_u32_e32 vcc_lo, 30, v41
	s_delay_alu instid0(VALU_DEP_2) | instskip(SKIP_1) | instid1(VALU_DEP_2)
	v_ctz_i32_b32_e32 v21, v21
	v_cndmask_b32_e64 v25, 0, 1, vcc_lo
	v_cmp_lt_u32_e32 vcc_lo, v41, v21
	s_waitcnt lgkmcnt(0)
	s_delay_alu instid0(VALU_DEP_2) | instskip(NEXT) | instid1(VALU_DEP_1)
	v_dual_cndmask_b32 v24, 0, v24 :: v_dual_lshlrev_b32 v25, 1, v25
	v_add_lshl_u32 v35, v25, v41, 2
	v_cmp_gt_u32_e32 vcc_lo, 28, v41
	s_delay_alu instid0(VALU_DEP_3) | instskip(SKIP_4) | instid1(VALU_DEP_1)
	v_add_nc_u32_e32 v22, v24, v22
	v_cndmask_b32_e64 v25, 0, 1, vcc_lo
	v_cmp_le_u32_e32 vcc_lo, v37, v21
	ds_bpermute_b32 v24, v35, v22
	v_lshlrev_b32_e32 v25, 2, v25
	v_add_lshl_u32 v44, v25, v41, 2
	s_waitcnt lgkmcnt(0)
	v_cndmask_b32_e32 v24, 0, v24, vcc_lo
	v_cmp_gt_u32_e32 vcc_lo, 24, v41
	s_delay_alu instid0(VALU_DEP_2) | instskip(SKIP_4) | instid1(VALU_DEP_1)
	v_add_nc_u32_e32 v22, v22, v24
	v_cndmask_b32_e64 v25, 0, 1, vcc_lo
	v_cmp_le_u32_e32 vcc_lo, v46, v21
	ds_bpermute_b32 v24, v44, v22
	v_lshlrev_b32_e32 v25, 3, v25
	v_add_lshl_u32 v47, v25, v41, 2
	s_waitcnt lgkmcnt(0)
	v_cndmask_b32_e32 v24, 0, v24, vcc_lo
	v_cmp_gt_u32_e32 vcc_lo, 16, v41
	s_delay_alu instid0(VALU_DEP_2) | instskip(SKIP_4) | instid1(VALU_DEP_1)
	v_add_nc_u32_e32 v22, v22, v24
	v_cndmask_b32_e64 v25, 0, 1, vcc_lo
	v_cmp_le_u32_e32 vcc_lo, v48, v21
	ds_bpermute_b32 v24, v47, v22
	v_lshlrev_b32_e32 v25, 4, v25
	v_add_lshl_u32 v49, v25, v41, 2
	s_waitcnt lgkmcnt(0)
	v_cndmask_b32_e32 v24, 0, v24, vcc_lo
	v_cmp_le_u32_e32 vcc_lo, v50, v21
	s_delay_alu instid0(VALU_DEP_2) | instskip(SKIP_3) | instid1(VALU_DEP_1)
	v_add_nc_u32_e32 v22, v22, v24
	ds_bpermute_b32 v24, v49, v22
	s_waitcnt lgkmcnt(0)
	v_cndmask_b32_e32 v21, 0, v24, vcc_lo
	v_dual_mov_b32 v21, 0 :: v_dual_add_nc_u32 v22, v22, v21
	s_branch .LBB1179_378
.LBB1179_377:                           ;   in Loop: Header=BB1179_378 Depth=1
	s_or_b32 exec_lo, exec_lo, s18
	ds_bpermute_b32 v25, v31, v22
	v_and_b32_e32 v24, 0xff, v23
	v_subrev_nc_u32_e32 v20, 32, v20
	s_delay_alu instid0(VALU_DEP_2) | instskip(SKIP_1) | instid1(VALU_DEP_1)
	v_cmp_eq_u16_e32 vcc_lo, 2, v24
	v_and_or_b32 v24, vcc_lo, v33, 0x80000000
	v_ctz_i32_b32_e32 v24, v24
	s_delay_alu instid0(VALU_DEP_1) | instskip(SKIP_3) | instid1(VALU_DEP_2)
	v_cmp_lt_u32_e32 vcc_lo, v41, v24
	s_waitcnt lgkmcnt(0)
	v_cndmask_b32_e32 v25, 0, v25, vcc_lo
	v_cmp_le_u32_e32 vcc_lo, v37, v24
	v_add_nc_u32_e32 v22, v25, v22
	ds_bpermute_b32 v25, v35, v22
	s_waitcnt lgkmcnt(0)
	v_cndmask_b32_e32 v25, 0, v25, vcc_lo
	v_cmp_le_u32_e32 vcc_lo, v46, v24
	s_delay_alu instid0(VALU_DEP_2) | instskip(SKIP_4) | instid1(VALU_DEP_2)
	v_add_nc_u32_e32 v22, v22, v25
	ds_bpermute_b32 v25, v44, v22
	s_waitcnt lgkmcnt(0)
	v_cndmask_b32_e32 v25, 0, v25, vcc_lo
	v_cmp_le_u32_e32 vcc_lo, v48, v24
	v_add_nc_u32_e32 v22, v22, v25
	ds_bpermute_b32 v25, v47, v22
	s_waitcnt lgkmcnt(0)
	v_cndmask_b32_e32 v25, 0, v25, vcc_lo
	v_cmp_le_u32_e32 vcc_lo, v50, v24
	s_delay_alu instid0(VALU_DEP_2) | instskip(SKIP_3) | instid1(VALU_DEP_1)
	v_add_nc_u32_e32 v22, v22, v25
	ds_bpermute_b32 v25, v49, v22
	s_waitcnt lgkmcnt(0)
	v_cndmask_b32_e32 v24, 0, v25, vcc_lo
	v_add3_u32 v22, v24, v45, v22
.LBB1179_378:                           ; =>This Loop Header: Depth=1
                                        ;     Child Loop BB1179_381 Depth 2
	v_and_b32_e32 v23, 0xff, v23
	s_delay_alu instid0(VALU_DEP_2) | instskip(NEXT) | instid1(VALU_DEP_2)
	v_mov_b32_e32 v45, v22
	v_cmp_ne_u16_e32 vcc_lo, 2, v23
	v_cndmask_b32_e64 v23, 0, 1, vcc_lo
	;;#ASMSTART
	;;#ASMEND
	s_delay_alu instid0(VALU_DEP_1)
	v_cmp_ne_u32_e32 vcc_lo, 0, v23
	s_cmp_lg_u32 vcc_lo, exec_lo
	s_cbranch_scc1 .LBB1179_383
; %bb.379:                              ;   in Loop: Header=BB1179_378 Depth=1
	v_lshlrev_b64 v[22:23], 3, v[20:21]
	s_mov_b32 s18, exec_lo
	s_delay_alu instid0(VALU_DEP_1) | instskip(NEXT) | instid1(VALU_DEP_2)
	v_add_co_u32 v24, vcc_lo, s10, v22
	v_add_co_ci_u32_e32 v25, vcc_lo, s11, v23, vcc_lo
	global_load_b64 v[22:23], v[24:25], off glc
	s_waitcnt vmcnt(0)
	v_and_b32_e32 v51, 0xff, v23
	s_delay_alu instid0(VALU_DEP_1)
	v_cmpx_eq_u16_e32 0, v51
	s_cbranch_execz .LBB1179_377
; %bb.380:                              ;   in Loop: Header=BB1179_378 Depth=1
	s_mov_b32 s19, 0
.LBB1179_381:                           ;   Parent Loop BB1179_378 Depth=1
                                        ; =>  This Inner Loop Header: Depth=2
	global_load_b64 v[22:23], v[24:25], off glc
	s_waitcnt vmcnt(0)
	v_and_b32_e32 v51, 0xff, v23
	s_delay_alu instid0(VALU_DEP_1) | instskip(SKIP_1) | instid1(SALU_CYCLE_1)
	v_cmp_ne_u16_e32 vcc_lo, 0, v51
	s_or_b32 s19, vcc_lo, s19
	s_and_not1_b32 exec_lo, exec_lo, s19
	s_cbranch_execnz .LBB1179_381
; %bb.382:                              ;   in Loop: Header=BB1179_378 Depth=1
	s_or_b32 exec_lo, exec_lo, s19
	s_branch .LBB1179_377
.LBB1179_383:                           ;   in Loop: Header=BB1179_378 Depth=1
                                        ; implicit-def: $vgpr22
                                        ; implicit-def: $vgpr23
	s_cbranch_execz .LBB1179_378
; %bb.384:
	s_and_saveexec_b32 s18, s8
	s_cbranch_execz .LBB1179_386
; %bb.385:
	s_add_i32 s22, s15, 32
	s_mov_b32 s23, 0
	v_dual_mov_b32 v21, 2 :: v_dual_add_nc_u32 v20, v45, v19
	s_lshl_b64 s[22:23], s[22:23], 3
	v_mov_b32_e32 v22, 0
	v_add_nc_u32_e64 v23, 0x8400, 0
	s_add_u32 s22, s10, s22
	s_addc_u32 s23, s11, s23
	global_store_b64 v22, v[20:21], s[22:23]
	ds_store_2addr_b32 v23, v19, v45 offset1:2
.LBB1179_386:
	s_or_b32 exec_lo, exec_lo, s18
	v_cmp_eq_u32_e32 vcc_lo, 0, v0
	s_and_b32 exec_lo, exec_lo, vcc_lo
	s_cbranch_execz .LBB1179_388
; %bb.387:
	v_mov_b32_e32 v19, 0
	ds_store_b32 v19, v45 offset:60
.LBB1179_388:
	s_or_b32 exec_lo, exec_lo, s9
	s_waitcnt lgkmcnt(0)
	v_cndmask_b32_e64 v20, v29, v27, s8
	v_cmp_ne_u32_e32 vcc_lo, 0, v0
	v_mov_b32_e32 v19, 0
	s_waitcnt_vscnt null, 0x0
	s_barrier
	buffer_gl0_inv
	v_cndmask_b32_e32 v20, 0, v20, vcc_lo
	ds_load_b32 v19, v19 offset:60
	s_waitcnt lgkmcnt(0)
	s_barrier
	buffer_gl0_inv
	v_add_nc_u32_e32 v37, v19, v20
	v_add_nc_u32_e64 v19, 0x8400, 0
	s_delay_alu instid0(VALU_DEP_2) | instskip(SKIP_2) | instid1(VALU_DEP_1)
	v_add_nc_u32_e32 v35, v37, v26
	ds_load_2addr_b32 v[19:20], v19 offset1:2
	v_add_nc_u32_e32 v33, v35, v28
	v_add_nc_u32_e32 v31, v33, v30
	s_delay_alu instid0(VALU_DEP_1) | instskip(NEXT) | instid1(VALU_DEP_1)
	v_add_nc_u32_e32 v29, v31, v32
	v_add_nc_u32_e32 v27, v29, v34
	s_delay_alu instid0(VALU_DEP_1) | instskip(NEXT) | instid1(VALU_DEP_1)
	v_add_nc_u32_e32 v25, v27, v36
	v_add_nc_u32_e32 v23, v25, v38
	s_load_b64 s[8:9], s[0:1], 0x28
	v_lshrrev_b64 v[21:22], 24, v[17:18]
	s_branch .LBB1179_399
.LBB1179_389:
                                        ; implicit-def: $vgpr23
                                        ; implicit-def: $vgpr25
                                        ; implicit-def: $vgpr27
                                        ; implicit-def: $vgpr29
                                        ; implicit-def: $vgpr31
                                        ; implicit-def: $vgpr33
                                        ; implicit-def: $vgpr35
                                        ; implicit-def: $vgpr37
                                        ; implicit-def: $vgpr20
	s_load_b64 s[8:9], s[0:1], 0x28
	v_lshrrev_b64 v[21:22], 24, v[17:18]
	s_and_b32 vcc_lo, exec_lo, s18
	s_cbranch_vccz .LBB1179_399
; %bb.390:
	s_waitcnt lgkmcnt(0)
	v_mov_b32_dpp v19, v43 row_shr:1 row_mask:0xf bank_mask:0xf
	s_delay_alu instid0(VALU_DEP_1) | instskip(NEXT) | instid1(VALU_DEP_1)
	v_cndmask_b32_e64 v19, v19, 0, s4
	v_add_nc_u32_e32 v19, v19, v43
	s_delay_alu instid0(VALU_DEP_1) | instskip(NEXT) | instid1(VALU_DEP_1)
	v_mov_b32_dpp v20, v19 row_shr:2 row_mask:0xf bank_mask:0xf
	v_cndmask_b32_e64 v20, 0, v20, s2
	s_delay_alu instid0(VALU_DEP_1) | instskip(NEXT) | instid1(VALU_DEP_1)
	v_add_nc_u32_e32 v19, v19, v20
	v_mov_b32_dpp v20, v19 row_shr:4 row_mask:0xf bank_mask:0xf
	s_delay_alu instid0(VALU_DEP_1) | instskip(NEXT) | instid1(VALU_DEP_1)
	v_cndmask_b32_e64 v20, 0, v20, s5
	v_add_nc_u32_e32 v19, v19, v20
	s_delay_alu instid0(VALU_DEP_1) | instskip(NEXT) | instid1(VALU_DEP_1)
	v_mov_b32_dpp v20, v19 row_shr:8 row_mask:0xf bank_mask:0xf
	v_cndmask_b32_e64 v20, 0, v20, s3
	s_delay_alu instid0(VALU_DEP_1) | instskip(SKIP_3) | instid1(VALU_DEP_1)
	v_add_nc_u32_e32 v19, v19, v20
	ds_swizzle_b32 v20, v19 offset:swizzle(BROADCAST,32,15)
	s_waitcnt lgkmcnt(0)
	v_cndmask_b32_e64 v20, v20, 0, s7
	v_add_nc_u32_e32 v19, v19, v20
	s_and_saveexec_b32 s0, s6
	s_cbranch_execz .LBB1179_392
; %bb.391:
	v_lshlrev_b32_e32 v20, 2, v42
	ds_store_b32 v20, v19
.LBB1179_392:
	s_or_b32 exec_lo, exec_lo, s0
	s_delay_alu instid0(SALU_CYCLE_1)
	s_mov_b32 s0, exec_lo
	s_waitcnt lgkmcnt(0)
	s_barrier
	buffer_gl0_inv
	v_cmpx_gt_u32_e32 16, v0
	s_cbranch_execz .LBB1179_394
; %bb.393:
	v_lshlrev_b32_e32 v20, 2, v0
	ds_load_b32 v22, v20
	s_waitcnt lgkmcnt(0)
	v_mov_b32_dpp v23, v22 row_shr:1 row_mask:0xf bank_mask:0xf
	s_delay_alu instid0(VALU_DEP_1) | instskip(NEXT) | instid1(VALU_DEP_1)
	v_cndmask_b32_e64 v23, v23, 0, s4
	v_add_nc_u32_e32 v22, v23, v22
	s_delay_alu instid0(VALU_DEP_1) | instskip(NEXT) | instid1(VALU_DEP_1)
	v_mov_b32_dpp v23, v22 row_shr:2 row_mask:0xf bank_mask:0xf
	v_cndmask_b32_e64 v23, 0, v23, s2
	s_delay_alu instid0(VALU_DEP_1) | instskip(NEXT) | instid1(VALU_DEP_1)
	v_add_nc_u32_e32 v22, v22, v23
	v_mov_b32_dpp v23, v22 row_shr:4 row_mask:0xf bank_mask:0xf
	s_delay_alu instid0(VALU_DEP_1) | instskip(NEXT) | instid1(VALU_DEP_1)
	v_cndmask_b32_e64 v23, 0, v23, s5
	v_add_nc_u32_e32 v22, v22, v23
	s_delay_alu instid0(VALU_DEP_1) | instskip(NEXT) | instid1(VALU_DEP_1)
	v_mov_b32_dpp v23, v22 row_shr:8 row_mask:0xf bank_mask:0xf
	v_cndmask_b32_e64 v23, 0, v23, s3
	s_delay_alu instid0(VALU_DEP_1)
	v_add_nc_u32_e32 v22, v22, v23
	ds_store_b32 v20, v22
.LBB1179_394:
	s_or_b32 exec_lo, exec_lo, s0
	v_mov_b32_e32 v20, 0
	v_mov_b32_e32 v22, 0
	s_mov_b32 s0, exec_lo
	s_waitcnt lgkmcnt(0)
	s_barrier
	buffer_gl0_inv
	v_cmpx_lt_u32_e32 31, v0
	s_cbranch_execz .LBB1179_396
; %bb.395:
	v_lshl_add_u32 v22, v42, 2, -4
	ds_load_b32 v22, v22
.LBB1179_396:
	s_or_b32 exec_lo, exec_lo, s0
	v_add_nc_u32_e32 v23, -1, v41
	s_waitcnt lgkmcnt(0)
	v_add_nc_u32_e32 v19, v22, v19
	s_delay_alu instid0(VALU_DEP_2) | instskip(SKIP_2) | instid1(VALU_DEP_2)
	v_cmp_gt_i32_e32 vcc_lo, 0, v23
	v_cndmask_b32_e32 v23, v23, v41, vcc_lo
	v_cmp_eq_u32_e32 vcc_lo, 0, v0
	v_lshlrev_b32_e32 v23, 2, v23
	ds_bpermute_b32 v23, v23, v19
	ds_load_b32 v19, v20 offset:60
	s_and_saveexec_b32 s0, vcc_lo
	s_cbranch_execz .LBB1179_398
; %bb.397:
	v_mov_b32_e32 v24, 0
	v_mov_b32_e32 v20, 2
	s_waitcnt lgkmcnt(0)
	global_store_b64 v24, v[19:20], s[10:11] offset:256
.LBB1179_398:
	s_or_b32 exec_lo, exec_lo, s0
	v_cmp_eq_u32_e64 s0, 0, v41
	s_waitcnt lgkmcnt(0)
	s_waitcnt_vscnt null, 0x0
	s_barrier
	buffer_gl0_inv
	v_cndmask_b32_e64 v20, v23, v22, s0
	s_delay_alu instid0(VALU_DEP_1) | instskip(NEXT) | instid1(VALU_DEP_1)
	v_cndmask_b32_e64 v37, v20, 0, vcc_lo
	v_dual_mov_b32 v20, 0 :: v_dual_add_nc_u32 v35, v37, v26
	s_delay_alu instid0(VALU_DEP_1) | instskip(NEXT) | instid1(VALU_DEP_1)
	v_add_nc_u32_e32 v33, v35, v28
	v_add_nc_u32_e32 v31, v33, v30
	s_delay_alu instid0(VALU_DEP_1) | instskip(NEXT) | instid1(VALU_DEP_1)
	v_add_nc_u32_e32 v29, v31, v32
	v_add_nc_u32_e32 v27, v29, v34
	;; [unrolled: 3-line block ×3, first 2 shown]
.LBB1179_399:
	s_waitcnt lgkmcnt(0)
	v_cmp_gt_u32_e32 vcc_lo, 0x201, v19
	v_lshrrev_b32_e32 v43, 8, v17
	v_lshrrev_b32_e32 v42, 16, v17
	;; [unrolled: 1-line block ×4, first 2 shown]
	s_mov_b32 s0, -1
	s_cbranch_vccnz .LBB1179_403
; %bb.400:
	s_and_b32 vcc_lo, exec_lo, s0
	s_cbranch_vccnz .LBB1179_428
.LBB1179_401:
	v_cmp_eq_u32_e32 vcc_lo, 0, v0
	s_and_b32 s0, vcc_lo, s14
	s_delay_alu instid0(SALU_CYCLE_1)
	s_and_saveexec_b32 s1, s0
	s_cbranch_execnz .LBB1179_448
.LBB1179_402:
	s_nop 0
	s_sendmsg sendmsg(MSG_DEALLOC_VGPRS)
	s_endpgm
.LBB1179_403:
	v_add_nc_u32_e32 v24, v20, v19
	s_delay_alu instid0(VALU_DEP_1) | instskip(SKIP_1) | instid1(SALU_CYCLE_1)
	v_cmp_lt_u32_e32 vcc_lo, v37, v24
	s_or_b32 s1, s21, vcc_lo
	s_and_saveexec_b32 s0, s1
	s_cbranch_execz .LBB1179_406
; %bb.404:
	v_and_b32_e32 v26, 1, v17
	s_delay_alu instid0(VALU_DEP_1)
	v_cmp_eq_u32_e32 vcc_lo, 1, v26
	s_and_b32 exec_lo, exec_lo, vcc_lo
	s_cbranch_execz .LBB1179_406
; %bb.405:
	v_mov_b32_e32 v38, 0
	s_lshl_b64 s[2:3], s[12:13], 3
	s_delay_alu instid0(SALU_CYCLE_1) | instskip(SKIP_1) | instid1(VALU_DEP_1)
	s_add_u32 s1, s8, s2
	s_addc_u32 s2, s9, s3
	v_lshlrev_b64 v[44:45], 3, v[37:38]
	s_delay_alu instid0(VALU_DEP_1) | instskip(NEXT) | instid1(VALU_DEP_2)
	v_add_co_u32 v44, vcc_lo, s1, v44
	v_add_co_ci_u32_e32 v45, vcc_lo, s2, v45, vcc_lo
	global_store_b64 v[44:45], v[13:14], off
.LBB1179_406:
	s_or_b32 exec_lo, exec_lo, s0
	v_cmp_lt_u32_e32 vcc_lo, v35, v24
	s_or_b32 s1, s21, vcc_lo
	s_delay_alu instid0(SALU_CYCLE_1)
	s_and_saveexec_b32 s0, s1
	s_cbranch_execz .LBB1179_409
; %bb.407:
	v_and_b32_e32 v26, 1, v43
	s_delay_alu instid0(VALU_DEP_1)
	v_cmp_eq_u32_e32 vcc_lo, 1, v26
	s_and_b32 exec_lo, exec_lo, vcc_lo
	s_cbranch_execz .LBB1179_409
; %bb.408:
	v_mov_b32_e32 v36, 0
	s_lshl_b64 s[2:3], s[12:13], 3
	s_delay_alu instid0(SALU_CYCLE_1) | instskip(SKIP_1) | instid1(VALU_DEP_1)
	s_add_u32 s1, s8, s2
	s_addc_u32 s2, s9, s3
	v_lshlrev_b64 v[44:45], 3, v[35:36]
	s_delay_alu instid0(VALU_DEP_1) | instskip(NEXT) | instid1(VALU_DEP_2)
	v_add_co_u32 v44, vcc_lo, s1, v44
	v_add_co_ci_u32_e32 v45, vcc_lo, s2, v45, vcc_lo
	global_store_b64 v[44:45], v[15:16], off
.LBB1179_409:
	s_or_b32 exec_lo, exec_lo, s0
	v_cmp_lt_u32_e32 vcc_lo, v33, v24
	s_or_b32 s1, s21, vcc_lo
	s_delay_alu instid0(SALU_CYCLE_1)
	s_and_saveexec_b32 s0, s1
	s_cbranch_execz .LBB1179_412
; %bb.410:
	v_and_b32_e32 v26, 1, v42
	s_delay_alu instid0(VALU_DEP_1)
	v_cmp_eq_u32_e32 vcc_lo, 1, v26
	s_and_b32 exec_lo, exec_lo, vcc_lo
	s_cbranch_execz .LBB1179_412
; %bb.411:
	v_mov_b32_e32 v34, 0
	s_lshl_b64 s[2:3], s[12:13], 3
	s_delay_alu instid0(SALU_CYCLE_1) | instskip(SKIP_1) | instid1(VALU_DEP_1)
	s_add_u32 s1, s8, s2
	s_addc_u32 s2, s9, s3
	v_lshlrev_b64 v[44:45], 3, v[33:34]
	s_delay_alu instid0(VALU_DEP_1) | instskip(NEXT) | instid1(VALU_DEP_2)
	v_add_co_u32 v44, vcc_lo, s1, v44
	v_add_co_ci_u32_e32 v45, vcc_lo, s2, v45, vcc_lo
	global_store_b64 v[44:45], v[9:10], off
.LBB1179_412:
	s_or_b32 exec_lo, exec_lo, s0
	v_cmp_lt_u32_e32 vcc_lo, v31, v24
	s_or_b32 s1, s21, vcc_lo
	s_delay_alu instid0(SALU_CYCLE_1)
	s_and_saveexec_b32 s0, s1
	s_cbranch_execz .LBB1179_415
; %bb.413:
	v_and_b32_e32 v26, 1, v21
	s_delay_alu instid0(VALU_DEP_1)
	v_cmp_eq_u32_e32 vcc_lo, 1, v26
	s_and_b32 exec_lo, exec_lo, vcc_lo
	s_cbranch_execz .LBB1179_415
; %bb.414:
	v_mov_b32_e32 v32, 0
	s_lshl_b64 s[2:3], s[12:13], 3
	s_delay_alu instid0(SALU_CYCLE_1) | instskip(SKIP_1) | instid1(VALU_DEP_1)
	s_add_u32 s1, s8, s2
	s_addc_u32 s2, s9, s3
	v_lshlrev_b64 v[44:45], 3, v[31:32]
	s_delay_alu instid0(VALU_DEP_1) | instskip(NEXT) | instid1(VALU_DEP_2)
	v_add_co_u32 v44, vcc_lo, s1, v44
	v_add_co_ci_u32_e32 v45, vcc_lo, s2, v45, vcc_lo
	global_store_b64 v[44:45], v[11:12], off
.LBB1179_415:
	s_or_b32 exec_lo, exec_lo, s0
	v_cmp_lt_u32_e32 vcc_lo, v29, v24
	s_or_b32 s1, s21, vcc_lo
	s_delay_alu instid0(SALU_CYCLE_1)
	s_and_saveexec_b32 s0, s1
	s_cbranch_execz .LBB1179_418
; %bb.416:
	v_and_b32_e32 v26, 1, v18
	s_delay_alu instid0(VALU_DEP_1)
	v_cmp_eq_u32_e32 vcc_lo, 1, v26
	s_and_b32 exec_lo, exec_lo, vcc_lo
	s_cbranch_execz .LBB1179_418
; %bb.417:
	v_mov_b32_e32 v30, 0
	s_lshl_b64 s[2:3], s[12:13], 3
	s_delay_alu instid0(SALU_CYCLE_1) | instskip(SKIP_1) | instid1(VALU_DEP_1)
	s_add_u32 s1, s8, s2
	s_addc_u32 s2, s9, s3
	v_lshlrev_b64 v[44:45], 3, v[29:30]
	s_delay_alu instid0(VALU_DEP_1) | instskip(NEXT) | instid1(VALU_DEP_2)
	v_add_co_u32 v44, vcc_lo, s1, v44
	v_add_co_ci_u32_e32 v45, vcc_lo, s2, v45, vcc_lo
	global_store_b64 v[44:45], v[5:6], off
.LBB1179_418:
	s_or_b32 exec_lo, exec_lo, s0
	v_cmp_lt_u32_e32 vcc_lo, v27, v24
	s_or_b32 s1, s21, vcc_lo
	s_delay_alu instid0(SALU_CYCLE_1)
	s_and_saveexec_b32 s0, s1
	s_cbranch_execz .LBB1179_421
; %bb.419:
	v_and_b32_e32 v26, 1, v41
	s_delay_alu instid0(VALU_DEP_1)
	v_cmp_eq_u32_e32 vcc_lo, 1, v26
	s_and_b32 exec_lo, exec_lo, vcc_lo
	s_cbranch_execz .LBB1179_421
; %bb.420:
	v_mov_b32_e32 v28, 0
	s_lshl_b64 s[2:3], s[12:13], 3
	s_delay_alu instid0(SALU_CYCLE_1) | instskip(SKIP_1) | instid1(VALU_DEP_1)
	s_add_u32 s1, s8, s2
	s_addc_u32 s2, s9, s3
	v_lshlrev_b64 v[44:45], 3, v[27:28]
	s_delay_alu instid0(VALU_DEP_1) | instskip(NEXT) | instid1(VALU_DEP_2)
	v_add_co_u32 v44, vcc_lo, s1, v44
	v_add_co_ci_u32_e32 v45, vcc_lo, s2, v45, vcc_lo
	global_store_b64 v[44:45], v[7:8], off
.LBB1179_421:
	s_or_b32 exec_lo, exec_lo, s0
	v_cmp_lt_u32_e32 vcc_lo, v25, v24
	s_or_b32 s1, s21, vcc_lo
	s_delay_alu instid0(SALU_CYCLE_1)
	s_and_saveexec_b32 s0, s1
	s_cbranch_execz .LBB1179_424
; %bb.422:
	v_and_b32_e32 v26, 1, v22
	s_delay_alu instid0(VALU_DEP_1)
	v_cmp_eq_u32_e32 vcc_lo, 1, v26
	s_and_b32 exec_lo, exec_lo, vcc_lo
	s_cbranch_execz .LBB1179_424
; %bb.423:
	v_mov_b32_e32 v26, 0
	s_lshl_b64 s[2:3], s[12:13], 3
	s_delay_alu instid0(SALU_CYCLE_1) | instskip(SKIP_1) | instid1(VALU_DEP_1)
	s_add_u32 s1, s8, s2
	s_addc_u32 s2, s9, s3
	v_lshlrev_b64 v[44:45], 3, v[25:26]
	s_delay_alu instid0(VALU_DEP_1) | instskip(NEXT) | instid1(VALU_DEP_2)
	v_add_co_u32 v44, vcc_lo, s1, v44
	v_add_co_ci_u32_e32 v45, vcc_lo, s2, v45, vcc_lo
	global_store_b64 v[44:45], v[1:2], off
.LBB1179_424:
	s_or_b32 exec_lo, exec_lo, s0
	v_cmp_lt_u32_e32 vcc_lo, v23, v24
	s_or_b32 s1, s21, vcc_lo
	s_delay_alu instid0(SALU_CYCLE_1)
	s_and_saveexec_b32 s0, s1
	s_cbranch_execz .LBB1179_427
; %bb.425:
	v_and_b32_e32 v24, 1, v40
	s_delay_alu instid0(VALU_DEP_1)
	v_cmp_eq_u32_e32 vcc_lo, 1, v24
	s_and_b32 exec_lo, exec_lo, vcc_lo
	s_cbranch_execz .LBB1179_427
; %bb.426:
	v_mov_b32_e32 v24, 0
	s_lshl_b64 s[2:3], s[12:13], 3
	s_delay_alu instid0(SALU_CYCLE_1) | instskip(SKIP_1) | instid1(VALU_DEP_1)
	s_add_u32 s1, s8, s2
	s_addc_u32 s2, s9, s3
	v_lshlrev_b64 v[44:45], 3, v[23:24]
	s_delay_alu instid0(VALU_DEP_1) | instskip(NEXT) | instid1(VALU_DEP_2)
	v_add_co_u32 v44, vcc_lo, s1, v44
	v_add_co_ci_u32_e32 v45, vcc_lo, s2, v45, vcc_lo
	global_store_b64 v[44:45], v[3:4], off
.LBB1179_427:
	s_or_b32 exec_lo, exec_lo, s0
	s_branch .LBB1179_401
.LBB1179_428:
	v_and_b32_e32 v17, 1, v17
	s_mov_b32 s0, exec_lo
	s_delay_alu instid0(VALU_DEP_1)
	v_cmpx_eq_u32_e32 1, v17
	s_cbranch_execz .LBB1179_430
; %bb.429:
	v_sub_nc_u32_e32 v17, v37, v20
	s_delay_alu instid0(VALU_DEP_1)
	v_lshlrev_b32_e32 v17, 3, v17
	ds_store_b64 v17, v[13:14]
.LBB1179_430:
	s_or_b32 exec_lo, exec_lo, s0
	v_and_b32_e32 v13, 1, v43
	s_mov_b32 s0, exec_lo
	s_delay_alu instid0(VALU_DEP_1)
	v_cmpx_eq_u32_e32 1, v13
	s_cbranch_execz .LBB1179_432
; %bb.431:
	v_sub_nc_u32_e32 v13, v35, v20
	s_delay_alu instid0(VALU_DEP_1)
	v_lshlrev_b32_e32 v13, 3, v13
	ds_store_b64 v13, v[15:16]
.LBB1179_432:
	s_or_b32 exec_lo, exec_lo, s0
	;; [unrolled: 12-line block ×8, first 2 shown]
	s_delay_alu instid0(SALU_CYCLE_1)
	s_mov_b32 s1, exec_lo
	s_waitcnt lgkmcnt(0)
	s_waitcnt_vscnt null, 0x0
	s_barrier
	buffer_gl0_inv
	v_cmpx_lt_u32_e64 v0, v19
	s_cbranch_execz .LBB1179_447
; %bb.445:
	v_dual_mov_b32 v2, 0 :: v_dual_mov_b32 v1, v20
	s_lshl_b64 s[2:3], s[12:13], 3
	v_mov_b32_e32 v3, v0
	s_delay_alu instid0(VALU_DEP_2) | instskip(NEXT) | instid1(VALU_DEP_1)
	v_lshlrev_b64 v[1:2], 3, v[1:2]
	v_add_co_u32 v1, vcc_lo, s2, v1
	s_delay_alu instid0(VALU_DEP_2) | instskip(SKIP_1) | instid1(VALU_DEP_2)
	v_add_co_ci_u32_e32 v2, vcc_lo, s3, v2, vcc_lo
	s_mov_b32 s2, 0
	v_add_co_u32 v1, vcc_lo, s8, v1
	s_delay_alu instid0(VALU_DEP_2) | instskip(NEXT) | instid1(VALU_DEP_2)
	v_add_co_ci_u32_e32 v2, vcc_lo, s9, v2, vcc_lo
	v_add_co_u32 v1, vcc_lo, v1, v39
	s_delay_alu instid0(VALU_DEP_2)
	v_add_co_ci_u32_e32 v2, vcc_lo, 0, v2, vcc_lo
	.p2align	6
.LBB1179_446:                           ; =>This Inner Loop Header: Depth=1
	ds_load_b64 v[4:5], v39
	v_add_nc_u32_e32 v3, 0x200, v3
	v_add_nc_u32_e32 v39, 0x1000, v39
	s_delay_alu instid0(VALU_DEP_2) | instskip(SKIP_4) | instid1(VALU_DEP_1)
	v_cmp_ge_u32_e32 vcc_lo, v3, v19
	s_or_b32 s2, vcc_lo, s2
	s_waitcnt lgkmcnt(0)
	global_store_b64 v[1:2], v[4:5], off
	v_add_co_u32 v1, s0, 0x1000, v1
	v_add_co_ci_u32_e64 v2, s0, 0, v2, s0
	s_and_not1_b32 exec_lo, exec_lo, s2
	s_cbranch_execnz .LBB1179_446
.LBB1179_447:
	s_or_b32 exec_lo, exec_lo, s1
	v_cmp_eq_u32_e32 vcc_lo, 0, v0
	s_and_b32 s0, vcc_lo, s14
	s_delay_alu instid0(SALU_CYCLE_1)
	s_and_saveexec_b32 s1, s0
	s_cbranch_execz .LBB1179_402
.LBB1179_448:
	v_add_co_u32 v0, s0, s12, v19
	s_delay_alu instid0(VALU_DEP_1) | instskip(SKIP_1) | instid1(VALU_DEP_3)
	v_add_co_ci_u32_e64 v1, null, s13, 0, s0
	v_mov_b32_e32 v2, 0
	v_add_co_u32 v0, vcc_lo, v0, v20
	s_delay_alu instid0(VALU_DEP_3)
	v_add_co_ci_u32_e32 v1, vcc_lo, 0, v1, vcc_lo
	global_store_b64 v2, v[0:1], s[16:17]
	s_nop 0
	s_sendmsg sendmsg(MSG_DEALLOC_VGPRS)
	s_endpgm
	.section	.rodata,"a",@progbits
	.p2align	6, 0x0
	.amdhsa_kernel _ZN7rocprim17ROCPRIM_400000_NS6detail17trampoline_kernelINS0_14default_configENS1_25partition_config_selectorILNS1_17partition_subalgoE8ElNS0_10empty_typeEbEEZZNS1_14partition_implILS5_8ELb0ES3_jPlPS6_PKS6_NS0_5tupleIJS9_S6_EEENSD_IJSA_SA_EEENS0_18inequality_wrapperIZN2at6native12_GLOBAL__N_124unique_dim_cuda_templateIN3c108BFloat16EEESt5tupleIJNSH_6TensorESO_SO_EERKSO_lbbbEUlllE0_EEPmJS6_EEE10hipError_tPvRmT3_T4_T5_T6_T7_T9_mT8_P12ihipStream_tbDpT10_ENKUlT_T0_E_clISt17integral_constantIbLb0EES1E_EEDaS19_S1A_EUlS19_E_NS1_11comp_targetILNS1_3genE9ELNS1_11target_archE1100ELNS1_3gpuE3ELNS1_3repE0EEENS1_30default_config_static_selectorELNS0_4arch9wavefront6targetE0EEEvT1_
		.amdhsa_group_segment_fixed_size 33804
		.amdhsa_private_segment_fixed_size 0
		.amdhsa_kernarg_size 120
		.amdhsa_user_sgpr_count 15
		.amdhsa_user_sgpr_dispatch_ptr 0
		.amdhsa_user_sgpr_queue_ptr 0
		.amdhsa_user_sgpr_kernarg_segment_ptr 1
		.amdhsa_user_sgpr_dispatch_id 0
		.amdhsa_user_sgpr_private_segment_size 0
		.amdhsa_wavefront_size32 1
		.amdhsa_uses_dynamic_stack 0
		.amdhsa_enable_private_segment 0
		.amdhsa_system_sgpr_workgroup_id_x 1
		.amdhsa_system_sgpr_workgroup_id_y 0
		.amdhsa_system_sgpr_workgroup_id_z 0
		.amdhsa_system_sgpr_workgroup_info 0
		.amdhsa_system_vgpr_workitem_id 0
		.amdhsa_next_free_vgpr 52
		.amdhsa_next_free_sgpr 36
		.amdhsa_reserve_vcc 1
		.amdhsa_float_round_mode_32 0
		.amdhsa_float_round_mode_16_64 0
		.amdhsa_float_denorm_mode_32 3
		.amdhsa_float_denorm_mode_16_64 3
		.amdhsa_dx10_clamp 1
		.amdhsa_ieee_mode 1
		.amdhsa_fp16_overflow 0
		.amdhsa_workgroup_processor_mode 1
		.amdhsa_memory_ordered 1
		.amdhsa_forward_progress 0
		.amdhsa_shared_vgpr_count 0
		.amdhsa_exception_fp_ieee_invalid_op 0
		.amdhsa_exception_fp_denorm_src 0
		.amdhsa_exception_fp_ieee_div_zero 0
		.amdhsa_exception_fp_ieee_overflow 0
		.amdhsa_exception_fp_ieee_underflow 0
		.amdhsa_exception_fp_ieee_inexact 0
		.amdhsa_exception_int_div_zero 0
	.end_amdhsa_kernel
	.section	.text._ZN7rocprim17ROCPRIM_400000_NS6detail17trampoline_kernelINS0_14default_configENS1_25partition_config_selectorILNS1_17partition_subalgoE8ElNS0_10empty_typeEbEEZZNS1_14partition_implILS5_8ELb0ES3_jPlPS6_PKS6_NS0_5tupleIJS9_S6_EEENSD_IJSA_SA_EEENS0_18inequality_wrapperIZN2at6native12_GLOBAL__N_124unique_dim_cuda_templateIN3c108BFloat16EEESt5tupleIJNSH_6TensorESO_SO_EERKSO_lbbbEUlllE0_EEPmJS6_EEE10hipError_tPvRmT3_T4_T5_T6_T7_T9_mT8_P12ihipStream_tbDpT10_ENKUlT_T0_E_clISt17integral_constantIbLb0EES1E_EEDaS19_S1A_EUlS19_E_NS1_11comp_targetILNS1_3genE9ELNS1_11target_archE1100ELNS1_3gpuE3ELNS1_3repE0EEENS1_30default_config_static_selectorELNS0_4arch9wavefront6targetE0EEEvT1_,"axG",@progbits,_ZN7rocprim17ROCPRIM_400000_NS6detail17trampoline_kernelINS0_14default_configENS1_25partition_config_selectorILNS1_17partition_subalgoE8ElNS0_10empty_typeEbEEZZNS1_14partition_implILS5_8ELb0ES3_jPlPS6_PKS6_NS0_5tupleIJS9_S6_EEENSD_IJSA_SA_EEENS0_18inequality_wrapperIZN2at6native12_GLOBAL__N_124unique_dim_cuda_templateIN3c108BFloat16EEESt5tupleIJNSH_6TensorESO_SO_EERKSO_lbbbEUlllE0_EEPmJS6_EEE10hipError_tPvRmT3_T4_T5_T6_T7_T9_mT8_P12ihipStream_tbDpT10_ENKUlT_T0_E_clISt17integral_constantIbLb0EES1E_EEDaS19_S1A_EUlS19_E_NS1_11comp_targetILNS1_3genE9ELNS1_11target_archE1100ELNS1_3gpuE3ELNS1_3repE0EEENS1_30default_config_static_selectorELNS0_4arch9wavefront6targetE0EEEvT1_,comdat
.Lfunc_end1179:
	.size	_ZN7rocprim17ROCPRIM_400000_NS6detail17trampoline_kernelINS0_14default_configENS1_25partition_config_selectorILNS1_17partition_subalgoE8ElNS0_10empty_typeEbEEZZNS1_14partition_implILS5_8ELb0ES3_jPlPS6_PKS6_NS0_5tupleIJS9_S6_EEENSD_IJSA_SA_EEENS0_18inequality_wrapperIZN2at6native12_GLOBAL__N_124unique_dim_cuda_templateIN3c108BFloat16EEESt5tupleIJNSH_6TensorESO_SO_EERKSO_lbbbEUlllE0_EEPmJS6_EEE10hipError_tPvRmT3_T4_T5_T6_T7_T9_mT8_P12ihipStream_tbDpT10_ENKUlT_T0_E_clISt17integral_constantIbLb0EES1E_EEDaS19_S1A_EUlS19_E_NS1_11comp_targetILNS1_3genE9ELNS1_11target_archE1100ELNS1_3gpuE3ELNS1_3repE0EEENS1_30default_config_static_selectorELNS0_4arch9wavefront6targetE0EEEvT1_, .Lfunc_end1179-_ZN7rocprim17ROCPRIM_400000_NS6detail17trampoline_kernelINS0_14default_configENS1_25partition_config_selectorILNS1_17partition_subalgoE8ElNS0_10empty_typeEbEEZZNS1_14partition_implILS5_8ELb0ES3_jPlPS6_PKS6_NS0_5tupleIJS9_S6_EEENSD_IJSA_SA_EEENS0_18inequality_wrapperIZN2at6native12_GLOBAL__N_124unique_dim_cuda_templateIN3c108BFloat16EEESt5tupleIJNSH_6TensorESO_SO_EERKSO_lbbbEUlllE0_EEPmJS6_EEE10hipError_tPvRmT3_T4_T5_T6_T7_T9_mT8_P12ihipStream_tbDpT10_ENKUlT_T0_E_clISt17integral_constantIbLb0EES1E_EEDaS19_S1A_EUlS19_E_NS1_11comp_targetILNS1_3genE9ELNS1_11target_archE1100ELNS1_3gpuE3ELNS1_3repE0EEENS1_30default_config_static_selectorELNS0_4arch9wavefront6targetE0EEEvT1_
                                        ; -- End function
	.section	.AMDGPU.csdata,"",@progbits
; Kernel info:
; codeLenInByte = 18996
; NumSgprs: 38
; NumVgprs: 52
; ScratchSize: 0
; MemoryBound: 0
; FloatMode: 240
; IeeeMode: 1
; LDSByteSize: 33804 bytes/workgroup (compile time only)
; SGPRBlocks: 4
; VGPRBlocks: 6
; NumSGPRsForWavesPerEU: 38
; NumVGPRsForWavesPerEU: 52
; Occupancy: 12
; WaveLimiterHint : 1
; COMPUTE_PGM_RSRC2:SCRATCH_EN: 0
; COMPUTE_PGM_RSRC2:USER_SGPR: 15
; COMPUTE_PGM_RSRC2:TRAP_HANDLER: 0
; COMPUTE_PGM_RSRC2:TGID_X_EN: 1
; COMPUTE_PGM_RSRC2:TGID_Y_EN: 0
; COMPUTE_PGM_RSRC2:TGID_Z_EN: 0
; COMPUTE_PGM_RSRC2:TIDIG_COMP_CNT: 0
	.section	.text._ZN7rocprim17ROCPRIM_400000_NS6detail17trampoline_kernelINS0_14default_configENS1_25partition_config_selectorILNS1_17partition_subalgoE8ElNS0_10empty_typeEbEEZZNS1_14partition_implILS5_8ELb0ES3_jPlPS6_PKS6_NS0_5tupleIJS9_S6_EEENSD_IJSA_SA_EEENS0_18inequality_wrapperIZN2at6native12_GLOBAL__N_124unique_dim_cuda_templateIN3c108BFloat16EEESt5tupleIJNSH_6TensorESO_SO_EERKSO_lbbbEUlllE0_EEPmJS6_EEE10hipError_tPvRmT3_T4_T5_T6_T7_T9_mT8_P12ihipStream_tbDpT10_ENKUlT_T0_E_clISt17integral_constantIbLb0EES1E_EEDaS19_S1A_EUlS19_E_NS1_11comp_targetILNS1_3genE8ELNS1_11target_archE1030ELNS1_3gpuE2ELNS1_3repE0EEENS1_30default_config_static_selectorELNS0_4arch9wavefront6targetE0EEEvT1_,"axG",@progbits,_ZN7rocprim17ROCPRIM_400000_NS6detail17trampoline_kernelINS0_14default_configENS1_25partition_config_selectorILNS1_17partition_subalgoE8ElNS0_10empty_typeEbEEZZNS1_14partition_implILS5_8ELb0ES3_jPlPS6_PKS6_NS0_5tupleIJS9_S6_EEENSD_IJSA_SA_EEENS0_18inequality_wrapperIZN2at6native12_GLOBAL__N_124unique_dim_cuda_templateIN3c108BFloat16EEESt5tupleIJNSH_6TensorESO_SO_EERKSO_lbbbEUlllE0_EEPmJS6_EEE10hipError_tPvRmT3_T4_T5_T6_T7_T9_mT8_P12ihipStream_tbDpT10_ENKUlT_T0_E_clISt17integral_constantIbLb0EES1E_EEDaS19_S1A_EUlS19_E_NS1_11comp_targetILNS1_3genE8ELNS1_11target_archE1030ELNS1_3gpuE2ELNS1_3repE0EEENS1_30default_config_static_selectorELNS0_4arch9wavefront6targetE0EEEvT1_,comdat
	.globl	_ZN7rocprim17ROCPRIM_400000_NS6detail17trampoline_kernelINS0_14default_configENS1_25partition_config_selectorILNS1_17partition_subalgoE8ElNS0_10empty_typeEbEEZZNS1_14partition_implILS5_8ELb0ES3_jPlPS6_PKS6_NS0_5tupleIJS9_S6_EEENSD_IJSA_SA_EEENS0_18inequality_wrapperIZN2at6native12_GLOBAL__N_124unique_dim_cuda_templateIN3c108BFloat16EEESt5tupleIJNSH_6TensorESO_SO_EERKSO_lbbbEUlllE0_EEPmJS6_EEE10hipError_tPvRmT3_T4_T5_T6_T7_T9_mT8_P12ihipStream_tbDpT10_ENKUlT_T0_E_clISt17integral_constantIbLb0EES1E_EEDaS19_S1A_EUlS19_E_NS1_11comp_targetILNS1_3genE8ELNS1_11target_archE1030ELNS1_3gpuE2ELNS1_3repE0EEENS1_30default_config_static_selectorELNS0_4arch9wavefront6targetE0EEEvT1_ ; -- Begin function _ZN7rocprim17ROCPRIM_400000_NS6detail17trampoline_kernelINS0_14default_configENS1_25partition_config_selectorILNS1_17partition_subalgoE8ElNS0_10empty_typeEbEEZZNS1_14partition_implILS5_8ELb0ES3_jPlPS6_PKS6_NS0_5tupleIJS9_S6_EEENSD_IJSA_SA_EEENS0_18inequality_wrapperIZN2at6native12_GLOBAL__N_124unique_dim_cuda_templateIN3c108BFloat16EEESt5tupleIJNSH_6TensorESO_SO_EERKSO_lbbbEUlllE0_EEPmJS6_EEE10hipError_tPvRmT3_T4_T5_T6_T7_T9_mT8_P12ihipStream_tbDpT10_ENKUlT_T0_E_clISt17integral_constantIbLb0EES1E_EEDaS19_S1A_EUlS19_E_NS1_11comp_targetILNS1_3genE8ELNS1_11target_archE1030ELNS1_3gpuE2ELNS1_3repE0EEENS1_30default_config_static_selectorELNS0_4arch9wavefront6targetE0EEEvT1_
	.p2align	8
	.type	_ZN7rocprim17ROCPRIM_400000_NS6detail17trampoline_kernelINS0_14default_configENS1_25partition_config_selectorILNS1_17partition_subalgoE8ElNS0_10empty_typeEbEEZZNS1_14partition_implILS5_8ELb0ES3_jPlPS6_PKS6_NS0_5tupleIJS9_S6_EEENSD_IJSA_SA_EEENS0_18inequality_wrapperIZN2at6native12_GLOBAL__N_124unique_dim_cuda_templateIN3c108BFloat16EEESt5tupleIJNSH_6TensorESO_SO_EERKSO_lbbbEUlllE0_EEPmJS6_EEE10hipError_tPvRmT3_T4_T5_T6_T7_T9_mT8_P12ihipStream_tbDpT10_ENKUlT_T0_E_clISt17integral_constantIbLb0EES1E_EEDaS19_S1A_EUlS19_E_NS1_11comp_targetILNS1_3genE8ELNS1_11target_archE1030ELNS1_3gpuE2ELNS1_3repE0EEENS1_30default_config_static_selectorELNS0_4arch9wavefront6targetE0EEEvT1_,@function
_ZN7rocprim17ROCPRIM_400000_NS6detail17trampoline_kernelINS0_14default_configENS1_25partition_config_selectorILNS1_17partition_subalgoE8ElNS0_10empty_typeEbEEZZNS1_14partition_implILS5_8ELb0ES3_jPlPS6_PKS6_NS0_5tupleIJS9_S6_EEENSD_IJSA_SA_EEENS0_18inequality_wrapperIZN2at6native12_GLOBAL__N_124unique_dim_cuda_templateIN3c108BFloat16EEESt5tupleIJNSH_6TensorESO_SO_EERKSO_lbbbEUlllE0_EEPmJS6_EEE10hipError_tPvRmT3_T4_T5_T6_T7_T9_mT8_P12ihipStream_tbDpT10_ENKUlT_T0_E_clISt17integral_constantIbLb0EES1E_EEDaS19_S1A_EUlS19_E_NS1_11comp_targetILNS1_3genE8ELNS1_11target_archE1030ELNS1_3gpuE2ELNS1_3repE0EEENS1_30default_config_static_selectorELNS0_4arch9wavefront6targetE0EEEvT1_: ; @_ZN7rocprim17ROCPRIM_400000_NS6detail17trampoline_kernelINS0_14default_configENS1_25partition_config_selectorILNS1_17partition_subalgoE8ElNS0_10empty_typeEbEEZZNS1_14partition_implILS5_8ELb0ES3_jPlPS6_PKS6_NS0_5tupleIJS9_S6_EEENSD_IJSA_SA_EEENS0_18inequality_wrapperIZN2at6native12_GLOBAL__N_124unique_dim_cuda_templateIN3c108BFloat16EEESt5tupleIJNSH_6TensorESO_SO_EERKSO_lbbbEUlllE0_EEPmJS6_EEE10hipError_tPvRmT3_T4_T5_T6_T7_T9_mT8_P12ihipStream_tbDpT10_ENKUlT_T0_E_clISt17integral_constantIbLb0EES1E_EEDaS19_S1A_EUlS19_E_NS1_11comp_targetILNS1_3genE8ELNS1_11target_archE1030ELNS1_3gpuE2ELNS1_3repE0EEENS1_30default_config_static_selectorELNS0_4arch9wavefront6targetE0EEEvT1_
; %bb.0:
	.section	.rodata,"a",@progbits
	.p2align	6, 0x0
	.amdhsa_kernel _ZN7rocprim17ROCPRIM_400000_NS6detail17trampoline_kernelINS0_14default_configENS1_25partition_config_selectorILNS1_17partition_subalgoE8ElNS0_10empty_typeEbEEZZNS1_14partition_implILS5_8ELb0ES3_jPlPS6_PKS6_NS0_5tupleIJS9_S6_EEENSD_IJSA_SA_EEENS0_18inequality_wrapperIZN2at6native12_GLOBAL__N_124unique_dim_cuda_templateIN3c108BFloat16EEESt5tupleIJNSH_6TensorESO_SO_EERKSO_lbbbEUlllE0_EEPmJS6_EEE10hipError_tPvRmT3_T4_T5_T6_T7_T9_mT8_P12ihipStream_tbDpT10_ENKUlT_T0_E_clISt17integral_constantIbLb0EES1E_EEDaS19_S1A_EUlS19_E_NS1_11comp_targetILNS1_3genE8ELNS1_11target_archE1030ELNS1_3gpuE2ELNS1_3repE0EEENS1_30default_config_static_selectorELNS0_4arch9wavefront6targetE0EEEvT1_
		.amdhsa_group_segment_fixed_size 0
		.amdhsa_private_segment_fixed_size 0
		.amdhsa_kernarg_size 120
		.amdhsa_user_sgpr_count 15
		.amdhsa_user_sgpr_dispatch_ptr 0
		.amdhsa_user_sgpr_queue_ptr 0
		.amdhsa_user_sgpr_kernarg_segment_ptr 1
		.amdhsa_user_sgpr_dispatch_id 0
		.amdhsa_user_sgpr_private_segment_size 0
		.amdhsa_wavefront_size32 1
		.amdhsa_uses_dynamic_stack 0
		.amdhsa_enable_private_segment 0
		.amdhsa_system_sgpr_workgroup_id_x 1
		.amdhsa_system_sgpr_workgroup_id_y 0
		.amdhsa_system_sgpr_workgroup_id_z 0
		.amdhsa_system_sgpr_workgroup_info 0
		.amdhsa_system_vgpr_workitem_id 0
		.amdhsa_next_free_vgpr 1
		.amdhsa_next_free_sgpr 1
		.amdhsa_reserve_vcc 0
		.amdhsa_float_round_mode_32 0
		.amdhsa_float_round_mode_16_64 0
		.amdhsa_float_denorm_mode_32 3
		.amdhsa_float_denorm_mode_16_64 3
		.amdhsa_dx10_clamp 1
		.amdhsa_ieee_mode 1
		.amdhsa_fp16_overflow 0
		.amdhsa_workgroup_processor_mode 1
		.amdhsa_memory_ordered 1
		.amdhsa_forward_progress 0
		.amdhsa_shared_vgpr_count 0
		.amdhsa_exception_fp_ieee_invalid_op 0
		.amdhsa_exception_fp_denorm_src 0
		.amdhsa_exception_fp_ieee_div_zero 0
		.amdhsa_exception_fp_ieee_overflow 0
		.amdhsa_exception_fp_ieee_underflow 0
		.amdhsa_exception_fp_ieee_inexact 0
		.amdhsa_exception_int_div_zero 0
	.end_amdhsa_kernel
	.section	.text._ZN7rocprim17ROCPRIM_400000_NS6detail17trampoline_kernelINS0_14default_configENS1_25partition_config_selectorILNS1_17partition_subalgoE8ElNS0_10empty_typeEbEEZZNS1_14partition_implILS5_8ELb0ES3_jPlPS6_PKS6_NS0_5tupleIJS9_S6_EEENSD_IJSA_SA_EEENS0_18inequality_wrapperIZN2at6native12_GLOBAL__N_124unique_dim_cuda_templateIN3c108BFloat16EEESt5tupleIJNSH_6TensorESO_SO_EERKSO_lbbbEUlllE0_EEPmJS6_EEE10hipError_tPvRmT3_T4_T5_T6_T7_T9_mT8_P12ihipStream_tbDpT10_ENKUlT_T0_E_clISt17integral_constantIbLb0EES1E_EEDaS19_S1A_EUlS19_E_NS1_11comp_targetILNS1_3genE8ELNS1_11target_archE1030ELNS1_3gpuE2ELNS1_3repE0EEENS1_30default_config_static_selectorELNS0_4arch9wavefront6targetE0EEEvT1_,"axG",@progbits,_ZN7rocprim17ROCPRIM_400000_NS6detail17trampoline_kernelINS0_14default_configENS1_25partition_config_selectorILNS1_17partition_subalgoE8ElNS0_10empty_typeEbEEZZNS1_14partition_implILS5_8ELb0ES3_jPlPS6_PKS6_NS0_5tupleIJS9_S6_EEENSD_IJSA_SA_EEENS0_18inequality_wrapperIZN2at6native12_GLOBAL__N_124unique_dim_cuda_templateIN3c108BFloat16EEESt5tupleIJNSH_6TensorESO_SO_EERKSO_lbbbEUlllE0_EEPmJS6_EEE10hipError_tPvRmT3_T4_T5_T6_T7_T9_mT8_P12ihipStream_tbDpT10_ENKUlT_T0_E_clISt17integral_constantIbLb0EES1E_EEDaS19_S1A_EUlS19_E_NS1_11comp_targetILNS1_3genE8ELNS1_11target_archE1030ELNS1_3gpuE2ELNS1_3repE0EEENS1_30default_config_static_selectorELNS0_4arch9wavefront6targetE0EEEvT1_,comdat
.Lfunc_end1180:
	.size	_ZN7rocprim17ROCPRIM_400000_NS6detail17trampoline_kernelINS0_14default_configENS1_25partition_config_selectorILNS1_17partition_subalgoE8ElNS0_10empty_typeEbEEZZNS1_14partition_implILS5_8ELb0ES3_jPlPS6_PKS6_NS0_5tupleIJS9_S6_EEENSD_IJSA_SA_EEENS0_18inequality_wrapperIZN2at6native12_GLOBAL__N_124unique_dim_cuda_templateIN3c108BFloat16EEESt5tupleIJNSH_6TensorESO_SO_EERKSO_lbbbEUlllE0_EEPmJS6_EEE10hipError_tPvRmT3_T4_T5_T6_T7_T9_mT8_P12ihipStream_tbDpT10_ENKUlT_T0_E_clISt17integral_constantIbLb0EES1E_EEDaS19_S1A_EUlS19_E_NS1_11comp_targetILNS1_3genE8ELNS1_11target_archE1030ELNS1_3gpuE2ELNS1_3repE0EEENS1_30default_config_static_selectorELNS0_4arch9wavefront6targetE0EEEvT1_, .Lfunc_end1180-_ZN7rocprim17ROCPRIM_400000_NS6detail17trampoline_kernelINS0_14default_configENS1_25partition_config_selectorILNS1_17partition_subalgoE8ElNS0_10empty_typeEbEEZZNS1_14partition_implILS5_8ELb0ES3_jPlPS6_PKS6_NS0_5tupleIJS9_S6_EEENSD_IJSA_SA_EEENS0_18inequality_wrapperIZN2at6native12_GLOBAL__N_124unique_dim_cuda_templateIN3c108BFloat16EEESt5tupleIJNSH_6TensorESO_SO_EERKSO_lbbbEUlllE0_EEPmJS6_EEE10hipError_tPvRmT3_T4_T5_T6_T7_T9_mT8_P12ihipStream_tbDpT10_ENKUlT_T0_E_clISt17integral_constantIbLb0EES1E_EEDaS19_S1A_EUlS19_E_NS1_11comp_targetILNS1_3genE8ELNS1_11target_archE1030ELNS1_3gpuE2ELNS1_3repE0EEENS1_30default_config_static_selectorELNS0_4arch9wavefront6targetE0EEEvT1_
                                        ; -- End function
	.section	.AMDGPU.csdata,"",@progbits
; Kernel info:
; codeLenInByte = 0
; NumSgprs: 0
; NumVgprs: 0
; ScratchSize: 0
; MemoryBound: 0
; FloatMode: 240
; IeeeMode: 1
; LDSByteSize: 0 bytes/workgroup (compile time only)
; SGPRBlocks: 0
; VGPRBlocks: 0
; NumSGPRsForWavesPerEU: 1
; NumVGPRsForWavesPerEU: 1
; Occupancy: 16
; WaveLimiterHint : 0
; COMPUTE_PGM_RSRC2:SCRATCH_EN: 0
; COMPUTE_PGM_RSRC2:USER_SGPR: 15
; COMPUTE_PGM_RSRC2:TRAP_HANDLER: 0
; COMPUTE_PGM_RSRC2:TGID_X_EN: 1
; COMPUTE_PGM_RSRC2:TGID_Y_EN: 0
; COMPUTE_PGM_RSRC2:TGID_Z_EN: 0
; COMPUTE_PGM_RSRC2:TIDIG_COMP_CNT: 0
	.section	.text._ZN7rocprim17ROCPRIM_400000_NS6detail17trampoline_kernelINS0_14default_configENS1_25partition_config_selectorILNS1_17partition_subalgoE8ElNS0_10empty_typeEbEEZZNS1_14partition_implILS5_8ELb0ES3_jPlPS6_PKS6_NS0_5tupleIJS9_S6_EEENSD_IJSA_SA_EEENS0_18inequality_wrapperIZN2at6native12_GLOBAL__N_124unique_dim_cuda_templateIN3c108BFloat16EEESt5tupleIJNSH_6TensorESO_SO_EERKSO_lbbbEUlllE0_EEPmJS6_EEE10hipError_tPvRmT3_T4_T5_T6_T7_T9_mT8_P12ihipStream_tbDpT10_ENKUlT_T0_E_clISt17integral_constantIbLb1EES1E_EEDaS19_S1A_EUlS19_E_NS1_11comp_targetILNS1_3genE0ELNS1_11target_archE4294967295ELNS1_3gpuE0ELNS1_3repE0EEENS1_30default_config_static_selectorELNS0_4arch9wavefront6targetE0EEEvT1_,"axG",@progbits,_ZN7rocprim17ROCPRIM_400000_NS6detail17trampoline_kernelINS0_14default_configENS1_25partition_config_selectorILNS1_17partition_subalgoE8ElNS0_10empty_typeEbEEZZNS1_14partition_implILS5_8ELb0ES3_jPlPS6_PKS6_NS0_5tupleIJS9_S6_EEENSD_IJSA_SA_EEENS0_18inequality_wrapperIZN2at6native12_GLOBAL__N_124unique_dim_cuda_templateIN3c108BFloat16EEESt5tupleIJNSH_6TensorESO_SO_EERKSO_lbbbEUlllE0_EEPmJS6_EEE10hipError_tPvRmT3_T4_T5_T6_T7_T9_mT8_P12ihipStream_tbDpT10_ENKUlT_T0_E_clISt17integral_constantIbLb1EES1E_EEDaS19_S1A_EUlS19_E_NS1_11comp_targetILNS1_3genE0ELNS1_11target_archE4294967295ELNS1_3gpuE0ELNS1_3repE0EEENS1_30default_config_static_selectorELNS0_4arch9wavefront6targetE0EEEvT1_,comdat
	.globl	_ZN7rocprim17ROCPRIM_400000_NS6detail17trampoline_kernelINS0_14default_configENS1_25partition_config_selectorILNS1_17partition_subalgoE8ElNS0_10empty_typeEbEEZZNS1_14partition_implILS5_8ELb0ES3_jPlPS6_PKS6_NS0_5tupleIJS9_S6_EEENSD_IJSA_SA_EEENS0_18inequality_wrapperIZN2at6native12_GLOBAL__N_124unique_dim_cuda_templateIN3c108BFloat16EEESt5tupleIJNSH_6TensorESO_SO_EERKSO_lbbbEUlllE0_EEPmJS6_EEE10hipError_tPvRmT3_T4_T5_T6_T7_T9_mT8_P12ihipStream_tbDpT10_ENKUlT_T0_E_clISt17integral_constantIbLb1EES1E_EEDaS19_S1A_EUlS19_E_NS1_11comp_targetILNS1_3genE0ELNS1_11target_archE4294967295ELNS1_3gpuE0ELNS1_3repE0EEENS1_30default_config_static_selectorELNS0_4arch9wavefront6targetE0EEEvT1_ ; -- Begin function _ZN7rocprim17ROCPRIM_400000_NS6detail17trampoline_kernelINS0_14default_configENS1_25partition_config_selectorILNS1_17partition_subalgoE8ElNS0_10empty_typeEbEEZZNS1_14partition_implILS5_8ELb0ES3_jPlPS6_PKS6_NS0_5tupleIJS9_S6_EEENSD_IJSA_SA_EEENS0_18inequality_wrapperIZN2at6native12_GLOBAL__N_124unique_dim_cuda_templateIN3c108BFloat16EEESt5tupleIJNSH_6TensorESO_SO_EERKSO_lbbbEUlllE0_EEPmJS6_EEE10hipError_tPvRmT3_T4_T5_T6_T7_T9_mT8_P12ihipStream_tbDpT10_ENKUlT_T0_E_clISt17integral_constantIbLb1EES1E_EEDaS19_S1A_EUlS19_E_NS1_11comp_targetILNS1_3genE0ELNS1_11target_archE4294967295ELNS1_3gpuE0ELNS1_3repE0EEENS1_30default_config_static_selectorELNS0_4arch9wavefront6targetE0EEEvT1_
	.p2align	8
	.type	_ZN7rocprim17ROCPRIM_400000_NS6detail17trampoline_kernelINS0_14default_configENS1_25partition_config_selectorILNS1_17partition_subalgoE8ElNS0_10empty_typeEbEEZZNS1_14partition_implILS5_8ELb0ES3_jPlPS6_PKS6_NS0_5tupleIJS9_S6_EEENSD_IJSA_SA_EEENS0_18inequality_wrapperIZN2at6native12_GLOBAL__N_124unique_dim_cuda_templateIN3c108BFloat16EEESt5tupleIJNSH_6TensorESO_SO_EERKSO_lbbbEUlllE0_EEPmJS6_EEE10hipError_tPvRmT3_T4_T5_T6_T7_T9_mT8_P12ihipStream_tbDpT10_ENKUlT_T0_E_clISt17integral_constantIbLb1EES1E_EEDaS19_S1A_EUlS19_E_NS1_11comp_targetILNS1_3genE0ELNS1_11target_archE4294967295ELNS1_3gpuE0ELNS1_3repE0EEENS1_30default_config_static_selectorELNS0_4arch9wavefront6targetE0EEEvT1_,@function
_ZN7rocprim17ROCPRIM_400000_NS6detail17trampoline_kernelINS0_14default_configENS1_25partition_config_selectorILNS1_17partition_subalgoE8ElNS0_10empty_typeEbEEZZNS1_14partition_implILS5_8ELb0ES3_jPlPS6_PKS6_NS0_5tupleIJS9_S6_EEENSD_IJSA_SA_EEENS0_18inequality_wrapperIZN2at6native12_GLOBAL__N_124unique_dim_cuda_templateIN3c108BFloat16EEESt5tupleIJNSH_6TensorESO_SO_EERKSO_lbbbEUlllE0_EEPmJS6_EEE10hipError_tPvRmT3_T4_T5_T6_T7_T9_mT8_P12ihipStream_tbDpT10_ENKUlT_T0_E_clISt17integral_constantIbLb1EES1E_EEDaS19_S1A_EUlS19_E_NS1_11comp_targetILNS1_3genE0ELNS1_11target_archE4294967295ELNS1_3gpuE0ELNS1_3repE0EEENS1_30default_config_static_selectorELNS0_4arch9wavefront6targetE0EEEvT1_: ; @_ZN7rocprim17ROCPRIM_400000_NS6detail17trampoline_kernelINS0_14default_configENS1_25partition_config_selectorILNS1_17partition_subalgoE8ElNS0_10empty_typeEbEEZZNS1_14partition_implILS5_8ELb0ES3_jPlPS6_PKS6_NS0_5tupleIJS9_S6_EEENSD_IJSA_SA_EEENS0_18inequality_wrapperIZN2at6native12_GLOBAL__N_124unique_dim_cuda_templateIN3c108BFloat16EEESt5tupleIJNSH_6TensorESO_SO_EERKSO_lbbbEUlllE0_EEPmJS6_EEE10hipError_tPvRmT3_T4_T5_T6_T7_T9_mT8_P12ihipStream_tbDpT10_ENKUlT_T0_E_clISt17integral_constantIbLb1EES1E_EEDaS19_S1A_EUlS19_E_NS1_11comp_targetILNS1_3genE0ELNS1_11target_archE4294967295ELNS1_3gpuE0ELNS1_3repE0EEENS1_30default_config_static_selectorELNS0_4arch9wavefront6targetE0EEEvT1_
; %bb.0:
	.section	.rodata,"a",@progbits
	.p2align	6, 0x0
	.amdhsa_kernel _ZN7rocprim17ROCPRIM_400000_NS6detail17trampoline_kernelINS0_14default_configENS1_25partition_config_selectorILNS1_17partition_subalgoE8ElNS0_10empty_typeEbEEZZNS1_14partition_implILS5_8ELb0ES3_jPlPS6_PKS6_NS0_5tupleIJS9_S6_EEENSD_IJSA_SA_EEENS0_18inequality_wrapperIZN2at6native12_GLOBAL__N_124unique_dim_cuda_templateIN3c108BFloat16EEESt5tupleIJNSH_6TensorESO_SO_EERKSO_lbbbEUlllE0_EEPmJS6_EEE10hipError_tPvRmT3_T4_T5_T6_T7_T9_mT8_P12ihipStream_tbDpT10_ENKUlT_T0_E_clISt17integral_constantIbLb1EES1E_EEDaS19_S1A_EUlS19_E_NS1_11comp_targetILNS1_3genE0ELNS1_11target_archE4294967295ELNS1_3gpuE0ELNS1_3repE0EEENS1_30default_config_static_selectorELNS0_4arch9wavefront6targetE0EEEvT1_
		.amdhsa_group_segment_fixed_size 0
		.amdhsa_private_segment_fixed_size 0
		.amdhsa_kernarg_size 136
		.amdhsa_user_sgpr_count 15
		.amdhsa_user_sgpr_dispatch_ptr 0
		.amdhsa_user_sgpr_queue_ptr 0
		.amdhsa_user_sgpr_kernarg_segment_ptr 1
		.amdhsa_user_sgpr_dispatch_id 0
		.amdhsa_user_sgpr_private_segment_size 0
		.amdhsa_wavefront_size32 1
		.amdhsa_uses_dynamic_stack 0
		.amdhsa_enable_private_segment 0
		.amdhsa_system_sgpr_workgroup_id_x 1
		.amdhsa_system_sgpr_workgroup_id_y 0
		.amdhsa_system_sgpr_workgroup_id_z 0
		.amdhsa_system_sgpr_workgroup_info 0
		.amdhsa_system_vgpr_workitem_id 0
		.amdhsa_next_free_vgpr 1
		.amdhsa_next_free_sgpr 1
		.amdhsa_reserve_vcc 0
		.amdhsa_float_round_mode_32 0
		.amdhsa_float_round_mode_16_64 0
		.amdhsa_float_denorm_mode_32 3
		.amdhsa_float_denorm_mode_16_64 3
		.amdhsa_dx10_clamp 1
		.amdhsa_ieee_mode 1
		.amdhsa_fp16_overflow 0
		.amdhsa_workgroup_processor_mode 1
		.amdhsa_memory_ordered 1
		.amdhsa_forward_progress 0
		.amdhsa_shared_vgpr_count 0
		.amdhsa_exception_fp_ieee_invalid_op 0
		.amdhsa_exception_fp_denorm_src 0
		.amdhsa_exception_fp_ieee_div_zero 0
		.amdhsa_exception_fp_ieee_overflow 0
		.amdhsa_exception_fp_ieee_underflow 0
		.amdhsa_exception_fp_ieee_inexact 0
		.amdhsa_exception_int_div_zero 0
	.end_amdhsa_kernel
	.section	.text._ZN7rocprim17ROCPRIM_400000_NS6detail17trampoline_kernelINS0_14default_configENS1_25partition_config_selectorILNS1_17partition_subalgoE8ElNS0_10empty_typeEbEEZZNS1_14partition_implILS5_8ELb0ES3_jPlPS6_PKS6_NS0_5tupleIJS9_S6_EEENSD_IJSA_SA_EEENS0_18inequality_wrapperIZN2at6native12_GLOBAL__N_124unique_dim_cuda_templateIN3c108BFloat16EEESt5tupleIJNSH_6TensorESO_SO_EERKSO_lbbbEUlllE0_EEPmJS6_EEE10hipError_tPvRmT3_T4_T5_T6_T7_T9_mT8_P12ihipStream_tbDpT10_ENKUlT_T0_E_clISt17integral_constantIbLb1EES1E_EEDaS19_S1A_EUlS19_E_NS1_11comp_targetILNS1_3genE0ELNS1_11target_archE4294967295ELNS1_3gpuE0ELNS1_3repE0EEENS1_30default_config_static_selectorELNS0_4arch9wavefront6targetE0EEEvT1_,"axG",@progbits,_ZN7rocprim17ROCPRIM_400000_NS6detail17trampoline_kernelINS0_14default_configENS1_25partition_config_selectorILNS1_17partition_subalgoE8ElNS0_10empty_typeEbEEZZNS1_14partition_implILS5_8ELb0ES3_jPlPS6_PKS6_NS0_5tupleIJS9_S6_EEENSD_IJSA_SA_EEENS0_18inequality_wrapperIZN2at6native12_GLOBAL__N_124unique_dim_cuda_templateIN3c108BFloat16EEESt5tupleIJNSH_6TensorESO_SO_EERKSO_lbbbEUlllE0_EEPmJS6_EEE10hipError_tPvRmT3_T4_T5_T6_T7_T9_mT8_P12ihipStream_tbDpT10_ENKUlT_T0_E_clISt17integral_constantIbLb1EES1E_EEDaS19_S1A_EUlS19_E_NS1_11comp_targetILNS1_3genE0ELNS1_11target_archE4294967295ELNS1_3gpuE0ELNS1_3repE0EEENS1_30default_config_static_selectorELNS0_4arch9wavefront6targetE0EEEvT1_,comdat
.Lfunc_end1181:
	.size	_ZN7rocprim17ROCPRIM_400000_NS6detail17trampoline_kernelINS0_14default_configENS1_25partition_config_selectorILNS1_17partition_subalgoE8ElNS0_10empty_typeEbEEZZNS1_14partition_implILS5_8ELb0ES3_jPlPS6_PKS6_NS0_5tupleIJS9_S6_EEENSD_IJSA_SA_EEENS0_18inequality_wrapperIZN2at6native12_GLOBAL__N_124unique_dim_cuda_templateIN3c108BFloat16EEESt5tupleIJNSH_6TensorESO_SO_EERKSO_lbbbEUlllE0_EEPmJS6_EEE10hipError_tPvRmT3_T4_T5_T6_T7_T9_mT8_P12ihipStream_tbDpT10_ENKUlT_T0_E_clISt17integral_constantIbLb1EES1E_EEDaS19_S1A_EUlS19_E_NS1_11comp_targetILNS1_3genE0ELNS1_11target_archE4294967295ELNS1_3gpuE0ELNS1_3repE0EEENS1_30default_config_static_selectorELNS0_4arch9wavefront6targetE0EEEvT1_, .Lfunc_end1181-_ZN7rocprim17ROCPRIM_400000_NS6detail17trampoline_kernelINS0_14default_configENS1_25partition_config_selectorILNS1_17partition_subalgoE8ElNS0_10empty_typeEbEEZZNS1_14partition_implILS5_8ELb0ES3_jPlPS6_PKS6_NS0_5tupleIJS9_S6_EEENSD_IJSA_SA_EEENS0_18inequality_wrapperIZN2at6native12_GLOBAL__N_124unique_dim_cuda_templateIN3c108BFloat16EEESt5tupleIJNSH_6TensorESO_SO_EERKSO_lbbbEUlllE0_EEPmJS6_EEE10hipError_tPvRmT3_T4_T5_T6_T7_T9_mT8_P12ihipStream_tbDpT10_ENKUlT_T0_E_clISt17integral_constantIbLb1EES1E_EEDaS19_S1A_EUlS19_E_NS1_11comp_targetILNS1_3genE0ELNS1_11target_archE4294967295ELNS1_3gpuE0ELNS1_3repE0EEENS1_30default_config_static_selectorELNS0_4arch9wavefront6targetE0EEEvT1_
                                        ; -- End function
	.section	.AMDGPU.csdata,"",@progbits
; Kernel info:
; codeLenInByte = 0
; NumSgprs: 0
; NumVgprs: 0
; ScratchSize: 0
; MemoryBound: 0
; FloatMode: 240
; IeeeMode: 1
; LDSByteSize: 0 bytes/workgroup (compile time only)
; SGPRBlocks: 0
; VGPRBlocks: 0
; NumSGPRsForWavesPerEU: 1
; NumVGPRsForWavesPerEU: 1
; Occupancy: 16
; WaveLimiterHint : 0
; COMPUTE_PGM_RSRC2:SCRATCH_EN: 0
; COMPUTE_PGM_RSRC2:USER_SGPR: 15
; COMPUTE_PGM_RSRC2:TRAP_HANDLER: 0
; COMPUTE_PGM_RSRC2:TGID_X_EN: 1
; COMPUTE_PGM_RSRC2:TGID_Y_EN: 0
; COMPUTE_PGM_RSRC2:TGID_Z_EN: 0
; COMPUTE_PGM_RSRC2:TIDIG_COMP_CNT: 0
	.section	.text._ZN7rocprim17ROCPRIM_400000_NS6detail17trampoline_kernelINS0_14default_configENS1_25partition_config_selectorILNS1_17partition_subalgoE8ElNS0_10empty_typeEbEEZZNS1_14partition_implILS5_8ELb0ES3_jPlPS6_PKS6_NS0_5tupleIJS9_S6_EEENSD_IJSA_SA_EEENS0_18inequality_wrapperIZN2at6native12_GLOBAL__N_124unique_dim_cuda_templateIN3c108BFloat16EEESt5tupleIJNSH_6TensorESO_SO_EERKSO_lbbbEUlllE0_EEPmJS6_EEE10hipError_tPvRmT3_T4_T5_T6_T7_T9_mT8_P12ihipStream_tbDpT10_ENKUlT_T0_E_clISt17integral_constantIbLb1EES1E_EEDaS19_S1A_EUlS19_E_NS1_11comp_targetILNS1_3genE5ELNS1_11target_archE942ELNS1_3gpuE9ELNS1_3repE0EEENS1_30default_config_static_selectorELNS0_4arch9wavefront6targetE0EEEvT1_,"axG",@progbits,_ZN7rocprim17ROCPRIM_400000_NS6detail17trampoline_kernelINS0_14default_configENS1_25partition_config_selectorILNS1_17partition_subalgoE8ElNS0_10empty_typeEbEEZZNS1_14partition_implILS5_8ELb0ES3_jPlPS6_PKS6_NS0_5tupleIJS9_S6_EEENSD_IJSA_SA_EEENS0_18inequality_wrapperIZN2at6native12_GLOBAL__N_124unique_dim_cuda_templateIN3c108BFloat16EEESt5tupleIJNSH_6TensorESO_SO_EERKSO_lbbbEUlllE0_EEPmJS6_EEE10hipError_tPvRmT3_T4_T5_T6_T7_T9_mT8_P12ihipStream_tbDpT10_ENKUlT_T0_E_clISt17integral_constantIbLb1EES1E_EEDaS19_S1A_EUlS19_E_NS1_11comp_targetILNS1_3genE5ELNS1_11target_archE942ELNS1_3gpuE9ELNS1_3repE0EEENS1_30default_config_static_selectorELNS0_4arch9wavefront6targetE0EEEvT1_,comdat
	.globl	_ZN7rocprim17ROCPRIM_400000_NS6detail17trampoline_kernelINS0_14default_configENS1_25partition_config_selectorILNS1_17partition_subalgoE8ElNS0_10empty_typeEbEEZZNS1_14partition_implILS5_8ELb0ES3_jPlPS6_PKS6_NS0_5tupleIJS9_S6_EEENSD_IJSA_SA_EEENS0_18inequality_wrapperIZN2at6native12_GLOBAL__N_124unique_dim_cuda_templateIN3c108BFloat16EEESt5tupleIJNSH_6TensorESO_SO_EERKSO_lbbbEUlllE0_EEPmJS6_EEE10hipError_tPvRmT3_T4_T5_T6_T7_T9_mT8_P12ihipStream_tbDpT10_ENKUlT_T0_E_clISt17integral_constantIbLb1EES1E_EEDaS19_S1A_EUlS19_E_NS1_11comp_targetILNS1_3genE5ELNS1_11target_archE942ELNS1_3gpuE9ELNS1_3repE0EEENS1_30default_config_static_selectorELNS0_4arch9wavefront6targetE0EEEvT1_ ; -- Begin function _ZN7rocprim17ROCPRIM_400000_NS6detail17trampoline_kernelINS0_14default_configENS1_25partition_config_selectorILNS1_17partition_subalgoE8ElNS0_10empty_typeEbEEZZNS1_14partition_implILS5_8ELb0ES3_jPlPS6_PKS6_NS0_5tupleIJS9_S6_EEENSD_IJSA_SA_EEENS0_18inequality_wrapperIZN2at6native12_GLOBAL__N_124unique_dim_cuda_templateIN3c108BFloat16EEESt5tupleIJNSH_6TensorESO_SO_EERKSO_lbbbEUlllE0_EEPmJS6_EEE10hipError_tPvRmT3_T4_T5_T6_T7_T9_mT8_P12ihipStream_tbDpT10_ENKUlT_T0_E_clISt17integral_constantIbLb1EES1E_EEDaS19_S1A_EUlS19_E_NS1_11comp_targetILNS1_3genE5ELNS1_11target_archE942ELNS1_3gpuE9ELNS1_3repE0EEENS1_30default_config_static_selectorELNS0_4arch9wavefront6targetE0EEEvT1_
	.p2align	8
	.type	_ZN7rocprim17ROCPRIM_400000_NS6detail17trampoline_kernelINS0_14default_configENS1_25partition_config_selectorILNS1_17partition_subalgoE8ElNS0_10empty_typeEbEEZZNS1_14partition_implILS5_8ELb0ES3_jPlPS6_PKS6_NS0_5tupleIJS9_S6_EEENSD_IJSA_SA_EEENS0_18inequality_wrapperIZN2at6native12_GLOBAL__N_124unique_dim_cuda_templateIN3c108BFloat16EEESt5tupleIJNSH_6TensorESO_SO_EERKSO_lbbbEUlllE0_EEPmJS6_EEE10hipError_tPvRmT3_T4_T5_T6_T7_T9_mT8_P12ihipStream_tbDpT10_ENKUlT_T0_E_clISt17integral_constantIbLb1EES1E_EEDaS19_S1A_EUlS19_E_NS1_11comp_targetILNS1_3genE5ELNS1_11target_archE942ELNS1_3gpuE9ELNS1_3repE0EEENS1_30default_config_static_selectorELNS0_4arch9wavefront6targetE0EEEvT1_,@function
_ZN7rocprim17ROCPRIM_400000_NS6detail17trampoline_kernelINS0_14default_configENS1_25partition_config_selectorILNS1_17partition_subalgoE8ElNS0_10empty_typeEbEEZZNS1_14partition_implILS5_8ELb0ES3_jPlPS6_PKS6_NS0_5tupleIJS9_S6_EEENSD_IJSA_SA_EEENS0_18inequality_wrapperIZN2at6native12_GLOBAL__N_124unique_dim_cuda_templateIN3c108BFloat16EEESt5tupleIJNSH_6TensorESO_SO_EERKSO_lbbbEUlllE0_EEPmJS6_EEE10hipError_tPvRmT3_T4_T5_T6_T7_T9_mT8_P12ihipStream_tbDpT10_ENKUlT_T0_E_clISt17integral_constantIbLb1EES1E_EEDaS19_S1A_EUlS19_E_NS1_11comp_targetILNS1_3genE5ELNS1_11target_archE942ELNS1_3gpuE9ELNS1_3repE0EEENS1_30default_config_static_selectorELNS0_4arch9wavefront6targetE0EEEvT1_: ; @_ZN7rocprim17ROCPRIM_400000_NS6detail17trampoline_kernelINS0_14default_configENS1_25partition_config_selectorILNS1_17partition_subalgoE8ElNS0_10empty_typeEbEEZZNS1_14partition_implILS5_8ELb0ES3_jPlPS6_PKS6_NS0_5tupleIJS9_S6_EEENSD_IJSA_SA_EEENS0_18inequality_wrapperIZN2at6native12_GLOBAL__N_124unique_dim_cuda_templateIN3c108BFloat16EEESt5tupleIJNSH_6TensorESO_SO_EERKSO_lbbbEUlllE0_EEPmJS6_EEE10hipError_tPvRmT3_T4_T5_T6_T7_T9_mT8_P12ihipStream_tbDpT10_ENKUlT_T0_E_clISt17integral_constantIbLb1EES1E_EEDaS19_S1A_EUlS19_E_NS1_11comp_targetILNS1_3genE5ELNS1_11target_archE942ELNS1_3gpuE9ELNS1_3repE0EEENS1_30default_config_static_selectorELNS0_4arch9wavefront6targetE0EEEvT1_
; %bb.0:
	.section	.rodata,"a",@progbits
	.p2align	6, 0x0
	.amdhsa_kernel _ZN7rocprim17ROCPRIM_400000_NS6detail17trampoline_kernelINS0_14default_configENS1_25partition_config_selectorILNS1_17partition_subalgoE8ElNS0_10empty_typeEbEEZZNS1_14partition_implILS5_8ELb0ES3_jPlPS6_PKS6_NS0_5tupleIJS9_S6_EEENSD_IJSA_SA_EEENS0_18inequality_wrapperIZN2at6native12_GLOBAL__N_124unique_dim_cuda_templateIN3c108BFloat16EEESt5tupleIJNSH_6TensorESO_SO_EERKSO_lbbbEUlllE0_EEPmJS6_EEE10hipError_tPvRmT3_T4_T5_T6_T7_T9_mT8_P12ihipStream_tbDpT10_ENKUlT_T0_E_clISt17integral_constantIbLb1EES1E_EEDaS19_S1A_EUlS19_E_NS1_11comp_targetILNS1_3genE5ELNS1_11target_archE942ELNS1_3gpuE9ELNS1_3repE0EEENS1_30default_config_static_selectorELNS0_4arch9wavefront6targetE0EEEvT1_
		.amdhsa_group_segment_fixed_size 0
		.amdhsa_private_segment_fixed_size 0
		.amdhsa_kernarg_size 136
		.amdhsa_user_sgpr_count 15
		.amdhsa_user_sgpr_dispatch_ptr 0
		.amdhsa_user_sgpr_queue_ptr 0
		.amdhsa_user_sgpr_kernarg_segment_ptr 1
		.amdhsa_user_sgpr_dispatch_id 0
		.amdhsa_user_sgpr_private_segment_size 0
		.amdhsa_wavefront_size32 1
		.amdhsa_uses_dynamic_stack 0
		.amdhsa_enable_private_segment 0
		.amdhsa_system_sgpr_workgroup_id_x 1
		.amdhsa_system_sgpr_workgroup_id_y 0
		.amdhsa_system_sgpr_workgroup_id_z 0
		.amdhsa_system_sgpr_workgroup_info 0
		.amdhsa_system_vgpr_workitem_id 0
		.amdhsa_next_free_vgpr 1
		.amdhsa_next_free_sgpr 1
		.amdhsa_reserve_vcc 0
		.amdhsa_float_round_mode_32 0
		.amdhsa_float_round_mode_16_64 0
		.amdhsa_float_denorm_mode_32 3
		.amdhsa_float_denorm_mode_16_64 3
		.amdhsa_dx10_clamp 1
		.amdhsa_ieee_mode 1
		.amdhsa_fp16_overflow 0
		.amdhsa_workgroup_processor_mode 1
		.amdhsa_memory_ordered 1
		.amdhsa_forward_progress 0
		.amdhsa_shared_vgpr_count 0
		.amdhsa_exception_fp_ieee_invalid_op 0
		.amdhsa_exception_fp_denorm_src 0
		.amdhsa_exception_fp_ieee_div_zero 0
		.amdhsa_exception_fp_ieee_overflow 0
		.amdhsa_exception_fp_ieee_underflow 0
		.amdhsa_exception_fp_ieee_inexact 0
		.amdhsa_exception_int_div_zero 0
	.end_amdhsa_kernel
	.section	.text._ZN7rocprim17ROCPRIM_400000_NS6detail17trampoline_kernelINS0_14default_configENS1_25partition_config_selectorILNS1_17partition_subalgoE8ElNS0_10empty_typeEbEEZZNS1_14partition_implILS5_8ELb0ES3_jPlPS6_PKS6_NS0_5tupleIJS9_S6_EEENSD_IJSA_SA_EEENS0_18inequality_wrapperIZN2at6native12_GLOBAL__N_124unique_dim_cuda_templateIN3c108BFloat16EEESt5tupleIJNSH_6TensorESO_SO_EERKSO_lbbbEUlllE0_EEPmJS6_EEE10hipError_tPvRmT3_T4_T5_T6_T7_T9_mT8_P12ihipStream_tbDpT10_ENKUlT_T0_E_clISt17integral_constantIbLb1EES1E_EEDaS19_S1A_EUlS19_E_NS1_11comp_targetILNS1_3genE5ELNS1_11target_archE942ELNS1_3gpuE9ELNS1_3repE0EEENS1_30default_config_static_selectorELNS0_4arch9wavefront6targetE0EEEvT1_,"axG",@progbits,_ZN7rocprim17ROCPRIM_400000_NS6detail17trampoline_kernelINS0_14default_configENS1_25partition_config_selectorILNS1_17partition_subalgoE8ElNS0_10empty_typeEbEEZZNS1_14partition_implILS5_8ELb0ES3_jPlPS6_PKS6_NS0_5tupleIJS9_S6_EEENSD_IJSA_SA_EEENS0_18inequality_wrapperIZN2at6native12_GLOBAL__N_124unique_dim_cuda_templateIN3c108BFloat16EEESt5tupleIJNSH_6TensorESO_SO_EERKSO_lbbbEUlllE0_EEPmJS6_EEE10hipError_tPvRmT3_T4_T5_T6_T7_T9_mT8_P12ihipStream_tbDpT10_ENKUlT_T0_E_clISt17integral_constantIbLb1EES1E_EEDaS19_S1A_EUlS19_E_NS1_11comp_targetILNS1_3genE5ELNS1_11target_archE942ELNS1_3gpuE9ELNS1_3repE0EEENS1_30default_config_static_selectorELNS0_4arch9wavefront6targetE0EEEvT1_,comdat
.Lfunc_end1182:
	.size	_ZN7rocprim17ROCPRIM_400000_NS6detail17trampoline_kernelINS0_14default_configENS1_25partition_config_selectorILNS1_17partition_subalgoE8ElNS0_10empty_typeEbEEZZNS1_14partition_implILS5_8ELb0ES3_jPlPS6_PKS6_NS0_5tupleIJS9_S6_EEENSD_IJSA_SA_EEENS0_18inequality_wrapperIZN2at6native12_GLOBAL__N_124unique_dim_cuda_templateIN3c108BFloat16EEESt5tupleIJNSH_6TensorESO_SO_EERKSO_lbbbEUlllE0_EEPmJS6_EEE10hipError_tPvRmT3_T4_T5_T6_T7_T9_mT8_P12ihipStream_tbDpT10_ENKUlT_T0_E_clISt17integral_constantIbLb1EES1E_EEDaS19_S1A_EUlS19_E_NS1_11comp_targetILNS1_3genE5ELNS1_11target_archE942ELNS1_3gpuE9ELNS1_3repE0EEENS1_30default_config_static_selectorELNS0_4arch9wavefront6targetE0EEEvT1_, .Lfunc_end1182-_ZN7rocprim17ROCPRIM_400000_NS6detail17trampoline_kernelINS0_14default_configENS1_25partition_config_selectorILNS1_17partition_subalgoE8ElNS0_10empty_typeEbEEZZNS1_14partition_implILS5_8ELb0ES3_jPlPS6_PKS6_NS0_5tupleIJS9_S6_EEENSD_IJSA_SA_EEENS0_18inequality_wrapperIZN2at6native12_GLOBAL__N_124unique_dim_cuda_templateIN3c108BFloat16EEESt5tupleIJNSH_6TensorESO_SO_EERKSO_lbbbEUlllE0_EEPmJS6_EEE10hipError_tPvRmT3_T4_T5_T6_T7_T9_mT8_P12ihipStream_tbDpT10_ENKUlT_T0_E_clISt17integral_constantIbLb1EES1E_EEDaS19_S1A_EUlS19_E_NS1_11comp_targetILNS1_3genE5ELNS1_11target_archE942ELNS1_3gpuE9ELNS1_3repE0EEENS1_30default_config_static_selectorELNS0_4arch9wavefront6targetE0EEEvT1_
                                        ; -- End function
	.section	.AMDGPU.csdata,"",@progbits
; Kernel info:
; codeLenInByte = 0
; NumSgprs: 0
; NumVgprs: 0
; ScratchSize: 0
; MemoryBound: 0
; FloatMode: 240
; IeeeMode: 1
; LDSByteSize: 0 bytes/workgroup (compile time only)
; SGPRBlocks: 0
; VGPRBlocks: 0
; NumSGPRsForWavesPerEU: 1
; NumVGPRsForWavesPerEU: 1
; Occupancy: 16
; WaveLimiterHint : 0
; COMPUTE_PGM_RSRC2:SCRATCH_EN: 0
; COMPUTE_PGM_RSRC2:USER_SGPR: 15
; COMPUTE_PGM_RSRC2:TRAP_HANDLER: 0
; COMPUTE_PGM_RSRC2:TGID_X_EN: 1
; COMPUTE_PGM_RSRC2:TGID_Y_EN: 0
; COMPUTE_PGM_RSRC2:TGID_Z_EN: 0
; COMPUTE_PGM_RSRC2:TIDIG_COMP_CNT: 0
	.section	.text._ZN7rocprim17ROCPRIM_400000_NS6detail17trampoline_kernelINS0_14default_configENS1_25partition_config_selectorILNS1_17partition_subalgoE8ElNS0_10empty_typeEbEEZZNS1_14partition_implILS5_8ELb0ES3_jPlPS6_PKS6_NS0_5tupleIJS9_S6_EEENSD_IJSA_SA_EEENS0_18inequality_wrapperIZN2at6native12_GLOBAL__N_124unique_dim_cuda_templateIN3c108BFloat16EEESt5tupleIJNSH_6TensorESO_SO_EERKSO_lbbbEUlllE0_EEPmJS6_EEE10hipError_tPvRmT3_T4_T5_T6_T7_T9_mT8_P12ihipStream_tbDpT10_ENKUlT_T0_E_clISt17integral_constantIbLb1EES1E_EEDaS19_S1A_EUlS19_E_NS1_11comp_targetILNS1_3genE4ELNS1_11target_archE910ELNS1_3gpuE8ELNS1_3repE0EEENS1_30default_config_static_selectorELNS0_4arch9wavefront6targetE0EEEvT1_,"axG",@progbits,_ZN7rocprim17ROCPRIM_400000_NS6detail17trampoline_kernelINS0_14default_configENS1_25partition_config_selectorILNS1_17partition_subalgoE8ElNS0_10empty_typeEbEEZZNS1_14partition_implILS5_8ELb0ES3_jPlPS6_PKS6_NS0_5tupleIJS9_S6_EEENSD_IJSA_SA_EEENS0_18inequality_wrapperIZN2at6native12_GLOBAL__N_124unique_dim_cuda_templateIN3c108BFloat16EEESt5tupleIJNSH_6TensorESO_SO_EERKSO_lbbbEUlllE0_EEPmJS6_EEE10hipError_tPvRmT3_T4_T5_T6_T7_T9_mT8_P12ihipStream_tbDpT10_ENKUlT_T0_E_clISt17integral_constantIbLb1EES1E_EEDaS19_S1A_EUlS19_E_NS1_11comp_targetILNS1_3genE4ELNS1_11target_archE910ELNS1_3gpuE8ELNS1_3repE0EEENS1_30default_config_static_selectorELNS0_4arch9wavefront6targetE0EEEvT1_,comdat
	.globl	_ZN7rocprim17ROCPRIM_400000_NS6detail17trampoline_kernelINS0_14default_configENS1_25partition_config_selectorILNS1_17partition_subalgoE8ElNS0_10empty_typeEbEEZZNS1_14partition_implILS5_8ELb0ES3_jPlPS6_PKS6_NS0_5tupleIJS9_S6_EEENSD_IJSA_SA_EEENS0_18inequality_wrapperIZN2at6native12_GLOBAL__N_124unique_dim_cuda_templateIN3c108BFloat16EEESt5tupleIJNSH_6TensorESO_SO_EERKSO_lbbbEUlllE0_EEPmJS6_EEE10hipError_tPvRmT3_T4_T5_T6_T7_T9_mT8_P12ihipStream_tbDpT10_ENKUlT_T0_E_clISt17integral_constantIbLb1EES1E_EEDaS19_S1A_EUlS19_E_NS1_11comp_targetILNS1_3genE4ELNS1_11target_archE910ELNS1_3gpuE8ELNS1_3repE0EEENS1_30default_config_static_selectorELNS0_4arch9wavefront6targetE0EEEvT1_ ; -- Begin function _ZN7rocprim17ROCPRIM_400000_NS6detail17trampoline_kernelINS0_14default_configENS1_25partition_config_selectorILNS1_17partition_subalgoE8ElNS0_10empty_typeEbEEZZNS1_14partition_implILS5_8ELb0ES3_jPlPS6_PKS6_NS0_5tupleIJS9_S6_EEENSD_IJSA_SA_EEENS0_18inequality_wrapperIZN2at6native12_GLOBAL__N_124unique_dim_cuda_templateIN3c108BFloat16EEESt5tupleIJNSH_6TensorESO_SO_EERKSO_lbbbEUlllE0_EEPmJS6_EEE10hipError_tPvRmT3_T4_T5_T6_T7_T9_mT8_P12ihipStream_tbDpT10_ENKUlT_T0_E_clISt17integral_constantIbLb1EES1E_EEDaS19_S1A_EUlS19_E_NS1_11comp_targetILNS1_3genE4ELNS1_11target_archE910ELNS1_3gpuE8ELNS1_3repE0EEENS1_30default_config_static_selectorELNS0_4arch9wavefront6targetE0EEEvT1_
	.p2align	8
	.type	_ZN7rocprim17ROCPRIM_400000_NS6detail17trampoline_kernelINS0_14default_configENS1_25partition_config_selectorILNS1_17partition_subalgoE8ElNS0_10empty_typeEbEEZZNS1_14partition_implILS5_8ELb0ES3_jPlPS6_PKS6_NS0_5tupleIJS9_S6_EEENSD_IJSA_SA_EEENS0_18inequality_wrapperIZN2at6native12_GLOBAL__N_124unique_dim_cuda_templateIN3c108BFloat16EEESt5tupleIJNSH_6TensorESO_SO_EERKSO_lbbbEUlllE0_EEPmJS6_EEE10hipError_tPvRmT3_T4_T5_T6_T7_T9_mT8_P12ihipStream_tbDpT10_ENKUlT_T0_E_clISt17integral_constantIbLb1EES1E_EEDaS19_S1A_EUlS19_E_NS1_11comp_targetILNS1_3genE4ELNS1_11target_archE910ELNS1_3gpuE8ELNS1_3repE0EEENS1_30default_config_static_selectorELNS0_4arch9wavefront6targetE0EEEvT1_,@function
_ZN7rocprim17ROCPRIM_400000_NS6detail17trampoline_kernelINS0_14default_configENS1_25partition_config_selectorILNS1_17partition_subalgoE8ElNS0_10empty_typeEbEEZZNS1_14partition_implILS5_8ELb0ES3_jPlPS6_PKS6_NS0_5tupleIJS9_S6_EEENSD_IJSA_SA_EEENS0_18inequality_wrapperIZN2at6native12_GLOBAL__N_124unique_dim_cuda_templateIN3c108BFloat16EEESt5tupleIJNSH_6TensorESO_SO_EERKSO_lbbbEUlllE0_EEPmJS6_EEE10hipError_tPvRmT3_T4_T5_T6_T7_T9_mT8_P12ihipStream_tbDpT10_ENKUlT_T0_E_clISt17integral_constantIbLb1EES1E_EEDaS19_S1A_EUlS19_E_NS1_11comp_targetILNS1_3genE4ELNS1_11target_archE910ELNS1_3gpuE8ELNS1_3repE0EEENS1_30default_config_static_selectorELNS0_4arch9wavefront6targetE0EEEvT1_: ; @_ZN7rocprim17ROCPRIM_400000_NS6detail17trampoline_kernelINS0_14default_configENS1_25partition_config_selectorILNS1_17partition_subalgoE8ElNS0_10empty_typeEbEEZZNS1_14partition_implILS5_8ELb0ES3_jPlPS6_PKS6_NS0_5tupleIJS9_S6_EEENSD_IJSA_SA_EEENS0_18inequality_wrapperIZN2at6native12_GLOBAL__N_124unique_dim_cuda_templateIN3c108BFloat16EEESt5tupleIJNSH_6TensorESO_SO_EERKSO_lbbbEUlllE0_EEPmJS6_EEE10hipError_tPvRmT3_T4_T5_T6_T7_T9_mT8_P12ihipStream_tbDpT10_ENKUlT_T0_E_clISt17integral_constantIbLb1EES1E_EEDaS19_S1A_EUlS19_E_NS1_11comp_targetILNS1_3genE4ELNS1_11target_archE910ELNS1_3gpuE8ELNS1_3repE0EEENS1_30default_config_static_selectorELNS0_4arch9wavefront6targetE0EEEvT1_
; %bb.0:
	.section	.rodata,"a",@progbits
	.p2align	6, 0x0
	.amdhsa_kernel _ZN7rocprim17ROCPRIM_400000_NS6detail17trampoline_kernelINS0_14default_configENS1_25partition_config_selectorILNS1_17partition_subalgoE8ElNS0_10empty_typeEbEEZZNS1_14partition_implILS5_8ELb0ES3_jPlPS6_PKS6_NS0_5tupleIJS9_S6_EEENSD_IJSA_SA_EEENS0_18inequality_wrapperIZN2at6native12_GLOBAL__N_124unique_dim_cuda_templateIN3c108BFloat16EEESt5tupleIJNSH_6TensorESO_SO_EERKSO_lbbbEUlllE0_EEPmJS6_EEE10hipError_tPvRmT3_T4_T5_T6_T7_T9_mT8_P12ihipStream_tbDpT10_ENKUlT_T0_E_clISt17integral_constantIbLb1EES1E_EEDaS19_S1A_EUlS19_E_NS1_11comp_targetILNS1_3genE4ELNS1_11target_archE910ELNS1_3gpuE8ELNS1_3repE0EEENS1_30default_config_static_selectorELNS0_4arch9wavefront6targetE0EEEvT1_
		.amdhsa_group_segment_fixed_size 0
		.amdhsa_private_segment_fixed_size 0
		.amdhsa_kernarg_size 136
		.amdhsa_user_sgpr_count 15
		.amdhsa_user_sgpr_dispatch_ptr 0
		.amdhsa_user_sgpr_queue_ptr 0
		.amdhsa_user_sgpr_kernarg_segment_ptr 1
		.amdhsa_user_sgpr_dispatch_id 0
		.amdhsa_user_sgpr_private_segment_size 0
		.amdhsa_wavefront_size32 1
		.amdhsa_uses_dynamic_stack 0
		.amdhsa_enable_private_segment 0
		.amdhsa_system_sgpr_workgroup_id_x 1
		.amdhsa_system_sgpr_workgroup_id_y 0
		.amdhsa_system_sgpr_workgroup_id_z 0
		.amdhsa_system_sgpr_workgroup_info 0
		.amdhsa_system_vgpr_workitem_id 0
		.amdhsa_next_free_vgpr 1
		.amdhsa_next_free_sgpr 1
		.amdhsa_reserve_vcc 0
		.amdhsa_float_round_mode_32 0
		.amdhsa_float_round_mode_16_64 0
		.amdhsa_float_denorm_mode_32 3
		.amdhsa_float_denorm_mode_16_64 3
		.amdhsa_dx10_clamp 1
		.amdhsa_ieee_mode 1
		.amdhsa_fp16_overflow 0
		.amdhsa_workgroup_processor_mode 1
		.amdhsa_memory_ordered 1
		.amdhsa_forward_progress 0
		.amdhsa_shared_vgpr_count 0
		.amdhsa_exception_fp_ieee_invalid_op 0
		.amdhsa_exception_fp_denorm_src 0
		.amdhsa_exception_fp_ieee_div_zero 0
		.amdhsa_exception_fp_ieee_overflow 0
		.amdhsa_exception_fp_ieee_underflow 0
		.amdhsa_exception_fp_ieee_inexact 0
		.amdhsa_exception_int_div_zero 0
	.end_amdhsa_kernel
	.section	.text._ZN7rocprim17ROCPRIM_400000_NS6detail17trampoline_kernelINS0_14default_configENS1_25partition_config_selectorILNS1_17partition_subalgoE8ElNS0_10empty_typeEbEEZZNS1_14partition_implILS5_8ELb0ES3_jPlPS6_PKS6_NS0_5tupleIJS9_S6_EEENSD_IJSA_SA_EEENS0_18inequality_wrapperIZN2at6native12_GLOBAL__N_124unique_dim_cuda_templateIN3c108BFloat16EEESt5tupleIJNSH_6TensorESO_SO_EERKSO_lbbbEUlllE0_EEPmJS6_EEE10hipError_tPvRmT3_T4_T5_T6_T7_T9_mT8_P12ihipStream_tbDpT10_ENKUlT_T0_E_clISt17integral_constantIbLb1EES1E_EEDaS19_S1A_EUlS19_E_NS1_11comp_targetILNS1_3genE4ELNS1_11target_archE910ELNS1_3gpuE8ELNS1_3repE0EEENS1_30default_config_static_selectorELNS0_4arch9wavefront6targetE0EEEvT1_,"axG",@progbits,_ZN7rocprim17ROCPRIM_400000_NS6detail17trampoline_kernelINS0_14default_configENS1_25partition_config_selectorILNS1_17partition_subalgoE8ElNS0_10empty_typeEbEEZZNS1_14partition_implILS5_8ELb0ES3_jPlPS6_PKS6_NS0_5tupleIJS9_S6_EEENSD_IJSA_SA_EEENS0_18inequality_wrapperIZN2at6native12_GLOBAL__N_124unique_dim_cuda_templateIN3c108BFloat16EEESt5tupleIJNSH_6TensorESO_SO_EERKSO_lbbbEUlllE0_EEPmJS6_EEE10hipError_tPvRmT3_T4_T5_T6_T7_T9_mT8_P12ihipStream_tbDpT10_ENKUlT_T0_E_clISt17integral_constantIbLb1EES1E_EEDaS19_S1A_EUlS19_E_NS1_11comp_targetILNS1_3genE4ELNS1_11target_archE910ELNS1_3gpuE8ELNS1_3repE0EEENS1_30default_config_static_selectorELNS0_4arch9wavefront6targetE0EEEvT1_,comdat
.Lfunc_end1183:
	.size	_ZN7rocprim17ROCPRIM_400000_NS6detail17trampoline_kernelINS0_14default_configENS1_25partition_config_selectorILNS1_17partition_subalgoE8ElNS0_10empty_typeEbEEZZNS1_14partition_implILS5_8ELb0ES3_jPlPS6_PKS6_NS0_5tupleIJS9_S6_EEENSD_IJSA_SA_EEENS0_18inequality_wrapperIZN2at6native12_GLOBAL__N_124unique_dim_cuda_templateIN3c108BFloat16EEESt5tupleIJNSH_6TensorESO_SO_EERKSO_lbbbEUlllE0_EEPmJS6_EEE10hipError_tPvRmT3_T4_T5_T6_T7_T9_mT8_P12ihipStream_tbDpT10_ENKUlT_T0_E_clISt17integral_constantIbLb1EES1E_EEDaS19_S1A_EUlS19_E_NS1_11comp_targetILNS1_3genE4ELNS1_11target_archE910ELNS1_3gpuE8ELNS1_3repE0EEENS1_30default_config_static_selectorELNS0_4arch9wavefront6targetE0EEEvT1_, .Lfunc_end1183-_ZN7rocprim17ROCPRIM_400000_NS6detail17trampoline_kernelINS0_14default_configENS1_25partition_config_selectorILNS1_17partition_subalgoE8ElNS0_10empty_typeEbEEZZNS1_14partition_implILS5_8ELb0ES3_jPlPS6_PKS6_NS0_5tupleIJS9_S6_EEENSD_IJSA_SA_EEENS0_18inequality_wrapperIZN2at6native12_GLOBAL__N_124unique_dim_cuda_templateIN3c108BFloat16EEESt5tupleIJNSH_6TensorESO_SO_EERKSO_lbbbEUlllE0_EEPmJS6_EEE10hipError_tPvRmT3_T4_T5_T6_T7_T9_mT8_P12ihipStream_tbDpT10_ENKUlT_T0_E_clISt17integral_constantIbLb1EES1E_EEDaS19_S1A_EUlS19_E_NS1_11comp_targetILNS1_3genE4ELNS1_11target_archE910ELNS1_3gpuE8ELNS1_3repE0EEENS1_30default_config_static_selectorELNS0_4arch9wavefront6targetE0EEEvT1_
                                        ; -- End function
	.section	.AMDGPU.csdata,"",@progbits
; Kernel info:
; codeLenInByte = 0
; NumSgprs: 0
; NumVgprs: 0
; ScratchSize: 0
; MemoryBound: 0
; FloatMode: 240
; IeeeMode: 1
; LDSByteSize: 0 bytes/workgroup (compile time only)
; SGPRBlocks: 0
; VGPRBlocks: 0
; NumSGPRsForWavesPerEU: 1
; NumVGPRsForWavesPerEU: 1
; Occupancy: 16
; WaveLimiterHint : 0
; COMPUTE_PGM_RSRC2:SCRATCH_EN: 0
; COMPUTE_PGM_RSRC2:USER_SGPR: 15
; COMPUTE_PGM_RSRC2:TRAP_HANDLER: 0
; COMPUTE_PGM_RSRC2:TGID_X_EN: 1
; COMPUTE_PGM_RSRC2:TGID_Y_EN: 0
; COMPUTE_PGM_RSRC2:TGID_Z_EN: 0
; COMPUTE_PGM_RSRC2:TIDIG_COMP_CNT: 0
	.section	.text._ZN7rocprim17ROCPRIM_400000_NS6detail17trampoline_kernelINS0_14default_configENS1_25partition_config_selectorILNS1_17partition_subalgoE8ElNS0_10empty_typeEbEEZZNS1_14partition_implILS5_8ELb0ES3_jPlPS6_PKS6_NS0_5tupleIJS9_S6_EEENSD_IJSA_SA_EEENS0_18inequality_wrapperIZN2at6native12_GLOBAL__N_124unique_dim_cuda_templateIN3c108BFloat16EEESt5tupleIJNSH_6TensorESO_SO_EERKSO_lbbbEUlllE0_EEPmJS6_EEE10hipError_tPvRmT3_T4_T5_T6_T7_T9_mT8_P12ihipStream_tbDpT10_ENKUlT_T0_E_clISt17integral_constantIbLb1EES1E_EEDaS19_S1A_EUlS19_E_NS1_11comp_targetILNS1_3genE3ELNS1_11target_archE908ELNS1_3gpuE7ELNS1_3repE0EEENS1_30default_config_static_selectorELNS0_4arch9wavefront6targetE0EEEvT1_,"axG",@progbits,_ZN7rocprim17ROCPRIM_400000_NS6detail17trampoline_kernelINS0_14default_configENS1_25partition_config_selectorILNS1_17partition_subalgoE8ElNS0_10empty_typeEbEEZZNS1_14partition_implILS5_8ELb0ES3_jPlPS6_PKS6_NS0_5tupleIJS9_S6_EEENSD_IJSA_SA_EEENS0_18inequality_wrapperIZN2at6native12_GLOBAL__N_124unique_dim_cuda_templateIN3c108BFloat16EEESt5tupleIJNSH_6TensorESO_SO_EERKSO_lbbbEUlllE0_EEPmJS6_EEE10hipError_tPvRmT3_T4_T5_T6_T7_T9_mT8_P12ihipStream_tbDpT10_ENKUlT_T0_E_clISt17integral_constantIbLb1EES1E_EEDaS19_S1A_EUlS19_E_NS1_11comp_targetILNS1_3genE3ELNS1_11target_archE908ELNS1_3gpuE7ELNS1_3repE0EEENS1_30default_config_static_selectorELNS0_4arch9wavefront6targetE0EEEvT1_,comdat
	.globl	_ZN7rocprim17ROCPRIM_400000_NS6detail17trampoline_kernelINS0_14default_configENS1_25partition_config_selectorILNS1_17partition_subalgoE8ElNS0_10empty_typeEbEEZZNS1_14partition_implILS5_8ELb0ES3_jPlPS6_PKS6_NS0_5tupleIJS9_S6_EEENSD_IJSA_SA_EEENS0_18inequality_wrapperIZN2at6native12_GLOBAL__N_124unique_dim_cuda_templateIN3c108BFloat16EEESt5tupleIJNSH_6TensorESO_SO_EERKSO_lbbbEUlllE0_EEPmJS6_EEE10hipError_tPvRmT3_T4_T5_T6_T7_T9_mT8_P12ihipStream_tbDpT10_ENKUlT_T0_E_clISt17integral_constantIbLb1EES1E_EEDaS19_S1A_EUlS19_E_NS1_11comp_targetILNS1_3genE3ELNS1_11target_archE908ELNS1_3gpuE7ELNS1_3repE0EEENS1_30default_config_static_selectorELNS0_4arch9wavefront6targetE0EEEvT1_ ; -- Begin function _ZN7rocprim17ROCPRIM_400000_NS6detail17trampoline_kernelINS0_14default_configENS1_25partition_config_selectorILNS1_17partition_subalgoE8ElNS0_10empty_typeEbEEZZNS1_14partition_implILS5_8ELb0ES3_jPlPS6_PKS6_NS0_5tupleIJS9_S6_EEENSD_IJSA_SA_EEENS0_18inequality_wrapperIZN2at6native12_GLOBAL__N_124unique_dim_cuda_templateIN3c108BFloat16EEESt5tupleIJNSH_6TensorESO_SO_EERKSO_lbbbEUlllE0_EEPmJS6_EEE10hipError_tPvRmT3_T4_T5_T6_T7_T9_mT8_P12ihipStream_tbDpT10_ENKUlT_T0_E_clISt17integral_constantIbLb1EES1E_EEDaS19_S1A_EUlS19_E_NS1_11comp_targetILNS1_3genE3ELNS1_11target_archE908ELNS1_3gpuE7ELNS1_3repE0EEENS1_30default_config_static_selectorELNS0_4arch9wavefront6targetE0EEEvT1_
	.p2align	8
	.type	_ZN7rocprim17ROCPRIM_400000_NS6detail17trampoline_kernelINS0_14default_configENS1_25partition_config_selectorILNS1_17partition_subalgoE8ElNS0_10empty_typeEbEEZZNS1_14partition_implILS5_8ELb0ES3_jPlPS6_PKS6_NS0_5tupleIJS9_S6_EEENSD_IJSA_SA_EEENS0_18inequality_wrapperIZN2at6native12_GLOBAL__N_124unique_dim_cuda_templateIN3c108BFloat16EEESt5tupleIJNSH_6TensorESO_SO_EERKSO_lbbbEUlllE0_EEPmJS6_EEE10hipError_tPvRmT3_T4_T5_T6_T7_T9_mT8_P12ihipStream_tbDpT10_ENKUlT_T0_E_clISt17integral_constantIbLb1EES1E_EEDaS19_S1A_EUlS19_E_NS1_11comp_targetILNS1_3genE3ELNS1_11target_archE908ELNS1_3gpuE7ELNS1_3repE0EEENS1_30default_config_static_selectorELNS0_4arch9wavefront6targetE0EEEvT1_,@function
_ZN7rocprim17ROCPRIM_400000_NS6detail17trampoline_kernelINS0_14default_configENS1_25partition_config_selectorILNS1_17partition_subalgoE8ElNS0_10empty_typeEbEEZZNS1_14partition_implILS5_8ELb0ES3_jPlPS6_PKS6_NS0_5tupleIJS9_S6_EEENSD_IJSA_SA_EEENS0_18inequality_wrapperIZN2at6native12_GLOBAL__N_124unique_dim_cuda_templateIN3c108BFloat16EEESt5tupleIJNSH_6TensorESO_SO_EERKSO_lbbbEUlllE0_EEPmJS6_EEE10hipError_tPvRmT3_T4_T5_T6_T7_T9_mT8_P12ihipStream_tbDpT10_ENKUlT_T0_E_clISt17integral_constantIbLb1EES1E_EEDaS19_S1A_EUlS19_E_NS1_11comp_targetILNS1_3genE3ELNS1_11target_archE908ELNS1_3gpuE7ELNS1_3repE0EEENS1_30default_config_static_selectorELNS0_4arch9wavefront6targetE0EEEvT1_: ; @_ZN7rocprim17ROCPRIM_400000_NS6detail17trampoline_kernelINS0_14default_configENS1_25partition_config_selectorILNS1_17partition_subalgoE8ElNS0_10empty_typeEbEEZZNS1_14partition_implILS5_8ELb0ES3_jPlPS6_PKS6_NS0_5tupleIJS9_S6_EEENSD_IJSA_SA_EEENS0_18inequality_wrapperIZN2at6native12_GLOBAL__N_124unique_dim_cuda_templateIN3c108BFloat16EEESt5tupleIJNSH_6TensorESO_SO_EERKSO_lbbbEUlllE0_EEPmJS6_EEE10hipError_tPvRmT3_T4_T5_T6_T7_T9_mT8_P12ihipStream_tbDpT10_ENKUlT_T0_E_clISt17integral_constantIbLb1EES1E_EEDaS19_S1A_EUlS19_E_NS1_11comp_targetILNS1_3genE3ELNS1_11target_archE908ELNS1_3gpuE7ELNS1_3repE0EEENS1_30default_config_static_selectorELNS0_4arch9wavefront6targetE0EEEvT1_
; %bb.0:
	.section	.rodata,"a",@progbits
	.p2align	6, 0x0
	.amdhsa_kernel _ZN7rocprim17ROCPRIM_400000_NS6detail17trampoline_kernelINS0_14default_configENS1_25partition_config_selectorILNS1_17partition_subalgoE8ElNS0_10empty_typeEbEEZZNS1_14partition_implILS5_8ELb0ES3_jPlPS6_PKS6_NS0_5tupleIJS9_S6_EEENSD_IJSA_SA_EEENS0_18inequality_wrapperIZN2at6native12_GLOBAL__N_124unique_dim_cuda_templateIN3c108BFloat16EEESt5tupleIJNSH_6TensorESO_SO_EERKSO_lbbbEUlllE0_EEPmJS6_EEE10hipError_tPvRmT3_T4_T5_T6_T7_T9_mT8_P12ihipStream_tbDpT10_ENKUlT_T0_E_clISt17integral_constantIbLb1EES1E_EEDaS19_S1A_EUlS19_E_NS1_11comp_targetILNS1_3genE3ELNS1_11target_archE908ELNS1_3gpuE7ELNS1_3repE0EEENS1_30default_config_static_selectorELNS0_4arch9wavefront6targetE0EEEvT1_
		.amdhsa_group_segment_fixed_size 0
		.amdhsa_private_segment_fixed_size 0
		.amdhsa_kernarg_size 136
		.amdhsa_user_sgpr_count 15
		.amdhsa_user_sgpr_dispatch_ptr 0
		.amdhsa_user_sgpr_queue_ptr 0
		.amdhsa_user_sgpr_kernarg_segment_ptr 1
		.amdhsa_user_sgpr_dispatch_id 0
		.amdhsa_user_sgpr_private_segment_size 0
		.amdhsa_wavefront_size32 1
		.amdhsa_uses_dynamic_stack 0
		.amdhsa_enable_private_segment 0
		.amdhsa_system_sgpr_workgroup_id_x 1
		.amdhsa_system_sgpr_workgroup_id_y 0
		.amdhsa_system_sgpr_workgroup_id_z 0
		.amdhsa_system_sgpr_workgroup_info 0
		.amdhsa_system_vgpr_workitem_id 0
		.amdhsa_next_free_vgpr 1
		.amdhsa_next_free_sgpr 1
		.amdhsa_reserve_vcc 0
		.amdhsa_float_round_mode_32 0
		.amdhsa_float_round_mode_16_64 0
		.amdhsa_float_denorm_mode_32 3
		.amdhsa_float_denorm_mode_16_64 3
		.amdhsa_dx10_clamp 1
		.amdhsa_ieee_mode 1
		.amdhsa_fp16_overflow 0
		.amdhsa_workgroup_processor_mode 1
		.amdhsa_memory_ordered 1
		.amdhsa_forward_progress 0
		.amdhsa_shared_vgpr_count 0
		.amdhsa_exception_fp_ieee_invalid_op 0
		.amdhsa_exception_fp_denorm_src 0
		.amdhsa_exception_fp_ieee_div_zero 0
		.amdhsa_exception_fp_ieee_overflow 0
		.amdhsa_exception_fp_ieee_underflow 0
		.amdhsa_exception_fp_ieee_inexact 0
		.amdhsa_exception_int_div_zero 0
	.end_amdhsa_kernel
	.section	.text._ZN7rocprim17ROCPRIM_400000_NS6detail17trampoline_kernelINS0_14default_configENS1_25partition_config_selectorILNS1_17partition_subalgoE8ElNS0_10empty_typeEbEEZZNS1_14partition_implILS5_8ELb0ES3_jPlPS6_PKS6_NS0_5tupleIJS9_S6_EEENSD_IJSA_SA_EEENS0_18inequality_wrapperIZN2at6native12_GLOBAL__N_124unique_dim_cuda_templateIN3c108BFloat16EEESt5tupleIJNSH_6TensorESO_SO_EERKSO_lbbbEUlllE0_EEPmJS6_EEE10hipError_tPvRmT3_T4_T5_T6_T7_T9_mT8_P12ihipStream_tbDpT10_ENKUlT_T0_E_clISt17integral_constantIbLb1EES1E_EEDaS19_S1A_EUlS19_E_NS1_11comp_targetILNS1_3genE3ELNS1_11target_archE908ELNS1_3gpuE7ELNS1_3repE0EEENS1_30default_config_static_selectorELNS0_4arch9wavefront6targetE0EEEvT1_,"axG",@progbits,_ZN7rocprim17ROCPRIM_400000_NS6detail17trampoline_kernelINS0_14default_configENS1_25partition_config_selectorILNS1_17partition_subalgoE8ElNS0_10empty_typeEbEEZZNS1_14partition_implILS5_8ELb0ES3_jPlPS6_PKS6_NS0_5tupleIJS9_S6_EEENSD_IJSA_SA_EEENS0_18inequality_wrapperIZN2at6native12_GLOBAL__N_124unique_dim_cuda_templateIN3c108BFloat16EEESt5tupleIJNSH_6TensorESO_SO_EERKSO_lbbbEUlllE0_EEPmJS6_EEE10hipError_tPvRmT3_T4_T5_T6_T7_T9_mT8_P12ihipStream_tbDpT10_ENKUlT_T0_E_clISt17integral_constantIbLb1EES1E_EEDaS19_S1A_EUlS19_E_NS1_11comp_targetILNS1_3genE3ELNS1_11target_archE908ELNS1_3gpuE7ELNS1_3repE0EEENS1_30default_config_static_selectorELNS0_4arch9wavefront6targetE0EEEvT1_,comdat
.Lfunc_end1184:
	.size	_ZN7rocprim17ROCPRIM_400000_NS6detail17trampoline_kernelINS0_14default_configENS1_25partition_config_selectorILNS1_17partition_subalgoE8ElNS0_10empty_typeEbEEZZNS1_14partition_implILS5_8ELb0ES3_jPlPS6_PKS6_NS0_5tupleIJS9_S6_EEENSD_IJSA_SA_EEENS0_18inequality_wrapperIZN2at6native12_GLOBAL__N_124unique_dim_cuda_templateIN3c108BFloat16EEESt5tupleIJNSH_6TensorESO_SO_EERKSO_lbbbEUlllE0_EEPmJS6_EEE10hipError_tPvRmT3_T4_T5_T6_T7_T9_mT8_P12ihipStream_tbDpT10_ENKUlT_T0_E_clISt17integral_constantIbLb1EES1E_EEDaS19_S1A_EUlS19_E_NS1_11comp_targetILNS1_3genE3ELNS1_11target_archE908ELNS1_3gpuE7ELNS1_3repE0EEENS1_30default_config_static_selectorELNS0_4arch9wavefront6targetE0EEEvT1_, .Lfunc_end1184-_ZN7rocprim17ROCPRIM_400000_NS6detail17trampoline_kernelINS0_14default_configENS1_25partition_config_selectorILNS1_17partition_subalgoE8ElNS0_10empty_typeEbEEZZNS1_14partition_implILS5_8ELb0ES3_jPlPS6_PKS6_NS0_5tupleIJS9_S6_EEENSD_IJSA_SA_EEENS0_18inequality_wrapperIZN2at6native12_GLOBAL__N_124unique_dim_cuda_templateIN3c108BFloat16EEESt5tupleIJNSH_6TensorESO_SO_EERKSO_lbbbEUlllE0_EEPmJS6_EEE10hipError_tPvRmT3_T4_T5_T6_T7_T9_mT8_P12ihipStream_tbDpT10_ENKUlT_T0_E_clISt17integral_constantIbLb1EES1E_EEDaS19_S1A_EUlS19_E_NS1_11comp_targetILNS1_3genE3ELNS1_11target_archE908ELNS1_3gpuE7ELNS1_3repE0EEENS1_30default_config_static_selectorELNS0_4arch9wavefront6targetE0EEEvT1_
                                        ; -- End function
	.section	.AMDGPU.csdata,"",@progbits
; Kernel info:
; codeLenInByte = 0
; NumSgprs: 0
; NumVgprs: 0
; ScratchSize: 0
; MemoryBound: 0
; FloatMode: 240
; IeeeMode: 1
; LDSByteSize: 0 bytes/workgroup (compile time only)
; SGPRBlocks: 0
; VGPRBlocks: 0
; NumSGPRsForWavesPerEU: 1
; NumVGPRsForWavesPerEU: 1
; Occupancy: 16
; WaveLimiterHint : 0
; COMPUTE_PGM_RSRC2:SCRATCH_EN: 0
; COMPUTE_PGM_RSRC2:USER_SGPR: 15
; COMPUTE_PGM_RSRC2:TRAP_HANDLER: 0
; COMPUTE_PGM_RSRC2:TGID_X_EN: 1
; COMPUTE_PGM_RSRC2:TGID_Y_EN: 0
; COMPUTE_PGM_RSRC2:TGID_Z_EN: 0
; COMPUTE_PGM_RSRC2:TIDIG_COMP_CNT: 0
	.section	.text._ZN7rocprim17ROCPRIM_400000_NS6detail17trampoline_kernelINS0_14default_configENS1_25partition_config_selectorILNS1_17partition_subalgoE8ElNS0_10empty_typeEbEEZZNS1_14partition_implILS5_8ELb0ES3_jPlPS6_PKS6_NS0_5tupleIJS9_S6_EEENSD_IJSA_SA_EEENS0_18inequality_wrapperIZN2at6native12_GLOBAL__N_124unique_dim_cuda_templateIN3c108BFloat16EEESt5tupleIJNSH_6TensorESO_SO_EERKSO_lbbbEUlllE0_EEPmJS6_EEE10hipError_tPvRmT3_T4_T5_T6_T7_T9_mT8_P12ihipStream_tbDpT10_ENKUlT_T0_E_clISt17integral_constantIbLb1EES1E_EEDaS19_S1A_EUlS19_E_NS1_11comp_targetILNS1_3genE2ELNS1_11target_archE906ELNS1_3gpuE6ELNS1_3repE0EEENS1_30default_config_static_selectorELNS0_4arch9wavefront6targetE0EEEvT1_,"axG",@progbits,_ZN7rocprim17ROCPRIM_400000_NS6detail17trampoline_kernelINS0_14default_configENS1_25partition_config_selectorILNS1_17partition_subalgoE8ElNS0_10empty_typeEbEEZZNS1_14partition_implILS5_8ELb0ES3_jPlPS6_PKS6_NS0_5tupleIJS9_S6_EEENSD_IJSA_SA_EEENS0_18inequality_wrapperIZN2at6native12_GLOBAL__N_124unique_dim_cuda_templateIN3c108BFloat16EEESt5tupleIJNSH_6TensorESO_SO_EERKSO_lbbbEUlllE0_EEPmJS6_EEE10hipError_tPvRmT3_T4_T5_T6_T7_T9_mT8_P12ihipStream_tbDpT10_ENKUlT_T0_E_clISt17integral_constantIbLb1EES1E_EEDaS19_S1A_EUlS19_E_NS1_11comp_targetILNS1_3genE2ELNS1_11target_archE906ELNS1_3gpuE6ELNS1_3repE0EEENS1_30default_config_static_selectorELNS0_4arch9wavefront6targetE0EEEvT1_,comdat
	.globl	_ZN7rocprim17ROCPRIM_400000_NS6detail17trampoline_kernelINS0_14default_configENS1_25partition_config_selectorILNS1_17partition_subalgoE8ElNS0_10empty_typeEbEEZZNS1_14partition_implILS5_8ELb0ES3_jPlPS6_PKS6_NS0_5tupleIJS9_S6_EEENSD_IJSA_SA_EEENS0_18inequality_wrapperIZN2at6native12_GLOBAL__N_124unique_dim_cuda_templateIN3c108BFloat16EEESt5tupleIJNSH_6TensorESO_SO_EERKSO_lbbbEUlllE0_EEPmJS6_EEE10hipError_tPvRmT3_T4_T5_T6_T7_T9_mT8_P12ihipStream_tbDpT10_ENKUlT_T0_E_clISt17integral_constantIbLb1EES1E_EEDaS19_S1A_EUlS19_E_NS1_11comp_targetILNS1_3genE2ELNS1_11target_archE906ELNS1_3gpuE6ELNS1_3repE0EEENS1_30default_config_static_selectorELNS0_4arch9wavefront6targetE0EEEvT1_ ; -- Begin function _ZN7rocprim17ROCPRIM_400000_NS6detail17trampoline_kernelINS0_14default_configENS1_25partition_config_selectorILNS1_17partition_subalgoE8ElNS0_10empty_typeEbEEZZNS1_14partition_implILS5_8ELb0ES3_jPlPS6_PKS6_NS0_5tupleIJS9_S6_EEENSD_IJSA_SA_EEENS0_18inequality_wrapperIZN2at6native12_GLOBAL__N_124unique_dim_cuda_templateIN3c108BFloat16EEESt5tupleIJNSH_6TensorESO_SO_EERKSO_lbbbEUlllE0_EEPmJS6_EEE10hipError_tPvRmT3_T4_T5_T6_T7_T9_mT8_P12ihipStream_tbDpT10_ENKUlT_T0_E_clISt17integral_constantIbLb1EES1E_EEDaS19_S1A_EUlS19_E_NS1_11comp_targetILNS1_3genE2ELNS1_11target_archE906ELNS1_3gpuE6ELNS1_3repE0EEENS1_30default_config_static_selectorELNS0_4arch9wavefront6targetE0EEEvT1_
	.p2align	8
	.type	_ZN7rocprim17ROCPRIM_400000_NS6detail17trampoline_kernelINS0_14default_configENS1_25partition_config_selectorILNS1_17partition_subalgoE8ElNS0_10empty_typeEbEEZZNS1_14partition_implILS5_8ELb0ES3_jPlPS6_PKS6_NS0_5tupleIJS9_S6_EEENSD_IJSA_SA_EEENS0_18inequality_wrapperIZN2at6native12_GLOBAL__N_124unique_dim_cuda_templateIN3c108BFloat16EEESt5tupleIJNSH_6TensorESO_SO_EERKSO_lbbbEUlllE0_EEPmJS6_EEE10hipError_tPvRmT3_T4_T5_T6_T7_T9_mT8_P12ihipStream_tbDpT10_ENKUlT_T0_E_clISt17integral_constantIbLb1EES1E_EEDaS19_S1A_EUlS19_E_NS1_11comp_targetILNS1_3genE2ELNS1_11target_archE906ELNS1_3gpuE6ELNS1_3repE0EEENS1_30default_config_static_selectorELNS0_4arch9wavefront6targetE0EEEvT1_,@function
_ZN7rocprim17ROCPRIM_400000_NS6detail17trampoline_kernelINS0_14default_configENS1_25partition_config_selectorILNS1_17partition_subalgoE8ElNS0_10empty_typeEbEEZZNS1_14partition_implILS5_8ELb0ES3_jPlPS6_PKS6_NS0_5tupleIJS9_S6_EEENSD_IJSA_SA_EEENS0_18inequality_wrapperIZN2at6native12_GLOBAL__N_124unique_dim_cuda_templateIN3c108BFloat16EEESt5tupleIJNSH_6TensorESO_SO_EERKSO_lbbbEUlllE0_EEPmJS6_EEE10hipError_tPvRmT3_T4_T5_T6_T7_T9_mT8_P12ihipStream_tbDpT10_ENKUlT_T0_E_clISt17integral_constantIbLb1EES1E_EEDaS19_S1A_EUlS19_E_NS1_11comp_targetILNS1_3genE2ELNS1_11target_archE906ELNS1_3gpuE6ELNS1_3repE0EEENS1_30default_config_static_selectorELNS0_4arch9wavefront6targetE0EEEvT1_: ; @_ZN7rocprim17ROCPRIM_400000_NS6detail17trampoline_kernelINS0_14default_configENS1_25partition_config_selectorILNS1_17partition_subalgoE8ElNS0_10empty_typeEbEEZZNS1_14partition_implILS5_8ELb0ES3_jPlPS6_PKS6_NS0_5tupleIJS9_S6_EEENSD_IJSA_SA_EEENS0_18inequality_wrapperIZN2at6native12_GLOBAL__N_124unique_dim_cuda_templateIN3c108BFloat16EEESt5tupleIJNSH_6TensorESO_SO_EERKSO_lbbbEUlllE0_EEPmJS6_EEE10hipError_tPvRmT3_T4_T5_T6_T7_T9_mT8_P12ihipStream_tbDpT10_ENKUlT_T0_E_clISt17integral_constantIbLb1EES1E_EEDaS19_S1A_EUlS19_E_NS1_11comp_targetILNS1_3genE2ELNS1_11target_archE906ELNS1_3gpuE6ELNS1_3repE0EEENS1_30default_config_static_selectorELNS0_4arch9wavefront6targetE0EEEvT1_
; %bb.0:
	.section	.rodata,"a",@progbits
	.p2align	6, 0x0
	.amdhsa_kernel _ZN7rocprim17ROCPRIM_400000_NS6detail17trampoline_kernelINS0_14default_configENS1_25partition_config_selectorILNS1_17partition_subalgoE8ElNS0_10empty_typeEbEEZZNS1_14partition_implILS5_8ELb0ES3_jPlPS6_PKS6_NS0_5tupleIJS9_S6_EEENSD_IJSA_SA_EEENS0_18inequality_wrapperIZN2at6native12_GLOBAL__N_124unique_dim_cuda_templateIN3c108BFloat16EEESt5tupleIJNSH_6TensorESO_SO_EERKSO_lbbbEUlllE0_EEPmJS6_EEE10hipError_tPvRmT3_T4_T5_T6_T7_T9_mT8_P12ihipStream_tbDpT10_ENKUlT_T0_E_clISt17integral_constantIbLb1EES1E_EEDaS19_S1A_EUlS19_E_NS1_11comp_targetILNS1_3genE2ELNS1_11target_archE906ELNS1_3gpuE6ELNS1_3repE0EEENS1_30default_config_static_selectorELNS0_4arch9wavefront6targetE0EEEvT1_
		.amdhsa_group_segment_fixed_size 0
		.amdhsa_private_segment_fixed_size 0
		.amdhsa_kernarg_size 136
		.amdhsa_user_sgpr_count 15
		.amdhsa_user_sgpr_dispatch_ptr 0
		.amdhsa_user_sgpr_queue_ptr 0
		.amdhsa_user_sgpr_kernarg_segment_ptr 1
		.amdhsa_user_sgpr_dispatch_id 0
		.amdhsa_user_sgpr_private_segment_size 0
		.amdhsa_wavefront_size32 1
		.amdhsa_uses_dynamic_stack 0
		.amdhsa_enable_private_segment 0
		.amdhsa_system_sgpr_workgroup_id_x 1
		.amdhsa_system_sgpr_workgroup_id_y 0
		.amdhsa_system_sgpr_workgroup_id_z 0
		.amdhsa_system_sgpr_workgroup_info 0
		.amdhsa_system_vgpr_workitem_id 0
		.amdhsa_next_free_vgpr 1
		.amdhsa_next_free_sgpr 1
		.amdhsa_reserve_vcc 0
		.amdhsa_float_round_mode_32 0
		.amdhsa_float_round_mode_16_64 0
		.amdhsa_float_denorm_mode_32 3
		.amdhsa_float_denorm_mode_16_64 3
		.amdhsa_dx10_clamp 1
		.amdhsa_ieee_mode 1
		.amdhsa_fp16_overflow 0
		.amdhsa_workgroup_processor_mode 1
		.amdhsa_memory_ordered 1
		.amdhsa_forward_progress 0
		.amdhsa_shared_vgpr_count 0
		.amdhsa_exception_fp_ieee_invalid_op 0
		.amdhsa_exception_fp_denorm_src 0
		.amdhsa_exception_fp_ieee_div_zero 0
		.amdhsa_exception_fp_ieee_overflow 0
		.amdhsa_exception_fp_ieee_underflow 0
		.amdhsa_exception_fp_ieee_inexact 0
		.amdhsa_exception_int_div_zero 0
	.end_amdhsa_kernel
	.section	.text._ZN7rocprim17ROCPRIM_400000_NS6detail17trampoline_kernelINS0_14default_configENS1_25partition_config_selectorILNS1_17partition_subalgoE8ElNS0_10empty_typeEbEEZZNS1_14partition_implILS5_8ELb0ES3_jPlPS6_PKS6_NS0_5tupleIJS9_S6_EEENSD_IJSA_SA_EEENS0_18inequality_wrapperIZN2at6native12_GLOBAL__N_124unique_dim_cuda_templateIN3c108BFloat16EEESt5tupleIJNSH_6TensorESO_SO_EERKSO_lbbbEUlllE0_EEPmJS6_EEE10hipError_tPvRmT3_T4_T5_T6_T7_T9_mT8_P12ihipStream_tbDpT10_ENKUlT_T0_E_clISt17integral_constantIbLb1EES1E_EEDaS19_S1A_EUlS19_E_NS1_11comp_targetILNS1_3genE2ELNS1_11target_archE906ELNS1_3gpuE6ELNS1_3repE0EEENS1_30default_config_static_selectorELNS0_4arch9wavefront6targetE0EEEvT1_,"axG",@progbits,_ZN7rocprim17ROCPRIM_400000_NS6detail17trampoline_kernelINS0_14default_configENS1_25partition_config_selectorILNS1_17partition_subalgoE8ElNS0_10empty_typeEbEEZZNS1_14partition_implILS5_8ELb0ES3_jPlPS6_PKS6_NS0_5tupleIJS9_S6_EEENSD_IJSA_SA_EEENS0_18inequality_wrapperIZN2at6native12_GLOBAL__N_124unique_dim_cuda_templateIN3c108BFloat16EEESt5tupleIJNSH_6TensorESO_SO_EERKSO_lbbbEUlllE0_EEPmJS6_EEE10hipError_tPvRmT3_T4_T5_T6_T7_T9_mT8_P12ihipStream_tbDpT10_ENKUlT_T0_E_clISt17integral_constantIbLb1EES1E_EEDaS19_S1A_EUlS19_E_NS1_11comp_targetILNS1_3genE2ELNS1_11target_archE906ELNS1_3gpuE6ELNS1_3repE0EEENS1_30default_config_static_selectorELNS0_4arch9wavefront6targetE0EEEvT1_,comdat
.Lfunc_end1185:
	.size	_ZN7rocprim17ROCPRIM_400000_NS6detail17trampoline_kernelINS0_14default_configENS1_25partition_config_selectorILNS1_17partition_subalgoE8ElNS0_10empty_typeEbEEZZNS1_14partition_implILS5_8ELb0ES3_jPlPS6_PKS6_NS0_5tupleIJS9_S6_EEENSD_IJSA_SA_EEENS0_18inequality_wrapperIZN2at6native12_GLOBAL__N_124unique_dim_cuda_templateIN3c108BFloat16EEESt5tupleIJNSH_6TensorESO_SO_EERKSO_lbbbEUlllE0_EEPmJS6_EEE10hipError_tPvRmT3_T4_T5_T6_T7_T9_mT8_P12ihipStream_tbDpT10_ENKUlT_T0_E_clISt17integral_constantIbLb1EES1E_EEDaS19_S1A_EUlS19_E_NS1_11comp_targetILNS1_3genE2ELNS1_11target_archE906ELNS1_3gpuE6ELNS1_3repE0EEENS1_30default_config_static_selectorELNS0_4arch9wavefront6targetE0EEEvT1_, .Lfunc_end1185-_ZN7rocprim17ROCPRIM_400000_NS6detail17trampoline_kernelINS0_14default_configENS1_25partition_config_selectorILNS1_17partition_subalgoE8ElNS0_10empty_typeEbEEZZNS1_14partition_implILS5_8ELb0ES3_jPlPS6_PKS6_NS0_5tupleIJS9_S6_EEENSD_IJSA_SA_EEENS0_18inequality_wrapperIZN2at6native12_GLOBAL__N_124unique_dim_cuda_templateIN3c108BFloat16EEESt5tupleIJNSH_6TensorESO_SO_EERKSO_lbbbEUlllE0_EEPmJS6_EEE10hipError_tPvRmT3_T4_T5_T6_T7_T9_mT8_P12ihipStream_tbDpT10_ENKUlT_T0_E_clISt17integral_constantIbLb1EES1E_EEDaS19_S1A_EUlS19_E_NS1_11comp_targetILNS1_3genE2ELNS1_11target_archE906ELNS1_3gpuE6ELNS1_3repE0EEENS1_30default_config_static_selectorELNS0_4arch9wavefront6targetE0EEEvT1_
                                        ; -- End function
	.section	.AMDGPU.csdata,"",@progbits
; Kernel info:
; codeLenInByte = 0
; NumSgprs: 0
; NumVgprs: 0
; ScratchSize: 0
; MemoryBound: 0
; FloatMode: 240
; IeeeMode: 1
; LDSByteSize: 0 bytes/workgroup (compile time only)
; SGPRBlocks: 0
; VGPRBlocks: 0
; NumSGPRsForWavesPerEU: 1
; NumVGPRsForWavesPerEU: 1
; Occupancy: 16
; WaveLimiterHint : 0
; COMPUTE_PGM_RSRC2:SCRATCH_EN: 0
; COMPUTE_PGM_RSRC2:USER_SGPR: 15
; COMPUTE_PGM_RSRC2:TRAP_HANDLER: 0
; COMPUTE_PGM_RSRC2:TGID_X_EN: 1
; COMPUTE_PGM_RSRC2:TGID_Y_EN: 0
; COMPUTE_PGM_RSRC2:TGID_Z_EN: 0
; COMPUTE_PGM_RSRC2:TIDIG_COMP_CNT: 0
	.section	.text._ZN7rocprim17ROCPRIM_400000_NS6detail17trampoline_kernelINS0_14default_configENS1_25partition_config_selectorILNS1_17partition_subalgoE8ElNS0_10empty_typeEbEEZZNS1_14partition_implILS5_8ELb0ES3_jPlPS6_PKS6_NS0_5tupleIJS9_S6_EEENSD_IJSA_SA_EEENS0_18inequality_wrapperIZN2at6native12_GLOBAL__N_124unique_dim_cuda_templateIN3c108BFloat16EEESt5tupleIJNSH_6TensorESO_SO_EERKSO_lbbbEUlllE0_EEPmJS6_EEE10hipError_tPvRmT3_T4_T5_T6_T7_T9_mT8_P12ihipStream_tbDpT10_ENKUlT_T0_E_clISt17integral_constantIbLb1EES1E_EEDaS19_S1A_EUlS19_E_NS1_11comp_targetILNS1_3genE10ELNS1_11target_archE1200ELNS1_3gpuE4ELNS1_3repE0EEENS1_30default_config_static_selectorELNS0_4arch9wavefront6targetE0EEEvT1_,"axG",@progbits,_ZN7rocprim17ROCPRIM_400000_NS6detail17trampoline_kernelINS0_14default_configENS1_25partition_config_selectorILNS1_17partition_subalgoE8ElNS0_10empty_typeEbEEZZNS1_14partition_implILS5_8ELb0ES3_jPlPS6_PKS6_NS0_5tupleIJS9_S6_EEENSD_IJSA_SA_EEENS0_18inequality_wrapperIZN2at6native12_GLOBAL__N_124unique_dim_cuda_templateIN3c108BFloat16EEESt5tupleIJNSH_6TensorESO_SO_EERKSO_lbbbEUlllE0_EEPmJS6_EEE10hipError_tPvRmT3_T4_T5_T6_T7_T9_mT8_P12ihipStream_tbDpT10_ENKUlT_T0_E_clISt17integral_constantIbLb1EES1E_EEDaS19_S1A_EUlS19_E_NS1_11comp_targetILNS1_3genE10ELNS1_11target_archE1200ELNS1_3gpuE4ELNS1_3repE0EEENS1_30default_config_static_selectorELNS0_4arch9wavefront6targetE0EEEvT1_,comdat
	.globl	_ZN7rocprim17ROCPRIM_400000_NS6detail17trampoline_kernelINS0_14default_configENS1_25partition_config_selectorILNS1_17partition_subalgoE8ElNS0_10empty_typeEbEEZZNS1_14partition_implILS5_8ELb0ES3_jPlPS6_PKS6_NS0_5tupleIJS9_S6_EEENSD_IJSA_SA_EEENS0_18inequality_wrapperIZN2at6native12_GLOBAL__N_124unique_dim_cuda_templateIN3c108BFloat16EEESt5tupleIJNSH_6TensorESO_SO_EERKSO_lbbbEUlllE0_EEPmJS6_EEE10hipError_tPvRmT3_T4_T5_T6_T7_T9_mT8_P12ihipStream_tbDpT10_ENKUlT_T0_E_clISt17integral_constantIbLb1EES1E_EEDaS19_S1A_EUlS19_E_NS1_11comp_targetILNS1_3genE10ELNS1_11target_archE1200ELNS1_3gpuE4ELNS1_3repE0EEENS1_30default_config_static_selectorELNS0_4arch9wavefront6targetE0EEEvT1_ ; -- Begin function _ZN7rocprim17ROCPRIM_400000_NS6detail17trampoline_kernelINS0_14default_configENS1_25partition_config_selectorILNS1_17partition_subalgoE8ElNS0_10empty_typeEbEEZZNS1_14partition_implILS5_8ELb0ES3_jPlPS6_PKS6_NS0_5tupleIJS9_S6_EEENSD_IJSA_SA_EEENS0_18inequality_wrapperIZN2at6native12_GLOBAL__N_124unique_dim_cuda_templateIN3c108BFloat16EEESt5tupleIJNSH_6TensorESO_SO_EERKSO_lbbbEUlllE0_EEPmJS6_EEE10hipError_tPvRmT3_T4_T5_T6_T7_T9_mT8_P12ihipStream_tbDpT10_ENKUlT_T0_E_clISt17integral_constantIbLb1EES1E_EEDaS19_S1A_EUlS19_E_NS1_11comp_targetILNS1_3genE10ELNS1_11target_archE1200ELNS1_3gpuE4ELNS1_3repE0EEENS1_30default_config_static_selectorELNS0_4arch9wavefront6targetE0EEEvT1_
	.p2align	8
	.type	_ZN7rocprim17ROCPRIM_400000_NS6detail17trampoline_kernelINS0_14default_configENS1_25partition_config_selectorILNS1_17partition_subalgoE8ElNS0_10empty_typeEbEEZZNS1_14partition_implILS5_8ELb0ES3_jPlPS6_PKS6_NS0_5tupleIJS9_S6_EEENSD_IJSA_SA_EEENS0_18inequality_wrapperIZN2at6native12_GLOBAL__N_124unique_dim_cuda_templateIN3c108BFloat16EEESt5tupleIJNSH_6TensorESO_SO_EERKSO_lbbbEUlllE0_EEPmJS6_EEE10hipError_tPvRmT3_T4_T5_T6_T7_T9_mT8_P12ihipStream_tbDpT10_ENKUlT_T0_E_clISt17integral_constantIbLb1EES1E_EEDaS19_S1A_EUlS19_E_NS1_11comp_targetILNS1_3genE10ELNS1_11target_archE1200ELNS1_3gpuE4ELNS1_3repE0EEENS1_30default_config_static_selectorELNS0_4arch9wavefront6targetE0EEEvT1_,@function
_ZN7rocprim17ROCPRIM_400000_NS6detail17trampoline_kernelINS0_14default_configENS1_25partition_config_selectorILNS1_17partition_subalgoE8ElNS0_10empty_typeEbEEZZNS1_14partition_implILS5_8ELb0ES3_jPlPS6_PKS6_NS0_5tupleIJS9_S6_EEENSD_IJSA_SA_EEENS0_18inequality_wrapperIZN2at6native12_GLOBAL__N_124unique_dim_cuda_templateIN3c108BFloat16EEESt5tupleIJNSH_6TensorESO_SO_EERKSO_lbbbEUlllE0_EEPmJS6_EEE10hipError_tPvRmT3_T4_T5_T6_T7_T9_mT8_P12ihipStream_tbDpT10_ENKUlT_T0_E_clISt17integral_constantIbLb1EES1E_EEDaS19_S1A_EUlS19_E_NS1_11comp_targetILNS1_3genE10ELNS1_11target_archE1200ELNS1_3gpuE4ELNS1_3repE0EEENS1_30default_config_static_selectorELNS0_4arch9wavefront6targetE0EEEvT1_: ; @_ZN7rocprim17ROCPRIM_400000_NS6detail17trampoline_kernelINS0_14default_configENS1_25partition_config_selectorILNS1_17partition_subalgoE8ElNS0_10empty_typeEbEEZZNS1_14partition_implILS5_8ELb0ES3_jPlPS6_PKS6_NS0_5tupleIJS9_S6_EEENSD_IJSA_SA_EEENS0_18inequality_wrapperIZN2at6native12_GLOBAL__N_124unique_dim_cuda_templateIN3c108BFloat16EEESt5tupleIJNSH_6TensorESO_SO_EERKSO_lbbbEUlllE0_EEPmJS6_EEE10hipError_tPvRmT3_T4_T5_T6_T7_T9_mT8_P12ihipStream_tbDpT10_ENKUlT_T0_E_clISt17integral_constantIbLb1EES1E_EEDaS19_S1A_EUlS19_E_NS1_11comp_targetILNS1_3genE10ELNS1_11target_archE1200ELNS1_3gpuE4ELNS1_3repE0EEENS1_30default_config_static_selectorELNS0_4arch9wavefront6targetE0EEEvT1_
; %bb.0:
	.section	.rodata,"a",@progbits
	.p2align	6, 0x0
	.amdhsa_kernel _ZN7rocprim17ROCPRIM_400000_NS6detail17trampoline_kernelINS0_14default_configENS1_25partition_config_selectorILNS1_17partition_subalgoE8ElNS0_10empty_typeEbEEZZNS1_14partition_implILS5_8ELb0ES3_jPlPS6_PKS6_NS0_5tupleIJS9_S6_EEENSD_IJSA_SA_EEENS0_18inequality_wrapperIZN2at6native12_GLOBAL__N_124unique_dim_cuda_templateIN3c108BFloat16EEESt5tupleIJNSH_6TensorESO_SO_EERKSO_lbbbEUlllE0_EEPmJS6_EEE10hipError_tPvRmT3_T4_T5_T6_T7_T9_mT8_P12ihipStream_tbDpT10_ENKUlT_T0_E_clISt17integral_constantIbLb1EES1E_EEDaS19_S1A_EUlS19_E_NS1_11comp_targetILNS1_3genE10ELNS1_11target_archE1200ELNS1_3gpuE4ELNS1_3repE0EEENS1_30default_config_static_selectorELNS0_4arch9wavefront6targetE0EEEvT1_
		.amdhsa_group_segment_fixed_size 0
		.amdhsa_private_segment_fixed_size 0
		.amdhsa_kernarg_size 136
		.amdhsa_user_sgpr_count 15
		.amdhsa_user_sgpr_dispatch_ptr 0
		.amdhsa_user_sgpr_queue_ptr 0
		.amdhsa_user_sgpr_kernarg_segment_ptr 1
		.amdhsa_user_sgpr_dispatch_id 0
		.amdhsa_user_sgpr_private_segment_size 0
		.amdhsa_wavefront_size32 1
		.amdhsa_uses_dynamic_stack 0
		.amdhsa_enable_private_segment 0
		.amdhsa_system_sgpr_workgroup_id_x 1
		.amdhsa_system_sgpr_workgroup_id_y 0
		.amdhsa_system_sgpr_workgroup_id_z 0
		.amdhsa_system_sgpr_workgroup_info 0
		.amdhsa_system_vgpr_workitem_id 0
		.amdhsa_next_free_vgpr 1
		.amdhsa_next_free_sgpr 1
		.amdhsa_reserve_vcc 0
		.amdhsa_float_round_mode_32 0
		.amdhsa_float_round_mode_16_64 0
		.amdhsa_float_denorm_mode_32 3
		.amdhsa_float_denorm_mode_16_64 3
		.amdhsa_dx10_clamp 1
		.amdhsa_ieee_mode 1
		.amdhsa_fp16_overflow 0
		.amdhsa_workgroup_processor_mode 1
		.amdhsa_memory_ordered 1
		.amdhsa_forward_progress 0
		.amdhsa_shared_vgpr_count 0
		.amdhsa_exception_fp_ieee_invalid_op 0
		.amdhsa_exception_fp_denorm_src 0
		.amdhsa_exception_fp_ieee_div_zero 0
		.amdhsa_exception_fp_ieee_overflow 0
		.amdhsa_exception_fp_ieee_underflow 0
		.amdhsa_exception_fp_ieee_inexact 0
		.amdhsa_exception_int_div_zero 0
	.end_amdhsa_kernel
	.section	.text._ZN7rocprim17ROCPRIM_400000_NS6detail17trampoline_kernelINS0_14default_configENS1_25partition_config_selectorILNS1_17partition_subalgoE8ElNS0_10empty_typeEbEEZZNS1_14partition_implILS5_8ELb0ES3_jPlPS6_PKS6_NS0_5tupleIJS9_S6_EEENSD_IJSA_SA_EEENS0_18inequality_wrapperIZN2at6native12_GLOBAL__N_124unique_dim_cuda_templateIN3c108BFloat16EEESt5tupleIJNSH_6TensorESO_SO_EERKSO_lbbbEUlllE0_EEPmJS6_EEE10hipError_tPvRmT3_T4_T5_T6_T7_T9_mT8_P12ihipStream_tbDpT10_ENKUlT_T0_E_clISt17integral_constantIbLb1EES1E_EEDaS19_S1A_EUlS19_E_NS1_11comp_targetILNS1_3genE10ELNS1_11target_archE1200ELNS1_3gpuE4ELNS1_3repE0EEENS1_30default_config_static_selectorELNS0_4arch9wavefront6targetE0EEEvT1_,"axG",@progbits,_ZN7rocprim17ROCPRIM_400000_NS6detail17trampoline_kernelINS0_14default_configENS1_25partition_config_selectorILNS1_17partition_subalgoE8ElNS0_10empty_typeEbEEZZNS1_14partition_implILS5_8ELb0ES3_jPlPS6_PKS6_NS0_5tupleIJS9_S6_EEENSD_IJSA_SA_EEENS0_18inequality_wrapperIZN2at6native12_GLOBAL__N_124unique_dim_cuda_templateIN3c108BFloat16EEESt5tupleIJNSH_6TensorESO_SO_EERKSO_lbbbEUlllE0_EEPmJS6_EEE10hipError_tPvRmT3_T4_T5_T6_T7_T9_mT8_P12ihipStream_tbDpT10_ENKUlT_T0_E_clISt17integral_constantIbLb1EES1E_EEDaS19_S1A_EUlS19_E_NS1_11comp_targetILNS1_3genE10ELNS1_11target_archE1200ELNS1_3gpuE4ELNS1_3repE0EEENS1_30default_config_static_selectorELNS0_4arch9wavefront6targetE0EEEvT1_,comdat
.Lfunc_end1186:
	.size	_ZN7rocprim17ROCPRIM_400000_NS6detail17trampoline_kernelINS0_14default_configENS1_25partition_config_selectorILNS1_17partition_subalgoE8ElNS0_10empty_typeEbEEZZNS1_14partition_implILS5_8ELb0ES3_jPlPS6_PKS6_NS0_5tupleIJS9_S6_EEENSD_IJSA_SA_EEENS0_18inequality_wrapperIZN2at6native12_GLOBAL__N_124unique_dim_cuda_templateIN3c108BFloat16EEESt5tupleIJNSH_6TensorESO_SO_EERKSO_lbbbEUlllE0_EEPmJS6_EEE10hipError_tPvRmT3_T4_T5_T6_T7_T9_mT8_P12ihipStream_tbDpT10_ENKUlT_T0_E_clISt17integral_constantIbLb1EES1E_EEDaS19_S1A_EUlS19_E_NS1_11comp_targetILNS1_3genE10ELNS1_11target_archE1200ELNS1_3gpuE4ELNS1_3repE0EEENS1_30default_config_static_selectorELNS0_4arch9wavefront6targetE0EEEvT1_, .Lfunc_end1186-_ZN7rocprim17ROCPRIM_400000_NS6detail17trampoline_kernelINS0_14default_configENS1_25partition_config_selectorILNS1_17partition_subalgoE8ElNS0_10empty_typeEbEEZZNS1_14partition_implILS5_8ELb0ES3_jPlPS6_PKS6_NS0_5tupleIJS9_S6_EEENSD_IJSA_SA_EEENS0_18inequality_wrapperIZN2at6native12_GLOBAL__N_124unique_dim_cuda_templateIN3c108BFloat16EEESt5tupleIJNSH_6TensorESO_SO_EERKSO_lbbbEUlllE0_EEPmJS6_EEE10hipError_tPvRmT3_T4_T5_T6_T7_T9_mT8_P12ihipStream_tbDpT10_ENKUlT_T0_E_clISt17integral_constantIbLb1EES1E_EEDaS19_S1A_EUlS19_E_NS1_11comp_targetILNS1_3genE10ELNS1_11target_archE1200ELNS1_3gpuE4ELNS1_3repE0EEENS1_30default_config_static_selectorELNS0_4arch9wavefront6targetE0EEEvT1_
                                        ; -- End function
	.section	.AMDGPU.csdata,"",@progbits
; Kernel info:
; codeLenInByte = 0
; NumSgprs: 0
; NumVgprs: 0
; ScratchSize: 0
; MemoryBound: 0
; FloatMode: 240
; IeeeMode: 1
; LDSByteSize: 0 bytes/workgroup (compile time only)
; SGPRBlocks: 0
; VGPRBlocks: 0
; NumSGPRsForWavesPerEU: 1
; NumVGPRsForWavesPerEU: 1
; Occupancy: 15
; WaveLimiterHint : 0
; COMPUTE_PGM_RSRC2:SCRATCH_EN: 0
; COMPUTE_PGM_RSRC2:USER_SGPR: 15
; COMPUTE_PGM_RSRC2:TRAP_HANDLER: 0
; COMPUTE_PGM_RSRC2:TGID_X_EN: 1
; COMPUTE_PGM_RSRC2:TGID_Y_EN: 0
; COMPUTE_PGM_RSRC2:TGID_Z_EN: 0
; COMPUTE_PGM_RSRC2:TIDIG_COMP_CNT: 0
	.section	.text._ZN7rocprim17ROCPRIM_400000_NS6detail17trampoline_kernelINS0_14default_configENS1_25partition_config_selectorILNS1_17partition_subalgoE8ElNS0_10empty_typeEbEEZZNS1_14partition_implILS5_8ELb0ES3_jPlPS6_PKS6_NS0_5tupleIJS9_S6_EEENSD_IJSA_SA_EEENS0_18inequality_wrapperIZN2at6native12_GLOBAL__N_124unique_dim_cuda_templateIN3c108BFloat16EEESt5tupleIJNSH_6TensorESO_SO_EERKSO_lbbbEUlllE0_EEPmJS6_EEE10hipError_tPvRmT3_T4_T5_T6_T7_T9_mT8_P12ihipStream_tbDpT10_ENKUlT_T0_E_clISt17integral_constantIbLb1EES1E_EEDaS19_S1A_EUlS19_E_NS1_11comp_targetILNS1_3genE9ELNS1_11target_archE1100ELNS1_3gpuE3ELNS1_3repE0EEENS1_30default_config_static_selectorELNS0_4arch9wavefront6targetE0EEEvT1_,"axG",@progbits,_ZN7rocprim17ROCPRIM_400000_NS6detail17trampoline_kernelINS0_14default_configENS1_25partition_config_selectorILNS1_17partition_subalgoE8ElNS0_10empty_typeEbEEZZNS1_14partition_implILS5_8ELb0ES3_jPlPS6_PKS6_NS0_5tupleIJS9_S6_EEENSD_IJSA_SA_EEENS0_18inequality_wrapperIZN2at6native12_GLOBAL__N_124unique_dim_cuda_templateIN3c108BFloat16EEESt5tupleIJNSH_6TensorESO_SO_EERKSO_lbbbEUlllE0_EEPmJS6_EEE10hipError_tPvRmT3_T4_T5_T6_T7_T9_mT8_P12ihipStream_tbDpT10_ENKUlT_T0_E_clISt17integral_constantIbLb1EES1E_EEDaS19_S1A_EUlS19_E_NS1_11comp_targetILNS1_3genE9ELNS1_11target_archE1100ELNS1_3gpuE3ELNS1_3repE0EEENS1_30default_config_static_selectorELNS0_4arch9wavefront6targetE0EEEvT1_,comdat
	.globl	_ZN7rocprim17ROCPRIM_400000_NS6detail17trampoline_kernelINS0_14default_configENS1_25partition_config_selectorILNS1_17partition_subalgoE8ElNS0_10empty_typeEbEEZZNS1_14partition_implILS5_8ELb0ES3_jPlPS6_PKS6_NS0_5tupleIJS9_S6_EEENSD_IJSA_SA_EEENS0_18inequality_wrapperIZN2at6native12_GLOBAL__N_124unique_dim_cuda_templateIN3c108BFloat16EEESt5tupleIJNSH_6TensorESO_SO_EERKSO_lbbbEUlllE0_EEPmJS6_EEE10hipError_tPvRmT3_T4_T5_T6_T7_T9_mT8_P12ihipStream_tbDpT10_ENKUlT_T0_E_clISt17integral_constantIbLb1EES1E_EEDaS19_S1A_EUlS19_E_NS1_11comp_targetILNS1_3genE9ELNS1_11target_archE1100ELNS1_3gpuE3ELNS1_3repE0EEENS1_30default_config_static_selectorELNS0_4arch9wavefront6targetE0EEEvT1_ ; -- Begin function _ZN7rocprim17ROCPRIM_400000_NS6detail17trampoline_kernelINS0_14default_configENS1_25partition_config_selectorILNS1_17partition_subalgoE8ElNS0_10empty_typeEbEEZZNS1_14partition_implILS5_8ELb0ES3_jPlPS6_PKS6_NS0_5tupleIJS9_S6_EEENSD_IJSA_SA_EEENS0_18inequality_wrapperIZN2at6native12_GLOBAL__N_124unique_dim_cuda_templateIN3c108BFloat16EEESt5tupleIJNSH_6TensorESO_SO_EERKSO_lbbbEUlllE0_EEPmJS6_EEE10hipError_tPvRmT3_T4_T5_T6_T7_T9_mT8_P12ihipStream_tbDpT10_ENKUlT_T0_E_clISt17integral_constantIbLb1EES1E_EEDaS19_S1A_EUlS19_E_NS1_11comp_targetILNS1_3genE9ELNS1_11target_archE1100ELNS1_3gpuE3ELNS1_3repE0EEENS1_30default_config_static_selectorELNS0_4arch9wavefront6targetE0EEEvT1_
	.p2align	8
	.type	_ZN7rocprim17ROCPRIM_400000_NS6detail17trampoline_kernelINS0_14default_configENS1_25partition_config_selectorILNS1_17partition_subalgoE8ElNS0_10empty_typeEbEEZZNS1_14partition_implILS5_8ELb0ES3_jPlPS6_PKS6_NS0_5tupleIJS9_S6_EEENSD_IJSA_SA_EEENS0_18inequality_wrapperIZN2at6native12_GLOBAL__N_124unique_dim_cuda_templateIN3c108BFloat16EEESt5tupleIJNSH_6TensorESO_SO_EERKSO_lbbbEUlllE0_EEPmJS6_EEE10hipError_tPvRmT3_T4_T5_T6_T7_T9_mT8_P12ihipStream_tbDpT10_ENKUlT_T0_E_clISt17integral_constantIbLb1EES1E_EEDaS19_S1A_EUlS19_E_NS1_11comp_targetILNS1_3genE9ELNS1_11target_archE1100ELNS1_3gpuE3ELNS1_3repE0EEENS1_30default_config_static_selectorELNS0_4arch9wavefront6targetE0EEEvT1_,@function
_ZN7rocprim17ROCPRIM_400000_NS6detail17trampoline_kernelINS0_14default_configENS1_25partition_config_selectorILNS1_17partition_subalgoE8ElNS0_10empty_typeEbEEZZNS1_14partition_implILS5_8ELb0ES3_jPlPS6_PKS6_NS0_5tupleIJS9_S6_EEENSD_IJSA_SA_EEENS0_18inequality_wrapperIZN2at6native12_GLOBAL__N_124unique_dim_cuda_templateIN3c108BFloat16EEESt5tupleIJNSH_6TensorESO_SO_EERKSO_lbbbEUlllE0_EEPmJS6_EEE10hipError_tPvRmT3_T4_T5_T6_T7_T9_mT8_P12ihipStream_tbDpT10_ENKUlT_T0_E_clISt17integral_constantIbLb1EES1E_EEDaS19_S1A_EUlS19_E_NS1_11comp_targetILNS1_3genE9ELNS1_11target_archE1100ELNS1_3gpuE3ELNS1_3repE0EEENS1_30default_config_static_selectorELNS0_4arch9wavefront6targetE0EEEvT1_: ; @_ZN7rocprim17ROCPRIM_400000_NS6detail17trampoline_kernelINS0_14default_configENS1_25partition_config_selectorILNS1_17partition_subalgoE8ElNS0_10empty_typeEbEEZZNS1_14partition_implILS5_8ELb0ES3_jPlPS6_PKS6_NS0_5tupleIJS9_S6_EEENSD_IJSA_SA_EEENS0_18inequality_wrapperIZN2at6native12_GLOBAL__N_124unique_dim_cuda_templateIN3c108BFloat16EEESt5tupleIJNSH_6TensorESO_SO_EERKSO_lbbbEUlllE0_EEPmJS6_EEE10hipError_tPvRmT3_T4_T5_T6_T7_T9_mT8_P12ihipStream_tbDpT10_ENKUlT_T0_E_clISt17integral_constantIbLb1EES1E_EEDaS19_S1A_EUlS19_E_NS1_11comp_targetILNS1_3genE9ELNS1_11target_archE1100ELNS1_3gpuE3ELNS1_3repE0EEENS1_30default_config_static_selectorELNS0_4arch9wavefront6targetE0EEEvT1_
; %bb.0:
	s_clause 0x2
	s_load_b64 s[20:21], s[0:1], 0x28
	s_load_b256 s[8:15], s[0:1], 0x40
	s_load_b128 s[16:19], s[0:1], 0x60
	v_cmp_ne_u32_e64 s3, 0, v0
	v_cmp_eq_u32_e64 s2, 0, v0
	s_delay_alu instid0(VALU_DEP_1)
	s_and_saveexec_b32 s4, s2
	s_cbranch_execz .LBB1187_4
; %bb.1:
	s_mov_b32 s6, exec_lo
	s_mov_b32 s5, exec_lo
	v_mbcnt_lo_u32_b32 v1, s6, 0
                                        ; implicit-def: $vgpr2
	s_delay_alu instid0(VALU_DEP_1)
	v_cmpx_eq_u32_e32 0, v1
	s_cbranch_execz .LBB1187_3
; %bb.2:
	s_load_b64 s[22:23], s[0:1], 0x78
	s_bcnt1_i32_b32 s6, s6
	s_delay_alu instid0(SALU_CYCLE_1)
	v_dual_mov_b32 v2, 0 :: v_dual_mov_b32 v3, s6
	s_waitcnt lgkmcnt(0)
	global_atomic_add_u32 v2, v2, v3, s[22:23] glc
.LBB1187_3:
	s_or_b32 exec_lo, exec_lo, s5
	s_waitcnt vmcnt(0)
	v_readfirstlane_b32 s5, v2
	s_delay_alu instid0(VALU_DEP_1)
	v_dual_mov_b32 v2, 0 :: v_dual_add_nc_u32 v1, s5, v1
	ds_store_b32 v2, v1
.LBB1187_4:
	s_or_b32 exec_lo, exec_lo, s4
	v_dual_mov_b32 v2, 0 :: v_dual_lshlrev_b32 v39, 3, v0
	s_clause 0x1
	s_load_b128 s[4:7], s[0:1], 0x8
	s_load_b32 s0, s[0:1], 0x70
	s_waitcnt lgkmcnt(0)
	s_barrier
	buffer_gl0_inv
	ds_load_b32 v1, v2
	s_waitcnt lgkmcnt(0)
	s_barrier
	buffer_gl0_inv
	global_load_b64 v[3:4], v2, s[10:11]
	v_lshrrev_b32_e32 v19, 2, v0
	v_or_b32_e32 v26, 0x200, v0
	v_or_b32_e32 v25, 0x400, v0
	;; [unrolled: 1-line block ×7, first 2 shown]
	s_lshl_b64 s[10:11], s[6:7], 3
	s_delay_alu instid0(SALU_CYCLE_1)
	s_add_u32 s10, s4, s10
	s_addc_u32 s11, s5, s11
	s_add_i32 s1, s0, -1
	v_readfirstlane_b32 s23, v1
	s_lshl_b32 s4, s1, 12
	v_lshlrev_b32_e32 v1, 12, v1
	s_lshl_b32 s5, s0, 12
	s_add_i32 s0, s6, s4
	s_add_u32 s4, s6, s5
	s_addc_u32 s5, s7, 0
	v_lshlrev_b64 v[1:2], 3, v[1:2]
	v_cmp_ge_u64_e64 s4, s[4:5], s[12:13]
	s_cmp_eq_u32 s23, s1
	s_cselect_b32 s13, -1, 0
	s_delay_alu instid0(VALU_DEP_2) | instskip(NEXT) | instid1(VALU_DEP_2)
	v_add_co_u32 v17, vcc_lo, s10, v1
	s_and_b32 s1, s4, s13
	v_add_co_ci_u32_e32 v18, vcc_lo, s11, v2, vcc_lo
	s_xor_b32 s22, s1, -1
	s_mov_b32 s4, -1
	s_and_b32 vcc_lo, exec_lo, s22
	s_waitcnt vmcnt(0)
	v_readfirstlane_b32 s10, v3
	v_readfirstlane_b32 s11, v4
	s_cbranch_vccz .LBB1187_6
; %bb.5:
	v_add_co_u32 v9, vcc_lo, v17, v39
	v_add_co_ci_u32_e32 v10, vcc_lo, 0, v18, vcc_lo
	v_readfirstlane_b32 s4, v17
	s_delay_alu instid0(VALU_DEP_3) | instskip(NEXT) | instid1(VALU_DEP_3)
	v_add_co_u32 v3, vcc_lo, v9, 0x2000
	v_add_co_ci_u32_e32 v4, vcc_lo, 0, v10, vcc_lo
	v_add_co_u32 v5, vcc_lo, v9, 0x4000
	v_add_co_ci_u32_e32 v6, vcc_lo, 0, v10, vcc_lo
	v_add_co_u32 v7, vcc_lo, v9, 0x6000
	v_readfirstlane_b32 s5, v18
	v_add_co_ci_u32_e32 v8, vcc_lo, 0, v10, vcc_lo
	v_add_co_u32 v9, vcc_lo, 0x7000, v9
	v_add_co_ci_u32_e32 v10, vcc_lo, 0, v10, vcc_lo
	s_clause 0x7
	global_load_b64 v[1:2], v39, s[4:5]
	global_load_b64 v[11:12], v[3:4], off offset:-4096
	global_load_b64 v[3:4], v[3:4], off
	global_load_b64 v[13:14], v[5:6], off offset:-4096
	global_load_b64 v[5:6], v[5:6], off
	global_load_b64 v[15:16], v[7:8], off offset:-4096
	global_load_b64 v[7:8], v[7:8], off
	global_load_b64 v[9:10], v[9:10], off
	v_lshrrev_b32_e32 v28, 2, v26
	v_lshrrev_b32_e32 v29, 2, v25
	;; [unrolled: 1-line block ×4, first 2 shown]
	v_and_b32_e32 v27, 0x78, v19
	v_lshrrev_b32_e32 v32, 2, v22
	v_lshrrev_b32_e32 v33, 2, v21
	;; [unrolled: 1-line block ×3, first 2 shown]
	v_and_b32_e32 v28, 0xf8, v28
	v_and_b32_e32 v29, 0x178, v29
	;; [unrolled: 1-line block ×4, first 2 shown]
	v_add_nc_u32_e32 v27, v27, v39
	v_and_b32_e32 v32, 0x2f8, v32
	v_and_b32_e32 v33, 0x378, v33
	;; [unrolled: 1-line block ×3, first 2 shown]
	v_add_nc_u32_e32 v28, v28, v39
	v_add_nc_u32_e32 v29, v29, v39
	;; [unrolled: 1-line block ×4, first 2 shown]
	s_mov_b32 s4, 0
	v_add_nc_u32_e32 v32, v32, v39
	v_add_nc_u32_e32 v33, v33, v39
	v_add_nc_u32_e32 v34, v34, v39
	s_waitcnt vmcnt(7)
	ds_store_b64 v27, v[1:2]
	s_waitcnt vmcnt(6)
	ds_store_b64 v28, v[11:12] offset:4096
	s_waitcnt vmcnt(5)
	ds_store_b64 v29, v[3:4] offset:8192
	;; [unrolled: 2-line block ×7, first 2 shown]
	s_waitcnt lgkmcnt(0)
	s_barrier
.LBB1187_6:
	s_and_not1_b32 vcc_lo, exec_lo, s4
	s_sub_i32 s12, s12, s0
	s_cbranch_vccnz .LBB1187_17
; %bb.7:
	s_mov_b32 s0, exec_lo
                                        ; implicit-def: $vgpr1_vgpr2_vgpr3_vgpr4_vgpr5_vgpr6_vgpr7_vgpr8_vgpr9_vgpr10_vgpr11_vgpr12_vgpr13_vgpr14_vgpr15_vgpr16
	v_cmpx_gt_u32_e64 s12, v0
	s_cbranch_execnz .LBB1187_27
; %bb.8:
	s_or_b32 exec_lo, exec_lo, s0
	s_delay_alu instid0(SALU_CYCLE_1)
	s_mov_b32 s0, exec_lo
	v_cmpx_gt_u32_e64 s12, v26
	s_cbranch_execnz .LBB1187_28
.LBB1187_9:
	s_or_b32 exec_lo, exec_lo, s0
	s_delay_alu instid0(SALU_CYCLE_1)
	s_mov_b32 s0, exec_lo
	v_cmpx_gt_u32_e64 s12, v25
	s_cbranch_execnz .LBB1187_29
.LBB1187_10:
	s_or_b32 exec_lo, exec_lo, s0
	s_delay_alu instid0(SALU_CYCLE_1)
	s_mov_b32 s0, exec_lo
	v_cmpx_gt_u32_e64 s12, v24
	s_cbranch_execnz .LBB1187_30
.LBB1187_11:
	s_or_b32 exec_lo, exec_lo, s0
	s_delay_alu instid0(SALU_CYCLE_1)
	s_mov_b32 s0, exec_lo
	v_cmpx_gt_u32_e64 s12, v23
	s_cbranch_execnz .LBB1187_31
.LBB1187_12:
	s_or_b32 exec_lo, exec_lo, s0
	s_delay_alu instid0(SALU_CYCLE_1)
	s_mov_b32 s0, exec_lo
	v_cmpx_gt_u32_e64 s12, v22
	s_cbranch_execnz .LBB1187_32
.LBB1187_13:
	s_or_b32 exec_lo, exec_lo, s0
	s_delay_alu instid0(SALU_CYCLE_1)
	s_mov_b32 s0, exec_lo
	v_cmpx_gt_u32_e64 s12, v21
	s_cbranch_execnz .LBB1187_33
.LBB1187_14:
	s_or_b32 exec_lo, exec_lo, s0
	s_delay_alu instid0(SALU_CYCLE_1)
	s_mov_b32 s0, exec_lo
	v_cmpx_gt_u32_e64 s12, v20
	s_cbranch_execz .LBB1187_16
.LBB1187_15:
	v_lshlrev_b32_e32 v15, 3, v20
	v_readfirstlane_b32 s4, v17
	v_readfirstlane_b32 s5, v18
	global_load_b64 v[15:16], v15, s[4:5]
.LBB1187_16:
	s_or_b32 exec_lo, exec_lo, s0
	v_lshrrev_b32_e32 v26, 2, v26
	v_lshrrev_b32_e32 v25, 2, v25
	;; [unrolled: 1-line block ×4, first 2 shown]
	v_and_b32_e32 v27, 0x78, v19
	v_lshrrev_b32_e32 v22, 2, v22
	v_lshrrev_b32_e32 v21, 2, v21
	v_lshrrev_b32_e32 v20, 2, v20
	v_and_b32_e32 v26, 0xf8, v26
	v_and_b32_e32 v25, 0x1f8, v25
	;; [unrolled: 1-line block ×4, first 2 shown]
	v_add_nc_u32_e32 v27, v27, v39
	v_and_b32_e32 v22, 0x3f8, v22
	v_and_b32_e32 v21, 0x3f8, v21
	;; [unrolled: 1-line block ×3, first 2 shown]
	v_add_nc_u32_e32 v26, v26, v39
	v_add_nc_u32_e32 v25, v25, v39
	;; [unrolled: 1-line block ×7, first 2 shown]
	s_waitcnt vmcnt(0)
	ds_store_b64 v27, v[1:2]
	ds_store_b64 v26, v[3:4] offset:4096
	ds_store_b64 v25, v[5:6] offset:8192
	ds_store_b64 v24, v[7:8] offset:12288
	ds_store_b64 v23, v[9:10] offset:16384
	ds_store_b64 v22, v[11:12] offset:20480
	ds_store_b64 v21, v[13:14] offset:24576
	ds_store_b64 v20, v[15:16] offset:28672
	s_waitcnt lgkmcnt(0)
	s_barrier
.LBB1187_17:
	v_add_lshl_u32 v1, v19, v39, 3
	buffer_gl0_inv
	s_cmp_lg_u32 s23, 0
	v_cmp_gt_i64_e64 s26, s[14:15], 0
	s_cselect_b32 s24, -1, 0
	ds_load_2addr_b64 v[13:16], v1 offset1:1
	ds_load_2addr_b64 v[9:12], v1 offset0:2 offset1:3
	ds_load_2addr_b64 v[5:8], v1 offset0:4 offset1:5
	;; [unrolled: 1-line block ×3, first 2 shown]
	s_cmp_lg_u64 s[6:7], 0
	s_mov_b32 s25, 0
	s_cselect_b32 s0, -1, 0
	s_waitcnt lgkmcnt(0)
	s_or_b32 s0, s0, s24
	s_barrier
	s_and_b32 vcc_lo, exec_lo, s0
	buffer_gl0_inv
	s_cbranch_vccz .LBB1187_26
; %bb.18:
	global_load_b64 v[17:18], v[17:18], off offset:-8
	v_cndmask_b32_e64 v27, 0, 1, s26
	s_and_b32 vcc_lo, exec_lo, s22
	ds_store_b64 v39, v[3:4]
	v_cmp_ne_u32_e64 s0, 1, v27
	s_cbranch_vccz .LBB1187_34
; %bb.19:
	v_mul_lo_u32 v21, v2, s14
	v_mul_lo_u32 v22, v1, s15
	v_mad_u64_u32 v[19:20], null, v1, s14, 0
	s_and_b32 vcc_lo, exec_lo, s0
	s_mov_b32 s27, 0
	s_delay_alu instid0(VALU_DEP_1) | instskip(NEXT) | instid1(VALU_DEP_1)
	v_add3_u32 v20, v20, v22, v21
	v_lshlrev_b64 v[19:20], 1, v[19:20]
	s_cbranch_vccnz .LBB1187_37
; %bb.20:
	v_mul_lo_u32 v23, v4, s14
	v_mul_lo_u32 v24, v3, s15
	v_mad_u64_u32 v[21:22], null, v3, s14, 0
	s_mov_b32 s27, -1
	s_mov_b32 s28, exec_lo
	s_delay_alu instid0(VALU_DEP_1) | instskip(NEXT) | instid1(VALU_DEP_1)
	v_add3_u32 v22, v22, v24, v23
	v_lshlrev_b64 v[21:22], 1, v[21:22]
	s_delay_alu instid0(VALU_DEP_1) | instskip(NEXT) | instid1(VALU_DEP_2)
	v_add_co_u32 v21, vcc_lo, s16, v21
	v_add_co_ci_u32_e32 v22, vcc_lo, s17, v22, vcc_lo
	v_add_co_u32 v23, vcc_lo, s16, v19
	v_add_co_ci_u32_e32 v24, vcc_lo, s17, v20, vcc_lo
	s_clause 0x1
	global_load_u16 v25, v[21:22], off
	global_load_u16 v26, v[23:24], off
	s_waitcnt vmcnt(1)
	v_lshlrev_b32_e32 v25, 16, v25
	s_waitcnt vmcnt(0)
	v_lshlrev_b32_e32 v26, 16, v26
	s_delay_alu instid0(VALU_DEP_1)
	v_cmpx_eq_f32_e32 v26, v25
	s_cbranch_execz .LBB1187_36
; %bb.21:
	v_add_co_u32 v21, vcc_lo, v21, 2
	v_add_co_ci_u32_e32 v22, vcc_lo, 0, v22, vcc_lo
	v_add_co_u32 v23, vcc_lo, v23, 2
	v_add_co_ci_u32_e32 v24, vcc_lo, 0, v24, vcc_lo
	s_add_u32 s4, s14, -1
	s_addc_u32 s5, s15, -1
	s_mov_b64 s[6:7], 0
	s_mov_b32 s27, 0
                                        ; implicit-def: $sgpr29
	s_set_inst_prefetch_distance 0x1
	s_branch .LBB1187_24
	.p2align	6
.LBB1187_22:                            ;   in Loop: Header=BB1187_24 Depth=1
	global_load_u16 v25, v[21:22], off
	global_load_u16 v26, v[23:24], off
	v_add_co_u32 v21, vcc_lo, v21, 2
	v_add_co_ci_u32_e32 v22, vcc_lo, 0, v22, vcc_lo
	v_add_co_u32 v23, s0, v23, 2
	s_delay_alu instid0(VALU_DEP_1)
	v_add_co_ci_u32_e64 v24, s0, 0, v24, s0
	s_add_u32 s6, s6, 1
	s_addc_u32 s7, s7, 0
	s_and_not1_b32 s0, s29, exec_lo
	s_waitcnt vmcnt(1)
	v_lshlrev_b32_e32 v25, 16, v25
	s_waitcnt vmcnt(0)
	v_lshlrev_b32_e32 v26, 16, v26
	s_delay_alu instid0(VALU_DEP_1) | instskip(SKIP_1) | instid1(SALU_CYCLE_1)
	v_cmp_neq_f32_e32 vcc_lo, v26, v25
	s_and_b32 s29, vcc_lo, exec_lo
	s_or_b32 s29, s0, s29
.LBB1187_23:                            ;   in Loop: Header=BB1187_24 Depth=1
	v_dual_mov_b32 v26, s7 :: v_dual_mov_b32 v25, s6
	s_and_b32 s0, exec_lo, s29
	s_delay_alu instid0(SALU_CYCLE_1) | instskip(NEXT) | instid1(SALU_CYCLE_1)
	s_or_b32 s27, s0, s27
	s_and_not1_b32 exec_lo, exec_lo, s27
	s_cbranch_execz .LBB1187_35
.LBB1187_24:                            ; =>This Inner Loop Header: Depth=1
	s_or_b32 s29, s29, exec_lo
	s_cmp_eq_u64 s[4:5], s[6:7]
	s_cbranch_scc0 .LBB1187_22
; %bb.25:                               ;   in Loop: Header=BB1187_24 Depth=1
	s_mov_b64 s[6:7], s[14:15]
                                        ; implicit-def: $vgpr21_vgpr22
                                        ; implicit-def: $vgpr23_vgpr24
	s_branch .LBB1187_23
.LBB1187_26:
                                        ; implicit-def: $sgpr0
                                        ; implicit-def: $vgpr20
	s_branch .LBB1187_195
.LBB1187_27:
	v_readfirstlane_b32 s4, v17
	v_readfirstlane_b32 s5, v18
	global_load_b64 v[1:2], v39, s[4:5]
	s_or_b32 exec_lo, exec_lo, s0
	s_delay_alu instid0(SALU_CYCLE_1)
	s_mov_b32 s0, exec_lo
	v_cmpx_gt_u32_e64 s12, v26
	s_cbranch_execz .LBB1187_9
.LBB1187_28:
	v_lshlrev_b32_e32 v3, 3, v26
	v_readfirstlane_b32 s4, v17
	v_readfirstlane_b32 s5, v18
	global_load_b64 v[3:4], v3, s[4:5]
	s_or_b32 exec_lo, exec_lo, s0
	s_delay_alu instid0(SALU_CYCLE_1)
	s_mov_b32 s0, exec_lo
	v_cmpx_gt_u32_e64 s12, v25
	s_cbranch_execz .LBB1187_10
.LBB1187_29:
	v_lshlrev_b32_e32 v5, 3, v25
	v_readfirstlane_b32 s4, v17
	v_readfirstlane_b32 s5, v18
	global_load_b64 v[5:6], v5, s[4:5]
	s_or_b32 exec_lo, exec_lo, s0
	s_delay_alu instid0(SALU_CYCLE_1)
	s_mov_b32 s0, exec_lo
	v_cmpx_gt_u32_e64 s12, v24
	s_cbranch_execz .LBB1187_11
.LBB1187_30:
	v_lshlrev_b32_e32 v7, 3, v24
	v_readfirstlane_b32 s4, v17
	v_readfirstlane_b32 s5, v18
	global_load_b64 v[7:8], v7, s[4:5]
	s_or_b32 exec_lo, exec_lo, s0
	s_delay_alu instid0(SALU_CYCLE_1)
	s_mov_b32 s0, exec_lo
	v_cmpx_gt_u32_e64 s12, v23
	s_cbranch_execz .LBB1187_12
.LBB1187_31:
	v_lshlrev_b32_e32 v9, 3, v23
	v_readfirstlane_b32 s4, v17
	v_readfirstlane_b32 s5, v18
	global_load_b64 v[9:10], v9, s[4:5]
	s_or_b32 exec_lo, exec_lo, s0
	s_delay_alu instid0(SALU_CYCLE_1)
	s_mov_b32 s0, exec_lo
	v_cmpx_gt_u32_e64 s12, v22
	s_cbranch_execz .LBB1187_13
.LBB1187_32:
	v_lshlrev_b32_e32 v11, 3, v22
	v_readfirstlane_b32 s4, v17
	v_readfirstlane_b32 s5, v18
	global_load_b64 v[11:12], v11, s[4:5]
	s_or_b32 exec_lo, exec_lo, s0
	s_delay_alu instid0(SALU_CYCLE_1)
	s_mov_b32 s0, exec_lo
	v_cmpx_gt_u32_e64 s12, v21
	s_cbranch_execz .LBB1187_14
.LBB1187_33:
	v_lshlrev_b32_e32 v13, 3, v21
	v_readfirstlane_b32 s4, v17
	v_readfirstlane_b32 s5, v18
	global_load_b64 v[13:14], v13, s[4:5]
	s_or_b32 exec_lo, exec_lo, s0
	s_delay_alu instid0(SALU_CYCLE_1)
	s_mov_b32 s0, exec_lo
	v_cmpx_gt_u32_e64 s12, v20
	s_cbranch_execnz .LBB1187_15
	s_branch .LBB1187_16
.LBB1187_34:
                                        ; implicit-def: $sgpr0
                                        ; implicit-def: $vgpr20
	s_cbranch_execnz .LBB1187_103
	s_branch .LBB1187_194
.LBB1187_35:
	s_set_inst_prefetch_distance 0x2
	s_or_b32 exec_lo, exec_lo, s27
	v_cmp_gt_i64_e32 vcc_lo, s[14:15], v[25:26]
	s_or_not1_b32 s27, vcc_lo, exec_lo
.LBB1187_36:
	s_or_b32 exec_lo, exec_lo, s28
.LBB1187_37:
	v_mul_lo_u32 v23, v8, s14
	v_mul_lo_u32 v24, v7, s15
	v_mad_u64_u32 v[21:22], null, v7, s14, 0
	s_and_not1_b32 vcc_lo, exec_lo, s26
	s_delay_alu instid0(VALU_DEP_1) | instskip(NEXT) | instid1(VALU_DEP_1)
	v_add3_u32 v22, v22, v24, v23
	v_lshlrev_b64 v[21:22], 1, v[21:22]
	s_cbranch_vccnz .LBB1187_46
; %bb.38:
	v_add_co_u32 v19, vcc_lo, s16, v19
	v_add_co_ci_u32_e32 v20, vcc_lo, s17, v20, vcc_lo
	s_delay_alu instid0(VALU_DEP_3) | instskip(NEXT) | instid1(VALU_DEP_4)
	v_add_co_u32 v23, vcc_lo, s16, v21
	v_add_co_ci_u32_e32 v24, vcc_lo, s17, v22, vcc_lo
	s_mov_b32 s25, -1
	s_clause 0x1
	global_load_u16 v25, v[19:20], off
	global_load_u16 v26, v[23:24], off
	s_mov_b32 s28, exec_lo
	s_waitcnt vmcnt(1)
	v_lshlrev_b32_e32 v25, 16, v25
	s_waitcnt vmcnt(0)
	v_lshlrev_b32_e32 v26, 16, v26
	s_delay_alu instid0(VALU_DEP_1)
	v_cmpx_eq_f32_e32 v26, v25
	s_cbranch_execz .LBB1187_45
; %bb.39:
	v_add_co_u32 v19, vcc_lo, v19, 2
	v_add_co_ci_u32_e32 v20, vcc_lo, 0, v20, vcc_lo
	v_add_co_u32 v23, vcc_lo, v23, 2
	v_add_co_ci_u32_e32 v24, vcc_lo, 0, v24, vcc_lo
	s_add_u32 s4, s14, -1
	s_addc_u32 s5, s15, -1
	s_mov_b64 s[6:7], 0
	s_mov_b32 s25, 0
                                        ; implicit-def: $sgpr29
	s_set_inst_prefetch_distance 0x1
	s_branch .LBB1187_42
	.p2align	6
.LBB1187_40:                            ;   in Loop: Header=BB1187_42 Depth=1
	global_load_u16 v25, v[19:20], off
	global_load_u16 v26, v[23:24], off
	v_add_co_u32 v19, vcc_lo, v19, 2
	v_add_co_ci_u32_e32 v20, vcc_lo, 0, v20, vcc_lo
	v_add_co_u32 v23, s0, v23, 2
	s_delay_alu instid0(VALU_DEP_1)
	v_add_co_ci_u32_e64 v24, s0, 0, v24, s0
	s_add_u32 s6, s6, 1
	s_addc_u32 s7, s7, 0
	s_and_not1_b32 s0, s29, exec_lo
	s_waitcnt vmcnt(1)
	v_lshlrev_b32_e32 v25, 16, v25
	s_waitcnt vmcnt(0)
	v_lshlrev_b32_e32 v26, 16, v26
	s_delay_alu instid0(VALU_DEP_1) | instskip(SKIP_1) | instid1(SALU_CYCLE_1)
	v_cmp_neq_f32_e32 vcc_lo, v26, v25
	s_and_b32 s29, vcc_lo, exec_lo
	s_or_b32 s29, s0, s29
.LBB1187_41:                            ;   in Loop: Header=BB1187_42 Depth=1
	v_dual_mov_b32 v26, s7 :: v_dual_mov_b32 v25, s6
	s_and_b32 s0, exec_lo, s29
	s_delay_alu instid0(SALU_CYCLE_1) | instskip(NEXT) | instid1(SALU_CYCLE_1)
	s_or_b32 s25, s0, s25
	s_and_not1_b32 exec_lo, exec_lo, s25
	s_cbranch_execz .LBB1187_44
.LBB1187_42:                            ; =>This Inner Loop Header: Depth=1
	s_or_b32 s29, s29, exec_lo
	s_cmp_eq_u64 s[4:5], s[6:7]
	s_cbranch_scc0 .LBB1187_40
; %bb.43:                               ;   in Loop: Header=BB1187_42 Depth=1
	s_mov_b64 s[6:7], s[14:15]
                                        ; implicit-def: $vgpr19_vgpr20
                                        ; implicit-def: $vgpr23_vgpr24
	s_branch .LBB1187_41
.LBB1187_44:
	s_set_inst_prefetch_distance 0x2
	s_or_b32 exec_lo, exec_lo, s25
	v_cmp_gt_i64_e32 vcc_lo, s[14:15], v[25:26]
	s_or_not1_b32 s25, vcc_lo, exec_lo
.LBB1187_45:
	s_or_b32 exec_lo, exec_lo, s28
.LBB1187_46:
	v_mul_lo_u32 v23, v6, s14
	v_mul_lo_u32 v24, v5, s15
	v_mad_u64_u32 v[19:20], null, v5, s14, 0
	s_mov_b32 s28, 0
	s_and_not1_b32 vcc_lo, exec_lo, s26
	s_mov_b32 s29, 0
	s_delay_alu instid0(VALU_DEP_1) | instskip(NEXT) | instid1(VALU_DEP_1)
	v_add3_u32 v20, v20, v24, v23
	v_lshlrev_b64 v[23:24], 1, v[19:20]
	s_cbranch_vccnz .LBB1187_55
; %bb.47:
	v_add_co_u32 v19, vcc_lo, s16, v21
	v_add_co_ci_u32_e32 v20, vcc_lo, s17, v22, vcc_lo
	s_delay_alu instid0(VALU_DEP_3) | instskip(NEXT) | instid1(VALU_DEP_4)
	v_add_co_u32 v21, vcc_lo, s16, v23
	v_add_co_ci_u32_e32 v22, vcc_lo, s17, v24, vcc_lo
	s_mov_b32 s29, -1
	s_clause 0x1
	global_load_u16 v25, v[19:20], off
	global_load_u16 v26, v[21:22], off
	s_mov_b32 s30, exec_lo
	s_waitcnt vmcnt(1)
	v_lshlrev_b32_e32 v25, 16, v25
	s_waitcnt vmcnt(0)
	v_lshlrev_b32_e32 v26, 16, v26
	s_delay_alu instid0(VALU_DEP_1)
	v_cmpx_eq_f32_e32 v26, v25
	s_cbranch_execz .LBB1187_54
; %bb.48:
	v_add_co_u32 v19, vcc_lo, v19, 2
	v_add_co_ci_u32_e32 v20, vcc_lo, 0, v20, vcc_lo
	v_add_co_u32 v21, vcc_lo, v21, 2
	v_add_co_ci_u32_e32 v22, vcc_lo, 0, v22, vcc_lo
	s_add_u32 s4, s14, -1
	s_addc_u32 s5, s15, -1
	s_mov_b64 s[6:7], 0
	s_mov_b32 s29, 0
                                        ; implicit-def: $sgpr31
	s_set_inst_prefetch_distance 0x1
	s_branch .LBB1187_51
	.p2align	6
.LBB1187_49:                            ;   in Loop: Header=BB1187_51 Depth=1
	global_load_u16 v25, v[19:20], off
	global_load_u16 v26, v[21:22], off
	v_add_co_u32 v19, vcc_lo, v19, 2
	v_add_co_ci_u32_e32 v20, vcc_lo, 0, v20, vcc_lo
	v_add_co_u32 v21, s0, v21, 2
	s_delay_alu instid0(VALU_DEP_1)
	v_add_co_ci_u32_e64 v22, s0, 0, v22, s0
	s_add_u32 s6, s6, 1
	s_addc_u32 s7, s7, 0
	s_and_not1_b32 s0, s31, exec_lo
	s_waitcnt vmcnt(1)
	v_lshlrev_b32_e32 v25, 16, v25
	s_waitcnt vmcnt(0)
	v_lshlrev_b32_e32 v26, 16, v26
	s_delay_alu instid0(VALU_DEP_1) | instskip(SKIP_1) | instid1(SALU_CYCLE_1)
	v_cmp_neq_f32_e32 vcc_lo, v26, v25
	s_and_b32 s31, vcc_lo, exec_lo
	s_or_b32 s31, s0, s31
.LBB1187_50:                            ;   in Loop: Header=BB1187_51 Depth=1
	v_dual_mov_b32 v26, s7 :: v_dual_mov_b32 v25, s6
	s_and_b32 s0, exec_lo, s31
	s_delay_alu instid0(SALU_CYCLE_1) | instskip(NEXT) | instid1(SALU_CYCLE_1)
	s_or_b32 s29, s0, s29
	s_and_not1_b32 exec_lo, exec_lo, s29
	s_cbranch_execz .LBB1187_53
.LBB1187_51:                            ; =>This Inner Loop Header: Depth=1
	s_or_b32 s31, s31, exec_lo
	s_cmp_eq_u64 s[4:5], s[6:7]
	s_cbranch_scc0 .LBB1187_49
; %bb.52:                               ;   in Loop: Header=BB1187_51 Depth=1
	s_mov_b64 s[6:7], s[14:15]
                                        ; implicit-def: $vgpr19_vgpr20
                                        ; implicit-def: $vgpr21_vgpr22
	s_branch .LBB1187_50
.LBB1187_53:
	s_set_inst_prefetch_distance 0x2
	s_or_b32 exec_lo, exec_lo, s29
	v_cmp_gt_i64_e32 vcc_lo, s[14:15], v[25:26]
	s_or_not1_b32 s29, vcc_lo, exec_lo
.LBB1187_54:
	s_or_b32 exec_lo, exec_lo, s30
.LBB1187_55:
	v_mul_lo_u32 v21, v12, s14
	v_mul_lo_u32 v22, v11, s15
	v_mad_u64_u32 v[19:20], null, v11, s14, 0
	s_and_not1_b32 vcc_lo, exec_lo, s26
	s_delay_alu instid0(VALU_DEP_1) | instskip(NEXT) | instid1(VALU_DEP_1)
	v_add3_u32 v20, v20, v22, v21
	v_lshlrev_b64 v[19:20], 1, v[19:20]
	s_cbranch_vccnz .LBB1187_64
; %bb.56:
	v_add_co_u32 v21, vcc_lo, s16, v23
	v_add_co_ci_u32_e32 v22, vcc_lo, s17, v24, vcc_lo
	s_delay_alu instid0(VALU_DEP_3) | instskip(NEXT) | instid1(VALU_DEP_4)
	v_add_co_u32 v23, vcc_lo, s16, v19
	v_add_co_ci_u32_e32 v24, vcc_lo, s17, v20, vcc_lo
	s_mov_b32 s28, -1
	s_clause 0x1
	global_load_u16 v25, v[21:22], off
	global_load_u16 v26, v[23:24], off
	s_mov_b32 s30, exec_lo
	s_waitcnt vmcnt(1)
	v_lshlrev_b32_e32 v25, 16, v25
	s_waitcnt vmcnt(0)
	v_lshlrev_b32_e32 v26, 16, v26
	s_delay_alu instid0(VALU_DEP_1)
	v_cmpx_eq_f32_e32 v26, v25
	s_cbranch_execz .LBB1187_63
; %bb.57:
	v_add_co_u32 v21, vcc_lo, v21, 2
	v_add_co_ci_u32_e32 v22, vcc_lo, 0, v22, vcc_lo
	v_add_co_u32 v23, vcc_lo, v23, 2
	v_add_co_ci_u32_e32 v24, vcc_lo, 0, v24, vcc_lo
	s_add_u32 s4, s14, -1
	s_addc_u32 s5, s15, -1
	s_mov_b64 s[6:7], 0
	s_mov_b32 s28, 0
                                        ; implicit-def: $sgpr31
	s_set_inst_prefetch_distance 0x1
	s_branch .LBB1187_60
	.p2align	6
.LBB1187_58:                            ;   in Loop: Header=BB1187_60 Depth=1
	global_load_u16 v25, v[21:22], off
	global_load_u16 v26, v[23:24], off
	v_add_co_u32 v21, vcc_lo, v21, 2
	v_add_co_ci_u32_e32 v22, vcc_lo, 0, v22, vcc_lo
	v_add_co_u32 v23, s0, v23, 2
	s_delay_alu instid0(VALU_DEP_1)
	v_add_co_ci_u32_e64 v24, s0, 0, v24, s0
	s_add_u32 s6, s6, 1
	s_addc_u32 s7, s7, 0
	s_and_not1_b32 s0, s31, exec_lo
	s_waitcnt vmcnt(1)
	v_lshlrev_b32_e32 v25, 16, v25
	s_waitcnt vmcnt(0)
	v_lshlrev_b32_e32 v26, 16, v26
	s_delay_alu instid0(VALU_DEP_1) | instskip(SKIP_1) | instid1(SALU_CYCLE_1)
	v_cmp_neq_f32_e32 vcc_lo, v26, v25
	s_and_b32 s31, vcc_lo, exec_lo
	s_or_b32 s31, s0, s31
.LBB1187_59:                            ;   in Loop: Header=BB1187_60 Depth=1
	v_dual_mov_b32 v26, s7 :: v_dual_mov_b32 v25, s6
	s_and_b32 s0, exec_lo, s31
	s_delay_alu instid0(SALU_CYCLE_1) | instskip(NEXT) | instid1(SALU_CYCLE_1)
	s_or_b32 s28, s0, s28
	s_and_not1_b32 exec_lo, exec_lo, s28
	s_cbranch_execz .LBB1187_62
.LBB1187_60:                            ; =>This Inner Loop Header: Depth=1
	s_or_b32 s31, s31, exec_lo
	s_cmp_eq_u64 s[4:5], s[6:7]
	s_cbranch_scc0 .LBB1187_58
; %bb.61:                               ;   in Loop: Header=BB1187_60 Depth=1
	s_mov_b64 s[6:7], s[14:15]
                                        ; implicit-def: $vgpr21_vgpr22
                                        ; implicit-def: $vgpr23_vgpr24
	s_branch .LBB1187_59
.LBB1187_62:
	s_set_inst_prefetch_distance 0x2
	s_or_b32 exec_lo, exec_lo, s28
	v_cmp_gt_i64_e32 vcc_lo, s[14:15], v[25:26]
	s_or_not1_b32 s28, vcc_lo, exec_lo
.LBB1187_63:
	s_or_b32 exec_lo, exec_lo, s30
.LBB1187_64:
	v_mul_lo_u32 v23, v10, s14
	v_mul_lo_u32 v24, v9, s15
	v_mad_u64_u32 v[21:22], null, v9, s14, 0
	s_mov_b32 s30, 0
	s_and_not1_b32 vcc_lo, exec_lo, s26
	s_mov_b32 s31, 0
	s_delay_alu instid0(VALU_DEP_1) | instskip(NEXT) | instid1(VALU_DEP_1)
	v_add3_u32 v22, v22, v24, v23
	v_lshlrev_b64 v[23:24], 1, v[21:22]
	s_cbranch_vccnz .LBB1187_73
; %bb.65:
	v_add_co_u32 v19, vcc_lo, s16, v19
	v_add_co_ci_u32_e32 v20, vcc_lo, s17, v20, vcc_lo
	s_delay_alu instid0(VALU_DEP_3) | instskip(NEXT) | instid1(VALU_DEP_4)
	v_add_co_u32 v21, vcc_lo, s16, v23
	v_add_co_ci_u32_e32 v22, vcc_lo, s17, v24, vcc_lo
	s_mov_b32 s31, -1
	s_clause 0x1
	global_load_u16 v25, v[19:20], off
	global_load_u16 v26, v[21:22], off
	s_mov_b32 s33, exec_lo
	s_waitcnt vmcnt(1)
	v_lshlrev_b32_e32 v25, 16, v25
	s_waitcnt vmcnt(0)
	v_lshlrev_b32_e32 v26, 16, v26
	s_delay_alu instid0(VALU_DEP_1)
	v_cmpx_eq_f32_e32 v26, v25
	s_cbranch_execz .LBB1187_72
; %bb.66:
	v_add_co_u32 v19, vcc_lo, v19, 2
	v_add_co_ci_u32_e32 v20, vcc_lo, 0, v20, vcc_lo
	v_add_co_u32 v21, vcc_lo, v21, 2
	v_add_co_ci_u32_e32 v22, vcc_lo, 0, v22, vcc_lo
	s_add_u32 s4, s14, -1
	s_addc_u32 s5, s15, -1
	s_mov_b64 s[6:7], 0
	s_mov_b32 s31, 0
                                        ; implicit-def: $sgpr34
	s_set_inst_prefetch_distance 0x1
	s_branch .LBB1187_69
	.p2align	6
.LBB1187_67:                            ;   in Loop: Header=BB1187_69 Depth=1
	global_load_u16 v25, v[19:20], off
	global_load_u16 v26, v[21:22], off
	v_add_co_u32 v19, vcc_lo, v19, 2
	v_add_co_ci_u32_e32 v20, vcc_lo, 0, v20, vcc_lo
	v_add_co_u32 v21, s0, v21, 2
	s_delay_alu instid0(VALU_DEP_1)
	v_add_co_ci_u32_e64 v22, s0, 0, v22, s0
	s_add_u32 s6, s6, 1
	s_addc_u32 s7, s7, 0
	s_and_not1_b32 s0, s34, exec_lo
	s_waitcnt vmcnt(1)
	v_lshlrev_b32_e32 v25, 16, v25
	s_waitcnt vmcnt(0)
	v_lshlrev_b32_e32 v26, 16, v26
	s_delay_alu instid0(VALU_DEP_1) | instskip(SKIP_1) | instid1(SALU_CYCLE_1)
	v_cmp_neq_f32_e32 vcc_lo, v26, v25
	s_and_b32 s34, vcc_lo, exec_lo
	s_or_b32 s34, s0, s34
.LBB1187_68:                            ;   in Loop: Header=BB1187_69 Depth=1
	v_dual_mov_b32 v26, s7 :: v_dual_mov_b32 v25, s6
	s_and_b32 s0, exec_lo, s34
	s_delay_alu instid0(SALU_CYCLE_1) | instskip(NEXT) | instid1(SALU_CYCLE_1)
	s_or_b32 s31, s0, s31
	s_and_not1_b32 exec_lo, exec_lo, s31
	s_cbranch_execz .LBB1187_71
.LBB1187_69:                            ; =>This Inner Loop Header: Depth=1
	s_or_b32 s34, s34, exec_lo
	s_cmp_eq_u64 s[4:5], s[6:7]
	s_cbranch_scc0 .LBB1187_67
; %bb.70:                               ;   in Loop: Header=BB1187_69 Depth=1
	s_mov_b64 s[6:7], s[14:15]
                                        ; implicit-def: $vgpr19_vgpr20
                                        ; implicit-def: $vgpr21_vgpr22
	s_branch .LBB1187_68
.LBB1187_71:
	s_set_inst_prefetch_distance 0x2
	s_or_b32 exec_lo, exec_lo, s31
	v_cmp_gt_i64_e32 vcc_lo, s[14:15], v[25:26]
	s_or_not1_b32 s31, vcc_lo, exec_lo
.LBB1187_72:
	s_or_b32 exec_lo, exec_lo, s33
.LBB1187_73:
	v_mul_lo_u32 v21, v16, s14
	v_mul_lo_u32 v22, v15, s15
	v_mad_u64_u32 v[19:20], null, v15, s14, 0
	s_and_not1_b32 vcc_lo, exec_lo, s26
	s_delay_alu instid0(VALU_DEP_1) | instskip(NEXT) | instid1(VALU_DEP_1)
	v_add3_u32 v20, v20, v22, v21
	v_lshlrev_b64 v[21:22], 1, v[19:20]
	s_cbranch_vccnz .LBB1187_82
; %bb.74:
	v_add_co_u32 v19, vcc_lo, s16, v23
	v_add_co_ci_u32_e32 v20, vcc_lo, s17, v24, vcc_lo
	s_delay_alu instid0(VALU_DEP_3) | instskip(NEXT) | instid1(VALU_DEP_4)
	v_add_co_u32 v23, vcc_lo, s16, v21
	v_add_co_ci_u32_e32 v24, vcc_lo, s17, v22, vcc_lo
	s_mov_b32 s30, -1
	s_clause 0x1
	global_load_u16 v25, v[19:20], off
	global_load_u16 v26, v[23:24], off
	s_mov_b32 s33, exec_lo
	s_waitcnt vmcnt(1)
	v_lshlrev_b32_e32 v25, 16, v25
	s_waitcnt vmcnt(0)
	v_lshlrev_b32_e32 v26, 16, v26
	s_delay_alu instid0(VALU_DEP_1)
	v_cmpx_eq_f32_e32 v26, v25
	s_cbranch_execz .LBB1187_81
; %bb.75:
	v_add_co_u32 v19, vcc_lo, v19, 2
	v_add_co_ci_u32_e32 v20, vcc_lo, 0, v20, vcc_lo
	v_add_co_u32 v23, vcc_lo, v23, 2
	v_add_co_ci_u32_e32 v24, vcc_lo, 0, v24, vcc_lo
	s_add_u32 s4, s14, -1
	s_addc_u32 s5, s15, -1
	s_mov_b64 s[6:7], 0
	s_mov_b32 s30, 0
                                        ; implicit-def: $sgpr34
	s_set_inst_prefetch_distance 0x1
	s_branch .LBB1187_78
	.p2align	6
.LBB1187_76:                            ;   in Loop: Header=BB1187_78 Depth=1
	global_load_u16 v25, v[19:20], off
	global_load_u16 v26, v[23:24], off
	v_add_co_u32 v19, vcc_lo, v19, 2
	v_add_co_ci_u32_e32 v20, vcc_lo, 0, v20, vcc_lo
	v_add_co_u32 v23, s0, v23, 2
	s_delay_alu instid0(VALU_DEP_1)
	v_add_co_ci_u32_e64 v24, s0, 0, v24, s0
	s_add_u32 s6, s6, 1
	s_addc_u32 s7, s7, 0
	s_and_not1_b32 s0, s34, exec_lo
	s_waitcnt vmcnt(1)
	v_lshlrev_b32_e32 v25, 16, v25
	s_waitcnt vmcnt(0)
	v_lshlrev_b32_e32 v26, 16, v26
	s_delay_alu instid0(VALU_DEP_1) | instskip(SKIP_1) | instid1(SALU_CYCLE_1)
	v_cmp_neq_f32_e32 vcc_lo, v26, v25
	s_and_b32 s34, vcc_lo, exec_lo
	s_or_b32 s34, s0, s34
.LBB1187_77:                            ;   in Loop: Header=BB1187_78 Depth=1
	v_dual_mov_b32 v26, s7 :: v_dual_mov_b32 v25, s6
	s_and_b32 s0, exec_lo, s34
	s_delay_alu instid0(SALU_CYCLE_1) | instskip(NEXT) | instid1(SALU_CYCLE_1)
	s_or_b32 s30, s0, s30
	s_and_not1_b32 exec_lo, exec_lo, s30
	s_cbranch_execz .LBB1187_80
.LBB1187_78:                            ; =>This Inner Loop Header: Depth=1
	s_or_b32 s34, s34, exec_lo
	s_cmp_eq_u64 s[4:5], s[6:7]
	s_cbranch_scc0 .LBB1187_76
; %bb.79:                               ;   in Loop: Header=BB1187_78 Depth=1
	s_mov_b64 s[6:7], s[14:15]
                                        ; implicit-def: $vgpr19_vgpr20
                                        ; implicit-def: $vgpr23_vgpr24
	s_branch .LBB1187_77
.LBB1187_80:
	s_set_inst_prefetch_distance 0x2
	s_or_b32 exec_lo, exec_lo, s30
	v_cmp_gt_i64_e32 vcc_lo, s[14:15], v[25:26]
	s_or_not1_b32 s30, vcc_lo, exec_lo
.LBB1187_81:
	s_or_b32 exec_lo, exec_lo, s33
.LBB1187_82:
	v_mul_lo_u32 v23, v14, s14
	v_mul_lo_u32 v24, v13, s15
	v_mad_u64_u32 v[19:20], null, v13, s14, 0
	s_and_not1_b32 vcc_lo, exec_lo, s26
	s_mov_b32 s0, 0
	s_delay_alu instid0(VALU_DEP_1) | instskip(NEXT) | instid1(VALU_DEP_1)
	v_add3_u32 v20, v20, v24, v23
	v_lshlrev_b64 v[19:20], 1, v[19:20]
	s_cbranch_vccnz .LBB1187_91
; %bb.83:
	v_add_co_u32 v21, vcc_lo, s16, v21
	v_add_co_ci_u32_e32 v22, vcc_lo, s17, v22, vcc_lo
	s_delay_alu instid0(VALU_DEP_3) | instskip(NEXT) | instid1(VALU_DEP_4)
	v_add_co_u32 v23, vcc_lo, s16, v19
	v_add_co_ci_u32_e32 v24, vcc_lo, s17, v20, vcc_lo
	s_mov_b32 s0, -1
	s_clause 0x1
	global_load_u16 v25, v[21:22], off
	global_load_u16 v26, v[23:24], off
	s_mov_b32 s33, exec_lo
	s_waitcnt vmcnt(1)
	v_lshlrev_b32_e32 v25, 16, v25
	s_waitcnt vmcnt(0)
	v_lshlrev_b32_e32 v26, 16, v26
	s_delay_alu instid0(VALU_DEP_1)
	v_cmpx_eq_f32_e32 v26, v25
	s_cbranch_execz .LBB1187_90
; %bb.84:
	v_add_co_u32 v21, vcc_lo, v21, 2
	v_add_co_ci_u32_e32 v22, vcc_lo, 0, v22, vcc_lo
	v_add_co_u32 v23, vcc_lo, v23, 2
	v_add_co_ci_u32_e32 v24, vcc_lo, 0, v24, vcc_lo
	s_add_u32 s4, s14, -1
	s_addc_u32 s5, s15, -1
	s_mov_b64 s[6:7], 0
	s_mov_b32 s34, 0
                                        ; implicit-def: $sgpr35
	s_set_inst_prefetch_distance 0x1
	s_branch .LBB1187_87
	.p2align	6
.LBB1187_85:                            ;   in Loop: Header=BB1187_87 Depth=1
	global_load_u16 v25, v[21:22], off
	global_load_u16 v26, v[23:24], off
	v_add_co_u32 v21, vcc_lo, v21, 2
	v_add_co_ci_u32_e32 v22, vcc_lo, 0, v22, vcc_lo
	v_add_co_u32 v23, s0, v23, 2
	s_delay_alu instid0(VALU_DEP_1)
	v_add_co_ci_u32_e64 v24, s0, 0, v24, s0
	s_add_u32 s6, s6, 1
	s_addc_u32 s7, s7, 0
	s_and_not1_b32 s0, s35, exec_lo
	s_waitcnt vmcnt(1)
	v_lshlrev_b32_e32 v25, 16, v25
	s_waitcnt vmcnt(0)
	v_lshlrev_b32_e32 v26, 16, v26
	s_delay_alu instid0(VALU_DEP_1) | instskip(SKIP_1) | instid1(SALU_CYCLE_1)
	v_cmp_neq_f32_e32 vcc_lo, v26, v25
	s_and_b32 s35, vcc_lo, exec_lo
	s_or_b32 s35, s0, s35
.LBB1187_86:                            ;   in Loop: Header=BB1187_87 Depth=1
	v_dual_mov_b32 v26, s7 :: v_dual_mov_b32 v25, s6
	s_and_b32 s0, exec_lo, s35
	s_delay_alu instid0(SALU_CYCLE_1) | instskip(NEXT) | instid1(SALU_CYCLE_1)
	s_or_b32 s34, s0, s34
	s_and_not1_b32 exec_lo, exec_lo, s34
	s_cbranch_execz .LBB1187_89
.LBB1187_87:                            ; =>This Inner Loop Header: Depth=1
	s_or_b32 s35, s35, exec_lo
	s_cmp_eq_u64 s[4:5], s[6:7]
	s_cbranch_scc0 .LBB1187_85
; %bb.88:                               ;   in Loop: Header=BB1187_87 Depth=1
	s_mov_b64 s[6:7], s[14:15]
                                        ; implicit-def: $vgpr21_vgpr22
                                        ; implicit-def: $vgpr23_vgpr24
	s_branch .LBB1187_86
.LBB1187_89:
	s_set_inst_prefetch_distance 0x2
	s_or_b32 exec_lo, exec_lo, s34
	v_cmp_gt_i64_e32 vcc_lo, s[14:15], v[25:26]
	s_or_not1_b32 s0, vcc_lo, exec_lo
.LBB1187_90:
	s_or_b32 exec_lo, exec_lo, s33
.LBB1187_91:
	s_waitcnt vmcnt(0)
	v_dual_mov_b32 v22, v18 :: v_dual_mov_b32 v21, v17
	s_waitcnt lgkmcnt(0)
	s_barrier
	buffer_gl0_inv
	s_and_saveexec_b32 s4, s3
	s_cbranch_execz .LBB1187_93
; %bb.92:
	v_add_nc_u32_e32 v21, -8, v39
	ds_load_b64 v[21:22], v21
.LBB1187_93:
	s_or_b32 exec_lo, exec_lo, s4
	v_cndmask_b32_e64 v24, 0, 1, s31
	v_cndmask_b32_e64 v26, 0, 1, s29
	;; [unrolled: 1-line block ×7, first 2 shown]
	v_lshlrev_b16 v24, 8, v24
	v_lshlrev_b16 v26, 8, v26
	v_lshlrev_b16 v28, 8, v28
	v_lshlrev_b16 v29, 8, v29
	s_mov_b32 s25, 0
	v_or_b32_e32 v23, v23, v24
	v_or_b32_e32 v24, v25, v26
	v_or_b32_e32 v30, v30, v28
	v_and_b32_e32 v25, 0xffff, v29
	s_and_not1_b32 vcc_lo, exec_lo, s26
	v_lshlrev_b32_e32 v26, 16, v23
	v_and_b32_e32 v28, 0xffff, v24
	v_lshlrev_b32_e32 v29, 16, v30
	s_mov_b32 s0, 0
	s_cbranch_vccnz .LBB1187_102
; %bb.94:
	s_waitcnt lgkmcnt(0)
	v_mul_lo_u32 v24, v22, s14
	v_mul_lo_u32 v30, v21, s15
	v_mad_u64_u32 v[22:23], null, v21, s14, 0
	s_mov_b32 s0, -1
	s_mov_b32 s27, exec_lo
	s_delay_alu instid0(VALU_DEP_1) | instskip(NEXT) | instid1(VALU_DEP_1)
	v_add3_u32 v23, v23, v30, v24
	v_lshlrev_b64 v[21:22], 1, v[22:23]
	s_delay_alu instid0(VALU_DEP_1) | instskip(NEXT) | instid1(VALU_DEP_2)
	v_add_co_u32 v21, vcc_lo, s16, v21
	v_add_co_ci_u32_e32 v22, vcc_lo, s17, v22, vcc_lo
	v_add_co_u32 v19, vcc_lo, s16, v19
	v_add_co_ci_u32_e32 v20, vcc_lo, s17, v20, vcc_lo
	s_clause 0x1
	global_load_u16 v23, v[21:22], off
	global_load_u16 v24, v[19:20], off
	s_waitcnt vmcnt(1)
	v_lshlrev_b32_e32 v23, 16, v23
	s_waitcnt vmcnt(0)
	v_lshlrev_b32_e32 v24, 16, v24
	s_delay_alu instid0(VALU_DEP_1)
	v_cmpx_eq_f32_e32 v23, v24
	s_cbranch_execz .LBB1187_101
; %bb.95:
	v_add_co_u32 v19, vcc_lo, v19, 2
	v_add_co_ci_u32_e32 v20, vcc_lo, 0, v20, vcc_lo
	v_add_co_u32 v21, vcc_lo, v21, 2
	v_add_co_ci_u32_e32 v22, vcc_lo, 0, v22, vcc_lo
	s_add_u32 s4, s14, -1
	s_addc_u32 s5, s15, -1
	s_mov_b64 s[6:7], 0
	s_mov_b32 s28, 0
                                        ; implicit-def: $sgpr29
	s_set_inst_prefetch_distance 0x1
	s_branch .LBB1187_98
	.p2align	6
.LBB1187_96:                            ;   in Loop: Header=BB1187_98 Depth=1
	global_load_u16 v23, v[19:20], off
	global_load_u16 v24, v[21:22], off
	v_add_co_u32 v19, vcc_lo, v19, 2
	v_add_co_ci_u32_e32 v20, vcc_lo, 0, v20, vcc_lo
	v_add_co_u32 v21, s0, v21, 2
	s_delay_alu instid0(VALU_DEP_1)
	v_add_co_ci_u32_e64 v22, s0, 0, v22, s0
	s_add_u32 s6, s6, 1
	s_addc_u32 s7, s7, 0
	s_and_not1_b32 s0, s29, exec_lo
	s_waitcnt vmcnt(1)
	v_lshlrev_b32_e32 v23, 16, v23
	s_waitcnt vmcnt(0)
	v_lshlrev_b32_e32 v24, 16, v24
	s_delay_alu instid0(VALU_DEP_1) | instskip(SKIP_1) | instid1(SALU_CYCLE_1)
	v_cmp_neq_f32_e32 vcc_lo, v24, v23
	s_and_b32 s29, vcc_lo, exec_lo
	s_or_b32 s29, s0, s29
.LBB1187_97:                            ;   in Loop: Header=BB1187_98 Depth=1
	v_dual_mov_b32 v24, s7 :: v_dual_mov_b32 v23, s6
	s_and_b32 s0, exec_lo, s29
	s_delay_alu instid0(SALU_CYCLE_1) | instskip(NEXT) | instid1(SALU_CYCLE_1)
	s_or_b32 s28, s0, s28
	s_and_not1_b32 exec_lo, exec_lo, s28
	s_cbranch_execz .LBB1187_100
.LBB1187_98:                            ; =>This Inner Loop Header: Depth=1
	s_or_b32 s29, s29, exec_lo
	s_cmp_eq_u64 s[4:5], s[6:7]
	s_cbranch_scc0 .LBB1187_96
; %bb.99:                               ;   in Loop: Header=BB1187_98 Depth=1
	s_mov_b64 s[6:7], s[14:15]
                                        ; implicit-def: $vgpr19_vgpr20
                                        ; implicit-def: $vgpr21_vgpr22
	s_branch .LBB1187_97
.LBB1187_100:
	s_set_inst_prefetch_distance 0x2
	s_or_b32 exec_lo, exec_lo, s28
	v_cmp_gt_i64_e32 vcc_lo, s[14:15], v[23:24]
	s_or_not1_b32 s0, vcc_lo, exec_lo
.LBB1187_101:
	s_or_b32 exec_lo, exec_lo, s27
.LBB1187_102:
	v_or_b32_e32 v19, v25, v26
	s_delay_alu instid0(VALU_DEP_2)
	v_or_b32_e32 v20, v28, v29
	s_and_b32 vcc_lo, exec_lo, s25
	s_cbranch_vccz .LBB1187_194
.LBB1187_103:
	v_or_b32_e32 v19, 7, v39
	s_mov_b32 s25, 0
	s_mov_b32 s27, 0
	s_mov_b32 s28, exec_lo
	s_delay_alu instid0(VALU_DEP_1)
	v_cmpx_gt_u32_e64 s12, v19
	s_cbranch_execz .LBB1187_114
; %bb.104:
	s_and_not1_b32 vcc_lo, exec_lo, s26
	s_mov_b32 s0, 0
	s_cbranch_vccnz .LBB1187_113
; %bb.105:
	v_mul_lo_u32 v23, v4, s14
	v_mul_lo_u32 v24, v3, s15
	v_mad_u64_u32 v[19:20], null, v3, s14, 0
	v_mul_lo_u32 v25, v2, s14
	v_mul_lo_u32 v26, v1, s15
	s_waitcnt lgkmcnt(0)
	v_mad_u64_u32 v[21:22], null, v1, s14, 0
	s_mov_b32 s0, -1
	s_mov_b32 s26, exec_lo
	s_delay_alu instid0(VALU_DEP_4) | instskip(NEXT) | instid1(VALU_DEP_2)
	v_add3_u32 v20, v20, v24, v23
	v_add3_u32 v22, v22, v26, v25
	s_delay_alu instid0(VALU_DEP_2) | instskip(NEXT) | instid1(VALU_DEP_2)
	v_lshlrev_b64 v[19:20], 1, v[19:20]
	v_lshlrev_b64 v[21:22], 1, v[21:22]
	s_delay_alu instid0(VALU_DEP_2) | instskip(NEXT) | instid1(VALU_DEP_3)
	v_add_co_u32 v19, vcc_lo, s16, v19
	v_add_co_ci_u32_e32 v20, vcc_lo, s17, v20, vcc_lo
	s_delay_alu instid0(VALU_DEP_3) | instskip(NEXT) | instid1(VALU_DEP_4)
	v_add_co_u32 v21, vcc_lo, s16, v21
	v_add_co_ci_u32_e32 v22, vcc_lo, s17, v22, vcc_lo
	s_clause 0x1
	global_load_u16 v23, v[19:20], off
	global_load_u16 v24, v[21:22], off
	s_waitcnt vmcnt(1)
	v_lshlrev_b32_e32 v23, 16, v23
	s_waitcnt vmcnt(0)
	v_lshlrev_b32_e32 v24, 16, v24
	s_delay_alu instid0(VALU_DEP_1)
	v_cmpx_eq_f32_e32 v24, v23
	s_cbranch_execz .LBB1187_112
; %bb.106:
	v_add_co_u32 v19, vcc_lo, v19, 2
	v_add_co_ci_u32_e32 v20, vcc_lo, 0, v20, vcc_lo
	v_add_co_u32 v21, vcc_lo, v21, 2
	v_add_co_ci_u32_e32 v22, vcc_lo, 0, v22, vcc_lo
	s_add_u32 s4, s14, -1
	s_addc_u32 s5, s15, -1
	s_mov_b64 s[6:7], 0
                                        ; implicit-def: $sgpr29
	s_set_inst_prefetch_distance 0x1
	s_branch .LBB1187_109
	.p2align	6
.LBB1187_107:                           ;   in Loop: Header=BB1187_109 Depth=1
	global_load_u16 v23, v[19:20], off
	global_load_u16 v24, v[21:22], off
	v_add_co_u32 v19, vcc_lo, v19, 2
	v_add_co_ci_u32_e32 v20, vcc_lo, 0, v20, vcc_lo
	v_add_co_u32 v21, s0, v21, 2
	s_delay_alu instid0(VALU_DEP_1)
	v_add_co_ci_u32_e64 v22, s0, 0, v22, s0
	s_add_u32 s6, s6, 1
	s_addc_u32 s7, s7, 0
	s_and_not1_b32 s0, s29, exec_lo
	s_waitcnt vmcnt(1)
	v_lshlrev_b32_e32 v23, 16, v23
	s_waitcnt vmcnt(0)
	v_lshlrev_b32_e32 v24, 16, v24
	s_delay_alu instid0(VALU_DEP_1) | instskip(SKIP_1) | instid1(SALU_CYCLE_1)
	v_cmp_neq_f32_e32 vcc_lo, v24, v23
	s_and_b32 s29, vcc_lo, exec_lo
	s_or_b32 s29, s0, s29
.LBB1187_108:                           ;   in Loop: Header=BB1187_109 Depth=1
	v_dual_mov_b32 v24, s7 :: v_dual_mov_b32 v23, s6
	s_and_b32 s0, exec_lo, s29
	s_delay_alu instid0(SALU_CYCLE_1) | instskip(NEXT) | instid1(SALU_CYCLE_1)
	s_or_b32 s27, s0, s27
	s_and_not1_b32 exec_lo, exec_lo, s27
	s_cbranch_execz .LBB1187_111
.LBB1187_109:                           ; =>This Inner Loop Header: Depth=1
	s_or_b32 s29, s29, exec_lo
	s_cmp_eq_u64 s[4:5], s[6:7]
	s_cbranch_scc0 .LBB1187_107
; %bb.110:                              ;   in Loop: Header=BB1187_109 Depth=1
	s_mov_b64 s[6:7], s[14:15]
                                        ; implicit-def: $vgpr19_vgpr20
                                        ; implicit-def: $vgpr21_vgpr22
	s_branch .LBB1187_108
.LBB1187_111:
	s_set_inst_prefetch_distance 0x2
	s_or_b32 exec_lo, exec_lo, s27
	v_cmp_gt_i64_e32 vcc_lo, s[14:15], v[23:24]
	s_or_not1_b32 s0, vcc_lo, exec_lo
.LBB1187_112:
	s_or_b32 exec_lo, exec_lo, s26
.LBB1187_113:
	s_delay_alu instid0(SALU_CYCLE_1)
	s_and_b32 s27, s0, exec_lo
.LBB1187_114:
	s_or_b32 exec_lo, exec_lo, s28
	v_or_b32_e32 v19, 6, v39
	s_mov_b32 s26, exec_lo
	s_delay_alu instid0(VALU_DEP_1)
	v_cmpx_gt_u32_e64 s12, v19
	s_cbranch_execz .LBB1187_125
; %bb.115:
	v_cmp_ne_u32_e32 vcc_lo, 1, v27
	s_mov_b32 s0, 0
	s_cbranch_vccnz .LBB1187_124
; %bb.116:
	v_mul_lo_u32 v23, v2, s14
	v_mul_lo_u32 v24, v1, s15
	v_mad_u64_u32 v[19:20], null, v1, s14, 0
	v_mul_lo_u32 v25, v8, s14
	v_mul_lo_u32 v26, v7, s15
	s_waitcnt lgkmcnt(0)
	v_mad_u64_u32 v[21:22], null, v7, s14, 0
	s_mov_b32 s0, -1
	s_mov_b32 s25, exec_lo
	s_delay_alu instid0(VALU_DEP_4) | instskip(NEXT) | instid1(VALU_DEP_2)
	v_add3_u32 v20, v20, v24, v23
	v_add3_u32 v22, v22, v26, v25
	s_delay_alu instid0(VALU_DEP_2) | instskip(NEXT) | instid1(VALU_DEP_2)
	v_lshlrev_b64 v[19:20], 1, v[19:20]
	v_lshlrev_b64 v[21:22], 1, v[21:22]
	s_delay_alu instid0(VALU_DEP_2) | instskip(NEXT) | instid1(VALU_DEP_3)
	v_add_co_u32 v19, vcc_lo, s16, v19
	v_add_co_ci_u32_e32 v20, vcc_lo, s17, v20, vcc_lo
	s_delay_alu instid0(VALU_DEP_3) | instskip(NEXT) | instid1(VALU_DEP_4)
	v_add_co_u32 v21, vcc_lo, s16, v21
	v_add_co_ci_u32_e32 v22, vcc_lo, s17, v22, vcc_lo
	s_clause 0x1
	global_load_u16 v23, v[19:20], off
	global_load_u16 v24, v[21:22], off
	s_waitcnt vmcnt(1)
	v_lshlrev_b32_e32 v23, 16, v23
	s_waitcnt vmcnt(0)
	v_lshlrev_b32_e32 v24, 16, v24
	s_delay_alu instid0(VALU_DEP_1)
	v_cmpx_eq_f32_e32 v24, v23
	s_cbranch_execz .LBB1187_123
; %bb.117:
	v_add_co_u32 v19, vcc_lo, v19, 2
	v_add_co_ci_u32_e32 v20, vcc_lo, 0, v20, vcc_lo
	v_add_co_u32 v21, vcc_lo, v21, 2
	v_add_co_ci_u32_e32 v22, vcc_lo, 0, v22, vcc_lo
	s_add_u32 s4, s14, -1
	s_addc_u32 s5, s15, -1
	s_mov_b64 s[6:7], 0
	s_mov_b32 s28, 0
                                        ; implicit-def: $sgpr29
	s_set_inst_prefetch_distance 0x1
	s_branch .LBB1187_120
	.p2align	6
.LBB1187_118:                           ;   in Loop: Header=BB1187_120 Depth=1
	global_load_u16 v23, v[19:20], off
	global_load_u16 v24, v[21:22], off
	v_add_co_u32 v19, vcc_lo, v19, 2
	v_add_co_ci_u32_e32 v20, vcc_lo, 0, v20, vcc_lo
	v_add_co_u32 v21, s0, v21, 2
	s_delay_alu instid0(VALU_DEP_1)
	v_add_co_ci_u32_e64 v22, s0, 0, v22, s0
	s_add_u32 s6, s6, 1
	s_addc_u32 s7, s7, 0
	s_and_not1_b32 s0, s29, exec_lo
	s_waitcnt vmcnt(1)
	v_lshlrev_b32_e32 v23, 16, v23
	s_waitcnt vmcnt(0)
	v_lshlrev_b32_e32 v24, 16, v24
	s_delay_alu instid0(VALU_DEP_1) | instskip(SKIP_1) | instid1(SALU_CYCLE_1)
	v_cmp_neq_f32_e32 vcc_lo, v24, v23
	s_and_b32 s29, vcc_lo, exec_lo
	s_or_b32 s29, s0, s29
.LBB1187_119:                           ;   in Loop: Header=BB1187_120 Depth=1
	v_dual_mov_b32 v24, s7 :: v_dual_mov_b32 v23, s6
	s_and_b32 s0, exec_lo, s29
	s_delay_alu instid0(SALU_CYCLE_1) | instskip(NEXT) | instid1(SALU_CYCLE_1)
	s_or_b32 s28, s0, s28
	s_and_not1_b32 exec_lo, exec_lo, s28
	s_cbranch_execz .LBB1187_122
.LBB1187_120:                           ; =>This Inner Loop Header: Depth=1
	s_or_b32 s29, s29, exec_lo
	s_cmp_eq_u64 s[4:5], s[6:7]
	s_cbranch_scc0 .LBB1187_118
; %bb.121:                              ;   in Loop: Header=BB1187_120 Depth=1
	s_mov_b64 s[6:7], s[14:15]
                                        ; implicit-def: $vgpr19_vgpr20
                                        ; implicit-def: $vgpr21_vgpr22
	s_branch .LBB1187_119
.LBB1187_122:
	s_set_inst_prefetch_distance 0x2
	s_or_b32 exec_lo, exec_lo, s28
	v_cmp_gt_i64_e32 vcc_lo, s[14:15], v[23:24]
	s_or_not1_b32 s0, vcc_lo, exec_lo
.LBB1187_123:
	s_or_b32 exec_lo, exec_lo, s25
.LBB1187_124:
	s_delay_alu instid0(SALU_CYCLE_1)
	s_and_b32 s25, s0, exec_lo
.LBB1187_125:
	s_or_b32 exec_lo, exec_lo, s26
	v_or_b32_e32 v19, 5, v39
	s_mov_b32 s28, 0
	s_mov_b32 s26, 0
	s_mov_b32 s29, exec_lo
	s_delay_alu instid0(VALU_DEP_1)
	v_cmpx_gt_u32_e64 s12, v19
	s_cbranch_execz .LBB1187_136
; %bb.126:
	v_cmp_ne_u32_e32 vcc_lo, 1, v27
	s_mov_b32 s0, 0
	s_cbranch_vccnz .LBB1187_135
; %bb.127:
	v_mul_lo_u32 v23, v8, s14
	v_mul_lo_u32 v24, v7, s15
	v_mad_u64_u32 v[19:20], null, v7, s14, 0
	v_mul_lo_u32 v25, v6, s14
	v_mul_lo_u32 v26, v5, s15
	s_waitcnt lgkmcnt(0)
	v_mad_u64_u32 v[21:22], null, v5, s14, 0
	s_mov_b32 s0, -1
	s_mov_b32 s26, exec_lo
	s_delay_alu instid0(VALU_DEP_4) | instskip(NEXT) | instid1(VALU_DEP_2)
	v_add3_u32 v20, v20, v24, v23
	v_add3_u32 v22, v22, v26, v25
	s_delay_alu instid0(VALU_DEP_2) | instskip(NEXT) | instid1(VALU_DEP_2)
	v_lshlrev_b64 v[19:20], 1, v[19:20]
	v_lshlrev_b64 v[21:22], 1, v[21:22]
	s_delay_alu instid0(VALU_DEP_2) | instskip(NEXT) | instid1(VALU_DEP_3)
	v_add_co_u32 v19, vcc_lo, s16, v19
	v_add_co_ci_u32_e32 v20, vcc_lo, s17, v20, vcc_lo
	s_delay_alu instid0(VALU_DEP_3) | instskip(NEXT) | instid1(VALU_DEP_4)
	v_add_co_u32 v21, vcc_lo, s16, v21
	v_add_co_ci_u32_e32 v22, vcc_lo, s17, v22, vcc_lo
	s_clause 0x1
	global_load_u16 v23, v[19:20], off
	global_load_u16 v24, v[21:22], off
	s_waitcnt vmcnt(1)
	v_lshlrev_b32_e32 v23, 16, v23
	s_waitcnt vmcnt(0)
	v_lshlrev_b32_e32 v24, 16, v24
	s_delay_alu instid0(VALU_DEP_1)
	v_cmpx_eq_f32_e32 v24, v23
	s_cbranch_execz .LBB1187_134
; %bb.128:
	v_add_co_u32 v19, vcc_lo, v19, 2
	v_add_co_ci_u32_e32 v20, vcc_lo, 0, v20, vcc_lo
	v_add_co_u32 v21, vcc_lo, v21, 2
	v_add_co_ci_u32_e32 v22, vcc_lo, 0, v22, vcc_lo
	s_add_u32 s4, s14, -1
	s_addc_u32 s5, s15, -1
	s_mov_b64 s[6:7], 0
	s_mov_b32 s30, 0
                                        ; implicit-def: $sgpr31
	s_set_inst_prefetch_distance 0x1
	s_branch .LBB1187_131
	.p2align	6
.LBB1187_129:                           ;   in Loop: Header=BB1187_131 Depth=1
	global_load_u16 v23, v[19:20], off
	global_load_u16 v24, v[21:22], off
	v_add_co_u32 v19, vcc_lo, v19, 2
	v_add_co_ci_u32_e32 v20, vcc_lo, 0, v20, vcc_lo
	v_add_co_u32 v21, s0, v21, 2
	s_delay_alu instid0(VALU_DEP_1)
	v_add_co_ci_u32_e64 v22, s0, 0, v22, s0
	s_add_u32 s6, s6, 1
	s_addc_u32 s7, s7, 0
	s_and_not1_b32 s0, s31, exec_lo
	s_waitcnt vmcnt(1)
	v_lshlrev_b32_e32 v23, 16, v23
	s_waitcnt vmcnt(0)
	v_lshlrev_b32_e32 v24, 16, v24
	s_delay_alu instid0(VALU_DEP_1) | instskip(SKIP_1) | instid1(SALU_CYCLE_1)
	v_cmp_neq_f32_e32 vcc_lo, v24, v23
	s_and_b32 s31, vcc_lo, exec_lo
	s_or_b32 s31, s0, s31
.LBB1187_130:                           ;   in Loop: Header=BB1187_131 Depth=1
	v_dual_mov_b32 v24, s7 :: v_dual_mov_b32 v23, s6
	s_and_b32 s0, exec_lo, s31
	s_delay_alu instid0(SALU_CYCLE_1) | instskip(NEXT) | instid1(SALU_CYCLE_1)
	s_or_b32 s30, s0, s30
	s_and_not1_b32 exec_lo, exec_lo, s30
	s_cbranch_execz .LBB1187_133
.LBB1187_131:                           ; =>This Inner Loop Header: Depth=1
	s_or_b32 s31, s31, exec_lo
	s_cmp_eq_u64 s[4:5], s[6:7]
	s_cbranch_scc0 .LBB1187_129
; %bb.132:                              ;   in Loop: Header=BB1187_131 Depth=1
	s_mov_b64 s[6:7], s[14:15]
                                        ; implicit-def: $vgpr19_vgpr20
                                        ; implicit-def: $vgpr21_vgpr22
	s_branch .LBB1187_130
.LBB1187_133:
	s_set_inst_prefetch_distance 0x2
	s_or_b32 exec_lo, exec_lo, s30
	v_cmp_gt_i64_e32 vcc_lo, s[14:15], v[23:24]
	s_or_not1_b32 s0, vcc_lo, exec_lo
.LBB1187_134:
	s_or_b32 exec_lo, exec_lo, s26
.LBB1187_135:
	s_delay_alu instid0(SALU_CYCLE_1)
	s_and_b32 s26, s0, exec_lo
.LBB1187_136:
	s_or_b32 exec_lo, exec_lo, s29
	v_or_b32_e32 v19, 4, v39
	s_mov_b32 s29, exec_lo
	s_delay_alu instid0(VALU_DEP_1)
	v_cmpx_gt_u32_e64 s12, v19
	s_cbranch_execz .LBB1187_147
; %bb.137:
	v_cmp_ne_u32_e32 vcc_lo, 1, v27
	s_mov_b32 s0, 0
	s_cbranch_vccnz .LBB1187_146
; %bb.138:
	v_mul_lo_u32 v23, v6, s14
	v_mul_lo_u32 v24, v5, s15
	v_mad_u64_u32 v[19:20], null, v5, s14, 0
	v_mul_lo_u32 v25, v12, s14
	v_mul_lo_u32 v26, v11, s15
	s_waitcnt lgkmcnt(0)
	v_mad_u64_u32 v[21:22], null, v11, s14, 0
	s_mov_b32 s0, -1
	s_mov_b32 s28, exec_lo
	s_delay_alu instid0(VALU_DEP_4) | instskip(NEXT) | instid1(VALU_DEP_2)
	v_add3_u32 v20, v20, v24, v23
	v_add3_u32 v22, v22, v26, v25
	s_delay_alu instid0(VALU_DEP_2) | instskip(NEXT) | instid1(VALU_DEP_2)
	v_lshlrev_b64 v[19:20], 1, v[19:20]
	v_lshlrev_b64 v[21:22], 1, v[21:22]
	s_delay_alu instid0(VALU_DEP_2) | instskip(NEXT) | instid1(VALU_DEP_3)
	v_add_co_u32 v19, vcc_lo, s16, v19
	v_add_co_ci_u32_e32 v20, vcc_lo, s17, v20, vcc_lo
	s_delay_alu instid0(VALU_DEP_3) | instskip(NEXT) | instid1(VALU_DEP_4)
	v_add_co_u32 v21, vcc_lo, s16, v21
	v_add_co_ci_u32_e32 v22, vcc_lo, s17, v22, vcc_lo
	s_clause 0x1
	global_load_u16 v23, v[19:20], off
	global_load_u16 v24, v[21:22], off
	s_waitcnt vmcnt(1)
	v_lshlrev_b32_e32 v23, 16, v23
	s_waitcnt vmcnt(0)
	v_lshlrev_b32_e32 v24, 16, v24
	s_delay_alu instid0(VALU_DEP_1)
	v_cmpx_eq_f32_e32 v24, v23
	s_cbranch_execz .LBB1187_145
; %bb.139:
	v_add_co_u32 v19, vcc_lo, v19, 2
	v_add_co_ci_u32_e32 v20, vcc_lo, 0, v20, vcc_lo
	v_add_co_u32 v21, vcc_lo, v21, 2
	v_add_co_ci_u32_e32 v22, vcc_lo, 0, v22, vcc_lo
	s_add_u32 s4, s14, -1
	s_addc_u32 s5, s15, -1
	s_mov_b64 s[6:7], 0
	s_mov_b32 s30, 0
                                        ; implicit-def: $sgpr31
	s_set_inst_prefetch_distance 0x1
	s_branch .LBB1187_142
	.p2align	6
.LBB1187_140:                           ;   in Loop: Header=BB1187_142 Depth=1
	global_load_u16 v23, v[19:20], off
	global_load_u16 v24, v[21:22], off
	v_add_co_u32 v19, vcc_lo, v19, 2
	v_add_co_ci_u32_e32 v20, vcc_lo, 0, v20, vcc_lo
	v_add_co_u32 v21, s0, v21, 2
	s_delay_alu instid0(VALU_DEP_1)
	v_add_co_ci_u32_e64 v22, s0, 0, v22, s0
	s_add_u32 s6, s6, 1
	s_addc_u32 s7, s7, 0
	s_and_not1_b32 s0, s31, exec_lo
	s_waitcnt vmcnt(1)
	v_lshlrev_b32_e32 v23, 16, v23
	s_waitcnt vmcnt(0)
	v_lshlrev_b32_e32 v24, 16, v24
	s_delay_alu instid0(VALU_DEP_1) | instskip(SKIP_1) | instid1(SALU_CYCLE_1)
	v_cmp_neq_f32_e32 vcc_lo, v24, v23
	s_and_b32 s31, vcc_lo, exec_lo
	s_or_b32 s31, s0, s31
.LBB1187_141:                           ;   in Loop: Header=BB1187_142 Depth=1
	v_dual_mov_b32 v24, s7 :: v_dual_mov_b32 v23, s6
	s_and_b32 s0, exec_lo, s31
	s_delay_alu instid0(SALU_CYCLE_1) | instskip(NEXT) | instid1(SALU_CYCLE_1)
	s_or_b32 s30, s0, s30
	s_and_not1_b32 exec_lo, exec_lo, s30
	s_cbranch_execz .LBB1187_144
.LBB1187_142:                           ; =>This Inner Loop Header: Depth=1
	s_or_b32 s31, s31, exec_lo
	s_cmp_eq_u64 s[4:5], s[6:7]
	s_cbranch_scc0 .LBB1187_140
; %bb.143:                              ;   in Loop: Header=BB1187_142 Depth=1
	s_mov_b64 s[6:7], s[14:15]
                                        ; implicit-def: $vgpr19_vgpr20
                                        ; implicit-def: $vgpr21_vgpr22
	s_branch .LBB1187_141
.LBB1187_144:
	s_set_inst_prefetch_distance 0x2
	s_or_b32 exec_lo, exec_lo, s30
	v_cmp_gt_i64_e32 vcc_lo, s[14:15], v[23:24]
	s_or_not1_b32 s0, vcc_lo, exec_lo
.LBB1187_145:
	s_or_b32 exec_lo, exec_lo, s28
.LBB1187_146:
	s_delay_alu instid0(SALU_CYCLE_1)
	s_and_b32 s28, s0, exec_lo
.LBB1187_147:
	s_or_b32 exec_lo, exec_lo, s29
	v_or_b32_e32 v19, 3, v39
	s_mov_b32 s30, 0
	s_mov_b32 s29, 0
	s_mov_b32 s31, exec_lo
	s_delay_alu instid0(VALU_DEP_1)
	v_cmpx_gt_u32_e64 s12, v19
	s_cbranch_execz .LBB1187_158
; %bb.148:
	v_cmp_ne_u32_e32 vcc_lo, 1, v27
	s_mov_b32 s0, 0
	s_cbranch_vccnz .LBB1187_157
; %bb.149:
	v_mul_lo_u32 v23, v12, s14
	v_mul_lo_u32 v24, v11, s15
	v_mad_u64_u32 v[19:20], null, v11, s14, 0
	v_mul_lo_u32 v25, v10, s14
	v_mul_lo_u32 v26, v9, s15
	s_waitcnt lgkmcnt(0)
	v_mad_u64_u32 v[21:22], null, v9, s14, 0
	s_mov_b32 s0, -1
	s_mov_b32 s29, exec_lo
	s_delay_alu instid0(VALU_DEP_4) | instskip(NEXT) | instid1(VALU_DEP_2)
	v_add3_u32 v20, v20, v24, v23
	v_add3_u32 v22, v22, v26, v25
	s_delay_alu instid0(VALU_DEP_2) | instskip(NEXT) | instid1(VALU_DEP_2)
	v_lshlrev_b64 v[19:20], 1, v[19:20]
	v_lshlrev_b64 v[21:22], 1, v[21:22]
	s_delay_alu instid0(VALU_DEP_2) | instskip(NEXT) | instid1(VALU_DEP_3)
	v_add_co_u32 v19, vcc_lo, s16, v19
	v_add_co_ci_u32_e32 v20, vcc_lo, s17, v20, vcc_lo
	s_delay_alu instid0(VALU_DEP_3) | instskip(NEXT) | instid1(VALU_DEP_4)
	v_add_co_u32 v21, vcc_lo, s16, v21
	v_add_co_ci_u32_e32 v22, vcc_lo, s17, v22, vcc_lo
	s_clause 0x1
	global_load_u16 v23, v[19:20], off
	global_load_u16 v24, v[21:22], off
	s_waitcnt vmcnt(1)
	v_lshlrev_b32_e32 v23, 16, v23
	s_waitcnt vmcnt(0)
	v_lshlrev_b32_e32 v24, 16, v24
	s_delay_alu instid0(VALU_DEP_1)
	v_cmpx_eq_f32_e32 v24, v23
	s_cbranch_execz .LBB1187_156
; %bb.150:
	v_add_co_u32 v19, vcc_lo, v19, 2
	v_add_co_ci_u32_e32 v20, vcc_lo, 0, v20, vcc_lo
	v_add_co_u32 v21, vcc_lo, v21, 2
	v_add_co_ci_u32_e32 v22, vcc_lo, 0, v22, vcc_lo
	s_add_u32 s4, s14, -1
	s_addc_u32 s5, s15, -1
	s_mov_b64 s[6:7], 0
	s_mov_b32 s33, 0
                                        ; implicit-def: $sgpr34
	s_set_inst_prefetch_distance 0x1
	s_branch .LBB1187_153
	.p2align	6
.LBB1187_151:                           ;   in Loop: Header=BB1187_153 Depth=1
	global_load_u16 v23, v[19:20], off
	global_load_u16 v24, v[21:22], off
	v_add_co_u32 v19, vcc_lo, v19, 2
	v_add_co_ci_u32_e32 v20, vcc_lo, 0, v20, vcc_lo
	v_add_co_u32 v21, s0, v21, 2
	s_delay_alu instid0(VALU_DEP_1)
	v_add_co_ci_u32_e64 v22, s0, 0, v22, s0
	s_add_u32 s6, s6, 1
	s_addc_u32 s7, s7, 0
	s_and_not1_b32 s0, s34, exec_lo
	s_waitcnt vmcnt(1)
	v_lshlrev_b32_e32 v23, 16, v23
	s_waitcnt vmcnt(0)
	v_lshlrev_b32_e32 v24, 16, v24
	s_delay_alu instid0(VALU_DEP_1) | instskip(SKIP_1) | instid1(SALU_CYCLE_1)
	v_cmp_neq_f32_e32 vcc_lo, v24, v23
	s_and_b32 s34, vcc_lo, exec_lo
	s_or_b32 s34, s0, s34
.LBB1187_152:                           ;   in Loop: Header=BB1187_153 Depth=1
	v_dual_mov_b32 v24, s7 :: v_dual_mov_b32 v23, s6
	s_and_b32 s0, exec_lo, s34
	s_delay_alu instid0(SALU_CYCLE_1) | instskip(NEXT) | instid1(SALU_CYCLE_1)
	s_or_b32 s33, s0, s33
	s_and_not1_b32 exec_lo, exec_lo, s33
	s_cbranch_execz .LBB1187_155
.LBB1187_153:                           ; =>This Inner Loop Header: Depth=1
	s_or_b32 s34, s34, exec_lo
	s_cmp_eq_u64 s[4:5], s[6:7]
	s_cbranch_scc0 .LBB1187_151
; %bb.154:                              ;   in Loop: Header=BB1187_153 Depth=1
	s_mov_b64 s[6:7], s[14:15]
                                        ; implicit-def: $vgpr19_vgpr20
                                        ; implicit-def: $vgpr21_vgpr22
	s_branch .LBB1187_152
.LBB1187_155:
	s_set_inst_prefetch_distance 0x2
	s_or_b32 exec_lo, exec_lo, s33
	v_cmp_gt_i64_e32 vcc_lo, s[14:15], v[23:24]
	s_or_not1_b32 s0, vcc_lo, exec_lo
.LBB1187_156:
	s_or_b32 exec_lo, exec_lo, s29
.LBB1187_157:
	s_delay_alu instid0(SALU_CYCLE_1)
	s_and_b32 s29, s0, exec_lo
.LBB1187_158:
	s_or_b32 exec_lo, exec_lo, s31
	v_or_b32_e32 v19, 2, v39
	s_mov_b32 s31, exec_lo
	s_delay_alu instid0(VALU_DEP_1)
	v_cmpx_gt_u32_e64 s12, v19
	s_cbranch_execz .LBB1187_169
; %bb.159:
	v_cmp_ne_u32_e32 vcc_lo, 1, v27
	s_mov_b32 s0, 0
	s_cbranch_vccnz .LBB1187_168
; %bb.160:
	v_mul_lo_u32 v23, v10, s14
	v_mul_lo_u32 v24, v9, s15
	v_mad_u64_u32 v[19:20], null, v9, s14, 0
	v_mul_lo_u32 v25, v16, s14
	v_mul_lo_u32 v26, v15, s15
	s_waitcnt lgkmcnt(0)
	v_mad_u64_u32 v[21:22], null, v15, s14, 0
	s_mov_b32 s0, -1
	s_mov_b32 s30, exec_lo
	s_delay_alu instid0(VALU_DEP_4) | instskip(NEXT) | instid1(VALU_DEP_2)
	v_add3_u32 v20, v20, v24, v23
	v_add3_u32 v22, v22, v26, v25
	s_delay_alu instid0(VALU_DEP_2) | instskip(NEXT) | instid1(VALU_DEP_2)
	v_lshlrev_b64 v[19:20], 1, v[19:20]
	v_lshlrev_b64 v[21:22], 1, v[21:22]
	s_delay_alu instid0(VALU_DEP_2) | instskip(NEXT) | instid1(VALU_DEP_3)
	v_add_co_u32 v19, vcc_lo, s16, v19
	v_add_co_ci_u32_e32 v20, vcc_lo, s17, v20, vcc_lo
	s_delay_alu instid0(VALU_DEP_3) | instskip(NEXT) | instid1(VALU_DEP_4)
	v_add_co_u32 v21, vcc_lo, s16, v21
	v_add_co_ci_u32_e32 v22, vcc_lo, s17, v22, vcc_lo
	s_clause 0x1
	global_load_u16 v23, v[19:20], off
	global_load_u16 v24, v[21:22], off
	s_waitcnt vmcnt(1)
	v_lshlrev_b32_e32 v23, 16, v23
	s_waitcnt vmcnt(0)
	v_lshlrev_b32_e32 v24, 16, v24
	s_delay_alu instid0(VALU_DEP_1)
	v_cmpx_eq_f32_e32 v24, v23
	s_cbranch_execz .LBB1187_167
; %bb.161:
	v_add_co_u32 v19, vcc_lo, v19, 2
	v_add_co_ci_u32_e32 v20, vcc_lo, 0, v20, vcc_lo
	v_add_co_u32 v21, vcc_lo, v21, 2
	v_add_co_ci_u32_e32 v22, vcc_lo, 0, v22, vcc_lo
	s_add_u32 s4, s14, -1
	s_addc_u32 s5, s15, -1
	s_mov_b64 s[6:7], 0
	s_mov_b32 s33, 0
                                        ; implicit-def: $sgpr34
	s_set_inst_prefetch_distance 0x1
	s_branch .LBB1187_164
	.p2align	6
.LBB1187_162:                           ;   in Loop: Header=BB1187_164 Depth=1
	global_load_u16 v23, v[19:20], off
	global_load_u16 v24, v[21:22], off
	v_add_co_u32 v19, vcc_lo, v19, 2
	v_add_co_ci_u32_e32 v20, vcc_lo, 0, v20, vcc_lo
	v_add_co_u32 v21, s0, v21, 2
	s_delay_alu instid0(VALU_DEP_1)
	v_add_co_ci_u32_e64 v22, s0, 0, v22, s0
	s_add_u32 s6, s6, 1
	s_addc_u32 s7, s7, 0
	s_and_not1_b32 s0, s34, exec_lo
	s_waitcnt vmcnt(1)
	v_lshlrev_b32_e32 v23, 16, v23
	s_waitcnt vmcnt(0)
	v_lshlrev_b32_e32 v24, 16, v24
	s_delay_alu instid0(VALU_DEP_1) | instskip(SKIP_1) | instid1(SALU_CYCLE_1)
	v_cmp_neq_f32_e32 vcc_lo, v24, v23
	s_and_b32 s34, vcc_lo, exec_lo
	s_or_b32 s34, s0, s34
.LBB1187_163:                           ;   in Loop: Header=BB1187_164 Depth=1
	v_dual_mov_b32 v24, s7 :: v_dual_mov_b32 v23, s6
	s_and_b32 s0, exec_lo, s34
	s_delay_alu instid0(SALU_CYCLE_1) | instskip(NEXT) | instid1(SALU_CYCLE_1)
	s_or_b32 s33, s0, s33
	s_and_not1_b32 exec_lo, exec_lo, s33
	s_cbranch_execz .LBB1187_166
.LBB1187_164:                           ; =>This Inner Loop Header: Depth=1
	s_or_b32 s34, s34, exec_lo
	s_cmp_eq_u64 s[4:5], s[6:7]
	s_cbranch_scc0 .LBB1187_162
; %bb.165:                              ;   in Loop: Header=BB1187_164 Depth=1
	s_mov_b64 s[6:7], s[14:15]
                                        ; implicit-def: $vgpr19_vgpr20
                                        ; implicit-def: $vgpr21_vgpr22
	s_branch .LBB1187_163
.LBB1187_166:
	s_set_inst_prefetch_distance 0x2
	s_or_b32 exec_lo, exec_lo, s33
	v_cmp_gt_i64_e32 vcc_lo, s[14:15], v[23:24]
	s_or_not1_b32 s0, vcc_lo, exec_lo
.LBB1187_167:
	s_or_b32 exec_lo, exec_lo, s30
.LBB1187_168:
	s_delay_alu instid0(SALU_CYCLE_1)
	s_and_b32 s30, s0, exec_lo
.LBB1187_169:
	s_or_b32 exec_lo, exec_lo, s31
	v_or_b32_e32 v19, 1, v39
	s_mov_b32 s0, 0
	s_mov_b32 s31, exec_lo
	s_delay_alu instid0(VALU_DEP_1)
	v_cmpx_gt_u32_e64 s12, v19
	s_cbranch_execz .LBB1187_180
; %bb.170:
	v_cmp_ne_u32_e32 vcc_lo, 1, v27
	s_cbranch_vccnz .LBB1187_179
; %bb.171:
	v_mul_lo_u32 v23, v16, s14
	v_mul_lo_u32 v24, v15, s15
	v_mad_u64_u32 v[19:20], null, v15, s14, 0
	v_mul_lo_u32 v25, v14, s14
	v_mul_lo_u32 v26, v13, s15
	s_waitcnt lgkmcnt(0)
	v_mad_u64_u32 v[21:22], null, v13, s14, 0
	s_mov_b32 s0, -1
	s_mov_b32 s33, exec_lo
	s_delay_alu instid0(VALU_DEP_4) | instskip(NEXT) | instid1(VALU_DEP_2)
	v_add3_u32 v20, v20, v24, v23
	v_add3_u32 v22, v22, v26, v25
	s_delay_alu instid0(VALU_DEP_2) | instskip(NEXT) | instid1(VALU_DEP_2)
	v_lshlrev_b64 v[19:20], 1, v[19:20]
	v_lshlrev_b64 v[21:22], 1, v[21:22]
	s_delay_alu instid0(VALU_DEP_2) | instskip(NEXT) | instid1(VALU_DEP_3)
	v_add_co_u32 v19, vcc_lo, s16, v19
	v_add_co_ci_u32_e32 v20, vcc_lo, s17, v20, vcc_lo
	s_delay_alu instid0(VALU_DEP_3) | instskip(NEXT) | instid1(VALU_DEP_4)
	v_add_co_u32 v21, vcc_lo, s16, v21
	v_add_co_ci_u32_e32 v22, vcc_lo, s17, v22, vcc_lo
	s_clause 0x1
	global_load_u16 v23, v[19:20], off
	global_load_u16 v24, v[21:22], off
	s_waitcnt vmcnt(1)
	v_lshlrev_b32_e32 v23, 16, v23
	s_waitcnt vmcnt(0)
	v_lshlrev_b32_e32 v24, 16, v24
	s_delay_alu instid0(VALU_DEP_1)
	v_cmpx_eq_f32_e32 v24, v23
	s_cbranch_execz .LBB1187_178
; %bb.172:
	v_add_co_u32 v19, vcc_lo, v19, 2
	v_add_co_ci_u32_e32 v20, vcc_lo, 0, v20, vcc_lo
	v_add_co_u32 v21, vcc_lo, v21, 2
	v_add_co_ci_u32_e32 v22, vcc_lo, 0, v22, vcc_lo
	s_add_u32 s4, s14, -1
	s_addc_u32 s5, s15, -1
	s_mov_b64 s[6:7], 0
	s_mov_b32 s34, 0
                                        ; implicit-def: $sgpr35
	s_set_inst_prefetch_distance 0x1
	s_branch .LBB1187_175
	.p2align	6
.LBB1187_173:                           ;   in Loop: Header=BB1187_175 Depth=1
	global_load_u16 v23, v[19:20], off
	global_load_u16 v24, v[21:22], off
	v_add_co_u32 v19, vcc_lo, v19, 2
	v_add_co_ci_u32_e32 v20, vcc_lo, 0, v20, vcc_lo
	v_add_co_u32 v21, s0, v21, 2
	s_delay_alu instid0(VALU_DEP_1)
	v_add_co_ci_u32_e64 v22, s0, 0, v22, s0
	s_add_u32 s6, s6, 1
	s_addc_u32 s7, s7, 0
	s_and_not1_b32 s0, s35, exec_lo
	s_waitcnt vmcnt(1)
	v_lshlrev_b32_e32 v23, 16, v23
	s_waitcnt vmcnt(0)
	v_lshlrev_b32_e32 v24, 16, v24
	s_delay_alu instid0(VALU_DEP_1) | instskip(SKIP_1) | instid1(SALU_CYCLE_1)
	v_cmp_neq_f32_e32 vcc_lo, v24, v23
	s_and_b32 s35, vcc_lo, exec_lo
	s_or_b32 s35, s0, s35
.LBB1187_174:                           ;   in Loop: Header=BB1187_175 Depth=1
	v_dual_mov_b32 v24, s7 :: v_dual_mov_b32 v23, s6
	s_and_b32 s0, exec_lo, s35
	s_delay_alu instid0(SALU_CYCLE_1) | instskip(NEXT) | instid1(SALU_CYCLE_1)
	s_or_b32 s34, s0, s34
	s_and_not1_b32 exec_lo, exec_lo, s34
	s_cbranch_execz .LBB1187_177
.LBB1187_175:                           ; =>This Inner Loop Header: Depth=1
	s_or_b32 s35, s35, exec_lo
	s_cmp_eq_u64 s[4:5], s[6:7]
	s_cbranch_scc0 .LBB1187_173
; %bb.176:                              ;   in Loop: Header=BB1187_175 Depth=1
	s_mov_b64 s[6:7], s[14:15]
                                        ; implicit-def: $vgpr19_vgpr20
                                        ; implicit-def: $vgpr21_vgpr22
	s_branch .LBB1187_174
.LBB1187_177:
	s_set_inst_prefetch_distance 0x2
	s_or_b32 exec_lo, exec_lo, s34
	v_cmp_gt_i64_e32 vcc_lo, s[14:15], v[23:24]
	s_or_not1_b32 s0, vcc_lo, exec_lo
.LBB1187_178:
	s_or_b32 exec_lo, exec_lo, s33
.LBB1187_179:
	s_delay_alu instid0(SALU_CYCLE_1)
	s_and_b32 s0, s0, exec_lo
.LBB1187_180:
	s_or_b32 exec_lo, exec_lo, s31
	s_waitcnt vmcnt(0) lgkmcnt(0)
	s_barrier
	buffer_gl0_inv
	s_and_saveexec_b32 s4, s3
	s_cbranch_execz .LBB1187_182
; %bb.181:
	v_add_nc_u32_e32 v17, -8, v39
	ds_load_b64 v[17:18], v17
.LBB1187_182:
	s_or_b32 exec_lo, exec_lo, s4
	v_cndmask_b32_e64 v20, 0, 1, s29
	v_cndmask_b32_e64 v22, 0, 1, s26
	;; [unrolled: 1-line block ×7, first 2 shown]
	v_lshlrev_b16 v20, 8, v20
	v_lshlrev_b16 v22, 8, v22
	;; [unrolled: 1-line block ×3, first 2 shown]
	s_mov_b32 s0, 0
	v_lshlrev_b16 v25, 8, v25
	v_or_b32_e32 v19, v19, v20
	v_or_b32_e32 v20, v21, v22
	;; [unrolled: 1-line block ×3, first 2 shown]
	s_mov_b32 s25, exec_lo
	v_and_b32_e32 v23, 0xffff, v25
	v_lshlrev_b32_e32 v24, 16, v19
	v_and_b32_e32 v25, 0xffff, v20
	v_lshlrev_b32_e32 v26, 16, v21
	v_cmpx_gt_u32_e64 s12, v39
	s_cbranch_execz .LBB1187_193
; %bb.183:
	v_cmp_ne_u32_e32 vcc_lo, 1, v27
	s_cbranch_vccnz .LBB1187_192
; %bb.184:
	v_mul_lo_u32 v27, v14, s14
	v_mul_lo_u32 v28, v13, s15
	v_mad_u64_u32 v[19:20], null, v13, s14, 0
	s_waitcnt lgkmcnt(0)
	v_mul_lo_u32 v18, v18, s14
	v_mul_lo_u32 v29, v17, s15
	v_mad_u64_u32 v[21:22], null, v17, s14, 0
	s_mov_b32 s0, -1
	s_mov_b32 s26, exec_lo
	s_delay_alu instid0(VALU_DEP_4) | instskip(NEXT) | instid1(VALU_DEP_2)
	v_add3_u32 v20, v20, v28, v27
	v_add3_u32 v22, v22, v29, v18
	s_delay_alu instid0(VALU_DEP_2) | instskip(NEXT) | instid1(VALU_DEP_2)
	v_lshlrev_b64 v[17:18], 1, v[19:20]
	v_lshlrev_b64 v[19:20], 1, v[21:22]
	s_delay_alu instid0(VALU_DEP_2) | instskip(NEXT) | instid1(VALU_DEP_3)
	v_add_co_u32 v17, vcc_lo, s16, v17
	v_add_co_ci_u32_e32 v18, vcc_lo, s17, v18, vcc_lo
	s_delay_alu instid0(VALU_DEP_3) | instskip(NEXT) | instid1(VALU_DEP_4)
	v_add_co_u32 v19, vcc_lo, s16, v19
	v_add_co_ci_u32_e32 v20, vcc_lo, s17, v20, vcc_lo
	s_clause 0x1
	global_load_u16 v21, v[17:18], off
	global_load_u16 v22, v[19:20], off
	s_waitcnt vmcnt(1)
	v_lshlrev_b32_e32 v21, 16, v21
	s_waitcnt vmcnt(0)
	v_lshlrev_b32_e32 v22, 16, v22
	s_delay_alu instid0(VALU_DEP_1)
	v_cmpx_eq_f32_e32 v22, v21
	s_cbranch_execz .LBB1187_191
; %bb.185:
	v_add_co_u32 v17, vcc_lo, v17, 2
	v_add_co_ci_u32_e32 v18, vcc_lo, 0, v18, vcc_lo
	v_add_co_u32 v19, vcc_lo, v19, 2
	v_add_co_ci_u32_e32 v20, vcc_lo, 0, v20, vcc_lo
	s_add_u32 s4, s14, -1
	s_addc_u32 s5, s15, -1
	s_mov_b64 s[6:7], 0
	s_mov_b32 s27, 0
                                        ; implicit-def: $sgpr28
	s_set_inst_prefetch_distance 0x1
	s_branch .LBB1187_188
	.p2align	6
.LBB1187_186:                           ;   in Loop: Header=BB1187_188 Depth=1
	global_load_u16 v21, v[17:18], off
	global_load_u16 v22, v[19:20], off
	v_add_co_u32 v17, vcc_lo, v17, 2
	v_add_co_ci_u32_e32 v18, vcc_lo, 0, v18, vcc_lo
	v_add_co_u32 v19, s0, v19, 2
	s_delay_alu instid0(VALU_DEP_1)
	v_add_co_ci_u32_e64 v20, s0, 0, v20, s0
	s_add_u32 s6, s6, 1
	s_addc_u32 s7, s7, 0
	s_and_not1_b32 s0, s28, exec_lo
	s_waitcnt vmcnt(1)
	v_lshlrev_b32_e32 v21, 16, v21
	s_waitcnt vmcnt(0)
	v_lshlrev_b32_e32 v22, 16, v22
	s_delay_alu instid0(VALU_DEP_1) | instskip(SKIP_1) | instid1(SALU_CYCLE_1)
	v_cmp_neq_f32_e32 vcc_lo, v22, v21
	s_and_b32 s28, vcc_lo, exec_lo
	s_or_b32 s28, s0, s28
.LBB1187_187:                           ;   in Loop: Header=BB1187_188 Depth=1
	v_dual_mov_b32 v22, s7 :: v_dual_mov_b32 v21, s6
	s_and_b32 s0, exec_lo, s28
	s_delay_alu instid0(SALU_CYCLE_1) | instskip(NEXT) | instid1(SALU_CYCLE_1)
	s_or_b32 s27, s0, s27
	s_and_not1_b32 exec_lo, exec_lo, s27
	s_cbranch_execz .LBB1187_190
.LBB1187_188:                           ; =>This Inner Loop Header: Depth=1
	s_or_b32 s28, s28, exec_lo
	s_cmp_eq_u64 s[4:5], s[6:7]
	s_cbranch_scc0 .LBB1187_186
; %bb.189:                              ;   in Loop: Header=BB1187_188 Depth=1
	s_mov_b64 s[6:7], s[14:15]
                                        ; implicit-def: $vgpr17_vgpr18
                                        ; implicit-def: $vgpr19_vgpr20
	s_branch .LBB1187_187
.LBB1187_190:
	s_set_inst_prefetch_distance 0x2
	s_or_b32 exec_lo, exec_lo, s27
	v_cmp_gt_i64_e32 vcc_lo, s[14:15], v[21:22]
	s_or_not1_b32 s0, vcc_lo, exec_lo
.LBB1187_191:
	s_or_b32 exec_lo, exec_lo, s26
.LBB1187_192:
	s_delay_alu instid0(SALU_CYCLE_1)
	s_and_b32 s0, s0, exec_lo
.LBB1187_193:
	s_or_b32 exec_lo, exec_lo, s25
	v_or_b32_e32 v19, v23, v24
	v_or_b32_e32 v20, v25, v26
.LBB1187_194:
	s_mov_b32 s25, -1
	s_cbranch_execnz .LBB1187_363
.LBB1187_195:
	v_cmp_gt_i64_e64 s26, s[14:15], 0
	s_and_b32 vcc_lo, exec_lo, s22
	ds_store_b64 v39, v[3:4]
	s_cbranch_vccz .LBB1187_203
; %bb.196:
	v_mul_lo_u32 v19, v2, s14
	v_mul_lo_u32 v20, v1, s15
	s_waitcnt vmcnt(0) lgkmcnt(1)
	v_mad_u64_u32 v[17:18], null, v1, s14, 0
	s_mov_b32 s27, 0
	s_and_not1_b32 vcc_lo, exec_lo, s26
	s_mov_b32 s28, 0
	s_delay_alu instid0(VALU_DEP_1) | instskip(NEXT) | instid1(VALU_DEP_1)
	v_add3_u32 v18, v18, v20, v19
	v_lshlrev_b64 v[17:18], 1, v[17:18]
	s_cbranch_vccnz .LBB1187_206
; %bb.197:
	v_mul_lo_u32 v21, v4, s14
	v_mul_lo_u32 v22, v3, s15
	v_mad_u64_u32 v[19:20], null, v3, s14, 0
	s_mov_b32 s28, -1
	s_mov_b32 s29, exec_lo
	s_delay_alu instid0(VALU_DEP_1) | instskip(NEXT) | instid1(VALU_DEP_1)
	v_add3_u32 v20, v20, v22, v21
	v_lshlrev_b64 v[19:20], 1, v[19:20]
	s_delay_alu instid0(VALU_DEP_1) | instskip(NEXT) | instid1(VALU_DEP_2)
	v_add_co_u32 v19, vcc_lo, s16, v19
	v_add_co_ci_u32_e32 v20, vcc_lo, s17, v20, vcc_lo
	v_add_co_u32 v21, vcc_lo, s16, v17
	v_add_co_ci_u32_e32 v22, vcc_lo, s17, v18, vcc_lo
	s_clause 0x1
	global_load_u16 v23, v[19:20], off
	global_load_u16 v24, v[21:22], off
	s_waitcnt vmcnt(1)
	v_lshlrev_b32_e32 v23, 16, v23
	s_waitcnt vmcnt(0)
	v_lshlrev_b32_e32 v24, 16, v24
	s_delay_alu instid0(VALU_DEP_1)
	v_cmpx_eq_f32_e32 v24, v23
	s_cbranch_execz .LBB1187_205
; %bb.198:
	v_add_co_u32 v19, vcc_lo, v19, 2
	v_add_co_ci_u32_e32 v20, vcc_lo, 0, v20, vcc_lo
	v_add_co_u32 v21, vcc_lo, v21, 2
	v_add_co_ci_u32_e32 v22, vcc_lo, 0, v22, vcc_lo
	s_add_u32 s4, s14, -1
	s_addc_u32 s5, s15, -1
	s_mov_b64 s[6:7], 0
	s_mov_b32 s28, 0
                                        ; implicit-def: $sgpr30
	s_set_inst_prefetch_distance 0x1
	s_branch .LBB1187_201
	.p2align	6
.LBB1187_199:                           ;   in Loop: Header=BB1187_201 Depth=1
	global_load_u16 v23, v[19:20], off
	global_load_u16 v24, v[21:22], off
	v_add_co_u32 v19, vcc_lo, v19, 2
	v_add_co_ci_u32_e32 v20, vcc_lo, 0, v20, vcc_lo
	v_add_co_u32 v21, s0, v21, 2
	s_delay_alu instid0(VALU_DEP_1)
	v_add_co_ci_u32_e64 v22, s0, 0, v22, s0
	s_add_u32 s6, s6, 1
	s_addc_u32 s7, s7, 0
	s_and_not1_b32 s0, s30, exec_lo
	s_waitcnt vmcnt(1)
	v_lshlrev_b32_e32 v23, 16, v23
	s_waitcnt vmcnt(0)
	v_lshlrev_b32_e32 v24, 16, v24
	s_delay_alu instid0(VALU_DEP_1) | instskip(SKIP_1) | instid1(SALU_CYCLE_1)
	v_cmp_neq_f32_e32 vcc_lo, v24, v23
	s_and_b32 s30, vcc_lo, exec_lo
	s_or_b32 s30, s0, s30
.LBB1187_200:                           ;   in Loop: Header=BB1187_201 Depth=1
	v_dual_mov_b32 v24, s7 :: v_dual_mov_b32 v23, s6
	s_and_b32 s0, exec_lo, s30
	s_delay_alu instid0(SALU_CYCLE_1) | instskip(NEXT) | instid1(SALU_CYCLE_1)
	s_or_b32 s28, s0, s28
	s_and_not1_b32 exec_lo, exec_lo, s28
	s_cbranch_execz .LBB1187_204
.LBB1187_201:                           ; =>This Inner Loop Header: Depth=1
	s_or_b32 s30, s30, exec_lo
	s_cmp_eq_u64 s[4:5], s[6:7]
	s_cbranch_scc0 .LBB1187_199
; %bb.202:                              ;   in Loop: Header=BB1187_201 Depth=1
	s_mov_b64 s[6:7], s[14:15]
                                        ; implicit-def: $vgpr19_vgpr20
                                        ; implicit-def: $vgpr21_vgpr22
	s_branch .LBB1187_200
.LBB1187_203:
                                        ; implicit-def: $sgpr0
                                        ; implicit-def: $vgpr20
	s_cbranch_execnz .LBB1187_272
	s_branch .LBB1187_363
.LBB1187_204:
	s_set_inst_prefetch_distance 0x2
	s_or_b32 exec_lo, exec_lo, s28
	v_cmp_gt_i64_e32 vcc_lo, s[14:15], v[23:24]
	s_or_not1_b32 s28, vcc_lo, exec_lo
.LBB1187_205:
	s_or_b32 exec_lo, exec_lo, s29
.LBB1187_206:
	v_mul_lo_u32 v21, v8, s14
	v_mul_lo_u32 v22, v7, s15
	v_mad_u64_u32 v[19:20], null, v7, s14, 0
	s_and_not1_b32 vcc_lo, exec_lo, s26
	s_delay_alu instid0(VALU_DEP_1) | instskip(NEXT) | instid1(VALU_DEP_1)
	v_add3_u32 v20, v20, v22, v21
	v_lshlrev_b64 v[19:20], 1, v[19:20]
	s_cbranch_vccnz .LBB1187_215
; %bb.207:
	v_add_co_u32 v17, vcc_lo, s16, v17
	v_add_co_ci_u32_e32 v18, vcc_lo, s17, v18, vcc_lo
	s_delay_alu instid0(VALU_DEP_3) | instskip(NEXT) | instid1(VALU_DEP_4)
	v_add_co_u32 v21, vcc_lo, s16, v19
	v_add_co_ci_u32_e32 v22, vcc_lo, s17, v20, vcc_lo
	s_mov_b32 s27, -1
	s_clause 0x1
	global_load_u16 v23, v[17:18], off
	global_load_u16 v24, v[21:22], off
	s_mov_b32 s29, exec_lo
	s_waitcnt vmcnt(1)
	v_lshlrev_b32_e32 v23, 16, v23
	s_waitcnt vmcnt(0)
	v_lshlrev_b32_e32 v24, 16, v24
	s_delay_alu instid0(VALU_DEP_1)
	v_cmpx_eq_f32_e32 v24, v23
	s_cbranch_execz .LBB1187_214
; %bb.208:
	v_add_co_u32 v17, vcc_lo, v17, 2
	v_add_co_ci_u32_e32 v18, vcc_lo, 0, v18, vcc_lo
	v_add_co_u32 v21, vcc_lo, v21, 2
	v_add_co_ci_u32_e32 v22, vcc_lo, 0, v22, vcc_lo
	s_add_u32 s4, s14, -1
	s_addc_u32 s5, s15, -1
	s_mov_b64 s[6:7], 0
	s_mov_b32 s27, 0
                                        ; implicit-def: $sgpr30
	s_set_inst_prefetch_distance 0x1
	s_branch .LBB1187_211
	.p2align	6
.LBB1187_209:                           ;   in Loop: Header=BB1187_211 Depth=1
	global_load_u16 v23, v[17:18], off
	global_load_u16 v24, v[21:22], off
	v_add_co_u32 v17, vcc_lo, v17, 2
	v_add_co_ci_u32_e32 v18, vcc_lo, 0, v18, vcc_lo
	v_add_co_u32 v21, s0, v21, 2
	s_delay_alu instid0(VALU_DEP_1)
	v_add_co_ci_u32_e64 v22, s0, 0, v22, s0
	s_add_u32 s6, s6, 1
	s_addc_u32 s7, s7, 0
	s_and_not1_b32 s0, s30, exec_lo
	s_waitcnt vmcnt(1)
	v_lshlrev_b32_e32 v23, 16, v23
	s_waitcnt vmcnt(0)
	v_lshlrev_b32_e32 v24, 16, v24
	s_delay_alu instid0(VALU_DEP_1) | instskip(SKIP_1) | instid1(SALU_CYCLE_1)
	v_cmp_neq_f32_e32 vcc_lo, v24, v23
	s_and_b32 s30, vcc_lo, exec_lo
	s_or_b32 s30, s0, s30
.LBB1187_210:                           ;   in Loop: Header=BB1187_211 Depth=1
	v_dual_mov_b32 v24, s7 :: v_dual_mov_b32 v23, s6
	s_and_b32 s0, exec_lo, s30
	s_delay_alu instid0(SALU_CYCLE_1) | instskip(NEXT) | instid1(SALU_CYCLE_1)
	s_or_b32 s27, s0, s27
	s_and_not1_b32 exec_lo, exec_lo, s27
	s_cbranch_execz .LBB1187_213
.LBB1187_211:                           ; =>This Inner Loop Header: Depth=1
	s_or_b32 s30, s30, exec_lo
	s_cmp_eq_u64 s[4:5], s[6:7]
	s_cbranch_scc0 .LBB1187_209
; %bb.212:                              ;   in Loop: Header=BB1187_211 Depth=1
	s_mov_b64 s[6:7], s[14:15]
                                        ; implicit-def: $vgpr17_vgpr18
                                        ; implicit-def: $vgpr21_vgpr22
	s_branch .LBB1187_210
.LBB1187_213:
	s_set_inst_prefetch_distance 0x2
	s_or_b32 exec_lo, exec_lo, s27
	v_cmp_gt_i64_e32 vcc_lo, s[14:15], v[23:24]
	s_or_not1_b32 s27, vcc_lo, exec_lo
.LBB1187_214:
	s_or_b32 exec_lo, exec_lo, s29
.LBB1187_215:
	v_mul_lo_u32 v21, v6, s14
	v_mul_lo_u32 v22, v5, s15
	v_mad_u64_u32 v[17:18], null, v5, s14, 0
	s_mov_b32 s29, 0
	s_and_not1_b32 vcc_lo, exec_lo, s26
	s_mov_b32 s30, 0
	s_delay_alu instid0(VALU_DEP_1) | instskip(NEXT) | instid1(VALU_DEP_1)
	v_add3_u32 v18, v18, v22, v21
	v_lshlrev_b64 v[21:22], 1, v[17:18]
	s_cbranch_vccnz .LBB1187_224
; %bb.216:
	v_add_co_u32 v17, vcc_lo, s16, v19
	v_add_co_ci_u32_e32 v18, vcc_lo, s17, v20, vcc_lo
	s_delay_alu instid0(VALU_DEP_3) | instskip(NEXT) | instid1(VALU_DEP_4)
	v_add_co_u32 v19, vcc_lo, s16, v21
	v_add_co_ci_u32_e32 v20, vcc_lo, s17, v22, vcc_lo
	s_mov_b32 s30, -1
	s_clause 0x1
	global_load_u16 v23, v[17:18], off
	global_load_u16 v24, v[19:20], off
	s_mov_b32 s31, exec_lo
	s_waitcnt vmcnt(1)
	v_lshlrev_b32_e32 v23, 16, v23
	s_waitcnt vmcnt(0)
	v_lshlrev_b32_e32 v24, 16, v24
	s_delay_alu instid0(VALU_DEP_1)
	v_cmpx_eq_f32_e32 v24, v23
	s_cbranch_execz .LBB1187_223
; %bb.217:
	v_add_co_u32 v17, vcc_lo, v17, 2
	v_add_co_ci_u32_e32 v18, vcc_lo, 0, v18, vcc_lo
	v_add_co_u32 v19, vcc_lo, v19, 2
	v_add_co_ci_u32_e32 v20, vcc_lo, 0, v20, vcc_lo
	s_add_u32 s4, s14, -1
	s_addc_u32 s5, s15, -1
	s_mov_b64 s[6:7], 0
	s_mov_b32 s30, 0
                                        ; implicit-def: $sgpr33
	s_set_inst_prefetch_distance 0x1
	s_branch .LBB1187_220
	.p2align	6
.LBB1187_218:                           ;   in Loop: Header=BB1187_220 Depth=1
	global_load_u16 v23, v[17:18], off
	global_load_u16 v24, v[19:20], off
	v_add_co_u32 v17, vcc_lo, v17, 2
	v_add_co_ci_u32_e32 v18, vcc_lo, 0, v18, vcc_lo
	v_add_co_u32 v19, s0, v19, 2
	s_delay_alu instid0(VALU_DEP_1)
	v_add_co_ci_u32_e64 v20, s0, 0, v20, s0
	s_add_u32 s6, s6, 1
	s_addc_u32 s7, s7, 0
	s_and_not1_b32 s0, s33, exec_lo
	s_waitcnt vmcnt(1)
	v_lshlrev_b32_e32 v23, 16, v23
	s_waitcnt vmcnt(0)
	v_lshlrev_b32_e32 v24, 16, v24
	s_delay_alu instid0(VALU_DEP_1) | instskip(SKIP_1) | instid1(SALU_CYCLE_1)
	v_cmp_neq_f32_e32 vcc_lo, v24, v23
	s_and_b32 s33, vcc_lo, exec_lo
	s_or_b32 s33, s0, s33
.LBB1187_219:                           ;   in Loop: Header=BB1187_220 Depth=1
	v_dual_mov_b32 v24, s7 :: v_dual_mov_b32 v23, s6
	s_and_b32 s0, exec_lo, s33
	s_delay_alu instid0(SALU_CYCLE_1) | instskip(NEXT) | instid1(SALU_CYCLE_1)
	s_or_b32 s30, s0, s30
	s_and_not1_b32 exec_lo, exec_lo, s30
	s_cbranch_execz .LBB1187_222
.LBB1187_220:                           ; =>This Inner Loop Header: Depth=1
	s_or_b32 s33, s33, exec_lo
	s_cmp_eq_u64 s[4:5], s[6:7]
	s_cbranch_scc0 .LBB1187_218
; %bb.221:                              ;   in Loop: Header=BB1187_220 Depth=1
	s_mov_b64 s[6:7], s[14:15]
                                        ; implicit-def: $vgpr17_vgpr18
                                        ; implicit-def: $vgpr19_vgpr20
	s_branch .LBB1187_219
.LBB1187_222:
	s_set_inst_prefetch_distance 0x2
	s_or_b32 exec_lo, exec_lo, s30
	v_cmp_gt_i64_e32 vcc_lo, s[14:15], v[23:24]
	s_or_not1_b32 s30, vcc_lo, exec_lo
.LBB1187_223:
	s_or_b32 exec_lo, exec_lo, s31
.LBB1187_224:
	v_mul_lo_u32 v19, v12, s14
	v_mul_lo_u32 v20, v11, s15
	v_mad_u64_u32 v[17:18], null, v11, s14, 0
	s_and_not1_b32 vcc_lo, exec_lo, s26
	s_delay_alu instid0(VALU_DEP_1) | instskip(NEXT) | instid1(VALU_DEP_1)
	v_add3_u32 v18, v18, v20, v19
	v_lshlrev_b64 v[17:18], 1, v[17:18]
	s_cbranch_vccnz .LBB1187_233
; %bb.225:
	v_add_co_u32 v19, vcc_lo, s16, v21
	v_add_co_ci_u32_e32 v20, vcc_lo, s17, v22, vcc_lo
	s_delay_alu instid0(VALU_DEP_3) | instskip(NEXT) | instid1(VALU_DEP_4)
	v_add_co_u32 v21, vcc_lo, s16, v17
	v_add_co_ci_u32_e32 v22, vcc_lo, s17, v18, vcc_lo
	s_mov_b32 s29, -1
	s_clause 0x1
	global_load_u16 v23, v[19:20], off
	global_load_u16 v24, v[21:22], off
	s_mov_b32 s31, exec_lo
	s_waitcnt vmcnt(1)
	v_lshlrev_b32_e32 v23, 16, v23
	s_waitcnt vmcnt(0)
	v_lshlrev_b32_e32 v24, 16, v24
	s_delay_alu instid0(VALU_DEP_1)
	v_cmpx_eq_f32_e32 v24, v23
	s_cbranch_execz .LBB1187_232
; %bb.226:
	v_add_co_u32 v19, vcc_lo, v19, 2
	v_add_co_ci_u32_e32 v20, vcc_lo, 0, v20, vcc_lo
	v_add_co_u32 v21, vcc_lo, v21, 2
	v_add_co_ci_u32_e32 v22, vcc_lo, 0, v22, vcc_lo
	s_add_u32 s4, s14, -1
	s_addc_u32 s5, s15, -1
	s_mov_b64 s[6:7], 0
	s_mov_b32 s29, 0
                                        ; implicit-def: $sgpr33
	s_set_inst_prefetch_distance 0x1
	s_branch .LBB1187_229
	.p2align	6
.LBB1187_227:                           ;   in Loop: Header=BB1187_229 Depth=1
	global_load_u16 v23, v[19:20], off
	global_load_u16 v24, v[21:22], off
	v_add_co_u32 v19, vcc_lo, v19, 2
	v_add_co_ci_u32_e32 v20, vcc_lo, 0, v20, vcc_lo
	v_add_co_u32 v21, s0, v21, 2
	s_delay_alu instid0(VALU_DEP_1)
	v_add_co_ci_u32_e64 v22, s0, 0, v22, s0
	s_add_u32 s6, s6, 1
	s_addc_u32 s7, s7, 0
	s_and_not1_b32 s0, s33, exec_lo
	s_waitcnt vmcnt(1)
	v_lshlrev_b32_e32 v23, 16, v23
	s_waitcnt vmcnt(0)
	v_lshlrev_b32_e32 v24, 16, v24
	s_delay_alu instid0(VALU_DEP_1) | instskip(SKIP_1) | instid1(SALU_CYCLE_1)
	v_cmp_neq_f32_e32 vcc_lo, v24, v23
	s_and_b32 s33, vcc_lo, exec_lo
	s_or_b32 s33, s0, s33
.LBB1187_228:                           ;   in Loop: Header=BB1187_229 Depth=1
	v_dual_mov_b32 v24, s7 :: v_dual_mov_b32 v23, s6
	s_and_b32 s0, exec_lo, s33
	s_delay_alu instid0(SALU_CYCLE_1) | instskip(NEXT) | instid1(SALU_CYCLE_1)
	s_or_b32 s29, s0, s29
	s_and_not1_b32 exec_lo, exec_lo, s29
	s_cbranch_execz .LBB1187_231
.LBB1187_229:                           ; =>This Inner Loop Header: Depth=1
	s_or_b32 s33, s33, exec_lo
	s_cmp_eq_u64 s[4:5], s[6:7]
	s_cbranch_scc0 .LBB1187_227
; %bb.230:                              ;   in Loop: Header=BB1187_229 Depth=1
	s_mov_b64 s[6:7], s[14:15]
                                        ; implicit-def: $vgpr19_vgpr20
                                        ; implicit-def: $vgpr21_vgpr22
	s_branch .LBB1187_228
.LBB1187_231:
	s_set_inst_prefetch_distance 0x2
	s_or_b32 exec_lo, exec_lo, s29
	v_cmp_gt_i64_e32 vcc_lo, s[14:15], v[23:24]
	s_or_not1_b32 s29, vcc_lo, exec_lo
.LBB1187_232:
	s_or_b32 exec_lo, exec_lo, s31
.LBB1187_233:
	v_mul_lo_u32 v21, v10, s14
	v_mul_lo_u32 v22, v9, s15
	v_mad_u64_u32 v[19:20], null, v9, s14, 0
	s_mov_b32 s31, 0
	s_and_not1_b32 vcc_lo, exec_lo, s26
	s_mov_b32 s33, 0
	s_delay_alu instid0(VALU_DEP_1) | instskip(NEXT) | instid1(VALU_DEP_1)
	v_add3_u32 v20, v20, v22, v21
	v_lshlrev_b64 v[21:22], 1, v[19:20]
	s_cbranch_vccnz .LBB1187_242
; %bb.234:
	v_add_co_u32 v17, vcc_lo, s16, v17
	v_add_co_ci_u32_e32 v18, vcc_lo, s17, v18, vcc_lo
	s_delay_alu instid0(VALU_DEP_3) | instskip(NEXT) | instid1(VALU_DEP_4)
	v_add_co_u32 v19, vcc_lo, s16, v21
	v_add_co_ci_u32_e32 v20, vcc_lo, s17, v22, vcc_lo
	s_mov_b32 s33, -1
	s_clause 0x1
	global_load_u16 v23, v[17:18], off
	global_load_u16 v24, v[19:20], off
	s_mov_b32 s34, exec_lo
	s_waitcnt vmcnt(1)
	v_lshlrev_b32_e32 v23, 16, v23
	s_waitcnt vmcnt(0)
	v_lshlrev_b32_e32 v24, 16, v24
	s_delay_alu instid0(VALU_DEP_1)
	v_cmpx_eq_f32_e32 v24, v23
	s_cbranch_execz .LBB1187_241
; %bb.235:
	v_add_co_u32 v17, vcc_lo, v17, 2
	v_add_co_ci_u32_e32 v18, vcc_lo, 0, v18, vcc_lo
	v_add_co_u32 v19, vcc_lo, v19, 2
	v_add_co_ci_u32_e32 v20, vcc_lo, 0, v20, vcc_lo
	s_add_u32 s4, s14, -1
	s_addc_u32 s5, s15, -1
	s_mov_b64 s[6:7], 0
	s_mov_b32 s33, 0
                                        ; implicit-def: $sgpr35
	s_set_inst_prefetch_distance 0x1
	s_branch .LBB1187_238
	.p2align	6
.LBB1187_236:                           ;   in Loop: Header=BB1187_238 Depth=1
	global_load_u16 v23, v[17:18], off
	global_load_u16 v24, v[19:20], off
	v_add_co_u32 v17, vcc_lo, v17, 2
	v_add_co_ci_u32_e32 v18, vcc_lo, 0, v18, vcc_lo
	v_add_co_u32 v19, s0, v19, 2
	s_delay_alu instid0(VALU_DEP_1)
	v_add_co_ci_u32_e64 v20, s0, 0, v20, s0
	s_add_u32 s6, s6, 1
	s_addc_u32 s7, s7, 0
	s_and_not1_b32 s0, s35, exec_lo
	s_waitcnt vmcnt(1)
	v_lshlrev_b32_e32 v23, 16, v23
	s_waitcnt vmcnt(0)
	v_lshlrev_b32_e32 v24, 16, v24
	s_delay_alu instid0(VALU_DEP_1) | instskip(SKIP_1) | instid1(SALU_CYCLE_1)
	v_cmp_neq_f32_e32 vcc_lo, v24, v23
	s_and_b32 s35, vcc_lo, exec_lo
	s_or_b32 s35, s0, s35
.LBB1187_237:                           ;   in Loop: Header=BB1187_238 Depth=1
	v_dual_mov_b32 v24, s7 :: v_dual_mov_b32 v23, s6
	s_and_b32 s0, exec_lo, s35
	s_delay_alu instid0(SALU_CYCLE_1) | instskip(NEXT) | instid1(SALU_CYCLE_1)
	s_or_b32 s33, s0, s33
	s_and_not1_b32 exec_lo, exec_lo, s33
	s_cbranch_execz .LBB1187_240
.LBB1187_238:                           ; =>This Inner Loop Header: Depth=1
	s_or_b32 s35, s35, exec_lo
	s_cmp_eq_u64 s[4:5], s[6:7]
	s_cbranch_scc0 .LBB1187_236
; %bb.239:                              ;   in Loop: Header=BB1187_238 Depth=1
	s_mov_b64 s[6:7], s[14:15]
                                        ; implicit-def: $vgpr17_vgpr18
                                        ; implicit-def: $vgpr19_vgpr20
	s_branch .LBB1187_237
.LBB1187_240:
	s_set_inst_prefetch_distance 0x2
	s_or_b32 exec_lo, exec_lo, s33
	v_cmp_gt_i64_e32 vcc_lo, s[14:15], v[23:24]
	s_or_not1_b32 s33, vcc_lo, exec_lo
.LBB1187_241:
	s_or_b32 exec_lo, exec_lo, s34
.LBB1187_242:
	v_mul_lo_u32 v19, v16, s14
	v_mul_lo_u32 v20, v15, s15
	v_mad_u64_u32 v[17:18], null, v15, s14, 0
	s_and_not1_b32 vcc_lo, exec_lo, s26
	s_delay_alu instid0(VALU_DEP_1) | instskip(NEXT) | instid1(VALU_DEP_1)
	v_add3_u32 v18, v18, v20, v19
	v_lshlrev_b64 v[19:20], 1, v[17:18]
	s_cbranch_vccnz .LBB1187_251
; %bb.243:
	v_add_co_u32 v17, vcc_lo, s16, v21
	v_add_co_ci_u32_e32 v18, vcc_lo, s17, v22, vcc_lo
	s_delay_alu instid0(VALU_DEP_3) | instskip(NEXT) | instid1(VALU_DEP_4)
	v_add_co_u32 v21, vcc_lo, s16, v19
	v_add_co_ci_u32_e32 v22, vcc_lo, s17, v20, vcc_lo
	s_mov_b32 s31, -1
	s_clause 0x1
	global_load_u16 v23, v[17:18], off
	global_load_u16 v24, v[21:22], off
	s_mov_b32 s34, exec_lo
	s_waitcnt vmcnt(1)
	v_lshlrev_b32_e32 v23, 16, v23
	s_waitcnt vmcnt(0)
	v_lshlrev_b32_e32 v24, 16, v24
	s_delay_alu instid0(VALU_DEP_1)
	v_cmpx_eq_f32_e32 v24, v23
	s_cbranch_execz .LBB1187_250
; %bb.244:
	v_add_co_u32 v17, vcc_lo, v17, 2
	v_add_co_ci_u32_e32 v18, vcc_lo, 0, v18, vcc_lo
	v_add_co_u32 v21, vcc_lo, v21, 2
	v_add_co_ci_u32_e32 v22, vcc_lo, 0, v22, vcc_lo
	s_add_u32 s4, s14, -1
	s_addc_u32 s5, s15, -1
	s_mov_b64 s[6:7], 0
	s_mov_b32 s31, 0
                                        ; implicit-def: $sgpr35
	s_set_inst_prefetch_distance 0x1
	s_branch .LBB1187_247
	.p2align	6
.LBB1187_245:                           ;   in Loop: Header=BB1187_247 Depth=1
	global_load_u16 v23, v[17:18], off
	global_load_u16 v24, v[21:22], off
	v_add_co_u32 v17, vcc_lo, v17, 2
	v_add_co_ci_u32_e32 v18, vcc_lo, 0, v18, vcc_lo
	v_add_co_u32 v21, s0, v21, 2
	s_delay_alu instid0(VALU_DEP_1)
	v_add_co_ci_u32_e64 v22, s0, 0, v22, s0
	s_add_u32 s6, s6, 1
	s_addc_u32 s7, s7, 0
	s_and_not1_b32 s0, s35, exec_lo
	s_waitcnt vmcnt(1)
	v_lshlrev_b32_e32 v23, 16, v23
	s_waitcnt vmcnt(0)
	v_lshlrev_b32_e32 v24, 16, v24
	s_delay_alu instid0(VALU_DEP_1) | instskip(SKIP_1) | instid1(SALU_CYCLE_1)
	v_cmp_neq_f32_e32 vcc_lo, v24, v23
	s_and_b32 s35, vcc_lo, exec_lo
	s_or_b32 s35, s0, s35
.LBB1187_246:                           ;   in Loop: Header=BB1187_247 Depth=1
	v_dual_mov_b32 v24, s7 :: v_dual_mov_b32 v23, s6
	s_and_b32 s0, exec_lo, s35
	s_delay_alu instid0(SALU_CYCLE_1) | instskip(NEXT) | instid1(SALU_CYCLE_1)
	s_or_b32 s31, s0, s31
	s_and_not1_b32 exec_lo, exec_lo, s31
	s_cbranch_execz .LBB1187_249
.LBB1187_247:                           ; =>This Inner Loop Header: Depth=1
	s_or_b32 s35, s35, exec_lo
	s_cmp_eq_u64 s[4:5], s[6:7]
	s_cbranch_scc0 .LBB1187_245
; %bb.248:                              ;   in Loop: Header=BB1187_247 Depth=1
	s_mov_b64 s[6:7], s[14:15]
                                        ; implicit-def: $vgpr17_vgpr18
                                        ; implicit-def: $vgpr21_vgpr22
	s_branch .LBB1187_246
.LBB1187_249:
	s_set_inst_prefetch_distance 0x2
	s_or_b32 exec_lo, exec_lo, s31
	v_cmp_gt_i64_e32 vcc_lo, s[14:15], v[23:24]
	s_or_not1_b32 s31, vcc_lo, exec_lo
.LBB1187_250:
	s_or_b32 exec_lo, exec_lo, s34
.LBB1187_251:
	v_mul_lo_u32 v21, v14, s14
	v_mul_lo_u32 v22, v13, s15
	v_mad_u64_u32 v[17:18], null, v13, s14, 0
	s_and_not1_b32 vcc_lo, exec_lo, s26
	s_mov_b32 s0, 0
	s_delay_alu instid0(VALU_DEP_1)
	v_add3_u32 v18, v18, v22, v21
	s_cbranch_vccnz .LBB1187_260
; %bb.252:
	s_delay_alu instid0(VALU_DEP_1) | instskip(SKIP_3) | instid1(VALU_DEP_3)
	v_lshlrev_b64 v[21:22], 1, v[17:18]
	v_add_co_u32 v19, vcc_lo, s16, v19
	v_add_co_ci_u32_e32 v20, vcc_lo, s17, v20, vcc_lo
	s_mov_b32 s0, -1
	v_add_co_u32 v21, vcc_lo, s16, v21
	s_delay_alu instid0(VALU_DEP_4)
	v_add_co_ci_u32_e32 v22, vcc_lo, s17, v22, vcc_lo
	s_mov_b32 s34, exec_lo
	s_clause 0x1
	global_load_u16 v23, v[19:20], off
	global_load_u16 v24, v[21:22], off
	s_waitcnt vmcnt(1)
	v_lshlrev_b32_e32 v23, 16, v23
	s_waitcnt vmcnt(0)
	v_lshlrev_b32_e32 v24, 16, v24
	s_delay_alu instid0(VALU_DEP_1)
	v_cmpx_eq_f32_e32 v24, v23
	s_cbranch_execz .LBB1187_259
; %bb.253:
	v_add_co_u32 v19, vcc_lo, v19, 2
	v_add_co_ci_u32_e32 v20, vcc_lo, 0, v20, vcc_lo
	v_add_co_u32 v21, vcc_lo, v21, 2
	v_add_co_ci_u32_e32 v22, vcc_lo, 0, v22, vcc_lo
	s_add_u32 s4, s14, -1
	s_addc_u32 s5, s15, -1
	s_mov_b64 s[6:7], 0
	s_mov_b32 s35, 0
                                        ; implicit-def: $sgpr36
	s_set_inst_prefetch_distance 0x1
	s_branch .LBB1187_256
	.p2align	6
.LBB1187_254:                           ;   in Loop: Header=BB1187_256 Depth=1
	global_load_u16 v23, v[19:20], off
	global_load_u16 v24, v[21:22], off
	v_add_co_u32 v19, vcc_lo, v19, 2
	v_add_co_ci_u32_e32 v20, vcc_lo, 0, v20, vcc_lo
	v_add_co_u32 v21, s0, v21, 2
	s_delay_alu instid0(VALU_DEP_1)
	v_add_co_ci_u32_e64 v22, s0, 0, v22, s0
	s_add_u32 s6, s6, 1
	s_addc_u32 s7, s7, 0
	s_and_not1_b32 s0, s36, exec_lo
	s_waitcnt vmcnt(1)
	v_lshlrev_b32_e32 v23, 16, v23
	s_waitcnt vmcnt(0)
	v_lshlrev_b32_e32 v24, 16, v24
	s_delay_alu instid0(VALU_DEP_1) | instskip(SKIP_1) | instid1(SALU_CYCLE_1)
	v_cmp_neq_f32_e32 vcc_lo, v24, v23
	s_and_b32 s36, vcc_lo, exec_lo
	s_or_b32 s36, s0, s36
.LBB1187_255:                           ;   in Loop: Header=BB1187_256 Depth=1
	v_dual_mov_b32 v24, s7 :: v_dual_mov_b32 v23, s6
	s_and_b32 s0, exec_lo, s36
	s_delay_alu instid0(SALU_CYCLE_1) | instskip(NEXT) | instid1(SALU_CYCLE_1)
	s_or_b32 s35, s0, s35
	s_and_not1_b32 exec_lo, exec_lo, s35
	s_cbranch_execz .LBB1187_258
.LBB1187_256:                           ; =>This Inner Loop Header: Depth=1
	s_or_b32 s36, s36, exec_lo
	s_cmp_eq_u64 s[4:5], s[6:7]
	s_cbranch_scc0 .LBB1187_254
; %bb.257:                              ;   in Loop: Header=BB1187_256 Depth=1
	s_mov_b64 s[6:7], s[14:15]
                                        ; implicit-def: $vgpr19_vgpr20
                                        ; implicit-def: $vgpr21_vgpr22
	s_branch .LBB1187_255
.LBB1187_258:
	s_set_inst_prefetch_distance 0x2
	s_or_b32 exec_lo, exec_lo, s35
	v_cmp_gt_i64_e32 vcc_lo, s[14:15], v[23:24]
	s_or_not1_b32 s0, vcc_lo, exec_lo
.LBB1187_259:
	s_or_b32 exec_lo, exec_lo, s34
.LBB1187_260:
	v_cndmask_b32_e64 v20, 0, 1, s33
	v_cndmask_b32_e64 v21, 0, 1, s30
	;; [unrolled: 1-line block ×7, first 2 shown]
	v_lshlrev_b16 v21, 8, v21
	v_lshlrev_b16 v22, 8, v22
	;; [unrolled: 1-line block ×4, first 2 shown]
	s_waitcnt lgkmcnt(0)
	v_or_b32_e32 v21, v24, v21
	v_or_b32_e32 v22, v25, v22
	;; [unrolled: 1-line block ×4, first 2 shown]
	s_barrier
	v_and_b32_e32 v20, 0xffff, v21
	v_lshlrev_b32_e32 v21, 16, v22
	v_and_b32_e32 v22, 0xffff, v23
	v_lshlrev_b32_e32 v19, 16, v19
	buffer_gl0_inv
                                        ; implicit-def: $sgpr0
	v_or_b32_e32 v20, v20, v21
	v_or_b32_e32 v19, v22, v19
	s_and_saveexec_b32 s4, s3
	s_delay_alu instid0(SALU_CYCLE_1)
	s_xor_b32 s27, exec_lo, s4
	s_cbranch_execz .LBB1187_271
; %bb.261:
	s_and_not1_b32 vcc_lo, exec_lo, s26
	s_mov_b32 s0, 0
	s_cbranch_vccnz .LBB1187_270
; %bb.262:
	v_add_nc_u32_e32 v21, -8, v39
	v_lshlrev_b64 v[17:18], 1, v[17:18]
	s_mov_b32 s0, -1
	s_mov_b32 s28, exec_lo
	ds_load_b64 v[21:22], v21
	s_waitcnt lgkmcnt(0)
	v_mul_lo_u32 v24, v22, s14
	v_mul_lo_u32 v25, v21, s15
	v_mad_u64_u32 v[22:23], null, v21, s14, 0
	s_delay_alu instid0(VALU_DEP_1) | instskip(NEXT) | instid1(VALU_DEP_1)
	v_add3_u32 v23, v23, v25, v24
	v_lshlrev_b64 v[21:22], 1, v[22:23]
	s_delay_alu instid0(VALU_DEP_1) | instskip(NEXT) | instid1(VALU_DEP_2)
	v_add_co_u32 v21, vcc_lo, s16, v21
	v_add_co_ci_u32_e32 v22, vcc_lo, s17, v22, vcc_lo
	v_add_co_u32 v17, vcc_lo, s16, v17
	v_add_co_ci_u32_e32 v18, vcc_lo, s17, v18, vcc_lo
	s_clause 0x1
	global_load_u16 v23, v[21:22], off
	global_load_u16 v24, v[17:18], off
	s_waitcnt vmcnt(1)
	v_lshlrev_b32_e32 v23, 16, v23
	s_waitcnt vmcnt(0)
	v_lshlrev_b32_e32 v24, 16, v24
	s_delay_alu instid0(VALU_DEP_1)
	v_cmpx_eq_f32_e32 v23, v24
	s_cbranch_execz .LBB1187_269
; %bb.263:
	v_add_co_u32 v17, vcc_lo, v17, 2
	v_add_co_ci_u32_e32 v18, vcc_lo, 0, v18, vcc_lo
	v_add_co_u32 v21, vcc_lo, v21, 2
	v_add_co_ci_u32_e32 v22, vcc_lo, 0, v22, vcc_lo
	s_add_u32 s4, s14, -1
	s_addc_u32 s5, s15, -1
	s_mov_b64 s[6:7], 0
	s_mov_b32 s29, 0
                                        ; implicit-def: $sgpr30
	s_set_inst_prefetch_distance 0x1
	s_branch .LBB1187_266
	.p2align	6
.LBB1187_264:                           ;   in Loop: Header=BB1187_266 Depth=1
	global_load_u16 v23, v[17:18], off
	global_load_u16 v24, v[21:22], off
	v_add_co_u32 v17, vcc_lo, v17, 2
	v_add_co_ci_u32_e32 v18, vcc_lo, 0, v18, vcc_lo
	v_add_co_u32 v21, s0, v21, 2
	s_delay_alu instid0(VALU_DEP_1)
	v_add_co_ci_u32_e64 v22, s0, 0, v22, s0
	s_add_u32 s6, s6, 1
	s_addc_u32 s7, s7, 0
	s_and_not1_b32 s0, s30, exec_lo
	s_waitcnt vmcnt(1)
	v_lshlrev_b32_e32 v23, 16, v23
	s_waitcnt vmcnt(0)
	v_lshlrev_b32_e32 v24, 16, v24
	s_delay_alu instid0(VALU_DEP_1) | instskip(SKIP_1) | instid1(SALU_CYCLE_1)
	v_cmp_neq_f32_e32 vcc_lo, v24, v23
	s_and_b32 s30, vcc_lo, exec_lo
	s_or_b32 s30, s0, s30
.LBB1187_265:                           ;   in Loop: Header=BB1187_266 Depth=1
	v_dual_mov_b32 v24, s7 :: v_dual_mov_b32 v23, s6
	s_and_b32 s0, exec_lo, s30
	s_delay_alu instid0(SALU_CYCLE_1) | instskip(NEXT) | instid1(SALU_CYCLE_1)
	s_or_b32 s29, s0, s29
	s_and_not1_b32 exec_lo, exec_lo, s29
	s_cbranch_execz .LBB1187_268
.LBB1187_266:                           ; =>This Inner Loop Header: Depth=1
	s_or_b32 s30, s30, exec_lo
	s_cmp_eq_u64 s[4:5], s[6:7]
	s_cbranch_scc0 .LBB1187_264
; %bb.267:                              ;   in Loop: Header=BB1187_266 Depth=1
	s_mov_b64 s[6:7], s[14:15]
                                        ; implicit-def: $vgpr17_vgpr18
                                        ; implicit-def: $vgpr21_vgpr22
	s_branch .LBB1187_265
.LBB1187_268:
	s_set_inst_prefetch_distance 0x2
	s_or_b32 exec_lo, exec_lo, s29
	v_cmp_gt_i64_e32 vcc_lo, s[14:15], v[23:24]
	s_or_not1_b32 s0, vcc_lo, exec_lo
.LBB1187_269:
	s_or_b32 exec_lo, exec_lo, s28
.LBB1187_270:
	s_delay_alu instid0(SALU_CYCLE_1)
	s_and_b32 s0, s0, exec_lo
	s_or_b32 s25, s25, exec_lo
.LBB1187_271:
	s_or_b32 exec_lo, exec_lo, s27
	s_branch .LBB1187_363
.LBB1187_272:
	s_waitcnt vmcnt(0) lgkmcnt(1)
	v_or_b32_e32 v17, 7, v39
	s_mov_b32 s27, 0
	s_mov_b32 s28, 0
	s_mov_b32 s29, exec_lo
	s_delay_alu instid0(VALU_DEP_1)
	v_cmpx_gt_u32_e64 s12, v17
	s_cbranch_execz .LBB1187_283
; %bb.273:
	s_and_not1_b32 vcc_lo, exec_lo, s26
	s_mov_b32 s0, 0
	s_cbranch_vccnz .LBB1187_282
; %bb.274:
	v_mul_lo_u32 v21, v4, s14
	v_mul_lo_u32 v22, v3, s15
	v_mad_u64_u32 v[17:18], null, v3, s14, 0
	v_mul_lo_u32 v23, v2, s14
	v_mul_lo_u32 v24, v1, s15
	v_mad_u64_u32 v[19:20], null, v1, s14, 0
	s_mov_b32 s0, -1
	s_mov_b32 s28, exec_lo
	s_delay_alu instid0(VALU_DEP_4) | instskip(NEXT) | instid1(VALU_DEP_2)
	v_add3_u32 v18, v18, v22, v21
	v_add3_u32 v20, v20, v24, v23
	s_delay_alu instid0(VALU_DEP_2) | instskip(NEXT) | instid1(VALU_DEP_2)
	v_lshlrev_b64 v[17:18], 1, v[17:18]
	v_lshlrev_b64 v[19:20], 1, v[19:20]
	s_delay_alu instid0(VALU_DEP_2) | instskip(NEXT) | instid1(VALU_DEP_3)
	v_add_co_u32 v17, vcc_lo, s16, v17
	v_add_co_ci_u32_e32 v18, vcc_lo, s17, v18, vcc_lo
	s_delay_alu instid0(VALU_DEP_3) | instskip(NEXT) | instid1(VALU_DEP_4)
	v_add_co_u32 v19, vcc_lo, s16, v19
	v_add_co_ci_u32_e32 v20, vcc_lo, s17, v20, vcc_lo
	s_clause 0x1
	global_load_u16 v21, v[17:18], off
	global_load_u16 v22, v[19:20], off
	s_waitcnt vmcnt(1)
	v_lshlrev_b32_e32 v21, 16, v21
	s_waitcnt vmcnt(0)
	v_lshlrev_b32_e32 v22, 16, v22
	s_delay_alu instid0(VALU_DEP_1)
	v_cmpx_eq_f32_e32 v22, v21
	s_cbranch_execz .LBB1187_281
; %bb.275:
	v_add_co_u32 v17, vcc_lo, v17, 2
	v_add_co_ci_u32_e32 v18, vcc_lo, 0, v18, vcc_lo
	v_add_co_u32 v19, vcc_lo, v19, 2
	v_add_co_ci_u32_e32 v20, vcc_lo, 0, v20, vcc_lo
	s_add_u32 s4, s14, -1
	s_addc_u32 s5, s15, -1
	s_mov_b64 s[6:7], 0
	s_mov_b32 s30, 0
                                        ; implicit-def: $sgpr31
	s_set_inst_prefetch_distance 0x1
	s_branch .LBB1187_278
	.p2align	6
.LBB1187_276:                           ;   in Loop: Header=BB1187_278 Depth=1
	global_load_u16 v21, v[17:18], off
	global_load_u16 v22, v[19:20], off
	v_add_co_u32 v17, vcc_lo, v17, 2
	v_add_co_ci_u32_e32 v18, vcc_lo, 0, v18, vcc_lo
	v_add_co_u32 v19, s0, v19, 2
	s_delay_alu instid0(VALU_DEP_1)
	v_add_co_ci_u32_e64 v20, s0, 0, v20, s0
	s_add_u32 s6, s6, 1
	s_addc_u32 s7, s7, 0
	s_and_not1_b32 s0, s31, exec_lo
	s_waitcnt vmcnt(1)
	v_lshlrev_b32_e32 v21, 16, v21
	s_waitcnt vmcnt(0)
	v_lshlrev_b32_e32 v22, 16, v22
	s_delay_alu instid0(VALU_DEP_1) | instskip(SKIP_1) | instid1(SALU_CYCLE_1)
	v_cmp_neq_f32_e32 vcc_lo, v22, v21
	s_and_b32 s31, vcc_lo, exec_lo
	s_or_b32 s31, s0, s31
.LBB1187_277:                           ;   in Loop: Header=BB1187_278 Depth=1
	v_dual_mov_b32 v22, s7 :: v_dual_mov_b32 v21, s6
	s_and_b32 s0, exec_lo, s31
	s_delay_alu instid0(SALU_CYCLE_1) | instskip(NEXT) | instid1(SALU_CYCLE_1)
	s_or_b32 s30, s0, s30
	s_and_not1_b32 exec_lo, exec_lo, s30
	s_cbranch_execz .LBB1187_280
.LBB1187_278:                           ; =>This Inner Loop Header: Depth=1
	s_or_b32 s31, s31, exec_lo
	s_cmp_eq_u64 s[4:5], s[6:7]
	s_cbranch_scc0 .LBB1187_276
; %bb.279:                              ;   in Loop: Header=BB1187_278 Depth=1
	s_mov_b64 s[6:7], s[14:15]
                                        ; implicit-def: $vgpr17_vgpr18
                                        ; implicit-def: $vgpr19_vgpr20
	s_branch .LBB1187_277
.LBB1187_280:
	s_set_inst_prefetch_distance 0x2
	s_or_b32 exec_lo, exec_lo, s30
	v_cmp_gt_i64_e32 vcc_lo, s[14:15], v[21:22]
	s_or_not1_b32 s0, vcc_lo, exec_lo
.LBB1187_281:
	s_or_b32 exec_lo, exec_lo, s28
.LBB1187_282:
	s_delay_alu instid0(SALU_CYCLE_1)
	s_and_b32 s28, s0, exec_lo
.LBB1187_283:
	s_or_b32 exec_lo, exec_lo, s29
	v_or_b32_e32 v17, 6, v39
	s_mov_b32 s29, exec_lo
	s_delay_alu instid0(VALU_DEP_1)
	v_cmpx_gt_u32_e64 s12, v17
	s_cbranch_execz .LBB1187_294
; %bb.284:
	s_and_not1_b32 vcc_lo, exec_lo, s26
	s_mov_b32 s0, 0
	s_cbranch_vccnz .LBB1187_293
; %bb.285:
	v_mul_lo_u32 v21, v2, s14
	v_mul_lo_u32 v22, v1, s15
	v_mad_u64_u32 v[17:18], null, v1, s14, 0
	v_mul_lo_u32 v23, v8, s14
	v_mul_lo_u32 v24, v7, s15
	v_mad_u64_u32 v[19:20], null, v7, s14, 0
	s_mov_b32 s0, -1
	s_mov_b32 s27, exec_lo
	s_delay_alu instid0(VALU_DEP_4) | instskip(NEXT) | instid1(VALU_DEP_2)
	v_add3_u32 v18, v18, v22, v21
	v_add3_u32 v20, v20, v24, v23
	s_delay_alu instid0(VALU_DEP_2) | instskip(NEXT) | instid1(VALU_DEP_2)
	v_lshlrev_b64 v[17:18], 1, v[17:18]
	v_lshlrev_b64 v[19:20], 1, v[19:20]
	s_delay_alu instid0(VALU_DEP_2) | instskip(NEXT) | instid1(VALU_DEP_3)
	v_add_co_u32 v17, vcc_lo, s16, v17
	v_add_co_ci_u32_e32 v18, vcc_lo, s17, v18, vcc_lo
	s_delay_alu instid0(VALU_DEP_3) | instskip(NEXT) | instid1(VALU_DEP_4)
	v_add_co_u32 v19, vcc_lo, s16, v19
	v_add_co_ci_u32_e32 v20, vcc_lo, s17, v20, vcc_lo
	s_clause 0x1
	global_load_u16 v21, v[17:18], off
	global_load_u16 v22, v[19:20], off
	s_waitcnt vmcnt(1)
	v_lshlrev_b32_e32 v21, 16, v21
	s_waitcnt vmcnt(0)
	v_lshlrev_b32_e32 v22, 16, v22
	s_delay_alu instid0(VALU_DEP_1)
	v_cmpx_eq_f32_e32 v22, v21
	s_cbranch_execz .LBB1187_292
; %bb.286:
	v_add_co_u32 v17, vcc_lo, v17, 2
	v_add_co_ci_u32_e32 v18, vcc_lo, 0, v18, vcc_lo
	v_add_co_u32 v19, vcc_lo, v19, 2
	v_add_co_ci_u32_e32 v20, vcc_lo, 0, v20, vcc_lo
	s_add_u32 s4, s14, -1
	s_addc_u32 s5, s15, -1
	s_mov_b64 s[6:7], 0
	s_mov_b32 s30, 0
                                        ; implicit-def: $sgpr31
	s_set_inst_prefetch_distance 0x1
	s_branch .LBB1187_289
	.p2align	6
.LBB1187_287:                           ;   in Loop: Header=BB1187_289 Depth=1
	global_load_u16 v21, v[17:18], off
	global_load_u16 v22, v[19:20], off
	v_add_co_u32 v17, vcc_lo, v17, 2
	v_add_co_ci_u32_e32 v18, vcc_lo, 0, v18, vcc_lo
	v_add_co_u32 v19, s0, v19, 2
	s_delay_alu instid0(VALU_DEP_1)
	v_add_co_ci_u32_e64 v20, s0, 0, v20, s0
	s_add_u32 s6, s6, 1
	s_addc_u32 s7, s7, 0
	s_and_not1_b32 s0, s31, exec_lo
	s_waitcnt vmcnt(1)
	v_lshlrev_b32_e32 v21, 16, v21
	s_waitcnt vmcnt(0)
	v_lshlrev_b32_e32 v22, 16, v22
	s_delay_alu instid0(VALU_DEP_1) | instskip(SKIP_1) | instid1(SALU_CYCLE_1)
	v_cmp_neq_f32_e32 vcc_lo, v22, v21
	s_and_b32 s31, vcc_lo, exec_lo
	s_or_b32 s31, s0, s31
.LBB1187_288:                           ;   in Loop: Header=BB1187_289 Depth=1
	v_dual_mov_b32 v22, s7 :: v_dual_mov_b32 v21, s6
	s_and_b32 s0, exec_lo, s31
	s_delay_alu instid0(SALU_CYCLE_1) | instskip(NEXT) | instid1(SALU_CYCLE_1)
	s_or_b32 s30, s0, s30
	s_and_not1_b32 exec_lo, exec_lo, s30
	s_cbranch_execz .LBB1187_291
.LBB1187_289:                           ; =>This Inner Loop Header: Depth=1
	s_or_b32 s31, s31, exec_lo
	s_cmp_eq_u64 s[4:5], s[6:7]
	s_cbranch_scc0 .LBB1187_287
; %bb.290:                              ;   in Loop: Header=BB1187_289 Depth=1
	s_mov_b64 s[6:7], s[14:15]
                                        ; implicit-def: $vgpr17_vgpr18
                                        ; implicit-def: $vgpr19_vgpr20
	s_branch .LBB1187_288
.LBB1187_291:
	s_set_inst_prefetch_distance 0x2
	s_or_b32 exec_lo, exec_lo, s30
	v_cmp_gt_i64_e32 vcc_lo, s[14:15], v[21:22]
	s_or_not1_b32 s0, vcc_lo, exec_lo
.LBB1187_292:
	s_or_b32 exec_lo, exec_lo, s27
.LBB1187_293:
	s_delay_alu instid0(SALU_CYCLE_1)
	s_and_b32 s27, s0, exec_lo
.LBB1187_294:
	s_or_b32 exec_lo, exec_lo, s29
	v_or_b32_e32 v17, 5, v39
	s_mov_b32 s29, 0
	s_mov_b32 s30, 0
	s_mov_b32 s31, exec_lo
	s_delay_alu instid0(VALU_DEP_1)
	v_cmpx_gt_u32_e64 s12, v17
	s_cbranch_execz .LBB1187_305
; %bb.295:
	s_and_not1_b32 vcc_lo, exec_lo, s26
	s_mov_b32 s0, 0
	s_cbranch_vccnz .LBB1187_304
; %bb.296:
	v_mul_lo_u32 v21, v8, s14
	v_mul_lo_u32 v22, v7, s15
	v_mad_u64_u32 v[17:18], null, v7, s14, 0
	v_mul_lo_u32 v23, v6, s14
	v_mul_lo_u32 v24, v5, s15
	v_mad_u64_u32 v[19:20], null, v5, s14, 0
	s_mov_b32 s0, -1
	s_mov_b32 s30, exec_lo
	s_delay_alu instid0(VALU_DEP_4) | instskip(NEXT) | instid1(VALU_DEP_2)
	v_add3_u32 v18, v18, v22, v21
	v_add3_u32 v20, v20, v24, v23
	s_delay_alu instid0(VALU_DEP_2) | instskip(NEXT) | instid1(VALU_DEP_2)
	v_lshlrev_b64 v[17:18], 1, v[17:18]
	v_lshlrev_b64 v[19:20], 1, v[19:20]
	s_delay_alu instid0(VALU_DEP_2) | instskip(NEXT) | instid1(VALU_DEP_3)
	v_add_co_u32 v17, vcc_lo, s16, v17
	v_add_co_ci_u32_e32 v18, vcc_lo, s17, v18, vcc_lo
	s_delay_alu instid0(VALU_DEP_3) | instskip(NEXT) | instid1(VALU_DEP_4)
	v_add_co_u32 v19, vcc_lo, s16, v19
	v_add_co_ci_u32_e32 v20, vcc_lo, s17, v20, vcc_lo
	s_clause 0x1
	global_load_u16 v21, v[17:18], off
	global_load_u16 v22, v[19:20], off
	s_waitcnt vmcnt(1)
	v_lshlrev_b32_e32 v21, 16, v21
	s_waitcnt vmcnt(0)
	v_lshlrev_b32_e32 v22, 16, v22
	s_delay_alu instid0(VALU_DEP_1)
	v_cmpx_eq_f32_e32 v22, v21
	s_cbranch_execz .LBB1187_303
; %bb.297:
	v_add_co_u32 v17, vcc_lo, v17, 2
	v_add_co_ci_u32_e32 v18, vcc_lo, 0, v18, vcc_lo
	v_add_co_u32 v19, vcc_lo, v19, 2
	v_add_co_ci_u32_e32 v20, vcc_lo, 0, v20, vcc_lo
	s_add_u32 s4, s14, -1
	s_addc_u32 s5, s15, -1
	s_mov_b64 s[6:7], 0
	s_mov_b32 s33, 0
                                        ; implicit-def: $sgpr34
	s_set_inst_prefetch_distance 0x1
	s_branch .LBB1187_300
	.p2align	6
.LBB1187_298:                           ;   in Loop: Header=BB1187_300 Depth=1
	global_load_u16 v21, v[17:18], off
	global_load_u16 v22, v[19:20], off
	v_add_co_u32 v17, vcc_lo, v17, 2
	v_add_co_ci_u32_e32 v18, vcc_lo, 0, v18, vcc_lo
	v_add_co_u32 v19, s0, v19, 2
	s_delay_alu instid0(VALU_DEP_1)
	v_add_co_ci_u32_e64 v20, s0, 0, v20, s0
	s_add_u32 s6, s6, 1
	s_addc_u32 s7, s7, 0
	s_and_not1_b32 s0, s34, exec_lo
	s_waitcnt vmcnt(1)
	v_lshlrev_b32_e32 v21, 16, v21
	s_waitcnt vmcnt(0)
	v_lshlrev_b32_e32 v22, 16, v22
	s_delay_alu instid0(VALU_DEP_1) | instskip(SKIP_1) | instid1(SALU_CYCLE_1)
	v_cmp_neq_f32_e32 vcc_lo, v22, v21
	s_and_b32 s34, vcc_lo, exec_lo
	s_or_b32 s34, s0, s34
.LBB1187_299:                           ;   in Loop: Header=BB1187_300 Depth=1
	v_dual_mov_b32 v22, s7 :: v_dual_mov_b32 v21, s6
	s_and_b32 s0, exec_lo, s34
	s_delay_alu instid0(SALU_CYCLE_1) | instskip(NEXT) | instid1(SALU_CYCLE_1)
	s_or_b32 s33, s0, s33
	s_and_not1_b32 exec_lo, exec_lo, s33
	s_cbranch_execz .LBB1187_302
.LBB1187_300:                           ; =>This Inner Loop Header: Depth=1
	s_or_b32 s34, s34, exec_lo
	s_cmp_eq_u64 s[4:5], s[6:7]
	s_cbranch_scc0 .LBB1187_298
; %bb.301:                              ;   in Loop: Header=BB1187_300 Depth=1
	s_mov_b64 s[6:7], s[14:15]
                                        ; implicit-def: $vgpr17_vgpr18
                                        ; implicit-def: $vgpr19_vgpr20
	s_branch .LBB1187_299
.LBB1187_302:
	s_set_inst_prefetch_distance 0x2
	s_or_b32 exec_lo, exec_lo, s33
	v_cmp_gt_i64_e32 vcc_lo, s[14:15], v[21:22]
	s_or_not1_b32 s0, vcc_lo, exec_lo
.LBB1187_303:
	s_or_b32 exec_lo, exec_lo, s30
.LBB1187_304:
	s_delay_alu instid0(SALU_CYCLE_1)
	s_and_b32 s30, s0, exec_lo
.LBB1187_305:
	s_or_b32 exec_lo, exec_lo, s31
	v_or_b32_e32 v17, 4, v39
	s_mov_b32 s31, exec_lo
	s_delay_alu instid0(VALU_DEP_1)
	v_cmpx_gt_u32_e64 s12, v17
	s_cbranch_execz .LBB1187_316
; %bb.306:
	s_and_not1_b32 vcc_lo, exec_lo, s26
	s_mov_b32 s0, 0
	s_cbranch_vccnz .LBB1187_315
; %bb.307:
	v_mul_lo_u32 v21, v6, s14
	v_mul_lo_u32 v22, v5, s15
	v_mad_u64_u32 v[17:18], null, v5, s14, 0
	v_mul_lo_u32 v23, v12, s14
	v_mul_lo_u32 v24, v11, s15
	v_mad_u64_u32 v[19:20], null, v11, s14, 0
	s_mov_b32 s0, -1
	s_mov_b32 s29, exec_lo
	s_delay_alu instid0(VALU_DEP_4) | instskip(NEXT) | instid1(VALU_DEP_2)
	v_add3_u32 v18, v18, v22, v21
	v_add3_u32 v20, v20, v24, v23
	s_delay_alu instid0(VALU_DEP_2) | instskip(NEXT) | instid1(VALU_DEP_2)
	v_lshlrev_b64 v[17:18], 1, v[17:18]
	v_lshlrev_b64 v[19:20], 1, v[19:20]
	s_delay_alu instid0(VALU_DEP_2) | instskip(NEXT) | instid1(VALU_DEP_3)
	v_add_co_u32 v17, vcc_lo, s16, v17
	v_add_co_ci_u32_e32 v18, vcc_lo, s17, v18, vcc_lo
	s_delay_alu instid0(VALU_DEP_3) | instskip(NEXT) | instid1(VALU_DEP_4)
	v_add_co_u32 v19, vcc_lo, s16, v19
	v_add_co_ci_u32_e32 v20, vcc_lo, s17, v20, vcc_lo
	s_clause 0x1
	global_load_u16 v21, v[17:18], off
	global_load_u16 v22, v[19:20], off
	s_waitcnt vmcnt(1)
	v_lshlrev_b32_e32 v21, 16, v21
	s_waitcnt vmcnt(0)
	v_lshlrev_b32_e32 v22, 16, v22
	s_delay_alu instid0(VALU_DEP_1)
	v_cmpx_eq_f32_e32 v22, v21
	s_cbranch_execz .LBB1187_314
; %bb.308:
	v_add_co_u32 v17, vcc_lo, v17, 2
	v_add_co_ci_u32_e32 v18, vcc_lo, 0, v18, vcc_lo
	v_add_co_u32 v19, vcc_lo, v19, 2
	v_add_co_ci_u32_e32 v20, vcc_lo, 0, v20, vcc_lo
	s_add_u32 s4, s14, -1
	s_addc_u32 s5, s15, -1
	s_mov_b64 s[6:7], 0
	s_mov_b32 s33, 0
                                        ; implicit-def: $sgpr34
	s_set_inst_prefetch_distance 0x1
	s_branch .LBB1187_311
	.p2align	6
.LBB1187_309:                           ;   in Loop: Header=BB1187_311 Depth=1
	global_load_u16 v21, v[17:18], off
	global_load_u16 v22, v[19:20], off
	v_add_co_u32 v17, vcc_lo, v17, 2
	v_add_co_ci_u32_e32 v18, vcc_lo, 0, v18, vcc_lo
	v_add_co_u32 v19, s0, v19, 2
	s_delay_alu instid0(VALU_DEP_1)
	v_add_co_ci_u32_e64 v20, s0, 0, v20, s0
	s_add_u32 s6, s6, 1
	s_addc_u32 s7, s7, 0
	s_and_not1_b32 s0, s34, exec_lo
	s_waitcnt vmcnt(1)
	v_lshlrev_b32_e32 v21, 16, v21
	s_waitcnt vmcnt(0)
	v_lshlrev_b32_e32 v22, 16, v22
	s_delay_alu instid0(VALU_DEP_1) | instskip(SKIP_1) | instid1(SALU_CYCLE_1)
	v_cmp_neq_f32_e32 vcc_lo, v22, v21
	s_and_b32 s34, vcc_lo, exec_lo
	s_or_b32 s34, s0, s34
.LBB1187_310:                           ;   in Loop: Header=BB1187_311 Depth=1
	v_dual_mov_b32 v22, s7 :: v_dual_mov_b32 v21, s6
	s_and_b32 s0, exec_lo, s34
	s_delay_alu instid0(SALU_CYCLE_1) | instskip(NEXT) | instid1(SALU_CYCLE_1)
	s_or_b32 s33, s0, s33
	s_and_not1_b32 exec_lo, exec_lo, s33
	s_cbranch_execz .LBB1187_313
.LBB1187_311:                           ; =>This Inner Loop Header: Depth=1
	s_or_b32 s34, s34, exec_lo
	s_cmp_eq_u64 s[4:5], s[6:7]
	s_cbranch_scc0 .LBB1187_309
; %bb.312:                              ;   in Loop: Header=BB1187_311 Depth=1
	s_mov_b64 s[6:7], s[14:15]
                                        ; implicit-def: $vgpr17_vgpr18
                                        ; implicit-def: $vgpr19_vgpr20
	s_branch .LBB1187_310
.LBB1187_313:
	s_set_inst_prefetch_distance 0x2
	s_or_b32 exec_lo, exec_lo, s33
	v_cmp_gt_i64_e32 vcc_lo, s[14:15], v[21:22]
	s_or_not1_b32 s0, vcc_lo, exec_lo
.LBB1187_314:
	s_or_b32 exec_lo, exec_lo, s29
.LBB1187_315:
	s_delay_alu instid0(SALU_CYCLE_1)
	s_and_b32 s29, s0, exec_lo
.LBB1187_316:
	s_or_b32 exec_lo, exec_lo, s31
	v_or_b32_e32 v17, 3, v39
	s_mov_b32 s33, 0
	s_mov_b32 s31, 0
	s_mov_b32 s34, exec_lo
	s_delay_alu instid0(VALU_DEP_1)
	v_cmpx_gt_u32_e64 s12, v17
	s_cbranch_execz .LBB1187_327
; %bb.317:
	s_and_not1_b32 vcc_lo, exec_lo, s26
	s_mov_b32 s0, 0
	s_cbranch_vccnz .LBB1187_326
; %bb.318:
	v_mul_lo_u32 v21, v12, s14
	v_mul_lo_u32 v22, v11, s15
	v_mad_u64_u32 v[17:18], null, v11, s14, 0
	v_mul_lo_u32 v23, v10, s14
	v_mul_lo_u32 v24, v9, s15
	v_mad_u64_u32 v[19:20], null, v9, s14, 0
	s_mov_b32 s0, -1
	s_mov_b32 s31, exec_lo
	s_delay_alu instid0(VALU_DEP_4) | instskip(NEXT) | instid1(VALU_DEP_2)
	v_add3_u32 v18, v18, v22, v21
	v_add3_u32 v20, v20, v24, v23
	s_delay_alu instid0(VALU_DEP_2) | instskip(NEXT) | instid1(VALU_DEP_2)
	v_lshlrev_b64 v[17:18], 1, v[17:18]
	v_lshlrev_b64 v[19:20], 1, v[19:20]
	s_delay_alu instid0(VALU_DEP_2) | instskip(NEXT) | instid1(VALU_DEP_3)
	v_add_co_u32 v17, vcc_lo, s16, v17
	v_add_co_ci_u32_e32 v18, vcc_lo, s17, v18, vcc_lo
	s_delay_alu instid0(VALU_DEP_3) | instskip(NEXT) | instid1(VALU_DEP_4)
	v_add_co_u32 v19, vcc_lo, s16, v19
	v_add_co_ci_u32_e32 v20, vcc_lo, s17, v20, vcc_lo
	s_clause 0x1
	global_load_u16 v21, v[17:18], off
	global_load_u16 v22, v[19:20], off
	s_waitcnt vmcnt(1)
	v_lshlrev_b32_e32 v21, 16, v21
	s_waitcnt vmcnt(0)
	v_lshlrev_b32_e32 v22, 16, v22
	s_delay_alu instid0(VALU_DEP_1)
	v_cmpx_eq_f32_e32 v22, v21
	s_cbranch_execz .LBB1187_325
; %bb.319:
	v_add_co_u32 v17, vcc_lo, v17, 2
	v_add_co_ci_u32_e32 v18, vcc_lo, 0, v18, vcc_lo
	v_add_co_u32 v19, vcc_lo, v19, 2
	v_add_co_ci_u32_e32 v20, vcc_lo, 0, v20, vcc_lo
	s_add_u32 s4, s14, -1
	s_addc_u32 s5, s15, -1
	s_mov_b64 s[6:7], 0
	s_mov_b32 s35, 0
                                        ; implicit-def: $sgpr36
	s_set_inst_prefetch_distance 0x1
	s_branch .LBB1187_322
	.p2align	6
.LBB1187_320:                           ;   in Loop: Header=BB1187_322 Depth=1
	global_load_u16 v21, v[17:18], off
	global_load_u16 v22, v[19:20], off
	v_add_co_u32 v17, vcc_lo, v17, 2
	v_add_co_ci_u32_e32 v18, vcc_lo, 0, v18, vcc_lo
	v_add_co_u32 v19, s0, v19, 2
	s_delay_alu instid0(VALU_DEP_1)
	v_add_co_ci_u32_e64 v20, s0, 0, v20, s0
	s_add_u32 s6, s6, 1
	s_addc_u32 s7, s7, 0
	s_and_not1_b32 s0, s36, exec_lo
	s_waitcnt vmcnt(1)
	v_lshlrev_b32_e32 v21, 16, v21
	s_waitcnt vmcnt(0)
	v_lshlrev_b32_e32 v22, 16, v22
	s_delay_alu instid0(VALU_DEP_1) | instskip(SKIP_1) | instid1(SALU_CYCLE_1)
	v_cmp_neq_f32_e32 vcc_lo, v22, v21
	s_and_b32 s36, vcc_lo, exec_lo
	s_or_b32 s36, s0, s36
.LBB1187_321:                           ;   in Loop: Header=BB1187_322 Depth=1
	v_dual_mov_b32 v22, s7 :: v_dual_mov_b32 v21, s6
	s_and_b32 s0, exec_lo, s36
	s_delay_alu instid0(SALU_CYCLE_1) | instskip(NEXT) | instid1(SALU_CYCLE_1)
	s_or_b32 s35, s0, s35
	s_and_not1_b32 exec_lo, exec_lo, s35
	s_cbranch_execz .LBB1187_324
.LBB1187_322:                           ; =>This Inner Loop Header: Depth=1
	s_or_b32 s36, s36, exec_lo
	s_cmp_eq_u64 s[4:5], s[6:7]
	s_cbranch_scc0 .LBB1187_320
; %bb.323:                              ;   in Loop: Header=BB1187_322 Depth=1
	s_mov_b64 s[6:7], s[14:15]
                                        ; implicit-def: $vgpr17_vgpr18
                                        ; implicit-def: $vgpr19_vgpr20
	s_branch .LBB1187_321
.LBB1187_324:
	s_set_inst_prefetch_distance 0x2
	s_or_b32 exec_lo, exec_lo, s35
	v_cmp_gt_i64_e32 vcc_lo, s[14:15], v[21:22]
	s_or_not1_b32 s0, vcc_lo, exec_lo
.LBB1187_325:
	s_or_b32 exec_lo, exec_lo, s31
.LBB1187_326:
	s_delay_alu instid0(SALU_CYCLE_1)
	s_and_b32 s31, s0, exec_lo
.LBB1187_327:
	s_or_b32 exec_lo, exec_lo, s34
	v_or_b32_e32 v17, 2, v39
	s_mov_b32 s34, exec_lo
	s_delay_alu instid0(VALU_DEP_1)
	v_cmpx_gt_u32_e64 s12, v17
	s_cbranch_execz .LBB1187_338
; %bb.328:
	s_and_not1_b32 vcc_lo, exec_lo, s26
	s_mov_b32 s0, 0
	s_cbranch_vccnz .LBB1187_337
; %bb.329:
	v_mul_lo_u32 v21, v10, s14
	v_mul_lo_u32 v22, v9, s15
	v_mad_u64_u32 v[17:18], null, v9, s14, 0
	v_mul_lo_u32 v23, v16, s14
	v_mul_lo_u32 v24, v15, s15
	v_mad_u64_u32 v[19:20], null, v15, s14, 0
	s_mov_b32 s0, -1
	s_mov_b32 s33, exec_lo
	s_delay_alu instid0(VALU_DEP_4) | instskip(NEXT) | instid1(VALU_DEP_2)
	v_add3_u32 v18, v18, v22, v21
	v_add3_u32 v20, v20, v24, v23
	s_delay_alu instid0(VALU_DEP_2) | instskip(NEXT) | instid1(VALU_DEP_2)
	v_lshlrev_b64 v[17:18], 1, v[17:18]
	v_lshlrev_b64 v[19:20], 1, v[19:20]
	s_delay_alu instid0(VALU_DEP_2) | instskip(NEXT) | instid1(VALU_DEP_3)
	v_add_co_u32 v17, vcc_lo, s16, v17
	v_add_co_ci_u32_e32 v18, vcc_lo, s17, v18, vcc_lo
	s_delay_alu instid0(VALU_DEP_3) | instskip(NEXT) | instid1(VALU_DEP_4)
	v_add_co_u32 v19, vcc_lo, s16, v19
	v_add_co_ci_u32_e32 v20, vcc_lo, s17, v20, vcc_lo
	s_clause 0x1
	global_load_u16 v21, v[17:18], off
	global_load_u16 v22, v[19:20], off
	s_waitcnt vmcnt(1)
	v_lshlrev_b32_e32 v21, 16, v21
	s_waitcnt vmcnt(0)
	v_lshlrev_b32_e32 v22, 16, v22
	s_delay_alu instid0(VALU_DEP_1)
	v_cmpx_eq_f32_e32 v22, v21
	s_cbranch_execz .LBB1187_336
; %bb.330:
	v_add_co_u32 v17, vcc_lo, v17, 2
	v_add_co_ci_u32_e32 v18, vcc_lo, 0, v18, vcc_lo
	v_add_co_u32 v19, vcc_lo, v19, 2
	v_add_co_ci_u32_e32 v20, vcc_lo, 0, v20, vcc_lo
	s_add_u32 s4, s14, -1
	s_addc_u32 s5, s15, -1
	s_mov_b64 s[6:7], 0
	s_mov_b32 s35, 0
                                        ; implicit-def: $sgpr36
	s_set_inst_prefetch_distance 0x1
	s_branch .LBB1187_333
	.p2align	6
.LBB1187_331:                           ;   in Loop: Header=BB1187_333 Depth=1
	global_load_u16 v21, v[17:18], off
	global_load_u16 v22, v[19:20], off
	v_add_co_u32 v17, vcc_lo, v17, 2
	v_add_co_ci_u32_e32 v18, vcc_lo, 0, v18, vcc_lo
	v_add_co_u32 v19, s0, v19, 2
	s_delay_alu instid0(VALU_DEP_1)
	v_add_co_ci_u32_e64 v20, s0, 0, v20, s0
	s_add_u32 s6, s6, 1
	s_addc_u32 s7, s7, 0
	s_and_not1_b32 s0, s36, exec_lo
	s_waitcnt vmcnt(1)
	v_lshlrev_b32_e32 v21, 16, v21
	s_waitcnt vmcnt(0)
	v_lshlrev_b32_e32 v22, 16, v22
	s_delay_alu instid0(VALU_DEP_1) | instskip(SKIP_1) | instid1(SALU_CYCLE_1)
	v_cmp_neq_f32_e32 vcc_lo, v22, v21
	s_and_b32 s36, vcc_lo, exec_lo
	s_or_b32 s36, s0, s36
.LBB1187_332:                           ;   in Loop: Header=BB1187_333 Depth=1
	v_dual_mov_b32 v22, s7 :: v_dual_mov_b32 v21, s6
	s_and_b32 s0, exec_lo, s36
	s_delay_alu instid0(SALU_CYCLE_1) | instskip(NEXT) | instid1(SALU_CYCLE_1)
	s_or_b32 s35, s0, s35
	s_and_not1_b32 exec_lo, exec_lo, s35
	s_cbranch_execz .LBB1187_335
.LBB1187_333:                           ; =>This Inner Loop Header: Depth=1
	s_or_b32 s36, s36, exec_lo
	s_cmp_eq_u64 s[4:5], s[6:7]
	s_cbranch_scc0 .LBB1187_331
; %bb.334:                              ;   in Loop: Header=BB1187_333 Depth=1
	s_mov_b64 s[6:7], s[14:15]
                                        ; implicit-def: $vgpr17_vgpr18
                                        ; implicit-def: $vgpr19_vgpr20
	s_branch .LBB1187_332
.LBB1187_335:
	s_set_inst_prefetch_distance 0x2
	s_or_b32 exec_lo, exec_lo, s35
	v_cmp_gt_i64_e32 vcc_lo, s[14:15], v[21:22]
	s_or_not1_b32 s0, vcc_lo, exec_lo
.LBB1187_336:
	s_or_b32 exec_lo, exec_lo, s33
.LBB1187_337:
	s_delay_alu instid0(SALU_CYCLE_1)
	s_and_b32 s33, s0, exec_lo
.LBB1187_338:
	s_or_b32 exec_lo, exec_lo, s34
	v_or_b32_e32 v17, 1, v39
	s_mov_b32 s0, 0
	s_mov_b32 s34, exec_lo
	s_delay_alu instid0(VALU_DEP_1)
	v_cmpx_gt_u32_e64 s12, v17
	s_cbranch_execz .LBB1187_349
; %bb.339:
	s_and_not1_b32 vcc_lo, exec_lo, s26
	s_cbranch_vccnz .LBB1187_348
; %bb.340:
	v_mul_lo_u32 v21, v16, s14
	v_mul_lo_u32 v22, v15, s15
	v_mad_u64_u32 v[17:18], null, v15, s14, 0
	v_mul_lo_u32 v23, v14, s14
	v_mul_lo_u32 v24, v13, s15
	v_mad_u64_u32 v[19:20], null, v13, s14, 0
	s_mov_b32 s0, -1
	s_mov_b32 s35, exec_lo
	s_delay_alu instid0(VALU_DEP_4) | instskip(NEXT) | instid1(VALU_DEP_2)
	v_add3_u32 v18, v18, v22, v21
	v_add3_u32 v20, v20, v24, v23
	s_delay_alu instid0(VALU_DEP_2) | instskip(NEXT) | instid1(VALU_DEP_2)
	v_lshlrev_b64 v[17:18], 1, v[17:18]
	v_lshlrev_b64 v[19:20], 1, v[19:20]
	s_delay_alu instid0(VALU_DEP_2) | instskip(NEXT) | instid1(VALU_DEP_3)
	v_add_co_u32 v17, vcc_lo, s16, v17
	v_add_co_ci_u32_e32 v18, vcc_lo, s17, v18, vcc_lo
	s_delay_alu instid0(VALU_DEP_3) | instskip(NEXT) | instid1(VALU_DEP_4)
	v_add_co_u32 v19, vcc_lo, s16, v19
	v_add_co_ci_u32_e32 v20, vcc_lo, s17, v20, vcc_lo
	s_clause 0x1
	global_load_u16 v21, v[17:18], off
	global_load_u16 v22, v[19:20], off
	s_waitcnt vmcnt(1)
	v_lshlrev_b32_e32 v21, 16, v21
	s_waitcnt vmcnt(0)
	v_lshlrev_b32_e32 v22, 16, v22
	s_delay_alu instid0(VALU_DEP_1)
	v_cmpx_eq_f32_e32 v22, v21
	s_cbranch_execz .LBB1187_347
; %bb.341:
	v_add_co_u32 v17, vcc_lo, v17, 2
	v_add_co_ci_u32_e32 v18, vcc_lo, 0, v18, vcc_lo
	v_add_co_u32 v19, vcc_lo, v19, 2
	v_add_co_ci_u32_e32 v20, vcc_lo, 0, v20, vcc_lo
	s_add_u32 s4, s14, -1
	s_addc_u32 s5, s15, -1
	s_mov_b64 s[6:7], 0
	s_mov_b32 s36, 0
                                        ; implicit-def: $sgpr37
	s_set_inst_prefetch_distance 0x1
	s_branch .LBB1187_344
	.p2align	6
.LBB1187_342:                           ;   in Loop: Header=BB1187_344 Depth=1
	global_load_u16 v21, v[17:18], off
	global_load_u16 v22, v[19:20], off
	v_add_co_u32 v17, vcc_lo, v17, 2
	v_add_co_ci_u32_e32 v18, vcc_lo, 0, v18, vcc_lo
	v_add_co_u32 v19, s0, v19, 2
	s_delay_alu instid0(VALU_DEP_1)
	v_add_co_ci_u32_e64 v20, s0, 0, v20, s0
	s_add_u32 s6, s6, 1
	s_addc_u32 s7, s7, 0
	s_and_not1_b32 s0, s37, exec_lo
	s_waitcnt vmcnt(1)
	v_lshlrev_b32_e32 v21, 16, v21
	s_waitcnt vmcnt(0)
	v_lshlrev_b32_e32 v22, 16, v22
	s_delay_alu instid0(VALU_DEP_1) | instskip(SKIP_1) | instid1(SALU_CYCLE_1)
	v_cmp_neq_f32_e32 vcc_lo, v22, v21
	s_and_b32 s37, vcc_lo, exec_lo
	s_or_b32 s37, s0, s37
.LBB1187_343:                           ;   in Loop: Header=BB1187_344 Depth=1
	v_dual_mov_b32 v22, s7 :: v_dual_mov_b32 v21, s6
	s_and_b32 s0, exec_lo, s37
	s_delay_alu instid0(SALU_CYCLE_1) | instskip(NEXT) | instid1(SALU_CYCLE_1)
	s_or_b32 s36, s0, s36
	s_and_not1_b32 exec_lo, exec_lo, s36
	s_cbranch_execz .LBB1187_346
.LBB1187_344:                           ; =>This Inner Loop Header: Depth=1
	s_or_b32 s37, s37, exec_lo
	s_cmp_eq_u64 s[4:5], s[6:7]
	s_cbranch_scc0 .LBB1187_342
; %bb.345:                              ;   in Loop: Header=BB1187_344 Depth=1
	s_mov_b64 s[6:7], s[14:15]
                                        ; implicit-def: $vgpr17_vgpr18
                                        ; implicit-def: $vgpr19_vgpr20
	s_branch .LBB1187_343
.LBB1187_346:
	s_set_inst_prefetch_distance 0x2
	s_or_b32 exec_lo, exec_lo, s36
	v_cmp_gt_i64_e32 vcc_lo, s[14:15], v[21:22]
	s_or_not1_b32 s0, vcc_lo, exec_lo
.LBB1187_347:
	s_or_b32 exec_lo, exec_lo, s35
.LBB1187_348:
	s_delay_alu instid0(SALU_CYCLE_1)
	s_and_b32 s0, s0, exec_lo
.LBB1187_349:
	s_or_b32 exec_lo, exec_lo, s34
	v_cndmask_b32_e64 v18, 0, 1, s31
	v_cndmask_b32_e64 v19, 0, 1, s30
	;; [unrolled: 1-line block ×7, first 2 shown]
	v_lshlrev_b16 v19, 8, v19
	v_lshlrev_b16 v20, 8, v20
	v_lshlrev_b16 v21, 8, v21
	v_lshlrev_b16 v18, 8, v18
	s_waitcnt lgkmcnt(0)
	v_or_b32_e32 v19, v22, v19
	v_or_b32_e32 v20, v23, v20
	;; [unrolled: 1-line block ×4, first 2 shown]
	s_barrier
	v_and_b32_e32 v18, 0xffff, v19
	v_lshlrev_b32_e32 v19, 16, v20
	v_and_b32_e32 v21, 0xffff, v21
	v_lshlrev_b32_e32 v17, 16, v17
	buffer_gl0_inv
                                        ; implicit-def: $sgpr0
	v_or_b32_e32 v20, v18, v19
	v_or_b32_e32 v19, v21, v17
	s_and_saveexec_b32 s27, s3
	s_cbranch_execz .LBB1187_362
; %bb.350:
	s_mov_b32 s0, 0
	s_mov_b32 s3, exec_lo
	v_cmpx_gt_u32_e64 s12, v39
	s_cbranch_execz .LBB1187_361
; %bb.351:
	s_and_not1_b32 vcc_lo, exec_lo, s26
	s_cbranch_vccnz .LBB1187_360
; %bb.352:
	v_add_nc_u32_e32 v17, -8, v39
	v_mul_lo_u32 v25, v14, s14
	v_mul_lo_u32 v26, v13, s15
	v_mad_u64_u32 v[21:22], null, v13, s14, 0
	ds_load_b64 v[17:18], v17
	s_mov_b32 s0, -1
	v_add3_u32 v22, v22, v26, v25
	s_waitcnt lgkmcnt(0)
	v_mul_lo_u32 v18, v18, s14
	v_mul_lo_u32 v27, v17, s15
	v_mad_u64_u32 v[23:24], null, v17, s14, 0
	s_delay_alu instid0(VALU_DEP_1) | instskip(SKIP_1) | instid1(VALU_DEP_2)
	v_add3_u32 v24, v24, v27, v18
	v_lshlrev_b64 v[17:18], 1, v[21:22]
	v_lshlrev_b64 v[21:22], 1, v[23:24]
	s_delay_alu instid0(VALU_DEP_2) | instskip(NEXT) | instid1(VALU_DEP_3)
	v_add_co_u32 v17, vcc_lo, s16, v17
	v_add_co_ci_u32_e32 v18, vcc_lo, s17, v18, vcc_lo
	s_delay_alu instid0(VALU_DEP_3) | instskip(NEXT) | instid1(VALU_DEP_4)
	v_add_co_u32 v21, vcc_lo, s16, v21
	v_add_co_ci_u32_e32 v22, vcc_lo, s17, v22, vcc_lo
	s_clause 0x1
	global_load_u16 v23, v[17:18], off
	global_load_u16 v24, v[21:22], off
	s_mov_b32 s16, exec_lo
	s_waitcnt vmcnt(1)
	v_lshlrev_b32_e32 v23, 16, v23
	s_waitcnt vmcnt(0)
	v_lshlrev_b32_e32 v24, 16, v24
	s_delay_alu instid0(VALU_DEP_1)
	v_cmpx_eq_f32_e32 v24, v23
	s_cbranch_execz .LBB1187_359
; %bb.353:
	v_add_co_u32 v17, vcc_lo, v17, 2
	v_add_co_ci_u32_e32 v18, vcc_lo, 0, v18, vcc_lo
	v_add_co_u32 v21, vcc_lo, v21, 2
	v_add_co_ci_u32_e32 v22, vcc_lo, 0, v22, vcc_lo
	s_add_u32 s4, s14, -1
	s_addc_u32 s5, s15, -1
	s_mov_b64 s[6:7], 0
	s_mov_b32 s17, 0
                                        ; implicit-def: $sgpr26
	s_set_inst_prefetch_distance 0x1
	s_branch .LBB1187_356
	.p2align	6
.LBB1187_354:                           ;   in Loop: Header=BB1187_356 Depth=1
	global_load_u16 v23, v[17:18], off
	global_load_u16 v24, v[21:22], off
	v_add_co_u32 v17, vcc_lo, v17, 2
	v_add_co_ci_u32_e32 v18, vcc_lo, 0, v18, vcc_lo
	v_add_co_u32 v21, s0, v21, 2
	s_delay_alu instid0(VALU_DEP_1)
	v_add_co_ci_u32_e64 v22, s0, 0, v22, s0
	s_add_u32 s6, s6, 1
	s_addc_u32 s7, s7, 0
	s_and_not1_b32 s0, s26, exec_lo
	s_waitcnt vmcnt(1)
	v_lshlrev_b32_e32 v23, 16, v23
	s_waitcnt vmcnt(0)
	v_lshlrev_b32_e32 v24, 16, v24
	s_delay_alu instid0(VALU_DEP_1) | instskip(SKIP_1) | instid1(SALU_CYCLE_1)
	v_cmp_neq_f32_e32 vcc_lo, v24, v23
	s_and_b32 s26, vcc_lo, exec_lo
	s_or_b32 s26, s0, s26
.LBB1187_355:                           ;   in Loop: Header=BB1187_356 Depth=1
	v_dual_mov_b32 v24, s7 :: v_dual_mov_b32 v23, s6
	s_and_b32 s0, exec_lo, s26
	s_delay_alu instid0(SALU_CYCLE_1) | instskip(NEXT) | instid1(SALU_CYCLE_1)
	s_or_b32 s17, s0, s17
	s_and_not1_b32 exec_lo, exec_lo, s17
	s_cbranch_execz .LBB1187_358
.LBB1187_356:                           ; =>This Inner Loop Header: Depth=1
	s_or_b32 s26, s26, exec_lo
	s_cmp_eq_u64 s[4:5], s[6:7]
	s_cbranch_scc0 .LBB1187_354
; %bb.357:                              ;   in Loop: Header=BB1187_356 Depth=1
	s_mov_b64 s[6:7], s[14:15]
                                        ; implicit-def: $vgpr17_vgpr18
                                        ; implicit-def: $vgpr21_vgpr22
	s_branch .LBB1187_355
.LBB1187_358:
	s_set_inst_prefetch_distance 0x2
	s_or_b32 exec_lo, exec_lo, s17
	v_cmp_gt_i64_e32 vcc_lo, s[14:15], v[23:24]
	s_or_not1_b32 s0, vcc_lo, exec_lo
.LBB1187_359:
	s_or_b32 exec_lo, exec_lo, s16
.LBB1187_360:
	s_delay_alu instid0(SALU_CYCLE_1)
	s_and_b32 s0, s0, exec_lo
.LBB1187_361:
	s_or_b32 exec_lo, exec_lo, s3
	s_delay_alu instid0(SALU_CYCLE_1)
	s_and_b32 s0, s0, exec_lo
	s_or_b32 s25, s25, exec_lo
.LBB1187_362:
	s_or_b32 exec_lo, exec_lo, s27
.LBB1187_363:
	s_and_saveexec_b32 s3, s25
	s_cbranch_execz .LBB1187_365
; %bb.364:
	s_waitcnt vmcnt(0) lgkmcnt(0)
	v_and_b32_e32 v17, 0xffffff00, v19
	v_cndmask_b32_e64 v18, 0, 1, s0
	s_delay_alu instid0(VALU_DEP_1) | instskip(NEXT) | instid1(VALU_DEP_1)
	v_or_b32_e32 v17, v18, v17
	v_and_b32_e32 v17, 0xffff, v17
	s_delay_alu instid0(VALU_DEP_1)
	v_and_or_b32 v19, 0xffff0000, v19, v17
.LBB1187_365:
	s_or_b32 exec_lo, exec_lo, s3
	s_delay_alu instid0(SALU_CYCLE_1)
	s_and_not1_b32 vcc_lo, exec_lo, s1
	s_cbranch_vccnz .LBB1187_367
; %bb.366:
	v_cmp_gt_u32_e32 vcc_lo, s12, v39
	s_waitcnt vmcnt(0) lgkmcnt(0)
	v_or_b32_e32 v18, 1, v39
	v_and_b32_e32 v21, 0xffffff00, v20
	v_or_b32_e32 v22, 2, v39
	v_cndmask_b32_e32 v17, 0, v19, vcc_lo
	s_delay_alu instid0(VALU_DEP_4) | instskip(SKIP_1) | instid1(VALU_DEP_4)
	v_cmp_gt_u32_e32 vcc_lo, s12, v18
	v_or_b32_e32 v18, 4, v39
	v_cmp_gt_u32_e64 s0, s12, v22
	v_or_b32_e32 v22, 3, v39
	v_and_b32_e32 v17, 0xff, v17
	s_delay_alu instid0(VALU_DEP_2) | instskip(NEXT) | instid1(VALU_DEP_2)
	v_cmp_gt_u32_e64 s1, s12, v22
	v_cndmask_b32_e32 v17, v17, v19, vcc_lo
	v_cmp_gt_u32_e32 vcc_lo, s12, v18
	v_cndmask_b32_e32 v18, v21, v20, vcc_lo
	v_or_b32_e32 v21, 5, v39
	s_delay_alu instid0(VALU_DEP_2) | instskip(SKIP_1) | instid1(VALU_DEP_1)
	v_and_b32_e32 v18, 0xffff00ff, v18
	v_and_b32_e32 v17, 0xffff, v17
	v_cndmask_b32_e64 v17, v17, v19, s0
	s_delay_alu instid0(VALU_DEP_4) | instskip(SKIP_1) | instid1(VALU_DEP_3)
	v_cmp_gt_u32_e64 s0, s12, v21
	v_or_b32_e32 v21, 6, v39
	v_and_b32_e32 v17, 0xffffff, v17
	s_delay_alu instid0(VALU_DEP_3) | instskip(NEXT) | instid1(VALU_DEP_2)
	v_cndmask_b32_e64 v18, v18, v20, s0
	v_cndmask_b32_e64 v17, v17, v19, s1
	s_delay_alu instid0(VALU_DEP_1) | instskip(SKIP_2) | instid1(VALU_DEP_3)
	v_dual_cndmask_b32 v17, v17, v19 :: v_dual_and_b32 v18, 0xff00ffff, v18
	v_cmp_gt_u32_e32 vcc_lo, s12, v21
	v_or_b32_e32 v21, 7, v39
	v_cndmask_b32_e64 v17, v17, v19, s0
	s_delay_alu instid0(VALU_DEP_1) | instskip(NEXT) | instid1(VALU_DEP_1)
	v_dual_cndmask_b32 v18, v18, v20 :: v_dual_cndmask_b32 v17, v17, v19
	v_and_b32_e32 v18, 0xffffff, v18
	s_delay_alu instid0(VALU_DEP_4) | instskip(NEXT) | instid1(VALU_DEP_2)
	v_cmp_gt_u32_e32 vcc_lo, s12, v21
	v_dual_cndmask_b32 v20, v18, v20 :: v_dual_cndmask_b32 v19, v17, v19
.LBB1187_367:
	s_delay_alu instid0(VALU_DEP_1) | instskip(SKIP_1) | instid1(VALU_DEP_2)
	v_and_b32_e32 v28, 0xff, v19
	s_waitcnt vmcnt(0) lgkmcnt(0)
	v_alignbit_b32 v17, v20, v19, 24
	v_bfe_u32 v30, v19, 8, 8
	v_bfe_u32 v32, v19, 16, 8
	v_and_b32_e32 v36, 0xff, v20
	v_bfe_u32 v38, v20, 8, 8
	v_and_b32_e32 v34, 0xff, v17
	v_add_nc_u32_e32 v17, v30, v28
	v_mbcnt_lo_u32_b32 v42, -1, 0
	v_bfe_u32 v41, v20, 16, 8
	v_lshrrev_b32_e32 v40, 24, v20
	v_lshrrev_b32_e32 v43, 5, v0
	v_add3_u32 v17, v17, v32, v34
	v_and_b32_e32 v18, 15, v42
	v_and_b32_e32 v21, 16, v42
	s_and_b32 vcc_lo, exec_lo, s24
	s_mov_b32 s7, -1
	v_add3_u32 v17, v17, v36, v38
	v_cmp_eq_u32_e64 s3, 0, v18
	v_cmp_lt_u32_e64 s0, 1, v18
	v_cmp_lt_u32_e64 s4, 3, v18
	;; [unrolled: 1-line block ×3, first 2 shown]
	v_add3_u32 v44, v17, v41, v40
	v_or_b32_e32 v17, 31, v0
	v_cmp_eq_u32_e64 s6, 0, v21
	s_barrier
	buffer_gl0_inv
	v_cmp_eq_u32_e64 s5, v17, v0
	s_cbranch_vccz .LBB1187_398
; %bb.368:
	v_mov_b32_dpp v17, v44 row_shr:1 row_mask:0xf bank_mask:0xf
	s_delay_alu instid0(VALU_DEP_1) | instskip(NEXT) | instid1(VALU_DEP_1)
	v_cndmask_b32_e64 v17, v17, 0, s3
	v_add_nc_u32_e32 v17, v17, v44
	s_delay_alu instid0(VALU_DEP_1) | instskip(NEXT) | instid1(VALU_DEP_1)
	v_mov_b32_dpp v18, v17 row_shr:2 row_mask:0xf bank_mask:0xf
	v_cndmask_b32_e64 v18, 0, v18, s0
	s_delay_alu instid0(VALU_DEP_1) | instskip(NEXT) | instid1(VALU_DEP_1)
	v_add_nc_u32_e32 v17, v17, v18
	v_mov_b32_dpp v18, v17 row_shr:4 row_mask:0xf bank_mask:0xf
	s_delay_alu instid0(VALU_DEP_1) | instskip(NEXT) | instid1(VALU_DEP_1)
	v_cndmask_b32_e64 v18, 0, v18, s4
	v_add_nc_u32_e32 v17, v17, v18
	s_delay_alu instid0(VALU_DEP_1) | instskip(NEXT) | instid1(VALU_DEP_1)
	v_mov_b32_dpp v18, v17 row_shr:8 row_mask:0xf bank_mask:0xf
	v_cndmask_b32_e64 v18, 0, v18, s1
	s_delay_alu instid0(VALU_DEP_1) | instskip(SKIP_3) | instid1(VALU_DEP_1)
	v_add_nc_u32_e32 v17, v17, v18
	ds_swizzle_b32 v18, v17 offset:swizzle(BROADCAST,32,15)
	s_waitcnt lgkmcnt(0)
	v_cndmask_b32_e64 v18, v18, 0, s6
	v_add_nc_u32_e32 v17, v17, v18
	s_and_saveexec_b32 s7, s5
	s_cbranch_execz .LBB1187_370
; %bb.369:
	v_lshlrev_b32_e32 v18, 2, v43
	ds_store_b32 v18, v17
.LBB1187_370:
	s_or_b32 exec_lo, exec_lo, s7
	s_delay_alu instid0(SALU_CYCLE_1)
	s_mov_b32 s7, exec_lo
	s_waitcnt lgkmcnt(0)
	s_barrier
	buffer_gl0_inv
	v_cmpx_gt_u32_e32 16, v0
	s_cbranch_execz .LBB1187_372
; %bb.371:
	v_lshlrev_b32_e32 v18, 2, v0
	ds_load_b32 v21, v18
	s_waitcnt lgkmcnt(0)
	v_mov_b32_dpp v22, v21 row_shr:1 row_mask:0xf bank_mask:0xf
	s_delay_alu instid0(VALU_DEP_1) | instskip(NEXT) | instid1(VALU_DEP_1)
	v_cndmask_b32_e64 v22, v22, 0, s3
	v_add_nc_u32_e32 v21, v22, v21
	s_delay_alu instid0(VALU_DEP_1) | instskip(NEXT) | instid1(VALU_DEP_1)
	v_mov_b32_dpp v22, v21 row_shr:2 row_mask:0xf bank_mask:0xf
	v_cndmask_b32_e64 v22, 0, v22, s0
	s_delay_alu instid0(VALU_DEP_1) | instskip(NEXT) | instid1(VALU_DEP_1)
	v_add_nc_u32_e32 v21, v21, v22
	v_mov_b32_dpp v22, v21 row_shr:4 row_mask:0xf bank_mask:0xf
	s_delay_alu instid0(VALU_DEP_1) | instskip(NEXT) | instid1(VALU_DEP_1)
	v_cndmask_b32_e64 v22, 0, v22, s4
	v_add_nc_u32_e32 v21, v21, v22
	s_delay_alu instid0(VALU_DEP_1) | instskip(NEXT) | instid1(VALU_DEP_1)
	v_mov_b32_dpp v22, v21 row_shr:8 row_mask:0xf bank_mask:0xf
	v_cndmask_b32_e64 v22, 0, v22, s1
	s_delay_alu instid0(VALU_DEP_1)
	v_add_nc_u32_e32 v21, v21, v22
	ds_store_b32 v18, v21
.LBB1187_372:
	s_or_b32 exec_lo, exec_lo, s7
	v_cmp_gt_u32_e32 vcc_lo, 32, v0
	s_mov_b32 s12, exec_lo
	s_waitcnt lgkmcnt(0)
	s_barrier
	buffer_gl0_inv
                                        ; implicit-def: $vgpr27
	v_cmpx_lt_u32_e32 31, v0
	s_cbranch_execz .LBB1187_374
; %bb.373:
	v_lshl_add_u32 v18, v43, 2, -4
	ds_load_b32 v27, v18
	s_waitcnt lgkmcnt(0)
	v_add_nc_u32_e32 v17, v27, v17
.LBB1187_374:
	s_or_b32 exec_lo, exec_lo, s12
	v_add_nc_u32_e32 v18, -1, v42
	s_delay_alu instid0(VALU_DEP_1) | instskip(NEXT) | instid1(VALU_DEP_1)
	v_cmp_gt_i32_e64 s7, 0, v18
	v_cndmask_b32_e64 v18, v18, v42, s7
	v_cmp_eq_u32_e64 s7, 0, v42
	s_delay_alu instid0(VALU_DEP_2)
	v_lshlrev_b32_e32 v18, 2, v18
	ds_bpermute_b32 v29, v18, v17
	s_and_saveexec_b32 s12, vcc_lo
	s_cbranch_execz .LBB1187_397
; %bb.375:
	v_mov_b32_e32 v23, 0
	ds_load_b32 v17, v23 offset:60
	s_and_saveexec_b32 s14, s7
	s_cbranch_execz .LBB1187_377
; %bb.376:
	s_add_i32 s16, s23, 32
	s_mov_b32 s17, 0
	v_mov_b32_e32 v18, 1
	s_lshl_b64 s[16:17], s[16:17], 3
	s_delay_alu instid0(SALU_CYCLE_1)
	s_add_u32 s16, s18, s16
	s_addc_u32 s17, s19, s17
	s_waitcnt lgkmcnt(0)
	global_store_b64 v23, v[17:18], s[16:17]
.LBB1187_377:
	s_or_b32 exec_lo, exec_lo, s14
	v_xad_u32 v21, v42, -1, s23
	s_mov_b32 s15, 0
	s_mov_b32 s14, exec_lo
	s_delay_alu instid0(VALU_DEP_1) | instskip(NEXT) | instid1(VALU_DEP_1)
	v_add_nc_u32_e32 v22, 32, v21
	v_lshlrev_b64 v[22:23], 3, v[22:23]
	s_delay_alu instid0(VALU_DEP_1) | instskip(NEXT) | instid1(VALU_DEP_2)
	v_add_co_u32 v25, vcc_lo, s18, v22
	v_add_co_ci_u32_e32 v26, vcc_lo, s19, v23, vcc_lo
	global_load_b64 v[23:24], v[25:26], off glc
	s_waitcnt vmcnt(0)
	v_and_b32_e32 v18, 0xff, v24
	s_delay_alu instid0(VALU_DEP_1)
	v_cmpx_eq_u16_e32 0, v18
	s_cbranch_execz .LBB1187_383
; %bb.378:
	s_mov_b32 s16, 1
	.p2align	6
.LBB1187_379:                           ; =>This Loop Header: Depth=1
                                        ;     Child Loop BB1187_380 Depth 2
	s_delay_alu instid0(SALU_CYCLE_1)
	s_max_u32 s17, s16, 1
.LBB1187_380:                           ;   Parent Loop BB1187_379 Depth=1
                                        ; =>  This Inner Loop Header: Depth=2
	s_delay_alu instid0(SALU_CYCLE_1)
	s_add_i32 s17, s17, -1
	s_sleep 1
	s_cmp_eq_u32 s17, 0
	s_cbranch_scc0 .LBB1187_380
; %bb.381:                              ;   in Loop: Header=BB1187_379 Depth=1
	global_load_b64 v[23:24], v[25:26], off glc
	s_cmp_lt_u32 s16, 32
	s_cselect_b32 s17, -1, 0
	s_delay_alu instid0(SALU_CYCLE_1) | instskip(SKIP_3) | instid1(VALU_DEP_1)
	s_cmp_lg_u32 s17, 0
	s_addc_u32 s16, s16, 0
	s_waitcnt vmcnt(0)
	v_and_b32_e32 v18, 0xff, v24
	v_cmp_ne_u16_e32 vcc_lo, 0, v18
	s_or_b32 s15, vcc_lo, s15
	s_delay_alu instid0(SALU_CYCLE_1)
	s_and_not1_b32 exec_lo, exec_lo, s15
	s_cbranch_execnz .LBB1187_379
; %bb.382:
	s_or_b32 exec_lo, exec_lo, s15
.LBB1187_383:
	s_delay_alu instid0(SALU_CYCLE_1)
	s_or_b32 exec_lo, exec_lo, s14
	v_cmp_ne_u32_e32 vcc_lo, 31, v42
	v_and_b32_e32 v22, 0xff, v24
	v_lshlrev_b32_e64 v31, v42, -1
	v_add_nc_u32_e32 v35, 2, v42
	v_add_nc_u32_e32 v45, 4, v42
	v_add_co_ci_u32_e32 v18, vcc_lo, 0, v42, vcc_lo
	v_cmp_eq_u16_e32 vcc_lo, 2, v22
	v_add_nc_u32_e32 v48, 8, v42
	v_add_nc_u32_e32 v50, 16, v42
	v_and_or_b32 v22, vcc_lo, v31, 0x80000000
	v_cmp_gt_u32_e32 vcc_lo, 30, v42
	s_delay_alu instid0(VALU_DEP_2) | instskip(SKIP_1) | instid1(VALU_DEP_2)
	v_ctz_i32_b32_e32 v22, v22
	v_cndmask_b32_e64 v26, 0, 1, vcc_lo
	v_cmp_lt_u32_e32 vcc_lo, v42, v22
	v_lshlrev_b32_e32 v18, 2, v18
	s_delay_alu instid0(VALU_DEP_3)
	v_lshlrev_b32_e32 v26, 1, v26
	ds_bpermute_b32 v25, v18, v23
	v_add_lshl_u32 v33, v26, v42, 2
	s_waitcnt lgkmcnt(0)
	v_cndmask_b32_e32 v25, 0, v25, vcc_lo
	v_cmp_gt_u32_e32 vcc_lo, 28, v42
	s_delay_alu instid0(VALU_DEP_2) | instskip(SKIP_4) | instid1(VALU_DEP_1)
	v_add_nc_u32_e32 v23, v25, v23
	v_cndmask_b32_e64 v26, 0, 1, vcc_lo
	v_cmp_le_u32_e32 vcc_lo, v35, v22
	ds_bpermute_b32 v25, v33, v23
	v_lshlrev_b32_e32 v26, 2, v26
	v_add_lshl_u32 v37, v26, v42, 2
	s_waitcnt lgkmcnt(0)
	v_cndmask_b32_e32 v25, 0, v25, vcc_lo
	v_cmp_gt_u32_e32 vcc_lo, 24, v42
	s_delay_alu instid0(VALU_DEP_2) | instskip(SKIP_4) | instid1(VALU_DEP_1)
	v_add_nc_u32_e32 v23, v23, v25
	v_cndmask_b32_e64 v26, 0, 1, vcc_lo
	v_cmp_le_u32_e32 vcc_lo, v45, v22
	ds_bpermute_b32 v25, v37, v23
	v_lshlrev_b32_e32 v26, 3, v26
	;; [unrolled: 10-line block ×3, first 2 shown]
	v_add_lshl_u32 v49, v26, v42, 2
	s_waitcnt lgkmcnt(0)
	v_cndmask_b32_e32 v25, 0, v25, vcc_lo
	v_cmp_le_u32_e32 vcc_lo, v50, v22
	s_delay_alu instid0(VALU_DEP_2) | instskip(SKIP_3) | instid1(VALU_DEP_1)
	v_add_nc_u32_e32 v23, v23, v25
	ds_bpermute_b32 v25, v49, v23
	s_waitcnt lgkmcnt(0)
	v_cndmask_b32_e32 v22, 0, v25, vcc_lo
	v_dual_mov_b32 v22, 0 :: v_dual_add_nc_u32 v23, v23, v22
	s_branch .LBB1187_385
.LBB1187_384:                           ;   in Loop: Header=BB1187_385 Depth=1
	s_or_b32 exec_lo, exec_lo, s14
	ds_bpermute_b32 v26, v18, v23
	v_and_b32_e32 v25, 0xff, v24
	v_subrev_nc_u32_e32 v21, 32, v21
	s_delay_alu instid0(VALU_DEP_2) | instskip(SKIP_1) | instid1(VALU_DEP_1)
	v_cmp_eq_u16_e32 vcc_lo, 2, v25
	v_and_or_b32 v25, vcc_lo, v31, 0x80000000
	v_ctz_i32_b32_e32 v25, v25
	s_delay_alu instid0(VALU_DEP_1) | instskip(SKIP_3) | instid1(VALU_DEP_2)
	v_cmp_lt_u32_e32 vcc_lo, v42, v25
	s_waitcnt lgkmcnt(0)
	v_cndmask_b32_e32 v26, 0, v26, vcc_lo
	v_cmp_le_u32_e32 vcc_lo, v35, v25
	v_add_nc_u32_e32 v23, v26, v23
	ds_bpermute_b32 v26, v33, v23
	s_waitcnt lgkmcnt(0)
	v_cndmask_b32_e32 v26, 0, v26, vcc_lo
	v_cmp_le_u32_e32 vcc_lo, v45, v25
	s_delay_alu instid0(VALU_DEP_2) | instskip(SKIP_4) | instid1(VALU_DEP_2)
	v_add_nc_u32_e32 v23, v23, v26
	ds_bpermute_b32 v26, v37, v23
	s_waitcnt lgkmcnt(0)
	v_cndmask_b32_e32 v26, 0, v26, vcc_lo
	v_cmp_le_u32_e32 vcc_lo, v48, v25
	v_add_nc_u32_e32 v23, v23, v26
	ds_bpermute_b32 v26, v47, v23
	s_waitcnt lgkmcnt(0)
	v_cndmask_b32_e32 v26, 0, v26, vcc_lo
	v_cmp_le_u32_e32 vcc_lo, v50, v25
	s_delay_alu instid0(VALU_DEP_2) | instskip(SKIP_3) | instid1(VALU_DEP_1)
	v_add_nc_u32_e32 v23, v23, v26
	ds_bpermute_b32 v26, v49, v23
	s_waitcnt lgkmcnt(0)
	v_cndmask_b32_e32 v25, 0, v26, vcc_lo
	v_add3_u32 v23, v25, v46, v23
.LBB1187_385:                           ; =>This Loop Header: Depth=1
                                        ;     Child Loop BB1187_388 Depth 2
                                        ;       Child Loop BB1187_389 Depth 3
	v_and_b32_e32 v24, 0xff, v24
	s_delay_alu instid0(VALU_DEP_2) | instskip(NEXT) | instid1(VALU_DEP_2)
	v_mov_b32_e32 v46, v23
	v_cmp_ne_u16_e32 vcc_lo, 2, v24
	v_cndmask_b32_e64 v24, 0, 1, vcc_lo
	;;#ASMSTART
	;;#ASMEND
	s_delay_alu instid0(VALU_DEP_1)
	v_cmp_ne_u32_e32 vcc_lo, 0, v24
	s_cmp_lg_u32 vcc_lo, exec_lo
	s_cbranch_scc1 .LBB1187_392
; %bb.386:                              ;   in Loop: Header=BB1187_385 Depth=1
	v_lshlrev_b64 v[23:24], 3, v[21:22]
	s_mov_b32 s14, exec_lo
	s_delay_alu instid0(VALU_DEP_1) | instskip(NEXT) | instid1(VALU_DEP_2)
	v_add_co_u32 v25, vcc_lo, s18, v23
	v_add_co_ci_u32_e32 v26, vcc_lo, s19, v24, vcc_lo
	global_load_b64 v[23:24], v[25:26], off glc
	s_waitcnt vmcnt(0)
	v_and_b32_e32 v51, 0xff, v24
	s_delay_alu instid0(VALU_DEP_1)
	v_cmpx_eq_u16_e32 0, v51
	s_cbranch_execz .LBB1187_384
; %bb.387:                              ;   in Loop: Header=BB1187_385 Depth=1
	s_mov_b32 s16, 1
	s_mov_b32 s15, 0
	.p2align	6
.LBB1187_388:                           ;   Parent Loop BB1187_385 Depth=1
                                        ; =>  This Loop Header: Depth=2
                                        ;       Child Loop BB1187_389 Depth 3
	s_max_u32 s17, s16, 1
.LBB1187_389:                           ;   Parent Loop BB1187_385 Depth=1
                                        ;     Parent Loop BB1187_388 Depth=2
                                        ; =>    This Inner Loop Header: Depth=3
	s_delay_alu instid0(SALU_CYCLE_1)
	s_add_i32 s17, s17, -1
	s_sleep 1
	s_cmp_eq_u32 s17, 0
	s_cbranch_scc0 .LBB1187_389
; %bb.390:                              ;   in Loop: Header=BB1187_388 Depth=2
	global_load_b64 v[23:24], v[25:26], off glc
	s_cmp_lt_u32 s16, 32
	s_cselect_b32 s17, -1, 0
	s_delay_alu instid0(SALU_CYCLE_1) | instskip(SKIP_3) | instid1(VALU_DEP_1)
	s_cmp_lg_u32 s17, 0
	s_addc_u32 s16, s16, 0
	s_waitcnt vmcnt(0)
	v_and_b32_e32 v51, 0xff, v24
	v_cmp_ne_u16_e32 vcc_lo, 0, v51
	s_or_b32 s15, vcc_lo, s15
	s_delay_alu instid0(SALU_CYCLE_1)
	s_and_not1_b32 exec_lo, exec_lo, s15
	s_cbranch_execnz .LBB1187_388
; %bb.391:                              ;   in Loop: Header=BB1187_385 Depth=1
	s_or_b32 exec_lo, exec_lo, s15
	s_branch .LBB1187_384
.LBB1187_392:                           ;   in Loop: Header=BB1187_385 Depth=1
                                        ; implicit-def: $vgpr23
                                        ; implicit-def: $vgpr24
	s_cbranch_execz .LBB1187_385
; %bb.393:
	s_and_saveexec_b32 s14, s7
	s_cbranch_execz .LBB1187_395
; %bb.394:
	s_add_i32 s16, s23, 32
	s_mov_b32 s17, 0
	v_dual_mov_b32 v22, 2 :: v_dual_add_nc_u32 v21, v46, v17
	s_lshl_b64 s[16:17], s[16:17], 3
	v_mov_b32_e32 v18, 0
	v_add_nc_u32_e64 v23, 0x8400, 0
	s_add_u32 s16, s18, s16
	s_addc_u32 s17, s19, s17
	global_store_b64 v18, v[21:22], s[16:17]
	ds_store_2addr_b32 v23, v17, v46 offset1:2
.LBB1187_395:
	s_or_b32 exec_lo, exec_lo, s14
	s_delay_alu instid0(SALU_CYCLE_1)
	s_and_b32 exec_lo, exec_lo, s2
	s_cbranch_execz .LBB1187_397
; %bb.396:
	v_mov_b32_e32 v17, 0
	ds_store_b32 v17, v46 offset:60
.LBB1187_397:
	s_or_b32 exec_lo, exec_lo, s12
	v_mov_b32_e32 v17, 0
	s_waitcnt lgkmcnt(0)
	s_waitcnt_vscnt null, 0x0
	s_barrier
	buffer_gl0_inv
	v_cndmask_b32_e64 v18, v29, v27, s7
	ds_load_b32 v17, v17 offset:60
	s_waitcnt lgkmcnt(0)
	s_barrier
	buffer_gl0_inv
	v_cndmask_b32_e64 v18, v18, 0, s2
	s_delay_alu instid0(VALU_DEP_1) | instskip(SKIP_1) | instid1(VALU_DEP_2)
	v_add_nc_u32_e32 v37, v17, v18
	v_add_nc_u32_e64 v17, 0x8400, 0
	v_add_nc_u32_e32 v35, v37, v28
	ds_load_2addr_b32 v[17:18], v17 offset1:2
	v_add_nc_u32_e32 v33, v35, v30
	s_delay_alu instid0(VALU_DEP_1) | instskip(NEXT) | instid1(VALU_DEP_1)
	v_add_nc_u32_e32 v31, v33, v32
	v_add_nc_u32_e32 v29, v31, v34
	s_delay_alu instid0(VALU_DEP_1) | instskip(NEXT) | instid1(VALU_DEP_1)
	v_add_nc_u32_e32 v27, v29, v36
	v_add_nc_u32_e32 v25, v27, v38
	s_delay_alu instid0(VALU_DEP_1)
	v_add_nc_u32_e32 v23, v25, v41
	v_lshrrev_b64 v[21:22], 24, v[19:20]
	s_branch .LBB1187_408
.LBB1187_398:
                                        ; implicit-def: $vgpr23
                                        ; implicit-def: $vgpr25
                                        ; implicit-def: $vgpr27
                                        ; implicit-def: $vgpr29
                                        ; implicit-def: $vgpr31
                                        ; implicit-def: $vgpr33
                                        ; implicit-def: $vgpr35
                                        ; implicit-def: $vgpr37
                                        ; implicit-def: $vgpr18
	v_lshrrev_b64 v[21:22], 24, v[19:20]
	s_and_b32 vcc_lo, exec_lo, s7
	s_cbranch_vccz .LBB1187_408
; %bb.399:
	s_waitcnt lgkmcnt(0)
	v_mov_b32_dpp v17, v44 row_shr:1 row_mask:0xf bank_mask:0xf
	s_delay_alu instid0(VALU_DEP_1) | instskip(NEXT) | instid1(VALU_DEP_1)
	v_cndmask_b32_e64 v17, v17, 0, s3
	v_add_nc_u32_e32 v17, v17, v44
	s_delay_alu instid0(VALU_DEP_1) | instskip(NEXT) | instid1(VALU_DEP_1)
	v_mov_b32_dpp v18, v17 row_shr:2 row_mask:0xf bank_mask:0xf
	v_cndmask_b32_e64 v18, 0, v18, s0
	s_delay_alu instid0(VALU_DEP_1) | instskip(NEXT) | instid1(VALU_DEP_1)
	v_add_nc_u32_e32 v17, v17, v18
	v_mov_b32_dpp v18, v17 row_shr:4 row_mask:0xf bank_mask:0xf
	s_delay_alu instid0(VALU_DEP_1) | instskip(NEXT) | instid1(VALU_DEP_1)
	v_cndmask_b32_e64 v18, 0, v18, s4
	v_add_nc_u32_e32 v17, v17, v18
	s_delay_alu instid0(VALU_DEP_1) | instskip(NEXT) | instid1(VALU_DEP_1)
	v_mov_b32_dpp v18, v17 row_shr:8 row_mask:0xf bank_mask:0xf
	v_cndmask_b32_e64 v18, 0, v18, s1
	s_delay_alu instid0(VALU_DEP_1) | instskip(SKIP_3) | instid1(VALU_DEP_1)
	v_add_nc_u32_e32 v17, v17, v18
	ds_swizzle_b32 v18, v17 offset:swizzle(BROADCAST,32,15)
	s_waitcnt lgkmcnt(0)
	v_cndmask_b32_e64 v18, v18, 0, s6
	v_add_nc_u32_e32 v17, v17, v18
	s_and_saveexec_b32 s6, s5
	s_cbranch_execz .LBB1187_401
; %bb.400:
	v_lshlrev_b32_e32 v18, 2, v43
	ds_store_b32 v18, v17
.LBB1187_401:
	s_or_b32 exec_lo, exec_lo, s6
	s_delay_alu instid0(SALU_CYCLE_1)
	s_mov_b32 s5, exec_lo
	s_waitcnt lgkmcnt(0)
	s_barrier
	buffer_gl0_inv
	v_cmpx_gt_u32_e32 16, v0
	s_cbranch_execz .LBB1187_403
; %bb.402:
	v_lshlrev_b32_e32 v18, 2, v0
	ds_load_b32 v22, v18
	s_waitcnt lgkmcnt(0)
	v_mov_b32_dpp v23, v22 row_shr:1 row_mask:0xf bank_mask:0xf
	s_delay_alu instid0(VALU_DEP_1) | instskip(NEXT) | instid1(VALU_DEP_1)
	v_cndmask_b32_e64 v23, v23, 0, s3
	v_add_nc_u32_e32 v22, v23, v22
	s_delay_alu instid0(VALU_DEP_1) | instskip(NEXT) | instid1(VALU_DEP_1)
	v_mov_b32_dpp v23, v22 row_shr:2 row_mask:0xf bank_mask:0xf
	v_cndmask_b32_e64 v23, 0, v23, s0
	s_delay_alu instid0(VALU_DEP_1) | instskip(NEXT) | instid1(VALU_DEP_1)
	v_add_nc_u32_e32 v22, v22, v23
	v_mov_b32_dpp v23, v22 row_shr:4 row_mask:0xf bank_mask:0xf
	s_delay_alu instid0(VALU_DEP_1) | instskip(NEXT) | instid1(VALU_DEP_1)
	v_cndmask_b32_e64 v23, 0, v23, s4
	v_add_nc_u32_e32 v22, v22, v23
	s_delay_alu instid0(VALU_DEP_1) | instskip(NEXT) | instid1(VALU_DEP_1)
	v_mov_b32_dpp v23, v22 row_shr:8 row_mask:0xf bank_mask:0xf
	v_cndmask_b32_e64 v23, 0, v23, s1
	s_delay_alu instid0(VALU_DEP_1)
	v_add_nc_u32_e32 v22, v22, v23
	ds_store_b32 v18, v22
.LBB1187_403:
	s_or_b32 exec_lo, exec_lo, s5
	v_mov_b32_e32 v18, 0
	v_mov_b32_e32 v22, 0
	s_mov_b32 s0, exec_lo
	s_waitcnt lgkmcnt(0)
	s_barrier
	buffer_gl0_inv
	v_cmpx_lt_u32_e32 31, v0
	s_cbranch_execz .LBB1187_405
; %bb.404:
	v_lshl_add_u32 v22, v43, 2, -4
	ds_load_b32 v22, v22
.LBB1187_405:
	s_or_b32 exec_lo, exec_lo, s0
	v_add_nc_u32_e32 v23, -1, v42
	s_waitcnt lgkmcnt(0)
	v_add_nc_u32_e32 v17, v22, v17
	s_delay_alu instid0(VALU_DEP_2) | instskip(SKIP_1) | instid1(VALU_DEP_1)
	v_cmp_gt_i32_e32 vcc_lo, 0, v23
	v_cndmask_b32_e32 v23, v23, v42, vcc_lo
	v_lshlrev_b32_e32 v23, 2, v23
	ds_bpermute_b32 v23, v23, v17
	ds_load_b32 v17, v18 offset:60
	s_and_saveexec_b32 s0, s2
	s_cbranch_execz .LBB1187_407
; %bb.406:
	v_mov_b32_e32 v24, 0
	v_mov_b32_e32 v18, 2
	s_waitcnt lgkmcnt(0)
	global_store_b64 v24, v[17:18], s[18:19] offset:256
.LBB1187_407:
	s_or_b32 exec_lo, exec_lo, s0
	v_cmp_eq_u32_e32 vcc_lo, 0, v42
	s_waitcnt lgkmcnt(0)
	s_waitcnt_vscnt null, 0x0
	s_barrier
	buffer_gl0_inv
	v_cndmask_b32_e32 v18, v23, v22, vcc_lo
	s_delay_alu instid0(VALU_DEP_1) | instskip(NEXT) | instid1(VALU_DEP_1)
	v_cndmask_b32_e64 v37, v18, 0, s2
	v_dual_mov_b32 v18, 0 :: v_dual_add_nc_u32 v35, v37, v28
	s_delay_alu instid0(VALU_DEP_1) | instskip(NEXT) | instid1(VALU_DEP_1)
	v_add_nc_u32_e32 v33, v35, v30
	v_add_nc_u32_e32 v31, v33, v32
	s_delay_alu instid0(VALU_DEP_1) | instskip(NEXT) | instid1(VALU_DEP_1)
	v_add_nc_u32_e32 v29, v31, v34
	v_add_nc_u32_e32 v27, v29, v36
	;; [unrolled: 3-line block ×3, first 2 shown]
.LBB1187_408:
	s_waitcnt lgkmcnt(0)
	v_cmp_gt_u32_e32 vcc_lo, 0x201, v17
	v_lshrrev_b32_e32 v43, 8, v19
	v_lshrrev_b32_e32 v42, 16, v19
	;; [unrolled: 1-line block ×4, first 2 shown]
	s_mov_b32 s0, -1
	s_cbranch_vccnz .LBB1187_412
; %bb.409:
	s_and_b32 vcc_lo, exec_lo, s0
	s_cbranch_vccnz .LBB1187_437
.LBB1187_410:
	s_and_b32 s0, s2, s13
	s_delay_alu instid0(SALU_CYCLE_1)
	s_and_saveexec_b32 s1, s0
	s_cbranch_execnz .LBB1187_457
.LBB1187_411:
	s_nop 0
	s_sendmsg sendmsg(MSG_DEALLOC_VGPRS)
	s_endpgm
.LBB1187_412:
	v_add_nc_u32_e32 v24, v18, v17
	s_delay_alu instid0(VALU_DEP_1) | instskip(SKIP_1) | instid1(SALU_CYCLE_1)
	v_cmp_lt_u32_e32 vcc_lo, v37, v24
	s_or_b32 s1, s22, vcc_lo
	s_and_saveexec_b32 s0, s1
	s_cbranch_execz .LBB1187_415
; %bb.413:
	v_and_b32_e32 v26, 1, v19
	s_delay_alu instid0(VALU_DEP_1)
	v_cmp_eq_u32_e32 vcc_lo, 1, v26
	s_and_b32 exec_lo, exec_lo, vcc_lo
	s_cbranch_execz .LBB1187_415
; %bb.414:
	v_mov_b32_e32 v38, 0
	s_lshl_b64 s[4:5], s[10:11], 3
	s_delay_alu instid0(SALU_CYCLE_1) | instskip(SKIP_1) | instid1(VALU_DEP_1)
	s_add_u32 s1, s20, s4
	s_addc_u32 s3, s21, s5
	v_lshlrev_b64 v[44:45], 3, v[37:38]
	s_delay_alu instid0(VALU_DEP_1) | instskip(NEXT) | instid1(VALU_DEP_2)
	v_add_co_u32 v44, vcc_lo, s1, v44
	v_add_co_ci_u32_e32 v45, vcc_lo, s3, v45, vcc_lo
	global_store_b64 v[44:45], v[13:14], off
.LBB1187_415:
	s_or_b32 exec_lo, exec_lo, s0
	v_cmp_lt_u32_e32 vcc_lo, v35, v24
	s_or_b32 s1, s22, vcc_lo
	s_delay_alu instid0(SALU_CYCLE_1)
	s_and_saveexec_b32 s0, s1
	s_cbranch_execz .LBB1187_418
; %bb.416:
	v_and_b32_e32 v26, 1, v43
	s_delay_alu instid0(VALU_DEP_1)
	v_cmp_eq_u32_e32 vcc_lo, 1, v26
	s_and_b32 exec_lo, exec_lo, vcc_lo
	s_cbranch_execz .LBB1187_418
; %bb.417:
	v_mov_b32_e32 v36, 0
	s_lshl_b64 s[4:5], s[10:11], 3
	s_delay_alu instid0(SALU_CYCLE_1) | instskip(SKIP_1) | instid1(VALU_DEP_1)
	s_add_u32 s1, s20, s4
	s_addc_u32 s3, s21, s5
	v_lshlrev_b64 v[44:45], 3, v[35:36]
	s_delay_alu instid0(VALU_DEP_1) | instskip(NEXT) | instid1(VALU_DEP_2)
	v_add_co_u32 v44, vcc_lo, s1, v44
	v_add_co_ci_u32_e32 v45, vcc_lo, s3, v45, vcc_lo
	global_store_b64 v[44:45], v[15:16], off
.LBB1187_418:
	s_or_b32 exec_lo, exec_lo, s0
	v_cmp_lt_u32_e32 vcc_lo, v33, v24
	s_or_b32 s1, s22, vcc_lo
	s_delay_alu instid0(SALU_CYCLE_1)
	;; [unrolled: 24-line block ×7, first 2 shown]
	s_and_saveexec_b32 s0, s1
	s_cbranch_execz .LBB1187_436
; %bb.434:
	v_and_b32_e32 v24, 1, v40
	s_delay_alu instid0(VALU_DEP_1)
	v_cmp_eq_u32_e32 vcc_lo, 1, v24
	s_and_b32 exec_lo, exec_lo, vcc_lo
	s_cbranch_execz .LBB1187_436
; %bb.435:
	v_mov_b32_e32 v24, 0
	s_lshl_b64 s[4:5], s[10:11], 3
	s_delay_alu instid0(SALU_CYCLE_1) | instskip(SKIP_1) | instid1(VALU_DEP_1)
	s_add_u32 s1, s20, s4
	s_addc_u32 s3, s21, s5
	v_lshlrev_b64 v[44:45], 3, v[23:24]
	s_delay_alu instid0(VALU_DEP_1) | instskip(NEXT) | instid1(VALU_DEP_2)
	v_add_co_u32 v44, vcc_lo, s1, v44
	v_add_co_ci_u32_e32 v45, vcc_lo, s3, v45, vcc_lo
	global_store_b64 v[44:45], v[3:4], off
.LBB1187_436:
	s_or_b32 exec_lo, exec_lo, s0
	s_branch .LBB1187_410
.LBB1187_437:
	v_and_b32_e32 v19, 1, v19
	s_mov_b32 s0, exec_lo
	s_delay_alu instid0(VALU_DEP_1)
	v_cmpx_eq_u32_e32 1, v19
	s_cbranch_execz .LBB1187_439
; %bb.438:
	v_sub_nc_u32_e32 v19, v37, v18
	s_delay_alu instid0(VALU_DEP_1)
	v_lshlrev_b32_e32 v19, 3, v19
	ds_store_b64 v19, v[13:14]
.LBB1187_439:
	s_or_b32 exec_lo, exec_lo, s0
	v_and_b32_e32 v13, 1, v43
	s_mov_b32 s0, exec_lo
	s_delay_alu instid0(VALU_DEP_1)
	v_cmpx_eq_u32_e32 1, v13
	s_cbranch_execz .LBB1187_441
; %bb.440:
	v_sub_nc_u32_e32 v13, v35, v18
	s_delay_alu instid0(VALU_DEP_1)
	v_lshlrev_b32_e32 v13, 3, v13
	ds_store_b64 v13, v[15:16]
.LBB1187_441:
	s_or_b32 exec_lo, exec_lo, s0
	;; [unrolled: 12-line block ×8, first 2 shown]
	s_delay_alu instid0(SALU_CYCLE_1)
	s_mov_b32 s1, exec_lo
	s_waitcnt lgkmcnt(0)
	s_waitcnt_vscnt null, 0x0
	s_barrier
	buffer_gl0_inv
	v_cmpx_lt_u32_e64 v0, v17
	s_cbranch_execz .LBB1187_456
; %bb.454:
	v_dual_mov_b32 v2, 0 :: v_dual_mov_b32 v1, v18
	s_lshl_b64 s[4:5], s[10:11], 3
	s_mov_b32 s3, 0
	s_delay_alu instid0(VALU_DEP_1) | instskip(NEXT) | instid1(VALU_DEP_1)
	v_lshlrev_b64 v[1:2], 3, v[1:2]
	v_add_co_u32 v1, vcc_lo, s4, v1
	s_delay_alu instid0(VALU_DEP_2) | instskip(NEXT) | instid1(VALU_DEP_2)
	v_add_co_ci_u32_e32 v2, vcc_lo, s5, v2, vcc_lo
	v_add_co_u32 v1, vcc_lo, s20, v1
	s_delay_alu instid0(VALU_DEP_2) | instskip(NEXT) | instid1(VALU_DEP_2)
	v_add_co_ci_u32_e32 v2, vcc_lo, s21, v2, vcc_lo
	v_add_co_u32 v1, vcc_lo, v1, v39
	s_delay_alu instid0(VALU_DEP_2)
	v_add_co_ci_u32_e32 v2, vcc_lo, 0, v2, vcc_lo
	.p2align	6
.LBB1187_455:                           ; =>This Inner Loop Header: Depth=1
	ds_load_b64 v[3:4], v39
	v_add_nc_u32_e32 v0, 0x200, v0
	v_add_nc_u32_e32 v39, 0x1000, v39
	s_delay_alu instid0(VALU_DEP_2) | instskip(SKIP_4) | instid1(VALU_DEP_1)
	v_cmp_ge_u32_e32 vcc_lo, v0, v17
	s_or_b32 s3, vcc_lo, s3
	s_waitcnt lgkmcnt(0)
	global_store_b64 v[1:2], v[3:4], off
	v_add_co_u32 v1, s0, 0x1000, v1
	v_add_co_ci_u32_e64 v2, s0, 0, v2, s0
	s_and_not1_b32 exec_lo, exec_lo, s3
	s_cbranch_execnz .LBB1187_455
.LBB1187_456:
	s_or_b32 exec_lo, exec_lo, s1
	s_and_b32 s0, s2, s13
	s_delay_alu instid0(SALU_CYCLE_1)
	s_and_saveexec_b32 s1, s0
	s_cbranch_execz .LBB1187_411
.LBB1187_457:
	v_add_co_u32 v0, s0, s10, v17
	s_delay_alu instid0(VALU_DEP_1) | instskip(SKIP_1) | instid1(VALU_DEP_3)
	v_add_co_ci_u32_e64 v1, null, s11, 0, s0
	v_mov_b32_e32 v2, 0
	v_add_co_u32 v0, vcc_lo, v0, v18
	s_delay_alu instid0(VALU_DEP_3)
	v_add_co_ci_u32_e32 v1, vcc_lo, 0, v1, vcc_lo
	global_store_b64 v2, v[0:1], s[8:9]
	s_nop 0
	s_sendmsg sendmsg(MSG_DEALLOC_VGPRS)
	s_endpgm
	.section	.rodata,"a",@progbits
	.p2align	6, 0x0
	.amdhsa_kernel _ZN7rocprim17ROCPRIM_400000_NS6detail17trampoline_kernelINS0_14default_configENS1_25partition_config_selectorILNS1_17partition_subalgoE8ElNS0_10empty_typeEbEEZZNS1_14partition_implILS5_8ELb0ES3_jPlPS6_PKS6_NS0_5tupleIJS9_S6_EEENSD_IJSA_SA_EEENS0_18inequality_wrapperIZN2at6native12_GLOBAL__N_124unique_dim_cuda_templateIN3c108BFloat16EEESt5tupleIJNSH_6TensorESO_SO_EERKSO_lbbbEUlllE0_EEPmJS6_EEE10hipError_tPvRmT3_T4_T5_T6_T7_T9_mT8_P12ihipStream_tbDpT10_ENKUlT_T0_E_clISt17integral_constantIbLb1EES1E_EEDaS19_S1A_EUlS19_E_NS1_11comp_targetILNS1_3genE9ELNS1_11target_archE1100ELNS1_3gpuE3ELNS1_3repE0EEENS1_30default_config_static_selectorELNS0_4arch9wavefront6targetE0EEEvT1_
		.amdhsa_group_segment_fixed_size 33804
		.amdhsa_private_segment_fixed_size 0
		.amdhsa_kernarg_size 136
		.amdhsa_user_sgpr_count 15
		.amdhsa_user_sgpr_dispatch_ptr 0
		.amdhsa_user_sgpr_queue_ptr 0
		.amdhsa_user_sgpr_kernarg_segment_ptr 1
		.amdhsa_user_sgpr_dispatch_id 0
		.amdhsa_user_sgpr_private_segment_size 0
		.amdhsa_wavefront_size32 1
		.amdhsa_uses_dynamic_stack 0
		.amdhsa_enable_private_segment 0
		.amdhsa_system_sgpr_workgroup_id_x 1
		.amdhsa_system_sgpr_workgroup_id_y 0
		.amdhsa_system_sgpr_workgroup_id_z 0
		.amdhsa_system_sgpr_workgroup_info 0
		.amdhsa_system_vgpr_workitem_id 0
		.amdhsa_next_free_vgpr 52
		.amdhsa_next_free_sgpr 38
		.amdhsa_reserve_vcc 1
		.amdhsa_float_round_mode_32 0
		.amdhsa_float_round_mode_16_64 0
		.amdhsa_float_denorm_mode_32 3
		.amdhsa_float_denorm_mode_16_64 3
		.amdhsa_dx10_clamp 1
		.amdhsa_ieee_mode 1
		.amdhsa_fp16_overflow 0
		.amdhsa_workgroup_processor_mode 1
		.amdhsa_memory_ordered 1
		.amdhsa_forward_progress 0
		.amdhsa_shared_vgpr_count 0
		.amdhsa_exception_fp_ieee_invalid_op 0
		.amdhsa_exception_fp_denorm_src 0
		.amdhsa_exception_fp_ieee_div_zero 0
		.amdhsa_exception_fp_ieee_overflow 0
		.amdhsa_exception_fp_ieee_underflow 0
		.amdhsa_exception_fp_ieee_inexact 0
		.amdhsa_exception_int_div_zero 0
	.end_amdhsa_kernel
	.section	.text._ZN7rocprim17ROCPRIM_400000_NS6detail17trampoline_kernelINS0_14default_configENS1_25partition_config_selectorILNS1_17partition_subalgoE8ElNS0_10empty_typeEbEEZZNS1_14partition_implILS5_8ELb0ES3_jPlPS6_PKS6_NS0_5tupleIJS9_S6_EEENSD_IJSA_SA_EEENS0_18inequality_wrapperIZN2at6native12_GLOBAL__N_124unique_dim_cuda_templateIN3c108BFloat16EEESt5tupleIJNSH_6TensorESO_SO_EERKSO_lbbbEUlllE0_EEPmJS6_EEE10hipError_tPvRmT3_T4_T5_T6_T7_T9_mT8_P12ihipStream_tbDpT10_ENKUlT_T0_E_clISt17integral_constantIbLb1EES1E_EEDaS19_S1A_EUlS19_E_NS1_11comp_targetILNS1_3genE9ELNS1_11target_archE1100ELNS1_3gpuE3ELNS1_3repE0EEENS1_30default_config_static_selectorELNS0_4arch9wavefront6targetE0EEEvT1_,"axG",@progbits,_ZN7rocprim17ROCPRIM_400000_NS6detail17trampoline_kernelINS0_14default_configENS1_25partition_config_selectorILNS1_17partition_subalgoE8ElNS0_10empty_typeEbEEZZNS1_14partition_implILS5_8ELb0ES3_jPlPS6_PKS6_NS0_5tupleIJS9_S6_EEENSD_IJSA_SA_EEENS0_18inequality_wrapperIZN2at6native12_GLOBAL__N_124unique_dim_cuda_templateIN3c108BFloat16EEESt5tupleIJNSH_6TensorESO_SO_EERKSO_lbbbEUlllE0_EEPmJS6_EEE10hipError_tPvRmT3_T4_T5_T6_T7_T9_mT8_P12ihipStream_tbDpT10_ENKUlT_T0_E_clISt17integral_constantIbLb1EES1E_EEDaS19_S1A_EUlS19_E_NS1_11comp_targetILNS1_3genE9ELNS1_11target_archE1100ELNS1_3gpuE3ELNS1_3repE0EEENS1_30default_config_static_selectorELNS0_4arch9wavefront6targetE0EEEvT1_,comdat
.Lfunc_end1187:
	.size	_ZN7rocprim17ROCPRIM_400000_NS6detail17trampoline_kernelINS0_14default_configENS1_25partition_config_selectorILNS1_17partition_subalgoE8ElNS0_10empty_typeEbEEZZNS1_14partition_implILS5_8ELb0ES3_jPlPS6_PKS6_NS0_5tupleIJS9_S6_EEENSD_IJSA_SA_EEENS0_18inequality_wrapperIZN2at6native12_GLOBAL__N_124unique_dim_cuda_templateIN3c108BFloat16EEESt5tupleIJNSH_6TensorESO_SO_EERKSO_lbbbEUlllE0_EEPmJS6_EEE10hipError_tPvRmT3_T4_T5_T6_T7_T9_mT8_P12ihipStream_tbDpT10_ENKUlT_T0_E_clISt17integral_constantIbLb1EES1E_EEDaS19_S1A_EUlS19_E_NS1_11comp_targetILNS1_3genE9ELNS1_11target_archE1100ELNS1_3gpuE3ELNS1_3repE0EEENS1_30default_config_static_selectorELNS0_4arch9wavefront6targetE0EEEvT1_, .Lfunc_end1187-_ZN7rocprim17ROCPRIM_400000_NS6detail17trampoline_kernelINS0_14default_configENS1_25partition_config_selectorILNS1_17partition_subalgoE8ElNS0_10empty_typeEbEEZZNS1_14partition_implILS5_8ELb0ES3_jPlPS6_PKS6_NS0_5tupleIJS9_S6_EEENSD_IJSA_SA_EEENS0_18inequality_wrapperIZN2at6native12_GLOBAL__N_124unique_dim_cuda_templateIN3c108BFloat16EEESt5tupleIJNSH_6TensorESO_SO_EERKSO_lbbbEUlllE0_EEPmJS6_EEE10hipError_tPvRmT3_T4_T5_T6_T7_T9_mT8_P12ihipStream_tbDpT10_ENKUlT_T0_E_clISt17integral_constantIbLb1EES1E_EEDaS19_S1A_EUlS19_E_NS1_11comp_targetILNS1_3genE9ELNS1_11target_archE1100ELNS1_3gpuE3ELNS1_3repE0EEENS1_30default_config_static_selectorELNS0_4arch9wavefront6targetE0EEEvT1_
                                        ; -- End function
	.section	.AMDGPU.csdata,"",@progbits
; Kernel info:
; codeLenInByte = 19284
; NumSgprs: 40
; NumVgprs: 52
; ScratchSize: 0
; MemoryBound: 0
; FloatMode: 240
; IeeeMode: 1
; LDSByteSize: 33804 bytes/workgroup (compile time only)
; SGPRBlocks: 4
; VGPRBlocks: 6
; NumSGPRsForWavesPerEU: 40
; NumVGPRsForWavesPerEU: 52
; Occupancy: 12
; WaveLimiterHint : 1
; COMPUTE_PGM_RSRC2:SCRATCH_EN: 0
; COMPUTE_PGM_RSRC2:USER_SGPR: 15
; COMPUTE_PGM_RSRC2:TRAP_HANDLER: 0
; COMPUTE_PGM_RSRC2:TGID_X_EN: 1
; COMPUTE_PGM_RSRC2:TGID_Y_EN: 0
; COMPUTE_PGM_RSRC2:TGID_Z_EN: 0
; COMPUTE_PGM_RSRC2:TIDIG_COMP_CNT: 0
	.section	.text._ZN7rocprim17ROCPRIM_400000_NS6detail17trampoline_kernelINS0_14default_configENS1_25partition_config_selectorILNS1_17partition_subalgoE8ElNS0_10empty_typeEbEEZZNS1_14partition_implILS5_8ELb0ES3_jPlPS6_PKS6_NS0_5tupleIJS9_S6_EEENSD_IJSA_SA_EEENS0_18inequality_wrapperIZN2at6native12_GLOBAL__N_124unique_dim_cuda_templateIN3c108BFloat16EEESt5tupleIJNSH_6TensorESO_SO_EERKSO_lbbbEUlllE0_EEPmJS6_EEE10hipError_tPvRmT3_T4_T5_T6_T7_T9_mT8_P12ihipStream_tbDpT10_ENKUlT_T0_E_clISt17integral_constantIbLb1EES1E_EEDaS19_S1A_EUlS19_E_NS1_11comp_targetILNS1_3genE8ELNS1_11target_archE1030ELNS1_3gpuE2ELNS1_3repE0EEENS1_30default_config_static_selectorELNS0_4arch9wavefront6targetE0EEEvT1_,"axG",@progbits,_ZN7rocprim17ROCPRIM_400000_NS6detail17trampoline_kernelINS0_14default_configENS1_25partition_config_selectorILNS1_17partition_subalgoE8ElNS0_10empty_typeEbEEZZNS1_14partition_implILS5_8ELb0ES3_jPlPS6_PKS6_NS0_5tupleIJS9_S6_EEENSD_IJSA_SA_EEENS0_18inequality_wrapperIZN2at6native12_GLOBAL__N_124unique_dim_cuda_templateIN3c108BFloat16EEESt5tupleIJNSH_6TensorESO_SO_EERKSO_lbbbEUlllE0_EEPmJS6_EEE10hipError_tPvRmT3_T4_T5_T6_T7_T9_mT8_P12ihipStream_tbDpT10_ENKUlT_T0_E_clISt17integral_constantIbLb1EES1E_EEDaS19_S1A_EUlS19_E_NS1_11comp_targetILNS1_3genE8ELNS1_11target_archE1030ELNS1_3gpuE2ELNS1_3repE0EEENS1_30default_config_static_selectorELNS0_4arch9wavefront6targetE0EEEvT1_,comdat
	.globl	_ZN7rocprim17ROCPRIM_400000_NS6detail17trampoline_kernelINS0_14default_configENS1_25partition_config_selectorILNS1_17partition_subalgoE8ElNS0_10empty_typeEbEEZZNS1_14partition_implILS5_8ELb0ES3_jPlPS6_PKS6_NS0_5tupleIJS9_S6_EEENSD_IJSA_SA_EEENS0_18inequality_wrapperIZN2at6native12_GLOBAL__N_124unique_dim_cuda_templateIN3c108BFloat16EEESt5tupleIJNSH_6TensorESO_SO_EERKSO_lbbbEUlllE0_EEPmJS6_EEE10hipError_tPvRmT3_T4_T5_T6_T7_T9_mT8_P12ihipStream_tbDpT10_ENKUlT_T0_E_clISt17integral_constantIbLb1EES1E_EEDaS19_S1A_EUlS19_E_NS1_11comp_targetILNS1_3genE8ELNS1_11target_archE1030ELNS1_3gpuE2ELNS1_3repE0EEENS1_30default_config_static_selectorELNS0_4arch9wavefront6targetE0EEEvT1_ ; -- Begin function _ZN7rocprim17ROCPRIM_400000_NS6detail17trampoline_kernelINS0_14default_configENS1_25partition_config_selectorILNS1_17partition_subalgoE8ElNS0_10empty_typeEbEEZZNS1_14partition_implILS5_8ELb0ES3_jPlPS6_PKS6_NS0_5tupleIJS9_S6_EEENSD_IJSA_SA_EEENS0_18inequality_wrapperIZN2at6native12_GLOBAL__N_124unique_dim_cuda_templateIN3c108BFloat16EEESt5tupleIJNSH_6TensorESO_SO_EERKSO_lbbbEUlllE0_EEPmJS6_EEE10hipError_tPvRmT3_T4_T5_T6_T7_T9_mT8_P12ihipStream_tbDpT10_ENKUlT_T0_E_clISt17integral_constantIbLb1EES1E_EEDaS19_S1A_EUlS19_E_NS1_11comp_targetILNS1_3genE8ELNS1_11target_archE1030ELNS1_3gpuE2ELNS1_3repE0EEENS1_30default_config_static_selectorELNS0_4arch9wavefront6targetE0EEEvT1_
	.p2align	8
	.type	_ZN7rocprim17ROCPRIM_400000_NS6detail17trampoline_kernelINS0_14default_configENS1_25partition_config_selectorILNS1_17partition_subalgoE8ElNS0_10empty_typeEbEEZZNS1_14partition_implILS5_8ELb0ES3_jPlPS6_PKS6_NS0_5tupleIJS9_S6_EEENSD_IJSA_SA_EEENS0_18inequality_wrapperIZN2at6native12_GLOBAL__N_124unique_dim_cuda_templateIN3c108BFloat16EEESt5tupleIJNSH_6TensorESO_SO_EERKSO_lbbbEUlllE0_EEPmJS6_EEE10hipError_tPvRmT3_T4_T5_T6_T7_T9_mT8_P12ihipStream_tbDpT10_ENKUlT_T0_E_clISt17integral_constantIbLb1EES1E_EEDaS19_S1A_EUlS19_E_NS1_11comp_targetILNS1_3genE8ELNS1_11target_archE1030ELNS1_3gpuE2ELNS1_3repE0EEENS1_30default_config_static_selectorELNS0_4arch9wavefront6targetE0EEEvT1_,@function
_ZN7rocprim17ROCPRIM_400000_NS6detail17trampoline_kernelINS0_14default_configENS1_25partition_config_selectorILNS1_17partition_subalgoE8ElNS0_10empty_typeEbEEZZNS1_14partition_implILS5_8ELb0ES3_jPlPS6_PKS6_NS0_5tupleIJS9_S6_EEENSD_IJSA_SA_EEENS0_18inequality_wrapperIZN2at6native12_GLOBAL__N_124unique_dim_cuda_templateIN3c108BFloat16EEESt5tupleIJNSH_6TensorESO_SO_EERKSO_lbbbEUlllE0_EEPmJS6_EEE10hipError_tPvRmT3_T4_T5_T6_T7_T9_mT8_P12ihipStream_tbDpT10_ENKUlT_T0_E_clISt17integral_constantIbLb1EES1E_EEDaS19_S1A_EUlS19_E_NS1_11comp_targetILNS1_3genE8ELNS1_11target_archE1030ELNS1_3gpuE2ELNS1_3repE0EEENS1_30default_config_static_selectorELNS0_4arch9wavefront6targetE0EEEvT1_: ; @_ZN7rocprim17ROCPRIM_400000_NS6detail17trampoline_kernelINS0_14default_configENS1_25partition_config_selectorILNS1_17partition_subalgoE8ElNS0_10empty_typeEbEEZZNS1_14partition_implILS5_8ELb0ES3_jPlPS6_PKS6_NS0_5tupleIJS9_S6_EEENSD_IJSA_SA_EEENS0_18inequality_wrapperIZN2at6native12_GLOBAL__N_124unique_dim_cuda_templateIN3c108BFloat16EEESt5tupleIJNSH_6TensorESO_SO_EERKSO_lbbbEUlllE0_EEPmJS6_EEE10hipError_tPvRmT3_T4_T5_T6_T7_T9_mT8_P12ihipStream_tbDpT10_ENKUlT_T0_E_clISt17integral_constantIbLb1EES1E_EEDaS19_S1A_EUlS19_E_NS1_11comp_targetILNS1_3genE8ELNS1_11target_archE1030ELNS1_3gpuE2ELNS1_3repE0EEENS1_30default_config_static_selectorELNS0_4arch9wavefront6targetE0EEEvT1_
; %bb.0:
	.section	.rodata,"a",@progbits
	.p2align	6, 0x0
	.amdhsa_kernel _ZN7rocprim17ROCPRIM_400000_NS6detail17trampoline_kernelINS0_14default_configENS1_25partition_config_selectorILNS1_17partition_subalgoE8ElNS0_10empty_typeEbEEZZNS1_14partition_implILS5_8ELb0ES3_jPlPS6_PKS6_NS0_5tupleIJS9_S6_EEENSD_IJSA_SA_EEENS0_18inequality_wrapperIZN2at6native12_GLOBAL__N_124unique_dim_cuda_templateIN3c108BFloat16EEESt5tupleIJNSH_6TensorESO_SO_EERKSO_lbbbEUlllE0_EEPmJS6_EEE10hipError_tPvRmT3_T4_T5_T6_T7_T9_mT8_P12ihipStream_tbDpT10_ENKUlT_T0_E_clISt17integral_constantIbLb1EES1E_EEDaS19_S1A_EUlS19_E_NS1_11comp_targetILNS1_3genE8ELNS1_11target_archE1030ELNS1_3gpuE2ELNS1_3repE0EEENS1_30default_config_static_selectorELNS0_4arch9wavefront6targetE0EEEvT1_
		.amdhsa_group_segment_fixed_size 0
		.amdhsa_private_segment_fixed_size 0
		.amdhsa_kernarg_size 136
		.amdhsa_user_sgpr_count 15
		.amdhsa_user_sgpr_dispatch_ptr 0
		.amdhsa_user_sgpr_queue_ptr 0
		.amdhsa_user_sgpr_kernarg_segment_ptr 1
		.amdhsa_user_sgpr_dispatch_id 0
		.amdhsa_user_sgpr_private_segment_size 0
		.amdhsa_wavefront_size32 1
		.amdhsa_uses_dynamic_stack 0
		.amdhsa_enable_private_segment 0
		.amdhsa_system_sgpr_workgroup_id_x 1
		.amdhsa_system_sgpr_workgroup_id_y 0
		.amdhsa_system_sgpr_workgroup_id_z 0
		.amdhsa_system_sgpr_workgroup_info 0
		.amdhsa_system_vgpr_workitem_id 0
		.amdhsa_next_free_vgpr 1
		.amdhsa_next_free_sgpr 1
		.amdhsa_reserve_vcc 0
		.amdhsa_float_round_mode_32 0
		.amdhsa_float_round_mode_16_64 0
		.amdhsa_float_denorm_mode_32 3
		.amdhsa_float_denorm_mode_16_64 3
		.amdhsa_dx10_clamp 1
		.amdhsa_ieee_mode 1
		.amdhsa_fp16_overflow 0
		.amdhsa_workgroup_processor_mode 1
		.amdhsa_memory_ordered 1
		.amdhsa_forward_progress 0
		.amdhsa_shared_vgpr_count 0
		.amdhsa_exception_fp_ieee_invalid_op 0
		.amdhsa_exception_fp_denorm_src 0
		.amdhsa_exception_fp_ieee_div_zero 0
		.amdhsa_exception_fp_ieee_overflow 0
		.amdhsa_exception_fp_ieee_underflow 0
		.amdhsa_exception_fp_ieee_inexact 0
		.amdhsa_exception_int_div_zero 0
	.end_amdhsa_kernel
	.section	.text._ZN7rocprim17ROCPRIM_400000_NS6detail17trampoline_kernelINS0_14default_configENS1_25partition_config_selectorILNS1_17partition_subalgoE8ElNS0_10empty_typeEbEEZZNS1_14partition_implILS5_8ELb0ES3_jPlPS6_PKS6_NS0_5tupleIJS9_S6_EEENSD_IJSA_SA_EEENS0_18inequality_wrapperIZN2at6native12_GLOBAL__N_124unique_dim_cuda_templateIN3c108BFloat16EEESt5tupleIJNSH_6TensorESO_SO_EERKSO_lbbbEUlllE0_EEPmJS6_EEE10hipError_tPvRmT3_T4_T5_T6_T7_T9_mT8_P12ihipStream_tbDpT10_ENKUlT_T0_E_clISt17integral_constantIbLb1EES1E_EEDaS19_S1A_EUlS19_E_NS1_11comp_targetILNS1_3genE8ELNS1_11target_archE1030ELNS1_3gpuE2ELNS1_3repE0EEENS1_30default_config_static_selectorELNS0_4arch9wavefront6targetE0EEEvT1_,"axG",@progbits,_ZN7rocprim17ROCPRIM_400000_NS6detail17trampoline_kernelINS0_14default_configENS1_25partition_config_selectorILNS1_17partition_subalgoE8ElNS0_10empty_typeEbEEZZNS1_14partition_implILS5_8ELb0ES3_jPlPS6_PKS6_NS0_5tupleIJS9_S6_EEENSD_IJSA_SA_EEENS0_18inequality_wrapperIZN2at6native12_GLOBAL__N_124unique_dim_cuda_templateIN3c108BFloat16EEESt5tupleIJNSH_6TensorESO_SO_EERKSO_lbbbEUlllE0_EEPmJS6_EEE10hipError_tPvRmT3_T4_T5_T6_T7_T9_mT8_P12ihipStream_tbDpT10_ENKUlT_T0_E_clISt17integral_constantIbLb1EES1E_EEDaS19_S1A_EUlS19_E_NS1_11comp_targetILNS1_3genE8ELNS1_11target_archE1030ELNS1_3gpuE2ELNS1_3repE0EEENS1_30default_config_static_selectorELNS0_4arch9wavefront6targetE0EEEvT1_,comdat
.Lfunc_end1188:
	.size	_ZN7rocprim17ROCPRIM_400000_NS6detail17trampoline_kernelINS0_14default_configENS1_25partition_config_selectorILNS1_17partition_subalgoE8ElNS0_10empty_typeEbEEZZNS1_14partition_implILS5_8ELb0ES3_jPlPS6_PKS6_NS0_5tupleIJS9_S6_EEENSD_IJSA_SA_EEENS0_18inequality_wrapperIZN2at6native12_GLOBAL__N_124unique_dim_cuda_templateIN3c108BFloat16EEESt5tupleIJNSH_6TensorESO_SO_EERKSO_lbbbEUlllE0_EEPmJS6_EEE10hipError_tPvRmT3_T4_T5_T6_T7_T9_mT8_P12ihipStream_tbDpT10_ENKUlT_T0_E_clISt17integral_constantIbLb1EES1E_EEDaS19_S1A_EUlS19_E_NS1_11comp_targetILNS1_3genE8ELNS1_11target_archE1030ELNS1_3gpuE2ELNS1_3repE0EEENS1_30default_config_static_selectorELNS0_4arch9wavefront6targetE0EEEvT1_, .Lfunc_end1188-_ZN7rocprim17ROCPRIM_400000_NS6detail17trampoline_kernelINS0_14default_configENS1_25partition_config_selectorILNS1_17partition_subalgoE8ElNS0_10empty_typeEbEEZZNS1_14partition_implILS5_8ELb0ES3_jPlPS6_PKS6_NS0_5tupleIJS9_S6_EEENSD_IJSA_SA_EEENS0_18inequality_wrapperIZN2at6native12_GLOBAL__N_124unique_dim_cuda_templateIN3c108BFloat16EEESt5tupleIJNSH_6TensorESO_SO_EERKSO_lbbbEUlllE0_EEPmJS6_EEE10hipError_tPvRmT3_T4_T5_T6_T7_T9_mT8_P12ihipStream_tbDpT10_ENKUlT_T0_E_clISt17integral_constantIbLb1EES1E_EEDaS19_S1A_EUlS19_E_NS1_11comp_targetILNS1_3genE8ELNS1_11target_archE1030ELNS1_3gpuE2ELNS1_3repE0EEENS1_30default_config_static_selectorELNS0_4arch9wavefront6targetE0EEEvT1_
                                        ; -- End function
	.section	.AMDGPU.csdata,"",@progbits
; Kernel info:
; codeLenInByte = 0
; NumSgprs: 0
; NumVgprs: 0
; ScratchSize: 0
; MemoryBound: 0
; FloatMode: 240
; IeeeMode: 1
; LDSByteSize: 0 bytes/workgroup (compile time only)
; SGPRBlocks: 0
; VGPRBlocks: 0
; NumSGPRsForWavesPerEU: 1
; NumVGPRsForWavesPerEU: 1
; Occupancy: 16
; WaveLimiterHint : 0
; COMPUTE_PGM_RSRC2:SCRATCH_EN: 0
; COMPUTE_PGM_RSRC2:USER_SGPR: 15
; COMPUTE_PGM_RSRC2:TRAP_HANDLER: 0
; COMPUTE_PGM_RSRC2:TGID_X_EN: 1
; COMPUTE_PGM_RSRC2:TGID_Y_EN: 0
; COMPUTE_PGM_RSRC2:TGID_Z_EN: 0
; COMPUTE_PGM_RSRC2:TIDIG_COMP_CNT: 0
	.section	.text._ZN7rocprim17ROCPRIM_400000_NS6detail17trampoline_kernelINS0_14default_configENS1_25partition_config_selectorILNS1_17partition_subalgoE8ElNS0_10empty_typeEbEEZZNS1_14partition_implILS5_8ELb0ES3_jPlPS6_PKS6_NS0_5tupleIJS9_S6_EEENSD_IJSA_SA_EEENS0_18inequality_wrapperIZN2at6native12_GLOBAL__N_124unique_dim_cuda_templateIN3c108BFloat16EEESt5tupleIJNSH_6TensorESO_SO_EERKSO_lbbbEUlllE0_EEPmJS6_EEE10hipError_tPvRmT3_T4_T5_T6_T7_T9_mT8_P12ihipStream_tbDpT10_ENKUlT_T0_E_clISt17integral_constantIbLb1EES1D_IbLb0EEEEDaS19_S1A_EUlS19_E_NS1_11comp_targetILNS1_3genE0ELNS1_11target_archE4294967295ELNS1_3gpuE0ELNS1_3repE0EEENS1_30default_config_static_selectorELNS0_4arch9wavefront6targetE0EEEvT1_,"axG",@progbits,_ZN7rocprim17ROCPRIM_400000_NS6detail17trampoline_kernelINS0_14default_configENS1_25partition_config_selectorILNS1_17partition_subalgoE8ElNS0_10empty_typeEbEEZZNS1_14partition_implILS5_8ELb0ES3_jPlPS6_PKS6_NS0_5tupleIJS9_S6_EEENSD_IJSA_SA_EEENS0_18inequality_wrapperIZN2at6native12_GLOBAL__N_124unique_dim_cuda_templateIN3c108BFloat16EEESt5tupleIJNSH_6TensorESO_SO_EERKSO_lbbbEUlllE0_EEPmJS6_EEE10hipError_tPvRmT3_T4_T5_T6_T7_T9_mT8_P12ihipStream_tbDpT10_ENKUlT_T0_E_clISt17integral_constantIbLb1EES1D_IbLb0EEEEDaS19_S1A_EUlS19_E_NS1_11comp_targetILNS1_3genE0ELNS1_11target_archE4294967295ELNS1_3gpuE0ELNS1_3repE0EEENS1_30default_config_static_selectorELNS0_4arch9wavefront6targetE0EEEvT1_,comdat
	.globl	_ZN7rocprim17ROCPRIM_400000_NS6detail17trampoline_kernelINS0_14default_configENS1_25partition_config_selectorILNS1_17partition_subalgoE8ElNS0_10empty_typeEbEEZZNS1_14partition_implILS5_8ELb0ES3_jPlPS6_PKS6_NS0_5tupleIJS9_S6_EEENSD_IJSA_SA_EEENS0_18inequality_wrapperIZN2at6native12_GLOBAL__N_124unique_dim_cuda_templateIN3c108BFloat16EEESt5tupleIJNSH_6TensorESO_SO_EERKSO_lbbbEUlllE0_EEPmJS6_EEE10hipError_tPvRmT3_T4_T5_T6_T7_T9_mT8_P12ihipStream_tbDpT10_ENKUlT_T0_E_clISt17integral_constantIbLb1EES1D_IbLb0EEEEDaS19_S1A_EUlS19_E_NS1_11comp_targetILNS1_3genE0ELNS1_11target_archE4294967295ELNS1_3gpuE0ELNS1_3repE0EEENS1_30default_config_static_selectorELNS0_4arch9wavefront6targetE0EEEvT1_ ; -- Begin function _ZN7rocprim17ROCPRIM_400000_NS6detail17trampoline_kernelINS0_14default_configENS1_25partition_config_selectorILNS1_17partition_subalgoE8ElNS0_10empty_typeEbEEZZNS1_14partition_implILS5_8ELb0ES3_jPlPS6_PKS6_NS0_5tupleIJS9_S6_EEENSD_IJSA_SA_EEENS0_18inequality_wrapperIZN2at6native12_GLOBAL__N_124unique_dim_cuda_templateIN3c108BFloat16EEESt5tupleIJNSH_6TensorESO_SO_EERKSO_lbbbEUlllE0_EEPmJS6_EEE10hipError_tPvRmT3_T4_T5_T6_T7_T9_mT8_P12ihipStream_tbDpT10_ENKUlT_T0_E_clISt17integral_constantIbLb1EES1D_IbLb0EEEEDaS19_S1A_EUlS19_E_NS1_11comp_targetILNS1_3genE0ELNS1_11target_archE4294967295ELNS1_3gpuE0ELNS1_3repE0EEENS1_30default_config_static_selectorELNS0_4arch9wavefront6targetE0EEEvT1_
	.p2align	8
	.type	_ZN7rocprim17ROCPRIM_400000_NS6detail17trampoline_kernelINS0_14default_configENS1_25partition_config_selectorILNS1_17partition_subalgoE8ElNS0_10empty_typeEbEEZZNS1_14partition_implILS5_8ELb0ES3_jPlPS6_PKS6_NS0_5tupleIJS9_S6_EEENSD_IJSA_SA_EEENS0_18inequality_wrapperIZN2at6native12_GLOBAL__N_124unique_dim_cuda_templateIN3c108BFloat16EEESt5tupleIJNSH_6TensorESO_SO_EERKSO_lbbbEUlllE0_EEPmJS6_EEE10hipError_tPvRmT3_T4_T5_T6_T7_T9_mT8_P12ihipStream_tbDpT10_ENKUlT_T0_E_clISt17integral_constantIbLb1EES1D_IbLb0EEEEDaS19_S1A_EUlS19_E_NS1_11comp_targetILNS1_3genE0ELNS1_11target_archE4294967295ELNS1_3gpuE0ELNS1_3repE0EEENS1_30default_config_static_selectorELNS0_4arch9wavefront6targetE0EEEvT1_,@function
_ZN7rocprim17ROCPRIM_400000_NS6detail17trampoline_kernelINS0_14default_configENS1_25partition_config_selectorILNS1_17partition_subalgoE8ElNS0_10empty_typeEbEEZZNS1_14partition_implILS5_8ELb0ES3_jPlPS6_PKS6_NS0_5tupleIJS9_S6_EEENSD_IJSA_SA_EEENS0_18inequality_wrapperIZN2at6native12_GLOBAL__N_124unique_dim_cuda_templateIN3c108BFloat16EEESt5tupleIJNSH_6TensorESO_SO_EERKSO_lbbbEUlllE0_EEPmJS6_EEE10hipError_tPvRmT3_T4_T5_T6_T7_T9_mT8_P12ihipStream_tbDpT10_ENKUlT_T0_E_clISt17integral_constantIbLb1EES1D_IbLb0EEEEDaS19_S1A_EUlS19_E_NS1_11comp_targetILNS1_3genE0ELNS1_11target_archE4294967295ELNS1_3gpuE0ELNS1_3repE0EEENS1_30default_config_static_selectorELNS0_4arch9wavefront6targetE0EEEvT1_: ; @_ZN7rocprim17ROCPRIM_400000_NS6detail17trampoline_kernelINS0_14default_configENS1_25partition_config_selectorILNS1_17partition_subalgoE8ElNS0_10empty_typeEbEEZZNS1_14partition_implILS5_8ELb0ES3_jPlPS6_PKS6_NS0_5tupleIJS9_S6_EEENSD_IJSA_SA_EEENS0_18inequality_wrapperIZN2at6native12_GLOBAL__N_124unique_dim_cuda_templateIN3c108BFloat16EEESt5tupleIJNSH_6TensorESO_SO_EERKSO_lbbbEUlllE0_EEPmJS6_EEE10hipError_tPvRmT3_T4_T5_T6_T7_T9_mT8_P12ihipStream_tbDpT10_ENKUlT_T0_E_clISt17integral_constantIbLb1EES1D_IbLb0EEEEDaS19_S1A_EUlS19_E_NS1_11comp_targetILNS1_3genE0ELNS1_11target_archE4294967295ELNS1_3gpuE0ELNS1_3repE0EEENS1_30default_config_static_selectorELNS0_4arch9wavefront6targetE0EEEvT1_
; %bb.0:
	.section	.rodata,"a",@progbits
	.p2align	6, 0x0
	.amdhsa_kernel _ZN7rocprim17ROCPRIM_400000_NS6detail17trampoline_kernelINS0_14default_configENS1_25partition_config_selectorILNS1_17partition_subalgoE8ElNS0_10empty_typeEbEEZZNS1_14partition_implILS5_8ELb0ES3_jPlPS6_PKS6_NS0_5tupleIJS9_S6_EEENSD_IJSA_SA_EEENS0_18inequality_wrapperIZN2at6native12_GLOBAL__N_124unique_dim_cuda_templateIN3c108BFloat16EEESt5tupleIJNSH_6TensorESO_SO_EERKSO_lbbbEUlllE0_EEPmJS6_EEE10hipError_tPvRmT3_T4_T5_T6_T7_T9_mT8_P12ihipStream_tbDpT10_ENKUlT_T0_E_clISt17integral_constantIbLb1EES1D_IbLb0EEEEDaS19_S1A_EUlS19_E_NS1_11comp_targetILNS1_3genE0ELNS1_11target_archE4294967295ELNS1_3gpuE0ELNS1_3repE0EEENS1_30default_config_static_selectorELNS0_4arch9wavefront6targetE0EEEvT1_
		.amdhsa_group_segment_fixed_size 0
		.amdhsa_private_segment_fixed_size 0
		.amdhsa_kernarg_size 120
		.amdhsa_user_sgpr_count 15
		.amdhsa_user_sgpr_dispatch_ptr 0
		.amdhsa_user_sgpr_queue_ptr 0
		.amdhsa_user_sgpr_kernarg_segment_ptr 1
		.amdhsa_user_sgpr_dispatch_id 0
		.amdhsa_user_sgpr_private_segment_size 0
		.amdhsa_wavefront_size32 1
		.amdhsa_uses_dynamic_stack 0
		.amdhsa_enable_private_segment 0
		.amdhsa_system_sgpr_workgroup_id_x 1
		.amdhsa_system_sgpr_workgroup_id_y 0
		.amdhsa_system_sgpr_workgroup_id_z 0
		.amdhsa_system_sgpr_workgroup_info 0
		.amdhsa_system_vgpr_workitem_id 0
		.amdhsa_next_free_vgpr 1
		.amdhsa_next_free_sgpr 1
		.amdhsa_reserve_vcc 0
		.amdhsa_float_round_mode_32 0
		.amdhsa_float_round_mode_16_64 0
		.amdhsa_float_denorm_mode_32 3
		.amdhsa_float_denorm_mode_16_64 3
		.amdhsa_dx10_clamp 1
		.amdhsa_ieee_mode 1
		.amdhsa_fp16_overflow 0
		.amdhsa_workgroup_processor_mode 1
		.amdhsa_memory_ordered 1
		.amdhsa_forward_progress 0
		.amdhsa_shared_vgpr_count 0
		.amdhsa_exception_fp_ieee_invalid_op 0
		.amdhsa_exception_fp_denorm_src 0
		.amdhsa_exception_fp_ieee_div_zero 0
		.amdhsa_exception_fp_ieee_overflow 0
		.amdhsa_exception_fp_ieee_underflow 0
		.amdhsa_exception_fp_ieee_inexact 0
		.amdhsa_exception_int_div_zero 0
	.end_amdhsa_kernel
	.section	.text._ZN7rocprim17ROCPRIM_400000_NS6detail17trampoline_kernelINS0_14default_configENS1_25partition_config_selectorILNS1_17partition_subalgoE8ElNS0_10empty_typeEbEEZZNS1_14partition_implILS5_8ELb0ES3_jPlPS6_PKS6_NS0_5tupleIJS9_S6_EEENSD_IJSA_SA_EEENS0_18inequality_wrapperIZN2at6native12_GLOBAL__N_124unique_dim_cuda_templateIN3c108BFloat16EEESt5tupleIJNSH_6TensorESO_SO_EERKSO_lbbbEUlllE0_EEPmJS6_EEE10hipError_tPvRmT3_T4_T5_T6_T7_T9_mT8_P12ihipStream_tbDpT10_ENKUlT_T0_E_clISt17integral_constantIbLb1EES1D_IbLb0EEEEDaS19_S1A_EUlS19_E_NS1_11comp_targetILNS1_3genE0ELNS1_11target_archE4294967295ELNS1_3gpuE0ELNS1_3repE0EEENS1_30default_config_static_selectorELNS0_4arch9wavefront6targetE0EEEvT1_,"axG",@progbits,_ZN7rocprim17ROCPRIM_400000_NS6detail17trampoline_kernelINS0_14default_configENS1_25partition_config_selectorILNS1_17partition_subalgoE8ElNS0_10empty_typeEbEEZZNS1_14partition_implILS5_8ELb0ES3_jPlPS6_PKS6_NS0_5tupleIJS9_S6_EEENSD_IJSA_SA_EEENS0_18inequality_wrapperIZN2at6native12_GLOBAL__N_124unique_dim_cuda_templateIN3c108BFloat16EEESt5tupleIJNSH_6TensorESO_SO_EERKSO_lbbbEUlllE0_EEPmJS6_EEE10hipError_tPvRmT3_T4_T5_T6_T7_T9_mT8_P12ihipStream_tbDpT10_ENKUlT_T0_E_clISt17integral_constantIbLb1EES1D_IbLb0EEEEDaS19_S1A_EUlS19_E_NS1_11comp_targetILNS1_3genE0ELNS1_11target_archE4294967295ELNS1_3gpuE0ELNS1_3repE0EEENS1_30default_config_static_selectorELNS0_4arch9wavefront6targetE0EEEvT1_,comdat
.Lfunc_end1189:
	.size	_ZN7rocprim17ROCPRIM_400000_NS6detail17trampoline_kernelINS0_14default_configENS1_25partition_config_selectorILNS1_17partition_subalgoE8ElNS0_10empty_typeEbEEZZNS1_14partition_implILS5_8ELb0ES3_jPlPS6_PKS6_NS0_5tupleIJS9_S6_EEENSD_IJSA_SA_EEENS0_18inequality_wrapperIZN2at6native12_GLOBAL__N_124unique_dim_cuda_templateIN3c108BFloat16EEESt5tupleIJNSH_6TensorESO_SO_EERKSO_lbbbEUlllE0_EEPmJS6_EEE10hipError_tPvRmT3_T4_T5_T6_T7_T9_mT8_P12ihipStream_tbDpT10_ENKUlT_T0_E_clISt17integral_constantIbLb1EES1D_IbLb0EEEEDaS19_S1A_EUlS19_E_NS1_11comp_targetILNS1_3genE0ELNS1_11target_archE4294967295ELNS1_3gpuE0ELNS1_3repE0EEENS1_30default_config_static_selectorELNS0_4arch9wavefront6targetE0EEEvT1_, .Lfunc_end1189-_ZN7rocprim17ROCPRIM_400000_NS6detail17trampoline_kernelINS0_14default_configENS1_25partition_config_selectorILNS1_17partition_subalgoE8ElNS0_10empty_typeEbEEZZNS1_14partition_implILS5_8ELb0ES3_jPlPS6_PKS6_NS0_5tupleIJS9_S6_EEENSD_IJSA_SA_EEENS0_18inequality_wrapperIZN2at6native12_GLOBAL__N_124unique_dim_cuda_templateIN3c108BFloat16EEESt5tupleIJNSH_6TensorESO_SO_EERKSO_lbbbEUlllE0_EEPmJS6_EEE10hipError_tPvRmT3_T4_T5_T6_T7_T9_mT8_P12ihipStream_tbDpT10_ENKUlT_T0_E_clISt17integral_constantIbLb1EES1D_IbLb0EEEEDaS19_S1A_EUlS19_E_NS1_11comp_targetILNS1_3genE0ELNS1_11target_archE4294967295ELNS1_3gpuE0ELNS1_3repE0EEENS1_30default_config_static_selectorELNS0_4arch9wavefront6targetE0EEEvT1_
                                        ; -- End function
	.section	.AMDGPU.csdata,"",@progbits
; Kernel info:
; codeLenInByte = 0
; NumSgprs: 0
; NumVgprs: 0
; ScratchSize: 0
; MemoryBound: 0
; FloatMode: 240
; IeeeMode: 1
; LDSByteSize: 0 bytes/workgroup (compile time only)
; SGPRBlocks: 0
; VGPRBlocks: 0
; NumSGPRsForWavesPerEU: 1
; NumVGPRsForWavesPerEU: 1
; Occupancy: 16
; WaveLimiterHint : 0
; COMPUTE_PGM_RSRC2:SCRATCH_EN: 0
; COMPUTE_PGM_RSRC2:USER_SGPR: 15
; COMPUTE_PGM_RSRC2:TRAP_HANDLER: 0
; COMPUTE_PGM_RSRC2:TGID_X_EN: 1
; COMPUTE_PGM_RSRC2:TGID_Y_EN: 0
; COMPUTE_PGM_RSRC2:TGID_Z_EN: 0
; COMPUTE_PGM_RSRC2:TIDIG_COMP_CNT: 0
	.section	.text._ZN7rocprim17ROCPRIM_400000_NS6detail17trampoline_kernelINS0_14default_configENS1_25partition_config_selectorILNS1_17partition_subalgoE8ElNS0_10empty_typeEbEEZZNS1_14partition_implILS5_8ELb0ES3_jPlPS6_PKS6_NS0_5tupleIJS9_S6_EEENSD_IJSA_SA_EEENS0_18inequality_wrapperIZN2at6native12_GLOBAL__N_124unique_dim_cuda_templateIN3c108BFloat16EEESt5tupleIJNSH_6TensorESO_SO_EERKSO_lbbbEUlllE0_EEPmJS6_EEE10hipError_tPvRmT3_T4_T5_T6_T7_T9_mT8_P12ihipStream_tbDpT10_ENKUlT_T0_E_clISt17integral_constantIbLb1EES1D_IbLb0EEEEDaS19_S1A_EUlS19_E_NS1_11comp_targetILNS1_3genE5ELNS1_11target_archE942ELNS1_3gpuE9ELNS1_3repE0EEENS1_30default_config_static_selectorELNS0_4arch9wavefront6targetE0EEEvT1_,"axG",@progbits,_ZN7rocprim17ROCPRIM_400000_NS6detail17trampoline_kernelINS0_14default_configENS1_25partition_config_selectorILNS1_17partition_subalgoE8ElNS0_10empty_typeEbEEZZNS1_14partition_implILS5_8ELb0ES3_jPlPS6_PKS6_NS0_5tupleIJS9_S6_EEENSD_IJSA_SA_EEENS0_18inequality_wrapperIZN2at6native12_GLOBAL__N_124unique_dim_cuda_templateIN3c108BFloat16EEESt5tupleIJNSH_6TensorESO_SO_EERKSO_lbbbEUlllE0_EEPmJS6_EEE10hipError_tPvRmT3_T4_T5_T6_T7_T9_mT8_P12ihipStream_tbDpT10_ENKUlT_T0_E_clISt17integral_constantIbLb1EES1D_IbLb0EEEEDaS19_S1A_EUlS19_E_NS1_11comp_targetILNS1_3genE5ELNS1_11target_archE942ELNS1_3gpuE9ELNS1_3repE0EEENS1_30default_config_static_selectorELNS0_4arch9wavefront6targetE0EEEvT1_,comdat
	.globl	_ZN7rocprim17ROCPRIM_400000_NS6detail17trampoline_kernelINS0_14default_configENS1_25partition_config_selectorILNS1_17partition_subalgoE8ElNS0_10empty_typeEbEEZZNS1_14partition_implILS5_8ELb0ES3_jPlPS6_PKS6_NS0_5tupleIJS9_S6_EEENSD_IJSA_SA_EEENS0_18inequality_wrapperIZN2at6native12_GLOBAL__N_124unique_dim_cuda_templateIN3c108BFloat16EEESt5tupleIJNSH_6TensorESO_SO_EERKSO_lbbbEUlllE0_EEPmJS6_EEE10hipError_tPvRmT3_T4_T5_T6_T7_T9_mT8_P12ihipStream_tbDpT10_ENKUlT_T0_E_clISt17integral_constantIbLb1EES1D_IbLb0EEEEDaS19_S1A_EUlS19_E_NS1_11comp_targetILNS1_3genE5ELNS1_11target_archE942ELNS1_3gpuE9ELNS1_3repE0EEENS1_30default_config_static_selectorELNS0_4arch9wavefront6targetE0EEEvT1_ ; -- Begin function _ZN7rocprim17ROCPRIM_400000_NS6detail17trampoline_kernelINS0_14default_configENS1_25partition_config_selectorILNS1_17partition_subalgoE8ElNS0_10empty_typeEbEEZZNS1_14partition_implILS5_8ELb0ES3_jPlPS6_PKS6_NS0_5tupleIJS9_S6_EEENSD_IJSA_SA_EEENS0_18inequality_wrapperIZN2at6native12_GLOBAL__N_124unique_dim_cuda_templateIN3c108BFloat16EEESt5tupleIJNSH_6TensorESO_SO_EERKSO_lbbbEUlllE0_EEPmJS6_EEE10hipError_tPvRmT3_T4_T5_T6_T7_T9_mT8_P12ihipStream_tbDpT10_ENKUlT_T0_E_clISt17integral_constantIbLb1EES1D_IbLb0EEEEDaS19_S1A_EUlS19_E_NS1_11comp_targetILNS1_3genE5ELNS1_11target_archE942ELNS1_3gpuE9ELNS1_3repE0EEENS1_30default_config_static_selectorELNS0_4arch9wavefront6targetE0EEEvT1_
	.p2align	8
	.type	_ZN7rocprim17ROCPRIM_400000_NS6detail17trampoline_kernelINS0_14default_configENS1_25partition_config_selectorILNS1_17partition_subalgoE8ElNS0_10empty_typeEbEEZZNS1_14partition_implILS5_8ELb0ES3_jPlPS6_PKS6_NS0_5tupleIJS9_S6_EEENSD_IJSA_SA_EEENS0_18inequality_wrapperIZN2at6native12_GLOBAL__N_124unique_dim_cuda_templateIN3c108BFloat16EEESt5tupleIJNSH_6TensorESO_SO_EERKSO_lbbbEUlllE0_EEPmJS6_EEE10hipError_tPvRmT3_T4_T5_T6_T7_T9_mT8_P12ihipStream_tbDpT10_ENKUlT_T0_E_clISt17integral_constantIbLb1EES1D_IbLb0EEEEDaS19_S1A_EUlS19_E_NS1_11comp_targetILNS1_3genE5ELNS1_11target_archE942ELNS1_3gpuE9ELNS1_3repE0EEENS1_30default_config_static_selectorELNS0_4arch9wavefront6targetE0EEEvT1_,@function
_ZN7rocprim17ROCPRIM_400000_NS6detail17trampoline_kernelINS0_14default_configENS1_25partition_config_selectorILNS1_17partition_subalgoE8ElNS0_10empty_typeEbEEZZNS1_14partition_implILS5_8ELb0ES3_jPlPS6_PKS6_NS0_5tupleIJS9_S6_EEENSD_IJSA_SA_EEENS0_18inequality_wrapperIZN2at6native12_GLOBAL__N_124unique_dim_cuda_templateIN3c108BFloat16EEESt5tupleIJNSH_6TensorESO_SO_EERKSO_lbbbEUlllE0_EEPmJS6_EEE10hipError_tPvRmT3_T4_T5_T6_T7_T9_mT8_P12ihipStream_tbDpT10_ENKUlT_T0_E_clISt17integral_constantIbLb1EES1D_IbLb0EEEEDaS19_S1A_EUlS19_E_NS1_11comp_targetILNS1_3genE5ELNS1_11target_archE942ELNS1_3gpuE9ELNS1_3repE0EEENS1_30default_config_static_selectorELNS0_4arch9wavefront6targetE0EEEvT1_: ; @_ZN7rocprim17ROCPRIM_400000_NS6detail17trampoline_kernelINS0_14default_configENS1_25partition_config_selectorILNS1_17partition_subalgoE8ElNS0_10empty_typeEbEEZZNS1_14partition_implILS5_8ELb0ES3_jPlPS6_PKS6_NS0_5tupleIJS9_S6_EEENSD_IJSA_SA_EEENS0_18inequality_wrapperIZN2at6native12_GLOBAL__N_124unique_dim_cuda_templateIN3c108BFloat16EEESt5tupleIJNSH_6TensorESO_SO_EERKSO_lbbbEUlllE0_EEPmJS6_EEE10hipError_tPvRmT3_T4_T5_T6_T7_T9_mT8_P12ihipStream_tbDpT10_ENKUlT_T0_E_clISt17integral_constantIbLb1EES1D_IbLb0EEEEDaS19_S1A_EUlS19_E_NS1_11comp_targetILNS1_3genE5ELNS1_11target_archE942ELNS1_3gpuE9ELNS1_3repE0EEENS1_30default_config_static_selectorELNS0_4arch9wavefront6targetE0EEEvT1_
; %bb.0:
	.section	.rodata,"a",@progbits
	.p2align	6, 0x0
	.amdhsa_kernel _ZN7rocprim17ROCPRIM_400000_NS6detail17trampoline_kernelINS0_14default_configENS1_25partition_config_selectorILNS1_17partition_subalgoE8ElNS0_10empty_typeEbEEZZNS1_14partition_implILS5_8ELb0ES3_jPlPS6_PKS6_NS0_5tupleIJS9_S6_EEENSD_IJSA_SA_EEENS0_18inequality_wrapperIZN2at6native12_GLOBAL__N_124unique_dim_cuda_templateIN3c108BFloat16EEESt5tupleIJNSH_6TensorESO_SO_EERKSO_lbbbEUlllE0_EEPmJS6_EEE10hipError_tPvRmT3_T4_T5_T6_T7_T9_mT8_P12ihipStream_tbDpT10_ENKUlT_T0_E_clISt17integral_constantIbLb1EES1D_IbLb0EEEEDaS19_S1A_EUlS19_E_NS1_11comp_targetILNS1_3genE5ELNS1_11target_archE942ELNS1_3gpuE9ELNS1_3repE0EEENS1_30default_config_static_selectorELNS0_4arch9wavefront6targetE0EEEvT1_
		.amdhsa_group_segment_fixed_size 0
		.amdhsa_private_segment_fixed_size 0
		.amdhsa_kernarg_size 120
		.amdhsa_user_sgpr_count 15
		.amdhsa_user_sgpr_dispatch_ptr 0
		.amdhsa_user_sgpr_queue_ptr 0
		.amdhsa_user_sgpr_kernarg_segment_ptr 1
		.amdhsa_user_sgpr_dispatch_id 0
		.amdhsa_user_sgpr_private_segment_size 0
		.amdhsa_wavefront_size32 1
		.amdhsa_uses_dynamic_stack 0
		.amdhsa_enable_private_segment 0
		.amdhsa_system_sgpr_workgroup_id_x 1
		.amdhsa_system_sgpr_workgroup_id_y 0
		.amdhsa_system_sgpr_workgroup_id_z 0
		.amdhsa_system_sgpr_workgroup_info 0
		.amdhsa_system_vgpr_workitem_id 0
		.amdhsa_next_free_vgpr 1
		.amdhsa_next_free_sgpr 1
		.amdhsa_reserve_vcc 0
		.amdhsa_float_round_mode_32 0
		.amdhsa_float_round_mode_16_64 0
		.amdhsa_float_denorm_mode_32 3
		.amdhsa_float_denorm_mode_16_64 3
		.amdhsa_dx10_clamp 1
		.amdhsa_ieee_mode 1
		.amdhsa_fp16_overflow 0
		.amdhsa_workgroup_processor_mode 1
		.amdhsa_memory_ordered 1
		.amdhsa_forward_progress 0
		.amdhsa_shared_vgpr_count 0
		.amdhsa_exception_fp_ieee_invalid_op 0
		.amdhsa_exception_fp_denorm_src 0
		.amdhsa_exception_fp_ieee_div_zero 0
		.amdhsa_exception_fp_ieee_overflow 0
		.amdhsa_exception_fp_ieee_underflow 0
		.amdhsa_exception_fp_ieee_inexact 0
		.amdhsa_exception_int_div_zero 0
	.end_amdhsa_kernel
	.section	.text._ZN7rocprim17ROCPRIM_400000_NS6detail17trampoline_kernelINS0_14default_configENS1_25partition_config_selectorILNS1_17partition_subalgoE8ElNS0_10empty_typeEbEEZZNS1_14partition_implILS5_8ELb0ES3_jPlPS6_PKS6_NS0_5tupleIJS9_S6_EEENSD_IJSA_SA_EEENS0_18inequality_wrapperIZN2at6native12_GLOBAL__N_124unique_dim_cuda_templateIN3c108BFloat16EEESt5tupleIJNSH_6TensorESO_SO_EERKSO_lbbbEUlllE0_EEPmJS6_EEE10hipError_tPvRmT3_T4_T5_T6_T7_T9_mT8_P12ihipStream_tbDpT10_ENKUlT_T0_E_clISt17integral_constantIbLb1EES1D_IbLb0EEEEDaS19_S1A_EUlS19_E_NS1_11comp_targetILNS1_3genE5ELNS1_11target_archE942ELNS1_3gpuE9ELNS1_3repE0EEENS1_30default_config_static_selectorELNS0_4arch9wavefront6targetE0EEEvT1_,"axG",@progbits,_ZN7rocprim17ROCPRIM_400000_NS6detail17trampoline_kernelINS0_14default_configENS1_25partition_config_selectorILNS1_17partition_subalgoE8ElNS0_10empty_typeEbEEZZNS1_14partition_implILS5_8ELb0ES3_jPlPS6_PKS6_NS0_5tupleIJS9_S6_EEENSD_IJSA_SA_EEENS0_18inequality_wrapperIZN2at6native12_GLOBAL__N_124unique_dim_cuda_templateIN3c108BFloat16EEESt5tupleIJNSH_6TensorESO_SO_EERKSO_lbbbEUlllE0_EEPmJS6_EEE10hipError_tPvRmT3_T4_T5_T6_T7_T9_mT8_P12ihipStream_tbDpT10_ENKUlT_T0_E_clISt17integral_constantIbLb1EES1D_IbLb0EEEEDaS19_S1A_EUlS19_E_NS1_11comp_targetILNS1_3genE5ELNS1_11target_archE942ELNS1_3gpuE9ELNS1_3repE0EEENS1_30default_config_static_selectorELNS0_4arch9wavefront6targetE0EEEvT1_,comdat
.Lfunc_end1190:
	.size	_ZN7rocprim17ROCPRIM_400000_NS6detail17trampoline_kernelINS0_14default_configENS1_25partition_config_selectorILNS1_17partition_subalgoE8ElNS0_10empty_typeEbEEZZNS1_14partition_implILS5_8ELb0ES3_jPlPS6_PKS6_NS0_5tupleIJS9_S6_EEENSD_IJSA_SA_EEENS0_18inequality_wrapperIZN2at6native12_GLOBAL__N_124unique_dim_cuda_templateIN3c108BFloat16EEESt5tupleIJNSH_6TensorESO_SO_EERKSO_lbbbEUlllE0_EEPmJS6_EEE10hipError_tPvRmT3_T4_T5_T6_T7_T9_mT8_P12ihipStream_tbDpT10_ENKUlT_T0_E_clISt17integral_constantIbLb1EES1D_IbLb0EEEEDaS19_S1A_EUlS19_E_NS1_11comp_targetILNS1_3genE5ELNS1_11target_archE942ELNS1_3gpuE9ELNS1_3repE0EEENS1_30default_config_static_selectorELNS0_4arch9wavefront6targetE0EEEvT1_, .Lfunc_end1190-_ZN7rocprim17ROCPRIM_400000_NS6detail17trampoline_kernelINS0_14default_configENS1_25partition_config_selectorILNS1_17partition_subalgoE8ElNS0_10empty_typeEbEEZZNS1_14partition_implILS5_8ELb0ES3_jPlPS6_PKS6_NS0_5tupleIJS9_S6_EEENSD_IJSA_SA_EEENS0_18inequality_wrapperIZN2at6native12_GLOBAL__N_124unique_dim_cuda_templateIN3c108BFloat16EEESt5tupleIJNSH_6TensorESO_SO_EERKSO_lbbbEUlllE0_EEPmJS6_EEE10hipError_tPvRmT3_T4_T5_T6_T7_T9_mT8_P12ihipStream_tbDpT10_ENKUlT_T0_E_clISt17integral_constantIbLb1EES1D_IbLb0EEEEDaS19_S1A_EUlS19_E_NS1_11comp_targetILNS1_3genE5ELNS1_11target_archE942ELNS1_3gpuE9ELNS1_3repE0EEENS1_30default_config_static_selectorELNS0_4arch9wavefront6targetE0EEEvT1_
                                        ; -- End function
	.section	.AMDGPU.csdata,"",@progbits
; Kernel info:
; codeLenInByte = 0
; NumSgprs: 0
; NumVgprs: 0
; ScratchSize: 0
; MemoryBound: 0
; FloatMode: 240
; IeeeMode: 1
; LDSByteSize: 0 bytes/workgroup (compile time only)
; SGPRBlocks: 0
; VGPRBlocks: 0
; NumSGPRsForWavesPerEU: 1
; NumVGPRsForWavesPerEU: 1
; Occupancy: 16
; WaveLimiterHint : 0
; COMPUTE_PGM_RSRC2:SCRATCH_EN: 0
; COMPUTE_PGM_RSRC2:USER_SGPR: 15
; COMPUTE_PGM_RSRC2:TRAP_HANDLER: 0
; COMPUTE_PGM_RSRC2:TGID_X_EN: 1
; COMPUTE_PGM_RSRC2:TGID_Y_EN: 0
; COMPUTE_PGM_RSRC2:TGID_Z_EN: 0
; COMPUTE_PGM_RSRC2:TIDIG_COMP_CNT: 0
	.section	.text._ZN7rocprim17ROCPRIM_400000_NS6detail17trampoline_kernelINS0_14default_configENS1_25partition_config_selectorILNS1_17partition_subalgoE8ElNS0_10empty_typeEbEEZZNS1_14partition_implILS5_8ELb0ES3_jPlPS6_PKS6_NS0_5tupleIJS9_S6_EEENSD_IJSA_SA_EEENS0_18inequality_wrapperIZN2at6native12_GLOBAL__N_124unique_dim_cuda_templateIN3c108BFloat16EEESt5tupleIJNSH_6TensorESO_SO_EERKSO_lbbbEUlllE0_EEPmJS6_EEE10hipError_tPvRmT3_T4_T5_T6_T7_T9_mT8_P12ihipStream_tbDpT10_ENKUlT_T0_E_clISt17integral_constantIbLb1EES1D_IbLb0EEEEDaS19_S1A_EUlS19_E_NS1_11comp_targetILNS1_3genE4ELNS1_11target_archE910ELNS1_3gpuE8ELNS1_3repE0EEENS1_30default_config_static_selectorELNS0_4arch9wavefront6targetE0EEEvT1_,"axG",@progbits,_ZN7rocprim17ROCPRIM_400000_NS6detail17trampoline_kernelINS0_14default_configENS1_25partition_config_selectorILNS1_17partition_subalgoE8ElNS0_10empty_typeEbEEZZNS1_14partition_implILS5_8ELb0ES3_jPlPS6_PKS6_NS0_5tupleIJS9_S6_EEENSD_IJSA_SA_EEENS0_18inequality_wrapperIZN2at6native12_GLOBAL__N_124unique_dim_cuda_templateIN3c108BFloat16EEESt5tupleIJNSH_6TensorESO_SO_EERKSO_lbbbEUlllE0_EEPmJS6_EEE10hipError_tPvRmT3_T4_T5_T6_T7_T9_mT8_P12ihipStream_tbDpT10_ENKUlT_T0_E_clISt17integral_constantIbLb1EES1D_IbLb0EEEEDaS19_S1A_EUlS19_E_NS1_11comp_targetILNS1_3genE4ELNS1_11target_archE910ELNS1_3gpuE8ELNS1_3repE0EEENS1_30default_config_static_selectorELNS0_4arch9wavefront6targetE0EEEvT1_,comdat
	.globl	_ZN7rocprim17ROCPRIM_400000_NS6detail17trampoline_kernelINS0_14default_configENS1_25partition_config_selectorILNS1_17partition_subalgoE8ElNS0_10empty_typeEbEEZZNS1_14partition_implILS5_8ELb0ES3_jPlPS6_PKS6_NS0_5tupleIJS9_S6_EEENSD_IJSA_SA_EEENS0_18inequality_wrapperIZN2at6native12_GLOBAL__N_124unique_dim_cuda_templateIN3c108BFloat16EEESt5tupleIJNSH_6TensorESO_SO_EERKSO_lbbbEUlllE0_EEPmJS6_EEE10hipError_tPvRmT3_T4_T5_T6_T7_T9_mT8_P12ihipStream_tbDpT10_ENKUlT_T0_E_clISt17integral_constantIbLb1EES1D_IbLb0EEEEDaS19_S1A_EUlS19_E_NS1_11comp_targetILNS1_3genE4ELNS1_11target_archE910ELNS1_3gpuE8ELNS1_3repE0EEENS1_30default_config_static_selectorELNS0_4arch9wavefront6targetE0EEEvT1_ ; -- Begin function _ZN7rocprim17ROCPRIM_400000_NS6detail17trampoline_kernelINS0_14default_configENS1_25partition_config_selectorILNS1_17partition_subalgoE8ElNS0_10empty_typeEbEEZZNS1_14partition_implILS5_8ELb0ES3_jPlPS6_PKS6_NS0_5tupleIJS9_S6_EEENSD_IJSA_SA_EEENS0_18inequality_wrapperIZN2at6native12_GLOBAL__N_124unique_dim_cuda_templateIN3c108BFloat16EEESt5tupleIJNSH_6TensorESO_SO_EERKSO_lbbbEUlllE0_EEPmJS6_EEE10hipError_tPvRmT3_T4_T5_T6_T7_T9_mT8_P12ihipStream_tbDpT10_ENKUlT_T0_E_clISt17integral_constantIbLb1EES1D_IbLb0EEEEDaS19_S1A_EUlS19_E_NS1_11comp_targetILNS1_3genE4ELNS1_11target_archE910ELNS1_3gpuE8ELNS1_3repE0EEENS1_30default_config_static_selectorELNS0_4arch9wavefront6targetE0EEEvT1_
	.p2align	8
	.type	_ZN7rocprim17ROCPRIM_400000_NS6detail17trampoline_kernelINS0_14default_configENS1_25partition_config_selectorILNS1_17partition_subalgoE8ElNS0_10empty_typeEbEEZZNS1_14partition_implILS5_8ELb0ES3_jPlPS6_PKS6_NS0_5tupleIJS9_S6_EEENSD_IJSA_SA_EEENS0_18inequality_wrapperIZN2at6native12_GLOBAL__N_124unique_dim_cuda_templateIN3c108BFloat16EEESt5tupleIJNSH_6TensorESO_SO_EERKSO_lbbbEUlllE0_EEPmJS6_EEE10hipError_tPvRmT3_T4_T5_T6_T7_T9_mT8_P12ihipStream_tbDpT10_ENKUlT_T0_E_clISt17integral_constantIbLb1EES1D_IbLb0EEEEDaS19_S1A_EUlS19_E_NS1_11comp_targetILNS1_3genE4ELNS1_11target_archE910ELNS1_3gpuE8ELNS1_3repE0EEENS1_30default_config_static_selectorELNS0_4arch9wavefront6targetE0EEEvT1_,@function
_ZN7rocprim17ROCPRIM_400000_NS6detail17trampoline_kernelINS0_14default_configENS1_25partition_config_selectorILNS1_17partition_subalgoE8ElNS0_10empty_typeEbEEZZNS1_14partition_implILS5_8ELb0ES3_jPlPS6_PKS6_NS0_5tupleIJS9_S6_EEENSD_IJSA_SA_EEENS0_18inequality_wrapperIZN2at6native12_GLOBAL__N_124unique_dim_cuda_templateIN3c108BFloat16EEESt5tupleIJNSH_6TensorESO_SO_EERKSO_lbbbEUlllE0_EEPmJS6_EEE10hipError_tPvRmT3_T4_T5_T6_T7_T9_mT8_P12ihipStream_tbDpT10_ENKUlT_T0_E_clISt17integral_constantIbLb1EES1D_IbLb0EEEEDaS19_S1A_EUlS19_E_NS1_11comp_targetILNS1_3genE4ELNS1_11target_archE910ELNS1_3gpuE8ELNS1_3repE0EEENS1_30default_config_static_selectorELNS0_4arch9wavefront6targetE0EEEvT1_: ; @_ZN7rocprim17ROCPRIM_400000_NS6detail17trampoline_kernelINS0_14default_configENS1_25partition_config_selectorILNS1_17partition_subalgoE8ElNS0_10empty_typeEbEEZZNS1_14partition_implILS5_8ELb0ES3_jPlPS6_PKS6_NS0_5tupleIJS9_S6_EEENSD_IJSA_SA_EEENS0_18inequality_wrapperIZN2at6native12_GLOBAL__N_124unique_dim_cuda_templateIN3c108BFloat16EEESt5tupleIJNSH_6TensorESO_SO_EERKSO_lbbbEUlllE0_EEPmJS6_EEE10hipError_tPvRmT3_T4_T5_T6_T7_T9_mT8_P12ihipStream_tbDpT10_ENKUlT_T0_E_clISt17integral_constantIbLb1EES1D_IbLb0EEEEDaS19_S1A_EUlS19_E_NS1_11comp_targetILNS1_3genE4ELNS1_11target_archE910ELNS1_3gpuE8ELNS1_3repE0EEENS1_30default_config_static_selectorELNS0_4arch9wavefront6targetE0EEEvT1_
; %bb.0:
	.section	.rodata,"a",@progbits
	.p2align	6, 0x0
	.amdhsa_kernel _ZN7rocprim17ROCPRIM_400000_NS6detail17trampoline_kernelINS0_14default_configENS1_25partition_config_selectorILNS1_17partition_subalgoE8ElNS0_10empty_typeEbEEZZNS1_14partition_implILS5_8ELb0ES3_jPlPS6_PKS6_NS0_5tupleIJS9_S6_EEENSD_IJSA_SA_EEENS0_18inequality_wrapperIZN2at6native12_GLOBAL__N_124unique_dim_cuda_templateIN3c108BFloat16EEESt5tupleIJNSH_6TensorESO_SO_EERKSO_lbbbEUlllE0_EEPmJS6_EEE10hipError_tPvRmT3_T4_T5_T6_T7_T9_mT8_P12ihipStream_tbDpT10_ENKUlT_T0_E_clISt17integral_constantIbLb1EES1D_IbLb0EEEEDaS19_S1A_EUlS19_E_NS1_11comp_targetILNS1_3genE4ELNS1_11target_archE910ELNS1_3gpuE8ELNS1_3repE0EEENS1_30default_config_static_selectorELNS0_4arch9wavefront6targetE0EEEvT1_
		.amdhsa_group_segment_fixed_size 0
		.amdhsa_private_segment_fixed_size 0
		.amdhsa_kernarg_size 120
		.amdhsa_user_sgpr_count 15
		.amdhsa_user_sgpr_dispatch_ptr 0
		.amdhsa_user_sgpr_queue_ptr 0
		.amdhsa_user_sgpr_kernarg_segment_ptr 1
		.amdhsa_user_sgpr_dispatch_id 0
		.amdhsa_user_sgpr_private_segment_size 0
		.amdhsa_wavefront_size32 1
		.amdhsa_uses_dynamic_stack 0
		.amdhsa_enable_private_segment 0
		.amdhsa_system_sgpr_workgroup_id_x 1
		.amdhsa_system_sgpr_workgroup_id_y 0
		.amdhsa_system_sgpr_workgroup_id_z 0
		.amdhsa_system_sgpr_workgroup_info 0
		.amdhsa_system_vgpr_workitem_id 0
		.amdhsa_next_free_vgpr 1
		.amdhsa_next_free_sgpr 1
		.amdhsa_reserve_vcc 0
		.amdhsa_float_round_mode_32 0
		.amdhsa_float_round_mode_16_64 0
		.amdhsa_float_denorm_mode_32 3
		.amdhsa_float_denorm_mode_16_64 3
		.amdhsa_dx10_clamp 1
		.amdhsa_ieee_mode 1
		.amdhsa_fp16_overflow 0
		.amdhsa_workgroup_processor_mode 1
		.amdhsa_memory_ordered 1
		.amdhsa_forward_progress 0
		.amdhsa_shared_vgpr_count 0
		.amdhsa_exception_fp_ieee_invalid_op 0
		.amdhsa_exception_fp_denorm_src 0
		.amdhsa_exception_fp_ieee_div_zero 0
		.amdhsa_exception_fp_ieee_overflow 0
		.amdhsa_exception_fp_ieee_underflow 0
		.amdhsa_exception_fp_ieee_inexact 0
		.amdhsa_exception_int_div_zero 0
	.end_amdhsa_kernel
	.section	.text._ZN7rocprim17ROCPRIM_400000_NS6detail17trampoline_kernelINS0_14default_configENS1_25partition_config_selectorILNS1_17partition_subalgoE8ElNS0_10empty_typeEbEEZZNS1_14partition_implILS5_8ELb0ES3_jPlPS6_PKS6_NS0_5tupleIJS9_S6_EEENSD_IJSA_SA_EEENS0_18inequality_wrapperIZN2at6native12_GLOBAL__N_124unique_dim_cuda_templateIN3c108BFloat16EEESt5tupleIJNSH_6TensorESO_SO_EERKSO_lbbbEUlllE0_EEPmJS6_EEE10hipError_tPvRmT3_T4_T5_T6_T7_T9_mT8_P12ihipStream_tbDpT10_ENKUlT_T0_E_clISt17integral_constantIbLb1EES1D_IbLb0EEEEDaS19_S1A_EUlS19_E_NS1_11comp_targetILNS1_3genE4ELNS1_11target_archE910ELNS1_3gpuE8ELNS1_3repE0EEENS1_30default_config_static_selectorELNS0_4arch9wavefront6targetE0EEEvT1_,"axG",@progbits,_ZN7rocprim17ROCPRIM_400000_NS6detail17trampoline_kernelINS0_14default_configENS1_25partition_config_selectorILNS1_17partition_subalgoE8ElNS0_10empty_typeEbEEZZNS1_14partition_implILS5_8ELb0ES3_jPlPS6_PKS6_NS0_5tupleIJS9_S6_EEENSD_IJSA_SA_EEENS0_18inequality_wrapperIZN2at6native12_GLOBAL__N_124unique_dim_cuda_templateIN3c108BFloat16EEESt5tupleIJNSH_6TensorESO_SO_EERKSO_lbbbEUlllE0_EEPmJS6_EEE10hipError_tPvRmT3_T4_T5_T6_T7_T9_mT8_P12ihipStream_tbDpT10_ENKUlT_T0_E_clISt17integral_constantIbLb1EES1D_IbLb0EEEEDaS19_S1A_EUlS19_E_NS1_11comp_targetILNS1_3genE4ELNS1_11target_archE910ELNS1_3gpuE8ELNS1_3repE0EEENS1_30default_config_static_selectorELNS0_4arch9wavefront6targetE0EEEvT1_,comdat
.Lfunc_end1191:
	.size	_ZN7rocprim17ROCPRIM_400000_NS6detail17trampoline_kernelINS0_14default_configENS1_25partition_config_selectorILNS1_17partition_subalgoE8ElNS0_10empty_typeEbEEZZNS1_14partition_implILS5_8ELb0ES3_jPlPS6_PKS6_NS0_5tupleIJS9_S6_EEENSD_IJSA_SA_EEENS0_18inequality_wrapperIZN2at6native12_GLOBAL__N_124unique_dim_cuda_templateIN3c108BFloat16EEESt5tupleIJNSH_6TensorESO_SO_EERKSO_lbbbEUlllE0_EEPmJS6_EEE10hipError_tPvRmT3_T4_T5_T6_T7_T9_mT8_P12ihipStream_tbDpT10_ENKUlT_T0_E_clISt17integral_constantIbLb1EES1D_IbLb0EEEEDaS19_S1A_EUlS19_E_NS1_11comp_targetILNS1_3genE4ELNS1_11target_archE910ELNS1_3gpuE8ELNS1_3repE0EEENS1_30default_config_static_selectorELNS0_4arch9wavefront6targetE0EEEvT1_, .Lfunc_end1191-_ZN7rocprim17ROCPRIM_400000_NS6detail17trampoline_kernelINS0_14default_configENS1_25partition_config_selectorILNS1_17partition_subalgoE8ElNS0_10empty_typeEbEEZZNS1_14partition_implILS5_8ELb0ES3_jPlPS6_PKS6_NS0_5tupleIJS9_S6_EEENSD_IJSA_SA_EEENS0_18inequality_wrapperIZN2at6native12_GLOBAL__N_124unique_dim_cuda_templateIN3c108BFloat16EEESt5tupleIJNSH_6TensorESO_SO_EERKSO_lbbbEUlllE0_EEPmJS6_EEE10hipError_tPvRmT3_T4_T5_T6_T7_T9_mT8_P12ihipStream_tbDpT10_ENKUlT_T0_E_clISt17integral_constantIbLb1EES1D_IbLb0EEEEDaS19_S1A_EUlS19_E_NS1_11comp_targetILNS1_3genE4ELNS1_11target_archE910ELNS1_3gpuE8ELNS1_3repE0EEENS1_30default_config_static_selectorELNS0_4arch9wavefront6targetE0EEEvT1_
                                        ; -- End function
	.section	.AMDGPU.csdata,"",@progbits
; Kernel info:
; codeLenInByte = 0
; NumSgprs: 0
; NumVgprs: 0
; ScratchSize: 0
; MemoryBound: 0
; FloatMode: 240
; IeeeMode: 1
; LDSByteSize: 0 bytes/workgroup (compile time only)
; SGPRBlocks: 0
; VGPRBlocks: 0
; NumSGPRsForWavesPerEU: 1
; NumVGPRsForWavesPerEU: 1
; Occupancy: 16
; WaveLimiterHint : 0
; COMPUTE_PGM_RSRC2:SCRATCH_EN: 0
; COMPUTE_PGM_RSRC2:USER_SGPR: 15
; COMPUTE_PGM_RSRC2:TRAP_HANDLER: 0
; COMPUTE_PGM_RSRC2:TGID_X_EN: 1
; COMPUTE_PGM_RSRC2:TGID_Y_EN: 0
; COMPUTE_PGM_RSRC2:TGID_Z_EN: 0
; COMPUTE_PGM_RSRC2:TIDIG_COMP_CNT: 0
	.section	.text._ZN7rocprim17ROCPRIM_400000_NS6detail17trampoline_kernelINS0_14default_configENS1_25partition_config_selectorILNS1_17partition_subalgoE8ElNS0_10empty_typeEbEEZZNS1_14partition_implILS5_8ELb0ES3_jPlPS6_PKS6_NS0_5tupleIJS9_S6_EEENSD_IJSA_SA_EEENS0_18inequality_wrapperIZN2at6native12_GLOBAL__N_124unique_dim_cuda_templateIN3c108BFloat16EEESt5tupleIJNSH_6TensorESO_SO_EERKSO_lbbbEUlllE0_EEPmJS6_EEE10hipError_tPvRmT3_T4_T5_T6_T7_T9_mT8_P12ihipStream_tbDpT10_ENKUlT_T0_E_clISt17integral_constantIbLb1EES1D_IbLb0EEEEDaS19_S1A_EUlS19_E_NS1_11comp_targetILNS1_3genE3ELNS1_11target_archE908ELNS1_3gpuE7ELNS1_3repE0EEENS1_30default_config_static_selectorELNS0_4arch9wavefront6targetE0EEEvT1_,"axG",@progbits,_ZN7rocprim17ROCPRIM_400000_NS6detail17trampoline_kernelINS0_14default_configENS1_25partition_config_selectorILNS1_17partition_subalgoE8ElNS0_10empty_typeEbEEZZNS1_14partition_implILS5_8ELb0ES3_jPlPS6_PKS6_NS0_5tupleIJS9_S6_EEENSD_IJSA_SA_EEENS0_18inequality_wrapperIZN2at6native12_GLOBAL__N_124unique_dim_cuda_templateIN3c108BFloat16EEESt5tupleIJNSH_6TensorESO_SO_EERKSO_lbbbEUlllE0_EEPmJS6_EEE10hipError_tPvRmT3_T4_T5_T6_T7_T9_mT8_P12ihipStream_tbDpT10_ENKUlT_T0_E_clISt17integral_constantIbLb1EES1D_IbLb0EEEEDaS19_S1A_EUlS19_E_NS1_11comp_targetILNS1_3genE3ELNS1_11target_archE908ELNS1_3gpuE7ELNS1_3repE0EEENS1_30default_config_static_selectorELNS0_4arch9wavefront6targetE0EEEvT1_,comdat
	.globl	_ZN7rocprim17ROCPRIM_400000_NS6detail17trampoline_kernelINS0_14default_configENS1_25partition_config_selectorILNS1_17partition_subalgoE8ElNS0_10empty_typeEbEEZZNS1_14partition_implILS5_8ELb0ES3_jPlPS6_PKS6_NS0_5tupleIJS9_S6_EEENSD_IJSA_SA_EEENS0_18inequality_wrapperIZN2at6native12_GLOBAL__N_124unique_dim_cuda_templateIN3c108BFloat16EEESt5tupleIJNSH_6TensorESO_SO_EERKSO_lbbbEUlllE0_EEPmJS6_EEE10hipError_tPvRmT3_T4_T5_T6_T7_T9_mT8_P12ihipStream_tbDpT10_ENKUlT_T0_E_clISt17integral_constantIbLb1EES1D_IbLb0EEEEDaS19_S1A_EUlS19_E_NS1_11comp_targetILNS1_3genE3ELNS1_11target_archE908ELNS1_3gpuE7ELNS1_3repE0EEENS1_30default_config_static_selectorELNS0_4arch9wavefront6targetE0EEEvT1_ ; -- Begin function _ZN7rocprim17ROCPRIM_400000_NS6detail17trampoline_kernelINS0_14default_configENS1_25partition_config_selectorILNS1_17partition_subalgoE8ElNS0_10empty_typeEbEEZZNS1_14partition_implILS5_8ELb0ES3_jPlPS6_PKS6_NS0_5tupleIJS9_S6_EEENSD_IJSA_SA_EEENS0_18inequality_wrapperIZN2at6native12_GLOBAL__N_124unique_dim_cuda_templateIN3c108BFloat16EEESt5tupleIJNSH_6TensorESO_SO_EERKSO_lbbbEUlllE0_EEPmJS6_EEE10hipError_tPvRmT3_T4_T5_T6_T7_T9_mT8_P12ihipStream_tbDpT10_ENKUlT_T0_E_clISt17integral_constantIbLb1EES1D_IbLb0EEEEDaS19_S1A_EUlS19_E_NS1_11comp_targetILNS1_3genE3ELNS1_11target_archE908ELNS1_3gpuE7ELNS1_3repE0EEENS1_30default_config_static_selectorELNS0_4arch9wavefront6targetE0EEEvT1_
	.p2align	8
	.type	_ZN7rocprim17ROCPRIM_400000_NS6detail17trampoline_kernelINS0_14default_configENS1_25partition_config_selectorILNS1_17partition_subalgoE8ElNS0_10empty_typeEbEEZZNS1_14partition_implILS5_8ELb0ES3_jPlPS6_PKS6_NS0_5tupleIJS9_S6_EEENSD_IJSA_SA_EEENS0_18inequality_wrapperIZN2at6native12_GLOBAL__N_124unique_dim_cuda_templateIN3c108BFloat16EEESt5tupleIJNSH_6TensorESO_SO_EERKSO_lbbbEUlllE0_EEPmJS6_EEE10hipError_tPvRmT3_T4_T5_T6_T7_T9_mT8_P12ihipStream_tbDpT10_ENKUlT_T0_E_clISt17integral_constantIbLb1EES1D_IbLb0EEEEDaS19_S1A_EUlS19_E_NS1_11comp_targetILNS1_3genE3ELNS1_11target_archE908ELNS1_3gpuE7ELNS1_3repE0EEENS1_30default_config_static_selectorELNS0_4arch9wavefront6targetE0EEEvT1_,@function
_ZN7rocprim17ROCPRIM_400000_NS6detail17trampoline_kernelINS0_14default_configENS1_25partition_config_selectorILNS1_17partition_subalgoE8ElNS0_10empty_typeEbEEZZNS1_14partition_implILS5_8ELb0ES3_jPlPS6_PKS6_NS0_5tupleIJS9_S6_EEENSD_IJSA_SA_EEENS0_18inequality_wrapperIZN2at6native12_GLOBAL__N_124unique_dim_cuda_templateIN3c108BFloat16EEESt5tupleIJNSH_6TensorESO_SO_EERKSO_lbbbEUlllE0_EEPmJS6_EEE10hipError_tPvRmT3_T4_T5_T6_T7_T9_mT8_P12ihipStream_tbDpT10_ENKUlT_T0_E_clISt17integral_constantIbLb1EES1D_IbLb0EEEEDaS19_S1A_EUlS19_E_NS1_11comp_targetILNS1_3genE3ELNS1_11target_archE908ELNS1_3gpuE7ELNS1_3repE0EEENS1_30default_config_static_selectorELNS0_4arch9wavefront6targetE0EEEvT1_: ; @_ZN7rocprim17ROCPRIM_400000_NS6detail17trampoline_kernelINS0_14default_configENS1_25partition_config_selectorILNS1_17partition_subalgoE8ElNS0_10empty_typeEbEEZZNS1_14partition_implILS5_8ELb0ES3_jPlPS6_PKS6_NS0_5tupleIJS9_S6_EEENSD_IJSA_SA_EEENS0_18inequality_wrapperIZN2at6native12_GLOBAL__N_124unique_dim_cuda_templateIN3c108BFloat16EEESt5tupleIJNSH_6TensorESO_SO_EERKSO_lbbbEUlllE0_EEPmJS6_EEE10hipError_tPvRmT3_T4_T5_T6_T7_T9_mT8_P12ihipStream_tbDpT10_ENKUlT_T0_E_clISt17integral_constantIbLb1EES1D_IbLb0EEEEDaS19_S1A_EUlS19_E_NS1_11comp_targetILNS1_3genE3ELNS1_11target_archE908ELNS1_3gpuE7ELNS1_3repE0EEENS1_30default_config_static_selectorELNS0_4arch9wavefront6targetE0EEEvT1_
; %bb.0:
	.section	.rodata,"a",@progbits
	.p2align	6, 0x0
	.amdhsa_kernel _ZN7rocprim17ROCPRIM_400000_NS6detail17trampoline_kernelINS0_14default_configENS1_25partition_config_selectorILNS1_17partition_subalgoE8ElNS0_10empty_typeEbEEZZNS1_14partition_implILS5_8ELb0ES3_jPlPS6_PKS6_NS0_5tupleIJS9_S6_EEENSD_IJSA_SA_EEENS0_18inequality_wrapperIZN2at6native12_GLOBAL__N_124unique_dim_cuda_templateIN3c108BFloat16EEESt5tupleIJNSH_6TensorESO_SO_EERKSO_lbbbEUlllE0_EEPmJS6_EEE10hipError_tPvRmT3_T4_T5_T6_T7_T9_mT8_P12ihipStream_tbDpT10_ENKUlT_T0_E_clISt17integral_constantIbLb1EES1D_IbLb0EEEEDaS19_S1A_EUlS19_E_NS1_11comp_targetILNS1_3genE3ELNS1_11target_archE908ELNS1_3gpuE7ELNS1_3repE0EEENS1_30default_config_static_selectorELNS0_4arch9wavefront6targetE0EEEvT1_
		.amdhsa_group_segment_fixed_size 0
		.amdhsa_private_segment_fixed_size 0
		.amdhsa_kernarg_size 120
		.amdhsa_user_sgpr_count 15
		.amdhsa_user_sgpr_dispatch_ptr 0
		.amdhsa_user_sgpr_queue_ptr 0
		.amdhsa_user_sgpr_kernarg_segment_ptr 1
		.amdhsa_user_sgpr_dispatch_id 0
		.amdhsa_user_sgpr_private_segment_size 0
		.amdhsa_wavefront_size32 1
		.amdhsa_uses_dynamic_stack 0
		.amdhsa_enable_private_segment 0
		.amdhsa_system_sgpr_workgroup_id_x 1
		.amdhsa_system_sgpr_workgroup_id_y 0
		.amdhsa_system_sgpr_workgroup_id_z 0
		.amdhsa_system_sgpr_workgroup_info 0
		.amdhsa_system_vgpr_workitem_id 0
		.amdhsa_next_free_vgpr 1
		.amdhsa_next_free_sgpr 1
		.amdhsa_reserve_vcc 0
		.amdhsa_float_round_mode_32 0
		.amdhsa_float_round_mode_16_64 0
		.amdhsa_float_denorm_mode_32 3
		.amdhsa_float_denorm_mode_16_64 3
		.amdhsa_dx10_clamp 1
		.amdhsa_ieee_mode 1
		.amdhsa_fp16_overflow 0
		.amdhsa_workgroup_processor_mode 1
		.amdhsa_memory_ordered 1
		.amdhsa_forward_progress 0
		.amdhsa_shared_vgpr_count 0
		.amdhsa_exception_fp_ieee_invalid_op 0
		.amdhsa_exception_fp_denorm_src 0
		.amdhsa_exception_fp_ieee_div_zero 0
		.amdhsa_exception_fp_ieee_overflow 0
		.amdhsa_exception_fp_ieee_underflow 0
		.amdhsa_exception_fp_ieee_inexact 0
		.amdhsa_exception_int_div_zero 0
	.end_amdhsa_kernel
	.section	.text._ZN7rocprim17ROCPRIM_400000_NS6detail17trampoline_kernelINS0_14default_configENS1_25partition_config_selectorILNS1_17partition_subalgoE8ElNS0_10empty_typeEbEEZZNS1_14partition_implILS5_8ELb0ES3_jPlPS6_PKS6_NS0_5tupleIJS9_S6_EEENSD_IJSA_SA_EEENS0_18inequality_wrapperIZN2at6native12_GLOBAL__N_124unique_dim_cuda_templateIN3c108BFloat16EEESt5tupleIJNSH_6TensorESO_SO_EERKSO_lbbbEUlllE0_EEPmJS6_EEE10hipError_tPvRmT3_T4_T5_T6_T7_T9_mT8_P12ihipStream_tbDpT10_ENKUlT_T0_E_clISt17integral_constantIbLb1EES1D_IbLb0EEEEDaS19_S1A_EUlS19_E_NS1_11comp_targetILNS1_3genE3ELNS1_11target_archE908ELNS1_3gpuE7ELNS1_3repE0EEENS1_30default_config_static_selectorELNS0_4arch9wavefront6targetE0EEEvT1_,"axG",@progbits,_ZN7rocprim17ROCPRIM_400000_NS6detail17trampoline_kernelINS0_14default_configENS1_25partition_config_selectorILNS1_17partition_subalgoE8ElNS0_10empty_typeEbEEZZNS1_14partition_implILS5_8ELb0ES3_jPlPS6_PKS6_NS0_5tupleIJS9_S6_EEENSD_IJSA_SA_EEENS0_18inequality_wrapperIZN2at6native12_GLOBAL__N_124unique_dim_cuda_templateIN3c108BFloat16EEESt5tupleIJNSH_6TensorESO_SO_EERKSO_lbbbEUlllE0_EEPmJS6_EEE10hipError_tPvRmT3_T4_T5_T6_T7_T9_mT8_P12ihipStream_tbDpT10_ENKUlT_T0_E_clISt17integral_constantIbLb1EES1D_IbLb0EEEEDaS19_S1A_EUlS19_E_NS1_11comp_targetILNS1_3genE3ELNS1_11target_archE908ELNS1_3gpuE7ELNS1_3repE0EEENS1_30default_config_static_selectorELNS0_4arch9wavefront6targetE0EEEvT1_,comdat
.Lfunc_end1192:
	.size	_ZN7rocprim17ROCPRIM_400000_NS6detail17trampoline_kernelINS0_14default_configENS1_25partition_config_selectorILNS1_17partition_subalgoE8ElNS0_10empty_typeEbEEZZNS1_14partition_implILS5_8ELb0ES3_jPlPS6_PKS6_NS0_5tupleIJS9_S6_EEENSD_IJSA_SA_EEENS0_18inequality_wrapperIZN2at6native12_GLOBAL__N_124unique_dim_cuda_templateIN3c108BFloat16EEESt5tupleIJNSH_6TensorESO_SO_EERKSO_lbbbEUlllE0_EEPmJS6_EEE10hipError_tPvRmT3_T4_T5_T6_T7_T9_mT8_P12ihipStream_tbDpT10_ENKUlT_T0_E_clISt17integral_constantIbLb1EES1D_IbLb0EEEEDaS19_S1A_EUlS19_E_NS1_11comp_targetILNS1_3genE3ELNS1_11target_archE908ELNS1_3gpuE7ELNS1_3repE0EEENS1_30default_config_static_selectorELNS0_4arch9wavefront6targetE0EEEvT1_, .Lfunc_end1192-_ZN7rocprim17ROCPRIM_400000_NS6detail17trampoline_kernelINS0_14default_configENS1_25partition_config_selectorILNS1_17partition_subalgoE8ElNS0_10empty_typeEbEEZZNS1_14partition_implILS5_8ELb0ES3_jPlPS6_PKS6_NS0_5tupleIJS9_S6_EEENSD_IJSA_SA_EEENS0_18inequality_wrapperIZN2at6native12_GLOBAL__N_124unique_dim_cuda_templateIN3c108BFloat16EEESt5tupleIJNSH_6TensorESO_SO_EERKSO_lbbbEUlllE0_EEPmJS6_EEE10hipError_tPvRmT3_T4_T5_T6_T7_T9_mT8_P12ihipStream_tbDpT10_ENKUlT_T0_E_clISt17integral_constantIbLb1EES1D_IbLb0EEEEDaS19_S1A_EUlS19_E_NS1_11comp_targetILNS1_3genE3ELNS1_11target_archE908ELNS1_3gpuE7ELNS1_3repE0EEENS1_30default_config_static_selectorELNS0_4arch9wavefront6targetE0EEEvT1_
                                        ; -- End function
	.section	.AMDGPU.csdata,"",@progbits
; Kernel info:
; codeLenInByte = 0
; NumSgprs: 0
; NumVgprs: 0
; ScratchSize: 0
; MemoryBound: 0
; FloatMode: 240
; IeeeMode: 1
; LDSByteSize: 0 bytes/workgroup (compile time only)
; SGPRBlocks: 0
; VGPRBlocks: 0
; NumSGPRsForWavesPerEU: 1
; NumVGPRsForWavesPerEU: 1
; Occupancy: 16
; WaveLimiterHint : 0
; COMPUTE_PGM_RSRC2:SCRATCH_EN: 0
; COMPUTE_PGM_RSRC2:USER_SGPR: 15
; COMPUTE_PGM_RSRC2:TRAP_HANDLER: 0
; COMPUTE_PGM_RSRC2:TGID_X_EN: 1
; COMPUTE_PGM_RSRC2:TGID_Y_EN: 0
; COMPUTE_PGM_RSRC2:TGID_Z_EN: 0
; COMPUTE_PGM_RSRC2:TIDIG_COMP_CNT: 0
	.section	.text._ZN7rocprim17ROCPRIM_400000_NS6detail17trampoline_kernelINS0_14default_configENS1_25partition_config_selectorILNS1_17partition_subalgoE8ElNS0_10empty_typeEbEEZZNS1_14partition_implILS5_8ELb0ES3_jPlPS6_PKS6_NS0_5tupleIJS9_S6_EEENSD_IJSA_SA_EEENS0_18inequality_wrapperIZN2at6native12_GLOBAL__N_124unique_dim_cuda_templateIN3c108BFloat16EEESt5tupleIJNSH_6TensorESO_SO_EERKSO_lbbbEUlllE0_EEPmJS6_EEE10hipError_tPvRmT3_T4_T5_T6_T7_T9_mT8_P12ihipStream_tbDpT10_ENKUlT_T0_E_clISt17integral_constantIbLb1EES1D_IbLb0EEEEDaS19_S1A_EUlS19_E_NS1_11comp_targetILNS1_3genE2ELNS1_11target_archE906ELNS1_3gpuE6ELNS1_3repE0EEENS1_30default_config_static_selectorELNS0_4arch9wavefront6targetE0EEEvT1_,"axG",@progbits,_ZN7rocprim17ROCPRIM_400000_NS6detail17trampoline_kernelINS0_14default_configENS1_25partition_config_selectorILNS1_17partition_subalgoE8ElNS0_10empty_typeEbEEZZNS1_14partition_implILS5_8ELb0ES3_jPlPS6_PKS6_NS0_5tupleIJS9_S6_EEENSD_IJSA_SA_EEENS0_18inequality_wrapperIZN2at6native12_GLOBAL__N_124unique_dim_cuda_templateIN3c108BFloat16EEESt5tupleIJNSH_6TensorESO_SO_EERKSO_lbbbEUlllE0_EEPmJS6_EEE10hipError_tPvRmT3_T4_T5_T6_T7_T9_mT8_P12ihipStream_tbDpT10_ENKUlT_T0_E_clISt17integral_constantIbLb1EES1D_IbLb0EEEEDaS19_S1A_EUlS19_E_NS1_11comp_targetILNS1_3genE2ELNS1_11target_archE906ELNS1_3gpuE6ELNS1_3repE0EEENS1_30default_config_static_selectorELNS0_4arch9wavefront6targetE0EEEvT1_,comdat
	.globl	_ZN7rocprim17ROCPRIM_400000_NS6detail17trampoline_kernelINS0_14default_configENS1_25partition_config_selectorILNS1_17partition_subalgoE8ElNS0_10empty_typeEbEEZZNS1_14partition_implILS5_8ELb0ES3_jPlPS6_PKS6_NS0_5tupleIJS9_S6_EEENSD_IJSA_SA_EEENS0_18inequality_wrapperIZN2at6native12_GLOBAL__N_124unique_dim_cuda_templateIN3c108BFloat16EEESt5tupleIJNSH_6TensorESO_SO_EERKSO_lbbbEUlllE0_EEPmJS6_EEE10hipError_tPvRmT3_T4_T5_T6_T7_T9_mT8_P12ihipStream_tbDpT10_ENKUlT_T0_E_clISt17integral_constantIbLb1EES1D_IbLb0EEEEDaS19_S1A_EUlS19_E_NS1_11comp_targetILNS1_3genE2ELNS1_11target_archE906ELNS1_3gpuE6ELNS1_3repE0EEENS1_30default_config_static_selectorELNS0_4arch9wavefront6targetE0EEEvT1_ ; -- Begin function _ZN7rocprim17ROCPRIM_400000_NS6detail17trampoline_kernelINS0_14default_configENS1_25partition_config_selectorILNS1_17partition_subalgoE8ElNS0_10empty_typeEbEEZZNS1_14partition_implILS5_8ELb0ES3_jPlPS6_PKS6_NS0_5tupleIJS9_S6_EEENSD_IJSA_SA_EEENS0_18inequality_wrapperIZN2at6native12_GLOBAL__N_124unique_dim_cuda_templateIN3c108BFloat16EEESt5tupleIJNSH_6TensorESO_SO_EERKSO_lbbbEUlllE0_EEPmJS6_EEE10hipError_tPvRmT3_T4_T5_T6_T7_T9_mT8_P12ihipStream_tbDpT10_ENKUlT_T0_E_clISt17integral_constantIbLb1EES1D_IbLb0EEEEDaS19_S1A_EUlS19_E_NS1_11comp_targetILNS1_3genE2ELNS1_11target_archE906ELNS1_3gpuE6ELNS1_3repE0EEENS1_30default_config_static_selectorELNS0_4arch9wavefront6targetE0EEEvT1_
	.p2align	8
	.type	_ZN7rocprim17ROCPRIM_400000_NS6detail17trampoline_kernelINS0_14default_configENS1_25partition_config_selectorILNS1_17partition_subalgoE8ElNS0_10empty_typeEbEEZZNS1_14partition_implILS5_8ELb0ES3_jPlPS6_PKS6_NS0_5tupleIJS9_S6_EEENSD_IJSA_SA_EEENS0_18inequality_wrapperIZN2at6native12_GLOBAL__N_124unique_dim_cuda_templateIN3c108BFloat16EEESt5tupleIJNSH_6TensorESO_SO_EERKSO_lbbbEUlllE0_EEPmJS6_EEE10hipError_tPvRmT3_T4_T5_T6_T7_T9_mT8_P12ihipStream_tbDpT10_ENKUlT_T0_E_clISt17integral_constantIbLb1EES1D_IbLb0EEEEDaS19_S1A_EUlS19_E_NS1_11comp_targetILNS1_3genE2ELNS1_11target_archE906ELNS1_3gpuE6ELNS1_3repE0EEENS1_30default_config_static_selectorELNS0_4arch9wavefront6targetE0EEEvT1_,@function
_ZN7rocprim17ROCPRIM_400000_NS6detail17trampoline_kernelINS0_14default_configENS1_25partition_config_selectorILNS1_17partition_subalgoE8ElNS0_10empty_typeEbEEZZNS1_14partition_implILS5_8ELb0ES3_jPlPS6_PKS6_NS0_5tupleIJS9_S6_EEENSD_IJSA_SA_EEENS0_18inequality_wrapperIZN2at6native12_GLOBAL__N_124unique_dim_cuda_templateIN3c108BFloat16EEESt5tupleIJNSH_6TensorESO_SO_EERKSO_lbbbEUlllE0_EEPmJS6_EEE10hipError_tPvRmT3_T4_T5_T6_T7_T9_mT8_P12ihipStream_tbDpT10_ENKUlT_T0_E_clISt17integral_constantIbLb1EES1D_IbLb0EEEEDaS19_S1A_EUlS19_E_NS1_11comp_targetILNS1_3genE2ELNS1_11target_archE906ELNS1_3gpuE6ELNS1_3repE0EEENS1_30default_config_static_selectorELNS0_4arch9wavefront6targetE0EEEvT1_: ; @_ZN7rocprim17ROCPRIM_400000_NS6detail17trampoline_kernelINS0_14default_configENS1_25partition_config_selectorILNS1_17partition_subalgoE8ElNS0_10empty_typeEbEEZZNS1_14partition_implILS5_8ELb0ES3_jPlPS6_PKS6_NS0_5tupleIJS9_S6_EEENSD_IJSA_SA_EEENS0_18inequality_wrapperIZN2at6native12_GLOBAL__N_124unique_dim_cuda_templateIN3c108BFloat16EEESt5tupleIJNSH_6TensorESO_SO_EERKSO_lbbbEUlllE0_EEPmJS6_EEE10hipError_tPvRmT3_T4_T5_T6_T7_T9_mT8_P12ihipStream_tbDpT10_ENKUlT_T0_E_clISt17integral_constantIbLb1EES1D_IbLb0EEEEDaS19_S1A_EUlS19_E_NS1_11comp_targetILNS1_3genE2ELNS1_11target_archE906ELNS1_3gpuE6ELNS1_3repE0EEENS1_30default_config_static_selectorELNS0_4arch9wavefront6targetE0EEEvT1_
; %bb.0:
	.section	.rodata,"a",@progbits
	.p2align	6, 0x0
	.amdhsa_kernel _ZN7rocprim17ROCPRIM_400000_NS6detail17trampoline_kernelINS0_14default_configENS1_25partition_config_selectorILNS1_17partition_subalgoE8ElNS0_10empty_typeEbEEZZNS1_14partition_implILS5_8ELb0ES3_jPlPS6_PKS6_NS0_5tupleIJS9_S6_EEENSD_IJSA_SA_EEENS0_18inequality_wrapperIZN2at6native12_GLOBAL__N_124unique_dim_cuda_templateIN3c108BFloat16EEESt5tupleIJNSH_6TensorESO_SO_EERKSO_lbbbEUlllE0_EEPmJS6_EEE10hipError_tPvRmT3_T4_T5_T6_T7_T9_mT8_P12ihipStream_tbDpT10_ENKUlT_T0_E_clISt17integral_constantIbLb1EES1D_IbLb0EEEEDaS19_S1A_EUlS19_E_NS1_11comp_targetILNS1_3genE2ELNS1_11target_archE906ELNS1_3gpuE6ELNS1_3repE0EEENS1_30default_config_static_selectorELNS0_4arch9wavefront6targetE0EEEvT1_
		.amdhsa_group_segment_fixed_size 0
		.amdhsa_private_segment_fixed_size 0
		.amdhsa_kernarg_size 120
		.amdhsa_user_sgpr_count 15
		.amdhsa_user_sgpr_dispatch_ptr 0
		.amdhsa_user_sgpr_queue_ptr 0
		.amdhsa_user_sgpr_kernarg_segment_ptr 1
		.amdhsa_user_sgpr_dispatch_id 0
		.amdhsa_user_sgpr_private_segment_size 0
		.amdhsa_wavefront_size32 1
		.amdhsa_uses_dynamic_stack 0
		.amdhsa_enable_private_segment 0
		.amdhsa_system_sgpr_workgroup_id_x 1
		.amdhsa_system_sgpr_workgroup_id_y 0
		.amdhsa_system_sgpr_workgroup_id_z 0
		.amdhsa_system_sgpr_workgroup_info 0
		.amdhsa_system_vgpr_workitem_id 0
		.amdhsa_next_free_vgpr 1
		.amdhsa_next_free_sgpr 1
		.amdhsa_reserve_vcc 0
		.amdhsa_float_round_mode_32 0
		.amdhsa_float_round_mode_16_64 0
		.amdhsa_float_denorm_mode_32 3
		.amdhsa_float_denorm_mode_16_64 3
		.amdhsa_dx10_clamp 1
		.amdhsa_ieee_mode 1
		.amdhsa_fp16_overflow 0
		.amdhsa_workgroup_processor_mode 1
		.amdhsa_memory_ordered 1
		.amdhsa_forward_progress 0
		.amdhsa_shared_vgpr_count 0
		.amdhsa_exception_fp_ieee_invalid_op 0
		.amdhsa_exception_fp_denorm_src 0
		.amdhsa_exception_fp_ieee_div_zero 0
		.amdhsa_exception_fp_ieee_overflow 0
		.amdhsa_exception_fp_ieee_underflow 0
		.amdhsa_exception_fp_ieee_inexact 0
		.amdhsa_exception_int_div_zero 0
	.end_amdhsa_kernel
	.section	.text._ZN7rocprim17ROCPRIM_400000_NS6detail17trampoline_kernelINS0_14default_configENS1_25partition_config_selectorILNS1_17partition_subalgoE8ElNS0_10empty_typeEbEEZZNS1_14partition_implILS5_8ELb0ES3_jPlPS6_PKS6_NS0_5tupleIJS9_S6_EEENSD_IJSA_SA_EEENS0_18inequality_wrapperIZN2at6native12_GLOBAL__N_124unique_dim_cuda_templateIN3c108BFloat16EEESt5tupleIJNSH_6TensorESO_SO_EERKSO_lbbbEUlllE0_EEPmJS6_EEE10hipError_tPvRmT3_T4_T5_T6_T7_T9_mT8_P12ihipStream_tbDpT10_ENKUlT_T0_E_clISt17integral_constantIbLb1EES1D_IbLb0EEEEDaS19_S1A_EUlS19_E_NS1_11comp_targetILNS1_3genE2ELNS1_11target_archE906ELNS1_3gpuE6ELNS1_3repE0EEENS1_30default_config_static_selectorELNS0_4arch9wavefront6targetE0EEEvT1_,"axG",@progbits,_ZN7rocprim17ROCPRIM_400000_NS6detail17trampoline_kernelINS0_14default_configENS1_25partition_config_selectorILNS1_17partition_subalgoE8ElNS0_10empty_typeEbEEZZNS1_14partition_implILS5_8ELb0ES3_jPlPS6_PKS6_NS0_5tupleIJS9_S6_EEENSD_IJSA_SA_EEENS0_18inequality_wrapperIZN2at6native12_GLOBAL__N_124unique_dim_cuda_templateIN3c108BFloat16EEESt5tupleIJNSH_6TensorESO_SO_EERKSO_lbbbEUlllE0_EEPmJS6_EEE10hipError_tPvRmT3_T4_T5_T6_T7_T9_mT8_P12ihipStream_tbDpT10_ENKUlT_T0_E_clISt17integral_constantIbLb1EES1D_IbLb0EEEEDaS19_S1A_EUlS19_E_NS1_11comp_targetILNS1_3genE2ELNS1_11target_archE906ELNS1_3gpuE6ELNS1_3repE0EEENS1_30default_config_static_selectorELNS0_4arch9wavefront6targetE0EEEvT1_,comdat
.Lfunc_end1193:
	.size	_ZN7rocprim17ROCPRIM_400000_NS6detail17trampoline_kernelINS0_14default_configENS1_25partition_config_selectorILNS1_17partition_subalgoE8ElNS0_10empty_typeEbEEZZNS1_14partition_implILS5_8ELb0ES3_jPlPS6_PKS6_NS0_5tupleIJS9_S6_EEENSD_IJSA_SA_EEENS0_18inequality_wrapperIZN2at6native12_GLOBAL__N_124unique_dim_cuda_templateIN3c108BFloat16EEESt5tupleIJNSH_6TensorESO_SO_EERKSO_lbbbEUlllE0_EEPmJS6_EEE10hipError_tPvRmT3_T4_T5_T6_T7_T9_mT8_P12ihipStream_tbDpT10_ENKUlT_T0_E_clISt17integral_constantIbLb1EES1D_IbLb0EEEEDaS19_S1A_EUlS19_E_NS1_11comp_targetILNS1_3genE2ELNS1_11target_archE906ELNS1_3gpuE6ELNS1_3repE0EEENS1_30default_config_static_selectorELNS0_4arch9wavefront6targetE0EEEvT1_, .Lfunc_end1193-_ZN7rocprim17ROCPRIM_400000_NS6detail17trampoline_kernelINS0_14default_configENS1_25partition_config_selectorILNS1_17partition_subalgoE8ElNS0_10empty_typeEbEEZZNS1_14partition_implILS5_8ELb0ES3_jPlPS6_PKS6_NS0_5tupleIJS9_S6_EEENSD_IJSA_SA_EEENS0_18inequality_wrapperIZN2at6native12_GLOBAL__N_124unique_dim_cuda_templateIN3c108BFloat16EEESt5tupleIJNSH_6TensorESO_SO_EERKSO_lbbbEUlllE0_EEPmJS6_EEE10hipError_tPvRmT3_T4_T5_T6_T7_T9_mT8_P12ihipStream_tbDpT10_ENKUlT_T0_E_clISt17integral_constantIbLb1EES1D_IbLb0EEEEDaS19_S1A_EUlS19_E_NS1_11comp_targetILNS1_3genE2ELNS1_11target_archE906ELNS1_3gpuE6ELNS1_3repE0EEENS1_30default_config_static_selectorELNS0_4arch9wavefront6targetE0EEEvT1_
                                        ; -- End function
	.section	.AMDGPU.csdata,"",@progbits
; Kernel info:
; codeLenInByte = 0
; NumSgprs: 0
; NumVgprs: 0
; ScratchSize: 0
; MemoryBound: 0
; FloatMode: 240
; IeeeMode: 1
; LDSByteSize: 0 bytes/workgroup (compile time only)
; SGPRBlocks: 0
; VGPRBlocks: 0
; NumSGPRsForWavesPerEU: 1
; NumVGPRsForWavesPerEU: 1
; Occupancy: 16
; WaveLimiterHint : 0
; COMPUTE_PGM_RSRC2:SCRATCH_EN: 0
; COMPUTE_PGM_RSRC2:USER_SGPR: 15
; COMPUTE_PGM_RSRC2:TRAP_HANDLER: 0
; COMPUTE_PGM_RSRC2:TGID_X_EN: 1
; COMPUTE_PGM_RSRC2:TGID_Y_EN: 0
; COMPUTE_PGM_RSRC2:TGID_Z_EN: 0
; COMPUTE_PGM_RSRC2:TIDIG_COMP_CNT: 0
	.section	.text._ZN7rocprim17ROCPRIM_400000_NS6detail17trampoline_kernelINS0_14default_configENS1_25partition_config_selectorILNS1_17partition_subalgoE8ElNS0_10empty_typeEbEEZZNS1_14partition_implILS5_8ELb0ES3_jPlPS6_PKS6_NS0_5tupleIJS9_S6_EEENSD_IJSA_SA_EEENS0_18inequality_wrapperIZN2at6native12_GLOBAL__N_124unique_dim_cuda_templateIN3c108BFloat16EEESt5tupleIJNSH_6TensorESO_SO_EERKSO_lbbbEUlllE0_EEPmJS6_EEE10hipError_tPvRmT3_T4_T5_T6_T7_T9_mT8_P12ihipStream_tbDpT10_ENKUlT_T0_E_clISt17integral_constantIbLb1EES1D_IbLb0EEEEDaS19_S1A_EUlS19_E_NS1_11comp_targetILNS1_3genE10ELNS1_11target_archE1200ELNS1_3gpuE4ELNS1_3repE0EEENS1_30default_config_static_selectorELNS0_4arch9wavefront6targetE0EEEvT1_,"axG",@progbits,_ZN7rocprim17ROCPRIM_400000_NS6detail17trampoline_kernelINS0_14default_configENS1_25partition_config_selectorILNS1_17partition_subalgoE8ElNS0_10empty_typeEbEEZZNS1_14partition_implILS5_8ELb0ES3_jPlPS6_PKS6_NS0_5tupleIJS9_S6_EEENSD_IJSA_SA_EEENS0_18inequality_wrapperIZN2at6native12_GLOBAL__N_124unique_dim_cuda_templateIN3c108BFloat16EEESt5tupleIJNSH_6TensorESO_SO_EERKSO_lbbbEUlllE0_EEPmJS6_EEE10hipError_tPvRmT3_T4_T5_T6_T7_T9_mT8_P12ihipStream_tbDpT10_ENKUlT_T0_E_clISt17integral_constantIbLb1EES1D_IbLb0EEEEDaS19_S1A_EUlS19_E_NS1_11comp_targetILNS1_3genE10ELNS1_11target_archE1200ELNS1_3gpuE4ELNS1_3repE0EEENS1_30default_config_static_selectorELNS0_4arch9wavefront6targetE0EEEvT1_,comdat
	.globl	_ZN7rocprim17ROCPRIM_400000_NS6detail17trampoline_kernelINS0_14default_configENS1_25partition_config_selectorILNS1_17partition_subalgoE8ElNS0_10empty_typeEbEEZZNS1_14partition_implILS5_8ELb0ES3_jPlPS6_PKS6_NS0_5tupleIJS9_S6_EEENSD_IJSA_SA_EEENS0_18inequality_wrapperIZN2at6native12_GLOBAL__N_124unique_dim_cuda_templateIN3c108BFloat16EEESt5tupleIJNSH_6TensorESO_SO_EERKSO_lbbbEUlllE0_EEPmJS6_EEE10hipError_tPvRmT3_T4_T5_T6_T7_T9_mT8_P12ihipStream_tbDpT10_ENKUlT_T0_E_clISt17integral_constantIbLb1EES1D_IbLb0EEEEDaS19_S1A_EUlS19_E_NS1_11comp_targetILNS1_3genE10ELNS1_11target_archE1200ELNS1_3gpuE4ELNS1_3repE0EEENS1_30default_config_static_selectorELNS0_4arch9wavefront6targetE0EEEvT1_ ; -- Begin function _ZN7rocprim17ROCPRIM_400000_NS6detail17trampoline_kernelINS0_14default_configENS1_25partition_config_selectorILNS1_17partition_subalgoE8ElNS0_10empty_typeEbEEZZNS1_14partition_implILS5_8ELb0ES3_jPlPS6_PKS6_NS0_5tupleIJS9_S6_EEENSD_IJSA_SA_EEENS0_18inequality_wrapperIZN2at6native12_GLOBAL__N_124unique_dim_cuda_templateIN3c108BFloat16EEESt5tupleIJNSH_6TensorESO_SO_EERKSO_lbbbEUlllE0_EEPmJS6_EEE10hipError_tPvRmT3_T4_T5_T6_T7_T9_mT8_P12ihipStream_tbDpT10_ENKUlT_T0_E_clISt17integral_constantIbLb1EES1D_IbLb0EEEEDaS19_S1A_EUlS19_E_NS1_11comp_targetILNS1_3genE10ELNS1_11target_archE1200ELNS1_3gpuE4ELNS1_3repE0EEENS1_30default_config_static_selectorELNS0_4arch9wavefront6targetE0EEEvT1_
	.p2align	8
	.type	_ZN7rocprim17ROCPRIM_400000_NS6detail17trampoline_kernelINS0_14default_configENS1_25partition_config_selectorILNS1_17partition_subalgoE8ElNS0_10empty_typeEbEEZZNS1_14partition_implILS5_8ELb0ES3_jPlPS6_PKS6_NS0_5tupleIJS9_S6_EEENSD_IJSA_SA_EEENS0_18inequality_wrapperIZN2at6native12_GLOBAL__N_124unique_dim_cuda_templateIN3c108BFloat16EEESt5tupleIJNSH_6TensorESO_SO_EERKSO_lbbbEUlllE0_EEPmJS6_EEE10hipError_tPvRmT3_T4_T5_T6_T7_T9_mT8_P12ihipStream_tbDpT10_ENKUlT_T0_E_clISt17integral_constantIbLb1EES1D_IbLb0EEEEDaS19_S1A_EUlS19_E_NS1_11comp_targetILNS1_3genE10ELNS1_11target_archE1200ELNS1_3gpuE4ELNS1_3repE0EEENS1_30default_config_static_selectorELNS0_4arch9wavefront6targetE0EEEvT1_,@function
_ZN7rocprim17ROCPRIM_400000_NS6detail17trampoline_kernelINS0_14default_configENS1_25partition_config_selectorILNS1_17partition_subalgoE8ElNS0_10empty_typeEbEEZZNS1_14partition_implILS5_8ELb0ES3_jPlPS6_PKS6_NS0_5tupleIJS9_S6_EEENSD_IJSA_SA_EEENS0_18inequality_wrapperIZN2at6native12_GLOBAL__N_124unique_dim_cuda_templateIN3c108BFloat16EEESt5tupleIJNSH_6TensorESO_SO_EERKSO_lbbbEUlllE0_EEPmJS6_EEE10hipError_tPvRmT3_T4_T5_T6_T7_T9_mT8_P12ihipStream_tbDpT10_ENKUlT_T0_E_clISt17integral_constantIbLb1EES1D_IbLb0EEEEDaS19_S1A_EUlS19_E_NS1_11comp_targetILNS1_3genE10ELNS1_11target_archE1200ELNS1_3gpuE4ELNS1_3repE0EEENS1_30default_config_static_selectorELNS0_4arch9wavefront6targetE0EEEvT1_: ; @_ZN7rocprim17ROCPRIM_400000_NS6detail17trampoline_kernelINS0_14default_configENS1_25partition_config_selectorILNS1_17partition_subalgoE8ElNS0_10empty_typeEbEEZZNS1_14partition_implILS5_8ELb0ES3_jPlPS6_PKS6_NS0_5tupleIJS9_S6_EEENSD_IJSA_SA_EEENS0_18inequality_wrapperIZN2at6native12_GLOBAL__N_124unique_dim_cuda_templateIN3c108BFloat16EEESt5tupleIJNSH_6TensorESO_SO_EERKSO_lbbbEUlllE0_EEPmJS6_EEE10hipError_tPvRmT3_T4_T5_T6_T7_T9_mT8_P12ihipStream_tbDpT10_ENKUlT_T0_E_clISt17integral_constantIbLb1EES1D_IbLb0EEEEDaS19_S1A_EUlS19_E_NS1_11comp_targetILNS1_3genE10ELNS1_11target_archE1200ELNS1_3gpuE4ELNS1_3repE0EEENS1_30default_config_static_selectorELNS0_4arch9wavefront6targetE0EEEvT1_
; %bb.0:
	.section	.rodata,"a",@progbits
	.p2align	6, 0x0
	.amdhsa_kernel _ZN7rocprim17ROCPRIM_400000_NS6detail17trampoline_kernelINS0_14default_configENS1_25partition_config_selectorILNS1_17partition_subalgoE8ElNS0_10empty_typeEbEEZZNS1_14partition_implILS5_8ELb0ES3_jPlPS6_PKS6_NS0_5tupleIJS9_S6_EEENSD_IJSA_SA_EEENS0_18inequality_wrapperIZN2at6native12_GLOBAL__N_124unique_dim_cuda_templateIN3c108BFloat16EEESt5tupleIJNSH_6TensorESO_SO_EERKSO_lbbbEUlllE0_EEPmJS6_EEE10hipError_tPvRmT3_T4_T5_T6_T7_T9_mT8_P12ihipStream_tbDpT10_ENKUlT_T0_E_clISt17integral_constantIbLb1EES1D_IbLb0EEEEDaS19_S1A_EUlS19_E_NS1_11comp_targetILNS1_3genE10ELNS1_11target_archE1200ELNS1_3gpuE4ELNS1_3repE0EEENS1_30default_config_static_selectorELNS0_4arch9wavefront6targetE0EEEvT1_
		.amdhsa_group_segment_fixed_size 0
		.amdhsa_private_segment_fixed_size 0
		.amdhsa_kernarg_size 120
		.amdhsa_user_sgpr_count 15
		.amdhsa_user_sgpr_dispatch_ptr 0
		.amdhsa_user_sgpr_queue_ptr 0
		.amdhsa_user_sgpr_kernarg_segment_ptr 1
		.amdhsa_user_sgpr_dispatch_id 0
		.amdhsa_user_sgpr_private_segment_size 0
		.amdhsa_wavefront_size32 1
		.amdhsa_uses_dynamic_stack 0
		.amdhsa_enable_private_segment 0
		.amdhsa_system_sgpr_workgroup_id_x 1
		.amdhsa_system_sgpr_workgroup_id_y 0
		.amdhsa_system_sgpr_workgroup_id_z 0
		.amdhsa_system_sgpr_workgroup_info 0
		.amdhsa_system_vgpr_workitem_id 0
		.amdhsa_next_free_vgpr 1
		.amdhsa_next_free_sgpr 1
		.amdhsa_reserve_vcc 0
		.amdhsa_float_round_mode_32 0
		.amdhsa_float_round_mode_16_64 0
		.amdhsa_float_denorm_mode_32 3
		.amdhsa_float_denorm_mode_16_64 3
		.amdhsa_dx10_clamp 1
		.amdhsa_ieee_mode 1
		.amdhsa_fp16_overflow 0
		.amdhsa_workgroup_processor_mode 1
		.amdhsa_memory_ordered 1
		.amdhsa_forward_progress 0
		.amdhsa_shared_vgpr_count 0
		.amdhsa_exception_fp_ieee_invalid_op 0
		.amdhsa_exception_fp_denorm_src 0
		.amdhsa_exception_fp_ieee_div_zero 0
		.amdhsa_exception_fp_ieee_overflow 0
		.amdhsa_exception_fp_ieee_underflow 0
		.amdhsa_exception_fp_ieee_inexact 0
		.amdhsa_exception_int_div_zero 0
	.end_amdhsa_kernel
	.section	.text._ZN7rocprim17ROCPRIM_400000_NS6detail17trampoline_kernelINS0_14default_configENS1_25partition_config_selectorILNS1_17partition_subalgoE8ElNS0_10empty_typeEbEEZZNS1_14partition_implILS5_8ELb0ES3_jPlPS6_PKS6_NS0_5tupleIJS9_S6_EEENSD_IJSA_SA_EEENS0_18inequality_wrapperIZN2at6native12_GLOBAL__N_124unique_dim_cuda_templateIN3c108BFloat16EEESt5tupleIJNSH_6TensorESO_SO_EERKSO_lbbbEUlllE0_EEPmJS6_EEE10hipError_tPvRmT3_T4_T5_T6_T7_T9_mT8_P12ihipStream_tbDpT10_ENKUlT_T0_E_clISt17integral_constantIbLb1EES1D_IbLb0EEEEDaS19_S1A_EUlS19_E_NS1_11comp_targetILNS1_3genE10ELNS1_11target_archE1200ELNS1_3gpuE4ELNS1_3repE0EEENS1_30default_config_static_selectorELNS0_4arch9wavefront6targetE0EEEvT1_,"axG",@progbits,_ZN7rocprim17ROCPRIM_400000_NS6detail17trampoline_kernelINS0_14default_configENS1_25partition_config_selectorILNS1_17partition_subalgoE8ElNS0_10empty_typeEbEEZZNS1_14partition_implILS5_8ELb0ES3_jPlPS6_PKS6_NS0_5tupleIJS9_S6_EEENSD_IJSA_SA_EEENS0_18inequality_wrapperIZN2at6native12_GLOBAL__N_124unique_dim_cuda_templateIN3c108BFloat16EEESt5tupleIJNSH_6TensorESO_SO_EERKSO_lbbbEUlllE0_EEPmJS6_EEE10hipError_tPvRmT3_T4_T5_T6_T7_T9_mT8_P12ihipStream_tbDpT10_ENKUlT_T0_E_clISt17integral_constantIbLb1EES1D_IbLb0EEEEDaS19_S1A_EUlS19_E_NS1_11comp_targetILNS1_3genE10ELNS1_11target_archE1200ELNS1_3gpuE4ELNS1_3repE0EEENS1_30default_config_static_selectorELNS0_4arch9wavefront6targetE0EEEvT1_,comdat
.Lfunc_end1194:
	.size	_ZN7rocprim17ROCPRIM_400000_NS6detail17trampoline_kernelINS0_14default_configENS1_25partition_config_selectorILNS1_17partition_subalgoE8ElNS0_10empty_typeEbEEZZNS1_14partition_implILS5_8ELb0ES3_jPlPS6_PKS6_NS0_5tupleIJS9_S6_EEENSD_IJSA_SA_EEENS0_18inequality_wrapperIZN2at6native12_GLOBAL__N_124unique_dim_cuda_templateIN3c108BFloat16EEESt5tupleIJNSH_6TensorESO_SO_EERKSO_lbbbEUlllE0_EEPmJS6_EEE10hipError_tPvRmT3_T4_T5_T6_T7_T9_mT8_P12ihipStream_tbDpT10_ENKUlT_T0_E_clISt17integral_constantIbLb1EES1D_IbLb0EEEEDaS19_S1A_EUlS19_E_NS1_11comp_targetILNS1_3genE10ELNS1_11target_archE1200ELNS1_3gpuE4ELNS1_3repE0EEENS1_30default_config_static_selectorELNS0_4arch9wavefront6targetE0EEEvT1_, .Lfunc_end1194-_ZN7rocprim17ROCPRIM_400000_NS6detail17trampoline_kernelINS0_14default_configENS1_25partition_config_selectorILNS1_17partition_subalgoE8ElNS0_10empty_typeEbEEZZNS1_14partition_implILS5_8ELb0ES3_jPlPS6_PKS6_NS0_5tupleIJS9_S6_EEENSD_IJSA_SA_EEENS0_18inequality_wrapperIZN2at6native12_GLOBAL__N_124unique_dim_cuda_templateIN3c108BFloat16EEESt5tupleIJNSH_6TensorESO_SO_EERKSO_lbbbEUlllE0_EEPmJS6_EEE10hipError_tPvRmT3_T4_T5_T6_T7_T9_mT8_P12ihipStream_tbDpT10_ENKUlT_T0_E_clISt17integral_constantIbLb1EES1D_IbLb0EEEEDaS19_S1A_EUlS19_E_NS1_11comp_targetILNS1_3genE10ELNS1_11target_archE1200ELNS1_3gpuE4ELNS1_3repE0EEENS1_30default_config_static_selectorELNS0_4arch9wavefront6targetE0EEEvT1_
                                        ; -- End function
	.section	.AMDGPU.csdata,"",@progbits
; Kernel info:
; codeLenInByte = 0
; NumSgprs: 0
; NumVgprs: 0
; ScratchSize: 0
; MemoryBound: 0
; FloatMode: 240
; IeeeMode: 1
; LDSByteSize: 0 bytes/workgroup (compile time only)
; SGPRBlocks: 0
; VGPRBlocks: 0
; NumSGPRsForWavesPerEU: 1
; NumVGPRsForWavesPerEU: 1
; Occupancy: 15
; WaveLimiterHint : 0
; COMPUTE_PGM_RSRC2:SCRATCH_EN: 0
; COMPUTE_PGM_RSRC2:USER_SGPR: 15
; COMPUTE_PGM_RSRC2:TRAP_HANDLER: 0
; COMPUTE_PGM_RSRC2:TGID_X_EN: 1
; COMPUTE_PGM_RSRC2:TGID_Y_EN: 0
; COMPUTE_PGM_RSRC2:TGID_Z_EN: 0
; COMPUTE_PGM_RSRC2:TIDIG_COMP_CNT: 0
	.section	.text._ZN7rocprim17ROCPRIM_400000_NS6detail17trampoline_kernelINS0_14default_configENS1_25partition_config_selectorILNS1_17partition_subalgoE8ElNS0_10empty_typeEbEEZZNS1_14partition_implILS5_8ELb0ES3_jPlPS6_PKS6_NS0_5tupleIJS9_S6_EEENSD_IJSA_SA_EEENS0_18inequality_wrapperIZN2at6native12_GLOBAL__N_124unique_dim_cuda_templateIN3c108BFloat16EEESt5tupleIJNSH_6TensorESO_SO_EERKSO_lbbbEUlllE0_EEPmJS6_EEE10hipError_tPvRmT3_T4_T5_T6_T7_T9_mT8_P12ihipStream_tbDpT10_ENKUlT_T0_E_clISt17integral_constantIbLb1EES1D_IbLb0EEEEDaS19_S1A_EUlS19_E_NS1_11comp_targetILNS1_3genE9ELNS1_11target_archE1100ELNS1_3gpuE3ELNS1_3repE0EEENS1_30default_config_static_selectorELNS0_4arch9wavefront6targetE0EEEvT1_,"axG",@progbits,_ZN7rocprim17ROCPRIM_400000_NS6detail17trampoline_kernelINS0_14default_configENS1_25partition_config_selectorILNS1_17partition_subalgoE8ElNS0_10empty_typeEbEEZZNS1_14partition_implILS5_8ELb0ES3_jPlPS6_PKS6_NS0_5tupleIJS9_S6_EEENSD_IJSA_SA_EEENS0_18inequality_wrapperIZN2at6native12_GLOBAL__N_124unique_dim_cuda_templateIN3c108BFloat16EEESt5tupleIJNSH_6TensorESO_SO_EERKSO_lbbbEUlllE0_EEPmJS6_EEE10hipError_tPvRmT3_T4_T5_T6_T7_T9_mT8_P12ihipStream_tbDpT10_ENKUlT_T0_E_clISt17integral_constantIbLb1EES1D_IbLb0EEEEDaS19_S1A_EUlS19_E_NS1_11comp_targetILNS1_3genE9ELNS1_11target_archE1100ELNS1_3gpuE3ELNS1_3repE0EEENS1_30default_config_static_selectorELNS0_4arch9wavefront6targetE0EEEvT1_,comdat
	.globl	_ZN7rocprim17ROCPRIM_400000_NS6detail17trampoline_kernelINS0_14default_configENS1_25partition_config_selectorILNS1_17partition_subalgoE8ElNS0_10empty_typeEbEEZZNS1_14partition_implILS5_8ELb0ES3_jPlPS6_PKS6_NS0_5tupleIJS9_S6_EEENSD_IJSA_SA_EEENS0_18inequality_wrapperIZN2at6native12_GLOBAL__N_124unique_dim_cuda_templateIN3c108BFloat16EEESt5tupleIJNSH_6TensorESO_SO_EERKSO_lbbbEUlllE0_EEPmJS6_EEE10hipError_tPvRmT3_T4_T5_T6_T7_T9_mT8_P12ihipStream_tbDpT10_ENKUlT_T0_E_clISt17integral_constantIbLb1EES1D_IbLb0EEEEDaS19_S1A_EUlS19_E_NS1_11comp_targetILNS1_3genE9ELNS1_11target_archE1100ELNS1_3gpuE3ELNS1_3repE0EEENS1_30default_config_static_selectorELNS0_4arch9wavefront6targetE0EEEvT1_ ; -- Begin function _ZN7rocprim17ROCPRIM_400000_NS6detail17trampoline_kernelINS0_14default_configENS1_25partition_config_selectorILNS1_17partition_subalgoE8ElNS0_10empty_typeEbEEZZNS1_14partition_implILS5_8ELb0ES3_jPlPS6_PKS6_NS0_5tupleIJS9_S6_EEENSD_IJSA_SA_EEENS0_18inequality_wrapperIZN2at6native12_GLOBAL__N_124unique_dim_cuda_templateIN3c108BFloat16EEESt5tupleIJNSH_6TensorESO_SO_EERKSO_lbbbEUlllE0_EEPmJS6_EEE10hipError_tPvRmT3_T4_T5_T6_T7_T9_mT8_P12ihipStream_tbDpT10_ENKUlT_T0_E_clISt17integral_constantIbLb1EES1D_IbLb0EEEEDaS19_S1A_EUlS19_E_NS1_11comp_targetILNS1_3genE9ELNS1_11target_archE1100ELNS1_3gpuE3ELNS1_3repE0EEENS1_30default_config_static_selectorELNS0_4arch9wavefront6targetE0EEEvT1_
	.p2align	8
	.type	_ZN7rocprim17ROCPRIM_400000_NS6detail17trampoline_kernelINS0_14default_configENS1_25partition_config_selectorILNS1_17partition_subalgoE8ElNS0_10empty_typeEbEEZZNS1_14partition_implILS5_8ELb0ES3_jPlPS6_PKS6_NS0_5tupleIJS9_S6_EEENSD_IJSA_SA_EEENS0_18inequality_wrapperIZN2at6native12_GLOBAL__N_124unique_dim_cuda_templateIN3c108BFloat16EEESt5tupleIJNSH_6TensorESO_SO_EERKSO_lbbbEUlllE0_EEPmJS6_EEE10hipError_tPvRmT3_T4_T5_T6_T7_T9_mT8_P12ihipStream_tbDpT10_ENKUlT_T0_E_clISt17integral_constantIbLb1EES1D_IbLb0EEEEDaS19_S1A_EUlS19_E_NS1_11comp_targetILNS1_3genE9ELNS1_11target_archE1100ELNS1_3gpuE3ELNS1_3repE0EEENS1_30default_config_static_selectorELNS0_4arch9wavefront6targetE0EEEvT1_,@function
_ZN7rocprim17ROCPRIM_400000_NS6detail17trampoline_kernelINS0_14default_configENS1_25partition_config_selectorILNS1_17partition_subalgoE8ElNS0_10empty_typeEbEEZZNS1_14partition_implILS5_8ELb0ES3_jPlPS6_PKS6_NS0_5tupleIJS9_S6_EEENSD_IJSA_SA_EEENS0_18inequality_wrapperIZN2at6native12_GLOBAL__N_124unique_dim_cuda_templateIN3c108BFloat16EEESt5tupleIJNSH_6TensorESO_SO_EERKSO_lbbbEUlllE0_EEPmJS6_EEE10hipError_tPvRmT3_T4_T5_T6_T7_T9_mT8_P12ihipStream_tbDpT10_ENKUlT_T0_E_clISt17integral_constantIbLb1EES1D_IbLb0EEEEDaS19_S1A_EUlS19_E_NS1_11comp_targetILNS1_3genE9ELNS1_11target_archE1100ELNS1_3gpuE3ELNS1_3repE0EEENS1_30default_config_static_selectorELNS0_4arch9wavefront6targetE0EEEvT1_: ; @_ZN7rocprim17ROCPRIM_400000_NS6detail17trampoline_kernelINS0_14default_configENS1_25partition_config_selectorILNS1_17partition_subalgoE8ElNS0_10empty_typeEbEEZZNS1_14partition_implILS5_8ELb0ES3_jPlPS6_PKS6_NS0_5tupleIJS9_S6_EEENSD_IJSA_SA_EEENS0_18inequality_wrapperIZN2at6native12_GLOBAL__N_124unique_dim_cuda_templateIN3c108BFloat16EEESt5tupleIJNSH_6TensorESO_SO_EERKSO_lbbbEUlllE0_EEPmJS6_EEE10hipError_tPvRmT3_T4_T5_T6_T7_T9_mT8_P12ihipStream_tbDpT10_ENKUlT_T0_E_clISt17integral_constantIbLb1EES1D_IbLb0EEEEDaS19_S1A_EUlS19_E_NS1_11comp_targetILNS1_3genE9ELNS1_11target_archE1100ELNS1_3gpuE3ELNS1_3repE0EEENS1_30default_config_static_selectorELNS0_4arch9wavefront6targetE0EEEvT1_
; %bb.0:
	s_clause 0x3
	s_load_b128 s[4:7], s[0:1], 0x8
	s_load_b256 s[16:23], s[0:1], 0x40
	s_load_b32 s14, s[0:1], 0x70
	s_load_b128 s[8:11], s[0:1], 0x60
	s_mov_b32 s3, 0
	v_lshlrev_b32_e32 v39, 3, v0
	v_lshrrev_b32_e32 v17, 2, v0
	v_or_b32_e32 v24, 0x200, v0
	v_or_b32_e32 v22, 0x400, v0
	;; [unrolled: 1-line block ×7, first 2 shown]
	s_waitcnt lgkmcnt(0)
	s_lshl_b64 s[24:25], s[6:7], 3
	s_load_b64 s[12:13], s[18:19], 0x0
	s_add_u32 s26, s4, s24
	s_addc_u32 s5, s5, s25
	s_add_i32 s24, s14, -1
	s_lshl_b32 s14, s14, 12
	s_lshl_b32 s4, s24, 12
	s_lshl_b32 s2, s15, 12
	s_add_i32 s4, s6, s4
	s_add_u32 s18, s6, s14
	s_addc_u32 s19, s7, 0
	s_cmp_eq_u32 s15, s24
	v_cmp_ge_u64_e64 s18, s[18:19], s[20:21]
	s_cselect_b32 s14, -1, 0
	s_lshl_b64 s[2:3], s[2:3], 3
	s_delay_alu instid0(VALU_DEP_1) | instskip(NEXT) | instid1(SALU_CYCLE_1)
	s_and_b32 s24, s14, s18
	s_xor_b32 s21, s24, -1
	s_add_u32 s2, s26, s2
	s_addc_u32 s3, s5, s3
	s_and_b32 vcc_lo, exec_lo, s21
	s_mov_b32 s5, -1
	s_cbranch_vccz .LBB1195_2
; %bb.1:
	v_add_co_u32 v9, s5, s2, v39
	s_delay_alu instid0(VALU_DEP_1)
	v_add_co_ci_u32_e64 v10, null, s3, 0, s5
	global_load_b64 v[1:2], v39, s[2:3]
	v_add_co_u32 v3, vcc_lo, v9, 0x2000
	v_add_co_ci_u32_e32 v4, vcc_lo, 0, v10, vcc_lo
	v_add_co_u32 v5, vcc_lo, v9, 0x4000
	v_add_co_ci_u32_e32 v6, vcc_lo, 0, v10, vcc_lo
	;; [unrolled: 2-line block ×4, first 2 shown]
	s_clause 0x6
	global_load_b64 v[11:12], v[3:4], off offset:-4096
	global_load_b64 v[3:4], v[3:4], off
	global_load_b64 v[13:14], v[5:6], off offset:-4096
	global_load_b64 v[5:6], v[5:6], off
	;; [unrolled: 2-line block ×3, first 2 shown]
	global_load_b64 v[9:10], v[9:10], off
	v_lshrrev_b32_e32 v26, 2, v24
	v_lshrrev_b32_e32 v27, 2, v22
	;; [unrolled: 1-line block ×4, first 2 shown]
	v_and_b32_e32 v25, 0x78, v17
	v_lshrrev_b32_e32 v30, 2, v20
	v_lshrrev_b32_e32 v31, 2, v19
	;; [unrolled: 1-line block ×3, first 2 shown]
	v_and_b32_e32 v26, 0xf8, v26
	v_and_b32_e32 v27, 0x178, v27
	;; [unrolled: 1-line block ×4, first 2 shown]
	v_add_nc_u32_e32 v25, v25, v39
	v_and_b32_e32 v30, 0x2f8, v30
	v_and_b32_e32 v31, 0x378, v31
	;; [unrolled: 1-line block ×3, first 2 shown]
	v_add_nc_u32_e32 v26, v26, v39
	v_add_nc_u32_e32 v27, v27, v39
	;; [unrolled: 1-line block ×4, first 2 shown]
	s_mov_b32 s5, 0
	v_add_nc_u32_e32 v30, v30, v39
	v_add_nc_u32_e32 v31, v31, v39
	;; [unrolled: 1-line block ×3, first 2 shown]
	s_waitcnt vmcnt(7)
	ds_store_b64 v25, v[1:2]
	s_waitcnt vmcnt(6)
	ds_store_b64 v26, v[11:12] offset:4096
	s_waitcnt vmcnt(5)
	ds_store_b64 v27, v[3:4] offset:8192
	s_waitcnt vmcnt(4)
	ds_store_b64 v28, v[13:14] offset:12288
	s_waitcnt vmcnt(3)
	ds_store_b64 v29, v[5:6] offset:16384
	s_waitcnt vmcnt(2)
	ds_store_b64 v30, v[15:16] offset:20480
	s_waitcnt vmcnt(1)
	ds_store_b64 v31, v[7:8] offset:24576
	s_waitcnt vmcnt(0)
	ds_store_b64 v32, v[9:10] offset:28672
	s_waitcnt lgkmcnt(0)
	s_barrier
.LBB1195_2:
	s_and_not1_b32 vcc_lo, exec_lo, s5
	s_sub_i32 s20, s20, s4
	s_cbranch_vccnz .LBB1195_13
; %bb.3:
	s_mov_b32 s4, exec_lo
                                        ; implicit-def: $vgpr1_vgpr2_vgpr3_vgpr4_vgpr5_vgpr6_vgpr7_vgpr8_vgpr9_vgpr10_vgpr11_vgpr12_vgpr13_vgpr14_vgpr15_vgpr16
	v_cmpx_gt_u32_e64 s20, v0
	s_cbranch_execnz .LBB1195_23
; %bb.4:
	s_or_b32 exec_lo, exec_lo, s4
	s_delay_alu instid0(SALU_CYCLE_1)
	s_mov_b32 s4, exec_lo
	v_cmpx_gt_u32_e64 s20, v24
	s_cbranch_execnz .LBB1195_24
.LBB1195_5:
	s_or_b32 exec_lo, exec_lo, s4
	s_delay_alu instid0(SALU_CYCLE_1)
	s_mov_b32 s4, exec_lo
	v_cmpx_gt_u32_e64 s20, v22
	s_cbranch_execnz .LBB1195_25
.LBB1195_6:
	s_or_b32 exec_lo, exec_lo, s4
	s_delay_alu instid0(SALU_CYCLE_1)
	s_mov_b32 s4, exec_lo
	v_cmpx_gt_u32_e64 s20, v23
	s_cbranch_execnz .LBB1195_26
.LBB1195_7:
	s_or_b32 exec_lo, exec_lo, s4
	s_delay_alu instid0(SALU_CYCLE_1)
	s_mov_b32 s4, exec_lo
	v_cmpx_gt_u32_e64 s20, v21
	s_cbranch_execnz .LBB1195_27
.LBB1195_8:
	s_or_b32 exec_lo, exec_lo, s4
	s_delay_alu instid0(SALU_CYCLE_1)
	s_mov_b32 s4, exec_lo
	v_cmpx_gt_u32_e64 s20, v20
	s_cbranch_execnz .LBB1195_28
.LBB1195_9:
	s_or_b32 exec_lo, exec_lo, s4
	s_delay_alu instid0(SALU_CYCLE_1)
	s_mov_b32 s4, exec_lo
	v_cmpx_gt_u32_e64 s20, v19
	s_cbranch_execnz .LBB1195_29
.LBB1195_10:
	s_or_b32 exec_lo, exec_lo, s4
	s_delay_alu instid0(SALU_CYCLE_1)
	s_mov_b32 s4, exec_lo
	v_cmpx_gt_u32_e64 s20, v18
	s_cbranch_execz .LBB1195_12
.LBB1195_11:
	v_lshlrev_b32_e32 v15, 3, v18
	global_load_b64 v[15:16], v15, s[2:3]
.LBB1195_12:
	s_or_b32 exec_lo, exec_lo, s4
	v_lshrrev_b32_e32 v24, 2, v24
	v_lshrrev_b32_e32 v22, 2, v22
	;; [unrolled: 1-line block ×4, first 2 shown]
	v_and_b32_e32 v25, 0x78, v17
	v_lshrrev_b32_e32 v20, 2, v20
	v_lshrrev_b32_e32 v19, 2, v19
	;; [unrolled: 1-line block ×3, first 2 shown]
	v_and_b32_e32 v24, 0xf8, v24
	v_and_b32_e32 v22, 0x1f8, v22
	;; [unrolled: 1-line block ×4, first 2 shown]
	v_add_nc_u32_e32 v25, v25, v39
	v_and_b32_e32 v20, 0x3f8, v20
	v_and_b32_e32 v19, 0x3f8, v19
	;; [unrolled: 1-line block ×3, first 2 shown]
	v_add_nc_u32_e32 v24, v24, v39
	v_add_nc_u32_e32 v22, v22, v39
	;; [unrolled: 1-line block ×7, first 2 shown]
	s_waitcnt vmcnt(0)
	ds_store_b64 v25, v[1:2]
	ds_store_b64 v24, v[3:4] offset:4096
	ds_store_b64 v22, v[5:6] offset:8192
	;; [unrolled: 1-line block ×7, first 2 shown]
	s_waitcnt lgkmcnt(0)
	s_barrier
.LBB1195_13:
	v_add_lshl_u32 v1, v17, v39, 3
	s_waitcnt lgkmcnt(0)
	buffer_gl0_inv
	s_cmp_lg_u32 s15, 0
	v_cmp_gt_i64_e64 s26, s[22:23], 0
	s_cselect_b32 s25, -1, 0
	ds_load_2addr_b64 v[13:16], v1 offset1:1
	ds_load_2addr_b64 v[9:12], v1 offset0:2 offset1:3
	ds_load_2addr_b64 v[5:8], v1 offset0:4 offset1:5
	ds_load_2addr_b64 v[1:4], v1 offset0:6 offset1:7
	s_cmp_lg_u64 s[6:7], 0
	s_mov_b32 s18, 0
	s_cselect_b32 s4, -1, 0
	s_waitcnt lgkmcnt(0)
	s_or_b32 s4, s25, s4
	s_barrier
	s_and_b32 vcc_lo, exec_lo, s4
	buffer_gl0_inv
	s_cbranch_vccz .LBB1195_22
; %bb.14:
	s_add_u32 s2, s2, -8
	s_addc_u32 s3, s3, -1
	v_cndmask_b32_e64 v25, 0, 1, s26
	s_load_b64 s[4:5], s[2:3], 0x0
	s_and_b32 vcc_lo, exec_lo, s21
	ds_store_b64 v39, v[3:4]
	v_cmp_ne_u32_e64 s2, 1, v25
	s_cbranch_vccz .LBB1195_30
; %bb.15:
	v_mul_lo_u32 v19, v2, s22
	v_mul_lo_u32 v20, v1, s23
	v_mad_u64_u32 v[17:18], null, v1, s22, 0
	s_mov_b32 s3, 0
	s_and_b32 vcc_lo, exec_lo, s2
	s_mov_b32 s27, 0
	s_delay_alu instid0(VALU_DEP_1) | instskip(NEXT) | instid1(VALU_DEP_1)
	v_add3_u32 v18, v18, v20, v19
	v_lshlrev_b64 v[17:18], 1, v[17:18]
	s_cbranch_vccnz .LBB1195_33
; %bb.16:
	v_mul_lo_u32 v21, v4, s22
	v_mul_lo_u32 v22, v3, s23
	v_mad_u64_u32 v[19:20], null, v3, s22, 0
	s_mov_b32 s27, -1
	s_mov_b32 s28, exec_lo
	s_delay_alu instid0(VALU_DEP_1) | instskip(NEXT) | instid1(VALU_DEP_1)
	v_add3_u32 v20, v20, v22, v21
	v_lshlrev_b64 v[19:20], 1, v[19:20]
	s_delay_alu instid0(VALU_DEP_1) | instskip(NEXT) | instid1(VALU_DEP_2)
	v_add_co_u32 v19, vcc_lo, s8, v19
	v_add_co_ci_u32_e32 v20, vcc_lo, s9, v20, vcc_lo
	v_add_co_u32 v21, vcc_lo, s8, v17
	v_add_co_ci_u32_e32 v22, vcc_lo, s9, v18, vcc_lo
	s_clause 0x1
	global_load_u16 v23, v[19:20], off
	global_load_u16 v24, v[21:22], off
	s_waitcnt vmcnt(1)
	v_lshlrev_b32_e32 v23, 16, v23
	s_waitcnt vmcnt(0)
	v_lshlrev_b32_e32 v24, 16, v24
	s_delay_alu instid0(VALU_DEP_1)
	v_cmpx_eq_f32_e32 v24, v23
	s_cbranch_execz .LBB1195_32
; %bb.17:
	v_add_co_u32 v19, vcc_lo, v19, 2
	v_add_co_ci_u32_e32 v20, vcc_lo, 0, v20, vcc_lo
	v_add_co_u32 v21, vcc_lo, v21, 2
	v_add_co_ci_u32_e32 v22, vcc_lo, 0, v22, vcc_lo
	s_add_u32 s6, s22, -1
	s_addc_u32 s7, s23, -1
	s_mov_b64 s[18:19], 0
	s_mov_b32 s27, 0
                                        ; implicit-def: $sgpr29
	s_set_inst_prefetch_distance 0x1
	s_branch .LBB1195_20
	.p2align	6
.LBB1195_18:                            ;   in Loop: Header=BB1195_20 Depth=1
	global_load_u16 v23, v[19:20], off
	global_load_u16 v24, v[21:22], off
	v_add_co_u32 v19, vcc_lo, v19, 2
	v_add_co_ci_u32_e32 v20, vcc_lo, 0, v20, vcc_lo
	v_add_co_u32 v21, s2, v21, 2
	s_delay_alu instid0(VALU_DEP_1)
	v_add_co_ci_u32_e64 v22, s2, 0, v22, s2
	s_add_u32 s18, s18, 1
	s_addc_u32 s19, s19, 0
	s_and_not1_b32 s2, s29, exec_lo
	s_waitcnt vmcnt(1)
	v_lshlrev_b32_e32 v23, 16, v23
	s_waitcnt vmcnt(0)
	v_lshlrev_b32_e32 v24, 16, v24
	s_delay_alu instid0(VALU_DEP_1) | instskip(SKIP_1) | instid1(SALU_CYCLE_1)
	v_cmp_neq_f32_e32 vcc_lo, v24, v23
	s_and_b32 s29, vcc_lo, exec_lo
	s_or_b32 s29, s2, s29
.LBB1195_19:                            ;   in Loop: Header=BB1195_20 Depth=1
	v_dual_mov_b32 v24, s19 :: v_dual_mov_b32 v23, s18
	s_and_b32 s2, exec_lo, s29
	s_delay_alu instid0(SALU_CYCLE_1) | instskip(NEXT) | instid1(SALU_CYCLE_1)
	s_or_b32 s27, s2, s27
	s_and_not1_b32 exec_lo, exec_lo, s27
	s_cbranch_execz .LBB1195_31
.LBB1195_20:                            ; =>This Inner Loop Header: Depth=1
	s_or_b32 s29, s29, exec_lo
	s_cmp_eq_u64 s[6:7], s[18:19]
	s_cbranch_scc0 .LBB1195_18
; %bb.21:                               ;   in Loop: Header=BB1195_20 Depth=1
	s_mov_b64 s[18:19], s[22:23]
                                        ; implicit-def: $vgpr19_vgpr20
                                        ; implicit-def: $vgpr21_vgpr22
	s_branch .LBB1195_19
.LBB1195_22:
                                        ; implicit-def: $sgpr2
                                        ; implicit-def: $vgpr18
	s_branch .LBB1195_191
.LBB1195_23:
	global_load_b64 v[1:2], v39, s[2:3]
	s_or_b32 exec_lo, exec_lo, s4
	s_delay_alu instid0(SALU_CYCLE_1)
	s_mov_b32 s4, exec_lo
	v_cmpx_gt_u32_e64 s20, v24
	s_cbranch_execz .LBB1195_5
.LBB1195_24:
	v_lshlrev_b32_e32 v3, 3, v24
	global_load_b64 v[3:4], v3, s[2:3]
	s_or_b32 exec_lo, exec_lo, s4
	s_delay_alu instid0(SALU_CYCLE_1)
	s_mov_b32 s4, exec_lo
	v_cmpx_gt_u32_e64 s20, v22
	s_cbranch_execz .LBB1195_6
.LBB1195_25:
	v_lshlrev_b32_e32 v5, 3, v22
	global_load_b64 v[5:6], v5, s[2:3]
	s_or_b32 exec_lo, exec_lo, s4
	s_delay_alu instid0(SALU_CYCLE_1)
	s_mov_b32 s4, exec_lo
	v_cmpx_gt_u32_e64 s20, v23
	s_cbranch_execz .LBB1195_7
.LBB1195_26:
	v_lshlrev_b32_e32 v7, 3, v23
	global_load_b64 v[7:8], v7, s[2:3]
	s_or_b32 exec_lo, exec_lo, s4
	s_delay_alu instid0(SALU_CYCLE_1)
	s_mov_b32 s4, exec_lo
	v_cmpx_gt_u32_e64 s20, v21
	s_cbranch_execz .LBB1195_8
.LBB1195_27:
	v_lshlrev_b32_e32 v9, 3, v21
	global_load_b64 v[9:10], v9, s[2:3]
	s_or_b32 exec_lo, exec_lo, s4
	s_delay_alu instid0(SALU_CYCLE_1)
	s_mov_b32 s4, exec_lo
	v_cmpx_gt_u32_e64 s20, v20
	s_cbranch_execz .LBB1195_9
.LBB1195_28:
	v_lshlrev_b32_e32 v11, 3, v20
	global_load_b64 v[11:12], v11, s[2:3]
	s_or_b32 exec_lo, exec_lo, s4
	s_delay_alu instid0(SALU_CYCLE_1)
	s_mov_b32 s4, exec_lo
	v_cmpx_gt_u32_e64 s20, v19
	s_cbranch_execz .LBB1195_10
.LBB1195_29:
	v_lshlrev_b32_e32 v13, 3, v19
	global_load_b64 v[13:14], v13, s[2:3]
	s_or_b32 exec_lo, exec_lo, s4
	s_delay_alu instid0(SALU_CYCLE_1)
	s_mov_b32 s4, exec_lo
	v_cmpx_gt_u32_e64 s20, v18
	s_cbranch_execnz .LBB1195_11
	s_branch .LBB1195_12
.LBB1195_30:
                                        ; implicit-def: $sgpr2
                                        ; implicit-def: $vgpr18
	s_cbranch_execnz .LBB1195_99
	s_branch .LBB1195_190
.LBB1195_31:
	s_set_inst_prefetch_distance 0x2
	s_or_b32 exec_lo, exec_lo, s27
	v_cmp_gt_i64_e32 vcc_lo, s[22:23], v[23:24]
	s_or_not1_b32 s27, vcc_lo, exec_lo
.LBB1195_32:
	s_or_b32 exec_lo, exec_lo, s28
.LBB1195_33:
	v_mul_lo_u32 v21, v8, s22
	v_mul_lo_u32 v22, v7, s23
	v_mad_u64_u32 v[19:20], null, v7, s22, 0
	s_and_not1_b32 vcc_lo, exec_lo, s26
	s_delay_alu instid0(VALU_DEP_1) | instskip(NEXT) | instid1(VALU_DEP_1)
	v_add3_u32 v20, v20, v22, v21
	v_lshlrev_b64 v[19:20], 1, v[19:20]
	s_cbranch_vccnz .LBB1195_42
; %bb.34:
	v_add_co_u32 v17, vcc_lo, s8, v17
	v_add_co_ci_u32_e32 v18, vcc_lo, s9, v18, vcc_lo
	s_delay_alu instid0(VALU_DEP_3) | instskip(NEXT) | instid1(VALU_DEP_4)
	v_add_co_u32 v21, vcc_lo, s8, v19
	v_add_co_ci_u32_e32 v22, vcc_lo, s9, v20, vcc_lo
	s_mov_b32 s3, -1
	s_clause 0x1
	global_load_u16 v23, v[17:18], off
	global_load_u16 v24, v[21:22], off
	s_mov_b32 s28, exec_lo
	s_waitcnt vmcnt(1)
	v_lshlrev_b32_e32 v23, 16, v23
	s_waitcnt vmcnt(0)
	v_lshlrev_b32_e32 v24, 16, v24
	s_delay_alu instid0(VALU_DEP_1)
	v_cmpx_eq_f32_e32 v24, v23
	s_cbranch_execz .LBB1195_41
; %bb.35:
	v_add_co_u32 v17, vcc_lo, v17, 2
	v_add_co_ci_u32_e32 v18, vcc_lo, 0, v18, vcc_lo
	v_add_co_u32 v21, vcc_lo, v21, 2
	v_add_co_ci_u32_e32 v22, vcc_lo, 0, v22, vcc_lo
	s_add_u32 s6, s22, -1
	s_addc_u32 s7, s23, -1
	s_mov_b64 s[18:19], 0
	s_mov_b32 s3, 0
                                        ; implicit-def: $sgpr29
	s_set_inst_prefetch_distance 0x1
	s_branch .LBB1195_38
	.p2align	6
.LBB1195_36:                            ;   in Loop: Header=BB1195_38 Depth=1
	global_load_u16 v23, v[17:18], off
	global_load_u16 v24, v[21:22], off
	v_add_co_u32 v17, vcc_lo, v17, 2
	v_add_co_ci_u32_e32 v18, vcc_lo, 0, v18, vcc_lo
	v_add_co_u32 v21, s2, v21, 2
	s_delay_alu instid0(VALU_DEP_1)
	v_add_co_ci_u32_e64 v22, s2, 0, v22, s2
	s_add_u32 s18, s18, 1
	s_addc_u32 s19, s19, 0
	s_and_not1_b32 s2, s29, exec_lo
	s_waitcnt vmcnt(1)
	v_lshlrev_b32_e32 v23, 16, v23
	s_waitcnt vmcnt(0)
	v_lshlrev_b32_e32 v24, 16, v24
	s_delay_alu instid0(VALU_DEP_1) | instskip(SKIP_1) | instid1(SALU_CYCLE_1)
	v_cmp_neq_f32_e32 vcc_lo, v24, v23
	s_and_b32 s29, vcc_lo, exec_lo
	s_or_b32 s29, s2, s29
.LBB1195_37:                            ;   in Loop: Header=BB1195_38 Depth=1
	v_dual_mov_b32 v24, s19 :: v_dual_mov_b32 v23, s18
	s_and_b32 s2, exec_lo, s29
	s_delay_alu instid0(SALU_CYCLE_1) | instskip(NEXT) | instid1(SALU_CYCLE_1)
	s_or_b32 s3, s2, s3
	s_and_not1_b32 exec_lo, exec_lo, s3
	s_cbranch_execz .LBB1195_40
.LBB1195_38:                            ; =>This Inner Loop Header: Depth=1
	s_or_b32 s29, s29, exec_lo
	s_cmp_eq_u64 s[6:7], s[18:19]
	s_cbranch_scc0 .LBB1195_36
; %bb.39:                               ;   in Loop: Header=BB1195_38 Depth=1
	s_mov_b64 s[18:19], s[22:23]
                                        ; implicit-def: $vgpr17_vgpr18
                                        ; implicit-def: $vgpr21_vgpr22
	s_branch .LBB1195_37
.LBB1195_40:
	s_set_inst_prefetch_distance 0x2
	s_or_b32 exec_lo, exec_lo, s3
	v_cmp_gt_i64_e32 vcc_lo, s[22:23], v[23:24]
	s_or_not1_b32 s3, vcc_lo, exec_lo
.LBB1195_41:
	s_or_b32 exec_lo, exec_lo, s28
.LBB1195_42:
	v_mul_lo_u32 v21, v6, s22
	v_mul_lo_u32 v22, v5, s23
	v_mad_u64_u32 v[17:18], null, v5, s22, 0
	s_mov_b32 s28, 0
	s_and_not1_b32 vcc_lo, exec_lo, s26
	s_mov_b32 s29, 0
	s_delay_alu instid0(VALU_DEP_1) | instskip(NEXT) | instid1(VALU_DEP_1)
	v_add3_u32 v18, v18, v22, v21
	v_lshlrev_b64 v[21:22], 1, v[17:18]
	s_cbranch_vccnz .LBB1195_51
; %bb.43:
	v_add_co_u32 v17, vcc_lo, s8, v19
	v_add_co_ci_u32_e32 v18, vcc_lo, s9, v20, vcc_lo
	s_delay_alu instid0(VALU_DEP_3) | instskip(NEXT) | instid1(VALU_DEP_4)
	v_add_co_u32 v19, vcc_lo, s8, v21
	v_add_co_ci_u32_e32 v20, vcc_lo, s9, v22, vcc_lo
	s_mov_b32 s29, -1
	s_clause 0x1
	global_load_u16 v23, v[17:18], off
	global_load_u16 v24, v[19:20], off
	s_mov_b32 s30, exec_lo
	s_waitcnt vmcnt(1)
	v_lshlrev_b32_e32 v23, 16, v23
	s_waitcnt vmcnt(0)
	v_lshlrev_b32_e32 v24, 16, v24
	s_delay_alu instid0(VALU_DEP_1)
	v_cmpx_eq_f32_e32 v24, v23
	s_cbranch_execz .LBB1195_50
; %bb.44:
	v_add_co_u32 v17, vcc_lo, v17, 2
	v_add_co_ci_u32_e32 v18, vcc_lo, 0, v18, vcc_lo
	v_add_co_u32 v19, vcc_lo, v19, 2
	v_add_co_ci_u32_e32 v20, vcc_lo, 0, v20, vcc_lo
	s_add_u32 s6, s22, -1
	s_addc_u32 s7, s23, -1
	s_mov_b64 s[18:19], 0
	s_mov_b32 s29, 0
                                        ; implicit-def: $sgpr31
	s_set_inst_prefetch_distance 0x1
	s_branch .LBB1195_47
	.p2align	6
.LBB1195_45:                            ;   in Loop: Header=BB1195_47 Depth=1
	global_load_u16 v23, v[17:18], off
	global_load_u16 v24, v[19:20], off
	v_add_co_u32 v17, vcc_lo, v17, 2
	v_add_co_ci_u32_e32 v18, vcc_lo, 0, v18, vcc_lo
	v_add_co_u32 v19, s2, v19, 2
	s_delay_alu instid0(VALU_DEP_1)
	v_add_co_ci_u32_e64 v20, s2, 0, v20, s2
	s_add_u32 s18, s18, 1
	s_addc_u32 s19, s19, 0
	s_and_not1_b32 s2, s31, exec_lo
	s_waitcnt vmcnt(1)
	v_lshlrev_b32_e32 v23, 16, v23
	s_waitcnt vmcnt(0)
	v_lshlrev_b32_e32 v24, 16, v24
	s_delay_alu instid0(VALU_DEP_1) | instskip(SKIP_1) | instid1(SALU_CYCLE_1)
	v_cmp_neq_f32_e32 vcc_lo, v24, v23
	s_and_b32 s31, vcc_lo, exec_lo
	s_or_b32 s31, s2, s31
.LBB1195_46:                            ;   in Loop: Header=BB1195_47 Depth=1
	v_dual_mov_b32 v24, s19 :: v_dual_mov_b32 v23, s18
	s_and_b32 s2, exec_lo, s31
	s_delay_alu instid0(SALU_CYCLE_1) | instskip(NEXT) | instid1(SALU_CYCLE_1)
	s_or_b32 s29, s2, s29
	s_and_not1_b32 exec_lo, exec_lo, s29
	s_cbranch_execz .LBB1195_49
.LBB1195_47:                            ; =>This Inner Loop Header: Depth=1
	s_or_b32 s31, s31, exec_lo
	s_cmp_eq_u64 s[6:7], s[18:19]
	s_cbranch_scc0 .LBB1195_45
; %bb.48:                               ;   in Loop: Header=BB1195_47 Depth=1
	s_mov_b64 s[18:19], s[22:23]
                                        ; implicit-def: $vgpr17_vgpr18
                                        ; implicit-def: $vgpr19_vgpr20
	s_branch .LBB1195_46
.LBB1195_49:
	s_set_inst_prefetch_distance 0x2
	s_or_b32 exec_lo, exec_lo, s29
	v_cmp_gt_i64_e32 vcc_lo, s[22:23], v[23:24]
	s_or_not1_b32 s29, vcc_lo, exec_lo
.LBB1195_50:
	s_or_b32 exec_lo, exec_lo, s30
.LBB1195_51:
	v_mul_lo_u32 v19, v12, s22
	v_mul_lo_u32 v20, v11, s23
	v_mad_u64_u32 v[17:18], null, v11, s22, 0
	s_and_not1_b32 vcc_lo, exec_lo, s26
	s_delay_alu instid0(VALU_DEP_1) | instskip(NEXT) | instid1(VALU_DEP_1)
	v_add3_u32 v18, v18, v20, v19
	v_lshlrev_b64 v[17:18], 1, v[17:18]
	s_cbranch_vccnz .LBB1195_60
; %bb.52:
	v_add_co_u32 v19, vcc_lo, s8, v21
	v_add_co_ci_u32_e32 v20, vcc_lo, s9, v22, vcc_lo
	s_delay_alu instid0(VALU_DEP_3) | instskip(NEXT) | instid1(VALU_DEP_4)
	v_add_co_u32 v21, vcc_lo, s8, v17
	v_add_co_ci_u32_e32 v22, vcc_lo, s9, v18, vcc_lo
	s_mov_b32 s28, -1
	s_clause 0x1
	global_load_u16 v23, v[19:20], off
	global_load_u16 v24, v[21:22], off
	s_mov_b32 s30, exec_lo
	s_waitcnt vmcnt(1)
	v_lshlrev_b32_e32 v23, 16, v23
	s_waitcnt vmcnt(0)
	v_lshlrev_b32_e32 v24, 16, v24
	s_delay_alu instid0(VALU_DEP_1)
	v_cmpx_eq_f32_e32 v24, v23
	s_cbranch_execz .LBB1195_59
; %bb.53:
	v_add_co_u32 v19, vcc_lo, v19, 2
	v_add_co_ci_u32_e32 v20, vcc_lo, 0, v20, vcc_lo
	v_add_co_u32 v21, vcc_lo, v21, 2
	v_add_co_ci_u32_e32 v22, vcc_lo, 0, v22, vcc_lo
	s_add_u32 s6, s22, -1
	s_addc_u32 s7, s23, -1
	s_mov_b64 s[18:19], 0
	s_mov_b32 s28, 0
                                        ; implicit-def: $sgpr31
	s_set_inst_prefetch_distance 0x1
	s_branch .LBB1195_56
	.p2align	6
.LBB1195_54:                            ;   in Loop: Header=BB1195_56 Depth=1
	global_load_u16 v23, v[19:20], off
	global_load_u16 v24, v[21:22], off
	v_add_co_u32 v19, vcc_lo, v19, 2
	v_add_co_ci_u32_e32 v20, vcc_lo, 0, v20, vcc_lo
	v_add_co_u32 v21, s2, v21, 2
	s_delay_alu instid0(VALU_DEP_1)
	v_add_co_ci_u32_e64 v22, s2, 0, v22, s2
	s_add_u32 s18, s18, 1
	s_addc_u32 s19, s19, 0
	s_and_not1_b32 s2, s31, exec_lo
	s_waitcnt vmcnt(1)
	v_lshlrev_b32_e32 v23, 16, v23
	s_waitcnt vmcnt(0)
	v_lshlrev_b32_e32 v24, 16, v24
	s_delay_alu instid0(VALU_DEP_1) | instskip(SKIP_1) | instid1(SALU_CYCLE_1)
	v_cmp_neq_f32_e32 vcc_lo, v24, v23
	s_and_b32 s31, vcc_lo, exec_lo
	s_or_b32 s31, s2, s31
.LBB1195_55:                            ;   in Loop: Header=BB1195_56 Depth=1
	v_dual_mov_b32 v24, s19 :: v_dual_mov_b32 v23, s18
	s_and_b32 s2, exec_lo, s31
	s_delay_alu instid0(SALU_CYCLE_1) | instskip(NEXT) | instid1(SALU_CYCLE_1)
	s_or_b32 s28, s2, s28
	s_and_not1_b32 exec_lo, exec_lo, s28
	s_cbranch_execz .LBB1195_58
.LBB1195_56:                            ; =>This Inner Loop Header: Depth=1
	s_or_b32 s31, s31, exec_lo
	s_cmp_eq_u64 s[6:7], s[18:19]
	s_cbranch_scc0 .LBB1195_54
; %bb.57:                               ;   in Loop: Header=BB1195_56 Depth=1
	s_mov_b64 s[18:19], s[22:23]
                                        ; implicit-def: $vgpr19_vgpr20
                                        ; implicit-def: $vgpr21_vgpr22
	s_branch .LBB1195_55
.LBB1195_58:
	s_set_inst_prefetch_distance 0x2
	s_or_b32 exec_lo, exec_lo, s28
	v_cmp_gt_i64_e32 vcc_lo, s[22:23], v[23:24]
	s_or_not1_b32 s28, vcc_lo, exec_lo
.LBB1195_59:
	s_or_b32 exec_lo, exec_lo, s30
.LBB1195_60:
	v_mul_lo_u32 v21, v10, s22
	v_mul_lo_u32 v22, v9, s23
	v_mad_u64_u32 v[19:20], null, v9, s22, 0
	s_mov_b32 s30, 0
	s_and_not1_b32 vcc_lo, exec_lo, s26
	s_mov_b32 s31, 0
	s_delay_alu instid0(VALU_DEP_1) | instskip(NEXT) | instid1(VALU_DEP_1)
	v_add3_u32 v20, v20, v22, v21
	v_lshlrev_b64 v[21:22], 1, v[19:20]
	s_cbranch_vccnz .LBB1195_69
; %bb.61:
	v_add_co_u32 v17, vcc_lo, s8, v17
	v_add_co_ci_u32_e32 v18, vcc_lo, s9, v18, vcc_lo
	s_delay_alu instid0(VALU_DEP_3) | instskip(NEXT) | instid1(VALU_DEP_4)
	v_add_co_u32 v19, vcc_lo, s8, v21
	v_add_co_ci_u32_e32 v20, vcc_lo, s9, v22, vcc_lo
	s_mov_b32 s31, -1
	s_clause 0x1
	global_load_u16 v23, v[17:18], off
	global_load_u16 v24, v[19:20], off
	s_mov_b32 s33, exec_lo
	s_waitcnt vmcnt(1)
	v_lshlrev_b32_e32 v23, 16, v23
	s_waitcnt vmcnt(0)
	v_lshlrev_b32_e32 v24, 16, v24
	s_delay_alu instid0(VALU_DEP_1)
	v_cmpx_eq_f32_e32 v24, v23
	s_cbranch_execz .LBB1195_68
; %bb.62:
	v_add_co_u32 v17, vcc_lo, v17, 2
	v_add_co_ci_u32_e32 v18, vcc_lo, 0, v18, vcc_lo
	v_add_co_u32 v19, vcc_lo, v19, 2
	v_add_co_ci_u32_e32 v20, vcc_lo, 0, v20, vcc_lo
	s_add_u32 s6, s22, -1
	s_addc_u32 s7, s23, -1
	s_mov_b64 s[18:19], 0
	s_mov_b32 s31, 0
                                        ; implicit-def: $sgpr34
	s_set_inst_prefetch_distance 0x1
	s_branch .LBB1195_65
	.p2align	6
.LBB1195_63:                            ;   in Loop: Header=BB1195_65 Depth=1
	global_load_u16 v23, v[17:18], off
	global_load_u16 v24, v[19:20], off
	v_add_co_u32 v17, vcc_lo, v17, 2
	v_add_co_ci_u32_e32 v18, vcc_lo, 0, v18, vcc_lo
	v_add_co_u32 v19, s2, v19, 2
	s_delay_alu instid0(VALU_DEP_1)
	v_add_co_ci_u32_e64 v20, s2, 0, v20, s2
	s_add_u32 s18, s18, 1
	s_addc_u32 s19, s19, 0
	s_and_not1_b32 s2, s34, exec_lo
	s_waitcnt vmcnt(1)
	v_lshlrev_b32_e32 v23, 16, v23
	s_waitcnt vmcnt(0)
	v_lshlrev_b32_e32 v24, 16, v24
	s_delay_alu instid0(VALU_DEP_1) | instskip(SKIP_1) | instid1(SALU_CYCLE_1)
	v_cmp_neq_f32_e32 vcc_lo, v24, v23
	s_and_b32 s34, vcc_lo, exec_lo
	s_or_b32 s34, s2, s34
.LBB1195_64:                            ;   in Loop: Header=BB1195_65 Depth=1
	v_dual_mov_b32 v24, s19 :: v_dual_mov_b32 v23, s18
	s_and_b32 s2, exec_lo, s34
	s_delay_alu instid0(SALU_CYCLE_1) | instskip(NEXT) | instid1(SALU_CYCLE_1)
	s_or_b32 s31, s2, s31
	s_and_not1_b32 exec_lo, exec_lo, s31
	s_cbranch_execz .LBB1195_67
.LBB1195_65:                            ; =>This Inner Loop Header: Depth=1
	s_or_b32 s34, s34, exec_lo
	s_cmp_eq_u64 s[6:7], s[18:19]
	s_cbranch_scc0 .LBB1195_63
; %bb.66:                               ;   in Loop: Header=BB1195_65 Depth=1
	s_mov_b64 s[18:19], s[22:23]
                                        ; implicit-def: $vgpr17_vgpr18
                                        ; implicit-def: $vgpr19_vgpr20
	s_branch .LBB1195_64
.LBB1195_67:
	s_set_inst_prefetch_distance 0x2
	s_or_b32 exec_lo, exec_lo, s31
	v_cmp_gt_i64_e32 vcc_lo, s[22:23], v[23:24]
	s_or_not1_b32 s31, vcc_lo, exec_lo
.LBB1195_68:
	s_or_b32 exec_lo, exec_lo, s33
.LBB1195_69:
	v_mul_lo_u32 v19, v16, s22
	v_mul_lo_u32 v20, v15, s23
	v_mad_u64_u32 v[17:18], null, v15, s22, 0
	s_and_not1_b32 vcc_lo, exec_lo, s26
	s_delay_alu instid0(VALU_DEP_1) | instskip(NEXT) | instid1(VALU_DEP_1)
	v_add3_u32 v18, v18, v20, v19
	v_lshlrev_b64 v[19:20], 1, v[17:18]
	s_cbranch_vccnz .LBB1195_78
; %bb.70:
	v_add_co_u32 v17, vcc_lo, s8, v21
	v_add_co_ci_u32_e32 v18, vcc_lo, s9, v22, vcc_lo
	s_delay_alu instid0(VALU_DEP_3) | instskip(NEXT) | instid1(VALU_DEP_4)
	v_add_co_u32 v21, vcc_lo, s8, v19
	v_add_co_ci_u32_e32 v22, vcc_lo, s9, v20, vcc_lo
	s_mov_b32 s30, -1
	s_clause 0x1
	global_load_u16 v23, v[17:18], off
	global_load_u16 v24, v[21:22], off
	s_mov_b32 s33, exec_lo
	s_waitcnt vmcnt(1)
	v_lshlrev_b32_e32 v23, 16, v23
	s_waitcnt vmcnt(0)
	v_lshlrev_b32_e32 v24, 16, v24
	s_delay_alu instid0(VALU_DEP_1)
	v_cmpx_eq_f32_e32 v24, v23
	s_cbranch_execz .LBB1195_77
; %bb.71:
	v_add_co_u32 v17, vcc_lo, v17, 2
	v_add_co_ci_u32_e32 v18, vcc_lo, 0, v18, vcc_lo
	v_add_co_u32 v21, vcc_lo, v21, 2
	v_add_co_ci_u32_e32 v22, vcc_lo, 0, v22, vcc_lo
	s_add_u32 s6, s22, -1
	s_addc_u32 s7, s23, -1
	s_mov_b64 s[18:19], 0
	s_mov_b32 s30, 0
                                        ; implicit-def: $sgpr34
	s_set_inst_prefetch_distance 0x1
	s_branch .LBB1195_74
	.p2align	6
.LBB1195_72:                            ;   in Loop: Header=BB1195_74 Depth=1
	global_load_u16 v23, v[17:18], off
	global_load_u16 v24, v[21:22], off
	v_add_co_u32 v17, vcc_lo, v17, 2
	v_add_co_ci_u32_e32 v18, vcc_lo, 0, v18, vcc_lo
	v_add_co_u32 v21, s2, v21, 2
	s_delay_alu instid0(VALU_DEP_1)
	v_add_co_ci_u32_e64 v22, s2, 0, v22, s2
	s_add_u32 s18, s18, 1
	s_addc_u32 s19, s19, 0
	s_and_not1_b32 s2, s34, exec_lo
	s_waitcnt vmcnt(1)
	v_lshlrev_b32_e32 v23, 16, v23
	s_waitcnt vmcnt(0)
	v_lshlrev_b32_e32 v24, 16, v24
	s_delay_alu instid0(VALU_DEP_1) | instskip(SKIP_1) | instid1(SALU_CYCLE_1)
	v_cmp_neq_f32_e32 vcc_lo, v24, v23
	s_and_b32 s34, vcc_lo, exec_lo
	s_or_b32 s34, s2, s34
.LBB1195_73:                            ;   in Loop: Header=BB1195_74 Depth=1
	v_dual_mov_b32 v24, s19 :: v_dual_mov_b32 v23, s18
	s_and_b32 s2, exec_lo, s34
	s_delay_alu instid0(SALU_CYCLE_1) | instskip(NEXT) | instid1(SALU_CYCLE_1)
	s_or_b32 s30, s2, s30
	s_and_not1_b32 exec_lo, exec_lo, s30
	s_cbranch_execz .LBB1195_76
.LBB1195_74:                            ; =>This Inner Loop Header: Depth=1
	s_or_b32 s34, s34, exec_lo
	s_cmp_eq_u64 s[6:7], s[18:19]
	s_cbranch_scc0 .LBB1195_72
; %bb.75:                               ;   in Loop: Header=BB1195_74 Depth=1
	s_mov_b64 s[18:19], s[22:23]
                                        ; implicit-def: $vgpr17_vgpr18
                                        ; implicit-def: $vgpr21_vgpr22
	s_branch .LBB1195_73
.LBB1195_76:
	s_set_inst_prefetch_distance 0x2
	s_or_b32 exec_lo, exec_lo, s30
	v_cmp_gt_i64_e32 vcc_lo, s[22:23], v[23:24]
	s_or_not1_b32 s30, vcc_lo, exec_lo
.LBB1195_77:
	s_or_b32 exec_lo, exec_lo, s33
.LBB1195_78:
	v_mul_lo_u32 v21, v14, s22
	v_mul_lo_u32 v22, v13, s23
	v_mad_u64_u32 v[17:18], null, v13, s22, 0
	s_and_not1_b32 vcc_lo, exec_lo, s26
	s_mov_b32 s2, 0
	s_delay_alu instid0(VALU_DEP_1) | instskip(NEXT) | instid1(VALU_DEP_1)
	v_add3_u32 v18, v18, v22, v21
	v_lshlrev_b64 v[17:18], 1, v[17:18]
	s_cbranch_vccnz .LBB1195_87
; %bb.79:
	v_add_co_u32 v19, vcc_lo, s8, v19
	v_add_co_ci_u32_e32 v20, vcc_lo, s9, v20, vcc_lo
	s_delay_alu instid0(VALU_DEP_3) | instskip(NEXT) | instid1(VALU_DEP_4)
	v_add_co_u32 v21, vcc_lo, s8, v17
	v_add_co_ci_u32_e32 v22, vcc_lo, s9, v18, vcc_lo
	s_mov_b32 s2, -1
	s_clause 0x1
	global_load_u16 v23, v[19:20], off
	global_load_u16 v24, v[21:22], off
	s_mov_b32 s33, exec_lo
	s_waitcnt vmcnt(1)
	v_lshlrev_b32_e32 v23, 16, v23
	s_waitcnt vmcnt(0)
	v_lshlrev_b32_e32 v24, 16, v24
	s_delay_alu instid0(VALU_DEP_1)
	v_cmpx_eq_f32_e32 v24, v23
	s_cbranch_execz .LBB1195_86
; %bb.80:
	v_add_co_u32 v19, vcc_lo, v19, 2
	v_add_co_ci_u32_e32 v20, vcc_lo, 0, v20, vcc_lo
	v_add_co_u32 v21, vcc_lo, v21, 2
	v_add_co_ci_u32_e32 v22, vcc_lo, 0, v22, vcc_lo
	s_add_u32 s6, s22, -1
	s_addc_u32 s7, s23, -1
	s_mov_b64 s[18:19], 0
	s_mov_b32 s34, 0
                                        ; implicit-def: $sgpr35
	s_set_inst_prefetch_distance 0x1
	s_branch .LBB1195_83
	.p2align	6
.LBB1195_81:                            ;   in Loop: Header=BB1195_83 Depth=1
	global_load_u16 v23, v[19:20], off
	global_load_u16 v24, v[21:22], off
	v_add_co_u32 v19, vcc_lo, v19, 2
	v_add_co_ci_u32_e32 v20, vcc_lo, 0, v20, vcc_lo
	v_add_co_u32 v21, s2, v21, 2
	s_delay_alu instid0(VALU_DEP_1)
	v_add_co_ci_u32_e64 v22, s2, 0, v22, s2
	s_add_u32 s18, s18, 1
	s_addc_u32 s19, s19, 0
	s_and_not1_b32 s2, s35, exec_lo
	s_waitcnt vmcnt(1)
	v_lshlrev_b32_e32 v23, 16, v23
	s_waitcnt vmcnt(0)
	v_lshlrev_b32_e32 v24, 16, v24
	s_delay_alu instid0(VALU_DEP_1) | instskip(SKIP_1) | instid1(SALU_CYCLE_1)
	v_cmp_neq_f32_e32 vcc_lo, v24, v23
	s_and_b32 s35, vcc_lo, exec_lo
	s_or_b32 s35, s2, s35
.LBB1195_82:                            ;   in Loop: Header=BB1195_83 Depth=1
	v_dual_mov_b32 v24, s19 :: v_dual_mov_b32 v23, s18
	s_and_b32 s2, exec_lo, s35
	s_delay_alu instid0(SALU_CYCLE_1) | instskip(NEXT) | instid1(SALU_CYCLE_1)
	s_or_b32 s34, s2, s34
	s_and_not1_b32 exec_lo, exec_lo, s34
	s_cbranch_execz .LBB1195_85
.LBB1195_83:                            ; =>This Inner Loop Header: Depth=1
	s_or_b32 s35, s35, exec_lo
	s_cmp_eq_u64 s[6:7], s[18:19]
	s_cbranch_scc0 .LBB1195_81
; %bb.84:                               ;   in Loop: Header=BB1195_83 Depth=1
	s_mov_b64 s[18:19], s[22:23]
                                        ; implicit-def: $vgpr19_vgpr20
                                        ; implicit-def: $vgpr21_vgpr22
	s_branch .LBB1195_82
.LBB1195_85:
	s_set_inst_prefetch_distance 0x2
	s_or_b32 exec_lo, exec_lo, s34
	v_cmp_gt_i64_e32 vcc_lo, s[22:23], v[23:24]
	s_or_not1_b32 s2, vcc_lo, exec_lo
.LBB1195_86:
	s_or_b32 exec_lo, exec_lo, s33
.LBB1195_87:
	s_waitcnt lgkmcnt(0)
	v_dual_mov_b32 v20, s5 :: v_dual_mov_b32 v19, s4
	s_mov_b32 s6, exec_lo
	s_barrier
	buffer_gl0_inv
	v_cmpx_ne_u32_e32 0, v0
	s_cbranch_execz .LBB1195_89
; %bb.88:
	v_add_nc_u32_e32 v19, -8, v39
	ds_load_b64 v[19:20], v19
.LBB1195_89:
	s_or_b32 exec_lo, exec_lo, s6
	v_cndmask_b32_e64 v22, 0, 1, s31
	v_cndmask_b32_e64 v24, 0, 1, s29
	v_cndmask_b32_e64 v26, 0, 1, s27
	v_cndmask_b32_e64 v21, 0, 1, s30
	v_cndmask_b32_e64 v23, 0, 1, s28
	v_cndmask_b32_e64 v27, 0, 1, s2
	v_cndmask_b32_e64 v28, 0, 1, s3
	v_lshlrev_b16 v22, 8, v22
	v_lshlrev_b16 v24, 8, v24
	;; [unrolled: 1-line block ×4, first 2 shown]
	s_mov_b32 s3, 0
	v_or_b32_e32 v21, v21, v22
	v_or_b32_e32 v22, v23, v24
	;; [unrolled: 1-line block ×3, first 2 shown]
	v_and_b32_e32 v23, 0xffff, v27
	s_and_not1_b32 vcc_lo, exec_lo, s26
	v_lshlrev_b32_e32 v24, 16, v21
	v_and_b32_e32 v26, 0xffff, v22
	v_lshlrev_b32_e32 v27, 16, v28
	s_mov_b32 s2, 0
	s_cbranch_vccnz .LBB1195_98
; %bb.90:
	s_waitcnt lgkmcnt(0)
	v_mul_lo_u32 v22, v20, s22
	v_mul_lo_u32 v28, v19, s23
	v_mad_u64_u32 v[20:21], null, v19, s22, 0
	s_mov_b32 s2, -1
	s_mov_b32 s27, exec_lo
	s_delay_alu instid0(VALU_DEP_1) | instskip(NEXT) | instid1(VALU_DEP_1)
	v_add3_u32 v21, v21, v28, v22
	v_lshlrev_b64 v[19:20], 1, v[20:21]
	s_delay_alu instid0(VALU_DEP_1) | instskip(NEXT) | instid1(VALU_DEP_2)
	v_add_co_u32 v19, vcc_lo, s8, v19
	v_add_co_ci_u32_e32 v20, vcc_lo, s9, v20, vcc_lo
	v_add_co_u32 v17, vcc_lo, s8, v17
	v_add_co_ci_u32_e32 v18, vcc_lo, s9, v18, vcc_lo
	s_clause 0x1
	global_load_u16 v21, v[19:20], off
	global_load_u16 v22, v[17:18], off
	s_waitcnt vmcnt(1)
	v_lshlrev_b32_e32 v21, 16, v21
	s_waitcnt vmcnt(0)
	v_lshlrev_b32_e32 v22, 16, v22
	s_delay_alu instid0(VALU_DEP_1)
	v_cmpx_eq_f32_e32 v21, v22
	s_cbranch_execz .LBB1195_97
; %bb.91:
	v_add_co_u32 v17, vcc_lo, v17, 2
	v_add_co_ci_u32_e32 v18, vcc_lo, 0, v18, vcc_lo
	v_add_co_u32 v19, vcc_lo, v19, 2
	v_add_co_ci_u32_e32 v20, vcc_lo, 0, v20, vcc_lo
	s_add_u32 s6, s22, -1
	s_addc_u32 s7, s23, -1
	s_mov_b64 s[18:19], 0
	s_mov_b32 s28, 0
                                        ; implicit-def: $sgpr29
	s_set_inst_prefetch_distance 0x1
	s_branch .LBB1195_94
	.p2align	6
.LBB1195_92:                            ;   in Loop: Header=BB1195_94 Depth=1
	global_load_u16 v21, v[17:18], off
	global_load_u16 v22, v[19:20], off
	v_add_co_u32 v17, vcc_lo, v17, 2
	v_add_co_ci_u32_e32 v18, vcc_lo, 0, v18, vcc_lo
	v_add_co_u32 v19, s2, v19, 2
	s_delay_alu instid0(VALU_DEP_1)
	v_add_co_ci_u32_e64 v20, s2, 0, v20, s2
	s_add_u32 s18, s18, 1
	s_addc_u32 s19, s19, 0
	s_and_not1_b32 s2, s29, exec_lo
	s_waitcnt vmcnt(1)
	v_lshlrev_b32_e32 v21, 16, v21
	s_waitcnt vmcnt(0)
	v_lshlrev_b32_e32 v22, 16, v22
	s_delay_alu instid0(VALU_DEP_1) | instskip(SKIP_1) | instid1(SALU_CYCLE_1)
	v_cmp_neq_f32_e32 vcc_lo, v22, v21
	s_and_b32 s29, vcc_lo, exec_lo
	s_or_b32 s29, s2, s29
.LBB1195_93:                            ;   in Loop: Header=BB1195_94 Depth=1
	v_dual_mov_b32 v22, s19 :: v_dual_mov_b32 v21, s18
	s_and_b32 s2, exec_lo, s29
	s_delay_alu instid0(SALU_CYCLE_1) | instskip(NEXT) | instid1(SALU_CYCLE_1)
	s_or_b32 s28, s2, s28
	s_and_not1_b32 exec_lo, exec_lo, s28
	s_cbranch_execz .LBB1195_96
.LBB1195_94:                            ; =>This Inner Loop Header: Depth=1
	s_or_b32 s29, s29, exec_lo
	s_cmp_eq_u64 s[6:7], s[18:19]
	s_cbranch_scc0 .LBB1195_92
; %bb.95:                               ;   in Loop: Header=BB1195_94 Depth=1
	s_mov_b64 s[18:19], s[22:23]
                                        ; implicit-def: $vgpr17_vgpr18
                                        ; implicit-def: $vgpr19_vgpr20
	s_branch .LBB1195_93
.LBB1195_96:
	s_set_inst_prefetch_distance 0x2
	s_or_b32 exec_lo, exec_lo, s28
	v_cmp_gt_i64_e32 vcc_lo, s[22:23], v[21:22]
	s_or_not1_b32 s2, vcc_lo, exec_lo
.LBB1195_97:
	s_or_b32 exec_lo, exec_lo, s27
.LBB1195_98:
	v_or_b32_e32 v17, v23, v24
	s_delay_alu instid0(VALU_DEP_2)
	v_or_b32_e32 v18, v26, v27
	s_and_b32 vcc_lo, exec_lo, s3
	s_cbranch_vccz .LBB1195_190
.LBB1195_99:
	v_or_b32_e32 v17, 7, v39
	s_mov_b32 s3, 0
	s_mov_b32 s27, 0
	s_mov_b32 s28, exec_lo
	s_delay_alu instid0(VALU_DEP_1)
	v_cmpx_gt_u32_e64 s20, v17
	s_cbranch_execz .LBB1195_110
; %bb.100:
	s_and_not1_b32 vcc_lo, exec_lo, s26
	s_mov_b32 s2, 0
	s_cbranch_vccnz .LBB1195_109
; %bb.101:
	v_mul_lo_u32 v21, v4, s22
	v_mul_lo_u32 v22, v3, s23
	v_mad_u64_u32 v[17:18], null, v3, s22, 0
	v_mul_lo_u32 v23, v2, s22
	v_mul_lo_u32 v24, v1, s23
	s_waitcnt lgkmcnt(0)
	v_mad_u64_u32 v[19:20], null, v1, s22, 0
	s_mov_b32 s2, -1
	s_mov_b32 s26, exec_lo
	s_delay_alu instid0(VALU_DEP_4) | instskip(NEXT) | instid1(VALU_DEP_2)
	v_add3_u32 v18, v18, v22, v21
	v_add3_u32 v20, v20, v24, v23
	s_delay_alu instid0(VALU_DEP_2) | instskip(NEXT) | instid1(VALU_DEP_2)
	v_lshlrev_b64 v[17:18], 1, v[17:18]
	v_lshlrev_b64 v[19:20], 1, v[19:20]
	s_delay_alu instid0(VALU_DEP_2) | instskip(NEXT) | instid1(VALU_DEP_3)
	v_add_co_u32 v17, vcc_lo, s8, v17
	v_add_co_ci_u32_e32 v18, vcc_lo, s9, v18, vcc_lo
	s_delay_alu instid0(VALU_DEP_3) | instskip(NEXT) | instid1(VALU_DEP_4)
	v_add_co_u32 v19, vcc_lo, s8, v19
	v_add_co_ci_u32_e32 v20, vcc_lo, s9, v20, vcc_lo
	s_clause 0x1
	global_load_u16 v21, v[17:18], off
	global_load_u16 v22, v[19:20], off
	s_waitcnt vmcnt(1)
	v_lshlrev_b32_e32 v21, 16, v21
	s_waitcnt vmcnt(0)
	v_lshlrev_b32_e32 v22, 16, v22
	s_delay_alu instid0(VALU_DEP_1)
	v_cmpx_eq_f32_e32 v22, v21
	s_cbranch_execz .LBB1195_108
; %bb.102:
	v_add_co_u32 v17, vcc_lo, v17, 2
	v_add_co_ci_u32_e32 v18, vcc_lo, 0, v18, vcc_lo
	v_add_co_u32 v19, vcc_lo, v19, 2
	v_add_co_ci_u32_e32 v20, vcc_lo, 0, v20, vcc_lo
	s_add_u32 s6, s22, -1
	s_addc_u32 s7, s23, -1
	s_mov_b64 s[18:19], 0
                                        ; implicit-def: $sgpr29
	s_set_inst_prefetch_distance 0x1
	s_branch .LBB1195_105
	.p2align	6
.LBB1195_103:                           ;   in Loop: Header=BB1195_105 Depth=1
	global_load_u16 v21, v[17:18], off
	global_load_u16 v22, v[19:20], off
	v_add_co_u32 v17, vcc_lo, v17, 2
	v_add_co_ci_u32_e32 v18, vcc_lo, 0, v18, vcc_lo
	v_add_co_u32 v19, s2, v19, 2
	s_delay_alu instid0(VALU_DEP_1)
	v_add_co_ci_u32_e64 v20, s2, 0, v20, s2
	s_add_u32 s18, s18, 1
	s_addc_u32 s19, s19, 0
	s_and_not1_b32 s2, s29, exec_lo
	s_waitcnt vmcnt(1)
	v_lshlrev_b32_e32 v21, 16, v21
	s_waitcnt vmcnt(0)
	v_lshlrev_b32_e32 v22, 16, v22
	s_delay_alu instid0(VALU_DEP_1) | instskip(SKIP_1) | instid1(SALU_CYCLE_1)
	v_cmp_neq_f32_e32 vcc_lo, v22, v21
	s_and_b32 s29, vcc_lo, exec_lo
	s_or_b32 s29, s2, s29
.LBB1195_104:                           ;   in Loop: Header=BB1195_105 Depth=1
	v_dual_mov_b32 v22, s19 :: v_dual_mov_b32 v21, s18
	s_and_b32 s2, exec_lo, s29
	s_delay_alu instid0(SALU_CYCLE_1) | instskip(NEXT) | instid1(SALU_CYCLE_1)
	s_or_b32 s27, s2, s27
	s_and_not1_b32 exec_lo, exec_lo, s27
	s_cbranch_execz .LBB1195_107
.LBB1195_105:                           ; =>This Inner Loop Header: Depth=1
	s_or_b32 s29, s29, exec_lo
	s_cmp_eq_u64 s[6:7], s[18:19]
	s_cbranch_scc0 .LBB1195_103
; %bb.106:                              ;   in Loop: Header=BB1195_105 Depth=1
	s_mov_b64 s[18:19], s[22:23]
                                        ; implicit-def: $vgpr17_vgpr18
                                        ; implicit-def: $vgpr19_vgpr20
	s_branch .LBB1195_104
.LBB1195_107:
	s_set_inst_prefetch_distance 0x2
	s_or_b32 exec_lo, exec_lo, s27
	v_cmp_gt_i64_e32 vcc_lo, s[22:23], v[21:22]
	s_or_not1_b32 s2, vcc_lo, exec_lo
.LBB1195_108:
	s_or_b32 exec_lo, exec_lo, s26
.LBB1195_109:
	s_delay_alu instid0(SALU_CYCLE_1)
	s_and_b32 s27, s2, exec_lo
.LBB1195_110:
	s_or_b32 exec_lo, exec_lo, s28
	v_or_b32_e32 v17, 6, v39
	s_mov_b32 s26, exec_lo
	s_delay_alu instid0(VALU_DEP_1)
	v_cmpx_gt_u32_e64 s20, v17
	s_cbranch_execz .LBB1195_121
; %bb.111:
	v_cmp_ne_u32_e32 vcc_lo, 1, v25
	s_mov_b32 s2, 0
	s_cbranch_vccnz .LBB1195_120
; %bb.112:
	v_mul_lo_u32 v21, v2, s22
	v_mul_lo_u32 v22, v1, s23
	v_mad_u64_u32 v[17:18], null, v1, s22, 0
	v_mul_lo_u32 v23, v8, s22
	v_mul_lo_u32 v24, v7, s23
	s_waitcnt lgkmcnt(0)
	v_mad_u64_u32 v[19:20], null, v7, s22, 0
	s_mov_b32 s2, -1
	s_mov_b32 s3, exec_lo
	s_delay_alu instid0(VALU_DEP_4) | instskip(NEXT) | instid1(VALU_DEP_2)
	v_add3_u32 v18, v18, v22, v21
	v_add3_u32 v20, v20, v24, v23
	s_delay_alu instid0(VALU_DEP_2) | instskip(NEXT) | instid1(VALU_DEP_2)
	v_lshlrev_b64 v[17:18], 1, v[17:18]
	v_lshlrev_b64 v[19:20], 1, v[19:20]
	s_delay_alu instid0(VALU_DEP_2) | instskip(NEXT) | instid1(VALU_DEP_3)
	v_add_co_u32 v17, vcc_lo, s8, v17
	v_add_co_ci_u32_e32 v18, vcc_lo, s9, v18, vcc_lo
	s_delay_alu instid0(VALU_DEP_3) | instskip(NEXT) | instid1(VALU_DEP_4)
	v_add_co_u32 v19, vcc_lo, s8, v19
	v_add_co_ci_u32_e32 v20, vcc_lo, s9, v20, vcc_lo
	s_clause 0x1
	global_load_u16 v21, v[17:18], off
	global_load_u16 v22, v[19:20], off
	s_waitcnt vmcnt(1)
	v_lshlrev_b32_e32 v21, 16, v21
	s_waitcnt vmcnt(0)
	v_lshlrev_b32_e32 v22, 16, v22
	s_delay_alu instid0(VALU_DEP_1)
	v_cmpx_eq_f32_e32 v22, v21
	s_cbranch_execz .LBB1195_119
; %bb.113:
	v_add_co_u32 v17, vcc_lo, v17, 2
	v_add_co_ci_u32_e32 v18, vcc_lo, 0, v18, vcc_lo
	v_add_co_u32 v19, vcc_lo, v19, 2
	v_add_co_ci_u32_e32 v20, vcc_lo, 0, v20, vcc_lo
	s_add_u32 s6, s22, -1
	s_addc_u32 s7, s23, -1
	s_mov_b64 s[18:19], 0
	s_mov_b32 s28, 0
                                        ; implicit-def: $sgpr29
	s_set_inst_prefetch_distance 0x1
	s_branch .LBB1195_116
	.p2align	6
.LBB1195_114:                           ;   in Loop: Header=BB1195_116 Depth=1
	global_load_u16 v21, v[17:18], off
	global_load_u16 v22, v[19:20], off
	v_add_co_u32 v17, vcc_lo, v17, 2
	v_add_co_ci_u32_e32 v18, vcc_lo, 0, v18, vcc_lo
	v_add_co_u32 v19, s2, v19, 2
	s_delay_alu instid0(VALU_DEP_1)
	v_add_co_ci_u32_e64 v20, s2, 0, v20, s2
	s_add_u32 s18, s18, 1
	s_addc_u32 s19, s19, 0
	s_and_not1_b32 s2, s29, exec_lo
	s_waitcnt vmcnt(1)
	v_lshlrev_b32_e32 v21, 16, v21
	s_waitcnt vmcnt(0)
	v_lshlrev_b32_e32 v22, 16, v22
	s_delay_alu instid0(VALU_DEP_1) | instskip(SKIP_1) | instid1(SALU_CYCLE_1)
	v_cmp_neq_f32_e32 vcc_lo, v22, v21
	s_and_b32 s29, vcc_lo, exec_lo
	s_or_b32 s29, s2, s29
.LBB1195_115:                           ;   in Loop: Header=BB1195_116 Depth=1
	v_dual_mov_b32 v22, s19 :: v_dual_mov_b32 v21, s18
	s_and_b32 s2, exec_lo, s29
	s_delay_alu instid0(SALU_CYCLE_1) | instskip(NEXT) | instid1(SALU_CYCLE_1)
	s_or_b32 s28, s2, s28
	s_and_not1_b32 exec_lo, exec_lo, s28
	s_cbranch_execz .LBB1195_118
.LBB1195_116:                           ; =>This Inner Loop Header: Depth=1
	s_or_b32 s29, s29, exec_lo
	s_cmp_eq_u64 s[6:7], s[18:19]
	s_cbranch_scc0 .LBB1195_114
; %bb.117:                              ;   in Loop: Header=BB1195_116 Depth=1
	s_mov_b64 s[18:19], s[22:23]
                                        ; implicit-def: $vgpr17_vgpr18
                                        ; implicit-def: $vgpr19_vgpr20
	s_branch .LBB1195_115
.LBB1195_118:
	s_set_inst_prefetch_distance 0x2
	s_or_b32 exec_lo, exec_lo, s28
	v_cmp_gt_i64_e32 vcc_lo, s[22:23], v[21:22]
	s_or_not1_b32 s2, vcc_lo, exec_lo
.LBB1195_119:
	s_or_b32 exec_lo, exec_lo, s3
.LBB1195_120:
	s_delay_alu instid0(SALU_CYCLE_1)
	s_and_b32 s3, s2, exec_lo
.LBB1195_121:
	s_or_b32 exec_lo, exec_lo, s26
	v_or_b32_e32 v17, 5, v39
	s_mov_b32 s28, 0
	s_mov_b32 s26, 0
	s_mov_b32 s29, exec_lo
	s_delay_alu instid0(VALU_DEP_1)
	v_cmpx_gt_u32_e64 s20, v17
	s_cbranch_execz .LBB1195_132
; %bb.122:
	v_cmp_ne_u32_e32 vcc_lo, 1, v25
	s_mov_b32 s2, 0
	s_cbranch_vccnz .LBB1195_131
; %bb.123:
	v_mul_lo_u32 v21, v8, s22
	v_mul_lo_u32 v22, v7, s23
	v_mad_u64_u32 v[17:18], null, v7, s22, 0
	v_mul_lo_u32 v23, v6, s22
	v_mul_lo_u32 v24, v5, s23
	s_waitcnt lgkmcnt(0)
	v_mad_u64_u32 v[19:20], null, v5, s22, 0
	s_mov_b32 s2, -1
	s_mov_b32 s26, exec_lo
	s_delay_alu instid0(VALU_DEP_4) | instskip(NEXT) | instid1(VALU_DEP_2)
	v_add3_u32 v18, v18, v22, v21
	v_add3_u32 v20, v20, v24, v23
	s_delay_alu instid0(VALU_DEP_2) | instskip(NEXT) | instid1(VALU_DEP_2)
	v_lshlrev_b64 v[17:18], 1, v[17:18]
	v_lshlrev_b64 v[19:20], 1, v[19:20]
	s_delay_alu instid0(VALU_DEP_2) | instskip(NEXT) | instid1(VALU_DEP_3)
	v_add_co_u32 v17, vcc_lo, s8, v17
	v_add_co_ci_u32_e32 v18, vcc_lo, s9, v18, vcc_lo
	s_delay_alu instid0(VALU_DEP_3) | instskip(NEXT) | instid1(VALU_DEP_4)
	v_add_co_u32 v19, vcc_lo, s8, v19
	v_add_co_ci_u32_e32 v20, vcc_lo, s9, v20, vcc_lo
	s_clause 0x1
	global_load_u16 v21, v[17:18], off
	global_load_u16 v22, v[19:20], off
	s_waitcnt vmcnt(1)
	v_lshlrev_b32_e32 v21, 16, v21
	s_waitcnt vmcnt(0)
	v_lshlrev_b32_e32 v22, 16, v22
	s_delay_alu instid0(VALU_DEP_1)
	v_cmpx_eq_f32_e32 v22, v21
	s_cbranch_execz .LBB1195_130
; %bb.124:
	v_add_co_u32 v17, vcc_lo, v17, 2
	v_add_co_ci_u32_e32 v18, vcc_lo, 0, v18, vcc_lo
	v_add_co_u32 v19, vcc_lo, v19, 2
	v_add_co_ci_u32_e32 v20, vcc_lo, 0, v20, vcc_lo
	s_add_u32 s6, s22, -1
	s_addc_u32 s7, s23, -1
	s_mov_b64 s[18:19], 0
	s_mov_b32 s30, 0
                                        ; implicit-def: $sgpr31
	s_set_inst_prefetch_distance 0x1
	s_branch .LBB1195_127
	.p2align	6
.LBB1195_125:                           ;   in Loop: Header=BB1195_127 Depth=1
	global_load_u16 v21, v[17:18], off
	global_load_u16 v22, v[19:20], off
	v_add_co_u32 v17, vcc_lo, v17, 2
	v_add_co_ci_u32_e32 v18, vcc_lo, 0, v18, vcc_lo
	v_add_co_u32 v19, s2, v19, 2
	s_delay_alu instid0(VALU_DEP_1)
	v_add_co_ci_u32_e64 v20, s2, 0, v20, s2
	s_add_u32 s18, s18, 1
	s_addc_u32 s19, s19, 0
	s_and_not1_b32 s2, s31, exec_lo
	s_waitcnt vmcnt(1)
	v_lshlrev_b32_e32 v21, 16, v21
	s_waitcnt vmcnt(0)
	v_lshlrev_b32_e32 v22, 16, v22
	s_delay_alu instid0(VALU_DEP_1) | instskip(SKIP_1) | instid1(SALU_CYCLE_1)
	v_cmp_neq_f32_e32 vcc_lo, v22, v21
	s_and_b32 s31, vcc_lo, exec_lo
	s_or_b32 s31, s2, s31
.LBB1195_126:                           ;   in Loop: Header=BB1195_127 Depth=1
	v_dual_mov_b32 v22, s19 :: v_dual_mov_b32 v21, s18
	s_and_b32 s2, exec_lo, s31
	s_delay_alu instid0(SALU_CYCLE_1) | instskip(NEXT) | instid1(SALU_CYCLE_1)
	s_or_b32 s30, s2, s30
	s_and_not1_b32 exec_lo, exec_lo, s30
	s_cbranch_execz .LBB1195_129
.LBB1195_127:                           ; =>This Inner Loop Header: Depth=1
	s_or_b32 s31, s31, exec_lo
	s_cmp_eq_u64 s[6:7], s[18:19]
	s_cbranch_scc0 .LBB1195_125
; %bb.128:                              ;   in Loop: Header=BB1195_127 Depth=1
	s_mov_b64 s[18:19], s[22:23]
                                        ; implicit-def: $vgpr17_vgpr18
                                        ; implicit-def: $vgpr19_vgpr20
	s_branch .LBB1195_126
.LBB1195_129:
	s_set_inst_prefetch_distance 0x2
	s_or_b32 exec_lo, exec_lo, s30
	v_cmp_gt_i64_e32 vcc_lo, s[22:23], v[21:22]
	s_or_not1_b32 s2, vcc_lo, exec_lo
.LBB1195_130:
	s_or_b32 exec_lo, exec_lo, s26
.LBB1195_131:
	s_delay_alu instid0(SALU_CYCLE_1)
	s_and_b32 s26, s2, exec_lo
.LBB1195_132:
	s_or_b32 exec_lo, exec_lo, s29
	v_or_b32_e32 v17, 4, v39
	s_mov_b32 s29, exec_lo
	s_delay_alu instid0(VALU_DEP_1)
	v_cmpx_gt_u32_e64 s20, v17
	s_cbranch_execz .LBB1195_143
; %bb.133:
	v_cmp_ne_u32_e32 vcc_lo, 1, v25
	s_mov_b32 s2, 0
	s_cbranch_vccnz .LBB1195_142
; %bb.134:
	v_mul_lo_u32 v21, v6, s22
	v_mul_lo_u32 v22, v5, s23
	v_mad_u64_u32 v[17:18], null, v5, s22, 0
	v_mul_lo_u32 v23, v12, s22
	v_mul_lo_u32 v24, v11, s23
	s_waitcnt lgkmcnt(0)
	v_mad_u64_u32 v[19:20], null, v11, s22, 0
	s_mov_b32 s2, -1
	s_mov_b32 s28, exec_lo
	s_delay_alu instid0(VALU_DEP_4) | instskip(NEXT) | instid1(VALU_DEP_2)
	v_add3_u32 v18, v18, v22, v21
	v_add3_u32 v20, v20, v24, v23
	s_delay_alu instid0(VALU_DEP_2) | instskip(NEXT) | instid1(VALU_DEP_2)
	v_lshlrev_b64 v[17:18], 1, v[17:18]
	v_lshlrev_b64 v[19:20], 1, v[19:20]
	s_delay_alu instid0(VALU_DEP_2) | instskip(NEXT) | instid1(VALU_DEP_3)
	v_add_co_u32 v17, vcc_lo, s8, v17
	v_add_co_ci_u32_e32 v18, vcc_lo, s9, v18, vcc_lo
	s_delay_alu instid0(VALU_DEP_3) | instskip(NEXT) | instid1(VALU_DEP_4)
	v_add_co_u32 v19, vcc_lo, s8, v19
	v_add_co_ci_u32_e32 v20, vcc_lo, s9, v20, vcc_lo
	s_clause 0x1
	global_load_u16 v21, v[17:18], off
	global_load_u16 v22, v[19:20], off
	s_waitcnt vmcnt(1)
	v_lshlrev_b32_e32 v21, 16, v21
	s_waitcnt vmcnt(0)
	v_lshlrev_b32_e32 v22, 16, v22
	s_delay_alu instid0(VALU_DEP_1)
	v_cmpx_eq_f32_e32 v22, v21
	s_cbranch_execz .LBB1195_141
; %bb.135:
	v_add_co_u32 v17, vcc_lo, v17, 2
	v_add_co_ci_u32_e32 v18, vcc_lo, 0, v18, vcc_lo
	v_add_co_u32 v19, vcc_lo, v19, 2
	v_add_co_ci_u32_e32 v20, vcc_lo, 0, v20, vcc_lo
	s_add_u32 s6, s22, -1
	s_addc_u32 s7, s23, -1
	s_mov_b64 s[18:19], 0
	s_mov_b32 s30, 0
                                        ; implicit-def: $sgpr31
	s_set_inst_prefetch_distance 0x1
	s_branch .LBB1195_138
	.p2align	6
.LBB1195_136:                           ;   in Loop: Header=BB1195_138 Depth=1
	global_load_u16 v21, v[17:18], off
	global_load_u16 v22, v[19:20], off
	v_add_co_u32 v17, vcc_lo, v17, 2
	v_add_co_ci_u32_e32 v18, vcc_lo, 0, v18, vcc_lo
	v_add_co_u32 v19, s2, v19, 2
	s_delay_alu instid0(VALU_DEP_1)
	v_add_co_ci_u32_e64 v20, s2, 0, v20, s2
	s_add_u32 s18, s18, 1
	s_addc_u32 s19, s19, 0
	s_and_not1_b32 s2, s31, exec_lo
	s_waitcnt vmcnt(1)
	v_lshlrev_b32_e32 v21, 16, v21
	s_waitcnt vmcnt(0)
	v_lshlrev_b32_e32 v22, 16, v22
	s_delay_alu instid0(VALU_DEP_1) | instskip(SKIP_1) | instid1(SALU_CYCLE_1)
	v_cmp_neq_f32_e32 vcc_lo, v22, v21
	s_and_b32 s31, vcc_lo, exec_lo
	s_or_b32 s31, s2, s31
.LBB1195_137:                           ;   in Loop: Header=BB1195_138 Depth=1
	v_dual_mov_b32 v22, s19 :: v_dual_mov_b32 v21, s18
	s_and_b32 s2, exec_lo, s31
	s_delay_alu instid0(SALU_CYCLE_1) | instskip(NEXT) | instid1(SALU_CYCLE_1)
	s_or_b32 s30, s2, s30
	s_and_not1_b32 exec_lo, exec_lo, s30
	s_cbranch_execz .LBB1195_140
.LBB1195_138:                           ; =>This Inner Loop Header: Depth=1
	s_or_b32 s31, s31, exec_lo
	s_cmp_eq_u64 s[6:7], s[18:19]
	s_cbranch_scc0 .LBB1195_136
; %bb.139:                              ;   in Loop: Header=BB1195_138 Depth=1
	s_mov_b64 s[18:19], s[22:23]
                                        ; implicit-def: $vgpr17_vgpr18
                                        ; implicit-def: $vgpr19_vgpr20
	s_branch .LBB1195_137
.LBB1195_140:
	s_set_inst_prefetch_distance 0x2
	s_or_b32 exec_lo, exec_lo, s30
	v_cmp_gt_i64_e32 vcc_lo, s[22:23], v[21:22]
	s_or_not1_b32 s2, vcc_lo, exec_lo
.LBB1195_141:
	s_or_b32 exec_lo, exec_lo, s28
.LBB1195_142:
	s_delay_alu instid0(SALU_CYCLE_1)
	s_and_b32 s28, s2, exec_lo
.LBB1195_143:
	s_or_b32 exec_lo, exec_lo, s29
	v_or_b32_e32 v17, 3, v39
	s_mov_b32 s30, 0
	s_mov_b32 s29, 0
	s_mov_b32 s31, exec_lo
	s_delay_alu instid0(VALU_DEP_1)
	v_cmpx_gt_u32_e64 s20, v17
	s_cbranch_execz .LBB1195_154
; %bb.144:
	v_cmp_ne_u32_e32 vcc_lo, 1, v25
	s_mov_b32 s2, 0
	s_cbranch_vccnz .LBB1195_153
; %bb.145:
	v_mul_lo_u32 v21, v12, s22
	v_mul_lo_u32 v22, v11, s23
	v_mad_u64_u32 v[17:18], null, v11, s22, 0
	v_mul_lo_u32 v23, v10, s22
	v_mul_lo_u32 v24, v9, s23
	s_waitcnt lgkmcnt(0)
	v_mad_u64_u32 v[19:20], null, v9, s22, 0
	s_mov_b32 s2, -1
	s_mov_b32 s29, exec_lo
	s_delay_alu instid0(VALU_DEP_4) | instskip(NEXT) | instid1(VALU_DEP_2)
	v_add3_u32 v18, v18, v22, v21
	v_add3_u32 v20, v20, v24, v23
	s_delay_alu instid0(VALU_DEP_2) | instskip(NEXT) | instid1(VALU_DEP_2)
	v_lshlrev_b64 v[17:18], 1, v[17:18]
	v_lshlrev_b64 v[19:20], 1, v[19:20]
	s_delay_alu instid0(VALU_DEP_2) | instskip(NEXT) | instid1(VALU_DEP_3)
	v_add_co_u32 v17, vcc_lo, s8, v17
	v_add_co_ci_u32_e32 v18, vcc_lo, s9, v18, vcc_lo
	s_delay_alu instid0(VALU_DEP_3) | instskip(NEXT) | instid1(VALU_DEP_4)
	v_add_co_u32 v19, vcc_lo, s8, v19
	v_add_co_ci_u32_e32 v20, vcc_lo, s9, v20, vcc_lo
	s_clause 0x1
	global_load_u16 v21, v[17:18], off
	global_load_u16 v22, v[19:20], off
	s_waitcnt vmcnt(1)
	v_lshlrev_b32_e32 v21, 16, v21
	s_waitcnt vmcnt(0)
	v_lshlrev_b32_e32 v22, 16, v22
	s_delay_alu instid0(VALU_DEP_1)
	v_cmpx_eq_f32_e32 v22, v21
	s_cbranch_execz .LBB1195_152
; %bb.146:
	v_add_co_u32 v17, vcc_lo, v17, 2
	v_add_co_ci_u32_e32 v18, vcc_lo, 0, v18, vcc_lo
	v_add_co_u32 v19, vcc_lo, v19, 2
	v_add_co_ci_u32_e32 v20, vcc_lo, 0, v20, vcc_lo
	s_add_u32 s6, s22, -1
	s_addc_u32 s7, s23, -1
	s_mov_b64 s[18:19], 0
	s_mov_b32 s33, 0
                                        ; implicit-def: $sgpr34
	s_set_inst_prefetch_distance 0x1
	s_branch .LBB1195_149
	.p2align	6
.LBB1195_147:                           ;   in Loop: Header=BB1195_149 Depth=1
	global_load_u16 v21, v[17:18], off
	global_load_u16 v22, v[19:20], off
	v_add_co_u32 v17, vcc_lo, v17, 2
	v_add_co_ci_u32_e32 v18, vcc_lo, 0, v18, vcc_lo
	v_add_co_u32 v19, s2, v19, 2
	s_delay_alu instid0(VALU_DEP_1)
	v_add_co_ci_u32_e64 v20, s2, 0, v20, s2
	s_add_u32 s18, s18, 1
	s_addc_u32 s19, s19, 0
	s_and_not1_b32 s2, s34, exec_lo
	s_waitcnt vmcnt(1)
	v_lshlrev_b32_e32 v21, 16, v21
	s_waitcnt vmcnt(0)
	v_lshlrev_b32_e32 v22, 16, v22
	s_delay_alu instid0(VALU_DEP_1) | instskip(SKIP_1) | instid1(SALU_CYCLE_1)
	v_cmp_neq_f32_e32 vcc_lo, v22, v21
	s_and_b32 s34, vcc_lo, exec_lo
	s_or_b32 s34, s2, s34
.LBB1195_148:                           ;   in Loop: Header=BB1195_149 Depth=1
	v_dual_mov_b32 v22, s19 :: v_dual_mov_b32 v21, s18
	s_and_b32 s2, exec_lo, s34
	s_delay_alu instid0(SALU_CYCLE_1) | instskip(NEXT) | instid1(SALU_CYCLE_1)
	s_or_b32 s33, s2, s33
	s_and_not1_b32 exec_lo, exec_lo, s33
	s_cbranch_execz .LBB1195_151
.LBB1195_149:                           ; =>This Inner Loop Header: Depth=1
	s_or_b32 s34, s34, exec_lo
	s_cmp_eq_u64 s[6:7], s[18:19]
	s_cbranch_scc0 .LBB1195_147
; %bb.150:                              ;   in Loop: Header=BB1195_149 Depth=1
	s_mov_b64 s[18:19], s[22:23]
                                        ; implicit-def: $vgpr17_vgpr18
                                        ; implicit-def: $vgpr19_vgpr20
	s_branch .LBB1195_148
.LBB1195_151:
	s_set_inst_prefetch_distance 0x2
	s_or_b32 exec_lo, exec_lo, s33
	v_cmp_gt_i64_e32 vcc_lo, s[22:23], v[21:22]
	s_or_not1_b32 s2, vcc_lo, exec_lo
.LBB1195_152:
	s_or_b32 exec_lo, exec_lo, s29
.LBB1195_153:
	s_delay_alu instid0(SALU_CYCLE_1)
	s_and_b32 s29, s2, exec_lo
.LBB1195_154:
	s_or_b32 exec_lo, exec_lo, s31
	v_or_b32_e32 v17, 2, v39
	s_mov_b32 s31, exec_lo
	s_delay_alu instid0(VALU_DEP_1)
	v_cmpx_gt_u32_e64 s20, v17
	s_cbranch_execz .LBB1195_165
; %bb.155:
	v_cmp_ne_u32_e32 vcc_lo, 1, v25
	s_mov_b32 s2, 0
	s_cbranch_vccnz .LBB1195_164
; %bb.156:
	v_mul_lo_u32 v21, v10, s22
	v_mul_lo_u32 v22, v9, s23
	v_mad_u64_u32 v[17:18], null, v9, s22, 0
	v_mul_lo_u32 v23, v16, s22
	v_mul_lo_u32 v24, v15, s23
	s_waitcnt lgkmcnt(0)
	v_mad_u64_u32 v[19:20], null, v15, s22, 0
	s_mov_b32 s2, -1
	s_mov_b32 s30, exec_lo
	s_delay_alu instid0(VALU_DEP_4) | instskip(NEXT) | instid1(VALU_DEP_2)
	v_add3_u32 v18, v18, v22, v21
	v_add3_u32 v20, v20, v24, v23
	s_delay_alu instid0(VALU_DEP_2) | instskip(NEXT) | instid1(VALU_DEP_2)
	v_lshlrev_b64 v[17:18], 1, v[17:18]
	v_lshlrev_b64 v[19:20], 1, v[19:20]
	s_delay_alu instid0(VALU_DEP_2) | instskip(NEXT) | instid1(VALU_DEP_3)
	v_add_co_u32 v17, vcc_lo, s8, v17
	v_add_co_ci_u32_e32 v18, vcc_lo, s9, v18, vcc_lo
	s_delay_alu instid0(VALU_DEP_3) | instskip(NEXT) | instid1(VALU_DEP_4)
	v_add_co_u32 v19, vcc_lo, s8, v19
	v_add_co_ci_u32_e32 v20, vcc_lo, s9, v20, vcc_lo
	s_clause 0x1
	global_load_u16 v21, v[17:18], off
	global_load_u16 v22, v[19:20], off
	s_waitcnt vmcnt(1)
	v_lshlrev_b32_e32 v21, 16, v21
	s_waitcnt vmcnt(0)
	v_lshlrev_b32_e32 v22, 16, v22
	s_delay_alu instid0(VALU_DEP_1)
	v_cmpx_eq_f32_e32 v22, v21
	s_cbranch_execz .LBB1195_163
; %bb.157:
	v_add_co_u32 v17, vcc_lo, v17, 2
	v_add_co_ci_u32_e32 v18, vcc_lo, 0, v18, vcc_lo
	v_add_co_u32 v19, vcc_lo, v19, 2
	v_add_co_ci_u32_e32 v20, vcc_lo, 0, v20, vcc_lo
	s_add_u32 s6, s22, -1
	s_addc_u32 s7, s23, -1
	s_mov_b64 s[18:19], 0
	s_mov_b32 s33, 0
                                        ; implicit-def: $sgpr34
	s_set_inst_prefetch_distance 0x1
	s_branch .LBB1195_160
	.p2align	6
.LBB1195_158:                           ;   in Loop: Header=BB1195_160 Depth=1
	global_load_u16 v21, v[17:18], off
	global_load_u16 v22, v[19:20], off
	v_add_co_u32 v17, vcc_lo, v17, 2
	v_add_co_ci_u32_e32 v18, vcc_lo, 0, v18, vcc_lo
	v_add_co_u32 v19, s2, v19, 2
	s_delay_alu instid0(VALU_DEP_1)
	v_add_co_ci_u32_e64 v20, s2, 0, v20, s2
	s_add_u32 s18, s18, 1
	s_addc_u32 s19, s19, 0
	s_and_not1_b32 s2, s34, exec_lo
	s_waitcnt vmcnt(1)
	v_lshlrev_b32_e32 v21, 16, v21
	s_waitcnt vmcnt(0)
	v_lshlrev_b32_e32 v22, 16, v22
	s_delay_alu instid0(VALU_DEP_1) | instskip(SKIP_1) | instid1(SALU_CYCLE_1)
	v_cmp_neq_f32_e32 vcc_lo, v22, v21
	s_and_b32 s34, vcc_lo, exec_lo
	s_or_b32 s34, s2, s34
.LBB1195_159:                           ;   in Loop: Header=BB1195_160 Depth=1
	v_dual_mov_b32 v22, s19 :: v_dual_mov_b32 v21, s18
	s_and_b32 s2, exec_lo, s34
	s_delay_alu instid0(SALU_CYCLE_1) | instskip(NEXT) | instid1(SALU_CYCLE_1)
	s_or_b32 s33, s2, s33
	s_and_not1_b32 exec_lo, exec_lo, s33
	s_cbranch_execz .LBB1195_162
.LBB1195_160:                           ; =>This Inner Loop Header: Depth=1
	s_or_b32 s34, s34, exec_lo
	s_cmp_eq_u64 s[6:7], s[18:19]
	s_cbranch_scc0 .LBB1195_158
; %bb.161:                              ;   in Loop: Header=BB1195_160 Depth=1
	s_mov_b64 s[18:19], s[22:23]
                                        ; implicit-def: $vgpr17_vgpr18
                                        ; implicit-def: $vgpr19_vgpr20
	s_branch .LBB1195_159
.LBB1195_162:
	s_set_inst_prefetch_distance 0x2
	s_or_b32 exec_lo, exec_lo, s33
	v_cmp_gt_i64_e32 vcc_lo, s[22:23], v[21:22]
	s_or_not1_b32 s2, vcc_lo, exec_lo
.LBB1195_163:
	s_or_b32 exec_lo, exec_lo, s30
.LBB1195_164:
	s_delay_alu instid0(SALU_CYCLE_1)
	s_and_b32 s30, s2, exec_lo
.LBB1195_165:
	s_or_b32 exec_lo, exec_lo, s31
	v_or_b32_e32 v17, 1, v39
	s_mov_b32 s2, 0
	s_mov_b32 s31, exec_lo
	s_delay_alu instid0(VALU_DEP_1)
	v_cmpx_gt_u32_e64 s20, v17
	s_cbranch_execz .LBB1195_176
; %bb.166:
	v_cmp_ne_u32_e32 vcc_lo, 1, v25
	s_cbranch_vccnz .LBB1195_175
; %bb.167:
	v_mul_lo_u32 v21, v16, s22
	v_mul_lo_u32 v22, v15, s23
	v_mad_u64_u32 v[17:18], null, v15, s22, 0
	v_mul_lo_u32 v23, v14, s22
	v_mul_lo_u32 v24, v13, s23
	s_waitcnt lgkmcnt(0)
	v_mad_u64_u32 v[19:20], null, v13, s22, 0
	s_mov_b32 s2, -1
	s_mov_b32 s33, exec_lo
	s_delay_alu instid0(VALU_DEP_4) | instskip(NEXT) | instid1(VALU_DEP_2)
	v_add3_u32 v18, v18, v22, v21
	v_add3_u32 v20, v20, v24, v23
	s_delay_alu instid0(VALU_DEP_2) | instskip(NEXT) | instid1(VALU_DEP_2)
	v_lshlrev_b64 v[17:18], 1, v[17:18]
	v_lshlrev_b64 v[19:20], 1, v[19:20]
	s_delay_alu instid0(VALU_DEP_2) | instskip(NEXT) | instid1(VALU_DEP_3)
	v_add_co_u32 v17, vcc_lo, s8, v17
	v_add_co_ci_u32_e32 v18, vcc_lo, s9, v18, vcc_lo
	s_delay_alu instid0(VALU_DEP_3) | instskip(NEXT) | instid1(VALU_DEP_4)
	v_add_co_u32 v19, vcc_lo, s8, v19
	v_add_co_ci_u32_e32 v20, vcc_lo, s9, v20, vcc_lo
	s_clause 0x1
	global_load_u16 v21, v[17:18], off
	global_load_u16 v22, v[19:20], off
	s_waitcnt vmcnt(1)
	v_lshlrev_b32_e32 v21, 16, v21
	s_waitcnt vmcnt(0)
	v_lshlrev_b32_e32 v22, 16, v22
	s_delay_alu instid0(VALU_DEP_1)
	v_cmpx_eq_f32_e32 v22, v21
	s_cbranch_execz .LBB1195_174
; %bb.168:
	v_add_co_u32 v17, vcc_lo, v17, 2
	v_add_co_ci_u32_e32 v18, vcc_lo, 0, v18, vcc_lo
	v_add_co_u32 v19, vcc_lo, v19, 2
	v_add_co_ci_u32_e32 v20, vcc_lo, 0, v20, vcc_lo
	s_add_u32 s6, s22, -1
	s_addc_u32 s7, s23, -1
	s_mov_b64 s[18:19], 0
	s_mov_b32 s34, 0
                                        ; implicit-def: $sgpr35
	s_set_inst_prefetch_distance 0x1
	s_branch .LBB1195_171
	.p2align	6
.LBB1195_169:                           ;   in Loop: Header=BB1195_171 Depth=1
	global_load_u16 v21, v[17:18], off
	global_load_u16 v22, v[19:20], off
	v_add_co_u32 v17, vcc_lo, v17, 2
	v_add_co_ci_u32_e32 v18, vcc_lo, 0, v18, vcc_lo
	v_add_co_u32 v19, s2, v19, 2
	s_delay_alu instid0(VALU_DEP_1)
	v_add_co_ci_u32_e64 v20, s2, 0, v20, s2
	s_add_u32 s18, s18, 1
	s_addc_u32 s19, s19, 0
	s_and_not1_b32 s2, s35, exec_lo
	s_waitcnt vmcnt(1)
	v_lshlrev_b32_e32 v21, 16, v21
	s_waitcnt vmcnt(0)
	v_lshlrev_b32_e32 v22, 16, v22
	s_delay_alu instid0(VALU_DEP_1) | instskip(SKIP_1) | instid1(SALU_CYCLE_1)
	v_cmp_neq_f32_e32 vcc_lo, v22, v21
	s_and_b32 s35, vcc_lo, exec_lo
	s_or_b32 s35, s2, s35
.LBB1195_170:                           ;   in Loop: Header=BB1195_171 Depth=1
	v_dual_mov_b32 v22, s19 :: v_dual_mov_b32 v21, s18
	s_and_b32 s2, exec_lo, s35
	s_delay_alu instid0(SALU_CYCLE_1) | instskip(NEXT) | instid1(SALU_CYCLE_1)
	s_or_b32 s34, s2, s34
	s_and_not1_b32 exec_lo, exec_lo, s34
	s_cbranch_execz .LBB1195_173
.LBB1195_171:                           ; =>This Inner Loop Header: Depth=1
	s_or_b32 s35, s35, exec_lo
	s_cmp_eq_u64 s[6:7], s[18:19]
	s_cbranch_scc0 .LBB1195_169
; %bb.172:                              ;   in Loop: Header=BB1195_171 Depth=1
	s_mov_b64 s[18:19], s[22:23]
                                        ; implicit-def: $vgpr17_vgpr18
                                        ; implicit-def: $vgpr19_vgpr20
	s_branch .LBB1195_170
.LBB1195_173:
	s_set_inst_prefetch_distance 0x2
	s_or_b32 exec_lo, exec_lo, s34
	v_cmp_gt_i64_e32 vcc_lo, s[22:23], v[21:22]
	s_or_not1_b32 s2, vcc_lo, exec_lo
.LBB1195_174:
	s_or_b32 exec_lo, exec_lo, s33
.LBB1195_175:
	s_delay_alu instid0(SALU_CYCLE_1)
	s_and_b32 s2, s2, exec_lo
.LBB1195_176:
	s_or_b32 exec_lo, exec_lo, s31
	s_waitcnt lgkmcnt(0)
	v_dual_mov_b32 v18, s5 :: v_dual_mov_b32 v17, s4
	s_mov_b32 s4, exec_lo
	s_barrier
	buffer_gl0_inv
	v_cmpx_ne_u32_e32 0, v0
	s_cbranch_execz .LBB1195_178
; %bb.177:
	v_add_nc_u32_e32 v17, -8, v39
	ds_load_b64 v[17:18], v17
.LBB1195_178:
	s_or_b32 exec_lo, exec_lo, s4
	v_cndmask_b32_e64 v20, 0, 1, s29
	v_cndmask_b32_e64 v22, 0, 1, s26
	;; [unrolled: 1-line block ×7, first 2 shown]
	v_lshlrev_b16 v20, 8, v20
	v_lshlrev_b16 v22, 8, v22
	;; [unrolled: 1-line block ×3, first 2 shown]
	s_mov_b32 s2, 0
	v_lshlrev_b16 v26, 8, v26
	v_or_b32_e32 v19, v19, v20
	v_or_b32_e32 v20, v21, v22
	;; [unrolled: 1-line block ×3, first 2 shown]
	s_mov_b32 s3, exec_lo
	v_and_b32_e32 v23, 0xffff, v26
	v_lshlrev_b32_e32 v24, 16, v19
	v_and_b32_e32 v26, 0xffff, v20
	v_lshlrev_b32_e32 v27, 16, v21
	v_cmpx_gt_u32_e64 s20, v39
	s_cbranch_execz .LBB1195_189
; %bb.179:
	v_cmp_ne_u32_e32 vcc_lo, 1, v25
	s_cbranch_vccnz .LBB1195_188
; %bb.180:
	v_mul_lo_u32 v25, v14, s22
	v_mul_lo_u32 v28, v13, s23
	v_mad_u64_u32 v[19:20], null, v13, s22, 0
	s_waitcnt lgkmcnt(0)
	v_mul_lo_u32 v18, v18, s22
	v_mul_lo_u32 v29, v17, s23
	v_mad_u64_u32 v[21:22], null, v17, s22, 0
	s_mov_b32 s2, -1
	s_mov_b32 s18, exec_lo
	s_delay_alu instid0(VALU_DEP_4) | instskip(NEXT) | instid1(VALU_DEP_2)
	v_add3_u32 v20, v20, v28, v25
	v_add3_u32 v22, v22, v29, v18
	s_delay_alu instid0(VALU_DEP_2) | instskip(NEXT) | instid1(VALU_DEP_2)
	v_lshlrev_b64 v[17:18], 1, v[19:20]
	v_lshlrev_b64 v[19:20], 1, v[21:22]
	s_delay_alu instid0(VALU_DEP_2) | instskip(NEXT) | instid1(VALU_DEP_3)
	v_add_co_u32 v17, vcc_lo, s8, v17
	v_add_co_ci_u32_e32 v18, vcc_lo, s9, v18, vcc_lo
	s_delay_alu instid0(VALU_DEP_3) | instskip(NEXT) | instid1(VALU_DEP_4)
	v_add_co_u32 v19, vcc_lo, s8, v19
	v_add_co_ci_u32_e32 v20, vcc_lo, s9, v20, vcc_lo
	s_clause 0x1
	global_load_u16 v21, v[17:18], off
	global_load_u16 v22, v[19:20], off
	s_waitcnt vmcnt(1)
	v_lshlrev_b32_e32 v21, 16, v21
	s_waitcnt vmcnt(0)
	v_lshlrev_b32_e32 v22, 16, v22
	s_delay_alu instid0(VALU_DEP_1)
	v_cmpx_eq_f32_e32 v22, v21
	s_cbranch_execz .LBB1195_187
; %bb.181:
	v_add_co_u32 v17, vcc_lo, v17, 2
	v_add_co_ci_u32_e32 v18, vcc_lo, 0, v18, vcc_lo
	v_add_co_u32 v19, vcc_lo, v19, 2
	v_add_co_ci_u32_e32 v20, vcc_lo, 0, v20, vcc_lo
	s_add_u32 s4, s22, -1
	s_addc_u32 s5, s23, -1
	s_mov_b64 s[6:7], 0
	s_mov_b32 s19, 0
                                        ; implicit-def: $sgpr26
	s_set_inst_prefetch_distance 0x1
	s_branch .LBB1195_184
	.p2align	6
.LBB1195_182:                           ;   in Loop: Header=BB1195_184 Depth=1
	global_load_u16 v21, v[17:18], off
	global_load_u16 v22, v[19:20], off
	v_add_co_u32 v17, vcc_lo, v17, 2
	v_add_co_ci_u32_e32 v18, vcc_lo, 0, v18, vcc_lo
	v_add_co_u32 v19, s2, v19, 2
	s_delay_alu instid0(VALU_DEP_1)
	v_add_co_ci_u32_e64 v20, s2, 0, v20, s2
	s_add_u32 s6, s6, 1
	s_addc_u32 s7, s7, 0
	s_and_not1_b32 s2, s26, exec_lo
	s_waitcnt vmcnt(1)
	v_lshlrev_b32_e32 v21, 16, v21
	s_waitcnt vmcnt(0)
	v_lshlrev_b32_e32 v22, 16, v22
	s_delay_alu instid0(VALU_DEP_1) | instskip(SKIP_1) | instid1(SALU_CYCLE_1)
	v_cmp_neq_f32_e32 vcc_lo, v22, v21
	s_and_b32 s26, vcc_lo, exec_lo
	s_or_b32 s26, s2, s26
.LBB1195_183:                           ;   in Loop: Header=BB1195_184 Depth=1
	v_dual_mov_b32 v22, s7 :: v_dual_mov_b32 v21, s6
	s_and_b32 s2, exec_lo, s26
	s_delay_alu instid0(SALU_CYCLE_1) | instskip(NEXT) | instid1(SALU_CYCLE_1)
	s_or_b32 s19, s2, s19
	s_and_not1_b32 exec_lo, exec_lo, s19
	s_cbranch_execz .LBB1195_186
.LBB1195_184:                           ; =>This Inner Loop Header: Depth=1
	s_or_b32 s26, s26, exec_lo
	s_cmp_eq_u64 s[4:5], s[6:7]
	s_cbranch_scc0 .LBB1195_182
; %bb.185:                              ;   in Loop: Header=BB1195_184 Depth=1
	s_mov_b64 s[6:7], s[22:23]
                                        ; implicit-def: $vgpr17_vgpr18
                                        ; implicit-def: $vgpr19_vgpr20
	s_branch .LBB1195_183
.LBB1195_186:
	s_set_inst_prefetch_distance 0x2
	s_or_b32 exec_lo, exec_lo, s19
	v_cmp_gt_i64_e32 vcc_lo, s[22:23], v[21:22]
	s_or_not1_b32 s2, vcc_lo, exec_lo
.LBB1195_187:
	s_or_b32 exec_lo, exec_lo, s18
.LBB1195_188:
	s_delay_alu instid0(SALU_CYCLE_1)
	s_and_b32 s2, s2, exec_lo
.LBB1195_189:
	s_or_b32 exec_lo, exec_lo, s3
	s_waitcnt lgkmcnt(0)
	v_or_b32_e32 v17, v23, v24
	v_or_b32_e32 v18, v26, v27
.LBB1195_190:
	s_mov_b32 s18, -1
	s_cbranch_execnz .LBB1195_359
.LBB1195_191:
	v_cmp_gt_i64_e64 s3, s[22:23], 0
	s_and_b32 vcc_lo, exec_lo, s21
	ds_store_b64 v39, v[3:4]
	s_cbranch_vccz .LBB1195_199
; %bb.192:
	s_waitcnt lgkmcnt(0)
	v_mul_lo_u32 v19, v2, s22
	v_mul_lo_u32 v20, v1, s23
	v_mad_u64_u32 v[17:18], null, v1, s22, 0
	s_mov_b32 s19, 0
	s_and_not1_b32 vcc_lo, exec_lo, s3
	s_mov_b32 s26, 0
	s_delay_alu instid0(VALU_DEP_1) | instskip(NEXT) | instid1(VALU_DEP_1)
	v_add3_u32 v18, v18, v20, v19
	v_lshlrev_b64 v[17:18], 1, v[17:18]
	s_cbranch_vccnz .LBB1195_202
; %bb.193:
	v_mul_lo_u32 v21, v4, s22
	v_mul_lo_u32 v22, v3, s23
	v_mad_u64_u32 v[19:20], null, v3, s22, 0
	s_mov_b32 s26, -1
	s_mov_b32 s27, exec_lo
	s_delay_alu instid0(VALU_DEP_1) | instskip(NEXT) | instid1(VALU_DEP_1)
	v_add3_u32 v20, v20, v22, v21
	v_lshlrev_b64 v[19:20], 1, v[19:20]
	s_delay_alu instid0(VALU_DEP_1) | instskip(NEXT) | instid1(VALU_DEP_2)
	v_add_co_u32 v19, vcc_lo, s8, v19
	v_add_co_ci_u32_e32 v20, vcc_lo, s9, v20, vcc_lo
	v_add_co_u32 v21, vcc_lo, s8, v17
	v_add_co_ci_u32_e32 v22, vcc_lo, s9, v18, vcc_lo
	s_clause 0x1
	global_load_u16 v23, v[19:20], off
	global_load_u16 v24, v[21:22], off
	s_waitcnt vmcnt(1)
	v_lshlrev_b32_e32 v23, 16, v23
	s_waitcnt vmcnt(0)
	v_lshlrev_b32_e32 v24, 16, v24
	s_delay_alu instid0(VALU_DEP_1)
	v_cmpx_eq_f32_e32 v24, v23
	s_cbranch_execz .LBB1195_201
; %bb.194:
	v_add_co_u32 v19, vcc_lo, v19, 2
	v_add_co_ci_u32_e32 v20, vcc_lo, 0, v20, vcc_lo
	v_add_co_u32 v21, vcc_lo, v21, 2
	v_add_co_ci_u32_e32 v22, vcc_lo, 0, v22, vcc_lo
	s_add_u32 s4, s22, -1
	s_addc_u32 s5, s23, -1
	s_mov_b64 s[6:7], 0
	s_mov_b32 s26, 0
                                        ; implicit-def: $sgpr28
	s_set_inst_prefetch_distance 0x1
	s_branch .LBB1195_197
	.p2align	6
.LBB1195_195:                           ;   in Loop: Header=BB1195_197 Depth=1
	global_load_u16 v23, v[19:20], off
	global_load_u16 v24, v[21:22], off
	v_add_co_u32 v19, vcc_lo, v19, 2
	v_add_co_ci_u32_e32 v20, vcc_lo, 0, v20, vcc_lo
	v_add_co_u32 v21, s2, v21, 2
	s_delay_alu instid0(VALU_DEP_1)
	v_add_co_ci_u32_e64 v22, s2, 0, v22, s2
	s_add_u32 s6, s6, 1
	s_addc_u32 s7, s7, 0
	s_and_not1_b32 s2, s28, exec_lo
	s_waitcnt vmcnt(1)
	v_lshlrev_b32_e32 v23, 16, v23
	s_waitcnt vmcnt(0)
	v_lshlrev_b32_e32 v24, 16, v24
	s_delay_alu instid0(VALU_DEP_1) | instskip(SKIP_1) | instid1(SALU_CYCLE_1)
	v_cmp_neq_f32_e32 vcc_lo, v24, v23
	s_and_b32 s28, vcc_lo, exec_lo
	s_or_b32 s28, s2, s28
.LBB1195_196:                           ;   in Loop: Header=BB1195_197 Depth=1
	v_dual_mov_b32 v24, s7 :: v_dual_mov_b32 v23, s6
	s_and_b32 s2, exec_lo, s28
	s_delay_alu instid0(SALU_CYCLE_1) | instskip(NEXT) | instid1(SALU_CYCLE_1)
	s_or_b32 s26, s2, s26
	s_and_not1_b32 exec_lo, exec_lo, s26
	s_cbranch_execz .LBB1195_200
.LBB1195_197:                           ; =>This Inner Loop Header: Depth=1
	s_or_b32 s28, s28, exec_lo
	s_cmp_eq_u64 s[4:5], s[6:7]
	s_cbranch_scc0 .LBB1195_195
; %bb.198:                              ;   in Loop: Header=BB1195_197 Depth=1
	s_mov_b64 s[6:7], s[22:23]
                                        ; implicit-def: $vgpr19_vgpr20
                                        ; implicit-def: $vgpr21_vgpr22
	s_branch .LBB1195_196
.LBB1195_199:
	s_waitcnt lgkmcnt(0)
                                        ; implicit-def: $sgpr2
                                        ; implicit-def: $vgpr18
	s_cbranch_execnz .LBB1195_268
	s_branch .LBB1195_359
.LBB1195_200:
	s_set_inst_prefetch_distance 0x2
	s_or_b32 exec_lo, exec_lo, s26
	v_cmp_gt_i64_e32 vcc_lo, s[22:23], v[23:24]
	s_or_not1_b32 s26, vcc_lo, exec_lo
.LBB1195_201:
	s_or_b32 exec_lo, exec_lo, s27
.LBB1195_202:
	v_mul_lo_u32 v21, v8, s22
	v_mul_lo_u32 v22, v7, s23
	v_mad_u64_u32 v[19:20], null, v7, s22, 0
	s_and_not1_b32 vcc_lo, exec_lo, s3
	s_delay_alu instid0(VALU_DEP_1) | instskip(NEXT) | instid1(VALU_DEP_1)
	v_add3_u32 v20, v20, v22, v21
	v_lshlrev_b64 v[19:20], 1, v[19:20]
	s_cbranch_vccnz .LBB1195_211
; %bb.203:
	v_add_co_u32 v17, vcc_lo, s8, v17
	v_add_co_ci_u32_e32 v18, vcc_lo, s9, v18, vcc_lo
	s_delay_alu instid0(VALU_DEP_3) | instskip(NEXT) | instid1(VALU_DEP_4)
	v_add_co_u32 v21, vcc_lo, s8, v19
	v_add_co_ci_u32_e32 v22, vcc_lo, s9, v20, vcc_lo
	s_mov_b32 s19, -1
	s_clause 0x1
	global_load_u16 v23, v[17:18], off
	global_load_u16 v24, v[21:22], off
	s_mov_b32 s27, exec_lo
	s_waitcnt vmcnt(1)
	v_lshlrev_b32_e32 v23, 16, v23
	s_waitcnt vmcnt(0)
	v_lshlrev_b32_e32 v24, 16, v24
	s_delay_alu instid0(VALU_DEP_1)
	v_cmpx_eq_f32_e32 v24, v23
	s_cbranch_execz .LBB1195_210
; %bb.204:
	v_add_co_u32 v17, vcc_lo, v17, 2
	v_add_co_ci_u32_e32 v18, vcc_lo, 0, v18, vcc_lo
	v_add_co_u32 v21, vcc_lo, v21, 2
	v_add_co_ci_u32_e32 v22, vcc_lo, 0, v22, vcc_lo
	s_add_u32 s4, s22, -1
	s_addc_u32 s5, s23, -1
	s_mov_b64 s[6:7], 0
	s_mov_b32 s19, 0
                                        ; implicit-def: $sgpr28
	s_set_inst_prefetch_distance 0x1
	s_branch .LBB1195_207
	.p2align	6
.LBB1195_205:                           ;   in Loop: Header=BB1195_207 Depth=1
	global_load_u16 v23, v[17:18], off
	global_load_u16 v24, v[21:22], off
	v_add_co_u32 v17, vcc_lo, v17, 2
	v_add_co_ci_u32_e32 v18, vcc_lo, 0, v18, vcc_lo
	v_add_co_u32 v21, s2, v21, 2
	s_delay_alu instid0(VALU_DEP_1)
	v_add_co_ci_u32_e64 v22, s2, 0, v22, s2
	s_add_u32 s6, s6, 1
	s_addc_u32 s7, s7, 0
	s_and_not1_b32 s2, s28, exec_lo
	s_waitcnt vmcnt(1)
	v_lshlrev_b32_e32 v23, 16, v23
	s_waitcnt vmcnt(0)
	v_lshlrev_b32_e32 v24, 16, v24
	s_delay_alu instid0(VALU_DEP_1) | instskip(SKIP_1) | instid1(SALU_CYCLE_1)
	v_cmp_neq_f32_e32 vcc_lo, v24, v23
	s_and_b32 s28, vcc_lo, exec_lo
	s_or_b32 s28, s2, s28
.LBB1195_206:                           ;   in Loop: Header=BB1195_207 Depth=1
	v_dual_mov_b32 v24, s7 :: v_dual_mov_b32 v23, s6
	s_and_b32 s2, exec_lo, s28
	s_delay_alu instid0(SALU_CYCLE_1) | instskip(NEXT) | instid1(SALU_CYCLE_1)
	s_or_b32 s19, s2, s19
	s_and_not1_b32 exec_lo, exec_lo, s19
	s_cbranch_execz .LBB1195_209
.LBB1195_207:                           ; =>This Inner Loop Header: Depth=1
	s_or_b32 s28, s28, exec_lo
	s_cmp_eq_u64 s[4:5], s[6:7]
	s_cbranch_scc0 .LBB1195_205
; %bb.208:                              ;   in Loop: Header=BB1195_207 Depth=1
	s_mov_b64 s[6:7], s[22:23]
                                        ; implicit-def: $vgpr17_vgpr18
                                        ; implicit-def: $vgpr21_vgpr22
	s_branch .LBB1195_206
.LBB1195_209:
	s_set_inst_prefetch_distance 0x2
	s_or_b32 exec_lo, exec_lo, s19
	v_cmp_gt_i64_e32 vcc_lo, s[22:23], v[23:24]
	s_or_not1_b32 s19, vcc_lo, exec_lo
.LBB1195_210:
	s_or_b32 exec_lo, exec_lo, s27
.LBB1195_211:
	v_mul_lo_u32 v21, v6, s22
	v_mul_lo_u32 v22, v5, s23
	v_mad_u64_u32 v[17:18], null, v5, s22, 0
	s_mov_b32 s27, 0
	s_and_not1_b32 vcc_lo, exec_lo, s3
	s_mov_b32 s28, 0
	s_delay_alu instid0(VALU_DEP_1) | instskip(NEXT) | instid1(VALU_DEP_1)
	v_add3_u32 v18, v18, v22, v21
	v_lshlrev_b64 v[21:22], 1, v[17:18]
	s_cbranch_vccnz .LBB1195_220
; %bb.212:
	v_add_co_u32 v17, vcc_lo, s8, v19
	v_add_co_ci_u32_e32 v18, vcc_lo, s9, v20, vcc_lo
	s_delay_alu instid0(VALU_DEP_3) | instskip(NEXT) | instid1(VALU_DEP_4)
	v_add_co_u32 v19, vcc_lo, s8, v21
	v_add_co_ci_u32_e32 v20, vcc_lo, s9, v22, vcc_lo
	s_mov_b32 s28, -1
	s_clause 0x1
	global_load_u16 v23, v[17:18], off
	global_load_u16 v24, v[19:20], off
	s_mov_b32 s29, exec_lo
	s_waitcnt vmcnt(1)
	v_lshlrev_b32_e32 v23, 16, v23
	s_waitcnt vmcnt(0)
	v_lshlrev_b32_e32 v24, 16, v24
	s_delay_alu instid0(VALU_DEP_1)
	v_cmpx_eq_f32_e32 v24, v23
	s_cbranch_execz .LBB1195_219
; %bb.213:
	v_add_co_u32 v17, vcc_lo, v17, 2
	v_add_co_ci_u32_e32 v18, vcc_lo, 0, v18, vcc_lo
	v_add_co_u32 v19, vcc_lo, v19, 2
	v_add_co_ci_u32_e32 v20, vcc_lo, 0, v20, vcc_lo
	s_add_u32 s4, s22, -1
	s_addc_u32 s5, s23, -1
	s_mov_b64 s[6:7], 0
	s_mov_b32 s28, 0
                                        ; implicit-def: $sgpr30
	s_set_inst_prefetch_distance 0x1
	s_branch .LBB1195_216
	.p2align	6
.LBB1195_214:                           ;   in Loop: Header=BB1195_216 Depth=1
	global_load_u16 v23, v[17:18], off
	global_load_u16 v24, v[19:20], off
	v_add_co_u32 v17, vcc_lo, v17, 2
	v_add_co_ci_u32_e32 v18, vcc_lo, 0, v18, vcc_lo
	v_add_co_u32 v19, s2, v19, 2
	s_delay_alu instid0(VALU_DEP_1)
	v_add_co_ci_u32_e64 v20, s2, 0, v20, s2
	s_add_u32 s6, s6, 1
	s_addc_u32 s7, s7, 0
	s_and_not1_b32 s2, s30, exec_lo
	s_waitcnt vmcnt(1)
	v_lshlrev_b32_e32 v23, 16, v23
	s_waitcnt vmcnt(0)
	v_lshlrev_b32_e32 v24, 16, v24
	s_delay_alu instid0(VALU_DEP_1) | instskip(SKIP_1) | instid1(SALU_CYCLE_1)
	v_cmp_neq_f32_e32 vcc_lo, v24, v23
	s_and_b32 s30, vcc_lo, exec_lo
	s_or_b32 s30, s2, s30
.LBB1195_215:                           ;   in Loop: Header=BB1195_216 Depth=1
	v_dual_mov_b32 v24, s7 :: v_dual_mov_b32 v23, s6
	s_and_b32 s2, exec_lo, s30
	s_delay_alu instid0(SALU_CYCLE_1) | instskip(NEXT) | instid1(SALU_CYCLE_1)
	s_or_b32 s28, s2, s28
	s_and_not1_b32 exec_lo, exec_lo, s28
	s_cbranch_execz .LBB1195_218
.LBB1195_216:                           ; =>This Inner Loop Header: Depth=1
	s_or_b32 s30, s30, exec_lo
	s_cmp_eq_u64 s[4:5], s[6:7]
	s_cbranch_scc0 .LBB1195_214
; %bb.217:                              ;   in Loop: Header=BB1195_216 Depth=1
	s_mov_b64 s[6:7], s[22:23]
                                        ; implicit-def: $vgpr17_vgpr18
                                        ; implicit-def: $vgpr19_vgpr20
	s_branch .LBB1195_215
.LBB1195_218:
	s_set_inst_prefetch_distance 0x2
	s_or_b32 exec_lo, exec_lo, s28
	v_cmp_gt_i64_e32 vcc_lo, s[22:23], v[23:24]
	s_or_not1_b32 s28, vcc_lo, exec_lo
.LBB1195_219:
	s_or_b32 exec_lo, exec_lo, s29
.LBB1195_220:
	v_mul_lo_u32 v19, v12, s22
	v_mul_lo_u32 v20, v11, s23
	v_mad_u64_u32 v[17:18], null, v11, s22, 0
	s_and_not1_b32 vcc_lo, exec_lo, s3
	s_delay_alu instid0(VALU_DEP_1) | instskip(NEXT) | instid1(VALU_DEP_1)
	v_add3_u32 v18, v18, v20, v19
	v_lshlrev_b64 v[17:18], 1, v[17:18]
	s_cbranch_vccnz .LBB1195_229
; %bb.221:
	v_add_co_u32 v19, vcc_lo, s8, v21
	v_add_co_ci_u32_e32 v20, vcc_lo, s9, v22, vcc_lo
	s_delay_alu instid0(VALU_DEP_3) | instskip(NEXT) | instid1(VALU_DEP_4)
	v_add_co_u32 v21, vcc_lo, s8, v17
	v_add_co_ci_u32_e32 v22, vcc_lo, s9, v18, vcc_lo
	s_mov_b32 s27, -1
	s_clause 0x1
	global_load_u16 v23, v[19:20], off
	global_load_u16 v24, v[21:22], off
	s_mov_b32 s29, exec_lo
	s_waitcnt vmcnt(1)
	v_lshlrev_b32_e32 v23, 16, v23
	s_waitcnt vmcnt(0)
	v_lshlrev_b32_e32 v24, 16, v24
	s_delay_alu instid0(VALU_DEP_1)
	v_cmpx_eq_f32_e32 v24, v23
	s_cbranch_execz .LBB1195_228
; %bb.222:
	v_add_co_u32 v19, vcc_lo, v19, 2
	v_add_co_ci_u32_e32 v20, vcc_lo, 0, v20, vcc_lo
	v_add_co_u32 v21, vcc_lo, v21, 2
	v_add_co_ci_u32_e32 v22, vcc_lo, 0, v22, vcc_lo
	s_add_u32 s4, s22, -1
	s_addc_u32 s5, s23, -1
	s_mov_b64 s[6:7], 0
	s_mov_b32 s27, 0
                                        ; implicit-def: $sgpr30
	s_set_inst_prefetch_distance 0x1
	s_branch .LBB1195_225
	.p2align	6
.LBB1195_223:                           ;   in Loop: Header=BB1195_225 Depth=1
	global_load_u16 v23, v[19:20], off
	global_load_u16 v24, v[21:22], off
	v_add_co_u32 v19, vcc_lo, v19, 2
	v_add_co_ci_u32_e32 v20, vcc_lo, 0, v20, vcc_lo
	v_add_co_u32 v21, s2, v21, 2
	s_delay_alu instid0(VALU_DEP_1)
	v_add_co_ci_u32_e64 v22, s2, 0, v22, s2
	s_add_u32 s6, s6, 1
	s_addc_u32 s7, s7, 0
	s_and_not1_b32 s2, s30, exec_lo
	s_waitcnt vmcnt(1)
	v_lshlrev_b32_e32 v23, 16, v23
	s_waitcnt vmcnt(0)
	v_lshlrev_b32_e32 v24, 16, v24
	s_delay_alu instid0(VALU_DEP_1) | instskip(SKIP_1) | instid1(SALU_CYCLE_1)
	v_cmp_neq_f32_e32 vcc_lo, v24, v23
	s_and_b32 s30, vcc_lo, exec_lo
	s_or_b32 s30, s2, s30
.LBB1195_224:                           ;   in Loop: Header=BB1195_225 Depth=1
	v_dual_mov_b32 v24, s7 :: v_dual_mov_b32 v23, s6
	s_and_b32 s2, exec_lo, s30
	s_delay_alu instid0(SALU_CYCLE_1) | instskip(NEXT) | instid1(SALU_CYCLE_1)
	s_or_b32 s27, s2, s27
	s_and_not1_b32 exec_lo, exec_lo, s27
	s_cbranch_execz .LBB1195_227
.LBB1195_225:                           ; =>This Inner Loop Header: Depth=1
	s_or_b32 s30, s30, exec_lo
	s_cmp_eq_u64 s[4:5], s[6:7]
	s_cbranch_scc0 .LBB1195_223
; %bb.226:                              ;   in Loop: Header=BB1195_225 Depth=1
	s_mov_b64 s[6:7], s[22:23]
                                        ; implicit-def: $vgpr19_vgpr20
                                        ; implicit-def: $vgpr21_vgpr22
	s_branch .LBB1195_224
.LBB1195_227:
	s_set_inst_prefetch_distance 0x2
	s_or_b32 exec_lo, exec_lo, s27
	v_cmp_gt_i64_e32 vcc_lo, s[22:23], v[23:24]
	s_or_not1_b32 s27, vcc_lo, exec_lo
.LBB1195_228:
	s_or_b32 exec_lo, exec_lo, s29
.LBB1195_229:
	v_mul_lo_u32 v21, v10, s22
	v_mul_lo_u32 v22, v9, s23
	v_mad_u64_u32 v[19:20], null, v9, s22, 0
	s_mov_b32 s29, 0
	s_and_not1_b32 vcc_lo, exec_lo, s3
	s_mov_b32 s30, 0
	s_delay_alu instid0(VALU_DEP_1) | instskip(NEXT) | instid1(VALU_DEP_1)
	v_add3_u32 v20, v20, v22, v21
	v_lshlrev_b64 v[19:20], 1, v[19:20]
	s_cbranch_vccnz .LBB1195_238
; %bb.230:
	v_add_co_u32 v17, vcc_lo, s8, v17
	v_add_co_ci_u32_e32 v18, vcc_lo, s9, v18, vcc_lo
	s_delay_alu instid0(VALU_DEP_3) | instskip(NEXT) | instid1(VALU_DEP_4)
	v_add_co_u32 v21, vcc_lo, s8, v19
	v_add_co_ci_u32_e32 v22, vcc_lo, s9, v20, vcc_lo
	s_mov_b32 s30, -1
	s_clause 0x1
	global_load_u16 v23, v[17:18], off
	global_load_u16 v24, v[21:22], off
	s_mov_b32 s31, exec_lo
	s_waitcnt vmcnt(1)
	v_lshlrev_b32_e32 v23, 16, v23
	s_waitcnt vmcnt(0)
	v_lshlrev_b32_e32 v24, 16, v24
	s_delay_alu instid0(VALU_DEP_1)
	v_cmpx_eq_f32_e32 v24, v23
	s_cbranch_execz .LBB1195_237
; %bb.231:
	v_add_co_u32 v17, vcc_lo, v17, 2
	v_add_co_ci_u32_e32 v18, vcc_lo, 0, v18, vcc_lo
	v_add_co_u32 v21, vcc_lo, v21, 2
	v_add_co_ci_u32_e32 v22, vcc_lo, 0, v22, vcc_lo
	s_add_u32 s4, s22, -1
	s_addc_u32 s5, s23, -1
	s_mov_b64 s[6:7], 0
	s_mov_b32 s30, 0
                                        ; implicit-def: $sgpr33
	s_set_inst_prefetch_distance 0x1
	s_branch .LBB1195_234
	.p2align	6
.LBB1195_232:                           ;   in Loop: Header=BB1195_234 Depth=1
	global_load_u16 v23, v[17:18], off
	global_load_u16 v24, v[21:22], off
	v_add_co_u32 v17, vcc_lo, v17, 2
	v_add_co_ci_u32_e32 v18, vcc_lo, 0, v18, vcc_lo
	v_add_co_u32 v21, s2, v21, 2
	s_delay_alu instid0(VALU_DEP_1)
	v_add_co_ci_u32_e64 v22, s2, 0, v22, s2
	s_add_u32 s6, s6, 1
	s_addc_u32 s7, s7, 0
	s_and_not1_b32 s2, s33, exec_lo
	s_waitcnt vmcnt(1)
	v_lshlrev_b32_e32 v23, 16, v23
	s_waitcnt vmcnt(0)
	v_lshlrev_b32_e32 v24, 16, v24
	s_delay_alu instid0(VALU_DEP_1) | instskip(SKIP_1) | instid1(SALU_CYCLE_1)
	v_cmp_neq_f32_e32 vcc_lo, v24, v23
	s_and_b32 s33, vcc_lo, exec_lo
	s_or_b32 s33, s2, s33
.LBB1195_233:                           ;   in Loop: Header=BB1195_234 Depth=1
	v_dual_mov_b32 v24, s7 :: v_dual_mov_b32 v23, s6
	s_and_b32 s2, exec_lo, s33
	s_delay_alu instid0(SALU_CYCLE_1) | instskip(NEXT) | instid1(SALU_CYCLE_1)
	s_or_b32 s30, s2, s30
	s_and_not1_b32 exec_lo, exec_lo, s30
	s_cbranch_execz .LBB1195_236
.LBB1195_234:                           ; =>This Inner Loop Header: Depth=1
	s_or_b32 s33, s33, exec_lo
	s_cmp_eq_u64 s[4:5], s[6:7]
	s_cbranch_scc0 .LBB1195_232
; %bb.235:                              ;   in Loop: Header=BB1195_234 Depth=1
	s_mov_b64 s[6:7], s[22:23]
                                        ; implicit-def: $vgpr17_vgpr18
                                        ; implicit-def: $vgpr21_vgpr22
	s_branch .LBB1195_233
.LBB1195_236:
	s_set_inst_prefetch_distance 0x2
	s_or_b32 exec_lo, exec_lo, s30
	v_cmp_gt_i64_e32 vcc_lo, s[22:23], v[23:24]
	s_or_not1_b32 s30, vcc_lo, exec_lo
.LBB1195_237:
	s_or_b32 exec_lo, exec_lo, s31
.LBB1195_238:
	v_mul_lo_u32 v21, v16, s22
	v_mul_lo_u32 v22, v15, s23
	v_mad_u64_u32 v[17:18], null, v15, s22, 0
	s_and_not1_b32 vcc_lo, exec_lo, s3
	s_delay_alu instid0(VALU_DEP_1) | instskip(NEXT) | instid1(VALU_DEP_1)
	v_add3_u32 v18, v18, v22, v21
	v_lshlrev_b64 v[17:18], 1, v[17:18]
	s_cbranch_vccnz .LBB1195_247
; %bb.239:
	v_add_co_u32 v19, vcc_lo, s8, v19
	v_add_co_ci_u32_e32 v20, vcc_lo, s9, v20, vcc_lo
	s_delay_alu instid0(VALU_DEP_3) | instskip(NEXT) | instid1(VALU_DEP_4)
	v_add_co_u32 v21, vcc_lo, s8, v17
	v_add_co_ci_u32_e32 v22, vcc_lo, s9, v18, vcc_lo
	s_mov_b32 s29, -1
	s_clause 0x1
	global_load_u16 v23, v[19:20], off
	global_load_u16 v24, v[21:22], off
	s_mov_b32 s31, exec_lo
	s_waitcnt vmcnt(1)
	v_lshlrev_b32_e32 v23, 16, v23
	s_waitcnt vmcnt(0)
	v_lshlrev_b32_e32 v24, 16, v24
	s_delay_alu instid0(VALU_DEP_1)
	v_cmpx_eq_f32_e32 v24, v23
	s_cbranch_execz .LBB1195_246
; %bb.240:
	v_add_co_u32 v19, vcc_lo, v19, 2
	v_add_co_ci_u32_e32 v20, vcc_lo, 0, v20, vcc_lo
	v_add_co_u32 v21, vcc_lo, v21, 2
	v_add_co_ci_u32_e32 v22, vcc_lo, 0, v22, vcc_lo
	s_add_u32 s4, s22, -1
	s_addc_u32 s5, s23, -1
	s_mov_b64 s[6:7], 0
	s_mov_b32 s29, 0
                                        ; implicit-def: $sgpr33
	s_set_inst_prefetch_distance 0x1
	s_branch .LBB1195_243
	.p2align	6
.LBB1195_241:                           ;   in Loop: Header=BB1195_243 Depth=1
	global_load_u16 v23, v[19:20], off
	global_load_u16 v24, v[21:22], off
	v_add_co_u32 v19, vcc_lo, v19, 2
	v_add_co_ci_u32_e32 v20, vcc_lo, 0, v20, vcc_lo
	v_add_co_u32 v21, s2, v21, 2
	s_delay_alu instid0(VALU_DEP_1)
	v_add_co_ci_u32_e64 v22, s2, 0, v22, s2
	s_add_u32 s6, s6, 1
	s_addc_u32 s7, s7, 0
	s_and_not1_b32 s2, s33, exec_lo
	s_waitcnt vmcnt(1)
	v_lshlrev_b32_e32 v23, 16, v23
	s_waitcnt vmcnt(0)
	v_lshlrev_b32_e32 v24, 16, v24
	s_delay_alu instid0(VALU_DEP_1) | instskip(SKIP_1) | instid1(SALU_CYCLE_1)
	v_cmp_neq_f32_e32 vcc_lo, v24, v23
	s_and_b32 s33, vcc_lo, exec_lo
	s_or_b32 s33, s2, s33
.LBB1195_242:                           ;   in Loop: Header=BB1195_243 Depth=1
	v_dual_mov_b32 v24, s7 :: v_dual_mov_b32 v23, s6
	s_and_b32 s2, exec_lo, s33
	s_delay_alu instid0(SALU_CYCLE_1) | instskip(NEXT) | instid1(SALU_CYCLE_1)
	s_or_b32 s29, s2, s29
	s_and_not1_b32 exec_lo, exec_lo, s29
	s_cbranch_execz .LBB1195_245
.LBB1195_243:                           ; =>This Inner Loop Header: Depth=1
	s_or_b32 s33, s33, exec_lo
	s_cmp_eq_u64 s[4:5], s[6:7]
	s_cbranch_scc0 .LBB1195_241
; %bb.244:                              ;   in Loop: Header=BB1195_243 Depth=1
	s_mov_b64 s[6:7], s[22:23]
                                        ; implicit-def: $vgpr19_vgpr20
                                        ; implicit-def: $vgpr21_vgpr22
	s_branch .LBB1195_242
.LBB1195_245:
	s_set_inst_prefetch_distance 0x2
	s_or_b32 exec_lo, exec_lo, s29
	v_cmp_gt_i64_e32 vcc_lo, s[22:23], v[23:24]
	s_or_not1_b32 s29, vcc_lo, exec_lo
.LBB1195_246:
	s_or_b32 exec_lo, exec_lo, s31
.LBB1195_247:
	v_mul_lo_u32 v21, v14, s22
	v_mul_lo_u32 v22, v13, s23
	v_mad_u64_u32 v[19:20], null, v13, s22, 0
	s_and_not1_b32 vcc_lo, exec_lo, s3
	s_mov_b32 s2, 0
	s_delay_alu instid0(VALU_DEP_1)
	v_add3_u32 v20, v20, v22, v21
	s_cbranch_vccnz .LBB1195_256
; %bb.248:
	s_delay_alu instid0(VALU_DEP_1) | instskip(SKIP_3) | instid1(VALU_DEP_3)
	v_lshlrev_b64 v[21:22], 1, v[19:20]
	v_add_co_u32 v17, vcc_lo, s8, v17
	v_add_co_ci_u32_e32 v18, vcc_lo, s9, v18, vcc_lo
	s_mov_b32 s2, -1
	v_add_co_u32 v21, vcc_lo, s8, v21
	s_delay_alu instid0(VALU_DEP_4)
	v_add_co_ci_u32_e32 v22, vcc_lo, s9, v22, vcc_lo
	s_mov_b32 s31, exec_lo
	s_clause 0x1
	global_load_u16 v23, v[17:18], off
	global_load_u16 v24, v[21:22], off
	s_waitcnt vmcnt(1)
	v_lshlrev_b32_e32 v23, 16, v23
	s_waitcnt vmcnt(0)
	v_lshlrev_b32_e32 v24, 16, v24
	s_delay_alu instid0(VALU_DEP_1)
	v_cmpx_eq_f32_e32 v24, v23
	s_cbranch_execz .LBB1195_255
; %bb.249:
	v_add_co_u32 v17, vcc_lo, v17, 2
	v_add_co_ci_u32_e32 v18, vcc_lo, 0, v18, vcc_lo
	v_add_co_u32 v21, vcc_lo, v21, 2
	v_add_co_ci_u32_e32 v22, vcc_lo, 0, v22, vcc_lo
	s_add_u32 s4, s22, -1
	s_addc_u32 s5, s23, -1
	s_mov_b64 s[6:7], 0
	s_mov_b32 s33, 0
                                        ; implicit-def: $sgpr34
	s_set_inst_prefetch_distance 0x1
	s_branch .LBB1195_252
	.p2align	6
.LBB1195_250:                           ;   in Loop: Header=BB1195_252 Depth=1
	global_load_u16 v23, v[17:18], off
	global_load_u16 v24, v[21:22], off
	v_add_co_u32 v17, vcc_lo, v17, 2
	v_add_co_ci_u32_e32 v18, vcc_lo, 0, v18, vcc_lo
	v_add_co_u32 v21, s2, v21, 2
	s_delay_alu instid0(VALU_DEP_1)
	v_add_co_ci_u32_e64 v22, s2, 0, v22, s2
	s_add_u32 s6, s6, 1
	s_addc_u32 s7, s7, 0
	s_and_not1_b32 s2, s34, exec_lo
	s_waitcnt vmcnt(1)
	v_lshlrev_b32_e32 v23, 16, v23
	s_waitcnt vmcnt(0)
	v_lshlrev_b32_e32 v24, 16, v24
	s_delay_alu instid0(VALU_DEP_1) | instskip(SKIP_1) | instid1(SALU_CYCLE_1)
	v_cmp_neq_f32_e32 vcc_lo, v24, v23
	s_and_b32 s34, vcc_lo, exec_lo
	s_or_b32 s34, s2, s34
.LBB1195_251:                           ;   in Loop: Header=BB1195_252 Depth=1
	v_dual_mov_b32 v24, s7 :: v_dual_mov_b32 v23, s6
	s_and_b32 s2, exec_lo, s34
	s_delay_alu instid0(SALU_CYCLE_1) | instskip(NEXT) | instid1(SALU_CYCLE_1)
	s_or_b32 s33, s2, s33
	s_and_not1_b32 exec_lo, exec_lo, s33
	s_cbranch_execz .LBB1195_254
.LBB1195_252:                           ; =>This Inner Loop Header: Depth=1
	s_or_b32 s34, s34, exec_lo
	s_cmp_eq_u64 s[4:5], s[6:7]
	s_cbranch_scc0 .LBB1195_250
; %bb.253:                              ;   in Loop: Header=BB1195_252 Depth=1
	s_mov_b64 s[6:7], s[22:23]
                                        ; implicit-def: $vgpr17_vgpr18
                                        ; implicit-def: $vgpr21_vgpr22
	s_branch .LBB1195_251
.LBB1195_254:
	s_set_inst_prefetch_distance 0x2
	s_or_b32 exec_lo, exec_lo, s33
	v_cmp_gt_i64_e32 vcc_lo, s[22:23], v[23:24]
	s_or_not1_b32 s2, vcc_lo, exec_lo
.LBB1195_255:
	s_or_b32 exec_lo, exec_lo, s31
.LBB1195_256:
	v_cndmask_b32_e64 v18, 0, 1, s30
	v_cndmask_b32_e64 v21, 0, 1, s28
	;; [unrolled: 1-line block ×7, first 2 shown]
	v_lshlrev_b16 v21, 8, v21
	v_lshlrev_b16 v22, 8, v22
	;; [unrolled: 1-line block ×4, first 2 shown]
	s_delay_alu instid0(VALU_DEP_4) | instskip(NEXT) | instid1(VALU_DEP_4)
	v_or_b32_e32 v21, v24, v21
	v_or_b32_e32 v22, v25, v22
	s_delay_alu instid0(VALU_DEP_4) | instskip(NEXT) | instid1(VALU_DEP_4)
	v_or_b32_e32 v23, 1, v23
	v_or_b32_e32 v17, v17, v18
	s_barrier
	v_and_b32_e32 v18, 0xffff, v21
	v_lshlrev_b32_e32 v21, 16, v22
	v_and_b32_e32 v22, 0xffff, v23
	v_lshlrev_b32_e32 v17, 16, v17
	buffer_gl0_inv
                                        ; implicit-def: $sgpr2
	s_mov_b32 s4, exec_lo
	v_or_b32_e32 v18, v18, v21
	v_or_b32_e32 v17, v22, v17
	v_cmpx_ne_u32_e32 0, v0
	s_xor_b32 s19, exec_lo, s4
	s_cbranch_execz .LBB1195_267
; %bb.257:
	s_and_not1_b32 vcc_lo, exec_lo, s3
	s_mov_b32 s2, 0
	s_cbranch_vccnz .LBB1195_266
; %bb.258:
	v_add_nc_u32_e32 v21, -8, v39
	v_lshlrev_b64 v[19:20], 1, v[19:20]
	s_mov_b32 s2, -1
	s_mov_b32 s26, exec_lo
	ds_load_b64 v[21:22], v21
	s_waitcnt lgkmcnt(0)
	v_mul_lo_u32 v24, v22, s22
	v_mul_lo_u32 v25, v21, s23
	v_mad_u64_u32 v[22:23], null, v21, s22, 0
	s_delay_alu instid0(VALU_DEP_1) | instskip(NEXT) | instid1(VALU_DEP_1)
	v_add3_u32 v23, v23, v25, v24
	v_lshlrev_b64 v[21:22], 1, v[22:23]
	s_delay_alu instid0(VALU_DEP_1) | instskip(NEXT) | instid1(VALU_DEP_2)
	v_add_co_u32 v21, vcc_lo, s8, v21
	v_add_co_ci_u32_e32 v22, vcc_lo, s9, v22, vcc_lo
	v_add_co_u32 v19, vcc_lo, s8, v19
	v_add_co_ci_u32_e32 v20, vcc_lo, s9, v20, vcc_lo
	s_clause 0x1
	global_load_u16 v23, v[21:22], off
	global_load_u16 v24, v[19:20], off
	s_waitcnt vmcnt(1)
	v_lshlrev_b32_e32 v23, 16, v23
	s_waitcnt vmcnt(0)
	v_lshlrev_b32_e32 v24, 16, v24
	s_delay_alu instid0(VALU_DEP_1)
	v_cmpx_eq_f32_e32 v23, v24
	s_cbranch_execz .LBB1195_265
; %bb.259:
	v_add_co_u32 v19, vcc_lo, v19, 2
	v_add_co_ci_u32_e32 v20, vcc_lo, 0, v20, vcc_lo
	v_add_co_u32 v21, vcc_lo, v21, 2
	v_add_co_ci_u32_e32 v22, vcc_lo, 0, v22, vcc_lo
	s_add_u32 s4, s22, -1
	s_addc_u32 s5, s23, -1
	s_mov_b64 s[6:7], 0
	s_mov_b32 s27, 0
                                        ; implicit-def: $sgpr28
	s_set_inst_prefetch_distance 0x1
	s_branch .LBB1195_262
	.p2align	6
.LBB1195_260:                           ;   in Loop: Header=BB1195_262 Depth=1
	global_load_u16 v23, v[19:20], off
	global_load_u16 v24, v[21:22], off
	v_add_co_u32 v19, vcc_lo, v19, 2
	v_add_co_ci_u32_e32 v20, vcc_lo, 0, v20, vcc_lo
	v_add_co_u32 v21, s2, v21, 2
	s_delay_alu instid0(VALU_DEP_1)
	v_add_co_ci_u32_e64 v22, s2, 0, v22, s2
	s_add_u32 s6, s6, 1
	s_addc_u32 s7, s7, 0
	s_and_not1_b32 s2, s28, exec_lo
	s_waitcnt vmcnt(1)
	v_lshlrev_b32_e32 v23, 16, v23
	s_waitcnt vmcnt(0)
	v_lshlrev_b32_e32 v24, 16, v24
	s_delay_alu instid0(VALU_DEP_1) | instskip(SKIP_1) | instid1(SALU_CYCLE_1)
	v_cmp_neq_f32_e32 vcc_lo, v24, v23
	s_and_b32 s28, vcc_lo, exec_lo
	s_or_b32 s28, s2, s28
.LBB1195_261:                           ;   in Loop: Header=BB1195_262 Depth=1
	v_dual_mov_b32 v24, s7 :: v_dual_mov_b32 v23, s6
	s_and_b32 s2, exec_lo, s28
	s_delay_alu instid0(SALU_CYCLE_1) | instskip(NEXT) | instid1(SALU_CYCLE_1)
	s_or_b32 s27, s2, s27
	s_and_not1_b32 exec_lo, exec_lo, s27
	s_cbranch_execz .LBB1195_264
.LBB1195_262:                           ; =>This Inner Loop Header: Depth=1
	s_or_b32 s28, s28, exec_lo
	s_cmp_eq_u64 s[4:5], s[6:7]
	s_cbranch_scc0 .LBB1195_260
; %bb.263:                              ;   in Loop: Header=BB1195_262 Depth=1
	s_mov_b64 s[6:7], s[22:23]
                                        ; implicit-def: $vgpr19_vgpr20
                                        ; implicit-def: $vgpr21_vgpr22
	s_branch .LBB1195_261
.LBB1195_264:
	s_set_inst_prefetch_distance 0x2
	s_or_b32 exec_lo, exec_lo, s27
	v_cmp_gt_i64_e32 vcc_lo, s[22:23], v[23:24]
	s_or_not1_b32 s2, vcc_lo, exec_lo
.LBB1195_265:
	s_or_b32 exec_lo, exec_lo, s26
.LBB1195_266:
	s_delay_alu instid0(SALU_CYCLE_1)
	s_and_b32 s2, s2, exec_lo
	s_or_b32 s18, s18, exec_lo
.LBB1195_267:
	s_or_b32 exec_lo, exec_lo, s19
	s_branch .LBB1195_359
.LBB1195_268:
	v_or_b32_e32 v17, 7, v39
	s_mov_b32 s19, 0
	s_mov_b32 s26, 0
	s_mov_b32 s27, exec_lo
	s_delay_alu instid0(VALU_DEP_1)
	v_cmpx_gt_u32_e64 s20, v17
	s_cbranch_execz .LBB1195_279
; %bb.269:
	s_and_not1_b32 vcc_lo, exec_lo, s3
	s_mov_b32 s2, 0
	s_cbranch_vccnz .LBB1195_278
; %bb.270:
	v_mul_lo_u32 v21, v4, s22
	v_mul_lo_u32 v22, v3, s23
	v_mad_u64_u32 v[17:18], null, v3, s22, 0
	v_mul_lo_u32 v23, v2, s22
	v_mul_lo_u32 v24, v1, s23
	v_mad_u64_u32 v[19:20], null, v1, s22, 0
	s_mov_b32 s2, -1
	s_mov_b32 s26, exec_lo
	s_delay_alu instid0(VALU_DEP_4) | instskip(NEXT) | instid1(VALU_DEP_2)
	v_add3_u32 v18, v18, v22, v21
	v_add3_u32 v20, v20, v24, v23
	s_delay_alu instid0(VALU_DEP_2) | instskip(NEXT) | instid1(VALU_DEP_2)
	v_lshlrev_b64 v[17:18], 1, v[17:18]
	v_lshlrev_b64 v[19:20], 1, v[19:20]
	s_delay_alu instid0(VALU_DEP_2) | instskip(NEXT) | instid1(VALU_DEP_3)
	v_add_co_u32 v17, vcc_lo, s8, v17
	v_add_co_ci_u32_e32 v18, vcc_lo, s9, v18, vcc_lo
	s_delay_alu instid0(VALU_DEP_3) | instskip(NEXT) | instid1(VALU_DEP_4)
	v_add_co_u32 v19, vcc_lo, s8, v19
	v_add_co_ci_u32_e32 v20, vcc_lo, s9, v20, vcc_lo
	s_clause 0x1
	global_load_u16 v21, v[17:18], off
	global_load_u16 v22, v[19:20], off
	s_waitcnt vmcnt(1)
	v_lshlrev_b32_e32 v21, 16, v21
	s_waitcnt vmcnt(0)
	v_lshlrev_b32_e32 v22, 16, v22
	s_delay_alu instid0(VALU_DEP_1)
	v_cmpx_eq_f32_e32 v22, v21
	s_cbranch_execz .LBB1195_277
; %bb.271:
	v_add_co_u32 v17, vcc_lo, v17, 2
	v_add_co_ci_u32_e32 v18, vcc_lo, 0, v18, vcc_lo
	v_add_co_u32 v19, vcc_lo, v19, 2
	v_add_co_ci_u32_e32 v20, vcc_lo, 0, v20, vcc_lo
	s_add_u32 s4, s22, -1
	s_addc_u32 s5, s23, -1
	s_mov_b64 s[6:7], 0
	s_mov_b32 s28, 0
                                        ; implicit-def: $sgpr29
	s_set_inst_prefetch_distance 0x1
	s_branch .LBB1195_274
	.p2align	6
.LBB1195_272:                           ;   in Loop: Header=BB1195_274 Depth=1
	global_load_u16 v21, v[17:18], off
	global_load_u16 v22, v[19:20], off
	v_add_co_u32 v17, vcc_lo, v17, 2
	v_add_co_ci_u32_e32 v18, vcc_lo, 0, v18, vcc_lo
	v_add_co_u32 v19, s2, v19, 2
	s_delay_alu instid0(VALU_DEP_1)
	v_add_co_ci_u32_e64 v20, s2, 0, v20, s2
	s_add_u32 s6, s6, 1
	s_addc_u32 s7, s7, 0
	s_and_not1_b32 s2, s29, exec_lo
	s_waitcnt vmcnt(1)
	v_lshlrev_b32_e32 v21, 16, v21
	s_waitcnt vmcnt(0)
	v_lshlrev_b32_e32 v22, 16, v22
	s_delay_alu instid0(VALU_DEP_1) | instskip(SKIP_1) | instid1(SALU_CYCLE_1)
	v_cmp_neq_f32_e32 vcc_lo, v22, v21
	s_and_b32 s29, vcc_lo, exec_lo
	s_or_b32 s29, s2, s29
.LBB1195_273:                           ;   in Loop: Header=BB1195_274 Depth=1
	v_dual_mov_b32 v22, s7 :: v_dual_mov_b32 v21, s6
	s_and_b32 s2, exec_lo, s29
	s_delay_alu instid0(SALU_CYCLE_1) | instskip(NEXT) | instid1(SALU_CYCLE_1)
	s_or_b32 s28, s2, s28
	s_and_not1_b32 exec_lo, exec_lo, s28
	s_cbranch_execz .LBB1195_276
.LBB1195_274:                           ; =>This Inner Loop Header: Depth=1
	s_or_b32 s29, s29, exec_lo
	s_cmp_eq_u64 s[4:5], s[6:7]
	s_cbranch_scc0 .LBB1195_272
; %bb.275:                              ;   in Loop: Header=BB1195_274 Depth=1
	s_mov_b64 s[6:7], s[22:23]
                                        ; implicit-def: $vgpr17_vgpr18
                                        ; implicit-def: $vgpr19_vgpr20
	s_branch .LBB1195_273
.LBB1195_276:
	s_set_inst_prefetch_distance 0x2
	s_or_b32 exec_lo, exec_lo, s28
	v_cmp_gt_i64_e32 vcc_lo, s[22:23], v[21:22]
	s_or_not1_b32 s2, vcc_lo, exec_lo
.LBB1195_277:
	s_or_b32 exec_lo, exec_lo, s26
.LBB1195_278:
	s_delay_alu instid0(SALU_CYCLE_1)
	s_and_b32 s26, s2, exec_lo
.LBB1195_279:
	s_or_b32 exec_lo, exec_lo, s27
	v_or_b32_e32 v17, 6, v39
	s_mov_b32 s27, exec_lo
	s_delay_alu instid0(VALU_DEP_1)
	v_cmpx_gt_u32_e64 s20, v17
	s_cbranch_execz .LBB1195_290
; %bb.280:
	s_and_not1_b32 vcc_lo, exec_lo, s3
	s_mov_b32 s2, 0
	s_cbranch_vccnz .LBB1195_289
; %bb.281:
	v_mul_lo_u32 v21, v2, s22
	v_mul_lo_u32 v22, v1, s23
	v_mad_u64_u32 v[17:18], null, v1, s22, 0
	v_mul_lo_u32 v23, v8, s22
	v_mul_lo_u32 v24, v7, s23
	v_mad_u64_u32 v[19:20], null, v7, s22, 0
	s_mov_b32 s2, -1
	s_mov_b32 s19, exec_lo
	s_delay_alu instid0(VALU_DEP_4) | instskip(NEXT) | instid1(VALU_DEP_2)
	v_add3_u32 v18, v18, v22, v21
	v_add3_u32 v20, v20, v24, v23
	s_delay_alu instid0(VALU_DEP_2) | instskip(NEXT) | instid1(VALU_DEP_2)
	v_lshlrev_b64 v[17:18], 1, v[17:18]
	v_lshlrev_b64 v[19:20], 1, v[19:20]
	s_delay_alu instid0(VALU_DEP_2) | instskip(NEXT) | instid1(VALU_DEP_3)
	v_add_co_u32 v17, vcc_lo, s8, v17
	v_add_co_ci_u32_e32 v18, vcc_lo, s9, v18, vcc_lo
	s_delay_alu instid0(VALU_DEP_3) | instskip(NEXT) | instid1(VALU_DEP_4)
	v_add_co_u32 v19, vcc_lo, s8, v19
	v_add_co_ci_u32_e32 v20, vcc_lo, s9, v20, vcc_lo
	s_clause 0x1
	global_load_u16 v21, v[17:18], off
	global_load_u16 v22, v[19:20], off
	s_waitcnt vmcnt(1)
	v_lshlrev_b32_e32 v21, 16, v21
	s_waitcnt vmcnt(0)
	v_lshlrev_b32_e32 v22, 16, v22
	s_delay_alu instid0(VALU_DEP_1)
	v_cmpx_eq_f32_e32 v22, v21
	s_cbranch_execz .LBB1195_288
; %bb.282:
	v_add_co_u32 v17, vcc_lo, v17, 2
	v_add_co_ci_u32_e32 v18, vcc_lo, 0, v18, vcc_lo
	v_add_co_u32 v19, vcc_lo, v19, 2
	v_add_co_ci_u32_e32 v20, vcc_lo, 0, v20, vcc_lo
	s_add_u32 s4, s22, -1
	s_addc_u32 s5, s23, -1
	s_mov_b64 s[6:7], 0
	s_mov_b32 s28, 0
                                        ; implicit-def: $sgpr29
	s_set_inst_prefetch_distance 0x1
	s_branch .LBB1195_285
	.p2align	6
.LBB1195_283:                           ;   in Loop: Header=BB1195_285 Depth=1
	global_load_u16 v21, v[17:18], off
	global_load_u16 v22, v[19:20], off
	v_add_co_u32 v17, vcc_lo, v17, 2
	v_add_co_ci_u32_e32 v18, vcc_lo, 0, v18, vcc_lo
	v_add_co_u32 v19, s2, v19, 2
	s_delay_alu instid0(VALU_DEP_1)
	v_add_co_ci_u32_e64 v20, s2, 0, v20, s2
	s_add_u32 s6, s6, 1
	s_addc_u32 s7, s7, 0
	s_and_not1_b32 s2, s29, exec_lo
	s_waitcnt vmcnt(1)
	v_lshlrev_b32_e32 v21, 16, v21
	s_waitcnt vmcnt(0)
	v_lshlrev_b32_e32 v22, 16, v22
	s_delay_alu instid0(VALU_DEP_1) | instskip(SKIP_1) | instid1(SALU_CYCLE_1)
	v_cmp_neq_f32_e32 vcc_lo, v22, v21
	s_and_b32 s29, vcc_lo, exec_lo
	s_or_b32 s29, s2, s29
.LBB1195_284:                           ;   in Loop: Header=BB1195_285 Depth=1
	v_dual_mov_b32 v22, s7 :: v_dual_mov_b32 v21, s6
	s_and_b32 s2, exec_lo, s29
	s_delay_alu instid0(SALU_CYCLE_1) | instskip(NEXT) | instid1(SALU_CYCLE_1)
	s_or_b32 s28, s2, s28
	s_and_not1_b32 exec_lo, exec_lo, s28
	s_cbranch_execz .LBB1195_287
.LBB1195_285:                           ; =>This Inner Loop Header: Depth=1
	s_or_b32 s29, s29, exec_lo
	s_cmp_eq_u64 s[4:5], s[6:7]
	s_cbranch_scc0 .LBB1195_283
; %bb.286:                              ;   in Loop: Header=BB1195_285 Depth=1
	s_mov_b64 s[6:7], s[22:23]
                                        ; implicit-def: $vgpr17_vgpr18
                                        ; implicit-def: $vgpr19_vgpr20
	s_branch .LBB1195_284
.LBB1195_287:
	s_set_inst_prefetch_distance 0x2
	s_or_b32 exec_lo, exec_lo, s28
	v_cmp_gt_i64_e32 vcc_lo, s[22:23], v[21:22]
	s_or_not1_b32 s2, vcc_lo, exec_lo
.LBB1195_288:
	s_or_b32 exec_lo, exec_lo, s19
.LBB1195_289:
	s_delay_alu instid0(SALU_CYCLE_1)
	s_and_b32 s19, s2, exec_lo
.LBB1195_290:
	s_or_b32 exec_lo, exec_lo, s27
	v_or_b32_e32 v17, 5, v39
	s_mov_b32 s27, 0
	s_mov_b32 s28, 0
	s_mov_b32 s29, exec_lo
	s_delay_alu instid0(VALU_DEP_1)
	v_cmpx_gt_u32_e64 s20, v17
	s_cbranch_execz .LBB1195_301
; %bb.291:
	s_and_not1_b32 vcc_lo, exec_lo, s3
	s_mov_b32 s2, 0
	s_cbranch_vccnz .LBB1195_300
; %bb.292:
	v_mul_lo_u32 v21, v8, s22
	v_mul_lo_u32 v22, v7, s23
	v_mad_u64_u32 v[17:18], null, v7, s22, 0
	v_mul_lo_u32 v23, v6, s22
	v_mul_lo_u32 v24, v5, s23
	v_mad_u64_u32 v[19:20], null, v5, s22, 0
	s_mov_b32 s2, -1
	s_mov_b32 s28, exec_lo
	s_delay_alu instid0(VALU_DEP_4) | instskip(NEXT) | instid1(VALU_DEP_2)
	v_add3_u32 v18, v18, v22, v21
	v_add3_u32 v20, v20, v24, v23
	s_delay_alu instid0(VALU_DEP_2) | instskip(NEXT) | instid1(VALU_DEP_2)
	v_lshlrev_b64 v[17:18], 1, v[17:18]
	v_lshlrev_b64 v[19:20], 1, v[19:20]
	s_delay_alu instid0(VALU_DEP_2) | instskip(NEXT) | instid1(VALU_DEP_3)
	v_add_co_u32 v17, vcc_lo, s8, v17
	v_add_co_ci_u32_e32 v18, vcc_lo, s9, v18, vcc_lo
	s_delay_alu instid0(VALU_DEP_3) | instskip(NEXT) | instid1(VALU_DEP_4)
	v_add_co_u32 v19, vcc_lo, s8, v19
	v_add_co_ci_u32_e32 v20, vcc_lo, s9, v20, vcc_lo
	s_clause 0x1
	global_load_u16 v21, v[17:18], off
	global_load_u16 v22, v[19:20], off
	s_waitcnt vmcnt(1)
	v_lshlrev_b32_e32 v21, 16, v21
	s_waitcnt vmcnt(0)
	v_lshlrev_b32_e32 v22, 16, v22
	s_delay_alu instid0(VALU_DEP_1)
	v_cmpx_eq_f32_e32 v22, v21
	s_cbranch_execz .LBB1195_299
; %bb.293:
	v_add_co_u32 v17, vcc_lo, v17, 2
	v_add_co_ci_u32_e32 v18, vcc_lo, 0, v18, vcc_lo
	v_add_co_u32 v19, vcc_lo, v19, 2
	v_add_co_ci_u32_e32 v20, vcc_lo, 0, v20, vcc_lo
	s_add_u32 s4, s22, -1
	s_addc_u32 s5, s23, -1
	s_mov_b64 s[6:7], 0
	s_mov_b32 s30, 0
                                        ; implicit-def: $sgpr31
	s_set_inst_prefetch_distance 0x1
	s_branch .LBB1195_296
	.p2align	6
.LBB1195_294:                           ;   in Loop: Header=BB1195_296 Depth=1
	global_load_u16 v21, v[17:18], off
	global_load_u16 v22, v[19:20], off
	v_add_co_u32 v17, vcc_lo, v17, 2
	v_add_co_ci_u32_e32 v18, vcc_lo, 0, v18, vcc_lo
	v_add_co_u32 v19, s2, v19, 2
	s_delay_alu instid0(VALU_DEP_1)
	v_add_co_ci_u32_e64 v20, s2, 0, v20, s2
	s_add_u32 s6, s6, 1
	s_addc_u32 s7, s7, 0
	s_and_not1_b32 s2, s31, exec_lo
	s_waitcnt vmcnt(1)
	v_lshlrev_b32_e32 v21, 16, v21
	s_waitcnt vmcnt(0)
	v_lshlrev_b32_e32 v22, 16, v22
	s_delay_alu instid0(VALU_DEP_1) | instskip(SKIP_1) | instid1(SALU_CYCLE_1)
	v_cmp_neq_f32_e32 vcc_lo, v22, v21
	s_and_b32 s31, vcc_lo, exec_lo
	s_or_b32 s31, s2, s31
.LBB1195_295:                           ;   in Loop: Header=BB1195_296 Depth=1
	v_dual_mov_b32 v22, s7 :: v_dual_mov_b32 v21, s6
	s_and_b32 s2, exec_lo, s31
	s_delay_alu instid0(SALU_CYCLE_1) | instskip(NEXT) | instid1(SALU_CYCLE_1)
	s_or_b32 s30, s2, s30
	s_and_not1_b32 exec_lo, exec_lo, s30
	s_cbranch_execz .LBB1195_298
.LBB1195_296:                           ; =>This Inner Loop Header: Depth=1
	s_or_b32 s31, s31, exec_lo
	s_cmp_eq_u64 s[4:5], s[6:7]
	s_cbranch_scc0 .LBB1195_294
; %bb.297:                              ;   in Loop: Header=BB1195_296 Depth=1
	s_mov_b64 s[6:7], s[22:23]
                                        ; implicit-def: $vgpr17_vgpr18
                                        ; implicit-def: $vgpr19_vgpr20
	s_branch .LBB1195_295
.LBB1195_298:
	s_set_inst_prefetch_distance 0x2
	s_or_b32 exec_lo, exec_lo, s30
	v_cmp_gt_i64_e32 vcc_lo, s[22:23], v[21:22]
	s_or_not1_b32 s2, vcc_lo, exec_lo
.LBB1195_299:
	s_or_b32 exec_lo, exec_lo, s28
.LBB1195_300:
	s_delay_alu instid0(SALU_CYCLE_1)
	s_and_b32 s28, s2, exec_lo
.LBB1195_301:
	s_or_b32 exec_lo, exec_lo, s29
	v_or_b32_e32 v17, 4, v39
	s_mov_b32 s29, exec_lo
	s_delay_alu instid0(VALU_DEP_1)
	v_cmpx_gt_u32_e64 s20, v17
	s_cbranch_execz .LBB1195_312
; %bb.302:
	s_and_not1_b32 vcc_lo, exec_lo, s3
	s_mov_b32 s2, 0
	s_cbranch_vccnz .LBB1195_311
; %bb.303:
	v_mul_lo_u32 v21, v6, s22
	v_mul_lo_u32 v22, v5, s23
	v_mad_u64_u32 v[17:18], null, v5, s22, 0
	v_mul_lo_u32 v23, v12, s22
	v_mul_lo_u32 v24, v11, s23
	v_mad_u64_u32 v[19:20], null, v11, s22, 0
	s_mov_b32 s2, -1
	s_mov_b32 s27, exec_lo
	s_delay_alu instid0(VALU_DEP_4) | instskip(NEXT) | instid1(VALU_DEP_2)
	v_add3_u32 v18, v18, v22, v21
	v_add3_u32 v20, v20, v24, v23
	s_delay_alu instid0(VALU_DEP_2) | instskip(NEXT) | instid1(VALU_DEP_2)
	v_lshlrev_b64 v[17:18], 1, v[17:18]
	v_lshlrev_b64 v[19:20], 1, v[19:20]
	s_delay_alu instid0(VALU_DEP_2) | instskip(NEXT) | instid1(VALU_DEP_3)
	v_add_co_u32 v17, vcc_lo, s8, v17
	v_add_co_ci_u32_e32 v18, vcc_lo, s9, v18, vcc_lo
	s_delay_alu instid0(VALU_DEP_3) | instskip(NEXT) | instid1(VALU_DEP_4)
	v_add_co_u32 v19, vcc_lo, s8, v19
	v_add_co_ci_u32_e32 v20, vcc_lo, s9, v20, vcc_lo
	s_clause 0x1
	global_load_u16 v21, v[17:18], off
	global_load_u16 v22, v[19:20], off
	s_waitcnt vmcnt(1)
	v_lshlrev_b32_e32 v21, 16, v21
	s_waitcnt vmcnt(0)
	v_lshlrev_b32_e32 v22, 16, v22
	s_delay_alu instid0(VALU_DEP_1)
	v_cmpx_eq_f32_e32 v22, v21
	s_cbranch_execz .LBB1195_310
; %bb.304:
	v_add_co_u32 v17, vcc_lo, v17, 2
	v_add_co_ci_u32_e32 v18, vcc_lo, 0, v18, vcc_lo
	v_add_co_u32 v19, vcc_lo, v19, 2
	v_add_co_ci_u32_e32 v20, vcc_lo, 0, v20, vcc_lo
	s_add_u32 s4, s22, -1
	s_addc_u32 s5, s23, -1
	s_mov_b64 s[6:7], 0
	s_mov_b32 s30, 0
                                        ; implicit-def: $sgpr31
	s_set_inst_prefetch_distance 0x1
	s_branch .LBB1195_307
	.p2align	6
.LBB1195_305:                           ;   in Loop: Header=BB1195_307 Depth=1
	global_load_u16 v21, v[17:18], off
	global_load_u16 v22, v[19:20], off
	v_add_co_u32 v17, vcc_lo, v17, 2
	v_add_co_ci_u32_e32 v18, vcc_lo, 0, v18, vcc_lo
	v_add_co_u32 v19, s2, v19, 2
	s_delay_alu instid0(VALU_DEP_1)
	v_add_co_ci_u32_e64 v20, s2, 0, v20, s2
	s_add_u32 s6, s6, 1
	s_addc_u32 s7, s7, 0
	s_and_not1_b32 s2, s31, exec_lo
	s_waitcnt vmcnt(1)
	v_lshlrev_b32_e32 v21, 16, v21
	s_waitcnt vmcnt(0)
	v_lshlrev_b32_e32 v22, 16, v22
	s_delay_alu instid0(VALU_DEP_1) | instskip(SKIP_1) | instid1(SALU_CYCLE_1)
	v_cmp_neq_f32_e32 vcc_lo, v22, v21
	s_and_b32 s31, vcc_lo, exec_lo
	s_or_b32 s31, s2, s31
.LBB1195_306:                           ;   in Loop: Header=BB1195_307 Depth=1
	v_dual_mov_b32 v22, s7 :: v_dual_mov_b32 v21, s6
	s_and_b32 s2, exec_lo, s31
	s_delay_alu instid0(SALU_CYCLE_1) | instskip(NEXT) | instid1(SALU_CYCLE_1)
	s_or_b32 s30, s2, s30
	s_and_not1_b32 exec_lo, exec_lo, s30
	s_cbranch_execz .LBB1195_309
.LBB1195_307:                           ; =>This Inner Loop Header: Depth=1
	s_or_b32 s31, s31, exec_lo
	s_cmp_eq_u64 s[4:5], s[6:7]
	s_cbranch_scc0 .LBB1195_305
; %bb.308:                              ;   in Loop: Header=BB1195_307 Depth=1
	s_mov_b64 s[6:7], s[22:23]
                                        ; implicit-def: $vgpr17_vgpr18
                                        ; implicit-def: $vgpr19_vgpr20
	s_branch .LBB1195_306
.LBB1195_309:
	s_set_inst_prefetch_distance 0x2
	s_or_b32 exec_lo, exec_lo, s30
	v_cmp_gt_i64_e32 vcc_lo, s[22:23], v[21:22]
	s_or_not1_b32 s2, vcc_lo, exec_lo
.LBB1195_310:
	s_or_b32 exec_lo, exec_lo, s27
.LBB1195_311:
	s_delay_alu instid0(SALU_CYCLE_1)
	s_and_b32 s27, s2, exec_lo
.LBB1195_312:
	s_or_b32 exec_lo, exec_lo, s29
	v_or_b32_e32 v17, 3, v39
	s_mov_b32 s30, 0
	s_mov_b32 s29, 0
	s_mov_b32 s31, exec_lo
	s_delay_alu instid0(VALU_DEP_1)
	v_cmpx_gt_u32_e64 s20, v17
	s_cbranch_execz .LBB1195_323
; %bb.313:
	s_and_not1_b32 vcc_lo, exec_lo, s3
	s_mov_b32 s2, 0
	s_cbranch_vccnz .LBB1195_322
; %bb.314:
	v_mul_lo_u32 v21, v12, s22
	v_mul_lo_u32 v22, v11, s23
	v_mad_u64_u32 v[17:18], null, v11, s22, 0
	v_mul_lo_u32 v23, v10, s22
	v_mul_lo_u32 v24, v9, s23
	v_mad_u64_u32 v[19:20], null, v9, s22, 0
	s_mov_b32 s2, -1
	s_mov_b32 s29, exec_lo
	s_delay_alu instid0(VALU_DEP_4) | instskip(NEXT) | instid1(VALU_DEP_2)
	v_add3_u32 v18, v18, v22, v21
	v_add3_u32 v20, v20, v24, v23
	s_delay_alu instid0(VALU_DEP_2) | instskip(NEXT) | instid1(VALU_DEP_2)
	v_lshlrev_b64 v[17:18], 1, v[17:18]
	v_lshlrev_b64 v[19:20], 1, v[19:20]
	s_delay_alu instid0(VALU_DEP_2) | instskip(NEXT) | instid1(VALU_DEP_3)
	v_add_co_u32 v17, vcc_lo, s8, v17
	v_add_co_ci_u32_e32 v18, vcc_lo, s9, v18, vcc_lo
	s_delay_alu instid0(VALU_DEP_3) | instskip(NEXT) | instid1(VALU_DEP_4)
	v_add_co_u32 v19, vcc_lo, s8, v19
	v_add_co_ci_u32_e32 v20, vcc_lo, s9, v20, vcc_lo
	s_clause 0x1
	global_load_u16 v21, v[17:18], off
	global_load_u16 v22, v[19:20], off
	s_waitcnt vmcnt(1)
	v_lshlrev_b32_e32 v21, 16, v21
	s_waitcnt vmcnt(0)
	v_lshlrev_b32_e32 v22, 16, v22
	s_delay_alu instid0(VALU_DEP_1)
	v_cmpx_eq_f32_e32 v22, v21
	s_cbranch_execz .LBB1195_321
; %bb.315:
	v_add_co_u32 v17, vcc_lo, v17, 2
	v_add_co_ci_u32_e32 v18, vcc_lo, 0, v18, vcc_lo
	v_add_co_u32 v19, vcc_lo, v19, 2
	v_add_co_ci_u32_e32 v20, vcc_lo, 0, v20, vcc_lo
	s_add_u32 s4, s22, -1
	s_addc_u32 s5, s23, -1
	s_mov_b64 s[6:7], 0
	s_mov_b32 s33, 0
                                        ; implicit-def: $sgpr34
	s_set_inst_prefetch_distance 0x1
	s_branch .LBB1195_318
	.p2align	6
.LBB1195_316:                           ;   in Loop: Header=BB1195_318 Depth=1
	global_load_u16 v21, v[17:18], off
	global_load_u16 v22, v[19:20], off
	v_add_co_u32 v17, vcc_lo, v17, 2
	v_add_co_ci_u32_e32 v18, vcc_lo, 0, v18, vcc_lo
	v_add_co_u32 v19, s2, v19, 2
	s_delay_alu instid0(VALU_DEP_1)
	v_add_co_ci_u32_e64 v20, s2, 0, v20, s2
	s_add_u32 s6, s6, 1
	s_addc_u32 s7, s7, 0
	s_and_not1_b32 s2, s34, exec_lo
	s_waitcnt vmcnt(1)
	v_lshlrev_b32_e32 v21, 16, v21
	s_waitcnt vmcnt(0)
	v_lshlrev_b32_e32 v22, 16, v22
	s_delay_alu instid0(VALU_DEP_1) | instskip(SKIP_1) | instid1(SALU_CYCLE_1)
	v_cmp_neq_f32_e32 vcc_lo, v22, v21
	s_and_b32 s34, vcc_lo, exec_lo
	s_or_b32 s34, s2, s34
.LBB1195_317:                           ;   in Loop: Header=BB1195_318 Depth=1
	v_dual_mov_b32 v22, s7 :: v_dual_mov_b32 v21, s6
	s_and_b32 s2, exec_lo, s34
	s_delay_alu instid0(SALU_CYCLE_1) | instskip(NEXT) | instid1(SALU_CYCLE_1)
	s_or_b32 s33, s2, s33
	s_and_not1_b32 exec_lo, exec_lo, s33
	s_cbranch_execz .LBB1195_320
.LBB1195_318:                           ; =>This Inner Loop Header: Depth=1
	s_or_b32 s34, s34, exec_lo
	s_cmp_eq_u64 s[4:5], s[6:7]
	s_cbranch_scc0 .LBB1195_316
; %bb.319:                              ;   in Loop: Header=BB1195_318 Depth=1
	s_mov_b64 s[6:7], s[22:23]
                                        ; implicit-def: $vgpr17_vgpr18
                                        ; implicit-def: $vgpr19_vgpr20
	s_branch .LBB1195_317
.LBB1195_320:
	s_set_inst_prefetch_distance 0x2
	s_or_b32 exec_lo, exec_lo, s33
	v_cmp_gt_i64_e32 vcc_lo, s[22:23], v[21:22]
	s_or_not1_b32 s2, vcc_lo, exec_lo
.LBB1195_321:
	s_or_b32 exec_lo, exec_lo, s29
.LBB1195_322:
	s_delay_alu instid0(SALU_CYCLE_1)
	s_and_b32 s29, s2, exec_lo
.LBB1195_323:
	s_or_b32 exec_lo, exec_lo, s31
	v_or_b32_e32 v17, 2, v39
	s_mov_b32 s31, exec_lo
	s_delay_alu instid0(VALU_DEP_1)
	v_cmpx_gt_u32_e64 s20, v17
	s_cbranch_execz .LBB1195_334
; %bb.324:
	s_and_not1_b32 vcc_lo, exec_lo, s3
	s_mov_b32 s2, 0
	s_cbranch_vccnz .LBB1195_333
; %bb.325:
	v_mul_lo_u32 v21, v10, s22
	v_mul_lo_u32 v22, v9, s23
	v_mad_u64_u32 v[17:18], null, v9, s22, 0
	v_mul_lo_u32 v23, v16, s22
	v_mul_lo_u32 v24, v15, s23
	v_mad_u64_u32 v[19:20], null, v15, s22, 0
	s_mov_b32 s2, -1
	s_mov_b32 s30, exec_lo
	s_delay_alu instid0(VALU_DEP_4) | instskip(NEXT) | instid1(VALU_DEP_2)
	v_add3_u32 v18, v18, v22, v21
	v_add3_u32 v20, v20, v24, v23
	s_delay_alu instid0(VALU_DEP_2) | instskip(NEXT) | instid1(VALU_DEP_2)
	v_lshlrev_b64 v[17:18], 1, v[17:18]
	v_lshlrev_b64 v[19:20], 1, v[19:20]
	s_delay_alu instid0(VALU_DEP_2) | instskip(NEXT) | instid1(VALU_DEP_3)
	v_add_co_u32 v17, vcc_lo, s8, v17
	v_add_co_ci_u32_e32 v18, vcc_lo, s9, v18, vcc_lo
	s_delay_alu instid0(VALU_DEP_3) | instskip(NEXT) | instid1(VALU_DEP_4)
	v_add_co_u32 v19, vcc_lo, s8, v19
	v_add_co_ci_u32_e32 v20, vcc_lo, s9, v20, vcc_lo
	s_clause 0x1
	global_load_u16 v21, v[17:18], off
	global_load_u16 v22, v[19:20], off
	s_waitcnt vmcnt(1)
	v_lshlrev_b32_e32 v21, 16, v21
	s_waitcnt vmcnt(0)
	v_lshlrev_b32_e32 v22, 16, v22
	s_delay_alu instid0(VALU_DEP_1)
	v_cmpx_eq_f32_e32 v22, v21
	s_cbranch_execz .LBB1195_332
; %bb.326:
	v_add_co_u32 v17, vcc_lo, v17, 2
	v_add_co_ci_u32_e32 v18, vcc_lo, 0, v18, vcc_lo
	v_add_co_u32 v19, vcc_lo, v19, 2
	v_add_co_ci_u32_e32 v20, vcc_lo, 0, v20, vcc_lo
	s_add_u32 s4, s22, -1
	s_addc_u32 s5, s23, -1
	s_mov_b64 s[6:7], 0
	s_mov_b32 s33, 0
                                        ; implicit-def: $sgpr34
	s_set_inst_prefetch_distance 0x1
	s_branch .LBB1195_329
	.p2align	6
.LBB1195_327:                           ;   in Loop: Header=BB1195_329 Depth=1
	global_load_u16 v21, v[17:18], off
	global_load_u16 v22, v[19:20], off
	v_add_co_u32 v17, vcc_lo, v17, 2
	v_add_co_ci_u32_e32 v18, vcc_lo, 0, v18, vcc_lo
	v_add_co_u32 v19, s2, v19, 2
	s_delay_alu instid0(VALU_DEP_1)
	v_add_co_ci_u32_e64 v20, s2, 0, v20, s2
	s_add_u32 s6, s6, 1
	s_addc_u32 s7, s7, 0
	s_and_not1_b32 s2, s34, exec_lo
	s_waitcnt vmcnt(1)
	v_lshlrev_b32_e32 v21, 16, v21
	s_waitcnt vmcnt(0)
	v_lshlrev_b32_e32 v22, 16, v22
	s_delay_alu instid0(VALU_DEP_1) | instskip(SKIP_1) | instid1(SALU_CYCLE_1)
	v_cmp_neq_f32_e32 vcc_lo, v22, v21
	s_and_b32 s34, vcc_lo, exec_lo
	s_or_b32 s34, s2, s34
.LBB1195_328:                           ;   in Loop: Header=BB1195_329 Depth=1
	v_dual_mov_b32 v22, s7 :: v_dual_mov_b32 v21, s6
	s_and_b32 s2, exec_lo, s34
	s_delay_alu instid0(SALU_CYCLE_1) | instskip(NEXT) | instid1(SALU_CYCLE_1)
	s_or_b32 s33, s2, s33
	s_and_not1_b32 exec_lo, exec_lo, s33
	s_cbranch_execz .LBB1195_331
.LBB1195_329:                           ; =>This Inner Loop Header: Depth=1
	s_or_b32 s34, s34, exec_lo
	s_cmp_eq_u64 s[4:5], s[6:7]
	s_cbranch_scc0 .LBB1195_327
; %bb.330:                              ;   in Loop: Header=BB1195_329 Depth=1
	s_mov_b64 s[6:7], s[22:23]
                                        ; implicit-def: $vgpr17_vgpr18
                                        ; implicit-def: $vgpr19_vgpr20
	s_branch .LBB1195_328
.LBB1195_331:
	s_set_inst_prefetch_distance 0x2
	s_or_b32 exec_lo, exec_lo, s33
	v_cmp_gt_i64_e32 vcc_lo, s[22:23], v[21:22]
	s_or_not1_b32 s2, vcc_lo, exec_lo
.LBB1195_332:
	s_or_b32 exec_lo, exec_lo, s30
.LBB1195_333:
	s_delay_alu instid0(SALU_CYCLE_1)
	s_and_b32 s30, s2, exec_lo
.LBB1195_334:
	s_or_b32 exec_lo, exec_lo, s31
	v_or_b32_e32 v17, 1, v39
	s_mov_b32 s2, 0
	s_mov_b32 s31, exec_lo
	s_delay_alu instid0(VALU_DEP_1)
	v_cmpx_gt_u32_e64 s20, v17
	s_cbranch_execz .LBB1195_345
; %bb.335:
	s_and_not1_b32 vcc_lo, exec_lo, s3
	s_cbranch_vccnz .LBB1195_344
; %bb.336:
	v_mul_lo_u32 v21, v16, s22
	v_mul_lo_u32 v22, v15, s23
	v_mad_u64_u32 v[17:18], null, v15, s22, 0
	v_mul_lo_u32 v23, v14, s22
	v_mul_lo_u32 v24, v13, s23
	v_mad_u64_u32 v[19:20], null, v13, s22, 0
	s_mov_b32 s2, -1
	s_mov_b32 s33, exec_lo
	s_delay_alu instid0(VALU_DEP_4) | instskip(NEXT) | instid1(VALU_DEP_2)
	v_add3_u32 v18, v18, v22, v21
	v_add3_u32 v20, v20, v24, v23
	s_delay_alu instid0(VALU_DEP_2) | instskip(NEXT) | instid1(VALU_DEP_2)
	v_lshlrev_b64 v[17:18], 1, v[17:18]
	v_lshlrev_b64 v[19:20], 1, v[19:20]
	s_delay_alu instid0(VALU_DEP_2) | instskip(NEXT) | instid1(VALU_DEP_3)
	v_add_co_u32 v17, vcc_lo, s8, v17
	v_add_co_ci_u32_e32 v18, vcc_lo, s9, v18, vcc_lo
	s_delay_alu instid0(VALU_DEP_3) | instskip(NEXT) | instid1(VALU_DEP_4)
	v_add_co_u32 v19, vcc_lo, s8, v19
	v_add_co_ci_u32_e32 v20, vcc_lo, s9, v20, vcc_lo
	s_clause 0x1
	global_load_u16 v21, v[17:18], off
	global_load_u16 v22, v[19:20], off
	s_waitcnt vmcnt(1)
	v_lshlrev_b32_e32 v21, 16, v21
	s_waitcnt vmcnt(0)
	v_lshlrev_b32_e32 v22, 16, v22
	s_delay_alu instid0(VALU_DEP_1)
	v_cmpx_eq_f32_e32 v22, v21
	s_cbranch_execz .LBB1195_343
; %bb.337:
	v_add_co_u32 v17, vcc_lo, v17, 2
	v_add_co_ci_u32_e32 v18, vcc_lo, 0, v18, vcc_lo
	v_add_co_u32 v19, vcc_lo, v19, 2
	v_add_co_ci_u32_e32 v20, vcc_lo, 0, v20, vcc_lo
	s_add_u32 s4, s22, -1
	s_addc_u32 s5, s23, -1
	s_mov_b64 s[6:7], 0
	s_mov_b32 s34, 0
                                        ; implicit-def: $sgpr35
	s_set_inst_prefetch_distance 0x1
	s_branch .LBB1195_340
	.p2align	6
.LBB1195_338:                           ;   in Loop: Header=BB1195_340 Depth=1
	global_load_u16 v21, v[17:18], off
	global_load_u16 v22, v[19:20], off
	v_add_co_u32 v17, vcc_lo, v17, 2
	v_add_co_ci_u32_e32 v18, vcc_lo, 0, v18, vcc_lo
	v_add_co_u32 v19, s2, v19, 2
	s_delay_alu instid0(VALU_DEP_1)
	v_add_co_ci_u32_e64 v20, s2, 0, v20, s2
	s_add_u32 s6, s6, 1
	s_addc_u32 s7, s7, 0
	s_and_not1_b32 s2, s35, exec_lo
	s_waitcnt vmcnt(1)
	v_lshlrev_b32_e32 v21, 16, v21
	s_waitcnt vmcnt(0)
	v_lshlrev_b32_e32 v22, 16, v22
	s_delay_alu instid0(VALU_DEP_1) | instskip(SKIP_1) | instid1(SALU_CYCLE_1)
	v_cmp_neq_f32_e32 vcc_lo, v22, v21
	s_and_b32 s35, vcc_lo, exec_lo
	s_or_b32 s35, s2, s35
.LBB1195_339:                           ;   in Loop: Header=BB1195_340 Depth=1
	v_dual_mov_b32 v22, s7 :: v_dual_mov_b32 v21, s6
	s_and_b32 s2, exec_lo, s35
	s_delay_alu instid0(SALU_CYCLE_1) | instskip(NEXT) | instid1(SALU_CYCLE_1)
	s_or_b32 s34, s2, s34
	s_and_not1_b32 exec_lo, exec_lo, s34
	s_cbranch_execz .LBB1195_342
.LBB1195_340:                           ; =>This Inner Loop Header: Depth=1
	s_or_b32 s35, s35, exec_lo
	s_cmp_eq_u64 s[4:5], s[6:7]
	s_cbranch_scc0 .LBB1195_338
; %bb.341:                              ;   in Loop: Header=BB1195_340 Depth=1
	s_mov_b64 s[6:7], s[22:23]
                                        ; implicit-def: $vgpr17_vgpr18
                                        ; implicit-def: $vgpr19_vgpr20
	s_branch .LBB1195_339
.LBB1195_342:
	s_set_inst_prefetch_distance 0x2
	s_or_b32 exec_lo, exec_lo, s34
	v_cmp_gt_i64_e32 vcc_lo, s[22:23], v[21:22]
	s_or_not1_b32 s2, vcc_lo, exec_lo
.LBB1195_343:
	s_or_b32 exec_lo, exec_lo, s33
.LBB1195_344:
	s_delay_alu instid0(SALU_CYCLE_1)
	s_and_b32 s2, s2, exec_lo
.LBB1195_345:
	s_or_b32 exec_lo, exec_lo, s31
	v_cndmask_b32_e64 v18, 0, 1, s29
	v_cndmask_b32_e64 v19, 0, 1, s28
	;; [unrolled: 1-line block ×7, first 2 shown]
	v_lshlrev_b16 v19, 8, v19
	v_lshlrev_b16 v20, 8, v20
	;; [unrolled: 1-line block ×4, first 2 shown]
	s_mov_b32 s19, exec_lo
	v_or_b32_e32 v19, v22, v19
	v_or_b32_e32 v20, v23, v20
	;; [unrolled: 1-line block ×4, first 2 shown]
	s_delay_alu instid0(VALU_DEP_4) | instskip(NEXT) | instid1(VALU_DEP_4)
	v_and_b32_e32 v18, 0xffff, v19
	v_lshlrev_b32_e32 v19, 16, v20
	s_delay_alu instid0(VALU_DEP_4) | instskip(NEXT) | instid1(VALU_DEP_4)
	v_and_b32_e32 v20, 0xffff, v21
	v_lshlrev_b32_e32 v17, 16, v17
	s_barrier
	buffer_gl0_inv
	v_or_b32_e32 v18, v18, v19
                                        ; implicit-def: $sgpr2
	v_or_b32_e32 v17, v20, v17
	v_cmpx_ne_u32_e32 0, v0
	s_cbranch_execz .LBB1195_358
; %bb.346:
	s_mov_b32 s2, 0
	s_mov_b32 s26, exec_lo
	v_cmpx_gt_u32_e64 s20, v39
	s_cbranch_execz .LBB1195_357
; %bb.347:
	s_and_not1_b32 vcc_lo, exec_lo, s3
	s_cbranch_vccnz .LBB1195_356
; %bb.348:
	v_add_nc_u32_e32 v19, -8, v39
	v_mul_lo_u32 v25, v14, s22
	v_mul_lo_u32 v26, v13, s23
	v_mad_u64_u32 v[21:22], null, v13, s22, 0
	ds_load_b64 v[19:20], v19
	s_mov_b32 s2, -1
	s_mov_b32 s3, exec_lo
	v_add3_u32 v22, v22, v26, v25
	s_waitcnt lgkmcnt(0)
	v_mul_lo_u32 v20, v20, s22
	v_mul_lo_u32 v27, v19, s23
	v_mad_u64_u32 v[23:24], null, v19, s22, 0
	s_delay_alu instid0(VALU_DEP_1) | instskip(SKIP_1) | instid1(VALU_DEP_2)
	v_add3_u32 v24, v24, v27, v20
	v_lshlrev_b64 v[19:20], 1, v[21:22]
	v_lshlrev_b64 v[21:22], 1, v[23:24]
	s_delay_alu instid0(VALU_DEP_2) | instskip(NEXT) | instid1(VALU_DEP_3)
	v_add_co_u32 v19, vcc_lo, s8, v19
	v_add_co_ci_u32_e32 v20, vcc_lo, s9, v20, vcc_lo
	s_delay_alu instid0(VALU_DEP_3) | instskip(NEXT) | instid1(VALU_DEP_4)
	v_add_co_u32 v21, vcc_lo, s8, v21
	v_add_co_ci_u32_e32 v22, vcc_lo, s9, v22, vcc_lo
	s_clause 0x1
	global_load_u16 v23, v[19:20], off
	global_load_u16 v24, v[21:22], off
	s_waitcnt vmcnt(1)
	v_lshlrev_b32_e32 v23, 16, v23
	s_waitcnt vmcnt(0)
	v_lshlrev_b32_e32 v24, 16, v24
	s_delay_alu instid0(VALU_DEP_1)
	v_cmpx_eq_f32_e32 v24, v23
	s_cbranch_execz .LBB1195_355
; %bb.349:
	v_add_co_u32 v19, vcc_lo, v19, 2
	v_add_co_ci_u32_e32 v20, vcc_lo, 0, v20, vcc_lo
	v_add_co_u32 v21, vcc_lo, v21, 2
	v_add_co_ci_u32_e32 v22, vcc_lo, 0, v22, vcc_lo
	s_add_u32 s4, s22, -1
	s_addc_u32 s5, s23, -1
	s_mov_b64 s[6:7], 0
	s_mov_b32 s8, 0
                                        ; implicit-def: $sgpr9
	s_set_inst_prefetch_distance 0x1
	s_branch .LBB1195_352
	.p2align	6
.LBB1195_350:                           ;   in Loop: Header=BB1195_352 Depth=1
	global_load_u16 v23, v[19:20], off
	global_load_u16 v24, v[21:22], off
	v_add_co_u32 v19, vcc_lo, v19, 2
	v_add_co_ci_u32_e32 v20, vcc_lo, 0, v20, vcc_lo
	v_add_co_u32 v21, s2, v21, 2
	s_delay_alu instid0(VALU_DEP_1)
	v_add_co_ci_u32_e64 v22, s2, 0, v22, s2
	s_add_u32 s6, s6, 1
	s_addc_u32 s7, s7, 0
	s_and_not1_b32 s2, s9, exec_lo
	s_waitcnt vmcnt(1)
	v_lshlrev_b32_e32 v23, 16, v23
	s_waitcnt vmcnt(0)
	v_lshlrev_b32_e32 v24, 16, v24
	s_delay_alu instid0(VALU_DEP_1) | instskip(SKIP_1) | instid1(SALU_CYCLE_1)
	v_cmp_neq_f32_e32 vcc_lo, v24, v23
	s_and_b32 s9, vcc_lo, exec_lo
	s_or_b32 s9, s2, s9
.LBB1195_351:                           ;   in Loop: Header=BB1195_352 Depth=1
	v_dual_mov_b32 v24, s7 :: v_dual_mov_b32 v23, s6
	s_and_b32 s2, exec_lo, s9
	s_delay_alu instid0(SALU_CYCLE_1) | instskip(NEXT) | instid1(SALU_CYCLE_1)
	s_or_b32 s8, s2, s8
	s_and_not1_b32 exec_lo, exec_lo, s8
	s_cbranch_execz .LBB1195_354
.LBB1195_352:                           ; =>This Inner Loop Header: Depth=1
	s_or_b32 s9, s9, exec_lo
	s_cmp_eq_u64 s[4:5], s[6:7]
	s_cbranch_scc0 .LBB1195_350
; %bb.353:                              ;   in Loop: Header=BB1195_352 Depth=1
	s_mov_b64 s[6:7], s[22:23]
                                        ; implicit-def: $vgpr19_vgpr20
                                        ; implicit-def: $vgpr21_vgpr22
	s_branch .LBB1195_351
.LBB1195_354:
	s_set_inst_prefetch_distance 0x2
	s_or_b32 exec_lo, exec_lo, s8
	v_cmp_gt_i64_e32 vcc_lo, s[22:23], v[23:24]
	s_or_not1_b32 s2, vcc_lo, exec_lo
.LBB1195_355:
	s_or_b32 exec_lo, exec_lo, s3
.LBB1195_356:
	s_delay_alu instid0(SALU_CYCLE_1)
	s_and_b32 s2, s2, exec_lo
.LBB1195_357:
	s_or_b32 exec_lo, exec_lo, s26
	s_delay_alu instid0(SALU_CYCLE_1)
	s_and_b32 s2, s2, exec_lo
	s_or_b32 s18, s18, exec_lo
.LBB1195_358:
	s_or_b32 exec_lo, exec_lo, s19
.LBB1195_359:
	s_and_saveexec_b32 s3, s18
	s_cbranch_execz .LBB1195_361
; %bb.360:
	s_waitcnt lgkmcnt(0)
	v_and_b32_e32 v19, 0xffffff00, v17
	v_cndmask_b32_e64 v20, 0, 1, s2
	s_delay_alu instid0(VALU_DEP_1) | instskip(NEXT) | instid1(VALU_DEP_1)
	v_or_b32_e32 v19, v20, v19
	v_and_b32_e32 v19, 0xffff, v19
	s_delay_alu instid0(VALU_DEP_1)
	v_and_or_b32 v17, 0xffff0000, v17, v19
.LBB1195_361:
	s_or_b32 exec_lo, exec_lo, s3
	s_delay_alu instid0(SALU_CYCLE_1)
	s_and_not1_b32 vcc_lo, exec_lo, s24
	s_cbranch_vccnz .LBB1195_363
; %bb.362:
	v_cmp_gt_u32_e32 vcc_lo, s20, v39
	s_waitcnt lgkmcnt(0)
	v_or_b32_e32 v20, 1, v39
	v_and_b32_e32 v21, 0xffffff00, v18
	v_or_b32_e32 v22, 2, v39
	v_cndmask_b32_e32 v19, 0, v17, vcc_lo
	s_delay_alu instid0(VALU_DEP_4) | instskip(SKIP_1) | instid1(VALU_DEP_4)
	v_cmp_gt_u32_e32 vcc_lo, s20, v20
	v_or_b32_e32 v20, 4, v39
	v_cmp_gt_u32_e64 s2, s20, v22
	v_or_b32_e32 v22, 3, v39
	v_and_b32_e32 v19, 0xff, v19
	s_delay_alu instid0(VALU_DEP_2) | instskip(NEXT) | instid1(VALU_DEP_2)
	v_cmp_gt_u32_e64 s3, s20, v22
	v_cndmask_b32_e32 v19, v19, v17, vcc_lo
	v_cmp_gt_u32_e32 vcc_lo, s20, v20
	v_cndmask_b32_e32 v20, v21, v18, vcc_lo
	v_or_b32_e32 v21, 5, v39
	s_delay_alu instid0(VALU_DEP_2) | instskip(SKIP_1) | instid1(VALU_DEP_1)
	v_and_b32_e32 v20, 0xffff00ff, v20
	v_and_b32_e32 v19, 0xffff, v19
	v_cndmask_b32_e64 v19, v19, v17, s2
	s_delay_alu instid0(VALU_DEP_4) | instskip(SKIP_1) | instid1(VALU_DEP_3)
	v_cmp_gt_u32_e64 s2, s20, v21
	v_or_b32_e32 v21, 6, v39
	v_and_b32_e32 v19, 0xffffff, v19
	s_delay_alu instid0(VALU_DEP_3) | instskip(NEXT) | instid1(VALU_DEP_2)
	v_cndmask_b32_e64 v20, v20, v18, s2
	v_cndmask_b32_e64 v19, v19, v17, s3
	s_delay_alu instid0(VALU_DEP_1) | instskip(SKIP_2) | instid1(VALU_DEP_3)
	v_dual_cndmask_b32 v19, v19, v17 :: v_dual_and_b32 v20, 0xff00ffff, v20
	v_cmp_gt_u32_e32 vcc_lo, s20, v21
	v_or_b32_e32 v21, 7, v39
	v_cndmask_b32_e64 v19, v19, v17, s2
	s_delay_alu instid0(VALU_DEP_1) | instskip(NEXT) | instid1(VALU_DEP_1)
	v_dual_cndmask_b32 v20, v20, v18 :: v_dual_cndmask_b32 v19, v19, v17
	v_and_b32_e32 v20, 0xffffff, v20
	s_delay_alu instid0(VALU_DEP_4) | instskip(NEXT) | instid1(VALU_DEP_2)
	v_cmp_gt_u32_e32 vcc_lo, s20, v21
	v_dual_cndmask_b32 v18, v20, v18 :: v_dual_cndmask_b32 v17, v19, v17
.LBB1195_363:
	s_delay_alu instid0(VALU_DEP_1) | instskip(SKIP_1) | instid1(VALU_DEP_2)
	v_and_b32_e32 v26, 0xff, v17
	s_waitcnt lgkmcnt(0)
	v_alignbit_b32 v19, v18, v17, 24
	v_bfe_u32 v28, v17, 8, 8
	v_bfe_u32 v30, v17, 16, 8
	v_and_b32_e32 v34, 0xff, v18
	v_bfe_u32 v36, v18, 8, 8
	v_and_b32_e32 v32, 0xff, v19
	v_add_nc_u32_e32 v19, v28, v26
	v_mbcnt_lo_u32_b32 v41, -1, 0
	v_bfe_u32 v38, v18, 16, 8
	v_lshrrev_b32_e32 v40, 24, v18
	v_lshrrev_b32_e32 v42, 5, v0
	v_add3_u32 v19, v19, v30, v32
	v_and_b32_e32 v20, 15, v41
	v_and_b32_e32 v21, 16, v41
	s_and_b32 vcc_lo, exec_lo, s25
	s_mov_b32 s18, -1
	v_add3_u32 v19, v19, v34, v36
	v_cmp_eq_u32_e64 s4, 0, v20
	v_cmp_lt_u32_e64 s2, 1, v20
	v_cmp_lt_u32_e64 s5, 3, v20
	;; [unrolled: 1-line block ×3, first 2 shown]
	v_add3_u32 v43, v19, v38, v40
	v_or_b32_e32 v19, 31, v0
	v_cmp_eq_u32_e64 s7, 0, v21
	s_barrier
	buffer_gl0_inv
	v_cmp_eq_u32_e64 s6, v19, v0
	s_cbranch_vccz .LBB1195_394
; %bb.364:
	v_mov_b32_dpp v19, v43 row_shr:1 row_mask:0xf bank_mask:0xf
	s_delay_alu instid0(VALU_DEP_1) | instskip(NEXT) | instid1(VALU_DEP_1)
	v_cndmask_b32_e64 v19, v19, 0, s4
	v_add_nc_u32_e32 v19, v19, v43
	s_delay_alu instid0(VALU_DEP_1) | instskip(NEXT) | instid1(VALU_DEP_1)
	v_mov_b32_dpp v20, v19 row_shr:2 row_mask:0xf bank_mask:0xf
	v_cndmask_b32_e64 v20, 0, v20, s2
	s_delay_alu instid0(VALU_DEP_1) | instskip(NEXT) | instid1(VALU_DEP_1)
	v_add_nc_u32_e32 v19, v19, v20
	v_mov_b32_dpp v20, v19 row_shr:4 row_mask:0xf bank_mask:0xf
	s_delay_alu instid0(VALU_DEP_1) | instskip(NEXT) | instid1(VALU_DEP_1)
	v_cndmask_b32_e64 v20, 0, v20, s5
	v_add_nc_u32_e32 v19, v19, v20
	s_delay_alu instid0(VALU_DEP_1) | instskip(NEXT) | instid1(VALU_DEP_1)
	v_mov_b32_dpp v20, v19 row_shr:8 row_mask:0xf bank_mask:0xf
	v_cndmask_b32_e64 v20, 0, v20, s3
	s_delay_alu instid0(VALU_DEP_1) | instskip(SKIP_3) | instid1(VALU_DEP_1)
	v_add_nc_u32_e32 v19, v19, v20
	ds_swizzle_b32 v20, v19 offset:swizzle(BROADCAST,32,15)
	s_waitcnt lgkmcnt(0)
	v_cndmask_b32_e64 v20, v20, 0, s7
	v_add_nc_u32_e32 v19, v19, v20
	s_and_saveexec_b32 s8, s6
	s_cbranch_execz .LBB1195_366
; %bb.365:
	v_lshlrev_b32_e32 v20, 2, v42
	ds_store_b32 v20, v19
.LBB1195_366:
	s_or_b32 exec_lo, exec_lo, s8
	s_delay_alu instid0(SALU_CYCLE_1)
	s_mov_b32 s8, exec_lo
	s_waitcnt lgkmcnt(0)
	s_barrier
	buffer_gl0_inv
	v_cmpx_gt_u32_e32 16, v0
	s_cbranch_execz .LBB1195_368
; %bb.367:
	v_lshlrev_b32_e32 v20, 2, v0
	ds_load_b32 v21, v20
	s_waitcnt lgkmcnt(0)
	v_mov_b32_dpp v22, v21 row_shr:1 row_mask:0xf bank_mask:0xf
	s_delay_alu instid0(VALU_DEP_1) | instskip(NEXT) | instid1(VALU_DEP_1)
	v_cndmask_b32_e64 v22, v22, 0, s4
	v_add_nc_u32_e32 v21, v22, v21
	s_delay_alu instid0(VALU_DEP_1) | instskip(NEXT) | instid1(VALU_DEP_1)
	v_mov_b32_dpp v22, v21 row_shr:2 row_mask:0xf bank_mask:0xf
	v_cndmask_b32_e64 v22, 0, v22, s2
	s_delay_alu instid0(VALU_DEP_1) | instskip(NEXT) | instid1(VALU_DEP_1)
	v_add_nc_u32_e32 v21, v21, v22
	v_mov_b32_dpp v22, v21 row_shr:4 row_mask:0xf bank_mask:0xf
	s_delay_alu instid0(VALU_DEP_1) | instskip(NEXT) | instid1(VALU_DEP_1)
	v_cndmask_b32_e64 v22, 0, v22, s5
	v_add_nc_u32_e32 v21, v21, v22
	s_delay_alu instid0(VALU_DEP_1) | instskip(NEXT) | instid1(VALU_DEP_1)
	v_mov_b32_dpp v22, v21 row_shr:8 row_mask:0xf bank_mask:0xf
	v_cndmask_b32_e64 v22, 0, v22, s3
	s_delay_alu instid0(VALU_DEP_1)
	v_add_nc_u32_e32 v21, v21, v22
	ds_store_b32 v20, v21
.LBB1195_368:
	s_or_b32 exec_lo, exec_lo, s8
	v_cmp_gt_u32_e32 vcc_lo, 32, v0
	s_mov_b32 s9, exec_lo
	s_waitcnt lgkmcnt(0)
	s_barrier
	buffer_gl0_inv
                                        ; implicit-def: $vgpr27
	v_cmpx_lt_u32_e32 31, v0
	s_cbranch_execz .LBB1195_370
; %bb.369:
	v_lshl_add_u32 v20, v42, 2, -4
	ds_load_b32 v27, v20
	s_waitcnt lgkmcnt(0)
	v_add_nc_u32_e32 v19, v27, v19
.LBB1195_370:
	s_or_b32 exec_lo, exec_lo, s9
	v_add_nc_u32_e32 v20, -1, v41
	s_delay_alu instid0(VALU_DEP_1) | instskip(NEXT) | instid1(VALU_DEP_1)
	v_cmp_gt_i32_e64 s8, 0, v20
	v_cndmask_b32_e64 v20, v20, v41, s8
	v_cmp_eq_u32_e64 s8, 0, v41
	s_delay_alu instid0(VALU_DEP_2)
	v_lshlrev_b32_e32 v20, 2, v20
	ds_bpermute_b32 v29, v20, v19
	s_and_saveexec_b32 s9, vcc_lo
	s_cbranch_execz .LBB1195_393
; %bb.371:
	v_mov_b32_e32 v22, 0
	ds_load_b32 v19, v22 offset:60
	s_and_saveexec_b32 s18, s8
	s_cbranch_execz .LBB1195_373
; %bb.372:
	s_add_i32 s22, s15, 32
	s_mov_b32 s23, 0
	v_mov_b32_e32 v20, 1
	s_lshl_b64 s[22:23], s[22:23], 3
	s_delay_alu instid0(SALU_CYCLE_1)
	s_add_u32 s22, s10, s22
	s_addc_u32 s23, s11, s23
	s_waitcnt lgkmcnt(0)
	global_store_b64 v22, v[19:20], s[22:23]
.LBB1195_373:
	s_or_b32 exec_lo, exec_lo, s18
	v_xad_u32 v20, v41, -1, s15
	s_mov_b32 s19, 0
	s_mov_b32 s18, exec_lo
	s_delay_alu instid0(VALU_DEP_1) | instskip(NEXT) | instid1(VALU_DEP_1)
	v_add_nc_u32_e32 v21, 32, v20
	v_lshlrev_b64 v[21:22], 3, v[21:22]
	s_delay_alu instid0(VALU_DEP_1) | instskip(NEXT) | instid1(VALU_DEP_2)
	v_add_co_u32 v24, vcc_lo, s10, v21
	v_add_co_ci_u32_e32 v25, vcc_lo, s11, v22, vcc_lo
	global_load_b64 v[22:23], v[24:25], off glc
	s_waitcnt vmcnt(0)
	v_and_b32_e32 v21, 0xff, v23
	s_delay_alu instid0(VALU_DEP_1)
	v_cmpx_eq_u16_e32 0, v21
	s_cbranch_execz .LBB1195_379
; %bb.374:
	s_mov_b32 s20, 1
	.p2align	6
.LBB1195_375:                           ; =>This Loop Header: Depth=1
                                        ;     Child Loop BB1195_376 Depth 2
	s_delay_alu instid0(SALU_CYCLE_1)
	s_max_u32 s22, s20, 1
.LBB1195_376:                           ;   Parent Loop BB1195_375 Depth=1
                                        ; =>  This Inner Loop Header: Depth=2
	s_delay_alu instid0(SALU_CYCLE_1)
	s_add_i32 s22, s22, -1
	s_sleep 1
	s_cmp_eq_u32 s22, 0
	s_cbranch_scc0 .LBB1195_376
; %bb.377:                              ;   in Loop: Header=BB1195_375 Depth=1
	global_load_b64 v[22:23], v[24:25], off glc
	s_cmp_lt_u32 s20, 32
	s_cselect_b32 s22, -1, 0
	s_delay_alu instid0(SALU_CYCLE_1) | instskip(SKIP_3) | instid1(VALU_DEP_1)
	s_cmp_lg_u32 s22, 0
	s_addc_u32 s20, s20, 0
	s_waitcnt vmcnt(0)
	v_and_b32_e32 v21, 0xff, v23
	v_cmp_ne_u16_e32 vcc_lo, 0, v21
	s_or_b32 s19, vcc_lo, s19
	s_delay_alu instid0(SALU_CYCLE_1)
	s_and_not1_b32 exec_lo, exec_lo, s19
	s_cbranch_execnz .LBB1195_375
; %bb.378:
	s_or_b32 exec_lo, exec_lo, s19
.LBB1195_379:
	s_delay_alu instid0(SALU_CYCLE_1)
	s_or_b32 exec_lo, exec_lo, s18
	v_cmp_ne_u32_e32 vcc_lo, 31, v41
	v_lshlrev_b32_e64 v33, v41, -1
	v_add_nc_u32_e32 v37, 2, v41
	v_add_nc_u32_e32 v46, 4, v41
	;; [unrolled: 1-line block ×3, first 2 shown]
	v_add_co_ci_u32_e32 v21, vcc_lo, 0, v41, vcc_lo
	v_add_nc_u32_e32 v50, 16, v41
	s_delay_alu instid0(VALU_DEP_2)
	v_lshlrev_b32_e32 v31, 2, v21
	v_and_b32_e32 v21, 0xff, v23
	ds_bpermute_b32 v24, v31, v22
	v_cmp_eq_u16_e32 vcc_lo, 2, v21
	v_and_or_b32 v21, vcc_lo, v33, 0x80000000
	v_cmp_gt_u32_e32 vcc_lo, 30, v41
	s_delay_alu instid0(VALU_DEP_2) | instskip(SKIP_1) | instid1(VALU_DEP_2)
	v_ctz_i32_b32_e32 v21, v21
	v_cndmask_b32_e64 v25, 0, 1, vcc_lo
	v_cmp_lt_u32_e32 vcc_lo, v41, v21
	s_waitcnt lgkmcnt(0)
	s_delay_alu instid0(VALU_DEP_2) | instskip(NEXT) | instid1(VALU_DEP_1)
	v_dual_cndmask_b32 v24, 0, v24 :: v_dual_lshlrev_b32 v25, 1, v25
	v_add_lshl_u32 v35, v25, v41, 2
	v_cmp_gt_u32_e32 vcc_lo, 28, v41
	s_delay_alu instid0(VALU_DEP_3) | instskip(SKIP_4) | instid1(VALU_DEP_1)
	v_add_nc_u32_e32 v22, v24, v22
	v_cndmask_b32_e64 v25, 0, 1, vcc_lo
	v_cmp_le_u32_e32 vcc_lo, v37, v21
	ds_bpermute_b32 v24, v35, v22
	v_lshlrev_b32_e32 v25, 2, v25
	v_add_lshl_u32 v44, v25, v41, 2
	s_waitcnt lgkmcnt(0)
	v_cndmask_b32_e32 v24, 0, v24, vcc_lo
	v_cmp_gt_u32_e32 vcc_lo, 24, v41
	s_delay_alu instid0(VALU_DEP_2) | instskip(SKIP_4) | instid1(VALU_DEP_1)
	v_add_nc_u32_e32 v22, v22, v24
	v_cndmask_b32_e64 v25, 0, 1, vcc_lo
	v_cmp_le_u32_e32 vcc_lo, v46, v21
	ds_bpermute_b32 v24, v44, v22
	v_lshlrev_b32_e32 v25, 3, v25
	v_add_lshl_u32 v47, v25, v41, 2
	s_waitcnt lgkmcnt(0)
	v_cndmask_b32_e32 v24, 0, v24, vcc_lo
	v_cmp_gt_u32_e32 vcc_lo, 16, v41
	s_delay_alu instid0(VALU_DEP_2) | instskip(SKIP_4) | instid1(VALU_DEP_1)
	v_add_nc_u32_e32 v22, v22, v24
	v_cndmask_b32_e64 v25, 0, 1, vcc_lo
	v_cmp_le_u32_e32 vcc_lo, v48, v21
	ds_bpermute_b32 v24, v47, v22
	v_lshlrev_b32_e32 v25, 4, v25
	v_add_lshl_u32 v49, v25, v41, 2
	s_waitcnt lgkmcnt(0)
	v_cndmask_b32_e32 v24, 0, v24, vcc_lo
	v_cmp_le_u32_e32 vcc_lo, v50, v21
	s_delay_alu instid0(VALU_DEP_2) | instskip(SKIP_3) | instid1(VALU_DEP_1)
	v_add_nc_u32_e32 v22, v22, v24
	ds_bpermute_b32 v24, v49, v22
	s_waitcnt lgkmcnt(0)
	v_cndmask_b32_e32 v21, 0, v24, vcc_lo
	v_dual_mov_b32 v21, 0 :: v_dual_add_nc_u32 v22, v22, v21
	s_branch .LBB1195_381
.LBB1195_380:                           ;   in Loop: Header=BB1195_381 Depth=1
	s_or_b32 exec_lo, exec_lo, s18
	ds_bpermute_b32 v25, v31, v22
	v_and_b32_e32 v24, 0xff, v23
	v_subrev_nc_u32_e32 v20, 32, v20
	s_delay_alu instid0(VALU_DEP_2) | instskip(SKIP_1) | instid1(VALU_DEP_1)
	v_cmp_eq_u16_e32 vcc_lo, 2, v24
	v_and_or_b32 v24, vcc_lo, v33, 0x80000000
	v_ctz_i32_b32_e32 v24, v24
	s_delay_alu instid0(VALU_DEP_1) | instskip(SKIP_3) | instid1(VALU_DEP_2)
	v_cmp_lt_u32_e32 vcc_lo, v41, v24
	s_waitcnt lgkmcnt(0)
	v_cndmask_b32_e32 v25, 0, v25, vcc_lo
	v_cmp_le_u32_e32 vcc_lo, v37, v24
	v_add_nc_u32_e32 v22, v25, v22
	ds_bpermute_b32 v25, v35, v22
	s_waitcnt lgkmcnt(0)
	v_cndmask_b32_e32 v25, 0, v25, vcc_lo
	v_cmp_le_u32_e32 vcc_lo, v46, v24
	s_delay_alu instid0(VALU_DEP_2) | instskip(SKIP_4) | instid1(VALU_DEP_2)
	v_add_nc_u32_e32 v22, v22, v25
	ds_bpermute_b32 v25, v44, v22
	s_waitcnt lgkmcnt(0)
	v_cndmask_b32_e32 v25, 0, v25, vcc_lo
	v_cmp_le_u32_e32 vcc_lo, v48, v24
	v_add_nc_u32_e32 v22, v22, v25
	ds_bpermute_b32 v25, v47, v22
	s_waitcnt lgkmcnt(0)
	v_cndmask_b32_e32 v25, 0, v25, vcc_lo
	v_cmp_le_u32_e32 vcc_lo, v50, v24
	s_delay_alu instid0(VALU_DEP_2) | instskip(SKIP_3) | instid1(VALU_DEP_1)
	v_add_nc_u32_e32 v22, v22, v25
	ds_bpermute_b32 v25, v49, v22
	s_waitcnt lgkmcnt(0)
	v_cndmask_b32_e32 v24, 0, v25, vcc_lo
	v_add3_u32 v22, v24, v45, v22
.LBB1195_381:                           ; =>This Loop Header: Depth=1
                                        ;     Child Loop BB1195_384 Depth 2
                                        ;       Child Loop BB1195_385 Depth 3
	v_and_b32_e32 v23, 0xff, v23
	s_delay_alu instid0(VALU_DEP_2) | instskip(NEXT) | instid1(VALU_DEP_2)
	v_mov_b32_e32 v45, v22
	v_cmp_ne_u16_e32 vcc_lo, 2, v23
	v_cndmask_b32_e64 v23, 0, 1, vcc_lo
	;;#ASMSTART
	;;#ASMEND
	s_delay_alu instid0(VALU_DEP_1)
	v_cmp_ne_u32_e32 vcc_lo, 0, v23
	s_cmp_lg_u32 vcc_lo, exec_lo
	s_cbranch_scc1 .LBB1195_388
; %bb.382:                              ;   in Loop: Header=BB1195_381 Depth=1
	v_lshlrev_b64 v[22:23], 3, v[20:21]
	s_mov_b32 s18, exec_lo
	s_delay_alu instid0(VALU_DEP_1) | instskip(NEXT) | instid1(VALU_DEP_2)
	v_add_co_u32 v24, vcc_lo, s10, v22
	v_add_co_ci_u32_e32 v25, vcc_lo, s11, v23, vcc_lo
	global_load_b64 v[22:23], v[24:25], off glc
	s_waitcnt vmcnt(0)
	v_and_b32_e32 v51, 0xff, v23
	s_delay_alu instid0(VALU_DEP_1)
	v_cmpx_eq_u16_e32 0, v51
	s_cbranch_execz .LBB1195_380
; %bb.383:                              ;   in Loop: Header=BB1195_381 Depth=1
	s_mov_b32 s20, 1
	s_mov_b32 s19, 0
	.p2align	6
.LBB1195_384:                           ;   Parent Loop BB1195_381 Depth=1
                                        ; =>  This Loop Header: Depth=2
                                        ;       Child Loop BB1195_385 Depth 3
	s_max_u32 s22, s20, 1
.LBB1195_385:                           ;   Parent Loop BB1195_381 Depth=1
                                        ;     Parent Loop BB1195_384 Depth=2
                                        ; =>    This Inner Loop Header: Depth=3
	s_delay_alu instid0(SALU_CYCLE_1)
	s_add_i32 s22, s22, -1
	s_sleep 1
	s_cmp_eq_u32 s22, 0
	s_cbranch_scc0 .LBB1195_385
; %bb.386:                              ;   in Loop: Header=BB1195_384 Depth=2
	global_load_b64 v[22:23], v[24:25], off glc
	s_cmp_lt_u32 s20, 32
	s_cselect_b32 s22, -1, 0
	s_delay_alu instid0(SALU_CYCLE_1) | instskip(SKIP_3) | instid1(VALU_DEP_1)
	s_cmp_lg_u32 s22, 0
	s_addc_u32 s20, s20, 0
	s_waitcnt vmcnt(0)
	v_and_b32_e32 v51, 0xff, v23
	v_cmp_ne_u16_e32 vcc_lo, 0, v51
	s_or_b32 s19, vcc_lo, s19
	s_delay_alu instid0(SALU_CYCLE_1)
	s_and_not1_b32 exec_lo, exec_lo, s19
	s_cbranch_execnz .LBB1195_384
; %bb.387:                              ;   in Loop: Header=BB1195_381 Depth=1
	s_or_b32 exec_lo, exec_lo, s19
	s_branch .LBB1195_380
.LBB1195_388:                           ;   in Loop: Header=BB1195_381 Depth=1
                                        ; implicit-def: $vgpr22
                                        ; implicit-def: $vgpr23
	s_cbranch_execz .LBB1195_381
; %bb.389:
	s_and_saveexec_b32 s18, s8
	s_cbranch_execz .LBB1195_391
; %bb.390:
	s_add_i32 s22, s15, 32
	s_mov_b32 s23, 0
	v_dual_mov_b32 v21, 2 :: v_dual_add_nc_u32 v20, v45, v19
	s_lshl_b64 s[22:23], s[22:23], 3
	v_mov_b32_e32 v22, 0
	v_add_nc_u32_e64 v23, 0x8400, 0
	s_add_u32 s22, s10, s22
	s_addc_u32 s23, s11, s23
	global_store_b64 v22, v[20:21], s[22:23]
	ds_store_2addr_b32 v23, v19, v45 offset1:2
.LBB1195_391:
	s_or_b32 exec_lo, exec_lo, s18
	v_cmp_eq_u32_e32 vcc_lo, 0, v0
	s_and_b32 exec_lo, exec_lo, vcc_lo
	s_cbranch_execz .LBB1195_393
; %bb.392:
	v_mov_b32_e32 v19, 0
	ds_store_b32 v19, v45 offset:60
.LBB1195_393:
	s_or_b32 exec_lo, exec_lo, s9
	s_waitcnt lgkmcnt(0)
	v_cndmask_b32_e64 v20, v29, v27, s8
	v_cmp_ne_u32_e32 vcc_lo, 0, v0
	v_mov_b32_e32 v19, 0
	s_waitcnt_vscnt null, 0x0
	s_barrier
	buffer_gl0_inv
	v_cndmask_b32_e32 v20, 0, v20, vcc_lo
	ds_load_b32 v19, v19 offset:60
	s_waitcnt lgkmcnt(0)
	s_barrier
	buffer_gl0_inv
	v_add_nc_u32_e32 v37, v19, v20
	v_add_nc_u32_e64 v19, 0x8400, 0
	s_delay_alu instid0(VALU_DEP_2) | instskip(SKIP_2) | instid1(VALU_DEP_1)
	v_add_nc_u32_e32 v35, v37, v26
	ds_load_2addr_b32 v[19:20], v19 offset1:2
	v_add_nc_u32_e32 v33, v35, v28
	v_add_nc_u32_e32 v31, v33, v30
	s_delay_alu instid0(VALU_DEP_1) | instskip(NEXT) | instid1(VALU_DEP_1)
	v_add_nc_u32_e32 v29, v31, v32
	v_add_nc_u32_e32 v27, v29, v34
	s_delay_alu instid0(VALU_DEP_1) | instskip(NEXT) | instid1(VALU_DEP_1)
	v_add_nc_u32_e32 v25, v27, v36
	v_add_nc_u32_e32 v23, v25, v38
	s_load_b64 s[8:9], s[0:1], 0x28
	v_lshrrev_b64 v[21:22], 24, v[17:18]
	s_branch .LBB1195_404
.LBB1195_394:
                                        ; implicit-def: $vgpr23
                                        ; implicit-def: $vgpr25
                                        ; implicit-def: $vgpr27
                                        ; implicit-def: $vgpr29
                                        ; implicit-def: $vgpr31
                                        ; implicit-def: $vgpr33
                                        ; implicit-def: $vgpr35
                                        ; implicit-def: $vgpr37
                                        ; implicit-def: $vgpr20
	s_load_b64 s[8:9], s[0:1], 0x28
	v_lshrrev_b64 v[21:22], 24, v[17:18]
	s_and_b32 vcc_lo, exec_lo, s18
	s_cbranch_vccz .LBB1195_404
; %bb.395:
	s_waitcnt lgkmcnt(0)
	v_mov_b32_dpp v19, v43 row_shr:1 row_mask:0xf bank_mask:0xf
	s_delay_alu instid0(VALU_DEP_1) | instskip(NEXT) | instid1(VALU_DEP_1)
	v_cndmask_b32_e64 v19, v19, 0, s4
	v_add_nc_u32_e32 v19, v19, v43
	s_delay_alu instid0(VALU_DEP_1) | instskip(NEXT) | instid1(VALU_DEP_1)
	v_mov_b32_dpp v20, v19 row_shr:2 row_mask:0xf bank_mask:0xf
	v_cndmask_b32_e64 v20, 0, v20, s2
	s_delay_alu instid0(VALU_DEP_1) | instskip(NEXT) | instid1(VALU_DEP_1)
	v_add_nc_u32_e32 v19, v19, v20
	v_mov_b32_dpp v20, v19 row_shr:4 row_mask:0xf bank_mask:0xf
	s_delay_alu instid0(VALU_DEP_1) | instskip(NEXT) | instid1(VALU_DEP_1)
	v_cndmask_b32_e64 v20, 0, v20, s5
	v_add_nc_u32_e32 v19, v19, v20
	s_delay_alu instid0(VALU_DEP_1) | instskip(NEXT) | instid1(VALU_DEP_1)
	v_mov_b32_dpp v20, v19 row_shr:8 row_mask:0xf bank_mask:0xf
	v_cndmask_b32_e64 v20, 0, v20, s3
	s_delay_alu instid0(VALU_DEP_1) | instskip(SKIP_3) | instid1(VALU_DEP_1)
	v_add_nc_u32_e32 v19, v19, v20
	ds_swizzle_b32 v20, v19 offset:swizzle(BROADCAST,32,15)
	s_waitcnt lgkmcnt(0)
	v_cndmask_b32_e64 v20, v20, 0, s7
	v_add_nc_u32_e32 v19, v19, v20
	s_and_saveexec_b32 s0, s6
	s_cbranch_execz .LBB1195_397
; %bb.396:
	v_lshlrev_b32_e32 v20, 2, v42
	ds_store_b32 v20, v19
.LBB1195_397:
	s_or_b32 exec_lo, exec_lo, s0
	s_delay_alu instid0(SALU_CYCLE_1)
	s_mov_b32 s0, exec_lo
	s_waitcnt lgkmcnt(0)
	s_barrier
	buffer_gl0_inv
	v_cmpx_gt_u32_e32 16, v0
	s_cbranch_execz .LBB1195_399
; %bb.398:
	v_lshlrev_b32_e32 v20, 2, v0
	ds_load_b32 v22, v20
	s_waitcnt lgkmcnt(0)
	v_mov_b32_dpp v23, v22 row_shr:1 row_mask:0xf bank_mask:0xf
	s_delay_alu instid0(VALU_DEP_1) | instskip(NEXT) | instid1(VALU_DEP_1)
	v_cndmask_b32_e64 v23, v23, 0, s4
	v_add_nc_u32_e32 v22, v23, v22
	s_delay_alu instid0(VALU_DEP_1) | instskip(NEXT) | instid1(VALU_DEP_1)
	v_mov_b32_dpp v23, v22 row_shr:2 row_mask:0xf bank_mask:0xf
	v_cndmask_b32_e64 v23, 0, v23, s2
	s_delay_alu instid0(VALU_DEP_1) | instskip(NEXT) | instid1(VALU_DEP_1)
	v_add_nc_u32_e32 v22, v22, v23
	v_mov_b32_dpp v23, v22 row_shr:4 row_mask:0xf bank_mask:0xf
	s_delay_alu instid0(VALU_DEP_1) | instskip(NEXT) | instid1(VALU_DEP_1)
	v_cndmask_b32_e64 v23, 0, v23, s5
	v_add_nc_u32_e32 v22, v22, v23
	s_delay_alu instid0(VALU_DEP_1) | instskip(NEXT) | instid1(VALU_DEP_1)
	v_mov_b32_dpp v23, v22 row_shr:8 row_mask:0xf bank_mask:0xf
	v_cndmask_b32_e64 v23, 0, v23, s3
	s_delay_alu instid0(VALU_DEP_1)
	v_add_nc_u32_e32 v22, v22, v23
	ds_store_b32 v20, v22
.LBB1195_399:
	s_or_b32 exec_lo, exec_lo, s0
	v_mov_b32_e32 v20, 0
	v_mov_b32_e32 v22, 0
	s_mov_b32 s0, exec_lo
	s_waitcnt lgkmcnt(0)
	s_barrier
	buffer_gl0_inv
	v_cmpx_lt_u32_e32 31, v0
	s_cbranch_execz .LBB1195_401
; %bb.400:
	v_lshl_add_u32 v22, v42, 2, -4
	ds_load_b32 v22, v22
.LBB1195_401:
	s_or_b32 exec_lo, exec_lo, s0
	v_add_nc_u32_e32 v23, -1, v41
	s_waitcnt lgkmcnt(0)
	v_add_nc_u32_e32 v19, v22, v19
	s_delay_alu instid0(VALU_DEP_2) | instskip(SKIP_2) | instid1(VALU_DEP_2)
	v_cmp_gt_i32_e32 vcc_lo, 0, v23
	v_cndmask_b32_e32 v23, v23, v41, vcc_lo
	v_cmp_eq_u32_e32 vcc_lo, 0, v0
	v_lshlrev_b32_e32 v23, 2, v23
	ds_bpermute_b32 v23, v23, v19
	ds_load_b32 v19, v20 offset:60
	s_and_saveexec_b32 s0, vcc_lo
	s_cbranch_execz .LBB1195_403
; %bb.402:
	v_mov_b32_e32 v24, 0
	v_mov_b32_e32 v20, 2
	s_waitcnt lgkmcnt(0)
	global_store_b64 v24, v[19:20], s[10:11] offset:256
.LBB1195_403:
	s_or_b32 exec_lo, exec_lo, s0
	v_cmp_eq_u32_e64 s0, 0, v41
	s_waitcnt lgkmcnt(0)
	s_waitcnt_vscnt null, 0x0
	s_barrier
	buffer_gl0_inv
	v_cndmask_b32_e64 v20, v23, v22, s0
	s_delay_alu instid0(VALU_DEP_1) | instskip(NEXT) | instid1(VALU_DEP_1)
	v_cndmask_b32_e64 v37, v20, 0, vcc_lo
	v_dual_mov_b32 v20, 0 :: v_dual_add_nc_u32 v35, v37, v26
	s_delay_alu instid0(VALU_DEP_1) | instskip(NEXT) | instid1(VALU_DEP_1)
	v_add_nc_u32_e32 v33, v35, v28
	v_add_nc_u32_e32 v31, v33, v30
	s_delay_alu instid0(VALU_DEP_1) | instskip(NEXT) | instid1(VALU_DEP_1)
	v_add_nc_u32_e32 v29, v31, v32
	v_add_nc_u32_e32 v27, v29, v34
	;; [unrolled: 3-line block ×3, first 2 shown]
.LBB1195_404:
	s_waitcnt lgkmcnt(0)
	v_cmp_gt_u32_e32 vcc_lo, 0x201, v19
	v_lshrrev_b32_e32 v43, 8, v17
	v_lshrrev_b32_e32 v42, 16, v17
	;; [unrolled: 1-line block ×4, first 2 shown]
	s_mov_b32 s0, -1
	s_cbranch_vccnz .LBB1195_408
; %bb.405:
	s_and_b32 vcc_lo, exec_lo, s0
	s_cbranch_vccnz .LBB1195_433
.LBB1195_406:
	v_cmp_eq_u32_e32 vcc_lo, 0, v0
	s_and_b32 s0, vcc_lo, s14
	s_delay_alu instid0(SALU_CYCLE_1)
	s_and_saveexec_b32 s1, s0
	s_cbranch_execnz .LBB1195_453
.LBB1195_407:
	s_nop 0
	s_sendmsg sendmsg(MSG_DEALLOC_VGPRS)
	s_endpgm
.LBB1195_408:
	v_add_nc_u32_e32 v24, v20, v19
	s_delay_alu instid0(VALU_DEP_1) | instskip(SKIP_1) | instid1(SALU_CYCLE_1)
	v_cmp_lt_u32_e32 vcc_lo, v37, v24
	s_or_b32 s1, s21, vcc_lo
	s_and_saveexec_b32 s0, s1
	s_cbranch_execz .LBB1195_411
; %bb.409:
	v_and_b32_e32 v26, 1, v17
	s_delay_alu instid0(VALU_DEP_1)
	v_cmp_eq_u32_e32 vcc_lo, 1, v26
	s_and_b32 exec_lo, exec_lo, vcc_lo
	s_cbranch_execz .LBB1195_411
; %bb.410:
	v_mov_b32_e32 v38, 0
	s_lshl_b64 s[2:3], s[12:13], 3
	s_delay_alu instid0(SALU_CYCLE_1) | instskip(SKIP_1) | instid1(VALU_DEP_1)
	s_add_u32 s1, s8, s2
	s_addc_u32 s2, s9, s3
	v_lshlrev_b64 v[44:45], 3, v[37:38]
	s_delay_alu instid0(VALU_DEP_1) | instskip(NEXT) | instid1(VALU_DEP_2)
	v_add_co_u32 v44, vcc_lo, s1, v44
	v_add_co_ci_u32_e32 v45, vcc_lo, s2, v45, vcc_lo
	global_store_b64 v[44:45], v[13:14], off
.LBB1195_411:
	s_or_b32 exec_lo, exec_lo, s0
	v_cmp_lt_u32_e32 vcc_lo, v35, v24
	s_or_b32 s1, s21, vcc_lo
	s_delay_alu instid0(SALU_CYCLE_1)
	s_and_saveexec_b32 s0, s1
	s_cbranch_execz .LBB1195_414
; %bb.412:
	v_and_b32_e32 v26, 1, v43
	s_delay_alu instid0(VALU_DEP_1)
	v_cmp_eq_u32_e32 vcc_lo, 1, v26
	s_and_b32 exec_lo, exec_lo, vcc_lo
	s_cbranch_execz .LBB1195_414
; %bb.413:
	v_mov_b32_e32 v36, 0
	s_lshl_b64 s[2:3], s[12:13], 3
	s_delay_alu instid0(SALU_CYCLE_1) | instskip(SKIP_1) | instid1(VALU_DEP_1)
	s_add_u32 s1, s8, s2
	s_addc_u32 s2, s9, s3
	v_lshlrev_b64 v[44:45], 3, v[35:36]
	s_delay_alu instid0(VALU_DEP_1) | instskip(NEXT) | instid1(VALU_DEP_2)
	v_add_co_u32 v44, vcc_lo, s1, v44
	v_add_co_ci_u32_e32 v45, vcc_lo, s2, v45, vcc_lo
	global_store_b64 v[44:45], v[15:16], off
.LBB1195_414:
	s_or_b32 exec_lo, exec_lo, s0
	v_cmp_lt_u32_e32 vcc_lo, v33, v24
	s_or_b32 s1, s21, vcc_lo
	s_delay_alu instid0(SALU_CYCLE_1)
	;; [unrolled: 24-line block ×7, first 2 shown]
	s_and_saveexec_b32 s0, s1
	s_cbranch_execz .LBB1195_432
; %bb.430:
	v_and_b32_e32 v24, 1, v40
	s_delay_alu instid0(VALU_DEP_1)
	v_cmp_eq_u32_e32 vcc_lo, 1, v24
	s_and_b32 exec_lo, exec_lo, vcc_lo
	s_cbranch_execz .LBB1195_432
; %bb.431:
	v_mov_b32_e32 v24, 0
	s_lshl_b64 s[2:3], s[12:13], 3
	s_delay_alu instid0(SALU_CYCLE_1) | instskip(SKIP_1) | instid1(VALU_DEP_1)
	s_add_u32 s1, s8, s2
	s_addc_u32 s2, s9, s3
	v_lshlrev_b64 v[44:45], 3, v[23:24]
	s_delay_alu instid0(VALU_DEP_1) | instskip(NEXT) | instid1(VALU_DEP_2)
	v_add_co_u32 v44, vcc_lo, s1, v44
	v_add_co_ci_u32_e32 v45, vcc_lo, s2, v45, vcc_lo
	global_store_b64 v[44:45], v[3:4], off
.LBB1195_432:
	s_or_b32 exec_lo, exec_lo, s0
	s_branch .LBB1195_406
.LBB1195_433:
	v_and_b32_e32 v17, 1, v17
	s_mov_b32 s0, exec_lo
	s_delay_alu instid0(VALU_DEP_1)
	v_cmpx_eq_u32_e32 1, v17
	s_cbranch_execz .LBB1195_435
; %bb.434:
	v_sub_nc_u32_e32 v17, v37, v20
	s_delay_alu instid0(VALU_DEP_1)
	v_lshlrev_b32_e32 v17, 3, v17
	ds_store_b64 v17, v[13:14]
.LBB1195_435:
	s_or_b32 exec_lo, exec_lo, s0
	v_and_b32_e32 v13, 1, v43
	s_mov_b32 s0, exec_lo
	s_delay_alu instid0(VALU_DEP_1)
	v_cmpx_eq_u32_e32 1, v13
	s_cbranch_execz .LBB1195_437
; %bb.436:
	v_sub_nc_u32_e32 v13, v35, v20
	s_delay_alu instid0(VALU_DEP_1)
	v_lshlrev_b32_e32 v13, 3, v13
	ds_store_b64 v13, v[15:16]
.LBB1195_437:
	s_or_b32 exec_lo, exec_lo, s0
	;; [unrolled: 12-line block ×8, first 2 shown]
	s_delay_alu instid0(SALU_CYCLE_1)
	s_mov_b32 s1, exec_lo
	s_waitcnt lgkmcnt(0)
	s_waitcnt_vscnt null, 0x0
	s_barrier
	buffer_gl0_inv
	v_cmpx_lt_u32_e64 v0, v19
	s_cbranch_execz .LBB1195_452
; %bb.450:
	v_dual_mov_b32 v2, 0 :: v_dual_mov_b32 v1, v20
	s_lshl_b64 s[2:3], s[12:13], 3
	v_mov_b32_e32 v3, v0
	s_delay_alu instid0(VALU_DEP_2) | instskip(NEXT) | instid1(VALU_DEP_1)
	v_lshlrev_b64 v[1:2], 3, v[1:2]
	v_add_co_u32 v1, vcc_lo, s2, v1
	s_delay_alu instid0(VALU_DEP_2) | instskip(SKIP_1) | instid1(VALU_DEP_2)
	v_add_co_ci_u32_e32 v2, vcc_lo, s3, v2, vcc_lo
	s_mov_b32 s2, 0
	v_add_co_u32 v1, vcc_lo, s8, v1
	s_delay_alu instid0(VALU_DEP_2) | instskip(NEXT) | instid1(VALU_DEP_2)
	v_add_co_ci_u32_e32 v2, vcc_lo, s9, v2, vcc_lo
	v_add_co_u32 v1, vcc_lo, v1, v39
	s_delay_alu instid0(VALU_DEP_2)
	v_add_co_ci_u32_e32 v2, vcc_lo, 0, v2, vcc_lo
	.p2align	6
.LBB1195_451:                           ; =>This Inner Loop Header: Depth=1
	ds_load_b64 v[4:5], v39
	v_add_nc_u32_e32 v3, 0x200, v3
	v_add_nc_u32_e32 v39, 0x1000, v39
	s_delay_alu instid0(VALU_DEP_2) | instskip(SKIP_4) | instid1(VALU_DEP_1)
	v_cmp_ge_u32_e32 vcc_lo, v3, v19
	s_or_b32 s2, vcc_lo, s2
	s_waitcnt lgkmcnt(0)
	global_store_b64 v[1:2], v[4:5], off
	v_add_co_u32 v1, s0, 0x1000, v1
	v_add_co_ci_u32_e64 v2, s0, 0, v2, s0
	s_and_not1_b32 exec_lo, exec_lo, s2
	s_cbranch_execnz .LBB1195_451
.LBB1195_452:
	s_or_b32 exec_lo, exec_lo, s1
	v_cmp_eq_u32_e32 vcc_lo, 0, v0
	s_and_b32 s0, vcc_lo, s14
	s_delay_alu instid0(SALU_CYCLE_1)
	s_and_saveexec_b32 s1, s0
	s_cbranch_execz .LBB1195_407
.LBB1195_453:
	v_add_co_u32 v0, s0, s12, v19
	s_delay_alu instid0(VALU_DEP_1) | instskip(SKIP_1) | instid1(VALU_DEP_3)
	v_add_co_ci_u32_e64 v1, null, s13, 0, s0
	v_mov_b32_e32 v2, 0
	v_add_co_u32 v0, vcc_lo, v0, v20
	s_delay_alu instid0(VALU_DEP_3)
	v_add_co_ci_u32_e32 v1, vcc_lo, 0, v1, vcc_lo
	global_store_b64 v2, v[0:1], s[16:17]
	s_nop 0
	s_sendmsg sendmsg(MSG_DEALLOC_VGPRS)
	s_endpgm
	.section	.rodata,"a",@progbits
	.p2align	6, 0x0
	.amdhsa_kernel _ZN7rocprim17ROCPRIM_400000_NS6detail17trampoline_kernelINS0_14default_configENS1_25partition_config_selectorILNS1_17partition_subalgoE8ElNS0_10empty_typeEbEEZZNS1_14partition_implILS5_8ELb0ES3_jPlPS6_PKS6_NS0_5tupleIJS9_S6_EEENSD_IJSA_SA_EEENS0_18inequality_wrapperIZN2at6native12_GLOBAL__N_124unique_dim_cuda_templateIN3c108BFloat16EEESt5tupleIJNSH_6TensorESO_SO_EERKSO_lbbbEUlllE0_EEPmJS6_EEE10hipError_tPvRmT3_T4_T5_T6_T7_T9_mT8_P12ihipStream_tbDpT10_ENKUlT_T0_E_clISt17integral_constantIbLb1EES1D_IbLb0EEEEDaS19_S1A_EUlS19_E_NS1_11comp_targetILNS1_3genE9ELNS1_11target_archE1100ELNS1_3gpuE3ELNS1_3repE0EEENS1_30default_config_static_selectorELNS0_4arch9wavefront6targetE0EEEvT1_
		.amdhsa_group_segment_fixed_size 33804
		.amdhsa_private_segment_fixed_size 0
		.amdhsa_kernarg_size 120
		.amdhsa_user_sgpr_count 15
		.amdhsa_user_sgpr_dispatch_ptr 0
		.amdhsa_user_sgpr_queue_ptr 0
		.amdhsa_user_sgpr_kernarg_segment_ptr 1
		.amdhsa_user_sgpr_dispatch_id 0
		.amdhsa_user_sgpr_private_segment_size 0
		.amdhsa_wavefront_size32 1
		.amdhsa_uses_dynamic_stack 0
		.amdhsa_enable_private_segment 0
		.amdhsa_system_sgpr_workgroup_id_x 1
		.amdhsa_system_sgpr_workgroup_id_y 0
		.amdhsa_system_sgpr_workgroup_id_z 0
		.amdhsa_system_sgpr_workgroup_info 0
		.amdhsa_system_vgpr_workitem_id 0
		.amdhsa_next_free_vgpr 52
		.amdhsa_next_free_sgpr 36
		.amdhsa_reserve_vcc 1
		.amdhsa_float_round_mode_32 0
		.amdhsa_float_round_mode_16_64 0
		.amdhsa_float_denorm_mode_32 3
		.amdhsa_float_denorm_mode_16_64 3
		.amdhsa_dx10_clamp 1
		.amdhsa_ieee_mode 1
		.amdhsa_fp16_overflow 0
		.amdhsa_workgroup_processor_mode 1
		.amdhsa_memory_ordered 1
		.amdhsa_forward_progress 0
		.amdhsa_shared_vgpr_count 0
		.amdhsa_exception_fp_ieee_invalid_op 0
		.amdhsa_exception_fp_denorm_src 0
		.amdhsa_exception_fp_ieee_div_zero 0
		.amdhsa_exception_fp_ieee_overflow 0
		.amdhsa_exception_fp_ieee_underflow 0
		.amdhsa_exception_fp_ieee_inexact 0
		.amdhsa_exception_int_div_zero 0
	.end_amdhsa_kernel
	.section	.text._ZN7rocprim17ROCPRIM_400000_NS6detail17trampoline_kernelINS0_14default_configENS1_25partition_config_selectorILNS1_17partition_subalgoE8ElNS0_10empty_typeEbEEZZNS1_14partition_implILS5_8ELb0ES3_jPlPS6_PKS6_NS0_5tupleIJS9_S6_EEENSD_IJSA_SA_EEENS0_18inequality_wrapperIZN2at6native12_GLOBAL__N_124unique_dim_cuda_templateIN3c108BFloat16EEESt5tupleIJNSH_6TensorESO_SO_EERKSO_lbbbEUlllE0_EEPmJS6_EEE10hipError_tPvRmT3_T4_T5_T6_T7_T9_mT8_P12ihipStream_tbDpT10_ENKUlT_T0_E_clISt17integral_constantIbLb1EES1D_IbLb0EEEEDaS19_S1A_EUlS19_E_NS1_11comp_targetILNS1_3genE9ELNS1_11target_archE1100ELNS1_3gpuE3ELNS1_3repE0EEENS1_30default_config_static_selectorELNS0_4arch9wavefront6targetE0EEEvT1_,"axG",@progbits,_ZN7rocprim17ROCPRIM_400000_NS6detail17trampoline_kernelINS0_14default_configENS1_25partition_config_selectorILNS1_17partition_subalgoE8ElNS0_10empty_typeEbEEZZNS1_14partition_implILS5_8ELb0ES3_jPlPS6_PKS6_NS0_5tupleIJS9_S6_EEENSD_IJSA_SA_EEENS0_18inequality_wrapperIZN2at6native12_GLOBAL__N_124unique_dim_cuda_templateIN3c108BFloat16EEESt5tupleIJNSH_6TensorESO_SO_EERKSO_lbbbEUlllE0_EEPmJS6_EEE10hipError_tPvRmT3_T4_T5_T6_T7_T9_mT8_P12ihipStream_tbDpT10_ENKUlT_T0_E_clISt17integral_constantIbLb1EES1D_IbLb0EEEEDaS19_S1A_EUlS19_E_NS1_11comp_targetILNS1_3genE9ELNS1_11target_archE1100ELNS1_3gpuE3ELNS1_3repE0EEENS1_30default_config_static_selectorELNS0_4arch9wavefront6targetE0EEEvT1_,comdat
.Lfunc_end1195:
	.size	_ZN7rocprim17ROCPRIM_400000_NS6detail17trampoline_kernelINS0_14default_configENS1_25partition_config_selectorILNS1_17partition_subalgoE8ElNS0_10empty_typeEbEEZZNS1_14partition_implILS5_8ELb0ES3_jPlPS6_PKS6_NS0_5tupleIJS9_S6_EEENSD_IJSA_SA_EEENS0_18inequality_wrapperIZN2at6native12_GLOBAL__N_124unique_dim_cuda_templateIN3c108BFloat16EEESt5tupleIJNSH_6TensorESO_SO_EERKSO_lbbbEUlllE0_EEPmJS6_EEE10hipError_tPvRmT3_T4_T5_T6_T7_T9_mT8_P12ihipStream_tbDpT10_ENKUlT_T0_E_clISt17integral_constantIbLb1EES1D_IbLb0EEEEDaS19_S1A_EUlS19_E_NS1_11comp_targetILNS1_3genE9ELNS1_11target_archE1100ELNS1_3gpuE3ELNS1_3repE0EEENS1_30default_config_static_selectorELNS0_4arch9wavefront6targetE0EEEvT1_, .Lfunc_end1195-_ZN7rocprim17ROCPRIM_400000_NS6detail17trampoline_kernelINS0_14default_configENS1_25partition_config_selectorILNS1_17partition_subalgoE8ElNS0_10empty_typeEbEEZZNS1_14partition_implILS5_8ELb0ES3_jPlPS6_PKS6_NS0_5tupleIJS9_S6_EEENSD_IJSA_SA_EEENS0_18inequality_wrapperIZN2at6native12_GLOBAL__N_124unique_dim_cuda_templateIN3c108BFloat16EEESt5tupleIJNSH_6TensorESO_SO_EERKSO_lbbbEUlllE0_EEPmJS6_EEE10hipError_tPvRmT3_T4_T5_T6_T7_T9_mT8_P12ihipStream_tbDpT10_ENKUlT_T0_E_clISt17integral_constantIbLb1EES1D_IbLb0EEEEDaS19_S1A_EUlS19_E_NS1_11comp_targetILNS1_3genE9ELNS1_11target_archE1100ELNS1_3gpuE3ELNS1_3repE0EEENS1_30default_config_static_selectorELNS0_4arch9wavefront6targetE0EEEvT1_
                                        ; -- End function
	.section	.AMDGPU.csdata,"",@progbits
; Kernel info:
; codeLenInByte = 19096
; NumSgprs: 38
; NumVgprs: 52
; ScratchSize: 0
; MemoryBound: 0
; FloatMode: 240
; IeeeMode: 1
; LDSByteSize: 33804 bytes/workgroup (compile time only)
; SGPRBlocks: 4
; VGPRBlocks: 6
; NumSGPRsForWavesPerEU: 38
; NumVGPRsForWavesPerEU: 52
; Occupancy: 12
; WaveLimiterHint : 1
; COMPUTE_PGM_RSRC2:SCRATCH_EN: 0
; COMPUTE_PGM_RSRC2:USER_SGPR: 15
; COMPUTE_PGM_RSRC2:TRAP_HANDLER: 0
; COMPUTE_PGM_RSRC2:TGID_X_EN: 1
; COMPUTE_PGM_RSRC2:TGID_Y_EN: 0
; COMPUTE_PGM_RSRC2:TGID_Z_EN: 0
; COMPUTE_PGM_RSRC2:TIDIG_COMP_CNT: 0
	.section	.text._ZN7rocprim17ROCPRIM_400000_NS6detail17trampoline_kernelINS0_14default_configENS1_25partition_config_selectorILNS1_17partition_subalgoE8ElNS0_10empty_typeEbEEZZNS1_14partition_implILS5_8ELb0ES3_jPlPS6_PKS6_NS0_5tupleIJS9_S6_EEENSD_IJSA_SA_EEENS0_18inequality_wrapperIZN2at6native12_GLOBAL__N_124unique_dim_cuda_templateIN3c108BFloat16EEESt5tupleIJNSH_6TensorESO_SO_EERKSO_lbbbEUlllE0_EEPmJS6_EEE10hipError_tPvRmT3_T4_T5_T6_T7_T9_mT8_P12ihipStream_tbDpT10_ENKUlT_T0_E_clISt17integral_constantIbLb1EES1D_IbLb0EEEEDaS19_S1A_EUlS19_E_NS1_11comp_targetILNS1_3genE8ELNS1_11target_archE1030ELNS1_3gpuE2ELNS1_3repE0EEENS1_30default_config_static_selectorELNS0_4arch9wavefront6targetE0EEEvT1_,"axG",@progbits,_ZN7rocprim17ROCPRIM_400000_NS6detail17trampoline_kernelINS0_14default_configENS1_25partition_config_selectorILNS1_17partition_subalgoE8ElNS0_10empty_typeEbEEZZNS1_14partition_implILS5_8ELb0ES3_jPlPS6_PKS6_NS0_5tupleIJS9_S6_EEENSD_IJSA_SA_EEENS0_18inequality_wrapperIZN2at6native12_GLOBAL__N_124unique_dim_cuda_templateIN3c108BFloat16EEESt5tupleIJNSH_6TensorESO_SO_EERKSO_lbbbEUlllE0_EEPmJS6_EEE10hipError_tPvRmT3_T4_T5_T6_T7_T9_mT8_P12ihipStream_tbDpT10_ENKUlT_T0_E_clISt17integral_constantIbLb1EES1D_IbLb0EEEEDaS19_S1A_EUlS19_E_NS1_11comp_targetILNS1_3genE8ELNS1_11target_archE1030ELNS1_3gpuE2ELNS1_3repE0EEENS1_30default_config_static_selectorELNS0_4arch9wavefront6targetE0EEEvT1_,comdat
	.globl	_ZN7rocprim17ROCPRIM_400000_NS6detail17trampoline_kernelINS0_14default_configENS1_25partition_config_selectorILNS1_17partition_subalgoE8ElNS0_10empty_typeEbEEZZNS1_14partition_implILS5_8ELb0ES3_jPlPS6_PKS6_NS0_5tupleIJS9_S6_EEENSD_IJSA_SA_EEENS0_18inequality_wrapperIZN2at6native12_GLOBAL__N_124unique_dim_cuda_templateIN3c108BFloat16EEESt5tupleIJNSH_6TensorESO_SO_EERKSO_lbbbEUlllE0_EEPmJS6_EEE10hipError_tPvRmT3_T4_T5_T6_T7_T9_mT8_P12ihipStream_tbDpT10_ENKUlT_T0_E_clISt17integral_constantIbLb1EES1D_IbLb0EEEEDaS19_S1A_EUlS19_E_NS1_11comp_targetILNS1_3genE8ELNS1_11target_archE1030ELNS1_3gpuE2ELNS1_3repE0EEENS1_30default_config_static_selectorELNS0_4arch9wavefront6targetE0EEEvT1_ ; -- Begin function _ZN7rocprim17ROCPRIM_400000_NS6detail17trampoline_kernelINS0_14default_configENS1_25partition_config_selectorILNS1_17partition_subalgoE8ElNS0_10empty_typeEbEEZZNS1_14partition_implILS5_8ELb0ES3_jPlPS6_PKS6_NS0_5tupleIJS9_S6_EEENSD_IJSA_SA_EEENS0_18inequality_wrapperIZN2at6native12_GLOBAL__N_124unique_dim_cuda_templateIN3c108BFloat16EEESt5tupleIJNSH_6TensorESO_SO_EERKSO_lbbbEUlllE0_EEPmJS6_EEE10hipError_tPvRmT3_T4_T5_T6_T7_T9_mT8_P12ihipStream_tbDpT10_ENKUlT_T0_E_clISt17integral_constantIbLb1EES1D_IbLb0EEEEDaS19_S1A_EUlS19_E_NS1_11comp_targetILNS1_3genE8ELNS1_11target_archE1030ELNS1_3gpuE2ELNS1_3repE0EEENS1_30default_config_static_selectorELNS0_4arch9wavefront6targetE0EEEvT1_
	.p2align	8
	.type	_ZN7rocprim17ROCPRIM_400000_NS6detail17trampoline_kernelINS0_14default_configENS1_25partition_config_selectorILNS1_17partition_subalgoE8ElNS0_10empty_typeEbEEZZNS1_14partition_implILS5_8ELb0ES3_jPlPS6_PKS6_NS0_5tupleIJS9_S6_EEENSD_IJSA_SA_EEENS0_18inequality_wrapperIZN2at6native12_GLOBAL__N_124unique_dim_cuda_templateIN3c108BFloat16EEESt5tupleIJNSH_6TensorESO_SO_EERKSO_lbbbEUlllE0_EEPmJS6_EEE10hipError_tPvRmT3_T4_T5_T6_T7_T9_mT8_P12ihipStream_tbDpT10_ENKUlT_T0_E_clISt17integral_constantIbLb1EES1D_IbLb0EEEEDaS19_S1A_EUlS19_E_NS1_11comp_targetILNS1_3genE8ELNS1_11target_archE1030ELNS1_3gpuE2ELNS1_3repE0EEENS1_30default_config_static_selectorELNS0_4arch9wavefront6targetE0EEEvT1_,@function
_ZN7rocprim17ROCPRIM_400000_NS6detail17trampoline_kernelINS0_14default_configENS1_25partition_config_selectorILNS1_17partition_subalgoE8ElNS0_10empty_typeEbEEZZNS1_14partition_implILS5_8ELb0ES3_jPlPS6_PKS6_NS0_5tupleIJS9_S6_EEENSD_IJSA_SA_EEENS0_18inequality_wrapperIZN2at6native12_GLOBAL__N_124unique_dim_cuda_templateIN3c108BFloat16EEESt5tupleIJNSH_6TensorESO_SO_EERKSO_lbbbEUlllE0_EEPmJS6_EEE10hipError_tPvRmT3_T4_T5_T6_T7_T9_mT8_P12ihipStream_tbDpT10_ENKUlT_T0_E_clISt17integral_constantIbLb1EES1D_IbLb0EEEEDaS19_S1A_EUlS19_E_NS1_11comp_targetILNS1_3genE8ELNS1_11target_archE1030ELNS1_3gpuE2ELNS1_3repE0EEENS1_30default_config_static_selectorELNS0_4arch9wavefront6targetE0EEEvT1_: ; @_ZN7rocprim17ROCPRIM_400000_NS6detail17trampoline_kernelINS0_14default_configENS1_25partition_config_selectorILNS1_17partition_subalgoE8ElNS0_10empty_typeEbEEZZNS1_14partition_implILS5_8ELb0ES3_jPlPS6_PKS6_NS0_5tupleIJS9_S6_EEENSD_IJSA_SA_EEENS0_18inequality_wrapperIZN2at6native12_GLOBAL__N_124unique_dim_cuda_templateIN3c108BFloat16EEESt5tupleIJNSH_6TensorESO_SO_EERKSO_lbbbEUlllE0_EEPmJS6_EEE10hipError_tPvRmT3_T4_T5_T6_T7_T9_mT8_P12ihipStream_tbDpT10_ENKUlT_T0_E_clISt17integral_constantIbLb1EES1D_IbLb0EEEEDaS19_S1A_EUlS19_E_NS1_11comp_targetILNS1_3genE8ELNS1_11target_archE1030ELNS1_3gpuE2ELNS1_3repE0EEENS1_30default_config_static_selectorELNS0_4arch9wavefront6targetE0EEEvT1_
; %bb.0:
	.section	.rodata,"a",@progbits
	.p2align	6, 0x0
	.amdhsa_kernel _ZN7rocprim17ROCPRIM_400000_NS6detail17trampoline_kernelINS0_14default_configENS1_25partition_config_selectorILNS1_17partition_subalgoE8ElNS0_10empty_typeEbEEZZNS1_14partition_implILS5_8ELb0ES3_jPlPS6_PKS6_NS0_5tupleIJS9_S6_EEENSD_IJSA_SA_EEENS0_18inequality_wrapperIZN2at6native12_GLOBAL__N_124unique_dim_cuda_templateIN3c108BFloat16EEESt5tupleIJNSH_6TensorESO_SO_EERKSO_lbbbEUlllE0_EEPmJS6_EEE10hipError_tPvRmT3_T4_T5_T6_T7_T9_mT8_P12ihipStream_tbDpT10_ENKUlT_T0_E_clISt17integral_constantIbLb1EES1D_IbLb0EEEEDaS19_S1A_EUlS19_E_NS1_11comp_targetILNS1_3genE8ELNS1_11target_archE1030ELNS1_3gpuE2ELNS1_3repE0EEENS1_30default_config_static_selectorELNS0_4arch9wavefront6targetE0EEEvT1_
		.amdhsa_group_segment_fixed_size 0
		.amdhsa_private_segment_fixed_size 0
		.amdhsa_kernarg_size 120
		.amdhsa_user_sgpr_count 15
		.amdhsa_user_sgpr_dispatch_ptr 0
		.amdhsa_user_sgpr_queue_ptr 0
		.amdhsa_user_sgpr_kernarg_segment_ptr 1
		.amdhsa_user_sgpr_dispatch_id 0
		.amdhsa_user_sgpr_private_segment_size 0
		.amdhsa_wavefront_size32 1
		.amdhsa_uses_dynamic_stack 0
		.amdhsa_enable_private_segment 0
		.amdhsa_system_sgpr_workgroup_id_x 1
		.amdhsa_system_sgpr_workgroup_id_y 0
		.amdhsa_system_sgpr_workgroup_id_z 0
		.amdhsa_system_sgpr_workgroup_info 0
		.amdhsa_system_vgpr_workitem_id 0
		.amdhsa_next_free_vgpr 1
		.amdhsa_next_free_sgpr 1
		.amdhsa_reserve_vcc 0
		.amdhsa_float_round_mode_32 0
		.amdhsa_float_round_mode_16_64 0
		.amdhsa_float_denorm_mode_32 3
		.amdhsa_float_denorm_mode_16_64 3
		.amdhsa_dx10_clamp 1
		.amdhsa_ieee_mode 1
		.amdhsa_fp16_overflow 0
		.amdhsa_workgroup_processor_mode 1
		.amdhsa_memory_ordered 1
		.amdhsa_forward_progress 0
		.amdhsa_shared_vgpr_count 0
		.amdhsa_exception_fp_ieee_invalid_op 0
		.amdhsa_exception_fp_denorm_src 0
		.amdhsa_exception_fp_ieee_div_zero 0
		.amdhsa_exception_fp_ieee_overflow 0
		.amdhsa_exception_fp_ieee_underflow 0
		.amdhsa_exception_fp_ieee_inexact 0
		.amdhsa_exception_int_div_zero 0
	.end_amdhsa_kernel
	.section	.text._ZN7rocprim17ROCPRIM_400000_NS6detail17trampoline_kernelINS0_14default_configENS1_25partition_config_selectorILNS1_17partition_subalgoE8ElNS0_10empty_typeEbEEZZNS1_14partition_implILS5_8ELb0ES3_jPlPS6_PKS6_NS0_5tupleIJS9_S6_EEENSD_IJSA_SA_EEENS0_18inequality_wrapperIZN2at6native12_GLOBAL__N_124unique_dim_cuda_templateIN3c108BFloat16EEESt5tupleIJNSH_6TensorESO_SO_EERKSO_lbbbEUlllE0_EEPmJS6_EEE10hipError_tPvRmT3_T4_T5_T6_T7_T9_mT8_P12ihipStream_tbDpT10_ENKUlT_T0_E_clISt17integral_constantIbLb1EES1D_IbLb0EEEEDaS19_S1A_EUlS19_E_NS1_11comp_targetILNS1_3genE8ELNS1_11target_archE1030ELNS1_3gpuE2ELNS1_3repE0EEENS1_30default_config_static_selectorELNS0_4arch9wavefront6targetE0EEEvT1_,"axG",@progbits,_ZN7rocprim17ROCPRIM_400000_NS6detail17trampoline_kernelINS0_14default_configENS1_25partition_config_selectorILNS1_17partition_subalgoE8ElNS0_10empty_typeEbEEZZNS1_14partition_implILS5_8ELb0ES3_jPlPS6_PKS6_NS0_5tupleIJS9_S6_EEENSD_IJSA_SA_EEENS0_18inequality_wrapperIZN2at6native12_GLOBAL__N_124unique_dim_cuda_templateIN3c108BFloat16EEESt5tupleIJNSH_6TensorESO_SO_EERKSO_lbbbEUlllE0_EEPmJS6_EEE10hipError_tPvRmT3_T4_T5_T6_T7_T9_mT8_P12ihipStream_tbDpT10_ENKUlT_T0_E_clISt17integral_constantIbLb1EES1D_IbLb0EEEEDaS19_S1A_EUlS19_E_NS1_11comp_targetILNS1_3genE8ELNS1_11target_archE1030ELNS1_3gpuE2ELNS1_3repE0EEENS1_30default_config_static_selectorELNS0_4arch9wavefront6targetE0EEEvT1_,comdat
.Lfunc_end1196:
	.size	_ZN7rocprim17ROCPRIM_400000_NS6detail17trampoline_kernelINS0_14default_configENS1_25partition_config_selectorILNS1_17partition_subalgoE8ElNS0_10empty_typeEbEEZZNS1_14partition_implILS5_8ELb0ES3_jPlPS6_PKS6_NS0_5tupleIJS9_S6_EEENSD_IJSA_SA_EEENS0_18inequality_wrapperIZN2at6native12_GLOBAL__N_124unique_dim_cuda_templateIN3c108BFloat16EEESt5tupleIJNSH_6TensorESO_SO_EERKSO_lbbbEUlllE0_EEPmJS6_EEE10hipError_tPvRmT3_T4_T5_T6_T7_T9_mT8_P12ihipStream_tbDpT10_ENKUlT_T0_E_clISt17integral_constantIbLb1EES1D_IbLb0EEEEDaS19_S1A_EUlS19_E_NS1_11comp_targetILNS1_3genE8ELNS1_11target_archE1030ELNS1_3gpuE2ELNS1_3repE0EEENS1_30default_config_static_selectorELNS0_4arch9wavefront6targetE0EEEvT1_, .Lfunc_end1196-_ZN7rocprim17ROCPRIM_400000_NS6detail17trampoline_kernelINS0_14default_configENS1_25partition_config_selectorILNS1_17partition_subalgoE8ElNS0_10empty_typeEbEEZZNS1_14partition_implILS5_8ELb0ES3_jPlPS6_PKS6_NS0_5tupleIJS9_S6_EEENSD_IJSA_SA_EEENS0_18inequality_wrapperIZN2at6native12_GLOBAL__N_124unique_dim_cuda_templateIN3c108BFloat16EEESt5tupleIJNSH_6TensorESO_SO_EERKSO_lbbbEUlllE0_EEPmJS6_EEE10hipError_tPvRmT3_T4_T5_T6_T7_T9_mT8_P12ihipStream_tbDpT10_ENKUlT_T0_E_clISt17integral_constantIbLb1EES1D_IbLb0EEEEDaS19_S1A_EUlS19_E_NS1_11comp_targetILNS1_3genE8ELNS1_11target_archE1030ELNS1_3gpuE2ELNS1_3repE0EEENS1_30default_config_static_selectorELNS0_4arch9wavefront6targetE0EEEvT1_
                                        ; -- End function
	.section	.AMDGPU.csdata,"",@progbits
; Kernel info:
; codeLenInByte = 0
; NumSgprs: 0
; NumVgprs: 0
; ScratchSize: 0
; MemoryBound: 0
; FloatMode: 240
; IeeeMode: 1
; LDSByteSize: 0 bytes/workgroup (compile time only)
; SGPRBlocks: 0
; VGPRBlocks: 0
; NumSGPRsForWavesPerEU: 1
; NumVGPRsForWavesPerEU: 1
; Occupancy: 16
; WaveLimiterHint : 0
; COMPUTE_PGM_RSRC2:SCRATCH_EN: 0
; COMPUTE_PGM_RSRC2:USER_SGPR: 15
; COMPUTE_PGM_RSRC2:TRAP_HANDLER: 0
; COMPUTE_PGM_RSRC2:TGID_X_EN: 1
; COMPUTE_PGM_RSRC2:TGID_Y_EN: 0
; COMPUTE_PGM_RSRC2:TGID_Z_EN: 0
; COMPUTE_PGM_RSRC2:TIDIG_COMP_CNT: 0
	.section	.text._ZN7rocprim17ROCPRIM_400000_NS6detail17trampoline_kernelINS0_14default_configENS1_25partition_config_selectorILNS1_17partition_subalgoE8ElNS0_10empty_typeEbEEZZNS1_14partition_implILS5_8ELb0ES3_jPlPS6_PKS6_NS0_5tupleIJS9_S6_EEENSD_IJSA_SA_EEENS0_18inequality_wrapperIZN2at6native12_GLOBAL__N_124unique_dim_cuda_templateIN3c108BFloat16EEESt5tupleIJNSH_6TensorESO_SO_EERKSO_lbbbEUlllE0_EEPmJS6_EEE10hipError_tPvRmT3_T4_T5_T6_T7_T9_mT8_P12ihipStream_tbDpT10_ENKUlT_T0_E_clISt17integral_constantIbLb0EES1D_IbLb1EEEEDaS19_S1A_EUlS19_E_NS1_11comp_targetILNS1_3genE0ELNS1_11target_archE4294967295ELNS1_3gpuE0ELNS1_3repE0EEENS1_30default_config_static_selectorELNS0_4arch9wavefront6targetE0EEEvT1_,"axG",@progbits,_ZN7rocprim17ROCPRIM_400000_NS6detail17trampoline_kernelINS0_14default_configENS1_25partition_config_selectorILNS1_17partition_subalgoE8ElNS0_10empty_typeEbEEZZNS1_14partition_implILS5_8ELb0ES3_jPlPS6_PKS6_NS0_5tupleIJS9_S6_EEENSD_IJSA_SA_EEENS0_18inequality_wrapperIZN2at6native12_GLOBAL__N_124unique_dim_cuda_templateIN3c108BFloat16EEESt5tupleIJNSH_6TensorESO_SO_EERKSO_lbbbEUlllE0_EEPmJS6_EEE10hipError_tPvRmT3_T4_T5_T6_T7_T9_mT8_P12ihipStream_tbDpT10_ENKUlT_T0_E_clISt17integral_constantIbLb0EES1D_IbLb1EEEEDaS19_S1A_EUlS19_E_NS1_11comp_targetILNS1_3genE0ELNS1_11target_archE4294967295ELNS1_3gpuE0ELNS1_3repE0EEENS1_30default_config_static_selectorELNS0_4arch9wavefront6targetE0EEEvT1_,comdat
	.globl	_ZN7rocprim17ROCPRIM_400000_NS6detail17trampoline_kernelINS0_14default_configENS1_25partition_config_selectorILNS1_17partition_subalgoE8ElNS0_10empty_typeEbEEZZNS1_14partition_implILS5_8ELb0ES3_jPlPS6_PKS6_NS0_5tupleIJS9_S6_EEENSD_IJSA_SA_EEENS0_18inequality_wrapperIZN2at6native12_GLOBAL__N_124unique_dim_cuda_templateIN3c108BFloat16EEESt5tupleIJNSH_6TensorESO_SO_EERKSO_lbbbEUlllE0_EEPmJS6_EEE10hipError_tPvRmT3_T4_T5_T6_T7_T9_mT8_P12ihipStream_tbDpT10_ENKUlT_T0_E_clISt17integral_constantIbLb0EES1D_IbLb1EEEEDaS19_S1A_EUlS19_E_NS1_11comp_targetILNS1_3genE0ELNS1_11target_archE4294967295ELNS1_3gpuE0ELNS1_3repE0EEENS1_30default_config_static_selectorELNS0_4arch9wavefront6targetE0EEEvT1_ ; -- Begin function _ZN7rocprim17ROCPRIM_400000_NS6detail17trampoline_kernelINS0_14default_configENS1_25partition_config_selectorILNS1_17partition_subalgoE8ElNS0_10empty_typeEbEEZZNS1_14partition_implILS5_8ELb0ES3_jPlPS6_PKS6_NS0_5tupleIJS9_S6_EEENSD_IJSA_SA_EEENS0_18inequality_wrapperIZN2at6native12_GLOBAL__N_124unique_dim_cuda_templateIN3c108BFloat16EEESt5tupleIJNSH_6TensorESO_SO_EERKSO_lbbbEUlllE0_EEPmJS6_EEE10hipError_tPvRmT3_T4_T5_T6_T7_T9_mT8_P12ihipStream_tbDpT10_ENKUlT_T0_E_clISt17integral_constantIbLb0EES1D_IbLb1EEEEDaS19_S1A_EUlS19_E_NS1_11comp_targetILNS1_3genE0ELNS1_11target_archE4294967295ELNS1_3gpuE0ELNS1_3repE0EEENS1_30default_config_static_selectorELNS0_4arch9wavefront6targetE0EEEvT1_
	.p2align	8
	.type	_ZN7rocprim17ROCPRIM_400000_NS6detail17trampoline_kernelINS0_14default_configENS1_25partition_config_selectorILNS1_17partition_subalgoE8ElNS0_10empty_typeEbEEZZNS1_14partition_implILS5_8ELb0ES3_jPlPS6_PKS6_NS0_5tupleIJS9_S6_EEENSD_IJSA_SA_EEENS0_18inequality_wrapperIZN2at6native12_GLOBAL__N_124unique_dim_cuda_templateIN3c108BFloat16EEESt5tupleIJNSH_6TensorESO_SO_EERKSO_lbbbEUlllE0_EEPmJS6_EEE10hipError_tPvRmT3_T4_T5_T6_T7_T9_mT8_P12ihipStream_tbDpT10_ENKUlT_T0_E_clISt17integral_constantIbLb0EES1D_IbLb1EEEEDaS19_S1A_EUlS19_E_NS1_11comp_targetILNS1_3genE0ELNS1_11target_archE4294967295ELNS1_3gpuE0ELNS1_3repE0EEENS1_30default_config_static_selectorELNS0_4arch9wavefront6targetE0EEEvT1_,@function
_ZN7rocprim17ROCPRIM_400000_NS6detail17trampoline_kernelINS0_14default_configENS1_25partition_config_selectorILNS1_17partition_subalgoE8ElNS0_10empty_typeEbEEZZNS1_14partition_implILS5_8ELb0ES3_jPlPS6_PKS6_NS0_5tupleIJS9_S6_EEENSD_IJSA_SA_EEENS0_18inequality_wrapperIZN2at6native12_GLOBAL__N_124unique_dim_cuda_templateIN3c108BFloat16EEESt5tupleIJNSH_6TensorESO_SO_EERKSO_lbbbEUlllE0_EEPmJS6_EEE10hipError_tPvRmT3_T4_T5_T6_T7_T9_mT8_P12ihipStream_tbDpT10_ENKUlT_T0_E_clISt17integral_constantIbLb0EES1D_IbLb1EEEEDaS19_S1A_EUlS19_E_NS1_11comp_targetILNS1_3genE0ELNS1_11target_archE4294967295ELNS1_3gpuE0ELNS1_3repE0EEENS1_30default_config_static_selectorELNS0_4arch9wavefront6targetE0EEEvT1_: ; @_ZN7rocprim17ROCPRIM_400000_NS6detail17trampoline_kernelINS0_14default_configENS1_25partition_config_selectorILNS1_17partition_subalgoE8ElNS0_10empty_typeEbEEZZNS1_14partition_implILS5_8ELb0ES3_jPlPS6_PKS6_NS0_5tupleIJS9_S6_EEENSD_IJSA_SA_EEENS0_18inequality_wrapperIZN2at6native12_GLOBAL__N_124unique_dim_cuda_templateIN3c108BFloat16EEESt5tupleIJNSH_6TensorESO_SO_EERKSO_lbbbEUlllE0_EEPmJS6_EEE10hipError_tPvRmT3_T4_T5_T6_T7_T9_mT8_P12ihipStream_tbDpT10_ENKUlT_T0_E_clISt17integral_constantIbLb0EES1D_IbLb1EEEEDaS19_S1A_EUlS19_E_NS1_11comp_targetILNS1_3genE0ELNS1_11target_archE4294967295ELNS1_3gpuE0ELNS1_3repE0EEENS1_30default_config_static_selectorELNS0_4arch9wavefront6targetE0EEEvT1_
; %bb.0:
	.section	.rodata,"a",@progbits
	.p2align	6, 0x0
	.amdhsa_kernel _ZN7rocprim17ROCPRIM_400000_NS6detail17trampoline_kernelINS0_14default_configENS1_25partition_config_selectorILNS1_17partition_subalgoE8ElNS0_10empty_typeEbEEZZNS1_14partition_implILS5_8ELb0ES3_jPlPS6_PKS6_NS0_5tupleIJS9_S6_EEENSD_IJSA_SA_EEENS0_18inequality_wrapperIZN2at6native12_GLOBAL__N_124unique_dim_cuda_templateIN3c108BFloat16EEESt5tupleIJNSH_6TensorESO_SO_EERKSO_lbbbEUlllE0_EEPmJS6_EEE10hipError_tPvRmT3_T4_T5_T6_T7_T9_mT8_P12ihipStream_tbDpT10_ENKUlT_T0_E_clISt17integral_constantIbLb0EES1D_IbLb1EEEEDaS19_S1A_EUlS19_E_NS1_11comp_targetILNS1_3genE0ELNS1_11target_archE4294967295ELNS1_3gpuE0ELNS1_3repE0EEENS1_30default_config_static_selectorELNS0_4arch9wavefront6targetE0EEEvT1_
		.amdhsa_group_segment_fixed_size 0
		.amdhsa_private_segment_fixed_size 0
		.amdhsa_kernarg_size 136
		.amdhsa_user_sgpr_count 15
		.amdhsa_user_sgpr_dispatch_ptr 0
		.amdhsa_user_sgpr_queue_ptr 0
		.amdhsa_user_sgpr_kernarg_segment_ptr 1
		.amdhsa_user_sgpr_dispatch_id 0
		.amdhsa_user_sgpr_private_segment_size 0
		.amdhsa_wavefront_size32 1
		.amdhsa_uses_dynamic_stack 0
		.amdhsa_enable_private_segment 0
		.amdhsa_system_sgpr_workgroup_id_x 1
		.amdhsa_system_sgpr_workgroup_id_y 0
		.amdhsa_system_sgpr_workgroup_id_z 0
		.amdhsa_system_sgpr_workgroup_info 0
		.amdhsa_system_vgpr_workitem_id 0
		.amdhsa_next_free_vgpr 1
		.amdhsa_next_free_sgpr 1
		.amdhsa_reserve_vcc 0
		.amdhsa_float_round_mode_32 0
		.amdhsa_float_round_mode_16_64 0
		.amdhsa_float_denorm_mode_32 3
		.amdhsa_float_denorm_mode_16_64 3
		.amdhsa_dx10_clamp 1
		.amdhsa_ieee_mode 1
		.amdhsa_fp16_overflow 0
		.amdhsa_workgroup_processor_mode 1
		.amdhsa_memory_ordered 1
		.amdhsa_forward_progress 0
		.amdhsa_shared_vgpr_count 0
		.amdhsa_exception_fp_ieee_invalid_op 0
		.amdhsa_exception_fp_denorm_src 0
		.amdhsa_exception_fp_ieee_div_zero 0
		.amdhsa_exception_fp_ieee_overflow 0
		.amdhsa_exception_fp_ieee_underflow 0
		.amdhsa_exception_fp_ieee_inexact 0
		.amdhsa_exception_int_div_zero 0
	.end_amdhsa_kernel
	.section	.text._ZN7rocprim17ROCPRIM_400000_NS6detail17trampoline_kernelINS0_14default_configENS1_25partition_config_selectorILNS1_17partition_subalgoE8ElNS0_10empty_typeEbEEZZNS1_14partition_implILS5_8ELb0ES3_jPlPS6_PKS6_NS0_5tupleIJS9_S6_EEENSD_IJSA_SA_EEENS0_18inequality_wrapperIZN2at6native12_GLOBAL__N_124unique_dim_cuda_templateIN3c108BFloat16EEESt5tupleIJNSH_6TensorESO_SO_EERKSO_lbbbEUlllE0_EEPmJS6_EEE10hipError_tPvRmT3_T4_T5_T6_T7_T9_mT8_P12ihipStream_tbDpT10_ENKUlT_T0_E_clISt17integral_constantIbLb0EES1D_IbLb1EEEEDaS19_S1A_EUlS19_E_NS1_11comp_targetILNS1_3genE0ELNS1_11target_archE4294967295ELNS1_3gpuE0ELNS1_3repE0EEENS1_30default_config_static_selectorELNS0_4arch9wavefront6targetE0EEEvT1_,"axG",@progbits,_ZN7rocprim17ROCPRIM_400000_NS6detail17trampoline_kernelINS0_14default_configENS1_25partition_config_selectorILNS1_17partition_subalgoE8ElNS0_10empty_typeEbEEZZNS1_14partition_implILS5_8ELb0ES3_jPlPS6_PKS6_NS0_5tupleIJS9_S6_EEENSD_IJSA_SA_EEENS0_18inequality_wrapperIZN2at6native12_GLOBAL__N_124unique_dim_cuda_templateIN3c108BFloat16EEESt5tupleIJNSH_6TensorESO_SO_EERKSO_lbbbEUlllE0_EEPmJS6_EEE10hipError_tPvRmT3_T4_T5_T6_T7_T9_mT8_P12ihipStream_tbDpT10_ENKUlT_T0_E_clISt17integral_constantIbLb0EES1D_IbLb1EEEEDaS19_S1A_EUlS19_E_NS1_11comp_targetILNS1_3genE0ELNS1_11target_archE4294967295ELNS1_3gpuE0ELNS1_3repE0EEENS1_30default_config_static_selectorELNS0_4arch9wavefront6targetE0EEEvT1_,comdat
.Lfunc_end1197:
	.size	_ZN7rocprim17ROCPRIM_400000_NS6detail17trampoline_kernelINS0_14default_configENS1_25partition_config_selectorILNS1_17partition_subalgoE8ElNS0_10empty_typeEbEEZZNS1_14partition_implILS5_8ELb0ES3_jPlPS6_PKS6_NS0_5tupleIJS9_S6_EEENSD_IJSA_SA_EEENS0_18inequality_wrapperIZN2at6native12_GLOBAL__N_124unique_dim_cuda_templateIN3c108BFloat16EEESt5tupleIJNSH_6TensorESO_SO_EERKSO_lbbbEUlllE0_EEPmJS6_EEE10hipError_tPvRmT3_T4_T5_T6_T7_T9_mT8_P12ihipStream_tbDpT10_ENKUlT_T0_E_clISt17integral_constantIbLb0EES1D_IbLb1EEEEDaS19_S1A_EUlS19_E_NS1_11comp_targetILNS1_3genE0ELNS1_11target_archE4294967295ELNS1_3gpuE0ELNS1_3repE0EEENS1_30default_config_static_selectorELNS0_4arch9wavefront6targetE0EEEvT1_, .Lfunc_end1197-_ZN7rocprim17ROCPRIM_400000_NS6detail17trampoline_kernelINS0_14default_configENS1_25partition_config_selectorILNS1_17partition_subalgoE8ElNS0_10empty_typeEbEEZZNS1_14partition_implILS5_8ELb0ES3_jPlPS6_PKS6_NS0_5tupleIJS9_S6_EEENSD_IJSA_SA_EEENS0_18inequality_wrapperIZN2at6native12_GLOBAL__N_124unique_dim_cuda_templateIN3c108BFloat16EEESt5tupleIJNSH_6TensorESO_SO_EERKSO_lbbbEUlllE0_EEPmJS6_EEE10hipError_tPvRmT3_T4_T5_T6_T7_T9_mT8_P12ihipStream_tbDpT10_ENKUlT_T0_E_clISt17integral_constantIbLb0EES1D_IbLb1EEEEDaS19_S1A_EUlS19_E_NS1_11comp_targetILNS1_3genE0ELNS1_11target_archE4294967295ELNS1_3gpuE0ELNS1_3repE0EEENS1_30default_config_static_selectorELNS0_4arch9wavefront6targetE0EEEvT1_
                                        ; -- End function
	.section	.AMDGPU.csdata,"",@progbits
; Kernel info:
; codeLenInByte = 0
; NumSgprs: 0
; NumVgprs: 0
; ScratchSize: 0
; MemoryBound: 0
; FloatMode: 240
; IeeeMode: 1
; LDSByteSize: 0 bytes/workgroup (compile time only)
; SGPRBlocks: 0
; VGPRBlocks: 0
; NumSGPRsForWavesPerEU: 1
; NumVGPRsForWavesPerEU: 1
; Occupancy: 16
; WaveLimiterHint : 0
; COMPUTE_PGM_RSRC2:SCRATCH_EN: 0
; COMPUTE_PGM_RSRC2:USER_SGPR: 15
; COMPUTE_PGM_RSRC2:TRAP_HANDLER: 0
; COMPUTE_PGM_RSRC2:TGID_X_EN: 1
; COMPUTE_PGM_RSRC2:TGID_Y_EN: 0
; COMPUTE_PGM_RSRC2:TGID_Z_EN: 0
; COMPUTE_PGM_RSRC2:TIDIG_COMP_CNT: 0
	.section	.text._ZN7rocprim17ROCPRIM_400000_NS6detail17trampoline_kernelINS0_14default_configENS1_25partition_config_selectorILNS1_17partition_subalgoE8ElNS0_10empty_typeEbEEZZNS1_14partition_implILS5_8ELb0ES3_jPlPS6_PKS6_NS0_5tupleIJS9_S6_EEENSD_IJSA_SA_EEENS0_18inequality_wrapperIZN2at6native12_GLOBAL__N_124unique_dim_cuda_templateIN3c108BFloat16EEESt5tupleIJNSH_6TensorESO_SO_EERKSO_lbbbEUlllE0_EEPmJS6_EEE10hipError_tPvRmT3_T4_T5_T6_T7_T9_mT8_P12ihipStream_tbDpT10_ENKUlT_T0_E_clISt17integral_constantIbLb0EES1D_IbLb1EEEEDaS19_S1A_EUlS19_E_NS1_11comp_targetILNS1_3genE5ELNS1_11target_archE942ELNS1_3gpuE9ELNS1_3repE0EEENS1_30default_config_static_selectorELNS0_4arch9wavefront6targetE0EEEvT1_,"axG",@progbits,_ZN7rocprim17ROCPRIM_400000_NS6detail17trampoline_kernelINS0_14default_configENS1_25partition_config_selectorILNS1_17partition_subalgoE8ElNS0_10empty_typeEbEEZZNS1_14partition_implILS5_8ELb0ES3_jPlPS6_PKS6_NS0_5tupleIJS9_S6_EEENSD_IJSA_SA_EEENS0_18inequality_wrapperIZN2at6native12_GLOBAL__N_124unique_dim_cuda_templateIN3c108BFloat16EEESt5tupleIJNSH_6TensorESO_SO_EERKSO_lbbbEUlllE0_EEPmJS6_EEE10hipError_tPvRmT3_T4_T5_T6_T7_T9_mT8_P12ihipStream_tbDpT10_ENKUlT_T0_E_clISt17integral_constantIbLb0EES1D_IbLb1EEEEDaS19_S1A_EUlS19_E_NS1_11comp_targetILNS1_3genE5ELNS1_11target_archE942ELNS1_3gpuE9ELNS1_3repE0EEENS1_30default_config_static_selectorELNS0_4arch9wavefront6targetE0EEEvT1_,comdat
	.globl	_ZN7rocprim17ROCPRIM_400000_NS6detail17trampoline_kernelINS0_14default_configENS1_25partition_config_selectorILNS1_17partition_subalgoE8ElNS0_10empty_typeEbEEZZNS1_14partition_implILS5_8ELb0ES3_jPlPS6_PKS6_NS0_5tupleIJS9_S6_EEENSD_IJSA_SA_EEENS0_18inequality_wrapperIZN2at6native12_GLOBAL__N_124unique_dim_cuda_templateIN3c108BFloat16EEESt5tupleIJNSH_6TensorESO_SO_EERKSO_lbbbEUlllE0_EEPmJS6_EEE10hipError_tPvRmT3_T4_T5_T6_T7_T9_mT8_P12ihipStream_tbDpT10_ENKUlT_T0_E_clISt17integral_constantIbLb0EES1D_IbLb1EEEEDaS19_S1A_EUlS19_E_NS1_11comp_targetILNS1_3genE5ELNS1_11target_archE942ELNS1_3gpuE9ELNS1_3repE0EEENS1_30default_config_static_selectorELNS0_4arch9wavefront6targetE0EEEvT1_ ; -- Begin function _ZN7rocprim17ROCPRIM_400000_NS6detail17trampoline_kernelINS0_14default_configENS1_25partition_config_selectorILNS1_17partition_subalgoE8ElNS0_10empty_typeEbEEZZNS1_14partition_implILS5_8ELb0ES3_jPlPS6_PKS6_NS0_5tupleIJS9_S6_EEENSD_IJSA_SA_EEENS0_18inequality_wrapperIZN2at6native12_GLOBAL__N_124unique_dim_cuda_templateIN3c108BFloat16EEESt5tupleIJNSH_6TensorESO_SO_EERKSO_lbbbEUlllE0_EEPmJS6_EEE10hipError_tPvRmT3_T4_T5_T6_T7_T9_mT8_P12ihipStream_tbDpT10_ENKUlT_T0_E_clISt17integral_constantIbLb0EES1D_IbLb1EEEEDaS19_S1A_EUlS19_E_NS1_11comp_targetILNS1_3genE5ELNS1_11target_archE942ELNS1_3gpuE9ELNS1_3repE0EEENS1_30default_config_static_selectorELNS0_4arch9wavefront6targetE0EEEvT1_
	.p2align	8
	.type	_ZN7rocprim17ROCPRIM_400000_NS6detail17trampoline_kernelINS0_14default_configENS1_25partition_config_selectorILNS1_17partition_subalgoE8ElNS0_10empty_typeEbEEZZNS1_14partition_implILS5_8ELb0ES3_jPlPS6_PKS6_NS0_5tupleIJS9_S6_EEENSD_IJSA_SA_EEENS0_18inequality_wrapperIZN2at6native12_GLOBAL__N_124unique_dim_cuda_templateIN3c108BFloat16EEESt5tupleIJNSH_6TensorESO_SO_EERKSO_lbbbEUlllE0_EEPmJS6_EEE10hipError_tPvRmT3_T4_T5_T6_T7_T9_mT8_P12ihipStream_tbDpT10_ENKUlT_T0_E_clISt17integral_constantIbLb0EES1D_IbLb1EEEEDaS19_S1A_EUlS19_E_NS1_11comp_targetILNS1_3genE5ELNS1_11target_archE942ELNS1_3gpuE9ELNS1_3repE0EEENS1_30default_config_static_selectorELNS0_4arch9wavefront6targetE0EEEvT1_,@function
_ZN7rocprim17ROCPRIM_400000_NS6detail17trampoline_kernelINS0_14default_configENS1_25partition_config_selectorILNS1_17partition_subalgoE8ElNS0_10empty_typeEbEEZZNS1_14partition_implILS5_8ELb0ES3_jPlPS6_PKS6_NS0_5tupleIJS9_S6_EEENSD_IJSA_SA_EEENS0_18inequality_wrapperIZN2at6native12_GLOBAL__N_124unique_dim_cuda_templateIN3c108BFloat16EEESt5tupleIJNSH_6TensorESO_SO_EERKSO_lbbbEUlllE0_EEPmJS6_EEE10hipError_tPvRmT3_T4_T5_T6_T7_T9_mT8_P12ihipStream_tbDpT10_ENKUlT_T0_E_clISt17integral_constantIbLb0EES1D_IbLb1EEEEDaS19_S1A_EUlS19_E_NS1_11comp_targetILNS1_3genE5ELNS1_11target_archE942ELNS1_3gpuE9ELNS1_3repE0EEENS1_30default_config_static_selectorELNS0_4arch9wavefront6targetE0EEEvT1_: ; @_ZN7rocprim17ROCPRIM_400000_NS6detail17trampoline_kernelINS0_14default_configENS1_25partition_config_selectorILNS1_17partition_subalgoE8ElNS0_10empty_typeEbEEZZNS1_14partition_implILS5_8ELb0ES3_jPlPS6_PKS6_NS0_5tupleIJS9_S6_EEENSD_IJSA_SA_EEENS0_18inequality_wrapperIZN2at6native12_GLOBAL__N_124unique_dim_cuda_templateIN3c108BFloat16EEESt5tupleIJNSH_6TensorESO_SO_EERKSO_lbbbEUlllE0_EEPmJS6_EEE10hipError_tPvRmT3_T4_T5_T6_T7_T9_mT8_P12ihipStream_tbDpT10_ENKUlT_T0_E_clISt17integral_constantIbLb0EES1D_IbLb1EEEEDaS19_S1A_EUlS19_E_NS1_11comp_targetILNS1_3genE5ELNS1_11target_archE942ELNS1_3gpuE9ELNS1_3repE0EEENS1_30default_config_static_selectorELNS0_4arch9wavefront6targetE0EEEvT1_
; %bb.0:
	.section	.rodata,"a",@progbits
	.p2align	6, 0x0
	.amdhsa_kernel _ZN7rocprim17ROCPRIM_400000_NS6detail17trampoline_kernelINS0_14default_configENS1_25partition_config_selectorILNS1_17partition_subalgoE8ElNS0_10empty_typeEbEEZZNS1_14partition_implILS5_8ELb0ES3_jPlPS6_PKS6_NS0_5tupleIJS9_S6_EEENSD_IJSA_SA_EEENS0_18inequality_wrapperIZN2at6native12_GLOBAL__N_124unique_dim_cuda_templateIN3c108BFloat16EEESt5tupleIJNSH_6TensorESO_SO_EERKSO_lbbbEUlllE0_EEPmJS6_EEE10hipError_tPvRmT3_T4_T5_T6_T7_T9_mT8_P12ihipStream_tbDpT10_ENKUlT_T0_E_clISt17integral_constantIbLb0EES1D_IbLb1EEEEDaS19_S1A_EUlS19_E_NS1_11comp_targetILNS1_3genE5ELNS1_11target_archE942ELNS1_3gpuE9ELNS1_3repE0EEENS1_30default_config_static_selectorELNS0_4arch9wavefront6targetE0EEEvT1_
		.amdhsa_group_segment_fixed_size 0
		.amdhsa_private_segment_fixed_size 0
		.amdhsa_kernarg_size 136
		.amdhsa_user_sgpr_count 15
		.amdhsa_user_sgpr_dispatch_ptr 0
		.amdhsa_user_sgpr_queue_ptr 0
		.amdhsa_user_sgpr_kernarg_segment_ptr 1
		.amdhsa_user_sgpr_dispatch_id 0
		.amdhsa_user_sgpr_private_segment_size 0
		.amdhsa_wavefront_size32 1
		.amdhsa_uses_dynamic_stack 0
		.amdhsa_enable_private_segment 0
		.amdhsa_system_sgpr_workgroup_id_x 1
		.amdhsa_system_sgpr_workgroup_id_y 0
		.amdhsa_system_sgpr_workgroup_id_z 0
		.amdhsa_system_sgpr_workgroup_info 0
		.amdhsa_system_vgpr_workitem_id 0
		.amdhsa_next_free_vgpr 1
		.amdhsa_next_free_sgpr 1
		.amdhsa_reserve_vcc 0
		.amdhsa_float_round_mode_32 0
		.amdhsa_float_round_mode_16_64 0
		.amdhsa_float_denorm_mode_32 3
		.amdhsa_float_denorm_mode_16_64 3
		.amdhsa_dx10_clamp 1
		.amdhsa_ieee_mode 1
		.amdhsa_fp16_overflow 0
		.amdhsa_workgroup_processor_mode 1
		.amdhsa_memory_ordered 1
		.amdhsa_forward_progress 0
		.amdhsa_shared_vgpr_count 0
		.amdhsa_exception_fp_ieee_invalid_op 0
		.amdhsa_exception_fp_denorm_src 0
		.amdhsa_exception_fp_ieee_div_zero 0
		.amdhsa_exception_fp_ieee_overflow 0
		.amdhsa_exception_fp_ieee_underflow 0
		.amdhsa_exception_fp_ieee_inexact 0
		.amdhsa_exception_int_div_zero 0
	.end_amdhsa_kernel
	.section	.text._ZN7rocprim17ROCPRIM_400000_NS6detail17trampoline_kernelINS0_14default_configENS1_25partition_config_selectorILNS1_17partition_subalgoE8ElNS0_10empty_typeEbEEZZNS1_14partition_implILS5_8ELb0ES3_jPlPS6_PKS6_NS0_5tupleIJS9_S6_EEENSD_IJSA_SA_EEENS0_18inequality_wrapperIZN2at6native12_GLOBAL__N_124unique_dim_cuda_templateIN3c108BFloat16EEESt5tupleIJNSH_6TensorESO_SO_EERKSO_lbbbEUlllE0_EEPmJS6_EEE10hipError_tPvRmT3_T4_T5_T6_T7_T9_mT8_P12ihipStream_tbDpT10_ENKUlT_T0_E_clISt17integral_constantIbLb0EES1D_IbLb1EEEEDaS19_S1A_EUlS19_E_NS1_11comp_targetILNS1_3genE5ELNS1_11target_archE942ELNS1_3gpuE9ELNS1_3repE0EEENS1_30default_config_static_selectorELNS0_4arch9wavefront6targetE0EEEvT1_,"axG",@progbits,_ZN7rocprim17ROCPRIM_400000_NS6detail17trampoline_kernelINS0_14default_configENS1_25partition_config_selectorILNS1_17partition_subalgoE8ElNS0_10empty_typeEbEEZZNS1_14partition_implILS5_8ELb0ES3_jPlPS6_PKS6_NS0_5tupleIJS9_S6_EEENSD_IJSA_SA_EEENS0_18inequality_wrapperIZN2at6native12_GLOBAL__N_124unique_dim_cuda_templateIN3c108BFloat16EEESt5tupleIJNSH_6TensorESO_SO_EERKSO_lbbbEUlllE0_EEPmJS6_EEE10hipError_tPvRmT3_T4_T5_T6_T7_T9_mT8_P12ihipStream_tbDpT10_ENKUlT_T0_E_clISt17integral_constantIbLb0EES1D_IbLb1EEEEDaS19_S1A_EUlS19_E_NS1_11comp_targetILNS1_3genE5ELNS1_11target_archE942ELNS1_3gpuE9ELNS1_3repE0EEENS1_30default_config_static_selectorELNS0_4arch9wavefront6targetE0EEEvT1_,comdat
.Lfunc_end1198:
	.size	_ZN7rocprim17ROCPRIM_400000_NS6detail17trampoline_kernelINS0_14default_configENS1_25partition_config_selectorILNS1_17partition_subalgoE8ElNS0_10empty_typeEbEEZZNS1_14partition_implILS5_8ELb0ES3_jPlPS6_PKS6_NS0_5tupleIJS9_S6_EEENSD_IJSA_SA_EEENS0_18inequality_wrapperIZN2at6native12_GLOBAL__N_124unique_dim_cuda_templateIN3c108BFloat16EEESt5tupleIJNSH_6TensorESO_SO_EERKSO_lbbbEUlllE0_EEPmJS6_EEE10hipError_tPvRmT3_T4_T5_T6_T7_T9_mT8_P12ihipStream_tbDpT10_ENKUlT_T0_E_clISt17integral_constantIbLb0EES1D_IbLb1EEEEDaS19_S1A_EUlS19_E_NS1_11comp_targetILNS1_3genE5ELNS1_11target_archE942ELNS1_3gpuE9ELNS1_3repE0EEENS1_30default_config_static_selectorELNS0_4arch9wavefront6targetE0EEEvT1_, .Lfunc_end1198-_ZN7rocprim17ROCPRIM_400000_NS6detail17trampoline_kernelINS0_14default_configENS1_25partition_config_selectorILNS1_17partition_subalgoE8ElNS0_10empty_typeEbEEZZNS1_14partition_implILS5_8ELb0ES3_jPlPS6_PKS6_NS0_5tupleIJS9_S6_EEENSD_IJSA_SA_EEENS0_18inequality_wrapperIZN2at6native12_GLOBAL__N_124unique_dim_cuda_templateIN3c108BFloat16EEESt5tupleIJNSH_6TensorESO_SO_EERKSO_lbbbEUlllE0_EEPmJS6_EEE10hipError_tPvRmT3_T4_T5_T6_T7_T9_mT8_P12ihipStream_tbDpT10_ENKUlT_T0_E_clISt17integral_constantIbLb0EES1D_IbLb1EEEEDaS19_S1A_EUlS19_E_NS1_11comp_targetILNS1_3genE5ELNS1_11target_archE942ELNS1_3gpuE9ELNS1_3repE0EEENS1_30default_config_static_selectorELNS0_4arch9wavefront6targetE0EEEvT1_
                                        ; -- End function
	.section	.AMDGPU.csdata,"",@progbits
; Kernel info:
; codeLenInByte = 0
; NumSgprs: 0
; NumVgprs: 0
; ScratchSize: 0
; MemoryBound: 0
; FloatMode: 240
; IeeeMode: 1
; LDSByteSize: 0 bytes/workgroup (compile time only)
; SGPRBlocks: 0
; VGPRBlocks: 0
; NumSGPRsForWavesPerEU: 1
; NumVGPRsForWavesPerEU: 1
; Occupancy: 16
; WaveLimiterHint : 0
; COMPUTE_PGM_RSRC2:SCRATCH_EN: 0
; COMPUTE_PGM_RSRC2:USER_SGPR: 15
; COMPUTE_PGM_RSRC2:TRAP_HANDLER: 0
; COMPUTE_PGM_RSRC2:TGID_X_EN: 1
; COMPUTE_PGM_RSRC2:TGID_Y_EN: 0
; COMPUTE_PGM_RSRC2:TGID_Z_EN: 0
; COMPUTE_PGM_RSRC2:TIDIG_COMP_CNT: 0
	.section	.text._ZN7rocprim17ROCPRIM_400000_NS6detail17trampoline_kernelINS0_14default_configENS1_25partition_config_selectorILNS1_17partition_subalgoE8ElNS0_10empty_typeEbEEZZNS1_14partition_implILS5_8ELb0ES3_jPlPS6_PKS6_NS0_5tupleIJS9_S6_EEENSD_IJSA_SA_EEENS0_18inequality_wrapperIZN2at6native12_GLOBAL__N_124unique_dim_cuda_templateIN3c108BFloat16EEESt5tupleIJNSH_6TensorESO_SO_EERKSO_lbbbEUlllE0_EEPmJS6_EEE10hipError_tPvRmT3_T4_T5_T6_T7_T9_mT8_P12ihipStream_tbDpT10_ENKUlT_T0_E_clISt17integral_constantIbLb0EES1D_IbLb1EEEEDaS19_S1A_EUlS19_E_NS1_11comp_targetILNS1_3genE4ELNS1_11target_archE910ELNS1_3gpuE8ELNS1_3repE0EEENS1_30default_config_static_selectorELNS0_4arch9wavefront6targetE0EEEvT1_,"axG",@progbits,_ZN7rocprim17ROCPRIM_400000_NS6detail17trampoline_kernelINS0_14default_configENS1_25partition_config_selectorILNS1_17partition_subalgoE8ElNS0_10empty_typeEbEEZZNS1_14partition_implILS5_8ELb0ES3_jPlPS6_PKS6_NS0_5tupleIJS9_S6_EEENSD_IJSA_SA_EEENS0_18inequality_wrapperIZN2at6native12_GLOBAL__N_124unique_dim_cuda_templateIN3c108BFloat16EEESt5tupleIJNSH_6TensorESO_SO_EERKSO_lbbbEUlllE0_EEPmJS6_EEE10hipError_tPvRmT3_T4_T5_T6_T7_T9_mT8_P12ihipStream_tbDpT10_ENKUlT_T0_E_clISt17integral_constantIbLb0EES1D_IbLb1EEEEDaS19_S1A_EUlS19_E_NS1_11comp_targetILNS1_3genE4ELNS1_11target_archE910ELNS1_3gpuE8ELNS1_3repE0EEENS1_30default_config_static_selectorELNS0_4arch9wavefront6targetE0EEEvT1_,comdat
	.globl	_ZN7rocprim17ROCPRIM_400000_NS6detail17trampoline_kernelINS0_14default_configENS1_25partition_config_selectorILNS1_17partition_subalgoE8ElNS0_10empty_typeEbEEZZNS1_14partition_implILS5_8ELb0ES3_jPlPS6_PKS6_NS0_5tupleIJS9_S6_EEENSD_IJSA_SA_EEENS0_18inequality_wrapperIZN2at6native12_GLOBAL__N_124unique_dim_cuda_templateIN3c108BFloat16EEESt5tupleIJNSH_6TensorESO_SO_EERKSO_lbbbEUlllE0_EEPmJS6_EEE10hipError_tPvRmT3_T4_T5_T6_T7_T9_mT8_P12ihipStream_tbDpT10_ENKUlT_T0_E_clISt17integral_constantIbLb0EES1D_IbLb1EEEEDaS19_S1A_EUlS19_E_NS1_11comp_targetILNS1_3genE4ELNS1_11target_archE910ELNS1_3gpuE8ELNS1_3repE0EEENS1_30default_config_static_selectorELNS0_4arch9wavefront6targetE0EEEvT1_ ; -- Begin function _ZN7rocprim17ROCPRIM_400000_NS6detail17trampoline_kernelINS0_14default_configENS1_25partition_config_selectorILNS1_17partition_subalgoE8ElNS0_10empty_typeEbEEZZNS1_14partition_implILS5_8ELb0ES3_jPlPS6_PKS6_NS0_5tupleIJS9_S6_EEENSD_IJSA_SA_EEENS0_18inequality_wrapperIZN2at6native12_GLOBAL__N_124unique_dim_cuda_templateIN3c108BFloat16EEESt5tupleIJNSH_6TensorESO_SO_EERKSO_lbbbEUlllE0_EEPmJS6_EEE10hipError_tPvRmT3_T4_T5_T6_T7_T9_mT8_P12ihipStream_tbDpT10_ENKUlT_T0_E_clISt17integral_constantIbLb0EES1D_IbLb1EEEEDaS19_S1A_EUlS19_E_NS1_11comp_targetILNS1_3genE4ELNS1_11target_archE910ELNS1_3gpuE8ELNS1_3repE0EEENS1_30default_config_static_selectorELNS0_4arch9wavefront6targetE0EEEvT1_
	.p2align	8
	.type	_ZN7rocprim17ROCPRIM_400000_NS6detail17trampoline_kernelINS0_14default_configENS1_25partition_config_selectorILNS1_17partition_subalgoE8ElNS0_10empty_typeEbEEZZNS1_14partition_implILS5_8ELb0ES3_jPlPS6_PKS6_NS0_5tupleIJS9_S6_EEENSD_IJSA_SA_EEENS0_18inequality_wrapperIZN2at6native12_GLOBAL__N_124unique_dim_cuda_templateIN3c108BFloat16EEESt5tupleIJNSH_6TensorESO_SO_EERKSO_lbbbEUlllE0_EEPmJS6_EEE10hipError_tPvRmT3_T4_T5_T6_T7_T9_mT8_P12ihipStream_tbDpT10_ENKUlT_T0_E_clISt17integral_constantIbLb0EES1D_IbLb1EEEEDaS19_S1A_EUlS19_E_NS1_11comp_targetILNS1_3genE4ELNS1_11target_archE910ELNS1_3gpuE8ELNS1_3repE0EEENS1_30default_config_static_selectorELNS0_4arch9wavefront6targetE0EEEvT1_,@function
_ZN7rocprim17ROCPRIM_400000_NS6detail17trampoline_kernelINS0_14default_configENS1_25partition_config_selectorILNS1_17partition_subalgoE8ElNS0_10empty_typeEbEEZZNS1_14partition_implILS5_8ELb0ES3_jPlPS6_PKS6_NS0_5tupleIJS9_S6_EEENSD_IJSA_SA_EEENS0_18inequality_wrapperIZN2at6native12_GLOBAL__N_124unique_dim_cuda_templateIN3c108BFloat16EEESt5tupleIJNSH_6TensorESO_SO_EERKSO_lbbbEUlllE0_EEPmJS6_EEE10hipError_tPvRmT3_T4_T5_T6_T7_T9_mT8_P12ihipStream_tbDpT10_ENKUlT_T0_E_clISt17integral_constantIbLb0EES1D_IbLb1EEEEDaS19_S1A_EUlS19_E_NS1_11comp_targetILNS1_3genE4ELNS1_11target_archE910ELNS1_3gpuE8ELNS1_3repE0EEENS1_30default_config_static_selectorELNS0_4arch9wavefront6targetE0EEEvT1_: ; @_ZN7rocprim17ROCPRIM_400000_NS6detail17trampoline_kernelINS0_14default_configENS1_25partition_config_selectorILNS1_17partition_subalgoE8ElNS0_10empty_typeEbEEZZNS1_14partition_implILS5_8ELb0ES3_jPlPS6_PKS6_NS0_5tupleIJS9_S6_EEENSD_IJSA_SA_EEENS0_18inequality_wrapperIZN2at6native12_GLOBAL__N_124unique_dim_cuda_templateIN3c108BFloat16EEESt5tupleIJNSH_6TensorESO_SO_EERKSO_lbbbEUlllE0_EEPmJS6_EEE10hipError_tPvRmT3_T4_T5_T6_T7_T9_mT8_P12ihipStream_tbDpT10_ENKUlT_T0_E_clISt17integral_constantIbLb0EES1D_IbLb1EEEEDaS19_S1A_EUlS19_E_NS1_11comp_targetILNS1_3genE4ELNS1_11target_archE910ELNS1_3gpuE8ELNS1_3repE0EEENS1_30default_config_static_selectorELNS0_4arch9wavefront6targetE0EEEvT1_
; %bb.0:
	.section	.rodata,"a",@progbits
	.p2align	6, 0x0
	.amdhsa_kernel _ZN7rocprim17ROCPRIM_400000_NS6detail17trampoline_kernelINS0_14default_configENS1_25partition_config_selectorILNS1_17partition_subalgoE8ElNS0_10empty_typeEbEEZZNS1_14partition_implILS5_8ELb0ES3_jPlPS6_PKS6_NS0_5tupleIJS9_S6_EEENSD_IJSA_SA_EEENS0_18inequality_wrapperIZN2at6native12_GLOBAL__N_124unique_dim_cuda_templateIN3c108BFloat16EEESt5tupleIJNSH_6TensorESO_SO_EERKSO_lbbbEUlllE0_EEPmJS6_EEE10hipError_tPvRmT3_T4_T5_T6_T7_T9_mT8_P12ihipStream_tbDpT10_ENKUlT_T0_E_clISt17integral_constantIbLb0EES1D_IbLb1EEEEDaS19_S1A_EUlS19_E_NS1_11comp_targetILNS1_3genE4ELNS1_11target_archE910ELNS1_3gpuE8ELNS1_3repE0EEENS1_30default_config_static_selectorELNS0_4arch9wavefront6targetE0EEEvT1_
		.amdhsa_group_segment_fixed_size 0
		.amdhsa_private_segment_fixed_size 0
		.amdhsa_kernarg_size 136
		.amdhsa_user_sgpr_count 15
		.amdhsa_user_sgpr_dispatch_ptr 0
		.amdhsa_user_sgpr_queue_ptr 0
		.amdhsa_user_sgpr_kernarg_segment_ptr 1
		.amdhsa_user_sgpr_dispatch_id 0
		.amdhsa_user_sgpr_private_segment_size 0
		.amdhsa_wavefront_size32 1
		.amdhsa_uses_dynamic_stack 0
		.amdhsa_enable_private_segment 0
		.amdhsa_system_sgpr_workgroup_id_x 1
		.amdhsa_system_sgpr_workgroup_id_y 0
		.amdhsa_system_sgpr_workgroup_id_z 0
		.amdhsa_system_sgpr_workgroup_info 0
		.amdhsa_system_vgpr_workitem_id 0
		.amdhsa_next_free_vgpr 1
		.amdhsa_next_free_sgpr 1
		.amdhsa_reserve_vcc 0
		.amdhsa_float_round_mode_32 0
		.amdhsa_float_round_mode_16_64 0
		.amdhsa_float_denorm_mode_32 3
		.amdhsa_float_denorm_mode_16_64 3
		.amdhsa_dx10_clamp 1
		.amdhsa_ieee_mode 1
		.amdhsa_fp16_overflow 0
		.amdhsa_workgroup_processor_mode 1
		.amdhsa_memory_ordered 1
		.amdhsa_forward_progress 0
		.amdhsa_shared_vgpr_count 0
		.amdhsa_exception_fp_ieee_invalid_op 0
		.amdhsa_exception_fp_denorm_src 0
		.amdhsa_exception_fp_ieee_div_zero 0
		.amdhsa_exception_fp_ieee_overflow 0
		.amdhsa_exception_fp_ieee_underflow 0
		.amdhsa_exception_fp_ieee_inexact 0
		.amdhsa_exception_int_div_zero 0
	.end_amdhsa_kernel
	.section	.text._ZN7rocprim17ROCPRIM_400000_NS6detail17trampoline_kernelINS0_14default_configENS1_25partition_config_selectorILNS1_17partition_subalgoE8ElNS0_10empty_typeEbEEZZNS1_14partition_implILS5_8ELb0ES3_jPlPS6_PKS6_NS0_5tupleIJS9_S6_EEENSD_IJSA_SA_EEENS0_18inequality_wrapperIZN2at6native12_GLOBAL__N_124unique_dim_cuda_templateIN3c108BFloat16EEESt5tupleIJNSH_6TensorESO_SO_EERKSO_lbbbEUlllE0_EEPmJS6_EEE10hipError_tPvRmT3_T4_T5_T6_T7_T9_mT8_P12ihipStream_tbDpT10_ENKUlT_T0_E_clISt17integral_constantIbLb0EES1D_IbLb1EEEEDaS19_S1A_EUlS19_E_NS1_11comp_targetILNS1_3genE4ELNS1_11target_archE910ELNS1_3gpuE8ELNS1_3repE0EEENS1_30default_config_static_selectorELNS0_4arch9wavefront6targetE0EEEvT1_,"axG",@progbits,_ZN7rocprim17ROCPRIM_400000_NS6detail17trampoline_kernelINS0_14default_configENS1_25partition_config_selectorILNS1_17partition_subalgoE8ElNS0_10empty_typeEbEEZZNS1_14partition_implILS5_8ELb0ES3_jPlPS6_PKS6_NS0_5tupleIJS9_S6_EEENSD_IJSA_SA_EEENS0_18inequality_wrapperIZN2at6native12_GLOBAL__N_124unique_dim_cuda_templateIN3c108BFloat16EEESt5tupleIJNSH_6TensorESO_SO_EERKSO_lbbbEUlllE0_EEPmJS6_EEE10hipError_tPvRmT3_T4_T5_T6_T7_T9_mT8_P12ihipStream_tbDpT10_ENKUlT_T0_E_clISt17integral_constantIbLb0EES1D_IbLb1EEEEDaS19_S1A_EUlS19_E_NS1_11comp_targetILNS1_3genE4ELNS1_11target_archE910ELNS1_3gpuE8ELNS1_3repE0EEENS1_30default_config_static_selectorELNS0_4arch9wavefront6targetE0EEEvT1_,comdat
.Lfunc_end1199:
	.size	_ZN7rocprim17ROCPRIM_400000_NS6detail17trampoline_kernelINS0_14default_configENS1_25partition_config_selectorILNS1_17partition_subalgoE8ElNS0_10empty_typeEbEEZZNS1_14partition_implILS5_8ELb0ES3_jPlPS6_PKS6_NS0_5tupleIJS9_S6_EEENSD_IJSA_SA_EEENS0_18inequality_wrapperIZN2at6native12_GLOBAL__N_124unique_dim_cuda_templateIN3c108BFloat16EEESt5tupleIJNSH_6TensorESO_SO_EERKSO_lbbbEUlllE0_EEPmJS6_EEE10hipError_tPvRmT3_T4_T5_T6_T7_T9_mT8_P12ihipStream_tbDpT10_ENKUlT_T0_E_clISt17integral_constantIbLb0EES1D_IbLb1EEEEDaS19_S1A_EUlS19_E_NS1_11comp_targetILNS1_3genE4ELNS1_11target_archE910ELNS1_3gpuE8ELNS1_3repE0EEENS1_30default_config_static_selectorELNS0_4arch9wavefront6targetE0EEEvT1_, .Lfunc_end1199-_ZN7rocprim17ROCPRIM_400000_NS6detail17trampoline_kernelINS0_14default_configENS1_25partition_config_selectorILNS1_17partition_subalgoE8ElNS0_10empty_typeEbEEZZNS1_14partition_implILS5_8ELb0ES3_jPlPS6_PKS6_NS0_5tupleIJS9_S6_EEENSD_IJSA_SA_EEENS0_18inequality_wrapperIZN2at6native12_GLOBAL__N_124unique_dim_cuda_templateIN3c108BFloat16EEESt5tupleIJNSH_6TensorESO_SO_EERKSO_lbbbEUlllE0_EEPmJS6_EEE10hipError_tPvRmT3_T4_T5_T6_T7_T9_mT8_P12ihipStream_tbDpT10_ENKUlT_T0_E_clISt17integral_constantIbLb0EES1D_IbLb1EEEEDaS19_S1A_EUlS19_E_NS1_11comp_targetILNS1_3genE4ELNS1_11target_archE910ELNS1_3gpuE8ELNS1_3repE0EEENS1_30default_config_static_selectorELNS0_4arch9wavefront6targetE0EEEvT1_
                                        ; -- End function
	.section	.AMDGPU.csdata,"",@progbits
; Kernel info:
; codeLenInByte = 0
; NumSgprs: 0
; NumVgprs: 0
; ScratchSize: 0
; MemoryBound: 0
; FloatMode: 240
; IeeeMode: 1
; LDSByteSize: 0 bytes/workgroup (compile time only)
; SGPRBlocks: 0
; VGPRBlocks: 0
; NumSGPRsForWavesPerEU: 1
; NumVGPRsForWavesPerEU: 1
; Occupancy: 16
; WaveLimiterHint : 0
; COMPUTE_PGM_RSRC2:SCRATCH_EN: 0
; COMPUTE_PGM_RSRC2:USER_SGPR: 15
; COMPUTE_PGM_RSRC2:TRAP_HANDLER: 0
; COMPUTE_PGM_RSRC2:TGID_X_EN: 1
; COMPUTE_PGM_RSRC2:TGID_Y_EN: 0
; COMPUTE_PGM_RSRC2:TGID_Z_EN: 0
; COMPUTE_PGM_RSRC2:TIDIG_COMP_CNT: 0
	.section	.text._ZN7rocprim17ROCPRIM_400000_NS6detail17trampoline_kernelINS0_14default_configENS1_25partition_config_selectorILNS1_17partition_subalgoE8ElNS0_10empty_typeEbEEZZNS1_14partition_implILS5_8ELb0ES3_jPlPS6_PKS6_NS0_5tupleIJS9_S6_EEENSD_IJSA_SA_EEENS0_18inequality_wrapperIZN2at6native12_GLOBAL__N_124unique_dim_cuda_templateIN3c108BFloat16EEESt5tupleIJNSH_6TensorESO_SO_EERKSO_lbbbEUlllE0_EEPmJS6_EEE10hipError_tPvRmT3_T4_T5_T6_T7_T9_mT8_P12ihipStream_tbDpT10_ENKUlT_T0_E_clISt17integral_constantIbLb0EES1D_IbLb1EEEEDaS19_S1A_EUlS19_E_NS1_11comp_targetILNS1_3genE3ELNS1_11target_archE908ELNS1_3gpuE7ELNS1_3repE0EEENS1_30default_config_static_selectorELNS0_4arch9wavefront6targetE0EEEvT1_,"axG",@progbits,_ZN7rocprim17ROCPRIM_400000_NS6detail17trampoline_kernelINS0_14default_configENS1_25partition_config_selectorILNS1_17partition_subalgoE8ElNS0_10empty_typeEbEEZZNS1_14partition_implILS5_8ELb0ES3_jPlPS6_PKS6_NS0_5tupleIJS9_S6_EEENSD_IJSA_SA_EEENS0_18inequality_wrapperIZN2at6native12_GLOBAL__N_124unique_dim_cuda_templateIN3c108BFloat16EEESt5tupleIJNSH_6TensorESO_SO_EERKSO_lbbbEUlllE0_EEPmJS6_EEE10hipError_tPvRmT3_T4_T5_T6_T7_T9_mT8_P12ihipStream_tbDpT10_ENKUlT_T0_E_clISt17integral_constantIbLb0EES1D_IbLb1EEEEDaS19_S1A_EUlS19_E_NS1_11comp_targetILNS1_3genE3ELNS1_11target_archE908ELNS1_3gpuE7ELNS1_3repE0EEENS1_30default_config_static_selectorELNS0_4arch9wavefront6targetE0EEEvT1_,comdat
	.globl	_ZN7rocprim17ROCPRIM_400000_NS6detail17trampoline_kernelINS0_14default_configENS1_25partition_config_selectorILNS1_17partition_subalgoE8ElNS0_10empty_typeEbEEZZNS1_14partition_implILS5_8ELb0ES3_jPlPS6_PKS6_NS0_5tupleIJS9_S6_EEENSD_IJSA_SA_EEENS0_18inequality_wrapperIZN2at6native12_GLOBAL__N_124unique_dim_cuda_templateIN3c108BFloat16EEESt5tupleIJNSH_6TensorESO_SO_EERKSO_lbbbEUlllE0_EEPmJS6_EEE10hipError_tPvRmT3_T4_T5_T6_T7_T9_mT8_P12ihipStream_tbDpT10_ENKUlT_T0_E_clISt17integral_constantIbLb0EES1D_IbLb1EEEEDaS19_S1A_EUlS19_E_NS1_11comp_targetILNS1_3genE3ELNS1_11target_archE908ELNS1_3gpuE7ELNS1_3repE0EEENS1_30default_config_static_selectorELNS0_4arch9wavefront6targetE0EEEvT1_ ; -- Begin function _ZN7rocprim17ROCPRIM_400000_NS6detail17trampoline_kernelINS0_14default_configENS1_25partition_config_selectorILNS1_17partition_subalgoE8ElNS0_10empty_typeEbEEZZNS1_14partition_implILS5_8ELb0ES3_jPlPS6_PKS6_NS0_5tupleIJS9_S6_EEENSD_IJSA_SA_EEENS0_18inequality_wrapperIZN2at6native12_GLOBAL__N_124unique_dim_cuda_templateIN3c108BFloat16EEESt5tupleIJNSH_6TensorESO_SO_EERKSO_lbbbEUlllE0_EEPmJS6_EEE10hipError_tPvRmT3_T4_T5_T6_T7_T9_mT8_P12ihipStream_tbDpT10_ENKUlT_T0_E_clISt17integral_constantIbLb0EES1D_IbLb1EEEEDaS19_S1A_EUlS19_E_NS1_11comp_targetILNS1_3genE3ELNS1_11target_archE908ELNS1_3gpuE7ELNS1_3repE0EEENS1_30default_config_static_selectorELNS0_4arch9wavefront6targetE0EEEvT1_
	.p2align	8
	.type	_ZN7rocprim17ROCPRIM_400000_NS6detail17trampoline_kernelINS0_14default_configENS1_25partition_config_selectorILNS1_17partition_subalgoE8ElNS0_10empty_typeEbEEZZNS1_14partition_implILS5_8ELb0ES3_jPlPS6_PKS6_NS0_5tupleIJS9_S6_EEENSD_IJSA_SA_EEENS0_18inequality_wrapperIZN2at6native12_GLOBAL__N_124unique_dim_cuda_templateIN3c108BFloat16EEESt5tupleIJNSH_6TensorESO_SO_EERKSO_lbbbEUlllE0_EEPmJS6_EEE10hipError_tPvRmT3_T4_T5_T6_T7_T9_mT8_P12ihipStream_tbDpT10_ENKUlT_T0_E_clISt17integral_constantIbLb0EES1D_IbLb1EEEEDaS19_S1A_EUlS19_E_NS1_11comp_targetILNS1_3genE3ELNS1_11target_archE908ELNS1_3gpuE7ELNS1_3repE0EEENS1_30default_config_static_selectorELNS0_4arch9wavefront6targetE0EEEvT1_,@function
_ZN7rocprim17ROCPRIM_400000_NS6detail17trampoline_kernelINS0_14default_configENS1_25partition_config_selectorILNS1_17partition_subalgoE8ElNS0_10empty_typeEbEEZZNS1_14partition_implILS5_8ELb0ES3_jPlPS6_PKS6_NS0_5tupleIJS9_S6_EEENSD_IJSA_SA_EEENS0_18inequality_wrapperIZN2at6native12_GLOBAL__N_124unique_dim_cuda_templateIN3c108BFloat16EEESt5tupleIJNSH_6TensorESO_SO_EERKSO_lbbbEUlllE0_EEPmJS6_EEE10hipError_tPvRmT3_T4_T5_T6_T7_T9_mT8_P12ihipStream_tbDpT10_ENKUlT_T0_E_clISt17integral_constantIbLb0EES1D_IbLb1EEEEDaS19_S1A_EUlS19_E_NS1_11comp_targetILNS1_3genE3ELNS1_11target_archE908ELNS1_3gpuE7ELNS1_3repE0EEENS1_30default_config_static_selectorELNS0_4arch9wavefront6targetE0EEEvT1_: ; @_ZN7rocprim17ROCPRIM_400000_NS6detail17trampoline_kernelINS0_14default_configENS1_25partition_config_selectorILNS1_17partition_subalgoE8ElNS0_10empty_typeEbEEZZNS1_14partition_implILS5_8ELb0ES3_jPlPS6_PKS6_NS0_5tupleIJS9_S6_EEENSD_IJSA_SA_EEENS0_18inequality_wrapperIZN2at6native12_GLOBAL__N_124unique_dim_cuda_templateIN3c108BFloat16EEESt5tupleIJNSH_6TensorESO_SO_EERKSO_lbbbEUlllE0_EEPmJS6_EEE10hipError_tPvRmT3_T4_T5_T6_T7_T9_mT8_P12ihipStream_tbDpT10_ENKUlT_T0_E_clISt17integral_constantIbLb0EES1D_IbLb1EEEEDaS19_S1A_EUlS19_E_NS1_11comp_targetILNS1_3genE3ELNS1_11target_archE908ELNS1_3gpuE7ELNS1_3repE0EEENS1_30default_config_static_selectorELNS0_4arch9wavefront6targetE0EEEvT1_
; %bb.0:
	.section	.rodata,"a",@progbits
	.p2align	6, 0x0
	.amdhsa_kernel _ZN7rocprim17ROCPRIM_400000_NS6detail17trampoline_kernelINS0_14default_configENS1_25partition_config_selectorILNS1_17partition_subalgoE8ElNS0_10empty_typeEbEEZZNS1_14partition_implILS5_8ELb0ES3_jPlPS6_PKS6_NS0_5tupleIJS9_S6_EEENSD_IJSA_SA_EEENS0_18inequality_wrapperIZN2at6native12_GLOBAL__N_124unique_dim_cuda_templateIN3c108BFloat16EEESt5tupleIJNSH_6TensorESO_SO_EERKSO_lbbbEUlllE0_EEPmJS6_EEE10hipError_tPvRmT3_T4_T5_T6_T7_T9_mT8_P12ihipStream_tbDpT10_ENKUlT_T0_E_clISt17integral_constantIbLb0EES1D_IbLb1EEEEDaS19_S1A_EUlS19_E_NS1_11comp_targetILNS1_3genE3ELNS1_11target_archE908ELNS1_3gpuE7ELNS1_3repE0EEENS1_30default_config_static_selectorELNS0_4arch9wavefront6targetE0EEEvT1_
		.amdhsa_group_segment_fixed_size 0
		.amdhsa_private_segment_fixed_size 0
		.amdhsa_kernarg_size 136
		.amdhsa_user_sgpr_count 15
		.amdhsa_user_sgpr_dispatch_ptr 0
		.amdhsa_user_sgpr_queue_ptr 0
		.amdhsa_user_sgpr_kernarg_segment_ptr 1
		.amdhsa_user_sgpr_dispatch_id 0
		.amdhsa_user_sgpr_private_segment_size 0
		.amdhsa_wavefront_size32 1
		.amdhsa_uses_dynamic_stack 0
		.amdhsa_enable_private_segment 0
		.amdhsa_system_sgpr_workgroup_id_x 1
		.amdhsa_system_sgpr_workgroup_id_y 0
		.amdhsa_system_sgpr_workgroup_id_z 0
		.amdhsa_system_sgpr_workgroup_info 0
		.amdhsa_system_vgpr_workitem_id 0
		.amdhsa_next_free_vgpr 1
		.amdhsa_next_free_sgpr 1
		.amdhsa_reserve_vcc 0
		.amdhsa_float_round_mode_32 0
		.amdhsa_float_round_mode_16_64 0
		.amdhsa_float_denorm_mode_32 3
		.amdhsa_float_denorm_mode_16_64 3
		.amdhsa_dx10_clamp 1
		.amdhsa_ieee_mode 1
		.amdhsa_fp16_overflow 0
		.amdhsa_workgroup_processor_mode 1
		.amdhsa_memory_ordered 1
		.amdhsa_forward_progress 0
		.amdhsa_shared_vgpr_count 0
		.amdhsa_exception_fp_ieee_invalid_op 0
		.amdhsa_exception_fp_denorm_src 0
		.amdhsa_exception_fp_ieee_div_zero 0
		.amdhsa_exception_fp_ieee_overflow 0
		.amdhsa_exception_fp_ieee_underflow 0
		.amdhsa_exception_fp_ieee_inexact 0
		.amdhsa_exception_int_div_zero 0
	.end_amdhsa_kernel
	.section	.text._ZN7rocprim17ROCPRIM_400000_NS6detail17trampoline_kernelINS0_14default_configENS1_25partition_config_selectorILNS1_17partition_subalgoE8ElNS0_10empty_typeEbEEZZNS1_14partition_implILS5_8ELb0ES3_jPlPS6_PKS6_NS0_5tupleIJS9_S6_EEENSD_IJSA_SA_EEENS0_18inequality_wrapperIZN2at6native12_GLOBAL__N_124unique_dim_cuda_templateIN3c108BFloat16EEESt5tupleIJNSH_6TensorESO_SO_EERKSO_lbbbEUlllE0_EEPmJS6_EEE10hipError_tPvRmT3_T4_T5_T6_T7_T9_mT8_P12ihipStream_tbDpT10_ENKUlT_T0_E_clISt17integral_constantIbLb0EES1D_IbLb1EEEEDaS19_S1A_EUlS19_E_NS1_11comp_targetILNS1_3genE3ELNS1_11target_archE908ELNS1_3gpuE7ELNS1_3repE0EEENS1_30default_config_static_selectorELNS0_4arch9wavefront6targetE0EEEvT1_,"axG",@progbits,_ZN7rocprim17ROCPRIM_400000_NS6detail17trampoline_kernelINS0_14default_configENS1_25partition_config_selectorILNS1_17partition_subalgoE8ElNS0_10empty_typeEbEEZZNS1_14partition_implILS5_8ELb0ES3_jPlPS6_PKS6_NS0_5tupleIJS9_S6_EEENSD_IJSA_SA_EEENS0_18inequality_wrapperIZN2at6native12_GLOBAL__N_124unique_dim_cuda_templateIN3c108BFloat16EEESt5tupleIJNSH_6TensorESO_SO_EERKSO_lbbbEUlllE0_EEPmJS6_EEE10hipError_tPvRmT3_T4_T5_T6_T7_T9_mT8_P12ihipStream_tbDpT10_ENKUlT_T0_E_clISt17integral_constantIbLb0EES1D_IbLb1EEEEDaS19_S1A_EUlS19_E_NS1_11comp_targetILNS1_3genE3ELNS1_11target_archE908ELNS1_3gpuE7ELNS1_3repE0EEENS1_30default_config_static_selectorELNS0_4arch9wavefront6targetE0EEEvT1_,comdat
.Lfunc_end1200:
	.size	_ZN7rocprim17ROCPRIM_400000_NS6detail17trampoline_kernelINS0_14default_configENS1_25partition_config_selectorILNS1_17partition_subalgoE8ElNS0_10empty_typeEbEEZZNS1_14partition_implILS5_8ELb0ES3_jPlPS6_PKS6_NS0_5tupleIJS9_S6_EEENSD_IJSA_SA_EEENS0_18inequality_wrapperIZN2at6native12_GLOBAL__N_124unique_dim_cuda_templateIN3c108BFloat16EEESt5tupleIJNSH_6TensorESO_SO_EERKSO_lbbbEUlllE0_EEPmJS6_EEE10hipError_tPvRmT3_T4_T5_T6_T7_T9_mT8_P12ihipStream_tbDpT10_ENKUlT_T0_E_clISt17integral_constantIbLb0EES1D_IbLb1EEEEDaS19_S1A_EUlS19_E_NS1_11comp_targetILNS1_3genE3ELNS1_11target_archE908ELNS1_3gpuE7ELNS1_3repE0EEENS1_30default_config_static_selectorELNS0_4arch9wavefront6targetE0EEEvT1_, .Lfunc_end1200-_ZN7rocprim17ROCPRIM_400000_NS6detail17trampoline_kernelINS0_14default_configENS1_25partition_config_selectorILNS1_17partition_subalgoE8ElNS0_10empty_typeEbEEZZNS1_14partition_implILS5_8ELb0ES3_jPlPS6_PKS6_NS0_5tupleIJS9_S6_EEENSD_IJSA_SA_EEENS0_18inequality_wrapperIZN2at6native12_GLOBAL__N_124unique_dim_cuda_templateIN3c108BFloat16EEESt5tupleIJNSH_6TensorESO_SO_EERKSO_lbbbEUlllE0_EEPmJS6_EEE10hipError_tPvRmT3_T4_T5_T6_T7_T9_mT8_P12ihipStream_tbDpT10_ENKUlT_T0_E_clISt17integral_constantIbLb0EES1D_IbLb1EEEEDaS19_S1A_EUlS19_E_NS1_11comp_targetILNS1_3genE3ELNS1_11target_archE908ELNS1_3gpuE7ELNS1_3repE0EEENS1_30default_config_static_selectorELNS0_4arch9wavefront6targetE0EEEvT1_
                                        ; -- End function
	.section	.AMDGPU.csdata,"",@progbits
; Kernel info:
; codeLenInByte = 0
; NumSgprs: 0
; NumVgprs: 0
; ScratchSize: 0
; MemoryBound: 0
; FloatMode: 240
; IeeeMode: 1
; LDSByteSize: 0 bytes/workgroup (compile time only)
; SGPRBlocks: 0
; VGPRBlocks: 0
; NumSGPRsForWavesPerEU: 1
; NumVGPRsForWavesPerEU: 1
; Occupancy: 16
; WaveLimiterHint : 0
; COMPUTE_PGM_RSRC2:SCRATCH_EN: 0
; COMPUTE_PGM_RSRC2:USER_SGPR: 15
; COMPUTE_PGM_RSRC2:TRAP_HANDLER: 0
; COMPUTE_PGM_RSRC2:TGID_X_EN: 1
; COMPUTE_PGM_RSRC2:TGID_Y_EN: 0
; COMPUTE_PGM_RSRC2:TGID_Z_EN: 0
; COMPUTE_PGM_RSRC2:TIDIG_COMP_CNT: 0
	.section	.text._ZN7rocprim17ROCPRIM_400000_NS6detail17trampoline_kernelINS0_14default_configENS1_25partition_config_selectorILNS1_17partition_subalgoE8ElNS0_10empty_typeEbEEZZNS1_14partition_implILS5_8ELb0ES3_jPlPS6_PKS6_NS0_5tupleIJS9_S6_EEENSD_IJSA_SA_EEENS0_18inequality_wrapperIZN2at6native12_GLOBAL__N_124unique_dim_cuda_templateIN3c108BFloat16EEESt5tupleIJNSH_6TensorESO_SO_EERKSO_lbbbEUlllE0_EEPmJS6_EEE10hipError_tPvRmT3_T4_T5_T6_T7_T9_mT8_P12ihipStream_tbDpT10_ENKUlT_T0_E_clISt17integral_constantIbLb0EES1D_IbLb1EEEEDaS19_S1A_EUlS19_E_NS1_11comp_targetILNS1_3genE2ELNS1_11target_archE906ELNS1_3gpuE6ELNS1_3repE0EEENS1_30default_config_static_selectorELNS0_4arch9wavefront6targetE0EEEvT1_,"axG",@progbits,_ZN7rocprim17ROCPRIM_400000_NS6detail17trampoline_kernelINS0_14default_configENS1_25partition_config_selectorILNS1_17partition_subalgoE8ElNS0_10empty_typeEbEEZZNS1_14partition_implILS5_8ELb0ES3_jPlPS6_PKS6_NS0_5tupleIJS9_S6_EEENSD_IJSA_SA_EEENS0_18inequality_wrapperIZN2at6native12_GLOBAL__N_124unique_dim_cuda_templateIN3c108BFloat16EEESt5tupleIJNSH_6TensorESO_SO_EERKSO_lbbbEUlllE0_EEPmJS6_EEE10hipError_tPvRmT3_T4_T5_T6_T7_T9_mT8_P12ihipStream_tbDpT10_ENKUlT_T0_E_clISt17integral_constantIbLb0EES1D_IbLb1EEEEDaS19_S1A_EUlS19_E_NS1_11comp_targetILNS1_3genE2ELNS1_11target_archE906ELNS1_3gpuE6ELNS1_3repE0EEENS1_30default_config_static_selectorELNS0_4arch9wavefront6targetE0EEEvT1_,comdat
	.globl	_ZN7rocprim17ROCPRIM_400000_NS6detail17trampoline_kernelINS0_14default_configENS1_25partition_config_selectorILNS1_17partition_subalgoE8ElNS0_10empty_typeEbEEZZNS1_14partition_implILS5_8ELb0ES3_jPlPS6_PKS6_NS0_5tupleIJS9_S6_EEENSD_IJSA_SA_EEENS0_18inequality_wrapperIZN2at6native12_GLOBAL__N_124unique_dim_cuda_templateIN3c108BFloat16EEESt5tupleIJNSH_6TensorESO_SO_EERKSO_lbbbEUlllE0_EEPmJS6_EEE10hipError_tPvRmT3_T4_T5_T6_T7_T9_mT8_P12ihipStream_tbDpT10_ENKUlT_T0_E_clISt17integral_constantIbLb0EES1D_IbLb1EEEEDaS19_S1A_EUlS19_E_NS1_11comp_targetILNS1_3genE2ELNS1_11target_archE906ELNS1_3gpuE6ELNS1_3repE0EEENS1_30default_config_static_selectorELNS0_4arch9wavefront6targetE0EEEvT1_ ; -- Begin function _ZN7rocprim17ROCPRIM_400000_NS6detail17trampoline_kernelINS0_14default_configENS1_25partition_config_selectorILNS1_17partition_subalgoE8ElNS0_10empty_typeEbEEZZNS1_14partition_implILS5_8ELb0ES3_jPlPS6_PKS6_NS0_5tupleIJS9_S6_EEENSD_IJSA_SA_EEENS0_18inequality_wrapperIZN2at6native12_GLOBAL__N_124unique_dim_cuda_templateIN3c108BFloat16EEESt5tupleIJNSH_6TensorESO_SO_EERKSO_lbbbEUlllE0_EEPmJS6_EEE10hipError_tPvRmT3_T4_T5_T6_T7_T9_mT8_P12ihipStream_tbDpT10_ENKUlT_T0_E_clISt17integral_constantIbLb0EES1D_IbLb1EEEEDaS19_S1A_EUlS19_E_NS1_11comp_targetILNS1_3genE2ELNS1_11target_archE906ELNS1_3gpuE6ELNS1_3repE0EEENS1_30default_config_static_selectorELNS0_4arch9wavefront6targetE0EEEvT1_
	.p2align	8
	.type	_ZN7rocprim17ROCPRIM_400000_NS6detail17trampoline_kernelINS0_14default_configENS1_25partition_config_selectorILNS1_17partition_subalgoE8ElNS0_10empty_typeEbEEZZNS1_14partition_implILS5_8ELb0ES3_jPlPS6_PKS6_NS0_5tupleIJS9_S6_EEENSD_IJSA_SA_EEENS0_18inequality_wrapperIZN2at6native12_GLOBAL__N_124unique_dim_cuda_templateIN3c108BFloat16EEESt5tupleIJNSH_6TensorESO_SO_EERKSO_lbbbEUlllE0_EEPmJS6_EEE10hipError_tPvRmT3_T4_T5_T6_T7_T9_mT8_P12ihipStream_tbDpT10_ENKUlT_T0_E_clISt17integral_constantIbLb0EES1D_IbLb1EEEEDaS19_S1A_EUlS19_E_NS1_11comp_targetILNS1_3genE2ELNS1_11target_archE906ELNS1_3gpuE6ELNS1_3repE0EEENS1_30default_config_static_selectorELNS0_4arch9wavefront6targetE0EEEvT1_,@function
_ZN7rocprim17ROCPRIM_400000_NS6detail17trampoline_kernelINS0_14default_configENS1_25partition_config_selectorILNS1_17partition_subalgoE8ElNS0_10empty_typeEbEEZZNS1_14partition_implILS5_8ELb0ES3_jPlPS6_PKS6_NS0_5tupleIJS9_S6_EEENSD_IJSA_SA_EEENS0_18inequality_wrapperIZN2at6native12_GLOBAL__N_124unique_dim_cuda_templateIN3c108BFloat16EEESt5tupleIJNSH_6TensorESO_SO_EERKSO_lbbbEUlllE0_EEPmJS6_EEE10hipError_tPvRmT3_T4_T5_T6_T7_T9_mT8_P12ihipStream_tbDpT10_ENKUlT_T0_E_clISt17integral_constantIbLb0EES1D_IbLb1EEEEDaS19_S1A_EUlS19_E_NS1_11comp_targetILNS1_3genE2ELNS1_11target_archE906ELNS1_3gpuE6ELNS1_3repE0EEENS1_30default_config_static_selectorELNS0_4arch9wavefront6targetE0EEEvT1_: ; @_ZN7rocprim17ROCPRIM_400000_NS6detail17trampoline_kernelINS0_14default_configENS1_25partition_config_selectorILNS1_17partition_subalgoE8ElNS0_10empty_typeEbEEZZNS1_14partition_implILS5_8ELb0ES3_jPlPS6_PKS6_NS0_5tupleIJS9_S6_EEENSD_IJSA_SA_EEENS0_18inequality_wrapperIZN2at6native12_GLOBAL__N_124unique_dim_cuda_templateIN3c108BFloat16EEESt5tupleIJNSH_6TensorESO_SO_EERKSO_lbbbEUlllE0_EEPmJS6_EEE10hipError_tPvRmT3_T4_T5_T6_T7_T9_mT8_P12ihipStream_tbDpT10_ENKUlT_T0_E_clISt17integral_constantIbLb0EES1D_IbLb1EEEEDaS19_S1A_EUlS19_E_NS1_11comp_targetILNS1_3genE2ELNS1_11target_archE906ELNS1_3gpuE6ELNS1_3repE0EEENS1_30default_config_static_selectorELNS0_4arch9wavefront6targetE0EEEvT1_
; %bb.0:
	.section	.rodata,"a",@progbits
	.p2align	6, 0x0
	.amdhsa_kernel _ZN7rocprim17ROCPRIM_400000_NS6detail17trampoline_kernelINS0_14default_configENS1_25partition_config_selectorILNS1_17partition_subalgoE8ElNS0_10empty_typeEbEEZZNS1_14partition_implILS5_8ELb0ES3_jPlPS6_PKS6_NS0_5tupleIJS9_S6_EEENSD_IJSA_SA_EEENS0_18inequality_wrapperIZN2at6native12_GLOBAL__N_124unique_dim_cuda_templateIN3c108BFloat16EEESt5tupleIJNSH_6TensorESO_SO_EERKSO_lbbbEUlllE0_EEPmJS6_EEE10hipError_tPvRmT3_T4_T5_T6_T7_T9_mT8_P12ihipStream_tbDpT10_ENKUlT_T0_E_clISt17integral_constantIbLb0EES1D_IbLb1EEEEDaS19_S1A_EUlS19_E_NS1_11comp_targetILNS1_3genE2ELNS1_11target_archE906ELNS1_3gpuE6ELNS1_3repE0EEENS1_30default_config_static_selectorELNS0_4arch9wavefront6targetE0EEEvT1_
		.amdhsa_group_segment_fixed_size 0
		.amdhsa_private_segment_fixed_size 0
		.amdhsa_kernarg_size 136
		.amdhsa_user_sgpr_count 15
		.amdhsa_user_sgpr_dispatch_ptr 0
		.amdhsa_user_sgpr_queue_ptr 0
		.amdhsa_user_sgpr_kernarg_segment_ptr 1
		.amdhsa_user_sgpr_dispatch_id 0
		.amdhsa_user_sgpr_private_segment_size 0
		.amdhsa_wavefront_size32 1
		.amdhsa_uses_dynamic_stack 0
		.amdhsa_enable_private_segment 0
		.amdhsa_system_sgpr_workgroup_id_x 1
		.amdhsa_system_sgpr_workgroup_id_y 0
		.amdhsa_system_sgpr_workgroup_id_z 0
		.amdhsa_system_sgpr_workgroup_info 0
		.amdhsa_system_vgpr_workitem_id 0
		.amdhsa_next_free_vgpr 1
		.amdhsa_next_free_sgpr 1
		.amdhsa_reserve_vcc 0
		.amdhsa_float_round_mode_32 0
		.amdhsa_float_round_mode_16_64 0
		.amdhsa_float_denorm_mode_32 3
		.amdhsa_float_denorm_mode_16_64 3
		.amdhsa_dx10_clamp 1
		.amdhsa_ieee_mode 1
		.amdhsa_fp16_overflow 0
		.amdhsa_workgroup_processor_mode 1
		.amdhsa_memory_ordered 1
		.amdhsa_forward_progress 0
		.amdhsa_shared_vgpr_count 0
		.amdhsa_exception_fp_ieee_invalid_op 0
		.amdhsa_exception_fp_denorm_src 0
		.amdhsa_exception_fp_ieee_div_zero 0
		.amdhsa_exception_fp_ieee_overflow 0
		.amdhsa_exception_fp_ieee_underflow 0
		.amdhsa_exception_fp_ieee_inexact 0
		.amdhsa_exception_int_div_zero 0
	.end_amdhsa_kernel
	.section	.text._ZN7rocprim17ROCPRIM_400000_NS6detail17trampoline_kernelINS0_14default_configENS1_25partition_config_selectorILNS1_17partition_subalgoE8ElNS0_10empty_typeEbEEZZNS1_14partition_implILS5_8ELb0ES3_jPlPS6_PKS6_NS0_5tupleIJS9_S6_EEENSD_IJSA_SA_EEENS0_18inequality_wrapperIZN2at6native12_GLOBAL__N_124unique_dim_cuda_templateIN3c108BFloat16EEESt5tupleIJNSH_6TensorESO_SO_EERKSO_lbbbEUlllE0_EEPmJS6_EEE10hipError_tPvRmT3_T4_T5_T6_T7_T9_mT8_P12ihipStream_tbDpT10_ENKUlT_T0_E_clISt17integral_constantIbLb0EES1D_IbLb1EEEEDaS19_S1A_EUlS19_E_NS1_11comp_targetILNS1_3genE2ELNS1_11target_archE906ELNS1_3gpuE6ELNS1_3repE0EEENS1_30default_config_static_selectorELNS0_4arch9wavefront6targetE0EEEvT1_,"axG",@progbits,_ZN7rocprim17ROCPRIM_400000_NS6detail17trampoline_kernelINS0_14default_configENS1_25partition_config_selectorILNS1_17partition_subalgoE8ElNS0_10empty_typeEbEEZZNS1_14partition_implILS5_8ELb0ES3_jPlPS6_PKS6_NS0_5tupleIJS9_S6_EEENSD_IJSA_SA_EEENS0_18inequality_wrapperIZN2at6native12_GLOBAL__N_124unique_dim_cuda_templateIN3c108BFloat16EEESt5tupleIJNSH_6TensorESO_SO_EERKSO_lbbbEUlllE0_EEPmJS6_EEE10hipError_tPvRmT3_T4_T5_T6_T7_T9_mT8_P12ihipStream_tbDpT10_ENKUlT_T0_E_clISt17integral_constantIbLb0EES1D_IbLb1EEEEDaS19_S1A_EUlS19_E_NS1_11comp_targetILNS1_3genE2ELNS1_11target_archE906ELNS1_3gpuE6ELNS1_3repE0EEENS1_30default_config_static_selectorELNS0_4arch9wavefront6targetE0EEEvT1_,comdat
.Lfunc_end1201:
	.size	_ZN7rocprim17ROCPRIM_400000_NS6detail17trampoline_kernelINS0_14default_configENS1_25partition_config_selectorILNS1_17partition_subalgoE8ElNS0_10empty_typeEbEEZZNS1_14partition_implILS5_8ELb0ES3_jPlPS6_PKS6_NS0_5tupleIJS9_S6_EEENSD_IJSA_SA_EEENS0_18inequality_wrapperIZN2at6native12_GLOBAL__N_124unique_dim_cuda_templateIN3c108BFloat16EEESt5tupleIJNSH_6TensorESO_SO_EERKSO_lbbbEUlllE0_EEPmJS6_EEE10hipError_tPvRmT3_T4_T5_T6_T7_T9_mT8_P12ihipStream_tbDpT10_ENKUlT_T0_E_clISt17integral_constantIbLb0EES1D_IbLb1EEEEDaS19_S1A_EUlS19_E_NS1_11comp_targetILNS1_3genE2ELNS1_11target_archE906ELNS1_3gpuE6ELNS1_3repE0EEENS1_30default_config_static_selectorELNS0_4arch9wavefront6targetE0EEEvT1_, .Lfunc_end1201-_ZN7rocprim17ROCPRIM_400000_NS6detail17trampoline_kernelINS0_14default_configENS1_25partition_config_selectorILNS1_17partition_subalgoE8ElNS0_10empty_typeEbEEZZNS1_14partition_implILS5_8ELb0ES3_jPlPS6_PKS6_NS0_5tupleIJS9_S6_EEENSD_IJSA_SA_EEENS0_18inequality_wrapperIZN2at6native12_GLOBAL__N_124unique_dim_cuda_templateIN3c108BFloat16EEESt5tupleIJNSH_6TensorESO_SO_EERKSO_lbbbEUlllE0_EEPmJS6_EEE10hipError_tPvRmT3_T4_T5_T6_T7_T9_mT8_P12ihipStream_tbDpT10_ENKUlT_T0_E_clISt17integral_constantIbLb0EES1D_IbLb1EEEEDaS19_S1A_EUlS19_E_NS1_11comp_targetILNS1_3genE2ELNS1_11target_archE906ELNS1_3gpuE6ELNS1_3repE0EEENS1_30default_config_static_selectorELNS0_4arch9wavefront6targetE0EEEvT1_
                                        ; -- End function
	.section	.AMDGPU.csdata,"",@progbits
; Kernel info:
; codeLenInByte = 0
; NumSgprs: 0
; NumVgprs: 0
; ScratchSize: 0
; MemoryBound: 0
; FloatMode: 240
; IeeeMode: 1
; LDSByteSize: 0 bytes/workgroup (compile time only)
; SGPRBlocks: 0
; VGPRBlocks: 0
; NumSGPRsForWavesPerEU: 1
; NumVGPRsForWavesPerEU: 1
; Occupancy: 16
; WaveLimiterHint : 0
; COMPUTE_PGM_RSRC2:SCRATCH_EN: 0
; COMPUTE_PGM_RSRC2:USER_SGPR: 15
; COMPUTE_PGM_RSRC2:TRAP_HANDLER: 0
; COMPUTE_PGM_RSRC2:TGID_X_EN: 1
; COMPUTE_PGM_RSRC2:TGID_Y_EN: 0
; COMPUTE_PGM_RSRC2:TGID_Z_EN: 0
; COMPUTE_PGM_RSRC2:TIDIG_COMP_CNT: 0
	.section	.text._ZN7rocprim17ROCPRIM_400000_NS6detail17trampoline_kernelINS0_14default_configENS1_25partition_config_selectorILNS1_17partition_subalgoE8ElNS0_10empty_typeEbEEZZNS1_14partition_implILS5_8ELb0ES3_jPlPS6_PKS6_NS0_5tupleIJS9_S6_EEENSD_IJSA_SA_EEENS0_18inequality_wrapperIZN2at6native12_GLOBAL__N_124unique_dim_cuda_templateIN3c108BFloat16EEESt5tupleIJNSH_6TensorESO_SO_EERKSO_lbbbEUlllE0_EEPmJS6_EEE10hipError_tPvRmT3_T4_T5_T6_T7_T9_mT8_P12ihipStream_tbDpT10_ENKUlT_T0_E_clISt17integral_constantIbLb0EES1D_IbLb1EEEEDaS19_S1A_EUlS19_E_NS1_11comp_targetILNS1_3genE10ELNS1_11target_archE1200ELNS1_3gpuE4ELNS1_3repE0EEENS1_30default_config_static_selectorELNS0_4arch9wavefront6targetE0EEEvT1_,"axG",@progbits,_ZN7rocprim17ROCPRIM_400000_NS6detail17trampoline_kernelINS0_14default_configENS1_25partition_config_selectorILNS1_17partition_subalgoE8ElNS0_10empty_typeEbEEZZNS1_14partition_implILS5_8ELb0ES3_jPlPS6_PKS6_NS0_5tupleIJS9_S6_EEENSD_IJSA_SA_EEENS0_18inequality_wrapperIZN2at6native12_GLOBAL__N_124unique_dim_cuda_templateIN3c108BFloat16EEESt5tupleIJNSH_6TensorESO_SO_EERKSO_lbbbEUlllE0_EEPmJS6_EEE10hipError_tPvRmT3_T4_T5_T6_T7_T9_mT8_P12ihipStream_tbDpT10_ENKUlT_T0_E_clISt17integral_constantIbLb0EES1D_IbLb1EEEEDaS19_S1A_EUlS19_E_NS1_11comp_targetILNS1_3genE10ELNS1_11target_archE1200ELNS1_3gpuE4ELNS1_3repE0EEENS1_30default_config_static_selectorELNS0_4arch9wavefront6targetE0EEEvT1_,comdat
	.globl	_ZN7rocprim17ROCPRIM_400000_NS6detail17trampoline_kernelINS0_14default_configENS1_25partition_config_selectorILNS1_17partition_subalgoE8ElNS0_10empty_typeEbEEZZNS1_14partition_implILS5_8ELb0ES3_jPlPS6_PKS6_NS0_5tupleIJS9_S6_EEENSD_IJSA_SA_EEENS0_18inequality_wrapperIZN2at6native12_GLOBAL__N_124unique_dim_cuda_templateIN3c108BFloat16EEESt5tupleIJNSH_6TensorESO_SO_EERKSO_lbbbEUlllE0_EEPmJS6_EEE10hipError_tPvRmT3_T4_T5_T6_T7_T9_mT8_P12ihipStream_tbDpT10_ENKUlT_T0_E_clISt17integral_constantIbLb0EES1D_IbLb1EEEEDaS19_S1A_EUlS19_E_NS1_11comp_targetILNS1_3genE10ELNS1_11target_archE1200ELNS1_3gpuE4ELNS1_3repE0EEENS1_30default_config_static_selectorELNS0_4arch9wavefront6targetE0EEEvT1_ ; -- Begin function _ZN7rocprim17ROCPRIM_400000_NS6detail17trampoline_kernelINS0_14default_configENS1_25partition_config_selectorILNS1_17partition_subalgoE8ElNS0_10empty_typeEbEEZZNS1_14partition_implILS5_8ELb0ES3_jPlPS6_PKS6_NS0_5tupleIJS9_S6_EEENSD_IJSA_SA_EEENS0_18inequality_wrapperIZN2at6native12_GLOBAL__N_124unique_dim_cuda_templateIN3c108BFloat16EEESt5tupleIJNSH_6TensorESO_SO_EERKSO_lbbbEUlllE0_EEPmJS6_EEE10hipError_tPvRmT3_T4_T5_T6_T7_T9_mT8_P12ihipStream_tbDpT10_ENKUlT_T0_E_clISt17integral_constantIbLb0EES1D_IbLb1EEEEDaS19_S1A_EUlS19_E_NS1_11comp_targetILNS1_3genE10ELNS1_11target_archE1200ELNS1_3gpuE4ELNS1_3repE0EEENS1_30default_config_static_selectorELNS0_4arch9wavefront6targetE0EEEvT1_
	.p2align	8
	.type	_ZN7rocprim17ROCPRIM_400000_NS6detail17trampoline_kernelINS0_14default_configENS1_25partition_config_selectorILNS1_17partition_subalgoE8ElNS0_10empty_typeEbEEZZNS1_14partition_implILS5_8ELb0ES3_jPlPS6_PKS6_NS0_5tupleIJS9_S6_EEENSD_IJSA_SA_EEENS0_18inequality_wrapperIZN2at6native12_GLOBAL__N_124unique_dim_cuda_templateIN3c108BFloat16EEESt5tupleIJNSH_6TensorESO_SO_EERKSO_lbbbEUlllE0_EEPmJS6_EEE10hipError_tPvRmT3_T4_T5_T6_T7_T9_mT8_P12ihipStream_tbDpT10_ENKUlT_T0_E_clISt17integral_constantIbLb0EES1D_IbLb1EEEEDaS19_S1A_EUlS19_E_NS1_11comp_targetILNS1_3genE10ELNS1_11target_archE1200ELNS1_3gpuE4ELNS1_3repE0EEENS1_30default_config_static_selectorELNS0_4arch9wavefront6targetE0EEEvT1_,@function
_ZN7rocprim17ROCPRIM_400000_NS6detail17trampoline_kernelINS0_14default_configENS1_25partition_config_selectorILNS1_17partition_subalgoE8ElNS0_10empty_typeEbEEZZNS1_14partition_implILS5_8ELb0ES3_jPlPS6_PKS6_NS0_5tupleIJS9_S6_EEENSD_IJSA_SA_EEENS0_18inequality_wrapperIZN2at6native12_GLOBAL__N_124unique_dim_cuda_templateIN3c108BFloat16EEESt5tupleIJNSH_6TensorESO_SO_EERKSO_lbbbEUlllE0_EEPmJS6_EEE10hipError_tPvRmT3_T4_T5_T6_T7_T9_mT8_P12ihipStream_tbDpT10_ENKUlT_T0_E_clISt17integral_constantIbLb0EES1D_IbLb1EEEEDaS19_S1A_EUlS19_E_NS1_11comp_targetILNS1_3genE10ELNS1_11target_archE1200ELNS1_3gpuE4ELNS1_3repE0EEENS1_30default_config_static_selectorELNS0_4arch9wavefront6targetE0EEEvT1_: ; @_ZN7rocprim17ROCPRIM_400000_NS6detail17trampoline_kernelINS0_14default_configENS1_25partition_config_selectorILNS1_17partition_subalgoE8ElNS0_10empty_typeEbEEZZNS1_14partition_implILS5_8ELb0ES3_jPlPS6_PKS6_NS0_5tupleIJS9_S6_EEENSD_IJSA_SA_EEENS0_18inequality_wrapperIZN2at6native12_GLOBAL__N_124unique_dim_cuda_templateIN3c108BFloat16EEESt5tupleIJNSH_6TensorESO_SO_EERKSO_lbbbEUlllE0_EEPmJS6_EEE10hipError_tPvRmT3_T4_T5_T6_T7_T9_mT8_P12ihipStream_tbDpT10_ENKUlT_T0_E_clISt17integral_constantIbLb0EES1D_IbLb1EEEEDaS19_S1A_EUlS19_E_NS1_11comp_targetILNS1_3genE10ELNS1_11target_archE1200ELNS1_3gpuE4ELNS1_3repE0EEENS1_30default_config_static_selectorELNS0_4arch9wavefront6targetE0EEEvT1_
; %bb.0:
	.section	.rodata,"a",@progbits
	.p2align	6, 0x0
	.amdhsa_kernel _ZN7rocprim17ROCPRIM_400000_NS6detail17trampoline_kernelINS0_14default_configENS1_25partition_config_selectorILNS1_17partition_subalgoE8ElNS0_10empty_typeEbEEZZNS1_14partition_implILS5_8ELb0ES3_jPlPS6_PKS6_NS0_5tupleIJS9_S6_EEENSD_IJSA_SA_EEENS0_18inequality_wrapperIZN2at6native12_GLOBAL__N_124unique_dim_cuda_templateIN3c108BFloat16EEESt5tupleIJNSH_6TensorESO_SO_EERKSO_lbbbEUlllE0_EEPmJS6_EEE10hipError_tPvRmT3_T4_T5_T6_T7_T9_mT8_P12ihipStream_tbDpT10_ENKUlT_T0_E_clISt17integral_constantIbLb0EES1D_IbLb1EEEEDaS19_S1A_EUlS19_E_NS1_11comp_targetILNS1_3genE10ELNS1_11target_archE1200ELNS1_3gpuE4ELNS1_3repE0EEENS1_30default_config_static_selectorELNS0_4arch9wavefront6targetE0EEEvT1_
		.amdhsa_group_segment_fixed_size 0
		.amdhsa_private_segment_fixed_size 0
		.amdhsa_kernarg_size 136
		.amdhsa_user_sgpr_count 15
		.amdhsa_user_sgpr_dispatch_ptr 0
		.amdhsa_user_sgpr_queue_ptr 0
		.amdhsa_user_sgpr_kernarg_segment_ptr 1
		.amdhsa_user_sgpr_dispatch_id 0
		.amdhsa_user_sgpr_private_segment_size 0
		.amdhsa_wavefront_size32 1
		.amdhsa_uses_dynamic_stack 0
		.amdhsa_enable_private_segment 0
		.amdhsa_system_sgpr_workgroup_id_x 1
		.amdhsa_system_sgpr_workgroup_id_y 0
		.amdhsa_system_sgpr_workgroup_id_z 0
		.amdhsa_system_sgpr_workgroup_info 0
		.amdhsa_system_vgpr_workitem_id 0
		.amdhsa_next_free_vgpr 1
		.amdhsa_next_free_sgpr 1
		.amdhsa_reserve_vcc 0
		.amdhsa_float_round_mode_32 0
		.amdhsa_float_round_mode_16_64 0
		.amdhsa_float_denorm_mode_32 3
		.amdhsa_float_denorm_mode_16_64 3
		.amdhsa_dx10_clamp 1
		.amdhsa_ieee_mode 1
		.amdhsa_fp16_overflow 0
		.amdhsa_workgroup_processor_mode 1
		.amdhsa_memory_ordered 1
		.amdhsa_forward_progress 0
		.amdhsa_shared_vgpr_count 0
		.amdhsa_exception_fp_ieee_invalid_op 0
		.amdhsa_exception_fp_denorm_src 0
		.amdhsa_exception_fp_ieee_div_zero 0
		.amdhsa_exception_fp_ieee_overflow 0
		.amdhsa_exception_fp_ieee_underflow 0
		.amdhsa_exception_fp_ieee_inexact 0
		.amdhsa_exception_int_div_zero 0
	.end_amdhsa_kernel
	.section	.text._ZN7rocprim17ROCPRIM_400000_NS6detail17trampoline_kernelINS0_14default_configENS1_25partition_config_selectorILNS1_17partition_subalgoE8ElNS0_10empty_typeEbEEZZNS1_14partition_implILS5_8ELb0ES3_jPlPS6_PKS6_NS0_5tupleIJS9_S6_EEENSD_IJSA_SA_EEENS0_18inequality_wrapperIZN2at6native12_GLOBAL__N_124unique_dim_cuda_templateIN3c108BFloat16EEESt5tupleIJNSH_6TensorESO_SO_EERKSO_lbbbEUlllE0_EEPmJS6_EEE10hipError_tPvRmT3_T4_T5_T6_T7_T9_mT8_P12ihipStream_tbDpT10_ENKUlT_T0_E_clISt17integral_constantIbLb0EES1D_IbLb1EEEEDaS19_S1A_EUlS19_E_NS1_11comp_targetILNS1_3genE10ELNS1_11target_archE1200ELNS1_3gpuE4ELNS1_3repE0EEENS1_30default_config_static_selectorELNS0_4arch9wavefront6targetE0EEEvT1_,"axG",@progbits,_ZN7rocprim17ROCPRIM_400000_NS6detail17trampoline_kernelINS0_14default_configENS1_25partition_config_selectorILNS1_17partition_subalgoE8ElNS0_10empty_typeEbEEZZNS1_14partition_implILS5_8ELb0ES3_jPlPS6_PKS6_NS0_5tupleIJS9_S6_EEENSD_IJSA_SA_EEENS0_18inequality_wrapperIZN2at6native12_GLOBAL__N_124unique_dim_cuda_templateIN3c108BFloat16EEESt5tupleIJNSH_6TensorESO_SO_EERKSO_lbbbEUlllE0_EEPmJS6_EEE10hipError_tPvRmT3_T4_T5_T6_T7_T9_mT8_P12ihipStream_tbDpT10_ENKUlT_T0_E_clISt17integral_constantIbLb0EES1D_IbLb1EEEEDaS19_S1A_EUlS19_E_NS1_11comp_targetILNS1_3genE10ELNS1_11target_archE1200ELNS1_3gpuE4ELNS1_3repE0EEENS1_30default_config_static_selectorELNS0_4arch9wavefront6targetE0EEEvT1_,comdat
.Lfunc_end1202:
	.size	_ZN7rocprim17ROCPRIM_400000_NS6detail17trampoline_kernelINS0_14default_configENS1_25partition_config_selectorILNS1_17partition_subalgoE8ElNS0_10empty_typeEbEEZZNS1_14partition_implILS5_8ELb0ES3_jPlPS6_PKS6_NS0_5tupleIJS9_S6_EEENSD_IJSA_SA_EEENS0_18inequality_wrapperIZN2at6native12_GLOBAL__N_124unique_dim_cuda_templateIN3c108BFloat16EEESt5tupleIJNSH_6TensorESO_SO_EERKSO_lbbbEUlllE0_EEPmJS6_EEE10hipError_tPvRmT3_T4_T5_T6_T7_T9_mT8_P12ihipStream_tbDpT10_ENKUlT_T0_E_clISt17integral_constantIbLb0EES1D_IbLb1EEEEDaS19_S1A_EUlS19_E_NS1_11comp_targetILNS1_3genE10ELNS1_11target_archE1200ELNS1_3gpuE4ELNS1_3repE0EEENS1_30default_config_static_selectorELNS0_4arch9wavefront6targetE0EEEvT1_, .Lfunc_end1202-_ZN7rocprim17ROCPRIM_400000_NS6detail17trampoline_kernelINS0_14default_configENS1_25partition_config_selectorILNS1_17partition_subalgoE8ElNS0_10empty_typeEbEEZZNS1_14partition_implILS5_8ELb0ES3_jPlPS6_PKS6_NS0_5tupleIJS9_S6_EEENSD_IJSA_SA_EEENS0_18inequality_wrapperIZN2at6native12_GLOBAL__N_124unique_dim_cuda_templateIN3c108BFloat16EEESt5tupleIJNSH_6TensorESO_SO_EERKSO_lbbbEUlllE0_EEPmJS6_EEE10hipError_tPvRmT3_T4_T5_T6_T7_T9_mT8_P12ihipStream_tbDpT10_ENKUlT_T0_E_clISt17integral_constantIbLb0EES1D_IbLb1EEEEDaS19_S1A_EUlS19_E_NS1_11comp_targetILNS1_3genE10ELNS1_11target_archE1200ELNS1_3gpuE4ELNS1_3repE0EEENS1_30default_config_static_selectorELNS0_4arch9wavefront6targetE0EEEvT1_
                                        ; -- End function
	.section	.AMDGPU.csdata,"",@progbits
; Kernel info:
; codeLenInByte = 0
; NumSgprs: 0
; NumVgprs: 0
; ScratchSize: 0
; MemoryBound: 0
; FloatMode: 240
; IeeeMode: 1
; LDSByteSize: 0 bytes/workgroup (compile time only)
; SGPRBlocks: 0
; VGPRBlocks: 0
; NumSGPRsForWavesPerEU: 1
; NumVGPRsForWavesPerEU: 1
; Occupancy: 15
; WaveLimiterHint : 0
; COMPUTE_PGM_RSRC2:SCRATCH_EN: 0
; COMPUTE_PGM_RSRC2:USER_SGPR: 15
; COMPUTE_PGM_RSRC2:TRAP_HANDLER: 0
; COMPUTE_PGM_RSRC2:TGID_X_EN: 1
; COMPUTE_PGM_RSRC2:TGID_Y_EN: 0
; COMPUTE_PGM_RSRC2:TGID_Z_EN: 0
; COMPUTE_PGM_RSRC2:TIDIG_COMP_CNT: 0
	.section	.text._ZN7rocprim17ROCPRIM_400000_NS6detail17trampoline_kernelINS0_14default_configENS1_25partition_config_selectorILNS1_17partition_subalgoE8ElNS0_10empty_typeEbEEZZNS1_14partition_implILS5_8ELb0ES3_jPlPS6_PKS6_NS0_5tupleIJS9_S6_EEENSD_IJSA_SA_EEENS0_18inequality_wrapperIZN2at6native12_GLOBAL__N_124unique_dim_cuda_templateIN3c108BFloat16EEESt5tupleIJNSH_6TensorESO_SO_EERKSO_lbbbEUlllE0_EEPmJS6_EEE10hipError_tPvRmT3_T4_T5_T6_T7_T9_mT8_P12ihipStream_tbDpT10_ENKUlT_T0_E_clISt17integral_constantIbLb0EES1D_IbLb1EEEEDaS19_S1A_EUlS19_E_NS1_11comp_targetILNS1_3genE9ELNS1_11target_archE1100ELNS1_3gpuE3ELNS1_3repE0EEENS1_30default_config_static_selectorELNS0_4arch9wavefront6targetE0EEEvT1_,"axG",@progbits,_ZN7rocprim17ROCPRIM_400000_NS6detail17trampoline_kernelINS0_14default_configENS1_25partition_config_selectorILNS1_17partition_subalgoE8ElNS0_10empty_typeEbEEZZNS1_14partition_implILS5_8ELb0ES3_jPlPS6_PKS6_NS0_5tupleIJS9_S6_EEENSD_IJSA_SA_EEENS0_18inequality_wrapperIZN2at6native12_GLOBAL__N_124unique_dim_cuda_templateIN3c108BFloat16EEESt5tupleIJNSH_6TensorESO_SO_EERKSO_lbbbEUlllE0_EEPmJS6_EEE10hipError_tPvRmT3_T4_T5_T6_T7_T9_mT8_P12ihipStream_tbDpT10_ENKUlT_T0_E_clISt17integral_constantIbLb0EES1D_IbLb1EEEEDaS19_S1A_EUlS19_E_NS1_11comp_targetILNS1_3genE9ELNS1_11target_archE1100ELNS1_3gpuE3ELNS1_3repE0EEENS1_30default_config_static_selectorELNS0_4arch9wavefront6targetE0EEEvT1_,comdat
	.globl	_ZN7rocprim17ROCPRIM_400000_NS6detail17trampoline_kernelINS0_14default_configENS1_25partition_config_selectorILNS1_17partition_subalgoE8ElNS0_10empty_typeEbEEZZNS1_14partition_implILS5_8ELb0ES3_jPlPS6_PKS6_NS0_5tupleIJS9_S6_EEENSD_IJSA_SA_EEENS0_18inequality_wrapperIZN2at6native12_GLOBAL__N_124unique_dim_cuda_templateIN3c108BFloat16EEESt5tupleIJNSH_6TensorESO_SO_EERKSO_lbbbEUlllE0_EEPmJS6_EEE10hipError_tPvRmT3_T4_T5_T6_T7_T9_mT8_P12ihipStream_tbDpT10_ENKUlT_T0_E_clISt17integral_constantIbLb0EES1D_IbLb1EEEEDaS19_S1A_EUlS19_E_NS1_11comp_targetILNS1_3genE9ELNS1_11target_archE1100ELNS1_3gpuE3ELNS1_3repE0EEENS1_30default_config_static_selectorELNS0_4arch9wavefront6targetE0EEEvT1_ ; -- Begin function _ZN7rocprim17ROCPRIM_400000_NS6detail17trampoline_kernelINS0_14default_configENS1_25partition_config_selectorILNS1_17partition_subalgoE8ElNS0_10empty_typeEbEEZZNS1_14partition_implILS5_8ELb0ES3_jPlPS6_PKS6_NS0_5tupleIJS9_S6_EEENSD_IJSA_SA_EEENS0_18inequality_wrapperIZN2at6native12_GLOBAL__N_124unique_dim_cuda_templateIN3c108BFloat16EEESt5tupleIJNSH_6TensorESO_SO_EERKSO_lbbbEUlllE0_EEPmJS6_EEE10hipError_tPvRmT3_T4_T5_T6_T7_T9_mT8_P12ihipStream_tbDpT10_ENKUlT_T0_E_clISt17integral_constantIbLb0EES1D_IbLb1EEEEDaS19_S1A_EUlS19_E_NS1_11comp_targetILNS1_3genE9ELNS1_11target_archE1100ELNS1_3gpuE3ELNS1_3repE0EEENS1_30default_config_static_selectorELNS0_4arch9wavefront6targetE0EEEvT1_
	.p2align	8
	.type	_ZN7rocprim17ROCPRIM_400000_NS6detail17trampoline_kernelINS0_14default_configENS1_25partition_config_selectorILNS1_17partition_subalgoE8ElNS0_10empty_typeEbEEZZNS1_14partition_implILS5_8ELb0ES3_jPlPS6_PKS6_NS0_5tupleIJS9_S6_EEENSD_IJSA_SA_EEENS0_18inequality_wrapperIZN2at6native12_GLOBAL__N_124unique_dim_cuda_templateIN3c108BFloat16EEESt5tupleIJNSH_6TensorESO_SO_EERKSO_lbbbEUlllE0_EEPmJS6_EEE10hipError_tPvRmT3_T4_T5_T6_T7_T9_mT8_P12ihipStream_tbDpT10_ENKUlT_T0_E_clISt17integral_constantIbLb0EES1D_IbLb1EEEEDaS19_S1A_EUlS19_E_NS1_11comp_targetILNS1_3genE9ELNS1_11target_archE1100ELNS1_3gpuE3ELNS1_3repE0EEENS1_30default_config_static_selectorELNS0_4arch9wavefront6targetE0EEEvT1_,@function
_ZN7rocprim17ROCPRIM_400000_NS6detail17trampoline_kernelINS0_14default_configENS1_25partition_config_selectorILNS1_17partition_subalgoE8ElNS0_10empty_typeEbEEZZNS1_14partition_implILS5_8ELb0ES3_jPlPS6_PKS6_NS0_5tupleIJS9_S6_EEENSD_IJSA_SA_EEENS0_18inequality_wrapperIZN2at6native12_GLOBAL__N_124unique_dim_cuda_templateIN3c108BFloat16EEESt5tupleIJNSH_6TensorESO_SO_EERKSO_lbbbEUlllE0_EEPmJS6_EEE10hipError_tPvRmT3_T4_T5_T6_T7_T9_mT8_P12ihipStream_tbDpT10_ENKUlT_T0_E_clISt17integral_constantIbLb0EES1D_IbLb1EEEEDaS19_S1A_EUlS19_E_NS1_11comp_targetILNS1_3genE9ELNS1_11target_archE1100ELNS1_3gpuE3ELNS1_3repE0EEENS1_30default_config_static_selectorELNS0_4arch9wavefront6targetE0EEEvT1_: ; @_ZN7rocprim17ROCPRIM_400000_NS6detail17trampoline_kernelINS0_14default_configENS1_25partition_config_selectorILNS1_17partition_subalgoE8ElNS0_10empty_typeEbEEZZNS1_14partition_implILS5_8ELb0ES3_jPlPS6_PKS6_NS0_5tupleIJS9_S6_EEENSD_IJSA_SA_EEENS0_18inequality_wrapperIZN2at6native12_GLOBAL__N_124unique_dim_cuda_templateIN3c108BFloat16EEESt5tupleIJNSH_6TensorESO_SO_EERKSO_lbbbEUlllE0_EEPmJS6_EEE10hipError_tPvRmT3_T4_T5_T6_T7_T9_mT8_P12ihipStream_tbDpT10_ENKUlT_T0_E_clISt17integral_constantIbLb0EES1D_IbLb1EEEEDaS19_S1A_EUlS19_E_NS1_11comp_targetILNS1_3genE9ELNS1_11target_archE1100ELNS1_3gpuE3ELNS1_3repE0EEENS1_30default_config_static_selectorELNS0_4arch9wavefront6targetE0EEEvT1_
; %bb.0:
	s_clause 0x2
	s_load_b64 s[20:21], s[0:1], 0x28
	s_load_b256 s[8:15], s[0:1], 0x40
	s_load_b128 s[16:19], s[0:1], 0x60
	v_cmp_ne_u32_e64 s3, 0, v0
	v_cmp_eq_u32_e64 s2, 0, v0
	s_delay_alu instid0(VALU_DEP_1)
	s_and_saveexec_b32 s4, s2
	s_cbranch_execz .LBB1203_4
; %bb.1:
	s_mov_b32 s6, exec_lo
	s_mov_b32 s5, exec_lo
	v_mbcnt_lo_u32_b32 v1, s6, 0
                                        ; implicit-def: $vgpr2
	s_delay_alu instid0(VALU_DEP_1)
	v_cmpx_eq_u32_e32 0, v1
	s_cbranch_execz .LBB1203_3
; %bb.2:
	s_load_b64 s[22:23], s[0:1], 0x78
	s_bcnt1_i32_b32 s6, s6
	s_delay_alu instid0(SALU_CYCLE_1)
	v_dual_mov_b32 v2, 0 :: v_dual_mov_b32 v3, s6
	s_waitcnt lgkmcnt(0)
	global_atomic_add_u32 v2, v2, v3, s[22:23] glc
.LBB1203_3:
	s_or_b32 exec_lo, exec_lo, s5
	s_waitcnt vmcnt(0)
	v_readfirstlane_b32 s5, v2
	s_delay_alu instid0(VALU_DEP_1)
	v_dual_mov_b32 v2, 0 :: v_dual_add_nc_u32 v1, s5, v1
	ds_store_b32 v2, v1
.LBB1203_4:
	s_or_b32 exec_lo, exec_lo, s4
	v_dual_mov_b32 v2, 0 :: v_dual_lshlrev_b32 v39, 3, v0
	s_clause 0x1
	s_load_b128 s[4:7], s[0:1], 0x8
	s_load_b32 s0, s[0:1], 0x70
	s_waitcnt lgkmcnt(0)
	s_barrier
	buffer_gl0_inv
	ds_load_b32 v1, v2
	s_waitcnt lgkmcnt(0)
	s_barrier
	buffer_gl0_inv
	global_load_b64 v[3:4], v2, s[10:11]
	v_lshrrev_b32_e32 v19, 2, v0
	v_or_b32_e32 v26, 0x200, v0
	v_or_b32_e32 v25, 0x400, v0
	;; [unrolled: 1-line block ×7, first 2 shown]
	s_lshl_b64 s[10:11], s[6:7], 3
	s_delay_alu instid0(SALU_CYCLE_1)
	s_add_u32 s10, s4, s10
	s_addc_u32 s11, s5, s11
	s_add_i32 s1, s0, -1
	v_readfirstlane_b32 s23, v1
	s_lshl_b32 s4, s1, 12
	v_lshlrev_b32_e32 v1, 12, v1
	s_lshl_b32 s5, s0, 12
	s_add_i32 s0, s6, s4
	s_add_u32 s4, s6, s5
	s_addc_u32 s5, s7, 0
	v_lshlrev_b64 v[1:2], 3, v[1:2]
	v_cmp_ge_u64_e64 s4, s[4:5], s[12:13]
	s_cmp_eq_u32 s23, s1
	s_cselect_b32 s13, -1, 0
	s_delay_alu instid0(VALU_DEP_2) | instskip(NEXT) | instid1(VALU_DEP_2)
	v_add_co_u32 v17, vcc_lo, s10, v1
	s_and_b32 s1, s4, s13
	v_add_co_ci_u32_e32 v18, vcc_lo, s11, v2, vcc_lo
	s_xor_b32 s22, s1, -1
	s_mov_b32 s4, -1
	s_and_b32 vcc_lo, exec_lo, s22
	s_waitcnt vmcnt(0)
	v_readfirstlane_b32 s10, v3
	v_readfirstlane_b32 s11, v4
	s_cbranch_vccz .LBB1203_6
; %bb.5:
	v_add_co_u32 v9, vcc_lo, v17, v39
	v_add_co_ci_u32_e32 v10, vcc_lo, 0, v18, vcc_lo
	v_readfirstlane_b32 s4, v17
	s_delay_alu instid0(VALU_DEP_3) | instskip(NEXT) | instid1(VALU_DEP_3)
	v_add_co_u32 v3, vcc_lo, v9, 0x2000
	v_add_co_ci_u32_e32 v4, vcc_lo, 0, v10, vcc_lo
	v_add_co_u32 v5, vcc_lo, v9, 0x4000
	v_add_co_ci_u32_e32 v6, vcc_lo, 0, v10, vcc_lo
	v_add_co_u32 v7, vcc_lo, v9, 0x6000
	v_readfirstlane_b32 s5, v18
	v_add_co_ci_u32_e32 v8, vcc_lo, 0, v10, vcc_lo
	v_add_co_u32 v9, vcc_lo, 0x7000, v9
	v_add_co_ci_u32_e32 v10, vcc_lo, 0, v10, vcc_lo
	s_clause 0x7
	global_load_b64 v[1:2], v39, s[4:5]
	global_load_b64 v[11:12], v[3:4], off offset:-4096
	global_load_b64 v[3:4], v[3:4], off
	global_load_b64 v[13:14], v[5:6], off offset:-4096
	global_load_b64 v[5:6], v[5:6], off
	;; [unrolled: 2-line block ×3, first 2 shown]
	global_load_b64 v[9:10], v[9:10], off
	v_lshrrev_b32_e32 v28, 2, v26
	v_lshrrev_b32_e32 v29, 2, v25
	;; [unrolled: 1-line block ×4, first 2 shown]
	v_and_b32_e32 v27, 0x78, v19
	v_lshrrev_b32_e32 v32, 2, v22
	v_lshrrev_b32_e32 v33, 2, v21
	;; [unrolled: 1-line block ×3, first 2 shown]
	v_and_b32_e32 v28, 0xf8, v28
	v_and_b32_e32 v29, 0x178, v29
	;; [unrolled: 1-line block ×4, first 2 shown]
	v_add_nc_u32_e32 v27, v27, v39
	v_and_b32_e32 v32, 0x2f8, v32
	v_and_b32_e32 v33, 0x378, v33
	;; [unrolled: 1-line block ×3, first 2 shown]
	v_add_nc_u32_e32 v28, v28, v39
	v_add_nc_u32_e32 v29, v29, v39
	;; [unrolled: 1-line block ×4, first 2 shown]
	s_mov_b32 s4, 0
	v_add_nc_u32_e32 v32, v32, v39
	v_add_nc_u32_e32 v33, v33, v39
	;; [unrolled: 1-line block ×3, first 2 shown]
	s_waitcnt vmcnt(7)
	ds_store_b64 v27, v[1:2]
	s_waitcnt vmcnt(6)
	ds_store_b64 v28, v[11:12] offset:4096
	s_waitcnt vmcnt(5)
	ds_store_b64 v29, v[3:4] offset:8192
	;; [unrolled: 2-line block ×7, first 2 shown]
	s_waitcnt lgkmcnt(0)
	s_barrier
.LBB1203_6:
	s_and_not1_b32 vcc_lo, exec_lo, s4
	s_sub_i32 s12, s12, s0
	s_cbranch_vccnz .LBB1203_17
; %bb.7:
	s_mov_b32 s0, exec_lo
                                        ; implicit-def: $vgpr1_vgpr2_vgpr3_vgpr4_vgpr5_vgpr6_vgpr7_vgpr8_vgpr9_vgpr10_vgpr11_vgpr12_vgpr13_vgpr14_vgpr15_vgpr16
	v_cmpx_gt_u32_e64 s12, v0
	s_cbranch_execnz .LBB1203_27
; %bb.8:
	s_or_b32 exec_lo, exec_lo, s0
	s_delay_alu instid0(SALU_CYCLE_1)
	s_mov_b32 s0, exec_lo
	v_cmpx_gt_u32_e64 s12, v26
	s_cbranch_execnz .LBB1203_28
.LBB1203_9:
	s_or_b32 exec_lo, exec_lo, s0
	s_delay_alu instid0(SALU_CYCLE_1)
	s_mov_b32 s0, exec_lo
	v_cmpx_gt_u32_e64 s12, v25
	s_cbranch_execnz .LBB1203_29
.LBB1203_10:
	s_or_b32 exec_lo, exec_lo, s0
	s_delay_alu instid0(SALU_CYCLE_1)
	s_mov_b32 s0, exec_lo
	v_cmpx_gt_u32_e64 s12, v24
	s_cbranch_execnz .LBB1203_30
.LBB1203_11:
	s_or_b32 exec_lo, exec_lo, s0
	s_delay_alu instid0(SALU_CYCLE_1)
	s_mov_b32 s0, exec_lo
	v_cmpx_gt_u32_e64 s12, v23
	s_cbranch_execnz .LBB1203_31
.LBB1203_12:
	s_or_b32 exec_lo, exec_lo, s0
	s_delay_alu instid0(SALU_CYCLE_1)
	s_mov_b32 s0, exec_lo
	v_cmpx_gt_u32_e64 s12, v22
	s_cbranch_execnz .LBB1203_32
.LBB1203_13:
	s_or_b32 exec_lo, exec_lo, s0
	s_delay_alu instid0(SALU_CYCLE_1)
	s_mov_b32 s0, exec_lo
	v_cmpx_gt_u32_e64 s12, v21
	s_cbranch_execnz .LBB1203_33
.LBB1203_14:
	s_or_b32 exec_lo, exec_lo, s0
	s_delay_alu instid0(SALU_CYCLE_1)
	s_mov_b32 s0, exec_lo
	v_cmpx_gt_u32_e64 s12, v20
	s_cbranch_execz .LBB1203_16
.LBB1203_15:
	v_lshlrev_b32_e32 v15, 3, v20
	v_readfirstlane_b32 s4, v17
	v_readfirstlane_b32 s5, v18
	global_load_b64 v[15:16], v15, s[4:5]
.LBB1203_16:
	s_or_b32 exec_lo, exec_lo, s0
	v_lshrrev_b32_e32 v26, 2, v26
	v_lshrrev_b32_e32 v25, 2, v25
	;; [unrolled: 1-line block ×4, first 2 shown]
	v_and_b32_e32 v27, 0x78, v19
	v_lshrrev_b32_e32 v22, 2, v22
	v_lshrrev_b32_e32 v21, 2, v21
	;; [unrolled: 1-line block ×3, first 2 shown]
	v_and_b32_e32 v26, 0xf8, v26
	v_and_b32_e32 v25, 0x1f8, v25
	v_and_b32_e32 v24, 0x1f8, v24
	v_and_b32_e32 v23, 0x3f8, v23
	v_add_nc_u32_e32 v27, v27, v39
	v_and_b32_e32 v22, 0x3f8, v22
	v_and_b32_e32 v21, 0x3f8, v21
	;; [unrolled: 1-line block ×3, first 2 shown]
	v_add_nc_u32_e32 v26, v26, v39
	v_add_nc_u32_e32 v25, v25, v39
	;; [unrolled: 1-line block ×7, first 2 shown]
	s_waitcnt vmcnt(0)
	ds_store_b64 v27, v[1:2]
	ds_store_b64 v26, v[3:4] offset:4096
	ds_store_b64 v25, v[5:6] offset:8192
	;; [unrolled: 1-line block ×7, first 2 shown]
	s_waitcnt lgkmcnt(0)
	s_barrier
.LBB1203_17:
	v_add_lshl_u32 v1, v19, v39, 3
	buffer_gl0_inv
	s_cmp_lg_u32 s23, 0
	v_cmp_gt_i64_e64 s26, s[14:15], 0
	s_cselect_b32 s24, -1, 0
	ds_load_2addr_b64 v[13:16], v1 offset1:1
	ds_load_2addr_b64 v[9:12], v1 offset0:2 offset1:3
	ds_load_2addr_b64 v[5:8], v1 offset0:4 offset1:5
	;; [unrolled: 1-line block ×3, first 2 shown]
	s_cmp_lg_u64 s[6:7], 0
	s_mov_b32 s25, 0
	s_cselect_b32 s0, -1, 0
	s_waitcnt lgkmcnt(0)
	s_or_b32 s0, s0, s24
	s_barrier
	s_and_b32 vcc_lo, exec_lo, s0
	buffer_gl0_inv
	s_cbranch_vccz .LBB1203_26
; %bb.18:
	global_load_b64 v[17:18], v[17:18], off offset:-8
	v_cndmask_b32_e64 v27, 0, 1, s26
	s_and_b32 vcc_lo, exec_lo, s22
	ds_store_b64 v39, v[3:4]
	v_cmp_ne_u32_e64 s0, 1, v27
	s_cbranch_vccz .LBB1203_34
; %bb.19:
	v_mul_lo_u32 v21, v2, s14
	v_mul_lo_u32 v22, v1, s15
	v_mad_u64_u32 v[19:20], null, v1, s14, 0
	s_and_b32 vcc_lo, exec_lo, s0
	s_mov_b32 s27, 0
	s_delay_alu instid0(VALU_DEP_1) | instskip(NEXT) | instid1(VALU_DEP_1)
	v_add3_u32 v20, v20, v22, v21
	v_lshlrev_b64 v[19:20], 1, v[19:20]
	s_cbranch_vccnz .LBB1203_37
; %bb.20:
	v_mul_lo_u32 v23, v4, s14
	v_mul_lo_u32 v24, v3, s15
	v_mad_u64_u32 v[21:22], null, v3, s14, 0
	s_mov_b32 s27, -1
	s_mov_b32 s28, exec_lo
	s_delay_alu instid0(VALU_DEP_1) | instskip(NEXT) | instid1(VALU_DEP_1)
	v_add3_u32 v22, v22, v24, v23
	v_lshlrev_b64 v[21:22], 1, v[21:22]
	s_delay_alu instid0(VALU_DEP_1) | instskip(NEXT) | instid1(VALU_DEP_2)
	v_add_co_u32 v21, vcc_lo, s16, v21
	v_add_co_ci_u32_e32 v22, vcc_lo, s17, v22, vcc_lo
	v_add_co_u32 v23, vcc_lo, s16, v19
	v_add_co_ci_u32_e32 v24, vcc_lo, s17, v20, vcc_lo
	s_clause 0x1
	global_load_u16 v25, v[21:22], off
	global_load_u16 v26, v[23:24], off
	s_waitcnt vmcnt(1)
	v_lshlrev_b32_e32 v25, 16, v25
	s_waitcnt vmcnt(0)
	v_lshlrev_b32_e32 v26, 16, v26
	s_delay_alu instid0(VALU_DEP_1)
	v_cmpx_eq_f32_e32 v26, v25
	s_cbranch_execz .LBB1203_36
; %bb.21:
	v_add_co_u32 v21, vcc_lo, v21, 2
	v_add_co_ci_u32_e32 v22, vcc_lo, 0, v22, vcc_lo
	v_add_co_u32 v23, vcc_lo, v23, 2
	v_add_co_ci_u32_e32 v24, vcc_lo, 0, v24, vcc_lo
	s_add_u32 s4, s14, -1
	s_addc_u32 s5, s15, -1
	s_mov_b64 s[6:7], 0
	s_mov_b32 s27, 0
                                        ; implicit-def: $sgpr29
	s_set_inst_prefetch_distance 0x1
	s_branch .LBB1203_24
	.p2align	6
.LBB1203_22:                            ;   in Loop: Header=BB1203_24 Depth=1
	global_load_u16 v25, v[21:22], off
	global_load_u16 v26, v[23:24], off
	v_add_co_u32 v21, vcc_lo, v21, 2
	v_add_co_ci_u32_e32 v22, vcc_lo, 0, v22, vcc_lo
	v_add_co_u32 v23, s0, v23, 2
	s_delay_alu instid0(VALU_DEP_1)
	v_add_co_ci_u32_e64 v24, s0, 0, v24, s0
	s_add_u32 s6, s6, 1
	s_addc_u32 s7, s7, 0
	s_and_not1_b32 s0, s29, exec_lo
	s_waitcnt vmcnt(1)
	v_lshlrev_b32_e32 v25, 16, v25
	s_waitcnt vmcnt(0)
	v_lshlrev_b32_e32 v26, 16, v26
	s_delay_alu instid0(VALU_DEP_1) | instskip(SKIP_1) | instid1(SALU_CYCLE_1)
	v_cmp_neq_f32_e32 vcc_lo, v26, v25
	s_and_b32 s29, vcc_lo, exec_lo
	s_or_b32 s29, s0, s29
.LBB1203_23:                            ;   in Loop: Header=BB1203_24 Depth=1
	v_dual_mov_b32 v26, s7 :: v_dual_mov_b32 v25, s6
	s_and_b32 s0, exec_lo, s29
	s_delay_alu instid0(SALU_CYCLE_1) | instskip(NEXT) | instid1(SALU_CYCLE_1)
	s_or_b32 s27, s0, s27
	s_and_not1_b32 exec_lo, exec_lo, s27
	s_cbranch_execz .LBB1203_35
.LBB1203_24:                            ; =>This Inner Loop Header: Depth=1
	s_or_b32 s29, s29, exec_lo
	s_cmp_eq_u64 s[4:5], s[6:7]
	s_cbranch_scc0 .LBB1203_22
; %bb.25:                               ;   in Loop: Header=BB1203_24 Depth=1
	s_mov_b64 s[6:7], s[14:15]
                                        ; implicit-def: $vgpr21_vgpr22
                                        ; implicit-def: $vgpr23_vgpr24
	s_branch .LBB1203_23
.LBB1203_26:
                                        ; implicit-def: $sgpr0
                                        ; implicit-def: $vgpr20
	s_branch .LBB1203_195
.LBB1203_27:
	v_readfirstlane_b32 s4, v17
	v_readfirstlane_b32 s5, v18
	global_load_b64 v[1:2], v39, s[4:5]
	s_or_b32 exec_lo, exec_lo, s0
	s_delay_alu instid0(SALU_CYCLE_1)
	s_mov_b32 s0, exec_lo
	v_cmpx_gt_u32_e64 s12, v26
	s_cbranch_execz .LBB1203_9
.LBB1203_28:
	v_lshlrev_b32_e32 v3, 3, v26
	v_readfirstlane_b32 s4, v17
	v_readfirstlane_b32 s5, v18
	global_load_b64 v[3:4], v3, s[4:5]
	s_or_b32 exec_lo, exec_lo, s0
	s_delay_alu instid0(SALU_CYCLE_1)
	s_mov_b32 s0, exec_lo
	v_cmpx_gt_u32_e64 s12, v25
	s_cbranch_execz .LBB1203_10
.LBB1203_29:
	v_lshlrev_b32_e32 v5, 3, v25
	v_readfirstlane_b32 s4, v17
	v_readfirstlane_b32 s5, v18
	global_load_b64 v[5:6], v5, s[4:5]
	s_or_b32 exec_lo, exec_lo, s0
	s_delay_alu instid0(SALU_CYCLE_1)
	s_mov_b32 s0, exec_lo
	v_cmpx_gt_u32_e64 s12, v24
	s_cbranch_execz .LBB1203_11
.LBB1203_30:
	v_lshlrev_b32_e32 v7, 3, v24
	v_readfirstlane_b32 s4, v17
	v_readfirstlane_b32 s5, v18
	global_load_b64 v[7:8], v7, s[4:5]
	s_or_b32 exec_lo, exec_lo, s0
	s_delay_alu instid0(SALU_CYCLE_1)
	s_mov_b32 s0, exec_lo
	v_cmpx_gt_u32_e64 s12, v23
	s_cbranch_execz .LBB1203_12
.LBB1203_31:
	v_lshlrev_b32_e32 v9, 3, v23
	v_readfirstlane_b32 s4, v17
	v_readfirstlane_b32 s5, v18
	global_load_b64 v[9:10], v9, s[4:5]
	s_or_b32 exec_lo, exec_lo, s0
	s_delay_alu instid0(SALU_CYCLE_1)
	s_mov_b32 s0, exec_lo
	v_cmpx_gt_u32_e64 s12, v22
	s_cbranch_execz .LBB1203_13
.LBB1203_32:
	v_lshlrev_b32_e32 v11, 3, v22
	v_readfirstlane_b32 s4, v17
	v_readfirstlane_b32 s5, v18
	global_load_b64 v[11:12], v11, s[4:5]
	s_or_b32 exec_lo, exec_lo, s0
	s_delay_alu instid0(SALU_CYCLE_1)
	s_mov_b32 s0, exec_lo
	v_cmpx_gt_u32_e64 s12, v21
	s_cbranch_execz .LBB1203_14
.LBB1203_33:
	v_lshlrev_b32_e32 v13, 3, v21
	v_readfirstlane_b32 s4, v17
	v_readfirstlane_b32 s5, v18
	global_load_b64 v[13:14], v13, s[4:5]
	s_or_b32 exec_lo, exec_lo, s0
	s_delay_alu instid0(SALU_CYCLE_1)
	s_mov_b32 s0, exec_lo
	v_cmpx_gt_u32_e64 s12, v20
	s_cbranch_execnz .LBB1203_15
	s_branch .LBB1203_16
.LBB1203_34:
                                        ; implicit-def: $sgpr0
                                        ; implicit-def: $vgpr20
	s_cbranch_execnz .LBB1203_103
	s_branch .LBB1203_194
.LBB1203_35:
	s_set_inst_prefetch_distance 0x2
	s_or_b32 exec_lo, exec_lo, s27
	v_cmp_gt_i64_e32 vcc_lo, s[14:15], v[25:26]
	s_or_not1_b32 s27, vcc_lo, exec_lo
.LBB1203_36:
	s_or_b32 exec_lo, exec_lo, s28
.LBB1203_37:
	v_mul_lo_u32 v23, v8, s14
	v_mul_lo_u32 v24, v7, s15
	v_mad_u64_u32 v[21:22], null, v7, s14, 0
	s_and_not1_b32 vcc_lo, exec_lo, s26
	s_delay_alu instid0(VALU_DEP_1) | instskip(NEXT) | instid1(VALU_DEP_1)
	v_add3_u32 v22, v22, v24, v23
	v_lshlrev_b64 v[21:22], 1, v[21:22]
	s_cbranch_vccnz .LBB1203_46
; %bb.38:
	v_add_co_u32 v19, vcc_lo, s16, v19
	v_add_co_ci_u32_e32 v20, vcc_lo, s17, v20, vcc_lo
	s_delay_alu instid0(VALU_DEP_3) | instskip(NEXT) | instid1(VALU_DEP_4)
	v_add_co_u32 v23, vcc_lo, s16, v21
	v_add_co_ci_u32_e32 v24, vcc_lo, s17, v22, vcc_lo
	s_mov_b32 s25, -1
	s_clause 0x1
	global_load_u16 v25, v[19:20], off
	global_load_u16 v26, v[23:24], off
	s_mov_b32 s28, exec_lo
	s_waitcnt vmcnt(1)
	v_lshlrev_b32_e32 v25, 16, v25
	s_waitcnt vmcnt(0)
	v_lshlrev_b32_e32 v26, 16, v26
	s_delay_alu instid0(VALU_DEP_1)
	v_cmpx_eq_f32_e32 v26, v25
	s_cbranch_execz .LBB1203_45
; %bb.39:
	v_add_co_u32 v19, vcc_lo, v19, 2
	v_add_co_ci_u32_e32 v20, vcc_lo, 0, v20, vcc_lo
	v_add_co_u32 v23, vcc_lo, v23, 2
	v_add_co_ci_u32_e32 v24, vcc_lo, 0, v24, vcc_lo
	s_add_u32 s4, s14, -1
	s_addc_u32 s5, s15, -1
	s_mov_b64 s[6:7], 0
	s_mov_b32 s25, 0
                                        ; implicit-def: $sgpr29
	s_set_inst_prefetch_distance 0x1
	s_branch .LBB1203_42
	.p2align	6
.LBB1203_40:                            ;   in Loop: Header=BB1203_42 Depth=1
	global_load_u16 v25, v[19:20], off
	global_load_u16 v26, v[23:24], off
	v_add_co_u32 v19, vcc_lo, v19, 2
	v_add_co_ci_u32_e32 v20, vcc_lo, 0, v20, vcc_lo
	v_add_co_u32 v23, s0, v23, 2
	s_delay_alu instid0(VALU_DEP_1)
	v_add_co_ci_u32_e64 v24, s0, 0, v24, s0
	s_add_u32 s6, s6, 1
	s_addc_u32 s7, s7, 0
	s_and_not1_b32 s0, s29, exec_lo
	s_waitcnt vmcnt(1)
	v_lshlrev_b32_e32 v25, 16, v25
	s_waitcnt vmcnt(0)
	v_lshlrev_b32_e32 v26, 16, v26
	s_delay_alu instid0(VALU_DEP_1) | instskip(SKIP_1) | instid1(SALU_CYCLE_1)
	v_cmp_neq_f32_e32 vcc_lo, v26, v25
	s_and_b32 s29, vcc_lo, exec_lo
	s_or_b32 s29, s0, s29
.LBB1203_41:                            ;   in Loop: Header=BB1203_42 Depth=1
	v_dual_mov_b32 v26, s7 :: v_dual_mov_b32 v25, s6
	s_and_b32 s0, exec_lo, s29
	s_delay_alu instid0(SALU_CYCLE_1) | instskip(NEXT) | instid1(SALU_CYCLE_1)
	s_or_b32 s25, s0, s25
	s_and_not1_b32 exec_lo, exec_lo, s25
	s_cbranch_execz .LBB1203_44
.LBB1203_42:                            ; =>This Inner Loop Header: Depth=1
	s_or_b32 s29, s29, exec_lo
	s_cmp_eq_u64 s[4:5], s[6:7]
	s_cbranch_scc0 .LBB1203_40
; %bb.43:                               ;   in Loop: Header=BB1203_42 Depth=1
	s_mov_b64 s[6:7], s[14:15]
                                        ; implicit-def: $vgpr19_vgpr20
                                        ; implicit-def: $vgpr23_vgpr24
	s_branch .LBB1203_41
.LBB1203_44:
	s_set_inst_prefetch_distance 0x2
	s_or_b32 exec_lo, exec_lo, s25
	v_cmp_gt_i64_e32 vcc_lo, s[14:15], v[25:26]
	s_or_not1_b32 s25, vcc_lo, exec_lo
.LBB1203_45:
	s_or_b32 exec_lo, exec_lo, s28
.LBB1203_46:
	v_mul_lo_u32 v23, v6, s14
	v_mul_lo_u32 v24, v5, s15
	v_mad_u64_u32 v[19:20], null, v5, s14, 0
	s_mov_b32 s28, 0
	s_and_not1_b32 vcc_lo, exec_lo, s26
	s_mov_b32 s29, 0
	s_delay_alu instid0(VALU_DEP_1) | instskip(NEXT) | instid1(VALU_DEP_1)
	v_add3_u32 v20, v20, v24, v23
	v_lshlrev_b64 v[23:24], 1, v[19:20]
	s_cbranch_vccnz .LBB1203_55
; %bb.47:
	v_add_co_u32 v19, vcc_lo, s16, v21
	v_add_co_ci_u32_e32 v20, vcc_lo, s17, v22, vcc_lo
	s_delay_alu instid0(VALU_DEP_3) | instskip(NEXT) | instid1(VALU_DEP_4)
	v_add_co_u32 v21, vcc_lo, s16, v23
	v_add_co_ci_u32_e32 v22, vcc_lo, s17, v24, vcc_lo
	s_mov_b32 s29, -1
	s_clause 0x1
	global_load_u16 v25, v[19:20], off
	global_load_u16 v26, v[21:22], off
	s_mov_b32 s30, exec_lo
	s_waitcnt vmcnt(1)
	v_lshlrev_b32_e32 v25, 16, v25
	s_waitcnt vmcnt(0)
	v_lshlrev_b32_e32 v26, 16, v26
	s_delay_alu instid0(VALU_DEP_1)
	v_cmpx_eq_f32_e32 v26, v25
	s_cbranch_execz .LBB1203_54
; %bb.48:
	v_add_co_u32 v19, vcc_lo, v19, 2
	v_add_co_ci_u32_e32 v20, vcc_lo, 0, v20, vcc_lo
	v_add_co_u32 v21, vcc_lo, v21, 2
	v_add_co_ci_u32_e32 v22, vcc_lo, 0, v22, vcc_lo
	s_add_u32 s4, s14, -1
	s_addc_u32 s5, s15, -1
	s_mov_b64 s[6:7], 0
	s_mov_b32 s29, 0
                                        ; implicit-def: $sgpr31
	s_set_inst_prefetch_distance 0x1
	s_branch .LBB1203_51
	.p2align	6
.LBB1203_49:                            ;   in Loop: Header=BB1203_51 Depth=1
	global_load_u16 v25, v[19:20], off
	global_load_u16 v26, v[21:22], off
	v_add_co_u32 v19, vcc_lo, v19, 2
	v_add_co_ci_u32_e32 v20, vcc_lo, 0, v20, vcc_lo
	v_add_co_u32 v21, s0, v21, 2
	s_delay_alu instid0(VALU_DEP_1)
	v_add_co_ci_u32_e64 v22, s0, 0, v22, s0
	s_add_u32 s6, s6, 1
	s_addc_u32 s7, s7, 0
	s_and_not1_b32 s0, s31, exec_lo
	s_waitcnt vmcnt(1)
	v_lshlrev_b32_e32 v25, 16, v25
	s_waitcnt vmcnt(0)
	v_lshlrev_b32_e32 v26, 16, v26
	s_delay_alu instid0(VALU_DEP_1) | instskip(SKIP_1) | instid1(SALU_CYCLE_1)
	v_cmp_neq_f32_e32 vcc_lo, v26, v25
	s_and_b32 s31, vcc_lo, exec_lo
	s_or_b32 s31, s0, s31
.LBB1203_50:                            ;   in Loop: Header=BB1203_51 Depth=1
	v_dual_mov_b32 v26, s7 :: v_dual_mov_b32 v25, s6
	s_and_b32 s0, exec_lo, s31
	s_delay_alu instid0(SALU_CYCLE_1) | instskip(NEXT) | instid1(SALU_CYCLE_1)
	s_or_b32 s29, s0, s29
	s_and_not1_b32 exec_lo, exec_lo, s29
	s_cbranch_execz .LBB1203_53
.LBB1203_51:                            ; =>This Inner Loop Header: Depth=1
	s_or_b32 s31, s31, exec_lo
	s_cmp_eq_u64 s[4:5], s[6:7]
	s_cbranch_scc0 .LBB1203_49
; %bb.52:                               ;   in Loop: Header=BB1203_51 Depth=1
	s_mov_b64 s[6:7], s[14:15]
                                        ; implicit-def: $vgpr19_vgpr20
                                        ; implicit-def: $vgpr21_vgpr22
	s_branch .LBB1203_50
.LBB1203_53:
	s_set_inst_prefetch_distance 0x2
	s_or_b32 exec_lo, exec_lo, s29
	v_cmp_gt_i64_e32 vcc_lo, s[14:15], v[25:26]
	s_or_not1_b32 s29, vcc_lo, exec_lo
.LBB1203_54:
	s_or_b32 exec_lo, exec_lo, s30
.LBB1203_55:
	v_mul_lo_u32 v21, v12, s14
	v_mul_lo_u32 v22, v11, s15
	v_mad_u64_u32 v[19:20], null, v11, s14, 0
	s_and_not1_b32 vcc_lo, exec_lo, s26
	s_delay_alu instid0(VALU_DEP_1) | instskip(NEXT) | instid1(VALU_DEP_1)
	v_add3_u32 v20, v20, v22, v21
	v_lshlrev_b64 v[19:20], 1, v[19:20]
	s_cbranch_vccnz .LBB1203_64
; %bb.56:
	v_add_co_u32 v21, vcc_lo, s16, v23
	v_add_co_ci_u32_e32 v22, vcc_lo, s17, v24, vcc_lo
	s_delay_alu instid0(VALU_DEP_3) | instskip(NEXT) | instid1(VALU_DEP_4)
	v_add_co_u32 v23, vcc_lo, s16, v19
	v_add_co_ci_u32_e32 v24, vcc_lo, s17, v20, vcc_lo
	s_mov_b32 s28, -1
	s_clause 0x1
	global_load_u16 v25, v[21:22], off
	global_load_u16 v26, v[23:24], off
	s_mov_b32 s30, exec_lo
	s_waitcnt vmcnt(1)
	v_lshlrev_b32_e32 v25, 16, v25
	s_waitcnt vmcnt(0)
	v_lshlrev_b32_e32 v26, 16, v26
	s_delay_alu instid0(VALU_DEP_1)
	v_cmpx_eq_f32_e32 v26, v25
	s_cbranch_execz .LBB1203_63
; %bb.57:
	v_add_co_u32 v21, vcc_lo, v21, 2
	v_add_co_ci_u32_e32 v22, vcc_lo, 0, v22, vcc_lo
	v_add_co_u32 v23, vcc_lo, v23, 2
	v_add_co_ci_u32_e32 v24, vcc_lo, 0, v24, vcc_lo
	s_add_u32 s4, s14, -1
	s_addc_u32 s5, s15, -1
	s_mov_b64 s[6:7], 0
	s_mov_b32 s28, 0
                                        ; implicit-def: $sgpr31
	s_set_inst_prefetch_distance 0x1
	s_branch .LBB1203_60
	.p2align	6
.LBB1203_58:                            ;   in Loop: Header=BB1203_60 Depth=1
	global_load_u16 v25, v[21:22], off
	global_load_u16 v26, v[23:24], off
	v_add_co_u32 v21, vcc_lo, v21, 2
	v_add_co_ci_u32_e32 v22, vcc_lo, 0, v22, vcc_lo
	v_add_co_u32 v23, s0, v23, 2
	s_delay_alu instid0(VALU_DEP_1)
	v_add_co_ci_u32_e64 v24, s0, 0, v24, s0
	s_add_u32 s6, s6, 1
	s_addc_u32 s7, s7, 0
	s_and_not1_b32 s0, s31, exec_lo
	s_waitcnt vmcnt(1)
	v_lshlrev_b32_e32 v25, 16, v25
	s_waitcnt vmcnt(0)
	v_lshlrev_b32_e32 v26, 16, v26
	s_delay_alu instid0(VALU_DEP_1) | instskip(SKIP_1) | instid1(SALU_CYCLE_1)
	v_cmp_neq_f32_e32 vcc_lo, v26, v25
	s_and_b32 s31, vcc_lo, exec_lo
	s_or_b32 s31, s0, s31
.LBB1203_59:                            ;   in Loop: Header=BB1203_60 Depth=1
	v_dual_mov_b32 v26, s7 :: v_dual_mov_b32 v25, s6
	s_and_b32 s0, exec_lo, s31
	s_delay_alu instid0(SALU_CYCLE_1) | instskip(NEXT) | instid1(SALU_CYCLE_1)
	s_or_b32 s28, s0, s28
	s_and_not1_b32 exec_lo, exec_lo, s28
	s_cbranch_execz .LBB1203_62
.LBB1203_60:                            ; =>This Inner Loop Header: Depth=1
	s_or_b32 s31, s31, exec_lo
	s_cmp_eq_u64 s[4:5], s[6:7]
	s_cbranch_scc0 .LBB1203_58
; %bb.61:                               ;   in Loop: Header=BB1203_60 Depth=1
	s_mov_b64 s[6:7], s[14:15]
                                        ; implicit-def: $vgpr21_vgpr22
                                        ; implicit-def: $vgpr23_vgpr24
	s_branch .LBB1203_59
.LBB1203_62:
	s_set_inst_prefetch_distance 0x2
	s_or_b32 exec_lo, exec_lo, s28
	v_cmp_gt_i64_e32 vcc_lo, s[14:15], v[25:26]
	s_or_not1_b32 s28, vcc_lo, exec_lo
.LBB1203_63:
	s_or_b32 exec_lo, exec_lo, s30
.LBB1203_64:
	v_mul_lo_u32 v23, v10, s14
	v_mul_lo_u32 v24, v9, s15
	v_mad_u64_u32 v[21:22], null, v9, s14, 0
	s_mov_b32 s30, 0
	s_and_not1_b32 vcc_lo, exec_lo, s26
	s_mov_b32 s31, 0
	s_delay_alu instid0(VALU_DEP_1) | instskip(NEXT) | instid1(VALU_DEP_1)
	v_add3_u32 v22, v22, v24, v23
	v_lshlrev_b64 v[23:24], 1, v[21:22]
	s_cbranch_vccnz .LBB1203_73
; %bb.65:
	v_add_co_u32 v19, vcc_lo, s16, v19
	v_add_co_ci_u32_e32 v20, vcc_lo, s17, v20, vcc_lo
	s_delay_alu instid0(VALU_DEP_3) | instskip(NEXT) | instid1(VALU_DEP_4)
	v_add_co_u32 v21, vcc_lo, s16, v23
	v_add_co_ci_u32_e32 v22, vcc_lo, s17, v24, vcc_lo
	s_mov_b32 s31, -1
	s_clause 0x1
	global_load_u16 v25, v[19:20], off
	global_load_u16 v26, v[21:22], off
	s_mov_b32 s33, exec_lo
	s_waitcnt vmcnt(1)
	v_lshlrev_b32_e32 v25, 16, v25
	s_waitcnt vmcnt(0)
	v_lshlrev_b32_e32 v26, 16, v26
	s_delay_alu instid0(VALU_DEP_1)
	v_cmpx_eq_f32_e32 v26, v25
	s_cbranch_execz .LBB1203_72
; %bb.66:
	v_add_co_u32 v19, vcc_lo, v19, 2
	v_add_co_ci_u32_e32 v20, vcc_lo, 0, v20, vcc_lo
	v_add_co_u32 v21, vcc_lo, v21, 2
	v_add_co_ci_u32_e32 v22, vcc_lo, 0, v22, vcc_lo
	s_add_u32 s4, s14, -1
	s_addc_u32 s5, s15, -1
	s_mov_b64 s[6:7], 0
	s_mov_b32 s31, 0
                                        ; implicit-def: $sgpr34
	s_set_inst_prefetch_distance 0x1
	s_branch .LBB1203_69
	.p2align	6
.LBB1203_67:                            ;   in Loop: Header=BB1203_69 Depth=1
	global_load_u16 v25, v[19:20], off
	global_load_u16 v26, v[21:22], off
	v_add_co_u32 v19, vcc_lo, v19, 2
	v_add_co_ci_u32_e32 v20, vcc_lo, 0, v20, vcc_lo
	v_add_co_u32 v21, s0, v21, 2
	s_delay_alu instid0(VALU_DEP_1)
	v_add_co_ci_u32_e64 v22, s0, 0, v22, s0
	s_add_u32 s6, s6, 1
	s_addc_u32 s7, s7, 0
	s_and_not1_b32 s0, s34, exec_lo
	s_waitcnt vmcnt(1)
	v_lshlrev_b32_e32 v25, 16, v25
	s_waitcnt vmcnt(0)
	v_lshlrev_b32_e32 v26, 16, v26
	s_delay_alu instid0(VALU_DEP_1) | instskip(SKIP_1) | instid1(SALU_CYCLE_1)
	v_cmp_neq_f32_e32 vcc_lo, v26, v25
	s_and_b32 s34, vcc_lo, exec_lo
	s_or_b32 s34, s0, s34
.LBB1203_68:                            ;   in Loop: Header=BB1203_69 Depth=1
	v_dual_mov_b32 v26, s7 :: v_dual_mov_b32 v25, s6
	s_and_b32 s0, exec_lo, s34
	s_delay_alu instid0(SALU_CYCLE_1) | instskip(NEXT) | instid1(SALU_CYCLE_1)
	s_or_b32 s31, s0, s31
	s_and_not1_b32 exec_lo, exec_lo, s31
	s_cbranch_execz .LBB1203_71
.LBB1203_69:                            ; =>This Inner Loop Header: Depth=1
	s_or_b32 s34, s34, exec_lo
	s_cmp_eq_u64 s[4:5], s[6:7]
	s_cbranch_scc0 .LBB1203_67
; %bb.70:                               ;   in Loop: Header=BB1203_69 Depth=1
	s_mov_b64 s[6:7], s[14:15]
                                        ; implicit-def: $vgpr19_vgpr20
                                        ; implicit-def: $vgpr21_vgpr22
	s_branch .LBB1203_68
.LBB1203_71:
	s_set_inst_prefetch_distance 0x2
	s_or_b32 exec_lo, exec_lo, s31
	v_cmp_gt_i64_e32 vcc_lo, s[14:15], v[25:26]
	s_or_not1_b32 s31, vcc_lo, exec_lo
.LBB1203_72:
	s_or_b32 exec_lo, exec_lo, s33
.LBB1203_73:
	v_mul_lo_u32 v21, v16, s14
	v_mul_lo_u32 v22, v15, s15
	v_mad_u64_u32 v[19:20], null, v15, s14, 0
	s_and_not1_b32 vcc_lo, exec_lo, s26
	s_delay_alu instid0(VALU_DEP_1) | instskip(NEXT) | instid1(VALU_DEP_1)
	v_add3_u32 v20, v20, v22, v21
	v_lshlrev_b64 v[21:22], 1, v[19:20]
	s_cbranch_vccnz .LBB1203_82
; %bb.74:
	v_add_co_u32 v19, vcc_lo, s16, v23
	v_add_co_ci_u32_e32 v20, vcc_lo, s17, v24, vcc_lo
	s_delay_alu instid0(VALU_DEP_3) | instskip(NEXT) | instid1(VALU_DEP_4)
	v_add_co_u32 v23, vcc_lo, s16, v21
	v_add_co_ci_u32_e32 v24, vcc_lo, s17, v22, vcc_lo
	s_mov_b32 s30, -1
	s_clause 0x1
	global_load_u16 v25, v[19:20], off
	global_load_u16 v26, v[23:24], off
	s_mov_b32 s33, exec_lo
	s_waitcnt vmcnt(1)
	v_lshlrev_b32_e32 v25, 16, v25
	s_waitcnt vmcnt(0)
	v_lshlrev_b32_e32 v26, 16, v26
	s_delay_alu instid0(VALU_DEP_1)
	v_cmpx_eq_f32_e32 v26, v25
	s_cbranch_execz .LBB1203_81
; %bb.75:
	v_add_co_u32 v19, vcc_lo, v19, 2
	v_add_co_ci_u32_e32 v20, vcc_lo, 0, v20, vcc_lo
	v_add_co_u32 v23, vcc_lo, v23, 2
	v_add_co_ci_u32_e32 v24, vcc_lo, 0, v24, vcc_lo
	s_add_u32 s4, s14, -1
	s_addc_u32 s5, s15, -1
	s_mov_b64 s[6:7], 0
	s_mov_b32 s30, 0
                                        ; implicit-def: $sgpr34
	s_set_inst_prefetch_distance 0x1
	s_branch .LBB1203_78
	.p2align	6
.LBB1203_76:                            ;   in Loop: Header=BB1203_78 Depth=1
	global_load_u16 v25, v[19:20], off
	global_load_u16 v26, v[23:24], off
	v_add_co_u32 v19, vcc_lo, v19, 2
	v_add_co_ci_u32_e32 v20, vcc_lo, 0, v20, vcc_lo
	v_add_co_u32 v23, s0, v23, 2
	s_delay_alu instid0(VALU_DEP_1)
	v_add_co_ci_u32_e64 v24, s0, 0, v24, s0
	s_add_u32 s6, s6, 1
	s_addc_u32 s7, s7, 0
	s_and_not1_b32 s0, s34, exec_lo
	s_waitcnt vmcnt(1)
	v_lshlrev_b32_e32 v25, 16, v25
	s_waitcnt vmcnt(0)
	v_lshlrev_b32_e32 v26, 16, v26
	s_delay_alu instid0(VALU_DEP_1) | instskip(SKIP_1) | instid1(SALU_CYCLE_1)
	v_cmp_neq_f32_e32 vcc_lo, v26, v25
	s_and_b32 s34, vcc_lo, exec_lo
	s_or_b32 s34, s0, s34
.LBB1203_77:                            ;   in Loop: Header=BB1203_78 Depth=1
	v_dual_mov_b32 v26, s7 :: v_dual_mov_b32 v25, s6
	s_and_b32 s0, exec_lo, s34
	s_delay_alu instid0(SALU_CYCLE_1) | instskip(NEXT) | instid1(SALU_CYCLE_1)
	s_or_b32 s30, s0, s30
	s_and_not1_b32 exec_lo, exec_lo, s30
	s_cbranch_execz .LBB1203_80
.LBB1203_78:                            ; =>This Inner Loop Header: Depth=1
	s_or_b32 s34, s34, exec_lo
	s_cmp_eq_u64 s[4:5], s[6:7]
	s_cbranch_scc0 .LBB1203_76
; %bb.79:                               ;   in Loop: Header=BB1203_78 Depth=1
	s_mov_b64 s[6:7], s[14:15]
                                        ; implicit-def: $vgpr19_vgpr20
                                        ; implicit-def: $vgpr23_vgpr24
	s_branch .LBB1203_77
.LBB1203_80:
	s_set_inst_prefetch_distance 0x2
	s_or_b32 exec_lo, exec_lo, s30
	v_cmp_gt_i64_e32 vcc_lo, s[14:15], v[25:26]
	s_or_not1_b32 s30, vcc_lo, exec_lo
.LBB1203_81:
	s_or_b32 exec_lo, exec_lo, s33
.LBB1203_82:
	v_mul_lo_u32 v23, v14, s14
	v_mul_lo_u32 v24, v13, s15
	v_mad_u64_u32 v[19:20], null, v13, s14, 0
	s_and_not1_b32 vcc_lo, exec_lo, s26
	s_mov_b32 s0, 0
	s_delay_alu instid0(VALU_DEP_1) | instskip(NEXT) | instid1(VALU_DEP_1)
	v_add3_u32 v20, v20, v24, v23
	v_lshlrev_b64 v[19:20], 1, v[19:20]
	s_cbranch_vccnz .LBB1203_91
; %bb.83:
	v_add_co_u32 v21, vcc_lo, s16, v21
	v_add_co_ci_u32_e32 v22, vcc_lo, s17, v22, vcc_lo
	s_delay_alu instid0(VALU_DEP_3) | instskip(NEXT) | instid1(VALU_DEP_4)
	v_add_co_u32 v23, vcc_lo, s16, v19
	v_add_co_ci_u32_e32 v24, vcc_lo, s17, v20, vcc_lo
	s_mov_b32 s0, -1
	s_clause 0x1
	global_load_u16 v25, v[21:22], off
	global_load_u16 v26, v[23:24], off
	s_mov_b32 s33, exec_lo
	s_waitcnt vmcnt(1)
	v_lshlrev_b32_e32 v25, 16, v25
	s_waitcnt vmcnt(0)
	v_lshlrev_b32_e32 v26, 16, v26
	s_delay_alu instid0(VALU_DEP_1)
	v_cmpx_eq_f32_e32 v26, v25
	s_cbranch_execz .LBB1203_90
; %bb.84:
	v_add_co_u32 v21, vcc_lo, v21, 2
	v_add_co_ci_u32_e32 v22, vcc_lo, 0, v22, vcc_lo
	v_add_co_u32 v23, vcc_lo, v23, 2
	v_add_co_ci_u32_e32 v24, vcc_lo, 0, v24, vcc_lo
	s_add_u32 s4, s14, -1
	s_addc_u32 s5, s15, -1
	s_mov_b64 s[6:7], 0
	s_mov_b32 s34, 0
                                        ; implicit-def: $sgpr35
	s_set_inst_prefetch_distance 0x1
	s_branch .LBB1203_87
	.p2align	6
.LBB1203_85:                            ;   in Loop: Header=BB1203_87 Depth=1
	global_load_u16 v25, v[21:22], off
	global_load_u16 v26, v[23:24], off
	v_add_co_u32 v21, vcc_lo, v21, 2
	v_add_co_ci_u32_e32 v22, vcc_lo, 0, v22, vcc_lo
	v_add_co_u32 v23, s0, v23, 2
	s_delay_alu instid0(VALU_DEP_1)
	v_add_co_ci_u32_e64 v24, s0, 0, v24, s0
	s_add_u32 s6, s6, 1
	s_addc_u32 s7, s7, 0
	s_and_not1_b32 s0, s35, exec_lo
	s_waitcnt vmcnt(1)
	v_lshlrev_b32_e32 v25, 16, v25
	s_waitcnt vmcnt(0)
	v_lshlrev_b32_e32 v26, 16, v26
	s_delay_alu instid0(VALU_DEP_1) | instskip(SKIP_1) | instid1(SALU_CYCLE_1)
	v_cmp_neq_f32_e32 vcc_lo, v26, v25
	s_and_b32 s35, vcc_lo, exec_lo
	s_or_b32 s35, s0, s35
.LBB1203_86:                            ;   in Loop: Header=BB1203_87 Depth=1
	v_dual_mov_b32 v26, s7 :: v_dual_mov_b32 v25, s6
	s_and_b32 s0, exec_lo, s35
	s_delay_alu instid0(SALU_CYCLE_1) | instskip(NEXT) | instid1(SALU_CYCLE_1)
	s_or_b32 s34, s0, s34
	s_and_not1_b32 exec_lo, exec_lo, s34
	s_cbranch_execz .LBB1203_89
.LBB1203_87:                            ; =>This Inner Loop Header: Depth=1
	s_or_b32 s35, s35, exec_lo
	s_cmp_eq_u64 s[4:5], s[6:7]
	s_cbranch_scc0 .LBB1203_85
; %bb.88:                               ;   in Loop: Header=BB1203_87 Depth=1
	s_mov_b64 s[6:7], s[14:15]
                                        ; implicit-def: $vgpr21_vgpr22
                                        ; implicit-def: $vgpr23_vgpr24
	s_branch .LBB1203_86
.LBB1203_89:
	s_set_inst_prefetch_distance 0x2
	s_or_b32 exec_lo, exec_lo, s34
	v_cmp_gt_i64_e32 vcc_lo, s[14:15], v[25:26]
	s_or_not1_b32 s0, vcc_lo, exec_lo
.LBB1203_90:
	s_or_b32 exec_lo, exec_lo, s33
.LBB1203_91:
	s_waitcnt vmcnt(0)
	v_dual_mov_b32 v22, v18 :: v_dual_mov_b32 v21, v17
	s_waitcnt lgkmcnt(0)
	s_barrier
	buffer_gl0_inv
	s_and_saveexec_b32 s4, s3
	s_cbranch_execz .LBB1203_93
; %bb.92:
	v_add_nc_u32_e32 v21, -8, v39
	ds_load_b64 v[21:22], v21
.LBB1203_93:
	s_or_b32 exec_lo, exec_lo, s4
	v_cndmask_b32_e64 v24, 0, 1, s31
	v_cndmask_b32_e64 v26, 0, 1, s29
	;; [unrolled: 1-line block ×7, first 2 shown]
	v_lshlrev_b16 v24, 8, v24
	v_lshlrev_b16 v26, 8, v26
	;; [unrolled: 1-line block ×4, first 2 shown]
	s_mov_b32 s25, 0
	v_or_b32_e32 v23, v23, v24
	v_or_b32_e32 v24, v25, v26
	;; [unrolled: 1-line block ×3, first 2 shown]
	v_and_b32_e32 v25, 0xffff, v29
	s_and_not1_b32 vcc_lo, exec_lo, s26
	v_lshlrev_b32_e32 v26, 16, v23
	v_and_b32_e32 v28, 0xffff, v24
	v_lshlrev_b32_e32 v29, 16, v30
	s_mov_b32 s0, 0
	s_cbranch_vccnz .LBB1203_102
; %bb.94:
	s_waitcnt lgkmcnt(0)
	v_mul_lo_u32 v24, v22, s14
	v_mul_lo_u32 v30, v21, s15
	v_mad_u64_u32 v[22:23], null, v21, s14, 0
	s_mov_b32 s0, -1
	s_mov_b32 s27, exec_lo
	s_delay_alu instid0(VALU_DEP_1) | instskip(NEXT) | instid1(VALU_DEP_1)
	v_add3_u32 v23, v23, v30, v24
	v_lshlrev_b64 v[21:22], 1, v[22:23]
	s_delay_alu instid0(VALU_DEP_1) | instskip(NEXT) | instid1(VALU_DEP_2)
	v_add_co_u32 v21, vcc_lo, s16, v21
	v_add_co_ci_u32_e32 v22, vcc_lo, s17, v22, vcc_lo
	v_add_co_u32 v19, vcc_lo, s16, v19
	v_add_co_ci_u32_e32 v20, vcc_lo, s17, v20, vcc_lo
	s_clause 0x1
	global_load_u16 v23, v[21:22], off
	global_load_u16 v24, v[19:20], off
	s_waitcnt vmcnt(1)
	v_lshlrev_b32_e32 v23, 16, v23
	s_waitcnt vmcnt(0)
	v_lshlrev_b32_e32 v24, 16, v24
	s_delay_alu instid0(VALU_DEP_1)
	v_cmpx_eq_f32_e32 v23, v24
	s_cbranch_execz .LBB1203_101
; %bb.95:
	v_add_co_u32 v19, vcc_lo, v19, 2
	v_add_co_ci_u32_e32 v20, vcc_lo, 0, v20, vcc_lo
	v_add_co_u32 v21, vcc_lo, v21, 2
	v_add_co_ci_u32_e32 v22, vcc_lo, 0, v22, vcc_lo
	s_add_u32 s4, s14, -1
	s_addc_u32 s5, s15, -1
	s_mov_b64 s[6:7], 0
	s_mov_b32 s28, 0
                                        ; implicit-def: $sgpr29
	s_set_inst_prefetch_distance 0x1
	s_branch .LBB1203_98
	.p2align	6
.LBB1203_96:                            ;   in Loop: Header=BB1203_98 Depth=1
	global_load_u16 v23, v[19:20], off
	global_load_u16 v24, v[21:22], off
	v_add_co_u32 v19, vcc_lo, v19, 2
	v_add_co_ci_u32_e32 v20, vcc_lo, 0, v20, vcc_lo
	v_add_co_u32 v21, s0, v21, 2
	s_delay_alu instid0(VALU_DEP_1)
	v_add_co_ci_u32_e64 v22, s0, 0, v22, s0
	s_add_u32 s6, s6, 1
	s_addc_u32 s7, s7, 0
	s_and_not1_b32 s0, s29, exec_lo
	s_waitcnt vmcnt(1)
	v_lshlrev_b32_e32 v23, 16, v23
	s_waitcnt vmcnt(0)
	v_lshlrev_b32_e32 v24, 16, v24
	s_delay_alu instid0(VALU_DEP_1) | instskip(SKIP_1) | instid1(SALU_CYCLE_1)
	v_cmp_neq_f32_e32 vcc_lo, v24, v23
	s_and_b32 s29, vcc_lo, exec_lo
	s_or_b32 s29, s0, s29
.LBB1203_97:                            ;   in Loop: Header=BB1203_98 Depth=1
	v_dual_mov_b32 v24, s7 :: v_dual_mov_b32 v23, s6
	s_and_b32 s0, exec_lo, s29
	s_delay_alu instid0(SALU_CYCLE_1) | instskip(NEXT) | instid1(SALU_CYCLE_1)
	s_or_b32 s28, s0, s28
	s_and_not1_b32 exec_lo, exec_lo, s28
	s_cbranch_execz .LBB1203_100
.LBB1203_98:                            ; =>This Inner Loop Header: Depth=1
	s_or_b32 s29, s29, exec_lo
	s_cmp_eq_u64 s[4:5], s[6:7]
	s_cbranch_scc0 .LBB1203_96
; %bb.99:                               ;   in Loop: Header=BB1203_98 Depth=1
	s_mov_b64 s[6:7], s[14:15]
                                        ; implicit-def: $vgpr19_vgpr20
                                        ; implicit-def: $vgpr21_vgpr22
	s_branch .LBB1203_97
.LBB1203_100:
	s_set_inst_prefetch_distance 0x2
	s_or_b32 exec_lo, exec_lo, s28
	v_cmp_gt_i64_e32 vcc_lo, s[14:15], v[23:24]
	s_or_not1_b32 s0, vcc_lo, exec_lo
.LBB1203_101:
	s_or_b32 exec_lo, exec_lo, s27
.LBB1203_102:
	v_or_b32_e32 v19, v25, v26
	s_delay_alu instid0(VALU_DEP_2)
	v_or_b32_e32 v20, v28, v29
	s_and_b32 vcc_lo, exec_lo, s25
	s_cbranch_vccz .LBB1203_194
.LBB1203_103:
	v_or_b32_e32 v19, 7, v39
	s_mov_b32 s25, 0
	s_mov_b32 s27, 0
	s_mov_b32 s28, exec_lo
	s_delay_alu instid0(VALU_DEP_1)
	v_cmpx_gt_u32_e64 s12, v19
	s_cbranch_execz .LBB1203_114
; %bb.104:
	s_and_not1_b32 vcc_lo, exec_lo, s26
	s_mov_b32 s0, 0
	s_cbranch_vccnz .LBB1203_113
; %bb.105:
	v_mul_lo_u32 v23, v4, s14
	v_mul_lo_u32 v24, v3, s15
	v_mad_u64_u32 v[19:20], null, v3, s14, 0
	v_mul_lo_u32 v25, v2, s14
	v_mul_lo_u32 v26, v1, s15
	s_waitcnt lgkmcnt(0)
	v_mad_u64_u32 v[21:22], null, v1, s14, 0
	s_mov_b32 s0, -1
	s_mov_b32 s26, exec_lo
	s_delay_alu instid0(VALU_DEP_4) | instskip(NEXT) | instid1(VALU_DEP_2)
	v_add3_u32 v20, v20, v24, v23
	v_add3_u32 v22, v22, v26, v25
	s_delay_alu instid0(VALU_DEP_2) | instskip(NEXT) | instid1(VALU_DEP_2)
	v_lshlrev_b64 v[19:20], 1, v[19:20]
	v_lshlrev_b64 v[21:22], 1, v[21:22]
	s_delay_alu instid0(VALU_DEP_2) | instskip(NEXT) | instid1(VALU_DEP_3)
	v_add_co_u32 v19, vcc_lo, s16, v19
	v_add_co_ci_u32_e32 v20, vcc_lo, s17, v20, vcc_lo
	s_delay_alu instid0(VALU_DEP_3) | instskip(NEXT) | instid1(VALU_DEP_4)
	v_add_co_u32 v21, vcc_lo, s16, v21
	v_add_co_ci_u32_e32 v22, vcc_lo, s17, v22, vcc_lo
	s_clause 0x1
	global_load_u16 v23, v[19:20], off
	global_load_u16 v24, v[21:22], off
	s_waitcnt vmcnt(1)
	v_lshlrev_b32_e32 v23, 16, v23
	s_waitcnt vmcnt(0)
	v_lshlrev_b32_e32 v24, 16, v24
	s_delay_alu instid0(VALU_DEP_1)
	v_cmpx_eq_f32_e32 v24, v23
	s_cbranch_execz .LBB1203_112
; %bb.106:
	v_add_co_u32 v19, vcc_lo, v19, 2
	v_add_co_ci_u32_e32 v20, vcc_lo, 0, v20, vcc_lo
	v_add_co_u32 v21, vcc_lo, v21, 2
	v_add_co_ci_u32_e32 v22, vcc_lo, 0, v22, vcc_lo
	s_add_u32 s4, s14, -1
	s_addc_u32 s5, s15, -1
	s_mov_b64 s[6:7], 0
                                        ; implicit-def: $sgpr29
	s_set_inst_prefetch_distance 0x1
	s_branch .LBB1203_109
	.p2align	6
.LBB1203_107:                           ;   in Loop: Header=BB1203_109 Depth=1
	global_load_u16 v23, v[19:20], off
	global_load_u16 v24, v[21:22], off
	v_add_co_u32 v19, vcc_lo, v19, 2
	v_add_co_ci_u32_e32 v20, vcc_lo, 0, v20, vcc_lo
	v_add_co_u32 v21, s0, v21, 2
	s_delay_alu instid0(VALU_DEP_1)
	v_add_co_ci_u32_e64 v22, s0, 0, v22, s0
	s_add_u32 s6, s6, 1
	s_addc_u32 s7, s7, 0
	s_and_not1_b32 s0, s29, exec_lo
	s_waitcnt vmcnt(1)
	v_lshlrev_b32_e32 v23, 16, v23
	s_waitcnt vmcnt(0)
	v_lshlrev_b32_e32 v24, 16, v24
	s_delay_alu instid0(VALU_DEP_1) | instskip(SKIP_1) | instid1(SALU_CYCLE_1)
	v_cmp_neq_f32_e32 vcc_lo, v24, v23
	s_and_b32 s29, vcc_lo, exec_lo
	s_or_b32 s29, s0, s29
.LBB1203_108:                           ;   in Loop: Header=BB1203_109 Depth=1
	v_dual_mov_b32 v24, s7 :: v_dual_mov_b32 v23, s6
	s_and_b32 s0, exec_lo, s29
	s_delay_alu instid0(SALU_CYCLE_1) | instskip(NEXT) | instid1(SALU_CYCLE_1)
	s_or_b32 s27, s0, s27
	s_and_not1_b32 exec_lo, exec_lo, s27
	s_cbranch_execz .LBB1203_111
.LBB1203_109:                           ; =>This Inner Loop Header: Depth=1
	s_or_b32 s29, s29, exec_lo
	s_cmp_eq_u64 s[4:5], s[6:7]
	s_cbranch_scc0 .LBB1203_107
; %bb.110:                              ;   in Loop: Header=BB1203_109 Depth=1
	s_mov_b64 s[6:7], s[14:15]
                                        ; implicit-def: $vgpr19_vgpr20
                                        ; implicit-def: $vgpr21_vgpr22
	s_branch .LBB1203_108
.LBB1203_111:
	s_set_inst_prefetch_distance 0x2
	s_or_b32 exec_lo, exec_lo, s27
	v_cmp_gt_i64_e32 vcc_lo, s[14:15], v[23:24]
	s_or_not1_b32 s0, vcc_lo, exec_lo
.LBB1203_112:
	s_or_b32 exec_lo, exec_lo, s26
.LBB1203_113:
	s_delay_alu instid0(SALU_CYCLE_1)
	s_and_b32 s27, s0, exec_lo
.LBB1203_114:
	s_or_b32 exec_lo, exec_lo, s28
	v_or_b32_e32 v19, 6, v39
	s_mov_b32 s26, exec_lo
	s_delay_alu instid0(VALU_DEP_1)
	v_cmpx_gt_u32_e64 s12, v19
	s_cbranch_execz .LBB1203_125
; %bb.115:
	v_cmp_ne_u32_e32 vcc_lo, 1, v27
	s_mov_b32 s0, 0
	s_cbranch_vccnz .LBB1203_124
; %bb.116:
	v_mul_lo_u32 v23, v2, s14
	v_mul_lo_u32 v24, v1, s15
	v_mad_u64_u32 v[19:20], null, v1, s14, 0
	v_mul_lo_u32 v25, v8, s14
	v_mul_lo_u32 v26, v7, s15
	s_waitcnt lgkmcnt(0)
	v_mad_u64_u32 v[21:22], null, v7, s14, 0
	s_mov_b32 s0, -1
	s_mov_b32 s25, exec_lo
	s_delay_alu instid0(VALU_DEP_4) | instskip(NEXT) | instid1(VALU_DEP_2)
	v_add3_u32 v20, v20, v24, v23
	v_add3_u32 v22, v22, v26, v25
	s_delay_alu instid0(VALU_DEP_2) | instskip(NEXT) | instid1(VALU_DEP_2)
	v_lshlrev_b64 v[19:20], 1, v[19:20]
	v_lshlrev_b64 v[21:22], 1, v[21:22]
	s_delay_alu instid0(VALU_DEP_2) | instskip(NEXT) | instid1(VALU_DEP_3)
	v_add_co_u32 v19, vcc_lo, s16, v19
	v_add_co_ci_u32_e32 v20, vcc_lo, s17, v20, vcc_lo
	s_delay_alu instid0(VALU_DEP_3) | instskip(NEXT) | instid1(VALU_DEP_4)
	v_add_co_u32 v21, vcc_lo, s16, v21
	v_add_co_ci_u32_e32 v22, vcc_lo, s17, v22, vcc_lo
	s_clause 0x1
	global_load_u16 v23, v[19:20], off
	global_load_u16 v24, v[21:22], off
	s_waitcnt vmcnt(1)
	v_lshlrev_b32_e32 v23, 16, v23
	s_waitcnt vmcnt(0)
	v_lshlrev_b32_e32 v24, 16, v24
	s_delay_alu instid0(VALU_DEP_1)
	v_cmpx_eq_f32_e32 v24, v23
	s_cbranch_execz .LBB1203_123
; %bb.117:
	v_add_co_u32 v19, vcc_lo, v19, 2
	v_add_co_ci_u32_e32 v20, vcc_lo, 0, v20, vcc_lo
	v_add_co_u32 v21, vcc_lo, v21, 2
	v_add_co_ci_u32_e32 v22, vcc_lo, 0, v22, vcc_lo
	s_add_u32 s4, s14, -1
	s_addc_u32 s5, s15, -1
	s_mov_b64 s[6:7], 0
	s_mov_b32 s28, 0
                                        ; implicit-def: $sgpr29
	s_set_inst_prefetch_distance 0x1
	s_branch .LBB1203_120
	.p2align	6
.LBB1203_118:                           ;   in Loop: Header=BB1203_120 Depth=1
	global_load_u16 v23, v[19:20], off
	global_load_u16 v24, v[21:22], off
	v_add_co_u32 v19, vcc_lo, v19, 2
	v_add_co_ci_u32_e32 v20, vcc_lo, 0, v20, vcc_lo
	v_add_co_u32 v21, s0, v21, 2
	s_delay_alu instid0(VALU_DEP_1)
	v_add_co_ci_u32_e64 v22, s0, 0, v22, s0
	s_add_u32 s6, s6, 1
	s_addc_u32 s7, s7, 0
	s_and_not1_b32 s0, s29, exec_lo
	s_waitcnt vmcnt(1)
	v_lshlrev_b32_e32 v23, 16, v23
	s_waitcnt vmcnt(0)
	v_lshlrev_b32_e32 v24, 16, v24
	s_delay_alu instid0(VALU_DEP_1) | instskip(SKIP_1) | instid1(SALU_CYCLE_1)
	v_cmp_neq_f32_e32 vcc_lo, v24, v23
	s_and_b32 s29, vcc_lo, exec_lo
	s_or_b32 s29, s0, s29
.LBB1203_119:                           ;   in Loop: Header=BB1203_120 Depth=1
	v_dual_mov_b32 v24, s7 :: v_dual_mov_b32 v23, s6
	s_and_b32 s0, exec_lo, s29
	s_delay_alu instid0(SALU_CYCLE_1) | instskip(NEXT) | instid1(SALU_CYCLE_1)
	s_or_b32 s28, s0, s28
	s_and_not1_b32 exec_lo, exec_lo, s28
	s_cbranch_execz .LBB1203_122
.LBB1203_120:                           ; =>This Inner Loop Header: Depth=1
	s_or_b32 s29, s29, exec_lo
	s_cmp_eq_u64 s[4:5], s[6:7]
	s_cbranch_scc0 .LBB1203_118
; %bb.121:                              ;   in Loop: Header=BB1203_120 Depth=1
	s_mov_b64 s[6:7], s[14:15]
                                        ; implicit-def: $vgpr19_vgpr20
                                        ; implicit-def: $vgpr21_vgpr22
	s_branch .LBB1203_119
.LBB1203_122:
	s_set_inst_prefetch_distance 0x2
	s_or_b32 exec_lo, exec_lo, s28
	v_cmp_gt_i64_e32 vcc_lo, s[14:15], v[23:24]
	s_or_not1_b32 s0, vcc_lo, exec_lo
.LBB1203_123:
	s_or_b32 exec_lo, exec_lo, s25
.LBB1203_124:
	s_delay_alu instid0(SALU_CYCLE_1)
	s_and_b32 s25, s0, exec_lo
.LBB1203_125:
	s_or_b32 exec_lo, exec_lo, s26
	v_or_b32_e32 v19, 5, v39
	s_mov_b32 s28, 0
	s_mov_b32 s26, 0
	s_mov_b32 s29, exec_lo
	s_delay_alu instid0(VALU_DEP_1)
	v_cmpx_gt_u32_e64 s12, v19
	s_cbranch_execz .LBB1203_136
; %bb.126:
	v_cmp_ne_u32_e32 vcc_lo, 1, v27
	s_mov_b32 s0, 0
	s_cbranch_vccnz .LBB1203_135
; %bb.127:
	v_mul_lo_u32 v23, v8, s14
	v_mul_lo_u32 v24, v7, s15
	v_mad_u64_u32 v[19:20], null, v7, s14, 0
	v_mul_lo_u32 v25, v6, s14
	v_mul_lo_u32 v26, v5, s15
	s_waitcnt lgkmcnt(0)
	v_mad_u64_u32 v[21:22], null, v5, s14, 0
	s_mov_b32 s0, -1
	s_mov_b32 s26, exec_lo
	s_delay_alu instid0(VALU_DEP_4) | instskip(NEXT) | instid1(VALU_DEP_2)
	v_add3_u32 v20, v20, v24, v23
	v_add3_u32 v22, v22, v26, v25
	s_delay_alu instid0(VALU_DEP_2) | instskip(NEXT) | instid1(VALU_DEP_2)
	v_lshlrev_b64 v[19:20], 1, v[19:20]
	v_lshlrev_b64 v[21:22], 1, v[21:22]
	s_delay_alu instid0(VALU_DEP_2) | instskip(NEXT) | instid1(VALU_DEP_3)
	v_add_co_u32 v19, vcc_lo, s16, v19
	v_add_co_ci_u32_e32 v20, vcc_lo, s17, v20, vcc_lo
	s_delay_alu instid0(VALU_DEP_3) | instskip(NEXT) | instid1(VALU_DEP_4)
	v_add_co_u32 v21, vcc_lo, s16, v21
	v_add_co_ci_u32_e32 v22, vcc_lo, s17, v22, vcc_lo
	s_clause 0x1
	global_load_u16 v23, v[19:20], off
	global_load_u16 v24, v[21:22], off
	s_waitcnt vmcnt(1)
	v_lshlrev_b32_e32 v23, 16, v23
	s_waitcnt vmcnt(0)
	v_lshlrev_b32_e32 v24, 16, v24
	s_delay_alu instid0(VALU_DEP_1)
	v_cmpx_eq_f32_e32 v24, v23
	s_cbranch_execz .LBB1203_134
; %bb.128:
	v_add_co_u32 v19, vcc_lo, v19, 2
	v_add_co_ci_u32_e32 v20, vcc_lo, 0, v20, vcc_lo
	v_add_co_u32 v21, vcc_lo, v21, 2
	v_add_co_ci_u32_e32 v22, vcc_lo, 0, v22, vcc_lo
	s_add_u32 s4, s14, -1
	s_addc_u32 s5, s15, -1
	s_mov_b64 s[6:7], 0
	s_mov_b32 s30, 0
                                        ; implicit-def: $sgpr31
	s_set_inst_prefetch_distance 0x1
	s_branch .LBB1203_131
	.p2align	6
.LBB1203_129:                           ;   in Loop: Header=BB1203_131 Depth=1
	global_load_u16 v23, v[19:20], off
	global_load_u16 v24, v[21:22], off
	v_add_co_u32 v19, vcc_lo, v19, 2
	v_add_co_ci_u32_e32 v20, vcc_lo, 0, v20, vcc_lo
	v_add_co_u32 v21, s0, v21, 2
	s_delay_alu instid0(VALU_DEP_1)
	v_add_co_ci_u32_e64 v22, s0, 0, v22, s0
	s_add_u32 s6, s6, 1
	s_addc_u32 s7, s7, 0
	s_and_not1_b32 s0, s31, exec_lo
	s_waitcnt vmcnt(1)
	v_lshlrev_b32_e32 v23, 16, v23
	s_waitcnt vmcnt(0)
	v_lshlrev_b32_e32 v24, 16, v24
	s_delay_alu instid0(VALU_DEP_1) | instskip(SKIP_1) | instid1(SALU_CYCLE_1)
	v_cmp_neq_f32_e32 vcc_lo, v24, v23
	s_and_b32 s31, vcc_lo, exec_lo
	s_or_b32 s31, s0, s31
.LBB1203_130:                           ;   in Loop: Header=BB1203_131 Depth=1
	v_dual_mov_b32 v24, s7 :: v_dual_mov_b32 v23, s6
	s_and_b32 s0, exec_lo, s31
	s_delay_alu instid0(SALU_CYCLE_1) | instskip(NEXT) | instid1(SALU_CYCLE_1)
	s_or_b32 s30, s0, s30
	s_and_not1_b32 exec_lo, exec_lo, s30
	s_cbranch_execz .LBB1203_133
.LBB1203_131:                           ; =>This Inner Loop Header: Depth=1
	s_or_b32 s31, s31, exec_lo
	s_cmp_eq_u64 s[4:5], s[6:7]
	s_cbranch_scc0 .LBB1203_129
; %bb.132:                              ;   in Loop: Header=BB1203_131 Depth=1
	s_mov_b64 s[6:7], s[14:15]
                                        ; implicit-def: $vgpr19_vgpr20
                                        ; implicit-def: $vgpr21_vgpr22
	s_branch .LBB1203_130
.LBB1203_133:
	s_set_inst_prefetch_distance 0x2
	s_or_b32 exec_lo, exec_lo, s30
	v_cmp_gt_i64_e32 vcc_lo, s[14:15], v[23:24]
	s_or_not1_b32 s0, vcc_lo, exec_lo
.LBB1203_134:
	s_or_b32 exec_lo, exec_lo, s26
.LBB1203_135:
	s_delay_alu instid0(SALU_CYCLE_1)
	s_and_b32 s26, s0, exec_lo
.LBB1203_136:
	s_or_b32 exec_lo, exec_lo, s29
	v_or_b32_e32 v19, 4, v39
	s_mov_b32 s29, exec_lo
	s_delay_alu instid0(VALU_DEP_1)
	v_cmpx_gt_u32_e64 s12, v19
	s_cbranch_execz .LBB1203_147
; %bb.137:
	v_cmp_ne_u32_e32 vcc_lo, 1, v27
	s_mov_b32 s0, 0
	s_cbranch_vccnz .LBB1203_146
; %bb.138:
	v_mul_lo_u32 v23, v6, s14
	v_mul_lo_u32 v24, v5, s15
	v_mad_u64_u32 v[19:20], null, v5, s14, 0
	v_mul_lo_u32 v25, v12, s14
	v_mul_lo_u32 v26, v11, s15
	s_waitcnt lgkmcnt(0)
	v_mad_u64_u32 v[21:22], null, v11, s14, 0
	s_mov_b32 s0, -1
	s_mov_b32 s28, exec_lo
	s_delay_alu instid0(VALU_DEP_4) | instskip(NEXT) | instid1(VALU_DEP_2)
	v_add3_u32 v20, v20, v24, v23
	v_add3_u32 v22, v22, v26, v25
	s_delay_alu instid0(VALU_DEP_2) | instskip(NEXT) | instid1(VALU_DEP_2)
	v_lshlrev_b64 v[19:20], 1, v[19:20]
	v_lshlrev_b64 v[21:22], 1, v[21:22]
	s_delay_alu instid0(VALU_DEP_2) | instskip(NEXT) | instid1(VALU_DEP_3)
	v_add_co_u32 v19, vcc_lo, s16, v19
	v_add_co_ci_u32_e32 v20, vcc_lo, s17, v20, vcc_lo
	s_delay_alu instid0(VALU_DEP_3) | instskip(NEXT) | instid1(VALU_DEP_4)
	v_add_co_u32 v21, vcc_lo, s16, v21
	v_add_co_ci_u32_e32 v22, vcc_lo, s17, v22, vcc_lo
	s_clause 0x1
	global_load_u16 v23, v[19:20], off
	global_load_u16 v24, v[21:22], off
	s_waitcnt vmcnt(1)
	v_lshlrev_b32_e32 v23, 16, v23
	s_waitcnt vmcnt(0)
	v_lshlrev_b32_e32 v24, 16, v24
	s_delay_alu instid0(VALU_DEP_1)
	v_cmpx_eq_f32_e32 v24, v23
	s_cbranch_execz .LBB1203_145
; %bb.139:
	v_add_co_u32 v19, vcc_lo, v19, 2
	v_add_co_ci_u32_e32 v20, vcc_lo, 0, v20, vcc_lo
	v_add_co_u32 v21, vcc_lo, v21, 2
	v_add_co_ci_u32_e32 v22, vcc_lo, 0, v22, vcc_lo
	s_add_u32 s4, s14, -1
	s_addc_u32 s5, s15, -1
	s_mov_b64 s[6:7], 0
	s_mov_b32 s30, 0
                                        ; implicit-def: $sgpr31
	s_set_inst_prefetch_distance 0x1
	s_branch .LBB1203_142
	.p2align	6
.LBB1203_140:                           ;   in Loop: Header=BB1203_142 Depth=1
	global_load_u16 v23, v[19:20], off
	global_load_u16 v24, v[21:22], off
	v_add_co_u32 v19, vcc_lo, v19, 2
	v_add_co_ci_u32_e32 v20, vcc_lo, 0, v20, vcc_lo
	v_add_co_u32 v21, s0, v21, 2
	s_delay_alu instid0(VALU_DEP_1)
	v_add_co_ci_u32_e64 v22, s0, 0, v22, s0
	s_add_u32 s6, s6, 1
	s_addc_u32 s7, s7, 0
	s_and_not1_b32 s0, s31, exec_lo
	s_waitcnt vmcnt(1)
	v_lshlrev_b32_e32 v23, 16, v23
	s_waitcnt vmcnt(0)
	v_lshlrev_b32_e32 v24, 16, v24
	s_delay_alu instid0(VALU_DEP_1) | instskip(SKIP_1) | instid1(SALU_CYCLE_1)
	v_cmp_neq_f32_e32 vcc_lo, v24, v23
	s_and_b32 s31, vcc_lo, exec_lo
	s_or_b32 s31, s0, s31
.LBB1203_141:                           ;   in Loop: Header=BB1203_142 Depth=1
	v_dual_mov_b32 v24, s7 :: v_dual_mov_b32 v23, s6
	s_and_b32 s0, exec_lo, s31
	s_delay_alu instid0(SALU_CYCLE_1) | instskip(NEXT) | instid1(SALU_CYCLE_1)
	s_or_b32 s30, s0, s30
	s_and_not1_b32 exec_lo, exec_lo, s30
	s_cbranch_execz .LBB1203_144
.LBB1203_142:                           ; =>This Inner Loop Header: Depth=1
	s_or_b32 s31, s31, exec_lo
	s_cmp_eq_u64 s[4:5], s[6:7]
	s_cbranch_scc0 .LBB1203_140
; %bb.143:                              ;   in Loop: Header=BB1203_142 Depth=1
	s_mov_b64 s[6:7], s[14:15]
                                        ; implicit-def: $vgpr19_vgpr20
                                        ; implicit-def: $vgpr21_vgpr22
	s_branch .LBB1203_141
.LBB1203_144:
	s_set_inst_prefetch_distance 0x2
	s_or_b32 exec_lo, exec_lo, s30
	v_cmp_gt_i64_e32 vcc_lo, s[14:15], v[23:24]
	s_or_not1_b32 s0, vcc_lo, exec_lo
.LBB1203_145:
	s_or_b32 exec_lo, exec_lo, s28
.LBB1203_146:
	s_delay_alu instid0(SALU_CYCLE_1)
	s_and_b32 s28, s0, exec_lo
.LBB1203_147:
	s_or_b32 exec_lo, exec_lo, s29
	v_or_b32_e32 v19, 3, v39
	s_mov_b32 s30, 0
	s_mov_b32 s29, 0
	s_mov_b32 s31, exec_lo
	s_delay_alu instid0(VALU_DEP_1)
	v_cmpx_gt_u32_e64 s12, v19
	s_cbranch_execz .LBB1203_158
; %bb.148:
	v_cmp_ne_u32_e32 vcc_lo, 1, v27
	s_mov_b32 s0, 0
	s_cbranch_vccnz .LBB1203_157
; %bb.149:
	v_mul_lo_u32 v23, v12, s14
	v_mul_lo_u32 v24, v11, s15
	v_mad_u64_u32 v[19:20], null, v11, s14, 0
	v_mul_lo_u32 v25, v10, s14
	v_mul_lo_u32 v26, v9, s15
	s_waitcnt lgkmcnt(0)
	v_mad_u64_u32 v[21:22], null, v9, s14, 0
	s_mov_b32 s0, -1
	s_mov_b32 s29, exec_lo
	s_delay_alu instid0(VALU_DEP_4) | instskip(NEXT) | instid1(VALU_DEP_2)
	v_add3_u32 v20, v20, v24, v23
	v_add3_u32 v22, v22, v26, v25
	s_delay_alu instid0(VALU_DEP_2) | instskip(NEXT) | instid1(VALU_DEP_2)
	v_lshlrev_b64 v[19:20], 1, v[19:20]
	v_lshlrev_b64 v[21:22], 1, v[21:22]
	s_delay_alu instid0(VALU_DEP_2) | instskip(NEXT) | instid1(VALU_DEP_3)
	v_add_co_u32 v19, vcc_lo, s16, v19
	v_add_co_ci_u32_e32 v20, vcc_lo, s17, v20, vcc_lo
	s_delay_alu instid0(VALU_DEP_3) | instskip(NEXT) | instid1(VALU_DEP_4)
	v_add_co_u32 v21, vcc_lo, s16, v21
	v_add_co_ci_u32_e32 v22, vcc_lo, s17, v22, vcc_lo
	s_clause 0x1
	global_load_u16 v23, v[19:20], off
	global_load_u16 v24, v[21:22], off
	s_waitcnt vmcnt(1)
	v_lshlrev_b32_e32 v23, 16, v23
	s_waitcnt vmcnt(0)
	v_lshlrev_b32_e32 v24, 16, v24
	s_delay_alu instid0(VALU_DEP_1)
	v_cmpx_eq_f32_e32 v24, v23
	s_cbranch_execz .LBB1203_156
; %bb.150:
	v_add_co_u32 v19, vcc_lo, v19, 2
	v_add_co_ci_u32_e32 v20, vcc_lo, 0, v20, vcc_lo
	v_add_co_u32 v21, vcc_lo, v21, 2
	v_add_co_ci_u32_e32 v22, vcc_lo, 0, v22, vcc_lo
	s_add_u32 s4, s14, -1
	s_addc_u32 s5, s15, -1
	s_mov_b64 s[6:7], 0
	s_mov_b32 s33, 0
                                        ; implicit-def: $sgpr34
	s_set_inst_prefetch_distance 0x1
	s_branch .LBB1203_153
	.p2align	6
.LBB1203_151:                           ;   in Loop: Header=BB1203_153 Depth=1
	global_load_u16 v23, v[19:20], off
	global_load_u16 v24, v[21:22], off
	v_add_co_u32 v19, vcc_lo, v19, 2
	v_add_co_ci_u32_e32 v20, vcc_lo, 0, v20, vcc_lo
	v_add_co_u32 v21, s0, v21, 2
	s_delay_alu instid0(VALU_DEP_1)
	v_add_co_ci_u32_e64 v22, s0, 0, v22, s0
	s_add_u32 s6, s6, 1
	s_addc_u32 s7, s7, 0
	s_and_not1_b32 s0, s34, exec_lo
	s_waitcnt vmcnt(1)
	v_lshlrev_b32_e32 v23, 16, v23
	s_waitcnt vmcnt(0)
	v_lshlrev_b32_e32 v24, 16, v24
	s_delay_alu instid0(VALU_DEP_1) | instskip(SKIP_1) | instid1(SALU_CYCLE_1)
	v_cmp_neq_f32_e32 vcc_lo, v24, v23
	s_and_b32 s34, vcc_lo, exec_lo
	s_or_b32 s34, s0, s34
.LBB1203_152:                           ;   in Loop: Header=BB1203_153 Depth=1
	v_dual_mov_b32 v24, s7 :: v_dual_mov_b32 v23, s6
	s_and_b32 s0, exec_lo, s34
	s_delay_alu instid0(SALU_CYCLE_1) | instskip(NEXT) | instid1(SALU_CYCLE_1)
	s_or_b32 s33, s0, s33
	s_and_not1_b32 exec_lo, exec_lo, s33
	s_cbranch_execz .LBB1203_155
.LBB1203_153:                           ; =>This Inner Loop Header: Depth=1
	s_or_b32 s34, s34, exec_lo
	s_cmp_eq_u64 s[4:5], s[6:7]
	s_cbranch_scc0 .LBB1203_151
; %bb.154:                              ;   in Loop: Header=BB1203_153 Depth=1
	s_mov_b64 s[6:7], s[14:15]
                                        ; implicit-def: $vgpr19_vgpr20
                                        ; implicit-def: $vgpr21_vgpr22
	s_branch .LBB1203_152
.LBB1203_155:
	s_set_inst_prefetch_distance 0x2
	s_or_b32 exec_lo, exec_lo, s33
	v_cmp_gt_i64_e32 vcc_lo, s[14:15], v[23:24]
	s_or_not1_b32 s0, vcc_lo, exec_lo
.LBB1203_156:
	s_or_b32 exec_lo, exec_lo, s29
.LBB1203_157:
	s_delay_alu instid0(SALU_CYCLE_1)
	s_and_b32 s29, s0, exec_lo
.LBB1203_158:
	s_or_b32 exec_lo, exec_lo, s31
	v_or_b32_e32 v19, 2, v39
	s_mov_b32 s31, exec_lo
	s_delay_alu instid0(VALU_DEP_1)
	v_cmpx_gt_u32_e64 s12, v19
	s_cbranch_execz .LBB1203_169
; %bb.159:
	v_cmp_ne_u32_e32 vcc_lo, 1, v27
	s_mov_b32 s0, 0
	s_cbranch_vccnz .LBB1203_168
; %bb.160:
	v_mul_lo_u32 v23, v10, s14
	v_mul_lo_u32 v24, v9, s15
	v_mad_u64_u32 v[19:20], null, v9, s14, 0
	v_mul_lo_u32 v25, v16, s14
	v_mul_lo_u32 v26, v15, s15
	s_waitcnt lgkmcnt(0)
	v_mad_u64_u32 v[21:22], null, v15, s14, 0
	s_mov_b32 s0, -1
	s_mov_b32 s30, exec_lo
	s_delay_alu instid0(VALU_DEP_4) | instskip(NEXT) | instid1(VALU_DEP_2)
	v_add3_u32 v20, v20, v24, v23
	v_add3_u32 v22, v22, v26, v25
	s_delay_alu instid0(VALU_DEP_2) | instskip(NEXT) | instid1(VALU_DEP_2)
	v_lshlrev_b64 v[19:20], 1, v[19:20]
	v_lshlrev_b64 v[21:22], 1, v[21:22]
	s_delay_alu instid0(VALU_DEP_2) | instskip(NEXT) | instid1(VALU_DEP_3)
	v_add_co_u32 v19, vcc_lo, s16, v19
	v_add_co_ci_u32_e32 v20, vcc_lo, s17, v20, vcc_lo
	s_delay_alu instid0(VALU_DEP_3) | instskip(NEXT) | instid1(VALU_DEP_4)
	v_add_co_u32 v21, vcc_lo, s16, v21
	v_add_co_ci_u32_e32 v22, vcc_lo, s17, v22, vcc_lo
	s_clause 0x1
	global_load_u16 v23, v[19:20], off
	global_load_u16 v24, v[21:22], off
	s_waitcnt vmcnt(1)
	v_lshlrev_b32_e32 v23, 16, v23
	s_waitcnt vmcnt(0)
	v_lshlrev_b32_e32 v24, 16, v24
	s_delay_alu instid0(VALU_DEP_1)
	v_cmpx_eq_f32_e32 v24, v23
	s_cbranch_execz .LBB1203_167
; %bb.161:
	v_add_co_u32 v19, vcc_lo, v19, 2
	v_add_co_ci_u32_e32 v20, vcc_lo, 0, v20, vcc_lo
	v_add_co_u32 v21, vcc_lo, v21, 2
	v_add_co_ci_u32_e32 v22, vcc_lo, 0, v22, vcc_lo
	s_add_u32 s4, s14, -1
	s_addc_u32 s5, s15, -1
	s_mov_b64 s[6:7], 0
	s_mov_b32 s33, 0
                                        ; implicit-def: $sgpr34
	s_set_inst_prefetch_distance 0x1
	s_branch .LBB1203_164
	.p2align	6
.LBB1203_162:                           ;   in Loop: Header=BB1203_164 Depth=1
	global_load_u16 v23, v[19:20], off
	global_load_u16 v24, v[21:22], off
	v_add_co_u32 v19, vcc_lo, v19, 2
	v_add_co_ci_u32_e32 v20, vcc_lo, 0, v20, vcc_lo
	v_add_co_u32 v21, s0, v21, 2
	s_delay_alu instid0(VALU_DEP_1)
	v_add_co_ci_u32_e64 v22, s0, 0, v22, s0
	s_add_u32 s6, s6, 1
	s_addc_u32 s7, s7, 0
	s_and_not1_b32 s0, s34, exec_lo
	s_waitcnt vmcnt(1)
	v_lshlrev_b32_e32 v23, 16, v23
	s_waitcnt vmcnt(0)
	v_lshlrev_b32_e32 v24, 16, v24
	s_delay_alu instid0(VALU_DEP_1) | instskip(SKIP_1) | instid1(SALU_CYCLE_1)
	v_cmp_neq_f32_e32 vcc_lo, v24, v23
	s_and_b32 s34, vcc_lo, exec_lo
	s_or_b32 s34, s0, s34
.LBB1203_163:                           ;   in Loop: Header=BB1203_164 Depth=1
	v_dual_mov_b32 v24, s7 :: v_dual_mov_b32 v23, s6
	s_and_b32 s0, exec_lo, s34
	s_delay_alu instid0(SALU_CYCLE_1) | instskip(NEXT) | instid1(SALU_CYCLE_1)
	s_or_b32 s33, s0, s33
	s_and_not1_b32 exec_lo, exec_lo, s33
	s_cbranch_execz .LBB1203_166
.LBB1203_164:                           ; =>This Inner Loop Header: Depth=1
	s_or_b32 s34, s34, exec_lo
	s_cmp_eq_u64 s[4:5], s[6:7]
	s_cbranch_scc0 .LBB1203_162
; %bb.165:                              ;   in Loop: Header=BB1203_164 Depth=1
	s_mov_b64 s[6:7], s[14:15]
                                        ; implicit-def: $vgpr19_vgpr20
                                        ; implicit-def: $vgpr21_vgpr22
	s_branch .LBB1203_163
.LBB1203_166:
	s_set_inst_prefetch_distance 0x2
	s_or_b32 exec_lo, exec_lo, s33
	v_cmp_gt_i64_e32 vcc_lo, s[14:15], v[23:24]
	s_or_not1_b32 s0, vcc_lo, exec_lo
.LBB1203_167:
	s_or_b32 exec_lo, exec_lo, s30
.LBB1203_168:
	s_delay_alu instid0(SALU_CYCLE_1)
	s_and_b32 s30, s0, exec_lo
.LBB1203_169:
	s_or_b32 exec_lo, exec_lo, s31
	v_or_b32_e32 v19, 1, v39
	s_mov_b32 s0, 0
	s_mov_b32 s31, exec_lo
	s_delay_alu instid0(VALU_DEP_1)
	v_cmpx_gt_u32_e64 s12, v19
	s_cbranch_execz .LBB1203_180
; %bb.170:
	v_cmp_ne_u32_e32 vcc_lo, 1, v27
	s_cbranch_vccnz .LBB1203_179
; %bb.171:
	v_mul_lo_u32 v23, v16, s14
	v_mul_lo_u32 v24, v15, s15
	v_mad_u64_u32 v[19:20], null, v15, s14, 0
	v_mul_lo_u32 v25, v14, s14
	v_mul_lo_u32 v26, v13, s15
	s_waitcnt lgkmcnt(0)
	v_mad_u64_u32 v[21:22], null, v13, s14, 0
	s_mov_b32 s0, -1
	s_mov_b32 s33, exec_lo
	s_delay_alu instid0(VALU_DEP_4) | instskip(NEXT) | instid1(VALU_DEP_2)
	v_add3_u32 v20, v20, v24, v23
	v_add3_u32 v22, v22, v26, v25
	s_delay_alu instid0(VALU_DEP_2) | instskip(NEXT) | instid1(VALU_DEP_2)
	v_lshlrev_b64 v[19:20], 1, v[19:20]
	v_lshlrev_b64 v[21:22], 1, v[21:22]
	s_delay_alu instid0(VALU_DEP_2) | instskip(NEXT) | instid1(VALU_DEP_3)
	v_add_co_u32 v19, vcc_lo, s16, v19
	v_add_co_ci_u32_e32 v20, vcc_lo, s17, v20, vcc_lo
	s_delay_alu instid0(VALU_DEP_3) | instskip(NEXT) | instid1(VALU_DEP_4)
	v_add_co_u32 v21, vcc_lo, s16, v21
	v_add_co_ci_u32_e32 v22, vcc_lo, s17, v22, vcc_lo
	s_clause 0x1
	global_load_u16 v23, v[19:20], off
	global_load_u16 v24, v[21:22], off
	s_waitcnt vmcnt(1)
	v_lshlrev_b32_e32 v23, 16, v23
	s_waitcnt vmcnt(0)
	v_lshlrev_b32_e32 v24, 16, v24
	s_delay_alu instid0(VALU_DEP_1)
	v_cmpx_eq_f32_e32 v24, v23
	s_cbranch_execz .LBB1203_178
; %bb.172:
	v_add_co_u32 v19, vcc_lo, v19, 2
	v_add_co_ci_u32_e32 v20, vcc_lo, 0, v20, vcc_lo
	v_add_co_u32 v21, vcc_lo, v21, 2
	v_add_co_ci_u32_e32 v22, vcc_lo, 0, v22, vcc_lo
	s_add_u32 s4, s14, -1
	s_addc_u32 s5, s15, -1
	s_mov_b64 s[6:7], 0
	s_mov_b32 s34, 0
                                        ; implicit-def: $sgpr35
	s_set_inst_prefetch_distance 0x1
	s_branch .LBB1203_175
	.p2align	6
.LBB1203_173:                           ;   in Loop: Header=BB1203_175 Depth=1
	global_load_u16 v23, v[19:20], off
	global_load_u16 v24, v[21:22], off
	v_add_co_u32 v19, vcc_lo, v19, 2
	v_add_co_ci_u32_e32 v20, vcc_lo, 0, v20, vcc_lo
	v_add_co_u32 v21, s0, v21, 2
	s_delay_alu instid0(VALU_DEP_1)
	v_add_co_ci_u32_e64 v22, s0, 0, v22, s0
	s_add_u32 s6, s6, 1
	s_addc_u32 s7, s7, 0
	s_and_not1_b32 s0, s35, exec_lo
	s_waitcnt vmcnt(1)
	v_lshlrev_b32_e32 v23, 16, v23
	s_waitcnt vmcnt(0)
	v_lshlrev_b32_e32 v24, 16, v24
	s_delay_alu instid0(VALU_DEP_1) | instskip(SKIP_1) | instid1(SALU_CYCLE_1)
	v_cmp_neq_f32_e32 vcc_lo, v24, v23
	s_and_b32 s35, vcc_lo, exec_lo
	s_or_b32 s35, s0, s35
.LBB1203_174:                           ;   in Loop: Header=BB1203_175 Depth=1
	v_dual_mov_b32 v24, s7 :: v_dual_mov_b32 v23, s6
	s_and_b32 s0, exec_lo, s35
	s_delay_alu instid0(SALU_CYCLE_1) | instskip(NEXT) | instid1(SALU_CYCLE_1)
	s_or_b32 s34, s0, s34
	s_and_not1_b32 exec_lo, exec_lo, s34
	s_cbranch_execz .LBB1203_177
.LBB1203_175:                           ; =>This Inner Loop Header: Depth=1
	s_or_b32 s35, s35, exec_lo
	s_cmp_eq_u64 s[4:5], s[6:7]
	s_cbranch_scc0 .LBB1203_173
; %bb.176:                              ;   in Loop: Header=BB1203_175 Depth=1
	s_mov_b64 s[6:7], s[14:15]
                                        ; implicit-def: $vgpr19_vgpr20
                                        ; implicit-def: $vgpr21_vgpr22
	s_branch .LBB1203_174
.LBB1203_177:
	s_set_inst_prefetch_distance 0x2
	s_or_b32 exec_lo, exec_lo, s34
	v_cmp_gt_i64_e32 vcc_lo, s[14:15], v[23:24]
	s_or_not1_b32 s0, vcc_lo, exec_lo
.LBB1203_178:
	s_or_b32 exec_lo, exec_lo, s33
.LBB1203_179:
	s_delay_alu instid0(SALU_CYCLE_1)
	s_and_b32 s0, s0, exec_lo
.LBB1203_180:
	s_or_b32 exec_lo, exec_lo, s31
	s_waitcnt vmcnt(0) lgkmcnt(0)
	s_barrier
	buffer_gl0_inv
	s_and_saveexec_b32 s4, s3
	s_cbranch_execz .LBB1203_182
; %bb.181:
	v_add_nc_u32_e32 v17, -8, v39
	ds_load_b64 v[17:18], v17
.LBB1203_182:
	s_or_b32 exec_lo, exec_lo, s4
	v_cndmask_b32_e64 v20, 0, 1, s29
	v_cndmask_b32_e64 v22, 0, 1, s26
	;; [unrolled: 1-line block ×7, first 2 shown]
	v_lshlrev_b16 v20, 8, v20
	v_lshlrev_b16 v22, 8, v22
	v_lshlrev_b16 v23, 8, v23
	s_mov_b32 s0, 0
	v_lshlrev_b16 v25, 8, v25
	v_or_b32_e32 v19, v19, v20
	v_or_b32_e32 v20, v21, v22
	;; [unrolled: 1-line block ×3, first 2 shown]
	s_mov_b32 s25, exec_lo
	v_and_b32_e32 v23, 0xffff, v25
	v_lshlrev_b32_e32 v24, 16, v19
	v_and_b32_e32 v25, 0xffff, v20
	v_lshlrev_b32_e32 v26, 16, v21
	v_cmpx_gt_u32_e64 s12, v39
	s_cbranch_execz .LBB1203_193
; %bb.183:
	v_cmp_ne_u32_e32 vcc_lo, 1, v27
	s_cbranch_vccnz .LBB1203_192
; %bb.184:
	v_mul_lo_u32 v27, v14, s14
	v_mul_lo_u32 v28, v13, s15
	v_mad_u64_u32 v[19:20], null, v13, s14, 0
	s_waitcnt lgkmcnt(0)
	v_mul_lo_u32 v18, v18, s14
	v_mul_lo_u32 v29, v17, s15
	v_mad_u64_u32 v[21:22], null, v17, s14, 0
	s_mov_b32 s0, -1
	s_mov_b32 s26, exec_lo
	s_delay_alu instid0(VALU_DEP_4) | instskip(NEXT) | instid1(VALU_DEP_2)
	v_add3_u32 v20, v20, v28, v27
	v_add3_u32 v22, v22, v29, v18
	s_delay_alu instid0(VALU_DEP_2) | instskip(NEXT) | instid1(VALU_DEP_2)
	v_lshlrev_b64 v[17:18], 1, v[19:20]
	v_lshlrev_b64 v[19:20], 1, v[21:22]
	s_delay_alu instid0(VALU_DEP_2) | instskip(NEXT) | instid1(VALU_DEP_3)
	v_add_co_u32 v17, vcc_lo, s16, v17
	v_add_co_ci_u32_e32 v18, vcc_lo, s17, v18, vcc_lo
	s_delay_alu instid0(VALU_DEP_3) | instskip(NEXT) | instid1(VALU_DEP_4)
	v_add_co_u32 v19, vcc_lo, s16, v19
	v_add_co_ci_u32_e32 v20, vcc_lo, s17, v20, vcc_lo
	s_clause 0x1
	global_load_u16 v21, v[17:18], off
	global_load_u16 v22, v[19:20], off
	s_waitcnt vmcnt(1)
	v_lshlrev_b32_e32 v21, 16, v21
	s_waitcnt vmcnt(0)
	v_lshlrev_b32_e32 v22, 16, v22
	s_delay_alu instid0(VALU_DEP_1)
	v_cmpx_eq_f32_e32 v22, v21
	s_cbranch_execz .LBB1203_191
; %bb.185:
	v_add_co_u32 v17, vcc_lo, v17, 2
	v_add_co_ci_u32_e32 v18, vcc_lo, 0, v18, vcc_lo
	v_add_co_u32 v19, vcc_lo, v19, 2
	v_add_co_ci_u32_e32 v20, vcc_lo, 0, v20, vcc_lo
	s_add_u32 s4, s14, -1
	s_addc_u32 s5, s15, -1
	s_mov_b64 s[6:7], 0
	s_mov_b32 s27, 0
                                        ; implicit-def: $sgpr28
	s_set_inst_prefetch_distance 0x1
	s_branch .LBB1203_188
	.p2align	6
.LBB1203_186:                           ;   in Loop: Header=BB1203_188 Depth=1
	global_load_u16 v21, v[17:18], off
	global_load_u16 v22, v[19:20], off
	v_add_co_u32 v17, vcc_lo, v17, 2
	v_add_co_ci_u32_e32 v18, vcc_lo, 0, v18, vcc_lo
	v_add_co_u32 v19, s0, v19, 2
	s_delay_alu instid0(VALU_DEP_1)
	v_add_co_ci_u32_e64 v20, s0, 0, v20, s0
	s_add_u32 s6, s6, 1
	s_addc_u32 s7, s7, 0
	s_and_not1_b32 s0, s28, exec_lo
	s_waitcnt vmcnt(1)
	v_lshlrev_b32_e32 v21, 16, v21
	s_waitcnt vmcnt(0)
	v_lshlrev_b32_e32 v22, 16, v22
	s_delay_alu instid0(VALU_DEP_1) | instskip(SKIP_1) | instid1(SALU_CYCLE_1)
	v_cmp_neq_f32_e32 vcc_lo, v22, v21
	s_and_b32 s28, vcc_lo, exec_lo
	s_or_b32 s28, s0, s28
.LBB1203_187:                           ;   in Loop: Header=BB1203_188 Depth=1
	v_dual_mov_b32 v22, s7 :: v_dual_mov_b32 v21, s6
	s_and_b32 s0, exec_lo, s28
	s_delay_alu instid0(SALU_CYCLE_1) | instskip(NEXT) | instid1(SALU_CYCLE_1)
	s_or_b32 s27, s0, s27
	s_and_not1_b32 exec_lo, exec_lo, s27
	s_cbranch_execz .LBB1203_190
.LBB1203_188:                           ; =>This Inner Loop Header: Depth=1
	s_or_b32 s28, s28, exec_lo
	s_cmp_eq_u64 s[4:5], s[6:7]
	s_cbranch_scc0 .LBB1203_186
; %bb.189:                              ;   in Loop: Header=BB1203_188 Depth=1
	s_mov_b64 s[6:7], s[14:15]
                                        ; implicit-def: $vgpr17_vgpr18
                                        ; implicit-def: $vgpr19_vgpr20
	s_branch .LBB1203_187
.LBB1203_190:
	s_set_inst_prefetch_distance 0x2
	s_or_b32 exec_lo, exec_lo, s27
	v_cmp_gt_i64_e32 vcc_lo, s[14:15], v[21:22]
	s_or_not1_b32 s0, vcc_lo, exec_lo
.LBB1203_191:
	s_or_b32 exec_lo, exec_lo, s26
.LBB1203_192:
	s_delay_alu instid0(SALU_CYCLE_1)
	s_and_b32 s0, s0, exec_lo
.LBB1203_193:
	s_or_b32 exec_lo, exec_lo, s25
	v_or_b32_e32 v19, v23, v24
	v_or_b32_e32 v20, v25, v26
.LBB1203_194:
	s_mov_b32 s25, -1
	s_cbranch_execnz .LBB1203_363
.LBB1203_195:
	v_cmp_gt_i64_e64 s26, s[14:15], 0
	s_and_b32 vcc_lo, exec_lo, s22
	ds_store_b64 v39, v[3:4]
	s_cbranch_vccz .LBB1203_203
; %bb.196:
	v_mul_lo_u32 v19, v2, s14
	v_mul_lo_u32 v20, v1, s15
	s_waitcnt vmcnt(0) lgkmcnt(1)
	v_mad_u64_u32 v[17:18], null, v1, s14, 0
	s_mov_b32 s27, 0
	s_and_not1_b32 vcc_lo, exec_lo, s26
	s_mov_b32 s28, 0
	s_delay_alu instid0(VALU_DEP_1) | instskip(NEXT) | instid1(VALU_DEP_1)
	v_add3_u32 v18, v18, v20, v19
	v_lshlrev_b64 v[17:18], 1, v[17:18]
	s_cbranch_vccnz .LBB1203_206
; %bb.197:
	v_mul_lo_u32 v21, v4, s14
	v_mul_lo_u32 v22, v3, s15
	v_mad_u64_u32 v[19:20], null, v3, s14, 0
	s_mov_b32 s28, -1
	s_mov_b32 s29, exec_lo
	s_delay_alu instid0(VALU_DEP_1) | instskip(NEXT) | instid1(VALU_DEP_1)
	v_add3_u32 v20, v20, v22, v21
	v_lshlrev_b64 v[19:20], 1, v[19:20]
	s_delay_alu instid0(VALU_DEP_1) | instskip(NEXT) | instid1(VALU_DEP_2)
	v_add_co_u32 v19, vcc_lo, s16, v19
	v_add_co_ci_u32_e32 v20, vcc_lo, s17, v20, vcc_lo
	v_add_co_u32 v21, vcc_lo, s16, v17
	v_add_co_ci_u32_e32 v22, vcc_lo, s17, v18, vcc_lo
	s_clause 0x1
	global_load_u16 v23, v[19:20], off
	global_load_u16 v24, v[21:22], off
	s_waitcnt vmcnt(1)
	v_lshlrev_b32_e32 v23, 16, v23
	s_waitcnt vmcnt(0)
	v_lshlrev_b32_e32 v24, 16, v24
	s_delay_alu instid0(VALU_DEP_1)
	v_cmpx_eq_f32_e32 v24, v23
	s_cbranch_execz .LBB1203_205
; %bb.198:
	v_add_co_u32 v19, vcc_lo, v19, 2
	v_add_co_ci_u32_e32 v20, vcc_lo, 0, v20, vcc_lo
	v_add_co_u32 v21, vcc_lo, v21, 2
	v_add_co_ci_u32_e32 v22, vcc_lo, 0, v22, vcc_lo
	s_add_u32 s4, s14, -1
	s_addc_u32 s5, s15, -1
	s_mov_b64 s[6:7], 0
	s_mov_b32 s28, 0
                                        ; implicit-def: $sgpr30
	s_set_inst_prefetch_distance 0x1
	s_branch .LBB1203_201
	.p2align	6
.LBB1203_199:                           ;   in Loop: Header=BB1203_201 Depth=1
	global_load_u16 v23, v[19:20], off
	global_load_u16 v24, v[21:22], off
	v_add_co_u32 v19, vcc_lo, v19, 2
	v_add_co_ci_u32_e32 v20, vcc_lo, 0, v20, vcc_lo
	v_add_co_u32 v21, s0, v21, 2
	s_delay_alu instid0(VALU_DEP_1)
	v_add_co_ci_u32_e64 v22, s0, 0, v22, s0
	s_add_u32 s6, s6, 1
	s_addc_u32 s7, s7, 0
	s_and_not1_b32 s0, s30, exec_lo
	s_waitcnt vmcnt(1)
	v_lshlrev_b32_e32 v23, 16, v23
	s_waitcnt vmcnt(0)
	v_lshlrev_b32_e32 v24, 16, v24
	s_delay_alu instid0(VALU_DEP_1) | instskip(SKIP_1) | instid1(SALU_CYCLE_1)
	v_cmp_neq_f32_e32 vcc_lo, v24, v23
	s_and_b32 s30, vcc_lo, exec_lo
	s_or_b32 s30, s0, s30
.LBB1203_200:                           ;   in Loop: Header=BB1203_201 Depth=1
	v_dual_mov_b32 v24, s7 :: v_dual_mov_b32 v23, s6
	s_and_b32 s0, exec_lo, s30
	s_delay_alu instid0(SALU_CYCLE_1) | instskip(NEXT) | instid1(SALU_CYCLE_1)
	s_or_b32 s28, s0, s28
	s_and_not1_b32 exec_lo, exec_lo, s28
	s_cbranch_execz .LBB1203_204
.LBB1203_201:                           ; =>This Inner Loop Header: Depth=1
	s_or_b32 s30, s30, exec_lo
	s_cmp_eq_u64 s[4:5], s[6:7]
	s_cbranch_scc0 .LBB1203_199
; %bb.202:                              ;   in Loop: Header=BB1203_201 Depth=1
	s_mov_b64 s[6:7], s[14:15]
                                        ; implicit-def: $vgpr19_vgpr20
                                        ; implicit-def: $vgpr21_vgpr22
	s_branch .LBB1203_200
.LBB1203_203:
                                        ; implicit-def: $sgpr0
                                        ; implicit-def: $vgpr20
	s_cbranch_execnz .LBB1203_272
	s_branch .LBB1203_363
.LBB1203_204:
	s_set_inst_prefetch_distance 0x2
	s_or_b32 exec_lo, exec_lo, s28
	v_cmp_gt_i64_e32 vcc_lo, s[14:15], v[23:24]
	s_or_not1_b32 s28, vcc_lo, exec_lo
.LBB1203_205:
	s_or_b32 exec_lo, exec_lo, s29
.LBB1203_206:
	v_mul_lo_u32 v21, v8, s14
	v_mul_lo_u32 v22, v7, s15
	v_mad_u64_u32 v[19:20], null, v7, s14, 0
	s_and_not1_b32 vcc_lo, exec_lo, s26
	s_delay_alu instid0(VALU_DEP_1) | instskip(NEXT) | instid1(VALU_DEP_1)
	v_add3_u32 v20, v20, v22, v21
	v_lshlrev_b64 v[19:20], 1, v[19:20]
	s_cbranch_vccnz .LBB1203_215
; %bb.207:
	v_add_co_u32 v17, vcc_lo, s16, v17
	v_add_co_ci_u32_e32 v18, vcc_lo, s17, v18, vcc_lo
	s_delay_alu instid0(VALU_DEP_3) | instskip(NEXT) | instid1(VALU_DEP_4)
	v_add_co_u32 v21, vcc_lo, s16, v19
	v_add_co_ci_u32_e32 v22, vcc_lo, s17, v20, vcc_lo
	s_mov_b32 s27, -1
	s_clause 0x1
	global_load_u16 v23, v[17:18], off
	global_load_u16 v24, v[21:22], off
	s_mov_b32 s29, exec_lo
	s_waitcnt vmcnt(1)
	v_lshlrev_b32_e32 v23, 16, v23
	s_waitcnt vmcnt(0)
	v_lshlrev_b32_e32 v24, 16, v24
	s_delay_alu instid0(VALU_DEP_1)
	v_cmpx_eq_f32_e32 v24, v23
	s_cbranch_execz .LBB1203_214
; %bb.208:
	v_add_co_u32 v17, vcc_lo, v17, 2
	v_add_co_ci_u32_e32 v18, vcc_lo, 0, v18, vcc_lo
	v_add_co_u32 v21, vcc_lo, v21, 2
	v_add_co_ci_u32_e32 v22, vcc_lo, 0, v22, vcc_lo
	s_add_u32 s4, s14, -1
	s_addc_u32 s5, s15, -1
	s_mov_b64 s[6:7], 0
	s_mov_b32 s27, 0
                                        ; implicit-def: $sgpr30
	s_set_inst_prefetch_distance 0x1
	s_branch .LBB1203_211
	.p2align	6
.LBB1203_209:                           ;   in Loop: Header=BB1203_211 Depth=1
	global_load_u16 v23, v[17:18], off
	global_load_u16 v24, v[21:22], off
	v_add_co_u32 v17, vcc_lo, v17, 2
	v_add_co_ci_u32_e32 v18, vcc_lo, 0, v18, vcc_lo
	v_add_co_u32 v21, s0, v21, 2
	s_delay_alu instid0(VALU_DEP_1)
	v_add_co_ci_u32_e64 v22, s0, 0, v22, s0
	s_add_u32 s6, s6, 1
	s_addc_u32 s7, s7, 0
	s_and_not1_b32 s0, s30, exec_lo
	s_waitcnt vmcnt(1)
	v_lshlrev_b32_e32 v23, 16, v23
	s_waitcnt vmcnt(0)
	v_lshlrev_b32_e32 v24, 16, v24
	s_delay_alu instid0(VALU_DEP_1) | instskip(SKIP_1) | instid1(SALU_CYCLE_1)
	v_cmp_neq_f32_e32 vcc_lo, v24, v23
	s_and_b32 s30, vcc_lo, exec_lo
	s_or_b32 s30, s0, s30
.LBB1203_210:                           ;   in Loop: Header=BB1203_211 Depth=1
	v_dual_mov_b32 v24, s7 :: v_dual_mov_b32 v23, s6
	s_and_b32 s0, exec_lo, s30
	s_delay_alu instid0(SALU_CYCLE_1) | instskip(NEXT) | instid1(SALU_CYCLE_1)
	s_or_b32 s27, s0, s27
	s_and_not1_b32 exec_lo, exec_lo, s27
	s_cbranch_execz .LBB1203_213
.LBB1203_211:                           ; =>This Inner Loop Header: Depth=1
	s_or_b32 s30, s30, exec_lo
	s_cmp_eq_u64 s[4:5], s[6:7]
	s_cbranch_scc0 .LBB1203_209
; %bb.212:                              ;   in Loop: Header=BB1203_211 Depth=1
	s_mov_b64 s[6:7], s[14:15]
                                        ; implicit-def: $vgpr17_vgpr18
                                        ; implicit-def: $vgpr21_vgpr22
	s_branch .LBB1203_210
.LBB1203_213:
	s_set_inst_prefetch_distance 0x2
	s_or_b32 exec_lo, exec_lo, s27
	v_cmp_gt_i64_e32 vcc_lo, s[14:15], v[23:24]
	s_or_not1_b32 s27, vcc_lo, exec_lo
.LBB1203_214:
	s_or_b32 exec_lo, exec_lo, s29
.LBB1203_215:
	v_mul_lo_u32 v21, v6, s14
	v_mul_lo_u32 v22, v5, s15
	v_mad_u64_u32 v[17:18], null, v5, s14, 0
	s_mov_b32 s29, 0
	s_and_not1_b32 vcc_lo, exec_lo, s26
	s_mov_b32 s30, 0
	s_delay_alu instid0(VALU_DEP_1) | instskip(NEXT) | instid1(VALU_DEP_1)
	v_add3_u32 v18, v18, v22, v21
	v_lshlrev_b64 v[21:22], 1, v[17:18]
	s_cbranch_vccnz .LBB1203_224
; %bb.216:
	v_add_co_u32 v17, vcc_lo, s16, v19
	v_add_co_ci_u32_e32 v18, vcc_lo, s17, v20, vcc_lo
	s_delay_alu instid0(VALU_DEP_3) | instskip(NEXT) | instid1(VALU_DEP_4)
	v_add_co_u32 v19, vcc_lo, s16, v21
	v_add_co_ci_u32_e32 v20, vcc_lo, s17, v22, vcc_lo
	s_mov_b32 s30, -1
	s_clause 0x1
	global_load_u16 v23, v[17:18], off
	global_load_u16 v24, v[19:20], off
	s_mov_b32 s31, exec_lo
	s_waitcnt vmcnt(1)
	v_lshlrev_b32_e32 v23, 16, v23
	s_waitcnt vmcnt(0)
	v_lshlrev_b32_e32 v24, 16, v24
	s_delay_alu instid0(VALU_DEP_1)
	v_cmpx_eq_f32_e32 v24, v23
	s_cbranch_execz .LBB1203_223
; %bb.217:
	v_add_co_u32 v17, vcc_lo, v17, 2
	v_add_co_ci_u32_e32 v18, vcc_lo, 0, v18, vcc_lo
	v_add_co_u32 v19, vcc_lo, v19, 2
	v_add_co_ci_u32_e32 v20, vcc_lo, 0, v20, vcc_lo
	s_add_u32 s4, s14, -1
	s_addc_u32 s5, s15, -1
	s_mov_b64 s[6:7], 0
	s_mov_b32 s30, 0
                                        ; implicit-def: $sgpr33
	s_set_inst_prefetch_distance 0x1
	s_branch .LBB1203_220
	.p2align	6
.LBB1203_218:                           ;   in Loop: Header=BB1203_220 Depth=1
	global_load_u16 v23, v[17:18], off
	global_load_u16 v24, v[19:20], off
	v_add_co_u32 v17, vcc_lo, v17, 2
	v_add_co_ci_u32_e32 v18, vcc_lo, 0, v18, vcc_lo
	v_add_co_u32 v19, s0, v19, 2
	s_delay_alu instid0(VALU_DEP_1)
	v_add_co_ci_u32_e64 v20, s0, 0, v20, s0
	s_add_u32 s6, s6, 1
	s_addc_u32 s7, s7, 0
	s_and_not1_b32 s0, s33, exec_lo
	s_waitcnt vmcnt(1)
	v_lshlrev_b32_e32 v23, 16, v23
	s_waitcnt vmcnt(0)
	v_lshlrev_b32_e32 v24, 16, v24
	s_delay_alu instid0(VALU_DEP_1) | instskip(SKIP_1) | instid1(SALU_CYCLE_1)
	v_cmp_neq_f32_e32 vcc_lo, v24, v23
	s_and_b32 s33, vcc_lo, exec_lo
	s_or_b32 s33, s0, s33
.LBB1203_219:                           ;   in Loop: Header=BB1203_220 Depth=1
	v_dual_mov_b32 v24, s7 :: v_dual_mov_b32 v23, s6
	s_and_b32 s0, exec_lo, s33
	s_delay_alu instid0(SALU_CYCLE_1) | instskip(NEXT) | instid1(SALU_CYCLE_1)
	s_or_b32 s30, s0, s30
	s_and_not1_b32 exec_lo, exec_lo, s30
	s_cbranch_execz .LBB1203_222
.LBB1203_220:                           ; =>This Inner Loop Header: Depth=1
	s_or_b32 s33, s33, exec_lo
	s_cmp_eq_u64 s[4:5], s[6:7]
	s_cbranch_scc0 .LBB1203_218
; %bb.221:                              ;   in Loop: Header=BB1203_220 Depth=1
	s_mov_b64 s[6:7], s[14:15]
                                        ; implicit-def: $vgpr17_vgpr18
                                        ; implicit-def: $vgpr19_vgpr20
	s_branch .LBB1203_219
.LBB1203_222:
	s_set_inst_prefetch_distance 0x2
	s_or_b32 exec_lo, exec_lo, s30
	v_cmp_gt_i64_e32 vcc_lo, s[14:15], v[23:24]
	s_or_not1_b32 s30, vcc_lo, exec_lo
.LBB1203_223:
	s_or_b32 exec_lo, exec_lo, s31
.LBB1203_224:
	v_mul_lo_u32 v19, v12, s14
	v_mul_lo_u32 v20, v11, s15
	v_mad_u64_u32 v[17:18], null, v11, s14, 0
	s_and_not1_b32 vcc_lo, exec_lo, s26
	s_delay_alu instid0(VALU_DEP_1) | instskip(NEXT) | instid1(VALU_DEP_1)
	v_add3_u32 v18, v18, v20, v19
	v_lshlrev_b64 v[17:18], 1, v[17:18]
	s_cbranch_vccnz .LBB1203_233
; %bb.225:
	v_add_co_u32 v19, vcc_lo, s16, v21
	v_add_co_ci_u32_e32 v20, vcc_lo, s17, v22, vcc_lo
	s_delay_alu instid0(VALU_DEP_3) | instskip(NEXT) | instid1(VALU_DEP_4)
	v_add_co_u32 v21, vcc_lo, s16, v17
	v_add_co_ci_u32_e32 v22, vcc_lo, s17, v18, vcc_lo
	s_mov_b32 s29, -1
	s_clause 0x1
	global_load_u16 v23, v[19:20], off
	global_load_u16 v24, v[21:22], off
	s_mov_b32 s31, exec_lo
	s_waitcnt vmcnt(1)
	v_lshlrev_b32_e32 v23, 16, v23
	s_waitcnt vmcnt(0)
	v_lshlrev_b32_e32 v24, 16, v24
	s_delay_alu instid0(VALU_DEP_1)
	v_cmpx_eq_f32_e32 v24, v23
	s_cbranch_execz .LBB1203_232
; %bb.226:
	v_add_co_u32 v19, vcc_lo, v19, 2
	v_add_co_ci_u32_e32 v20, vcc_lo, 0, v20, vcc_lo
	v_add_co_u32 v21, vcc_lo, v21, 2
	v_add_co_ci_u32_e32 v22, vcc_lo, 0, v22, vcc_lo
	s_add_u32 s4, s14, -1
	s_addc_u32 s5, s15, -1
	s_mov_b64 s[6:7], 0
	s_mov_b32 s29, 0
                                        ; implicit-def: $sgpr33
	s_set_inst_prefetch_distance 0x1
	s_branch .LBB1203_229
	.p2align	6
.LBB1203_227:                           ;   in Loop: Header=BB1203_229 Depth=1
	global_load_u16 v23, v[19:20], off
	global_load_u16 v24, v[21:22], off
	v_add_co_u32 v19, vcc_lo, v19, 2
	v_add_co_ci_u32_e32 v20, vcc_lo, 0, v20, vcc_lo
	v_add_co_u32 v21, s0, v21, 2
	s_delay_alu instid0(VALU_DEP_1)
	v_add_co_ci_u32_e64 v22, s0, 0, v22, s0
	s_add_u32 s6, s6, 1
	s_addc_u32 s7, s7, 0
	s_and_not1_b32 s0, s33, exec_lo
	s_waitcnt vmcnt(1)
	v_lshlrev_b32_e32 v23, 16, v23
	s_waitcnt vmcnt(0)
	v_lshlrev_b32_e32 v24, 16, v24
	s_delay_alu instid0(VALU_DEP_1) | instskip(SKIP_1) | instid1(SALU_CYCLE_1)
	v_cmp_neq_f32_e32 vcc_lo, v24, v23
	s_and_b32 s33, vcc_lo, exec_lo
	s_or_b32 s33, s0, s33
.LBB1203_228:                           ;   in Loop: Header=BB1203_229 Depth=1
	v_dual_mov_b32 v24, s7 :: v_dual_mov_b32 v23, s6
	s_and_b32 s0, exec_lo, s33
	s_delay_alu instid0(SALU_CYCLE_1) | instskip(NEXT) | instid1(SALU_CYCLE_1)
	s_or_b32 s29, s0, s29
	s_and_not1_b32 exec_lo, exec_lo, s29
	s_cbranch_execz .LBB1203_231
.LBB1203_229:                           ; =>This Inner Loop Header: Depth=1
	s_or_b32 s33, s33, exec_lo
	s_cmp_eq_u64 s[4:5], s[6:7]
	s_cbranch_scc0 .LBB1203_227
; %bb.230:                              ;   in Loop: Header=BB1203_229 Depth=1
	s_mov_b64 s[6:7], s[14:15]
                                        ; implicit-def: $vgpr19_vgpr20
                                        ; implicit-def: $vgpr21_vgpr22
	s_branch .LBB1203_228
.LBB1203_231:
	s_set_inst_prefetch_distance 0x2
	s_or_b32 exec_lo, exec_lo, s29
	v_cmp_gt_i64_e32 vcc_lo, s[14:15], v[23:24]
	s_or_not1_b32 s29, vcc_lo, exec_lo
.LBB1203_232:
	s_or_b32 exec_lo, exec_lo, s31
.LBB1203_233:
	v_mul_lo_u32 v21, v10, s14
	v_mul_lo_u32 v22, v9, s15
	v_mad_u64_u32 v[19:20], null, v9, s14, 0
	s_mov_b32 s31, 0
	s_and_not1_b32 vcc_lo, exec_lo, s26
	s_mov_b32 s33, 0
	s_delay_alu instid0(VALU_DEP_1) | instskip(NEXT) | instid1(VALU_DEP_1)
	v_add3_u32 v20, v20, v22, v21
	v_lshlrev_b64 v[21:22], 1, v[19:20]
	s_cbranch_vccnz .LBB1203_242
; %bb.234:
	v_add_co_u32 v17, vcc_lo, s16, v17
	v_add_co_ci_u32_e32 v18, vcc_lo, s17, v18, vcc_lo
	s_delay_alu instid0(VALU_DEP_3) | instskip(NEXT) | instid1(VALU_DEP_4)
	v_add_co_u32 v19, vcc_lo, s16, v21
	v_add_co_ci_u32_e32 v20, vcc_lo, s17, v22, vcc_lo
	s_mov_b32 s33, -1
	s_clause 0x1
	global_load_u16 v23, v[17:18], off
	global_load_u16 v24, v[19:20], off
	s_mov_b32 s34, exec_lo
	s_waitcnt vmcnt(1)
	v_lshlrev_b32_e32 v23, 16, v23
	s_waitcnt vmcnt(0)
	v_lshlrev_b32_e32 v24, 16, v24
	s_delay_alu instid0(VALU_DEP_1)
	v_cmpx_eq_f32_e32 v24, v23
	s_cbranch_execz .LBB1203_241
; %bb.235:
	v_add_co_u32 v17, vcc_lo, v17, 2
	v_add_co_ci_u32_e32 v18, vcc_lo, 0, v18, vcc_lo
	v_add_co_u32 v19, vcc_lo, v19, 2
	v_add_co_ci_u32_e32 v20, vcc_lo, 0, v20, vcc_lo
	s_add_u32 s4, s14, -1
	s_addc_u32 s5, s15, -1
	s_mov_b64 s[6:7], 0
	s_mov_b32 s33, 0
                                        ; implicit-def: $sgpr35
	s_set_inst_prefetch_distance 0x1
	s_branch .LBB1203_238
	.p2align	6
.LBB1203_236:                           ;   in Loop: Header=BB1203_238 Depth=1
	global_load_u16 v23, v[17:18], off
	global_load_u16 v24, v[19:20], off
	v_add_co_u32 v17, vcc_lo, v17, 2
	v_add_co_ci_u32_e32 v18, vcc_lo, 0, v18, vcc_lo
	v_add_co_u32 v19, s0, v19, 2
	s_delay_alu instid0(VALU_DEP_1)
	v_add_co_ci_u32_e64 v20, s0, 0, v20, s0
	s_add_u32 s6, s6, 1
	s_addc_u32 s7, s7, 0
	s_and_not1_b32 s0, s35, exec_lo
	s_waitcnt vmcnt(1)
	v_lshlrev_b32_e32 v23, 16, v23
	s_waitcnt vmcnt(0)
	v_lshlrev_b32_e32 v24, 16, v24
	s_delay_alu instid0(VALU_DEP_1) | instskip(SKIP_1) | instid1(SALU_CYCLE_1)
	v_cmp_neq_f32_e32 vcc_lo, v24, v23
	s_and_b32 s35, vcc_lo, exec_lo
	s_or_b32 s35, s0, s35
.LBB1203_237:                           ;   in Loop: Header=BB1203_238 Depth=1
	v_dual_mov_b32 v24, s7 :: v_dual_mov_b32 v23, s6
	s_and_b32 s0, exec_lo, s35
	s_delay_alu instid0(SALU_CYCLE_1) | instskip(NEXT) | instid1(SALU_CYCLE_1)
	s_or_b32 s33, s0, s33
	s_and_not1_b32 exec_lo, exec_lo, s33
	s_cbranch_execz .LBB1203_240
.LBB1203_238:                           ; =>This Inner Loop Header: Depth=1
	s_or_b32 s35, s35, exec_lo
	s_cmp_eq_u64 s[4:5], s[6:7]
	s_cbranch_scc0 .LBB1203_236
; %bb.239:                              ;   in Loop: Header=BB1203_238 Depth=1
	s_mov_b64 s[6:7], s[14:15]
                                        ; implicit-def: $vgpr17_vgpr18
                                        ; implicit-def: $vgpr19_vgpr20
	s_branch .LBB1203_237
.LBB1203_240:
	s_set_inst_prefetch_distance 0x2
	s_or_b32 exec_lo, exec_lo, s33
	v_cmp_gt_i64_e32 vcc_lo, s[14:15], v[23:24]
	s_or_not1_b32 s33, vcc_lo, exec_lo
.LBB1203_241:
	s_or_b32 exec_lo, exec_lo, s34
.LBB1203_242:
	v_mul_lo_u32 v19, v16, s14
	v_mul_lo_u32 v20, v15, s15
	v_mad_u64_u32 v[17:18], null, v15, s14, 0
	s_and_not1_b32 vcc_lo, exec_lo, s26
	s_delay_alu instid0(VALU_DEP_1) | instskip(NEXT) | instid1(VALU_DEP_1)
	v_add3_u32 v18, v18, v20, v19
	v_lshlrev_b64 v[19:20], 1, v[17:18]
	s_cbranch_vccnz .LBB1203_251
; %bb.243:
	v_add_co_u32 v17, vcc_lo, s16, v21
	v_add_co_ci_u32_e32 v18, vcc_lo, s17, v22, vcc_lo
	s_delay_alu instid0(VALU_DEP_3) | instskip(NEXT) | instid1(VALU_DEP_4)
	v_add_co_u32 v21, vcc_lo, s16, v19
	v_add_co_ci_u32_e32 v22, vcc_lo, s17, v20, vcc_lo
	s_mov_b32 s31, -1
	s_clause 0x1
	global_load_u16 v23, v[17:18], off
	global_load_u16 v24, v[21:22], off
	s_mov_b32 s34, exec_lo
	s_waitcnt vmcnt(1)
	v_lshlrev_b32_e32 v23, 16, v23
	s_waitcnt vmcnt(0)
	v_lshlrev_b32_e32 v24, 16, v24
	s_delay_alu instid0(VALU_DEP_1)
	v_cmpx_eq_f32_e32 v24, v23
	s_cbranch_execz .LBB1203_250
; %bb.244:
	v_add_co_u32 v17, vcc_lo, v17, 2
	v_add_co_ci_u32_e32 v18, vcc_lo, 0, v18, vcc_lo
	v_add_co_u32 v21, vcc_lo, v21, 2
	v_add_co_ci_u32_e32 v22, vcc_lo, 0, v22, vcc_lo
	s_add_u32 s4, s14, -1
	s_addc_u32 s5, s15, -1
	s_mov_b64 s[6:7], 0
	s_mov_b32 s31, 0
                                        ; implicit-def: $sgpr35
	s_set_inst_prefetch_distance 0x1
	s_branch .LBB1203_247
	.p2align	6
.LBB1203_245:                           ;   in Loop: Header=BB1203_247 Depth=1
	global_load_u16 v23, v[17:18], off
	global_load_u16 v24, v[21:22], off
	v_add_co_u32 v17, vcc_lo, v17, 2
	v_add_co_ci_u32_e32 v18, vcc_lo, 0, v18, vcc_lo
	v_add_co_u32 v21, s0, v21, 2
	s_delay_alu instid0(VALU_DEP_1)
	v_add_co_ci_u32_e64 v22, s0, 0, v22, s0
	s_add_u32 s6, s6, 1
	s_addc_u32 s7, s7, 0
	s_and_not1_b32 s0, s35, exec_lo
	s_waitcnt vmcnt(1)
	v_lshlrev_b32_e32 v23, 16, v23
	s_waitcnt vmcnt(0)
	v_lshlrev_b32_e32 v24, 16, v24
	s_delay_alu instid0(VALU_DEP_1) | instskip(SKIP_1) | instid1(SALU_CYCLE_1)
	v_cmp_neq_f32_e32 vcc_lo, v24, v23
	s_and_b32 s35, vcc_lo, exec_lo
	s_or_b32 s35, s0, s35
.LBB1203_246:                           ;   in Loop: Header=BB1203_247 Depth=1
	v_dual_mov_b32 v24, s7 :: v_dual_mov_b32 v23, s6
	s_and_b32 s0, exec_lo, s35
	s_delay_alu instid0(SALU_CYCLE_1) | instskip(NEXT) | instid1(SALU_CYCLE_1)
	s_or_b32 s31, s0, s31
	s_and_not1_b32 exec_lo, exec_lo, s31
	s_cbranch_execz .LBB1203_249
.LBB1203_247:                           ; =>This Inner Loop Header: Depth=1
	s_or_b32 s35, s35, exec_lo
	s_cmp_eq_u64 s[4:5], s[6:7]
	s_cbranch_scc0 .LBB1203_245
; %bb.248:                              ;   in Loop: Header=BB1203_247 Depth=1
	s_mov_b64 s[6:7], s[14:15]
                                        ; implicit-def: $vgpr17_vgpr18
                                        ; implicit-def: $vgpr21_vgpr22
	s_branch .LBB1203_246
.LBB1203_249:
	s_set_inst_prefetch_distance 0x2
	s_or_b32 exec_lo, exec_lo, s31
	v_cmp_gt_i64_e32 vcc_lo, s[14:15], v[23:24]
	s_or_not1_b32 s31, vcc_lo, exec_lo
.LBB1203_250:
	s_or_b32 exec_lo, exec_lo, s34
.LBB1203_251:
	v_mul_lo_u32 v21, v14, s14
	v_mul_lo_u32 v22, v13, s15
	v_mad_u64_u32 v[17:18], null, v13, s14, 0
	s_and_not1_b32 vcc_lo, exec_lo, s26
	s_mov_b32 s0, 0
	s_delay_alu instid0(VALU_DEP_1)
	v_add3_u32 v18, v18, v22, v21
	s_cbranch_vccnz .LBB1203_260
; %bb.252:
	s_delay_alu instid0(VALU_DEP_1) | instskip(SKIP_3) | instid1(VALU_DEP_3)
	v_lshlrev_b64 v[21:22], 1, v[17:18]
	v_add_co_u32 v19, vcc_lo, s16, v19
	v_add_co_ci_u32_e32 v20, vcc_lo, s17, v20, vcc_lo
	s_mov_b32 s0, -1
	v_add_co_u32 v21, vcc_lo, s16, v21
	s_delay_alu instid0(VALU_DEP_4)
	v_add_co_ci_u32_e32 v22, vcc_lo, s17, v22, vcc_lo
	s_mov_b32 s34, exec_lo
	s_clause 0x1
	global_load_u16 v23, v[19:20], off
	global_load_u16 v24, v[21:22], off
	s_waitcnt vmcnt(1)
	v_lshlrev_b32_e32 v23, 16, v23
	s_waitcnt vmcnt(0)
	v_lshlrev_b32_e32 v24, 16, v24
	s_delay_alu instid0(VALU_DEP_1)
	v_cmpx_eq_f32_e32 v24, v23
	s_cbranch_execz .LBB1203_259
; %bb.253:
	v_add_co_u32 v19, vcc_lo, v19, 2
	v_add_co_ci_u32_e32 v20, vcc_lo, 0, v20, vcc_lo
	v_add_co_u32 v21, vcc_lo, v21, 2
	v_add_co_ci_u32_e32 v22, vcc_lo, 0, v22, vcc_lo
	s_add_u32 s4, s14, -1
	s_addc_u32 s5, s15, -1
	s_mov_b64 s[6:7], 0
	s_mov_b32 s35, 0
                                        ; implicit-def: $sgpr36
	s_set_inst_prefetch_distance 0x1
	s_branch .LBB1203_256
	.p2align	6
.LBB1203_254:                           ;   in Loop: Header=BB1203_256 Depth=1
	global_load_u16 v23, v[19:20], off
	global_load_u16 v24, v[21:22], off
	v_add_co_u32 v19, vcc_lo, v19, 2
	v_add_co_ci_u32_e32 v20, vcc_lo, 0, v20, vcc_lo
	v_add_co_u32 v21, s0, v21, 2
	s_delay_alu instid0(VALU_DEP_1)
	v_add_co_ci_u32_e64 v22, s0, 0, v22, s0
	s_add_u32 s6, s6, 1
	s_addc_u32 s7, s7, 0
	s_and_not1_b32 s0, s36, exec_lo
	s_waitcnt vmcnt(1)
	v_lshlrev_b32_e32 v23, 16, v23
	s_waitcnt vmcnt(0)
	v_lshlrev_b32_e32 v24, 16, v24
	s_delay_alu instid0(VALU_DEP_1) | instskip(SKIP_1) | instid1(SALU_CYCLE_1)
	v_cmp_neq_f32_e32 vcc_lo, v24, v23
	s_and_b32 s36, vcc_lo, exec_lo
	s_or_b32 s36, s0, s36
.LBB1203_255:                           ;   in Loop: Header=BB1203_256 Depth=1
	v_dual_mov_b32 v24, s7 :: v_dual_mov_b32 v23, s6
	s_and_b32 s0, exec_lo, s36
	s_delay_alu instid0(SALU_CYCLE_1) | instskip(NEXT) | instid1(SALU_CYCLE_1)
	s_or_b32 s35, s0, s35
	s_and_not1_b32 exec_lo, exec_lo, s35
	s_cbranch_execz .LBB1203_258
.LBB1203_256:                           ; =>This Inner Loop Header: Depth=1
	s_or_b32 s36, s36, exec_lo
	s_cmp_eq_u64 s[4:5], s[6:7]
	s_cbranch_scc0 .LBB1203_254
; %bb.257:                              ;   in Loop: Header=BB1203_256 Depth=1
	s_mov_b64 s[6:7], s[14:15]
                                        ; implicit-def: $vgpr19_vgpr20
                                        ; implicit-def: $vgpr21_vgpr22
	s_branch .LBB1203_255
.LBB1203_258:
	s_set_inst_prefetch_distance 0x2
	s_or_b32 exec_lo, exec_lo, s35
	v_cmp_gt_i64_e32 vcc_lo, s[14:15], v[23:24]
	s_or_not1_b32 s0, vcc_lo, exec_lo
.LBB1203_259:
	s_or_b32 exec_lo, exec_lo, s34
.LBB1203_260:
	v_cndmask_b32_e64 v20, 0, 1, s33
	v_cndmask_b32_e64 v21, 0, 1, s30
	;; [unrolled: 1-line block ×7, first 2 shown]
	v_lshlrev_b16 v21, 8, v21
	v_lshlrev_b16 v22, 8, v22
	;; [unrolled: 1-line block ×4, first 2 shown]
	s_waitcnt lgkmcnt(0)
	v_or_b32_e32 v21, v24, v21
	v_or_b32_e32 v22, v25, v22
	;; [unrolled: 1-line block ×4, first 2 shown]
	s_barrier
	v_and_b32_e32 v20, 0xffff, v21
	v_lshlrev_b32_e32 v21, 16, v22
	v_and_b32_e32 v22, 0xffff, v23
	v_lshlrev_b32_e32 v19, 16, v19
	buffer_gl0_inv
                                        ; implicit-def: $sgpr0
	v_or_b32_e32 v20, v20, v21
	v_or_b32_e32 v19, v22, v19
	s_and_saveexec_b32 s4, s3
	s_delay_alu instid0(SALU_CYCLE_1)
	s_xor_b32 s27, exec_lo, s4
	s_cbranch_execz .LBB1203_271
; %bb.261:
	s_and_not1_b32 vcc_lo, exec_lo, s26
	s_mov_b32 s0, 0
	s_cbranch_vccnz .LBB1203_270
; %bb.262:
	v_add_nc_u32_e32 v21, -8, v39
	v_lshlrev_b64 v[17:18], 1, v[17:18]
	s_mov_b32 s0, -1
	s_mov_b32 s28, exec_lo
	ds_load_b64 v[21:22], v21
	s_waitcnt lgkmcnt(0)
	v_mul_lo_u32 v24, v22, s14
	v_mul_lo_u32 v25, v21, s15
	v_mad_u64_u32 v[22:23], null, v21, s14, 0
	s_delay_alu instid0(VALU_DEP_1) | instskip(NEXT) | instid1(VALU_DEP_1)
	v_add3_u32 v23, v23, v25, v24
	v_lshlrev_b64 v[21:22], 1, v[22:23]
	s_delay_alu instid0(VALU_DEP_1) | instskip(NEXT) | instid1(VALU_DEP_2)
	v_add_co_u32 v21, vcc_lo, s16, v21
	v_add_co_ci_u32_e32 v22, vcc_lo, s17, v22, vcc_lo
	v_add_co_u32 v17, vcc_lo, s16, v17
	v_add_co_ci_u32_e32 v18, vcc_lo, s17, v18, vcc_lo
	s_clause 0x1
	global_load_u16 v23, v[21:22], off
	global_load_u16 v24, v[17:18], off
	s_waitcnt vmcnt(1)
	v_lshlrev_b32_e32 v23, 16, v23
	s_waitcnt vmcnt(0)
	v_lshlrev_b32_e32 v24, 16, v24
	s_delay_alu instid0(VALU_DEP_1)
	v_cmpx_eq_f32_e32 v23, v24
	s_cbranch_execz .LBB1203_269
; %bb.263:
	v_add_co_u32 v17, vcc_lo, v17, 2
	v_add_co_ci_u32_e32 v18, vcc_lo, 0, v18, vcc_lo
	v_add_co_u32 v21, vcc_lo, v21, 2
	v_add_co_ci_u32_e32 v22, vcc_lo, 0, v22, vcc_lo
	s_add_u32 s4, s14, -1
	s_addc_u32 s5, s15, -1
	s_mov_b64 s[6:7], 0
	s_mov_b32 s29, 0
                                        ; implicit-def: $sgpr30
	s_set_inst_prefetch_distance 0x1
	s_branch .LBB1203_266
	.p2align	6
.LBB1203_264:                           ;   in Loop: Header=BB1203_266 Depth=1
	global_load_u16 v23, v[17:18], off
	global_load_u16 v24, v[21:22], off
	v_add_co_u32 v17, vcc_lo, v17, 2
	v_add_co_ci_u32_e32 v18, vcc_lo, 0, v18, vcc_lo
	v_add_co_u32 v21, s0, v21, 2
	s_delay_alu instid0(VALU_DEP_1)
	v_add_co_ci_u32_e64 v22, s0, 0, v22, s0
	s_add_u32 s6, s6, 1
	s_addc_u32 s7, s7, 0
	s_and_not1_b32 s0, s30, exec_lo
	s_waitcnt vmcnt(1)
	v_lshlrev_b32_e32 v23, 16, v23
	s_waitcnt vmcnt(0)
	v_lshlrev_b32_e32 v24, 16, v24
	s_delay_alu instid0(VALU_DEP_1) | instskip(SKIP_1) | instid1(SALU_CYCLE_1)
	v_cmp_neq_f32_e32 vcc_lo, v24, v23
	s_and_b32 s30, vcc_lo, exec_lo
	s_or_b32 s30, s0, s30
.LBB1203_265:                           ;   in Loop: Header=BB1203_266 Depth=1
	v_dual_mov_b32 v24, s7 :: v_dual_mov_b32 v23, s6
	s_and_b32 s0, exec_lo, s30
	s_delay_alu instid0(SALU_CYCLE_1) | instskip(NEXT) | instid1(SALU_CYCLE_1)
	s_or_b32 s29, s0, s29
	s_and_not1_b32 exec_lo, exec_lo, s29
	s_cbranch_execz .LBB1203_268
.LBB1203_266:                           ; =>This Inner Loop Header: Depth=1
	s_or_b32 s30, s30, exec_lo
	s_cmp_eq_u64 s[4:5], s[6:7]
	s_cbranch_scc0 .LBB1203_264
; %bb.267:                              ;   in Loop: Header=BB1203_266 Depth=1
	s_mov_b64 s[6:7], s[14:15]
                                        ; implicit-def: $vgpr17_vgpr18
                                        ; implicit-def: $vgpr21_vgpr22
	s_branch .LBB1203_265
.LBB1203_268:
	s_set_inst_prefetch_distance 0x2
	s_or_b32 exec_lo, exec_lo, s29
	v_cmp_gt_i64_e32 vcc_lo, s[14:15], v[23:24]
	s_or_not1_b32 s0, vcc_lo, exec_lo
.LBB1203_269:
	s_or_b32 exec_lo, exec_lo, s28
.LBB1203_270:
	s_delay_alu instid0(SALU_CYCLE_1)
	s_and_b32 s0, s0, exec_lo
	s_or_b32 s25, s25, exec_lo
.LBB1203_271:
	s_or_b32 exec_lo, exec_lo, s27
	s_branch .LBB1203_363
.LBB1203_272:
	s_waitcnt vmcnt(0) lgkmcnt(1)
	v_or_b32_e32 v17, 7, v39
	s_mov_b32 s27, 0
	s_mov_b32 s28, 0
	s_mov_b32 s29, exec_lo
	s_delay_alu instid0(VALU_DEP_1)
	v_cmpx_gt_u32_e64 s12, v17
	s_cbranch_execz .LBB1203_283
; %bb.273:
	s_and_not1_b32 vcc_lo, exec_lo, s26
	s_mov_b32 s0, 0
	s_cbranch_vccnz .LBB1203_282
; %bb.274:
	v_mul_lo_u32 v21, v4, s14
	v_mul_lo_u32 v22, v3, s15
	v_mad_u64_u32 v[17:18], null, v3, s14, 0
	v_mul_lo_u32 v23, v2, s14
	v_mul_lo_u32 v24, v1, s15
	v_mad_u64_u32 v[19:20], null, v1, s14, 0
	s_mov_b32 s0, -1
	s_mov_b32 s28, exec_lo
	s_delay_alu instid0(VALU_DEP_4) | instskip(NEXT) | instid1(VALU_DEP_2)
	v_add3_u32 v18, v18, v22, v21
	v_add3_u32 v20, v20, v24, v23
	s_delay_alu instid0(VALU_DEP_2) | instskip(NEXT) | instid1(VALU_DEP_2)
	v_lshlrev_b64 v[17:18], 1, v[17:18]
	v_lshlrev_b64 v[19:20], 1, v[19:20]
	s_delay_alu instid0(VALU_DEP_2) | instskip(NEXT) | instid1(VALU_DEP_3)
	v_add_co_u32 v17, vcc_lo, s16, v17
	v_add_co_ci_u32_e32 v18, vcc_lo, s17, v18, vcc_lo
	s_delay_alu instid0(VALU_DEP_3) | instskip(NEXT) | instid1(VALU_DEP_4)
	v_add_co_u32 v19, vcc_lo, s16, v19
	v_add_co_ci_u32_e32 v20, vcc_lo, s17, v20, vcc_lo
	s_clause 0x1
	global_load_u16 v21, v[17:18], off
	global_load_u16 v22, v[19:20], off
	s_waitcnt vmcnt(1)
	v_lshlrev_b32_e32 v21, 16, v21
	s_waitcnt vmcnt(0)
	v_lshlrev_b32_e32 v22, 16, v22
	s_delay_alu instid0(VALU_DEP_1)
	v_cmpx_eq_f32_e32 v22, v21
	s_cbranch_execz .LBB1203_281
; %bb.275:
	v_add_co_u32 v17, vcc_lo, v17, 2
	v_add_co_ci_u32_e32 v18, vcc_lo, 0, v18, vcc_lo
	v_add_co_u32 v19, vcc_lo, v19, 2
	v_add_co_ci_u32_e32 v20, vcc_lo, 0, v20, vcc_lo
	s_add_u32 s4, s14, -1
	s_addc_u32 s5, s15, -1
	s_mov_b64 s[6:7], 0
	s_mov_b32 s30, 0
                                        ; implicit-def: $sgpr31
	s_set_inst_prefetch_distance 0x1
	s_branch .LBB1203_278
	.p2align	6
.LBB1203_276:                           ;   in Loop: Header=BB1203_278 Depth=1
	global_load_u16 v21, v[17:18], off
	global_load_u16 v22, v[19:20], off
	v_add_co_u32 v17, vcc_lo, v17, 2
	v_add_co_ci_u32_e32 v18, vcc_lo, 0, v18, vcc_lo
	v_add_co_u32 v19, s0, v19, 2
	s_delay_alu instid0(VALU_DEP_1)
	v_add_co_ci_u32_e64 v20, s0, 0, v20, s0
	s_add_u32 s6, s6, 1
	s_addc_u32 s7, s7, 0
	s_and_not1_b32 s0, s31, exec_lo
	s_waitcnt vmcnt(1)
	v_lshlrev_b32_e32 v21, 16, v21
	s_waitcnt vmcnt(0)
	v_lshlrev_b32_e32 v22, 16, v22
	s_delay_alu instid0(VALU_DEP_1) | instskip(SKIP_1) | instid1(SALU_CYCLE_1)
	v_cmp_neq_f32_e32 vcc_lo, v22, v21
	s_and_b32 s31, vcc_lo, exec_lo
	s_or_b32 s31, s0, s31
.LBB1203_277:                           ;   in Loop: Header=BB1203_278 Depth=1
	v_dual_mov_b32 v22, s7 :: v_dual_mov_b32 v21, s6
	s_and_b32 s0, exec_lo, s31
	s_delay_alu instid0(SALU_CYCLE_1) | instskip(NEXT) | instid1(SALU_CYCLE_1)
	s_or_b32 s30, s0, s30
	s_and_not1_b32 exec_lo, exec_lo, s30
	s_cbranch_execz .LBB1203_280
.LBB1203_278:                           ; =>This Inner Loop Header: Depth=1
	s_or_b32 s31, s31, exec_lo
	s_cmp_eq_u64 s[4:5], s[6:7]
	s_cbranch_scc0 .LBB1203_276
; %bb.279:                              ;   in Loop: Header=BB1203_278 Depth=1
	s_mov_b64 s[6:7], s[14:15]
                                        ; implicit-def: $vgpr17_vgpr18
                                        ; implicit-def: $vgpr19_vgpr20
	s_branch .LBB1203_277
.LBB1203_280:
	s_set_inst_prefetch_distance 0x2
	s_or_b32 exec_lo, exec_lo, s30
	v_cmp_gt_i64_e32 vcc_lo, s[14:15], v[21:22]
	s_or_not1_b32 s0, vcc_lo, exec_lo
.LBB1203_281:
	s_or_b32 exec_lo, exec_lo, s28
.LBB1203_282:
	s_delay_alu instid0(SALU_CYCLE_1)
	s_and_b32 s28, s0, exec_lo
.LBB1203_283:
	s_or_b32 exec_lo, exec_lo, s29
	v_or_b32_e32 v17, 6, v39
	s_mov_b32 s29, exec_lo
	s_delay_alu instid0(VALU_DEP_1)
	v_cmpx_gt_u32_e64 s12, v17
	s_cbranch_execz .LBB1203_294
; %bb.284:
	s_and_not1_b32 vcc_lo, exec_lo, s26
	s_mov_b32 s0, 0
	s_cbranch_vccnz .LBB1203_293
; %bb.285:
	v_mul_lo_u32 v21, v2, s14
	v_mul_lo_u32 v22, v1, s15
	v_mad_u64_u32 v[17:18], null, v1, s14, 0
	v_mul_lo_u32 v23, v8, s14
	v_mul_lo_u32 v24, v7, s15
	v_mad_u64_u32 v[19:20], null, v7, s14, 0
	s_mov_b32 s0, -1
	s_mov_b32 s27, exec_lo
	s_delay_alu instid0(VALU_DEP_4) | instskip(NEXT) | instid1(VALU_DEP_2)
	v_add3_u32 v18, v18, v22, v21
	v_add3_u32 v20, v20, v24, v23
	s_delay_alu instid0(VALU_DEP_2) | instskip(NEXT) | instid1(VALU_DEP_2)
	v_lshlrev_b64 v[17:18], 1, v[17:18]
	v_lshlrev_b64 v[19:20], 1, v[19:20]
	s_delay_alu instid0(VALU_DEP_2) | instskip(NEXT) | instid1(VALU_DEP_3)
	v_add_co_u32 v17, vcc_lo, s16, v17
	v_add_co_ci_u32_e32 v18, vcc_lo, s17, v18, vcc_lo
	s_delay_alu instid0(VALU_DEP_3) | instskip(NEXT) | instid1(VALU_DEP_4)
	v_add_co_u32 v19, vcc_lo, s16, v19
	v_add_co_ci_u32_e32 v20, vcc_lo, s17, v20, vcc_lo
	s_clause 0x1
	global_load_u16 v21, v[17:18], off
	global_load_u16 v22, v[19:20], off
	s_waitcnt vmcnt(1)
	v_lshlrev_b32_e32 v21, 16, v21
	s_waitcnt vmcnt(0)
	v_lshlrev_b32_e32 v22, 16, v22
	s_delay_alu instid0(VALU_DEP_1)
	v_cmpx_eq_f32_e32 v22, v21
	s_cbranch_execz .LBB1203_292
; %bb.286:
	v_add_co_u32 v17, vcc_lo, v17, 2
	v_add_co_ci_u32_e32 v18, vcc_lo, 0, v18, vcc_lo
	v_add_co_u32 v19, vcc_lo, v19, 2
	v_add_co_ci_u32_e32 v20, vcc_lo, 0, v20, vcc_lo
	s_add_u32 s4, s14, -1
	s_addc_u32 s5, s15, -1
	s_mov_b64 s[6:7], 0
	s_mov_b32 s30, 0
                                        ; implicit-def: $sgpr31
	s_set_inst_prefetch_distance 0x1
	s_branch .LBB1203_289
	.p2align	6
.LBB1203_287:                           ;   in Loop: Header=BB1203_289 Depth=1
	global_load_u16 v21, v[17:18], off
	global_load_u16 v22, v[19:20], off
	v_add_co_u32 v17, vcc_lo, v17, 2
	v_add_co_ci_u32_e32 v18, vcc_lo, 0, v18, vcc_lo
	v_add_co_u32 v19, s0, v19, 2
	s_delay_alu instid0(VALU_DEP_1)
	v_add_co_ci_u32_e64 v20, s0, 0, v20, s0
	s_add_u32 s6, s6, 1
	s_addc_u32 s7, s7, 0
	s_and_not1_b32 s0, s31, exec_lo
	s_waitcnt vmcnt(1)
	v_lshlrev_b32_e32 v21, 16, v21
	s_waitcnt vmcnt(0)
	v_lshlrev_b32_e32 v22, 16, v22
	s_delay_alu instid0(VALU_DEP_1) | instskip(SKIP_1) | instid1(SALU_CYCLE_1)
	v_cmp_neq_f32_e32 vcc_lo, v22, v21
	s_and_b32 s31, vcc_lo, exec_lo
	s_or_b32 s31, s0, s31
.LBB1203_288:                           ;   in Loop: Header=BB1203_289 Depth=1
	v_dual_mov_b32 v22, s7 :: v_dual_mov_b32 v21, s6
	s_and_b32 s0, exec_lo, s31
	s_delay_alu instid0(SALU_CYCLE_1) | instskip(NEXT) | instid1(SALU_CYCLE_1)
	s_or_b32 s30, s0, s30
	s_and_not1_b32 exec_lo, exec_lo, s30
	s_cbranch_execz .LBB1203_291
.LBB1203_289:                           ; =>This Inner Loop Header: Depth=1
	s_or_b32 s31, s31, exec_lo
	s_cmp_eq_u64 s[4:5], s[6:7]
	s_cbranch_scc0 .LBB1203_287
; %bb.290:                              ;   in Loop: Header=BB1203_289 Depth=1
	s_mov_b64 s[6:7], s[14:15]
                                        ; implicit-def: $vgpr17_vgpr18
                                        ; implicit-def: $vgpr19_vgpr20
	s_branch .LBB1203_288
.LBB1203_291:
	s_set_inst_prefetch_distance 0x2
	s_or_b32 exec_lo, exec_lo, s30
	v_cmp_gt_i64_e32 vcc_lo, s[14:15], v[21:22]
	s_or_not1_b32 s0, vcc_lo, exec_lo
.LBB1203_292:
	s_or_b32 exec_lo, exec_lo, s27
.LBB1203_293:
	s_delay_alu instid0(SALU_CYCLE_1)
	s_and_b32 s27, s0, exec_lo
.LBB1203_294:
	s_or_b32 exec_lo, exec_lo, s29
	v_or_b32_e32 v17, 5, v39
	s_mov_b32 s29, 0
	s_mov_b32 s30, 0
	s_mov_b32 s31, exec_lo
	s_delay_alu instid0(VALU_DEP_1)
	v_cmpx_gt_u32_e64 s12, v17
	s_cbranch_execz .LBB1203_305
; %bb.295:
	s_and_not1_b32 vcc_lo, exec_lo, s26
	s_mov_b32 s0, 0
	s_cbranch_vccnz .LBB1203_304
; %bb.296:
	v_mul_lo_u32 v21, v8, s14
	v_mul_lo_u32 v22, v7, s15
	v_mad_u64_u32 v[17:18], null, v7, s14, 0
	v_mul_lo_u32 v23, v6, s14
	v_mul_lo_u32 v24, v5, s15
	v_mad_u64_u32 v[19:20], null, v5, s14, 0
	s_mov_b32 s0, -1
	s_mov_b32 s30, exec_lo
	s_delay_alu instid0(VALU_DEP_4) | instskip(NEXT) | instid1(VALU_DEP_2)
	v_add3_u32 v18, v18, v22, v21
	v_add3_u32 v20, v20, v24, v23
	s_delay_alu instid0(VALU_DEP_2) | instskip(NEXT) | instid1(VALU_DEP_2)
	v_lshlrev_b64 v[17:18], 1, v[17:18]
	v_lshlrev_b64 v[19:20], 1, v[19:20]
	s_delay_alu instid0(VALU_DEP_2) | instskip(NEXT) | instid1(VALU_DEP_3)
	v_add_co_u32 v17, vcc_lo, s16, v17
	v_add_co_ci_u32_e32 v18, vcc_lo, s17, v18, vcc_lo
	s_delay_alu instid0(VALU_DEP_3) | instskip(NEXT) | instid1(VALU_DEP_4)
	v_add_co_u32 v19, vcc_lo, s16, v19
	v_add_co_ci_u32_e32 v20, vcc_lo, s17, v20, vcc_lo
	s_clause 0x1
	global_load_u16 v21, v[17:18], off
	global_load_u16 v22, v[19:20], off
	s_waitcnt vmcnt(1)
	v_lshlrev_b32_e32 v21, 16, v21
	s_waitcnt vmcnt(0)
	v_lshlrev_b32_e32 v22, 16, v22
	s_delay_alu instid0(VALU_DEP_1)
	v_cmpx_eq_f32_e32 v22, v21
	s_cbranch_execz .LBB1203_303
; %bb.297:
	v_add_co_u32 v17, vcc_lo, v17, 2
	v_add_co_ci_u32_e32 v18, vcc_lo, 0, v18, vcc_lo
	v_add_co_u32 v19, vcc_lo, v19, 2
	v_add_co_ci_u32_e32 v20, vcc_lo, 0, v20, vcc_lo
	s_add_u32 s4, s14, -1
	s_addc_u32 s5, s15, -1
	s_mov_b64 s[6:7], 0
	s_mov_b32 s33, 0
                                        ; implicit-def: $sgpr34
	s_set_inst_prefetch_distance 0x1
	s_branch .LBB1203_300
	.p2align	6
.LBB1203_298:                           ;   in Loop: Header=BB1203_300 Depth=1
	global_load_u16 v21, v[17:18], off
	global_load_u16 v22, v[19:20], off
	v_add_co_u32 v17, vcc_lo, v17, 2
	v_add_co_ci_u32_e32 v18, vcc_lo, 0, v18, vcc_lo
	v_add_co_u32 v19, s0, v19, 2
	s_delay_alu instid0(VALU_DEP_1)
	v_add_co_ci_u32_e64 v20, s0, 0, v20, s0
	s_add_u32 s6, s6, 1
	s_addc_u32 s7, s7, 0
	s_and_not1_b32 s0, s34, exec_lo
	s_waitcnt vmcnt(1)
	v_lshlrev_b32_e32 v21, 16, v21
	s_waitcnt vmcnt(0)
	v_lshlrev_b32_e32 v22, 16, v22
	s_delay_alu instid0(VALU_DEP_1) | instskip(SKIP_1) | instid1(SALU_CYCLE_1)
	v_cmp_neq_f32_e32 vcc_lo, v22, v21
	s_and_b32 s34, vcc_lo, exec_lo
	s_or_b32 s34, s0, s34
.LBB1203_299:                           ;   in Loop: Header=BB1203_300 Depth=1
	v_dual_mov_b32 v22, s7 :: v_dual_mov_b32 v21, s6
	s_and_b32 s0, exec_lo, s34
	s_delay_alu instid0(SALU_CYCLE_1) | instskip(NEXT) | instid1(SALU_CYCLE_1)
	s_or_b32 s33, s0, s33
	s_and_not1_b32 exec_lo, exec_lo, s33
	s_cbranch_execz .LBB1203_302
.LBB1203_300:                           ; =>This Inner Loop Header: Depth=1
	s_or_b32 s34, s34, exec_lo
	s_cmp_eq_u64 s[4:5], s[6:7]
	s_cbranch_scc0 .LBB1203_298
; %bb.301:                              ;   in Loop: Header=BB1203_300 Depth=1
	s_mov_b64 s[6:7], s[14:15]
                                        ; implicit-def: $vgpr17_vgpr18
                                        ; implicit-def: $vgpr19_vgpr20
	s_branch .LBB1203_299
.LBB1203_302:
	s_set_inst_prefetch_distance 0x2
	s_or_b32 exec_lo, exec_lo, s33
	v_cmp_gt_i64_e32 vcc_lo, s[14:15], v[21:22]
	s_or_not1_b32 s0, vcc_lo, exec_lo
.LBB1203_303:
	s_or_b32 exec_lo, exec_lo, s30
.LBB1203_304:
	s_delay_alu instid0(SALU_CYCLE_1)
	s_and_b32 s30, s0, exec_lo
.LBB1203_305:
	s_or_b32 exec_lo, exec_lo, s31
	v_or_b32_e32 v17, 4, v39
	s_mov_b32 s31, exec_lo
	s_delay_alu instid0(VALU_DEP_1)
	v_cmpx_gt_u32_e64 s12, v17
	s_cbranch_execz .LBB1203_316
; %bb.306:
	s_and_not1_b32 vcc_lo, exec_lo, s26
	s_mov_b32 s0, 0
	s_cbranch_vccnz .LBB1203_315
; %bb.307:
	v_mul_lo_u32 v21, v6, s14
	v_mul_lo_u32 v22, v5, s15
	v_mad_u64_u32 v[17:18], null, v5, s14, 0
	v_mul_lo_u32 v23, v12, s14
	v_mul_lo_u32 v24, v11, s15
	v_mad_u64_u32 v[19:20], null, v11, s14, 0
	s_mov_b32 s0, -1
	s_mov_b32 s29, exec_lo
	s_delay_alu instid0(VALU_DEP_4) | instskip(NEXT) | instid1(VALU_DEP_2)
	v_add3_u32 v18, v18, v22, v21
	v_add3_u32 v20, v20, v24, v23
	s_delay_alu instid0(VALU_DEP_2) | instskip(NEXT) | instid1(VALU_DEP_2)
	v_lshlrev_b64 v[17:18], 1, v[17:18]
	v_lshlrev_b64 v[19:20], 1, v[19:20]
	s_delay_alu instid0(VALU_DEP_2) | instskip(NEXT) | instid1(VALU_DEP_3)
	v_add_co_u32 v17, vcc_lo, s16, v17
	v_add_co_ci_u32_e32 v18, vcc_lo, s17, v18, vcc_lo
	s_delay_alu instid0(VALU_DEP_3) | instskip(NEXT) | instid1(VALU_DEP_4)
	v_add_co_u32 v19, vcc_lo, s16, v19
	v_add_co_ci_u32_e32 v20, vcc_lo, s17, v20, vcc_lo
	s_clause 0x1
	global_load_u16 v21, v[17:18], off
	global_load_u16 v22, v[19:20], off
	s_waitcnt vmcnt(1)
	v_lshlrev_b32_e32 v21, 16, v21
	s_waitcnt vmcnt(0)
	v_lshlrev_b32_e32 v22, 16, v22
	s_delay_alu instid0(VALU_DEP_1)
	v_cmpx_eq_f32_e32 v22, v21
	s_cbranch_execz .LBB1203_314
; %bb.308:
	v_add_co_u32 v17, vcc_lo, v17, 2
	v_add_co_ci_u32_e32 v18, vcc_lo, 0, v18, vcc_lo
	v_add_co_u32 v19, vcc_lo, v19, 2
	v_add_co_ci_u32_e32 v20, vcc_lo, 0, v20, vcc_lo
	s_add_u32 s4, s14, -1
	s_addc_u32 s5, s15, -1
	s_mov_b64 s[6:7], 0
	s_mov_b32 s33, 0
                                        ; implicit-def: $sgpr34
	s_set_inst_prefetch_distance 0x1
	s_branch .LBB1203_311
	.p2align	6
.LBB1203_309:                           ;   in Loop: Header=BB1203_311 Depth=1
	global_load_u16 v21, v[17:18], off
	global_load_u16 v22, v[19:20], off
	v_add_co_u32 v17, vcc_lo, v17, 2
	v_add_co_ci_u32_e32 v18, vcc_lo, 0, v18, vcc_lo
	v_add_co_u32 v19, s0, v19, 2
	s_delay_alu instid0(VALU_DEP_1)
	v_add_co_ci_u32_e64 v20, s0, 0, v20, s0
	s_add_u32 s6, s6, 1
	s_addc_u32 s7, s7, 0
	s_and_not1_b32 s0, s34, exec_lo
	s_waitcnt vmcnt(1)
	v_lshlrev_b32_e32 v21, 16, v21
	s_waitcnt vmcnt(0)
	v_lshlrev_b32_e32 v22, 16, v22
	s_delay_alu instid0(VALU_DEP_1) | instskip(SKIP_1) | instid1(SALU_CYCLE_1)
	v_cmp_neq_f32_e32 vcc_lo, v22, v21
	s_and_b32 s34, vcc_lo, exec_lo
	s_or_b32 s34, s0, s34
.LBB1203_310:                           ;   in Loop: Header=BB1203_311 Depth=1
	v_dual_mov_b32 v22, s7 :: v_dual_mov_b32 v21, s6
	s_and_b32 s0, exec_lo, s34
	s_delay_alu instid0(SALU_CYCLE_1) | instskip(NEXT) | instid1(SALU_CYCLE_1)
	s_or_b32 s33, s0, s33
	s_and_not1_b32 exec_lo, exec_lo, s33
	s_cbranch_execz .LBB1203_313
.LBB1203_311:                           ; =>This Inner Loop Header: Depth=1
	s_or_b32 s34, s34, exec_lo
	s_cmp_eq_u64 s[4:5], s[6:7]
	s_cbranch_scc0 .LBB1203_309
; %bb.312:                              ;   in Loop: Header=BB1203_311 Depth=1
	s_mov_b64 s[6:7], s[14:15]
                                        ; implicit-def: $vgpr17_vgpr18
                                        ; implicit-def: $vgpr19_vgpr20
	s_branch .LBB1203_310
.LBB1203_313:
	s_set_inst_prefetch_distance 0x2
	s_or_b32 exec_lo, exec_lo, s33
	v_cmp_gt_i64_e32 vcc_lo, s[14:15], v[21:22]
	s_or_not1_b32 s0, vcc_lo, exec_lo
.LBB1203_314:
	s_or_b32 exec_lo, exec_lo, s29
.LBB1203_315:
	s_delay_alu instid0(SALU_CYCLE_1)
	s_and_b32 s29, s0, exec_lo
.LBB1203_316:
	s_or_b32 exec_lo, exec_lo, s31
	v_or_b32_e32 v17, 3, v39
	s_mov_b32 s33, 0
	s_mov_b32 s31, 0
	s_mov_b32 s34, exec_lo
	s_delay_alu instid0(VALU_DEP_1)
	v_cmpx_gt_u32_e64 s12, v17
	s_cbranch_execz .LBB1203_327
; %bb.317:
	s_and_not1_b32 vcc_lo, exec_lo, s26
	s_mov_b32 s0, 0
	s_cbranch_vccnz .LBB1203_326
; %bb.318:
	v_mul_lo_u32 v21, v12, s14
	v_mul_lo_u32 v22, v11, s15
	v_mad_u64_u32 v[17:18], null, v11, s14, 0
	v_mul_lo_u32 v23, v10, s14
	v_mul_lo_u32 v24, v9, s15
	v_mad_u64_u32 v[19:20], null, v9, s14, 0
	s_mov_b32 s0, -1
	s_mov_b32 s31, exec_lo
	s_delay_alu instid0(VALU_DEP_4) | instskip(NEXT) | instid1(VALU_DEP_2)
	v_add3_u32 v18, v18, v22, v21
	v_add3_u32 v20, v20, v24, v23
	s_delay_alu instid0(VALU_DEP_2) | instskip(NEXT) | instid1(VALU_DEP_2)
	v_lshlrev_b64 v[17:18], 1, v[17:18]
	v_lshlrev_b64 v[19:20], 1, v[19:20]
	s_delay_alu instid0(VALU_DEP_2) | instskip(NEXT) | instid1(VALU_DEP_3)
	v_add_co_u32 v17, vcc_lo, s16, v17
	v_add_co_ci_u32_e32 v18, vcc_lo, s17, v18, vcc_lo
	s_delay_alu instid0(VALU_DEP_3) | instskip(NEXT) | instid1(VALU_DEP_4)
	v_add_co_u32 v19, vcc_lo, s16, v19
	v_add_co_ci_u32_e32 v20, vcc_lo, s17, v20, vcc_lo
	s_clause 0x1
	global_load_u16 v21, v[17:18], off
	global_load_u16 v22, v[19:20], off
	s_waitcnt vmcnt(1)
	v_lshlrev_b32_e32 v21, 16, v21
	s_waitcnt vmcnt(0)
	v_lshlrev_b32_e32 v22, 16, v22
	s_delay_alu instid0(VALU_DEP_1)
	v_cmpx_eq_f32_e32 v22, v21
	s_cbranch_execz .LBB1203_325
; %bb.319:
	v_add_co_u32 v17, vcc_lo, v17, 2
	v_add_co_ci_u32_e32 v18, vcc_lo, 0, v18, vcc_lo
	v_add_co_u32 v19, vcc_lo, v19, 2
	v_add_co_ci_u32_e32 v20, vcc_lo, 0, v20, vcc_lo
	s_add_u32 s4, s14, -1
	s_addc_u32 s5, s15, -1
	s_mov_b64 s[6:7], 0
	s_mov_b32 s35, 0
                                        ; implicit-def: $sgpr36
	s_set_inst_prefetch_distance 0x1
	s_branch .LBB1203_322
	.p2align	6
.LBB1203_320:                           ;   in Loop: Header=BB1203_322 Depth=1
	global_load_u16 v21, v[17:18], off
	global_load_u16 v22, v[19:20], off
	v_add_co_u32 v17, vcc_lo, v17, 2
	v_add_co_ci_u32_e32 v18, vcc_lo, 0, v18, vcc_lo
	v_add_co_u32 v19, s0, v19, 2
	s_delay_alu instid0(VALU_DEP_1)
	v_add_co_ci_u32_e64 v20, s0, 0, v20, s0
	s_add_u32 s6, s6, 1
	s_addc_u32 s7, s7, 0
	s_and_not1_b32 s0, s36, exec_lo
	s_waitcnt vmcnt(1)
	v_lshlrev_b32_e32 v21, 16, v21
	s_waitcnt vmcnt(0)
	v_lshlrev_b32_e32 v22, 16, v22
	s_delay_alu instid0(VALU_DEP_1) | instskip(SKIP_1) | instid1(SALU_CYCLE_1)
	v_cmp_neq_f32_e32 vcc_lo, v22, v21
	s_and_b32 s36, vcc_lo, exec_lo
	s_or_b32 s36, s0, s36
.LBB1203_321:                           ;   in Loop: Header=BB1203_322 Depth=1
	v_dual_mov_b32 v22, s7 :: v_dual_mov_b32 v21, s6
	s_and_b32 s0, exec_lo, s36
	s_delay_alu instid0(SALU_CYCLE_1) | instskip(NEXT) | instid1(SALU_CYCLE_1)
	s_or_b32 s35, s0, s35
	s_and_not1_b32 exec_lo, exec_lo, s35
	s_cbranch_execz .LBB1203_324
.LBB1203_322:                           ; =>This Inner Loop Header: Depth=1
	s_or_b32 s36, s36, exec_lo
	s_cmp_eq_u64 s[4:5], s[6:7]
	s_cbranch_scc0 .LBB1203_320
; %bb.323:                              ;   in Loop: Header=BB1203_322 Depth=1
	s_mov_b64 s[6:7], s[14:15]
                                        ; implicit-def: $vgpr17_vgpr18
                                        ; implicit-def: $vgpr19_vgpr20
	s_branch .LBB1203_321
.LBB1203_324:
	s_set_inst_prefetch_distance 0x2
	s_or_b32 exec_lo, exec_lo, s35
	v_cmp_gt_i64_e32 vcc_lo, s[14:15], v[21:22]
	s_or_not1_b32 s0, vcc_lo, exec_lo
.LBB1203_325:
	s_or_b32 exec_lo, exec_lo, s31
.LBB1203_326:
	s_delay_alu instid0(SALU_CYCLE_1)
	s_and_b32 s31, s0, exec_lo
.LBB1203_327:
	s_or_b32 exec_lo, exec_lo, s34
	v_or_b32_e32 v17, 2, v39
	s_mov_b32 s34, exec_lo
	s_delay_alu instid0(VALU_DEP_1)
	v_cmpx_gt_u32_e64 s12, v17
	s_cbranch_execz .LBB1203_338
; %bb.328:
	s_and_not1_b32 vcc_lo, exec_lo, s26
	s_mov_b32 s0, 0
	s_cbranch_vccnz .LBB1203_337
; %bb.329:
	v_mul_lo_u32 v21, v10, s14
	v_mul_lo_u32 v22, v9, s15
	v_mad_u64_u32 v[17:18], null, v9, s14, 0
	v_mul_lo_u32 v23, v16, s14
	v_mul_lo_u32 v24, v15, s15
	v_mad_u64_u32 v[19:20], null, v15, s14, 0
	s_mov_b32 s0, -1
	s_mov_b32 s33, exec_lo
	s_delay_alu instid0(VALU_DEP_4) | instskip(NEXT) | instid1(VALU_DEP_2)
	v_add3_u32 v18, v18, v22, v21
	v_add3_u32 v20, v20, v24, v23
	s_delay_alu instid0(VALU_DEP_2) | instskip(NEXT) | instid1(VALU_DEP_2)
	v_lshlrev_b64 v[17:18], 1, v[17:18]
	v_lshlrev_b64 v[19:20], 1, v[19:20]
	s_delay_alu instid0(VALU_DEP_2) | instskip(NEXT) | instid1(VALU_DEP_3)
	v_add_co_u32 v17, vcc_lo, s16, v17
	v_add_co_ci_u32_e32 v18, vcc_lo, s17, v18, vcc_lo
	s_delay_alu instid0(VALU_DEP_3) | instskip(NEXT) | instid1(VALU_DEP_4)
	v_add_co_u32 v19, vcc_lo, s16, v19
	v_add_co_ci_u32_e32 v20, vcc_lo, s17, v20, vcc_lo
	s_clause 0x1
	global_load_u16 v21, v[17:18], off
	global_load_u16 v22, v[19:20], off
	s_waitcnt vmcnt(1)
	v_lshlrev_b32_e32 v21, 16, v21
	s_waitcnt vmcnt(0)
	v_lshlrev_b32_e32 v22, 16, v22
	s_delay_alu instid0(VALU_DEP_1)
	v_cmpx_eq_f32_e32 v22, v21
	s_cbranch_execz .LBB1203_336
; %bb.330:
	v_add_co_u32 v17, vcc_lo, v17, 2
	v_add_co_ci_u32_e32 v18, vcc_lo, 0, v18, vcc_lo
	v_add_co_u32 v19, vcc_lo, v19, 2
	v_add_co_ci_u32_e32 v20, vcc_lo, 0, v20, vcc_lo
	s_add_u32 s4, s14, -1
	s_addc_u32 s5, s15, -1
	s_mov_b64 s[6:7], 0
	s_mov_b32 s35, 0
                                        ; implicit-def: $sgpr36
	s_set_inst_prefetch_distance 0x1
	s_branch .LBB1203_333
	.p2align	6
.LBB1203_331:                           ;   in Loop: Header=BB1203_333 Depth=1
	global_load_u16 v21, v[17:18], off
	global_load_u16 v22, v[19:20], off
	v_add_co_u32 v17, vcc_lo, v17, 2
	v_add_co_ci_u32_e32 v18, vcc_lo, 0, v18, vcc_lo
	v_add_co_u32 v19, s0, v19, 2
	s_delay_alu instid0(VALU_DEP_1)
	v_add_co_ci_u32_e64 v20, s0, 0, v20, s0
	s_add_u32 s6, s6, 1
	s_addc_u32 s7, s7, 0
	s_and_not1_b32 s0, s36, exec_lo
	s_waitcnt vmcnt(1)
	v_lshlrev_b32_e32 v21, 16, v21
	s_waitcnt vmcnt(0)
	v_lshlrev_b32_e32 v22, 16, v22
	s_delay_alu instid0(VALU_DEP_1) | instskip(SKIP_1) | instid1(SALU_CYCLE_1)
	v_cmp_neq_f32_e32 vcc_lo, v22, v21
	s_and_b32 s36, vcc_lo, exec_lo
	s_or_b32 s36, s0, s36
.LBB1203_332:                           ;   in Loop: Header=BB1203_333 Depth=1
	v_dual_mov_b32 v22, s7 :: v_dual_mov_b32 v21, s6
	s_and_b32 s0, exec_lo, s36
	s_delay_alu instid0(SALU_CYCLE_1) | instskip(NEXT) | instid1(SALU_CYCLE_1)
	s_or_b32 s35, s0, s35
	s_and_not1_b32 exec_lo, exec_lo, s35
	s_cbranch_execz .LBB1203_335
.LBB1203_333:                           ; =>This Inner Loop Header: Depth=1
	s_or_b32 s36, s36, exec_lo
	s_cmp_eq_u64 s[4:5], s[6:7]
	s_cbranch_scc0 .LBB1203_331
; %bb.334:                              ;   in Loop: Header=BB1203_333 Depth=1
	s_mov_b64 s[6:7], s[14:15]
                                        ; implicit-def: $vgpr17_vgpr18
                                        ; implicit-def: $vgpr19_vgpr20
	s_branch .LBB1203_332
.LBB1203_335:
	s_set_inst_prefetch_distance 0x2
	s_or_b32 exec_lo, exec_lo, s35
	v_cmp_gt_i64_e32 vcc_lo, s[14:15], v[21:22]
	s_or_not1_b32 s0, vcc_lo, exec_lo
.LBB1203_336:
	s_or_b32 exec_lo, exec_lo, s33
.LBB1203_337:
	s_delay_alu instid0(SALU_CYCLE_1)
	s_and_b32 s33, s0, exec_lo
.LBB1203_338:
	s_or_b32 exec_lo, exec_lo, s34
	v_or_b32_e32 v17, 1, v39
	s_mov_b32 s0, 0
	s_mov_b32 s34, exec_lo
	s_delay_alu instid0(VALU_DEP_1)
	v_cmpx_gt_u32_e64 s12, v17
	s_cbranch_execz .LBB1203_349
; %bb.339:
	s_and_not1_b32 vcc_lo, exec_lo, s26
	s_cbranch_vccnz .LBB1203_348
; %bb.340:
	v_mul_lo_u32 v21, v16, s14
	v_mul_lo_u32 v22, v15, s15
	v_mad_u64_u32 v[17:18], null, v15, s14, 0
	v_mul_lo_u32 v23, v14, s14
	v_mul_lo_u32 v24, v13, s15
	v_mad_u64_u32 v[19:20], null, v13, s14, 0
	s_mov_b32 s0, -1
	s_mov_b32 s35, exec_lo
	s_delay_alu instid0(VALU_DEP_4) | instskip(NEXT) | instid1(VALU_DEP_2)
	v_add3_u32 v18, v18, v22, v21
	v_add3_u32 v20, v20, v24, v23
	s_delay_alu instid0(VALU_DEP_2) | instskip(NEXT) | instid1(VALU_DEP_2)
	v_lshlrev_b64 v[17:18], 1, v[17:18]
	v_lshlrev_b64 v[19:20], 1, v[19:20]
	s_delay_alu instid0(VALU_DEP_2) | instskip(NEXT) | instid1(VALU_DEP_3)
	v_add_co_u32 v17, vcc_lo, s16, v17
	v_add_co_ci_u32_e32 v18, vcc_lo, s17, v18, vcc_lo
	s_delay_alu instid0(VALU_DEP_3) | instskip(NEXT) | instid1(VALU_DEP_4)
	v_add_co_u32 v19, vcc_lo, s16, v19
	v_add_co_ci_u32_e32 v20, vcc_lo, s17, v20, vcc_lo
	s_clause 0x1
	global_load_u16 v21, v[17:18], off
	global_load_u16 v22, v[19:20], off
	s_waitcnt vmcnt(1)
	v_lshlrev_b32_e32 v21, 16, v21
	s_waitcnt vmcnt(0)
	v_lshlrev_b32_e32 v22, 16, v22
	s_delay_alu instid0(VALU_DEP_1)
	v_cmpx_eq_f32_e32 v22, v21
	s_cbranch_execz .LBB1203_347
; %bb.341:
	v_add_co_u32 v17, vcc_lo, v17, 2
	v_add_co_ci_u32_e32 v18, vcc_lo, 0, v18, vcc_lo
	v_add_co_u32 v19, vcc_lo, v19, 2
	v_add_co_ci_u32_e32 v20, vcc_lo, 0, v20, vcc_lo
	s_add_u32 s4, s14, -1
	s_addc_u32 s5, s15, -1
	s_mov_b64 s[6:7], 0
	s_mov_b32 s36, 0
                                        ; implicit-def: $sgpr37
	s_set_inst_prefetch_distance 0x1
	s_branch .LBB1203_344
	.p2align	6
.LBB1203_342:                           ;   in Loop: Header=BB1203_344 Depth=1
	global_load_u16 v21, v[17:18], off
	global_load_u16 v22, v[19:20], off
	v_add_co_u32 v17, vcc_lo, v17, 2
	v_add_co_ci_u32_e32 v18, vcc_lo, 0, v18, vcc_lo
	v_add_co_u32 v19, s0, v19, 2
	s_delay_alu instid0(VALU_DEP_1)
	v_add_co_ci_u32_e64 v20, s0, 0, v20, s0
	s_add_u32 s6, s6, 1
	s_addc_u32 s7, s7, 0
	s_and_not1_b32 s0, s37, exec_lo
	s_waitcnt vmcnt(1)
	v_lshlrev_b32_e32 v21, 16, v21
	s_waitcnt vmcnt(0)
	v_lshlrev_b32_e32 v22, 16, v22
	s_delay_alu instid0(VALU_DEP_1) | instskip(SKIP_1) | instid1(SALU_CYCLE_1)
	v_cmp_neq_f32_e32 vcc_lo, v22, v21
	s_and_b32 s37, vcc_lo, exec_lo
	s_or_b32 s37, s0, s37
.LBB1203_343:                           ;   in Loop: Header=BB1203_344 Depth=1
	v_dual_mov_b32 v22, s7 :: v_dual_mov_b32 v21, s6
	s_and_b32 s0, exec_lo, s37
	s_delay_alu instid0(SALU_CYCLE_1) | instskip(NEXT) | instid1(SALU_CYCLE_1)
	s_or_b32 s36, s0, s36
	s_and_not1_b32 exec_lo, exec_lo, s36
	s_cbranch_execz .LBB1203_346
.LBB1203_344:                           ; =>This Inner Loop Header: Depth=1
	s_or_b32 s37, s37, exec_lo
	s_cmp_eq_u64 s[4:5], s[6:7]
	s_cbranch_scc0 .LBB1203_342
; %bb.345:                              ;   in Loop: Header=BB1203_344 Depth=1
	s_mov_b64 s[6:7], s[14:15]
                                        ; implicit-def: $vgpr17_vgpr18
                                        ; implicit-def: $vgpr19_vgpr20
	s_branch .LBB1203_343
.LBB1203_346:
	s_set_inst_prefetch_distance 0x2
	s_or_b32 exec_lo, exec_lo, s36
	v_cmp_gt_i64_e32 vcc_lo, s[14:15], v[21:22]
	s_or_not1_b32 s0, vcc_lo, exec_lo
.LBB1203_347:
	s_or_b32 exec_lo, exec_lo, s35
.LBB1203_348:
	s_delay_alu instid0(SALU_CYCLE_1)
	s_and_b32 s0, s0, exec_lo
.LBB1203_349:
	s_or_b32 exec_lo, exec_lo, s34
	v_cndmask_b32_e64 v18, 0, 1, s31
	v_cndmask_b32_e64 v19, 0, 1, s30
	v_cndmask_b32_e64 v20, 0, 1, s28
	v_cndmask_b32_e64 v21, 0, 1, s0
	v_cndmask_b32_e64 v17, 0, 1, s33
	v_cndmask_b32_e64 v22, 0, 1, s29
	v_cndmask_b32_e64 v23, 0, 1, s27
	v_lshlrev_b16 v19, 8, v19
	v_lshlrev_b16 v20, 8, v20
	;; [unrolled: 1-line block ×4, first 2 shown]
	s_waitcnt lgkmcnt(0)
	v_or_b32_e32 v19, v22, v19
	v_or_b32_e32 v20, v23, v20
	;; [unrolled: 1-line block ×4, first 2 shown]
	s_barrier
	v_and_b32_e32 v18, 0xffff, v19
	v_lshlrev_b32_e32 v19, 16, v20
	v_and_b32_e32 v21, 0xffff, v21
	v_lshlrev_b32_e32 v17, 16, v17
	buffer_gl0_inv
                                        ; implicit-def: $sgpr0
	v_or_b32_e32 v20, v18, v19
	v_or_b32_e32 v19, v21, v17
	s_and_saveexec_b32 s27, s3
	s_cbranch_execz .LBB1203_362
; %bb.350:
	s_mov_b32 s0, 0
	s_mov_b32 s3, exec_lo
	v_cmpx_gt_u32_e64 s12, v39
	s_cbranch_execz .LBB1203_361
; %bb.351:
	s_and_not1_b32 vcc_lo, exec_lo, s26
	s_cbranch_vccnz .LBB1203_360
; %bb.352:
	v_add_nc_u32_e32 v17, -8, v39
	v_mul_lo_u32 v25, v14, s14
	v_mul_lo_u32 v26, v13, s15
	v_mad_u64_u32 v[21:22], null, v13, s14, 0
	ds_load_b64 v[17:18], v17
	s_mov_b32 s0, -1
	v_add3_u32 v22, v22, v26, v25
	s_waitcnt lgkmcnt(0)
	v_mul_lo_u32 v18, v18, s14
	v_mul_lo_u32 v27, v17, s15
	v_mad_u64_u32 v[23:24], null, v17, s14, 0
	s_delay_alu instid0(VALU_DEP_1) | instskip(SKIP_1) | instid1(VALU_DEP_2)
	v_add3_u32 v24, v24, v27, v18
	v_lshlrev_b64 v[17:18], 1, v[21:22]
	v_lshlrev_b64 v[21:22], 1, v[23:24]
	s_delay_alu instid0(VALU_DEP_2) | instskip(NEXT) | instid1(VALU_DEP_3)
	v_add_co_u32 v17, vcc_lo, s16, v17
	v_add_co_ci_u32_e32 v18, vcc_lo, s17, v18, vcc_lo
	s_delay_alu instid0(VALU_DEP_3) | instskip(NEXT) | instid1(VALU_DEP_4)
	v_add_co_u32 v21, vcc_lo, s16, v21
	v_add_co_ci_u32_e32 v22, vcc_lo, s17, v22, vcc_lo
	s_clause 0x1
	global_load_u16 v23, v[17:18], off
	global_load_u16 v24, v[21:22], off
	s_mov_b32 s16, exec_lo
	s_waitcnt vmcnt(1)
	v_lshlrev_b32_e32 v23, 16, v23
	s_waitcnt vmcnt(0)
	v_lshlrev_b32_e32 v24, 16, v24
	s_delay_alu instid0(VALU_DEP_1)
	v_cmpx_eq_f32_e32 v24, v23
	s_cbranch_execz .LBB1203_359
; %bb.353:
	v_add_co_u32 v17, vcc_lo, v17, 2
	v_add_co_ci_u32_e32 v18, vcc_lo, 0, v18, vcc_lo
	v_add_co_u32 v21, vcc_lo, v21, 2
	v_add_co_ci_u32_e32 v22, vcc_lo, 0, v22, vcc_lo
	s_add_u32 s4, s14, -1
	s_addc_u32 s5, s15, -1
	s_mov_b64 s[6:7], 0
	s_mov_b32 s17, 0
                                        ; implicit-def: $sgpr26
	s_set_inst_prefetch_distance 0x1
	s_branch .LBB1203_356
	.p2align	6
.LBB1203_354:                           ;   in Loop: Header=BB1203_356 Depth=1
	global_load_u16 v23, v[17:18], off
	global_load_u16 v24, v[21:22], off
	v_add_co_u32 v17, vcc_lo, v17, 2
	v_add_co_ci_u32_e32 v18, vcc_lo, 0, v18, vcc_lo
	v_add_co_u32 v21, s0, v21, 2
	s_delay_alu instid0(VALU_DEP_1)
	v_add_co_ci_u32_e64 v22, s0, 0, v22, s0
	s_add_u32 s6, s6, 1
	s_addc_u32 s7, s7, 0
	s_and_not1_b32 s0, s26, exec_lo
	s_waitcnt vmcnt(1)
	v_lshlrev_b32_e32 v23, 16, v23
	s_waitcnt vmcnt(0)
	v_lshlrev_b32_e32 v24, 16, v24
	s_delay_alu instid0(VALU_DEP_1) | instskip(SKIP_1) | instid1(SALU_CYCLE_1)
	v_cmp_neq_f32_e32 vcc_lo, v24, v23
	s_and_b32 s26, vcc_lo, exec_lo
	s_or_b32 s26, s0, s26
.LBB1203_355:                           ;   in Loop: Header=BB1203_356 Depth=1
	v_dual_mov_b32 v24, s7 :: v_dual_mov_b32 v23, s6
	s_and_b32 s0, exec_lo, s26
	s_delay_alu instid0(SALU_CYCLE_1) | instskip(NEXT) | instid1(SALU_CYCLE_1)
	s_or_b32 s17, s0, s17
	s_and_not1_b32 exec_lo, exec_lo, s17
	s_cbranch_execz .LBB1203_358
.LBB1203_356:                           ; =>This Inner Loop Header: Depth=1
	s_or_b32 s26, s26, exec_lo
	s_cmp_eq_u64 s[4:5], s[6:7]
	s_cbranch_scc0 .LBB1203_354
; %bb.357:                              ;   in Loop: Header=BB1203_356 Depth=1
	s_mov_b64 s[6:7], s[14:15]
                                        ; implicit-def: $vgpr17_vgpr18
                                        ; implicit-def: $vgpr21_vgpr22
	s_branch .LBB1203_355
.LBB1203_358:
	s_set_inst_prefetch_distance 0x2
	s_or_b32 exec_lo, exec_lo, s17
	v_cmp_gt_i64_e32 vcc_lo, s[14:15], v[23:24]
	s_or_not1_b32 s0, vcc_lo, exec_lo
.LBB1203_359:
	s_or_b32 exec_lo, exec_lo, s16
.LBB1203_360:
	s_delay_alu instid0(SALU_CYCLE_1)
	s_and_b32 s0, s0, exec_lo
.LBB1203_361:
	s_or_b32 exec_lo, exec_lo, s3
	s_delay_alu instid0(SALU_CYCLE_1)
	s_and_b32 s0, s0, exec_lo
	s_or_b32 s25, s25, exec_lo
.LBB1203_362:
	s_or_b32 exec_lo, exec_lo, s27
.LBB1203_363:
	s_and_saveexec_b32 s3, s25
	s_cbranch_execz .LBB1203_365
; %bb.364:
	s_waitcnt vmcnt(0) lgkmcnt(0)
	v_and_b32_e32 v17, 0xffffff00, v19
	v_cndmask_b32_e64 v18, 0, 1, s0
	s_delay_alu instid0(VALU_DEP_1) | instskip(NEXT) | instid1(VALU_DEP_1)
	v_or_b32_e32 v17, v18, v17
	v_and_b32_e32 v17, 0xffff, v17
	s_delay_alu instid0(VALU_DEP_1)
	v_and_or_b32 v19, 0xffff0000, v19, v17
.LBB1203_365:
	s_or_b32 exec_lo, exec_lo, s3
	s_delay_alu instid0(SALU_CYCLE_1)
	s_and_not1_b32 vcc_lo, exec_lo, s1
	s_cbranch_vccnz .LBB1203_367
; %bb.366:
	v_cmp_gt_u32_e32 vcc_lo, s12, v39
	s_waitcnt vmcnt(0) lgkmcnt(0)
	v_or_b32_e32 v18, 1, v39
	v_and_b32_e32 v21, 0xffffff00, v20
	v_or_b32_e32 v22, 2, v39
	v_cndmask_b32_e32 v17, 0, v19, vcc_lo
	s_delay_alu instid0(VALU_DEP_4) | instskip(SKIP_1) | instid1(VALU_DEP_4)
	v_cmp_gt_u32_e32 vcc_lo, s12, v18
	v_or_b32_e32 v18, 4, v39
	v_cmp_gt_u32_e64 s0, s12, v22
	v_or_b32_e32 v22, 3, v39
	v_and_b32_e32 v17, 0xff, v17
	s_delay_alu instid0(VALU_DEP_2) | instskip(NEXT) | instid1(VALU_DEP_2)
	v_cmp_gt_u32_e64 s1, s12, v22
	v_cndmask_b32_e32 v17, v17, v19, vcc_lo
	v_cmp_gt_u32_e32 vcc_lo, s12, v18
	v_cndmask_b32_e32 v18, v21, v20, vcc_lo
	v_or_b32_e32 v21, 5, v39
	s_delay_alu instid0(VALU_DEP_2) | instskip(SKIP_1) | instid1(VALU_DEP_1)
	v_and_b32_e32 v18, 0xffff00ff, v18
	v_and_b32_e32 v17, 0xffff, v17
	v_cndmask_b32_e64 v17, v17, v19, s0
	s_delay_alu instid0(VALU_DEP_4) | instskip(SKIP_1) | instid1(VALU_DEP_3)
	v_cmp_gt_u32_e64 s0, s12, v21
	v_or_b32_e32 v21, 6, v39
	v_and_b32_e32 v17, 0xffffff, v17
	s_delay_alu instid0(VALU_DEP_3) | instskip(NEXT) | instid1(VALU_DEP_2)
	v_cndmask_b32_e64 v18, v18, v20, s0
	v_cndmask_b32_e64 v17, v17, v19, s1
	s_delay_alu instid0(VALU_DEP_1) | instskip(SKIP_2) | instid1(VALU_DEP_3)
	v_dual_cndmask_b32 v17, v17, v19 :: v_dual_and_b32 v18, 0xff00ffff, v18
	v_cmp_gt_u32_e32 vcc_lo, s12, v21
	v_or_b32_e32 v21, 7, v39
	v_cndmask_b32_e64 v17, v17, v19, s0
	s_delay_alu instid0(VALU_DEP_1) | instskip(NEXT) | instid1(VALU_DEP_1)
	v_dual_cndmask_b32 v18, v18, v20 :: v_dual_cndmask_b32 v17, v17, v19
	v_and_b32_e32 v18, 0xffffff, v18
	s_delay_alu instid0(VALU_DEP_4) | instskip(NEXT) | instid1(VALU_DEP_2)
	v_cmp_gt_u32_e32 vcc_lo, s12, v21
	v_dual_cndmask_b32 v20, v18, v20 :: v_dual_cndmask_b32 v19, v17, v19
.LBB1203_367:
	s_delay_alu instid0(VALU_DEP_1) | instskip(SKIP_1) | instid1(VALU_DEP_2)
	v_and_b32_e32 v28, 0xff, v19
	s_waitcnt vmcnt(0) lgkmcnt(0)
	v_alignbit_b32 v17, v20, v19, 24
	v_bfe_u32 v30, v19, 8, 8
	v_bfe_u32 v32, v19, 16, 8
	v_and_b32_e32 v36, 0xff, v20
	v_bfe_u32 v38, v20, 8, 8
	v_and_b32_e32 v34, 0xff, v17
	v_add_nc_u32_e32 v17, v30, v28
	v_mbcnt_lo_u32_b32 v42, -1, 0
	v_bfe_u32 v41, v20, 16, 8
	v_lshrrev_b32_e32 v40, 24, v20
	v_lshrrev_b32_e32 v43, 5, v0
	v_add3_u32 v17, v17, v32, v34
	v_and_b32_e32 v18, 15, v42
	v_and_b32_e32 v21, 16, v42
	s_and_b32 vcc_lo, exec_lo, s24
	s_mov_b32 s7, -1
	v_add3_u32 v17, v17, v36, v38
	v_cmp_eq_u32_e64 s3, 0, v18
	v_cmp_lt_u32_e64 s0, 1, v18
	v_cmp_lt_u32_e64 s4, 3, v18
	;; [unrolled: 1-line block ×3, first 2 shown]
	v_add3_u32 v44, v17, v41, v40
	v_or_b32_e32 v17, 31, v0
	v_cmp_eq_u32_e64 s6, 0, v21
	s_barrier
	buffer_gl0_inv
	v_cmp_eq_u32_e64 s5, v17, v0
	s_cbranch_vccz .LBB1203_393
; %bb.368:
	v_mov_b32_dpp v17, v44 row_shr:1 row_mask:0xf bank_mask:0xf
	s_delay_alu instid0(VALU_DEP_1) | instskip(NEXT) | instid1(VALU_DEP_1)
	v_cndmask_b32_e64 v17, v17, 0, s3
	v_add_nc_u32_e32 v17, v17, v44
	s_delay_alu instid0(VALU_DEP_1) | instskip(NEXT) | instid1(VALU_DEP_1)
	v_mov_b32_dpp v18, v17 row_shr:2 row_mask:0xf bank_mask:0xf
	v_cndmask_b32_e64 v18, 0, v18, s0
	s_delay_alu instid0(VALU_DEP_1) | instskip(NEXT) | instid1(VALU_DEP_1)
	v_add_nc_u32_e32 v17, v17, v18
	v_mov_b32_dpp v18, v17 row_shr:4 row_mask:0xf bank_mask:0xf
	s_delay_alu instid0(VALU_DEP_1) | instskip(NEXT) | instid1(VALU_DEP_1)
	v_cndmask_b32_e64 v18, 0, v18, s4
	v_add_nc_u32_e32 v17, v17, v18
	s_delay_alu instid0(VALU_DEP_1) | instskip(NEXT) | instid1(VALU_DEP_1)
	v_mov_b32_dpp v18, v17 row_shr:8 row_mask:0xf bank_mask:0xf
	v_cndmask_b32_e64 v18, 0, v18, s1
	s_delay_alu instid0(VALU_DEP_1) | instskip(SKIP_3) | instid1(VALU_DEP_1)
	v_add_nc_u32_e32 v17, v17, v18
	ds_swizzle_b32 v18, v17 offset:swizzle(BROADCAST,32,15)
	s_waitcnt lgkmcnt(0)
	v_cndmask_b32_e64 v18, v18, 0, s6
	v_add_nc_u32_e32 v17, v17, v18
	s_and_saveexec_b32 s7, s5
	s_cbranch_execz .LBB1203_370
; %bb.369:
	v_lshlrev_b32_e32 v18, 2, v43
	ds_store_b32 v18, v17
.LBB1203_370:
	s_or_b32 exec_lo, exec_lo, s7
	s_delay_alu instid0(SALU_CYCLE_1)
	s_mov_b32 s7, exec_lo
	s_waitcnt lgkmcnt(0)
	s_barrier
	buffer_gl0_inv
	v_cmpx_gt_u32_e32 16, v0
	s_cbranch_execz .LBB1203_372
; %bb.371:
	v_lshlrev_b32_e32 v18, 2, v0
	ds_load_b32 v21, v18
	s_waitcnt lgkmcnt(0)
	v_mov_b32_dpp v22, v21 row_shr:1 row_mask:0xf bank_mask:0xf
	s_delay_alu instid0(VALU_DEP_1) | instskip(NEXT) | instid1(VALU_DEP_1)
	v_cndmask_b32_e64 v22, v22, 0, s3
	v_add_nc_u32_e32 v21, v22, v21
	s_delay_alu instid0(VALU_DEP_1) | instskip(NEXT) | instid1(VALU_DEP_1)
	v_mov_b32_dpp v22, v21 row_shr:2 row_mask:0xf bank_mask:0xf
	v_cndmask_b32_e64 v22, 0, v22, s0
	s_delay_alu instid0(VALU_DEP_1) | instskip(NEXT) | instid1(VALU_DEP_1)
	v_add_nc_u32_e32 v21, v21, v22
	v_mov_b32_dpp v22, v21 row_shr:4 row_mask:0xf bank_mask:0xf
	s_delay_alu instid0(VALU_DEP_1) | instskip(NEXT) | instid1(VALU_DEP_1)
	v_cndmask_b32_e64 v22, 0, v22, s4
	v_add_nc_u32_e32 v21, v21, v22
	s_delay_alu instid0(VALU_DEP_1) | instskip(NEXT) | instid1(VALU_DEP_1)
	v_mov_b32_dpp v22, v21 row_shr:8 row_mask:0xf bank_mask:0xf
	v_cndmask_b32_e64 v22, 0, v22, s1
	s_delay_alu instid0(VALU_DEP_1)
	v_add_nc_u32_e32 v21, v21, v22
	ds_store_b32 v18, v21
.LBB1203_372:
	s_or_b32 exec_lo, exec_lo, s7
	v_cmp_gt_u32_e32 vcc_lo, 32, v0
	s_mov_b32 s12, exec_lo
	s_waitcnt lgkmcnt(0)
	s_barrier
	buffer_gl0_inv
                                        ; implicit-def: $vgpr27
	v_cmpx_lt_u32_e32 31, v0
	s_cbranch_execz .LBB1203_374
; %bb.373:
	v_lshl_add_u32 v18, v43, 2, -4
	ds_load_b32 v27, v18
	s_waitcnt lgkmcnt(0)
	v_add_nc_u32_e32 v17, v27, v17
.LBB1203_374:
	s_or_b32 exec_lo, exec_lo, s12
	v_add_nc_u32_e32 v18, -1, v42
	s_delay_alu instid0(VALU_DEP_1) | instskip(NEXT) | instid1(VALU_DEP_1)
	v_cmp_gt_i32_e64 s7, 0, v18
	v_cndmask_b32_e64 v18, v18, v42, s7
	v_cmp_eq_u32_e64 s7, 0, v42
	s_delay_alu instid0(VALU_DEP_2)
	v_lshlrev_b32_e32 v18, 2, v18
	ds_bpermute_b32 v29, v18, v17
	s_and_saveexec_b32 s12, vcc_lo
	s_cbranch_execz .LBB1203_392
; %bb.375:
	v_mov_b32_e32 v23, 0
	ds_load_b32 v17, v23 offset:60
	s_and_saveexec_b32 s14, s7
	s_cbranch_execz .LBB1203_377
; %bb.376:
	s_add_i32 s16, s23, 32
	s_mov_b32 s17, 0
	v_mov_b32_e32 v18, 1
	s_lshl_b64 s[16:17], s[16:17], 3
	s_delay_alu instid0(SALU_CYCLE_1)
	s_add_u32 s16, s18, s16
	s_addc_u32 s17, s19, s17
	s_waitcnt lgkmcnt(0)
	global_store_b64 v23, v[17:18], s[16:17]
.LBB1203_377:
	s_or_b32 exec_lo, exec_lo, s14
	v_xad_u32 v21, v42, -1, s23
	s_mov_b32 s15, 0
	s_mov_b32 s14, exec_lo
	s_delay_alu instid0(VALU_DEP_1) | instskip(NEXT) | instid1(VALU_DEP_1)
	v_add_nc_u32_e32 v22, 32, v21
	v_lshlrev_b64 v[22:23], 3, v[22:23]
	s_delay_alu instid0(VALU_DEP_1) | instskip(NEXT) | instid1(VALU_DEP_2)
	v_add_co_u32 v25, vcc_lo, s18, v22
	v_add_co_ci_u32_e32 v26, vcc_lo, s19, v23, vcc_lo
	global_load_b64 v[23:24], v[25:26], off glc
	s_waitcnt vmcnt(0)
	v_and_b32_e32 v18, 0xff, v24
	s_delay_alu instid0(VALU_DEP_1)
	v_cmpx_eq_u16_e32 0, v18
	s_cbranch_execz .LBB1203_380
.LBB1203_378:                           ; =>This Inner Loop Header: Depth=1
	global_load_b64 v[23:24], v[25:26], off glc
	s_waitcnt vmcnt(0)
	v_and_b32_e32 v18, 0xff, v24
	s_delay_alu instid0(VALU_DEP_1) | instskip(SKIP_1) | instid1(SALU_CYCLE_1)
	v_cmp_ne_u16_e32 vcc_lo, 0, v18
	s_or_b32 s15, vcc_lo, s15
	s_and_not1_b32 exec_lo, exec_lo, s15
	s_cbranch_execnz .LBB1203_378
; %bb.379:
	s_or_b32 exec_lo, exec_lo, s15
.LBB1203_380:
	s_delay_alu instid0(SALU_CYCLE_1)
	s_or_b32 exec_lo, exec_lo, s14
	v_cmp_ne_u32_e32 vcc_lo, 31, v42
	v_and_b32_e32 v22, 0xff, v24
	v_lshlrev_b32_e64 v31, v42, -1
	v_add_nc_u32_e32 v35, 2, v42
	v_add_nc_u32_e32 v45, 4, v42
	v_add_co_ci_u32_e32 v18, vcc_lo, 0, v42, vcc_lo
	v_cmp_eq_u16_e32 vcc_lo, 2, v22
	v_add_nc_u32_e32 v48, 8, v42
	v_add_nc_u32_e32 v50, 16, v42
	v_and_or_b32 v22, vcc_lo, v31, 0x80000000
	v_cmp_gt_u32_e32 vcc_lo, 30, v42
	s_delay_alu instid0(VALU_DEP_2) | instskip(SKIP_1) | instid1(VALU_DEP_2)
	v_ctz_i32_b32_e32 v22, v22
	v_cndmask_b32_e64 v26, 0, 1, vcc_lo
	v_cmp_lt_u32_e32 vcc_lo, v42, v22
	v_lshlrev_b32_e32 v18, 2, v18
	s_delay_alu instid0(VALU_DEP_3)
	v_lshlrev_b32_e32 v26, 1, v26
	ds_bpermute_b32 v25, v18, v23
	v_add_lshl_u32 v33, v26, v42, 2
	s_waitcnt lgkmcnt(0)
	v_cndmask_b32_e32 v25, 0, v25, vcc_lo
	v_cmp_gt_u32_e32 vcc_lo, 28, v42
	s_delay_alu instid0(VALU_DEP_2) | instskip(SKIP_4) | instid1(VALU_DEP_1)
	v_add_nc_u32_e32 v23, v25, v23
	v_cndmask_b32_e64 v26, 0, 1, vcc_lo
	v_cmp_le_u32_e32 vcc_lo, v35, v22
	ds_bpermute_b32 v25, v33, v23
	v_lshlrev_b32_e32 v26, 2, v26
	v_add_lshl_u32 v37, v26, v42, 2
	s_waitcnt lgkmcnt(0)
	v_cndmask_b32_e32 v25, 0, v25, vcc_lo
	v_cmp_gt_u32_e32 vcc_lo, 24, v42
	s_delay_alu instid0(VALU_DEP_2) | instskip(SKIP_4) | instid1(VALU_DEP_1)
	v_add_nc_u32_e32 v23, v23, v25
	v_cndmask_b32_e64 v26, 0, 1, vcc_lo
	v_cmp_le_u32_e32 vcc_lo, v45, v22
	ds_bpermute_b32 v25, v37, v23
	v_lshlrev_b32_e32 v26, 3, v26
	;; [unrolled: 10-line block ×3, first 2 shown]
	v_add_lshl_u32 v49, v26, v42, 2
	s_waitcnt lgkmcnt(0)
	v_cndmask_b32_e32 v25, 0, v25, vcc_lo
	v_cmp_le_u32_e32 vcc_lo, v50, v22
	s_delay_alu instid0(VALU_DEP_2) | instskip(SKIP_3) | instid1(VALU_DEP_1)
	v_add_nc_u32_e32 v23, v23, v25
	ds_bpermute_b32 v25, v49, v23
	s_waitcnt lgkmcnt(0)
	v_cndmask_b32_e32 v22, 0, v25, vcc_lo
	v_dual_mov_b32 v22, 0 :: v_dual_add_nc_u32 v23, v23, v22
	s_branch .LBB1203_382
.LBB1203_381:                           ;   in Loop: Header=BB1203_382 Depth=1
	s_or_b32 exec_lo, exec_lo, s14
	ds_bpermute_b32 v26, v18, v23
	v_and_b32_e32 v25, 0xff, v24
	v_subrev_nc_u32_e32 v21, 32, v21
	s_delay_alu instid0(VALU_DEP_2) | instskip(SKIP_1) | instid1(VALU_DEP_1)
	v_cmp_eq_u16_e32 vcc_lo, 2, v25
	v_and_or_b32 v25, vcc_lo, v31, 0x80000000
	v_ctz_i32_b32_e32 v25, v25
	s_delay_alu instid0(VALU_DEP_1) | instskip(SKIP_3) | instid1(VALU_DEP_2)
	v_cmp_lt_u32_e32 vcc_lo, v42, v25
	s_waitcnt lgkmcnt(0)
	v_cndmask_b32_e32 v26, 0, v26, vcc_lo
	v_cmp_le_u32_e32 vcc_lo, v35, v25
	v_add_nc_u32_e32 v23, v26, v23
	ds_bpermute_b32 v26, v33, v23
	s_waitcnt lgkmcnt(0)
	v_cndmask_b32_e32 v26, 0, v26, vcc_lo
	v_cmp_le_u32_e32 vcc_lo, v45, v25
	s_delay_alu instid0(VALU_DEP_2) | instskip(SKIP_4) | instid1(VALU_DEP_2)
	v_add_nc_u32_e32 v23, v23, v26
	ds_bpermute_b32 v26, v37, v23
	s_waitcnt lgkmcnt(0)
	v_cndmask_b32_e32 v26, 0, v26, vcc_lo
	v_cmp_le_u32_e32 vcc_lo, v48, v25
	v_add_nc_u32_e32 v23, v23, v26
	ds_bpermute_b32 v26, v47, v23
	s_waitcnt lgkmcnt(0)
	v_cndmask_b32_e32 v26, 0, v26, vcc_lo
	v_cmp_le_u32_e32 vcc_lo, v50, v25
	s_delay_alu instid0(VALU_DEP_2) | instskip(SKIP_3) | instid1(VALU_DEP_1)
	v_add_nc_u32_e32 v23, v23, v26
	ds_bpermute_b32 v26, v49, v23
	s_waitcnt lgkmcnt(0)
	v_cndmask_b32_e32 v25, 0, v26, vcc_lo
	v_add3_u32 v23, v25, v46, v23
.LBB1203_382:                           ; =>This Loop Header: Depth=1
                                        ;     Child Loop BB1203_385 Depth 2
	v_and_b32_e32 v24, 0xff, v24
	s_delay_alu instid0(VALU_DEP_2) | instskip(NEXT) | instid1(VALU_DEP_2)
	v_mov_b32_e32 v46, v23
	v_cmp_ne_u16_e32 vcc_lo, 2, v24
	v_cndmask_b32_e64 v24, 0, 1, vcc_lo
	;;#ASMSTART
	;;#ASMEND
	s_delay_alu instid0(VALU_DEP_1)
	v_cmp_ne_u32_e32 vcc_lo, 0, v24
	s_cmp_lg_u32 vcc_lo, exec_lo
	s_cbranch_scc1 .LBB1203_387
; %bb.383:                              ;   in Loop: Header=BB1203_382 Depth=1
	v_lshlrev_b64 v[23:24], 3, v[21:22]
	s_mov_b32 s14, exec_lo
	s_delay_alu instid0(VALU_DEP_1) | instskip(NEXT) | instid1(VALU_DEP_2)
	v_add_co_u32 v25, vcc_lo, s18, v23
	v_add_co_ci_u32_e32 v26, vcc_lo, s19, v24, vcc_lo
	global_load_b64 v[23:24], v[25:26], off glc
	s_waitcnt vmcnt(0)
	v_and_b32_e32 v51, 0xff, v24
	s_delay_alu instid0(VALU_DEP_1)
	v_cmpx_eq_u16_e32 0, v51
	s_cbranch_execz .LBB1203_381
; %bb.384:                              ;   in Loop: Header=BB1203_382 Depth=1
	s_mov_b32 s15, 0
.LBB1203_385:                           ;   Parent Loop BB1203_382 Depth=1
                                        ; =>  This Inner Loop Header: Depth=2
	global_load_b64 v[23:24], v[25:26], off glc
	s_waitcnt vmcnt(0)
	v_and_b32_e32 v51, 0xff, v24
	s_delay_alu instid0(VALU_DEP_1) | instskip(SKIP_1) | instid1(SALU_CYCLE_1)
	v_cmp_ne_u16_e32 vcc_lo, 0, v51
	s_or_b32 s15, vcc_lo, s15
	s_and_not1_b32 exec_lo, exec_lo, s15
	s_cbranch_execnz .LBB1203_385
; %bb.386:                              ;   in Loop: Header=BB1203_382 Depth=1
	s_or_b32 exec_lo, exec_lo, s15
	s_branch .LBB1203_381
.LBB1203_387:                           ;   in Loop: Header=BB1203_382 Depth=1
                                        ; implicit-def: $vgpr23
                                        ; implicit-def: $vgpr24
	s_cbranch_execz .LBB1203_382
; %bb.388:
	s_and_saveexec_b32 s14, s7
	s_cbranch_execz .LBB1203_390
; %bb.389:
	s_add_i32 s16, s23, 32
	s_mov_b32 s17, 0
	v_dual_mov_b32 v22, 2 :: v_dual_add_nc_u32 v21, v46, v17
	s_lshl_b64 s[16:17], s[16:17], 3
	v_mov_b32_e32 v18, 0
	v_add_nc_u32_e64 v23, 0x8400, 0
	s_add_u32 s16, s18, s16
	s_addc_u32 s17, s19, s17
	global_store_b64 v18, v[21:22], s[16:17]
	ds_store_2addr_b32 v23, v17, v46 offset1:2
.LBB1203_390:
	s_or_b32 exec_lo, exec_lo, s14
	s_delay_alu instid0(SALU_CYCLE_1)
	s_and_b32 exec_lo, exec_lo, s2
	s_cbranch_execz .LBB1203_392
; %bb.391:
	v_mov_b32_e32 v17, 0
	ds_store_b32 v17, v46 offset:60
.LBB1203_392:
	s_or_b32 exec_lo, exec_lo, s12
	v_mov_b32_e32 v17, 0
	s_waitcnt lgkmcnt(0)
	s_waitcnt_vscnt null, 0x0
	s_barrier
	buffer_gl0_inv
	v_cndmask_b32_e64 v18, v29, v27, s7
	ds_load_b32 v17, v17 offset:60
	s_waitcnt lgkmcnt(0)
	s_barrier
	buffer_gl0_inv
	v_cndmask_b32_e64 v18, v18, 0, s2
	s_delay_alu instid0(VALU_DEP_1) | instskip(SKIP_1) | instid1(VALU_DEP_2)
	v_add_nc_u32_e32 v37, v17, v18
	v_add_nc_u32_e64 v17, 0x8400, 0
	v_add_nc_u32_e32 v35, v37, v28
	ds_load_2addr_b32 v[17:18], v17 offset1:2
	v_add_nc_u32_e32 v33, v35, v30
	s_delay_alu instid0(VALU_DEP_1) | instskip(NEXT) | instid1(VALU_DEP_1)
	v_add_nc_u32_e32 v31, v33, v32
	v_add_nc_u32_e32 v29, v31, v34
	s_delay_alu instid0(VALU_DEP_1) | instskip(NEXT) | instid1(VALU_DEP_1)
	v_add_nc_u32_e32 v27, v29, v36
	v_add_nc_u32_e32 v25, v27, v38
	s_delay_alu instid0(VALU_DEP_1)
	v_add_nc_u32_e32 v23, v25, v41
	v_lshrrev_b64 v[21:22], 24, v[19:20]
	s_branch .LBB1203_403
.LBB1203_393:
                                        ; implicit-def: $vgpr23
                                        ; implicit-def: $vgpr25
                                        ; implicit-def: $vgpr27
                                        ; implicit-def: $vgpr29
                                        ; implicit-def: $vgpr31
                                        ; implicit-def: $vgpr33
                                        ; implicit-def: $vgpr35
                                        ; implicit-def: $vgpr37
                                        ; implicit-def: $vgpr18
	v_lshrrev_b64 v[21:22], 24, v[19:20]
	s_and_b32 vcc_lo, exec_lo, s7
	s_cbranch_vccz .LBB1203_403
; %bb.394:
	s_waitcnt lgkmcnt(0)
	v_mov_b32_dpp v17, v44 row_shr:1 row_mask:0xf bank_mask:0xf
	s_delay_alu instid0(VALU_DEP_1) | instskip(NEXT) | instid1(VALU_DEP_1)
	v_cndmask_b32_e64 v17, v17, 0, s3
	v_add_nc_u32_e32 v17, v17, v44
	s_delay_alu instid0(VALU_DEP_1) | instskip(NEXT) | instid1(VALU_DEP_1)
	v_mov_b32_dpp v18, v17 row_shr:2 row_mask:0xf bank_mask:0xf
	v_cndmask_b32_e64 v18, 0, v18, s0
	s_delay_alu instid0(VALU_DEP_1) | instskip(NEXT) | instid1(VALU_DEP_1)
	v_add_nc_u32_e32 v17, v17, v18
	v_mov_b32_dpp v18, v17 row_shr:4 row_mask:0xf bank_mask:0xf
	s_delay_alu instid0(VALU_DEP_1) | instskip(NEXT) | instid1(VALU_DEP_1)
	v_cndmask_b32_e64 v18, 0, v18, s4
	v_add_nc_u32_e32 v17, v17, v18
	s_delay_alu instid0(VALU_DEP_1) | instskip(NEXT) | instid1(VALU_DEP_1)
	v_mov_b32_dpp v18, v17 row_shr:8 row_mask:0xf bank_mask:0xf
	v_cndmask_b32_e64 v18, 0, v18, s1
	s_delay_alu instid0(VALU_DEP_1) | instskip(SKIP_3) | instid1(VALU_DEP_1)
	v_add_nc_u32_e32 v17, v17, v18
	ds_swizzle_b32 v18, v17 offset:swizzle(BROADCAST,32,15)
	s_waitcnt lgkmcnt(0)
	v_cndmask_b32_e64 v18, v18, 0, s6
	v_add_nc_u32_e32 v17, v17, v18
	s_and_saveexec_b32 s6, s5
	s_cbranch_execz .LBB1203_396
; %bb.395:
	v_lshlrev_b32_e32 v18, 2, v43
	ds_store_b32 v18, v17
.LBB1203_396:
	s_or_b32 exec_lo, exec_lo, s6
	s_delay_alu instid0(SALU_CYCLE_1)
	s_mov_b32 s5, exec_lo
	s_waitcnt lgkmcnt(0)
	s_barrier
	buffer_gl0_inv
	v_cmpx_gt_u32_e32 16, v0
	s_cbranch_execz .LBB1203_398
; %bb.397:
	v_lshlrev_b32_e32 v18, 2, v0
	ds_load_b32 v22, v18
	s_waitcnt lgkmcnt(0)
	v_mov_b32_dpp v23, v22 row_shr:1 row_mask:0xf bank_mask:0xf
	s_delay_alu instid0(VALU_DEP_1) | instskip(NEXT) | instid1(VALU_DEP_1)
	v_cndmask_b32_e64 v23, v23, 0, s3
	v_add_nc_u32_e32 v22, v23, v22
	s_delay_alu instid0(VALU_DEP_1) | instskip(NEXT) | instid1(VALU_DEP_1)
	v_mov_b32_dpp v23, v22 row_shr:2 row_mask:0xf bank_mask:0xf
	v_cndmask_b32_e64 v23, 0, v23, s0
	s_delay_alu instid0(VALU_DEP_1) | instskip(NEXT) | instid1(VALU_DEP_1)
	v_add_nc_u32_e32 v22, v22, v23
	v_mov_b32_dpp v23, v22 row_shr:4 row_mask:0xf bank_mask:0xf
	s_delay_alu instid0(VALU_DEP_1) | instskip(NEXT) | instid1(VALU_DEP_1)
	v_cndmask_b32_e64 v23, 0, v23, s4
	v_add_nc_u32_e32 v22, v22, v23
	s_delay_alu instid0(VALU_DEP_1) | instskip(NEXT) | instid1(VALU_DEP_1)
	v_mov_b32_dpp v23, v22 row_shr:8 row_mask:0xf bank_mask:0xf
	v_cndmask_b32_e64 v23, 0, v23, s1
	s_delay_alu instid0(VALU_DEP_1)
	v_add_nc_u32_e32 v22, v22, v23
	ds_store_b32 v18, v22
.LBB1203_398:
	s_or_b32 exec_lo, exec_lo, s5
	v_mov_b32_e32 v18, 0
	v_mov_b32_e32 v22, 0
	s_mov_b32 s0, exec_lo
	s_waitcnt lgkmcnt(0)
	s_barrier
	buffer_gl0_inv
	v_cmpx_lt_u32_e32 31, v0
	s_cbranch_execz .LBB1203_400
; %bb.399:
	v_lshl_add_u32 v22, v43, 2, -4
	ds_load_b32 v22, v22
.LBB1203_400:
	s_or_b32 exec_lo, exec_lo, s0
	v_add_nc_u32_e32 v23, -1, v42
	s_waitcnt lgkmcnt(0)
	v_add_nc_u32_e32 v17, v22, v17
	s_delay_alu instid0(VALU_DEP_2) | instskip(SKIP_1) | instid1(VALU_DEP_1)
	v_cmp_gt_i32_e32 vcc_lo, 0, v23
	v_cndmask_b32_e32 v23, v23, v42, vcc_lo
	v_lshlrev_b32_e32 v23, 2, v23
	ds_bpermute_b32 v23, v23, v17
	ds_load_b32 v17, v18 offset:60
	s_and_saveexec_b32 s0, s2
	s_cbranch_execz .LBB1203_402
; %bb.401:
	v_mov_b32_e32 v24, 0
	v_mov_b32_e32 v18, 2
	s_waitcnt lgkmcnt(0)
	global_store_b64 v24, v[17:18], s[18:19] offset:256
.LBB1203_402:
	s_or_b32 exec_lo, exec_lo, s0
	v_cmp_eq_u32_e32 vcc_lo, 0, v42
	s_waitcnt lgkmcnt(0)
	s_waitcnt_vscnt null, 0x0
	s_barrier
	buffer_gl0_inv
	v_cndmask_b32_e32 v18, v23, v22, vcc_lo
	s_delay_alu instid0(VALU_DEP_1) | instskip(NEXT) | instid1(VALU_DEP_1)
	v_cndmask_b32_e64 v37, v18, 0, s2
	v_dual_mov_b32 v18, 0 :: v_dual_add_nc_u32 v35, v37, v28
	s_delay_alu instid0(VALU_DEP_1) | instskip(NEXT) | instid1(VALU_DEP_1)
	v_add_nc_u32_e32 v33, v35, v30
	v_add_nc_u32_e32 v31, v33, v32
	s_delay_alu instid0(VALU_DEP_1) | instskip(NEXT) | instid1(VALU_DEP_1)
	v_add_nc_u32_e32 v29, v31, v34
	v_add_nc_u32_e32 v27, v29, v36
	;; [unrolled: 3-line block ×3, first 2 shown]
.LBB1203_403:
	s_waitcnt lgkmcnt(0)
	v_cmp_gt_u32_e32 vcc_lo, 0x201, v17
	v_lshrrev_b32_e32 v43, 8, v19
	v_lshrrev_b32_e32 v42, 16, v19
	;; [unrolled: 1-line block ×4, first 2 shown]
	s_mov_b32 s0, -1
	s_cbranch_vccnz .LBB1203_407
; %bb.404:
	s_and_b32 vcc_lo, exec_lo, s0
	s_cbranch_vccnz .LBB1203_432
.LBB1203_405:
	s_and_b32 s0, s2, s13
	s_delay_alu instid0(SALU_CYCLE_1)
	s_and_saveexec_b32 s1, s0
	s_cbranch_execnz .LBB1203_452
.LBB1203_406:
	s_nop 0
	s_sendmsg sendmsg(MSG_DEALLOC_VGPRS)
	s_endpgm
.LBB1203_407:
	v_add_nc_u32_e32 v24, v18, v17
	s_delay_alu instid0(VALU_DEP_1) | instskip(SKIP_1) | instid1(SALU_CYCLE_1)
	v_cmp_lt_u32_e32 vcc_lo, v37, v24
	s_or_b32 s1, s22, vcc_lo
	s_and_saveexec_b32 s0, s1
	s_cbranch_execz .LBB1203_410
; %bb.408:
	v_and_b32_e32 v26, 1, v19
	s_delay_alu instid0(VALU_DEP_1)
	v_cmp_eq_u32_e32 vcc_lo, 1, v26
	s_and_b32 exec_lo, exec_lo, vcc_lo
	s_cbranch_execz .LBB1203_410
; %bb.409:
	v_mov_b32_e32 v38, 0
	s_lshl_b64 s[4:5], s[10:11], 3
	s_delay_alu instid0(SALU_CYCLE_1) | instskip(SKIP_1) | instid1(VALU_DEP_1)
	s_add_u32 s1, s20, s4
	s_addc_u32 s3, s21, s5
	v_lshlrev_b64 v[44:45], 3, v[37:38]
	s_delay_alu instid0(VALU_DEP_1) | instskip(NEXT) | instid1(VALU_DEP_2)
	v_add_co_u32 v44, vcc_lo, s1, v44
	v_add_co_ci_u32_e32 v45, vcc_lo, s3, v45, vcc_lo
	global_store_b64 v[44:45], v[13:14], off
.LBB1203_410:
	s_or_b32 exec_lo, exec_lo, s0
	v_cmp_lt_u32_e32 vcc_lo, v35, v24
	s_or_b32 s1, s22, vcc_lo
	s_delay_alu instid0(SALU_CYCLE_1)
	s_and_saveexec_b32 s0, s1
	s_cbranch_execz .LBB1203_413
; %bb.411:
	v_and_b32_e32 v26, 1, v43
	s_delay_alu instid0(VALU_DEP_1)
	v_cmp_eq_u32_e32 vcc_lo, 1, v26
	s_and_b32 exec_lo, exec_lo, vcc_lo
	s_cbranch_execz .LBB1203_413
; %bb.412:
	v_mov_b32_e32 v36, 0
	s_lshl_b64 s[4:5], s[10:11], 3
	s_delay_alu instid0(SALU_CYCLE_1) | instskip(SKIP_1) | instid1(VALU_DEP_1)
	s_add_u32 s1, s20, s4
	s_addc_u32 s3, s21, s5
	v_lshlrev_b64 v[44:45], 3, v[35:36]
	s_delay_alu instid0(VALU_DEP_1) | instskip(NEXT) | instid1(VALU_DEP_2)
	v_add_co_u32 v44, vcc_lo, s1, v44
	v_add_co_ci_u32_e32 v45, vcc_lo, s3, v45, vcc_lo
	global_store_b64 v[44:45], v[15:16], off
.LBB1203_413:
	s_or_b32 exec_lo, exec_lo, s0
	v_cmp_lt_u32_e32 vcc_lo, v33, v24
	s_or_b32 s1, s22, vcc_lo
	s_delay_alu instid0(SALU_CYCLE_1)
	;; [unrolled: 24-line block ×7, first 2 shown]
	s_and_saveexec_b32 s0, s1
	s_cbranch_execz .LBB1203_431
; %bb.429:
	v_and_b32_e32 v24, 1, v40
	s_delay_alu instid0(VALU_DEP_1)
	v_cmp_eq_u32_e32 vcc_lo, 1, v24
	s_and_b32 exec_lo, exec_lo, vcc_lo
	s_cbranch_execz .LBB1203_431
; %bb.430:
	v_mov_b32_e32 v24, 0
	s_lshl_b64 s[4:5], s[10:11], 3
	s_delay_alu instid0(SALU_CYCLE_1) | instskip(SKIP_1) | instid1(VALU_DEP_1)
	s_add_u32 s1, s20, s4
	s_addc_u32 s3, s21, s5
	v_lshlrev_b64 v[44:45], 3, v[23:24]
	s_delay_alu instid0(VALU_DEP_1) | instskip(NEXT) | instid1(VALU_DEP_2)
	v_add_co_u32 v44, vcc_lo, s1, v44
	v_add_co_ci_u32_e32 v45, vcc_lo, s3, v45, vcc_lo
	global_store_b64 v[44:45], v[3:4], off
.LBB1203_431:
	s_or_b32 exec_lo, exec_lo, s0
	s_branch .LBB1203_405
.LBB1203_432:
	v_and_b32_e32 v19, 1, v19
	s_mov_b32 s0, exec_lo
	s_delay_alu instid0(VALU_DEP_1)
	v_cmpx_eq_u32_e32 1, v19
	s_cbranch_execz .LBB1203_434
; %bb.433:
	v_sub_nc_u32_e32 v19, v37, v18
	s_delay_alu instid0(VALU_DEP_1)
	v_lshlrev_b32_e32 v19, 3, v19
	ds_store_b64 v19, v[13:14]
.LBB1203_434:
	s_or_b32 exec_lo, exec_lo, s0
	v_and_b32_e32 v13, 1, v43
	s_mov_b32 s0, exec_lo
	s_delay_alu instid0(VALU_DEP_1)
	v_cmpx_eq_u32_e32 1, v13
	s_cbranch_execz .LBB1203_436
; %bb.435:
	v_sub_nc_u32_e32 v13, v35, v18
	s_delay_alu instid0(VALU_DEP_1)
	v_lshlrev_b32_e32 v13, 3, v13
	ds_store_b64 v13, v[15:16]
.LBB1203_436:
	s_or_b32 exec_lo, exec_lo, s0
	;; [unrolled: 12-line block ×8, first 2 shown]
	s_delay_alu instid0(SALU_CYCLE_1)
	s_mov_b32 s1, exec_lo
	s_waitcnt lgkmcnt(0)
	s_waitcnt_vscnt null, 0x0
	s_barrier
	buffer_gl0_inv
	v_cmpx_lt_u32_e64 v0, v17
	s_cbranch_execz .LBB1203_451
; %bb.449:
	v_dual_mov_b32 v2, 0 :: v_dual_mov_b32 v1, v18
	s_lshl_b64 s[4:5], s[10:11], 3
	s_mov_b32 s3, 0
	s_delay_alu instid0(VALU_DEP_1) | instskip(NEXT) | instid1(VALU_DEP_1)
	v_lshlrev_b64 v[1:2], 3, v[1:2]
	v_add_co_u32 v1, vcc_lo, s4, v1
	s_delay_alu instid0(VALU_DEP_2) | instskip(NEXT) | instid1(VALU_DEP_2)
	v_add_co_ci_u32_e32 v2, vcc_lo, s5, v2, vcc_lo
	v_add_co_u32 v1, vcc_lo, s20, v1
	s_delay_alu instid0(VALU_DEP_2) | instskip(NEXT) | instid1(VALU_DEP_2)
	v_add_co_ci_u32_e32 v2, vcc_lo, s21, v2, vcc_lo
	v_add_co_u32 v1, vcc_lo, v1, v39
	s_delay_alu instid0(VALU_DEP_2)
	v_add_co_ci_u32_e32 v2, vcc_lo, 0, v2, vcc_lo
	.p2align	6
.LBB1203_450:                           ; =>This Inner Loop Header: Depth=1
	ds_load_b64 v[3:4], v39
	v_add_nc_u32_e32 v0, 0x200, v0
	v_add_nc_u32_e32 v39, 0x1000, v39
	s_delay_alu instid0(VALU_DEP_2) | instskip(SKIP_4) | instid1(VALU_DEP_1)
	v_cmp_ge_u32_e32 vcc_lo, v0, v17
	s_or_b32 s3, vcc_lo, s3
	s_waitcnt lgkmcnt(0)
	global_store_b64 v[1:2], v[3:4], off
	v_add_co_u32 v1, s0, 0x1000, v1
	v_add_co_ci_u32_e64 v2, s0, 0, v2, s0
	s_and_not1_b32 exec_lo, exec_lo, s3
	s_cbranch_execnz .LBB1203_450
.LBB1203_451:
	s_or_b32 exec_lo, exec_lo, s1
	s_and_b32 s0, s2, s13
	s_delay_alu instid0(SALU_CYCLE_1)
	s_and_saveexec_b32 s1, s0
	s_cbranch_execz .LBB1203_406
.LBB1203_452:
	v_add_co_u32 v0, s0, s10, v17
	s_delay_alu instid0(VALU_DEP_1) | instskip(SKIP_1) | instid1(VALU_DEP_3)
	v_add_co_ci_u32_e64 v1, null, s11, 0, s0
	v_mov_b32_e32 v2, 0
	v_add_co_u32 v0, vcc_lo, v0, v18
	s_delay_alu instid0(VALU_DEP_3)
	v_add_co_ci_u32_e32 v1, vcc_lo, 0, v1, vcc_lo
	global_store_b64 v2, v[0:1], s[8:9]
	s_nop 0
	s_sendmsg sendmsg(MSG_DEALLOC_VGPRS)
	s_endpgm
	.section	.rodata,"a",@progbits
	.p2align	6, 0x0
	.amdhsa_kernel _ZN7rocprim17ROCPRIM_400000_NS6detail17trampoline_kernelINS0_14default_configENS1_25partition_config_selectorILNS1_17partition_subalgoE8ElNS0_10empty_typeEbEEZZNS1_14partition_implILS5_8ELb0ES3_jPlPS6_PKS6_NS0_5tupleIJS9_S6_EEENSD_IJSA_SA_EEENS0_18inequality_wrapperIZN2at6native12_GLOBAL__N_124unique_dim_cuda_templateIN3c108BFloat16EEESt5tupleIJNSH_6TensorESO_SO_EERKSO_lbbbEUlllE0_EEPmJS6_EEE10hipError_tPvRmT3_T4_T5_T6_T7_T9_mT8_P12ihipStream_tbDpT10_ENKUlT_T0_E_clISt17integral_constantIbLb0EES1D_IbLb1EEEEDaS19_S1A_EUlS19_E_NS1_11comp_targetILNS1_3genE9ELNS1_11target_archE1100ELNS1_3gpuE3ELNS1_3repE0EEENS1_30default_config_static_selectorELNS0_4arch9wavefront6targetE0EEEvT1_
		.amdhsa_group_segment_fixed_size 33804
		.amdhsa_private_segment_fixed_size 0
		.amdhsa_kernarg_size 136
		.amdhsa_user_sgpr_count 15
		.amdhsa_user_sgpr_dispatch_ptr 0
		.amdhsa_user_sgpr_queue_ptr 0
		.amdhsa_user_sgpr_kernarg_segment_ptr 1
		.amdhsa_user_sgpr_dispatch_id 0
		.amdhsa_user_sgpr_private_segment_size 0
		.amdhsa_wavefront_size32 1
		.amdhsa_uses_dynamic_stack 0
		.amdhsa_enable_private_segment 0
		.amdhsa_system_sgpr_workgroup_id_x 1
		.amdhsa_system_sgpr_workgroup_id_y 0
		.amdhsa_system_sgpr_workgroup_id_z 0
		.amdhsa_system_sgpr_workgroup_info 0
		.amdhsa_system_vgpr_workitem_id 0
		.amdhsa_next_free_vgpr 52
		.amdhsa_next_free_sgpr 38
		.amdhsa_reserve_vcc 1
		.amdhsa_float_round_mode_32 0
		.amdhsa_float_round_mode_16_64 0
		.amdhsa_float_denorm_mode_32 3
		.amdhsa_float_denorm_mode_16_64 3
		.amdhsa_dx10_clamp 1
		.amdhsa_ieee_mode 1
		.amdhsa_fp16_overflow 0
		.amdhsa_workgroup_processor_mode 1
		.amdhsa_memory_ordered 1
		.amdhsa_forward_progress 0
		.amdhsa_shared_vgpr_count 0
		.amdhsa_exception_fp_ieee_invalid_op 0
		.amdhsa_exception_fp_denorm_src 0
		.amdhsa_exception_fp_ieee_div_zero 0
		.amdhsa_exception_fp_ieee_overflow 0
		.amdhsa_exception_fp_ieee_underflow 0
		.amdhsa_exception_fp_ieee_inexact 0
		.amdhsa_exception_int_div_zero 0
	.end_amdhsa_kernel
	.section	.text._ZN7rocprim17ROCPRIM_400000_NS6detail17trampoline_kernelINS0_14default_configENS1_25partition_config_selectorILNS1_17partition_subalgoE8ElNS0_10empty_typeEbEEZZNS1_14partition_implILS5_8ELb0ES3_jPlPS6_PKS6_NS0_5tupleIJS9_S6_EEENSD_IJSA_SA_EEENS0_18inequality_wrapperIZN2at6native12_GLOBAL__N_124unique_dim_cuda_templateIN3c108BFloat16EEESt5tupleIJNSH_6TensorESO_SO_EERKSO_lbbbEUlllE0_EEPmJS6_EEE10hipError_tPvRmT3_T4_T5_T6_T7_T9_mT8_P12ihipStream_tbDpT10_ENKUlT_T0_E_clISt17integral_constantIbLb0EES1D_IbLb1EEEEDaS19_S1A_EUlS19_E_NS1_11comp_targetILNS1_3genE9ELNS1_11target_archE1100ELNS1_3gpuE3ELNS1_3repE0EEENS1_30default_config_static_selectorELNS0_4arch9wavefront6targetE0EEEvT1_,"axG",@progbits,_ZN7rocprim17ROCPRIM_400000_NS6detail17trampoline_kernelINS0_14default_configENS1_25partition_config_selectorILNS1_17partition_subalgoE8ElNS0_10empty_typeEbEEZZNS1_14partition_implILS5_8ELb0ES3_jPlPS6_PKS6_NS0_5tupleIJS9_S6_EEENSD_IJSA_SA_EEENS0_18inequality_wrapperIZN2at6native12_GLOBAL__N_124unique_dim_cuda_templateIN3c108BFloat16EEESt5tupleIJNSH_6TensorESO_SO_EERKSO_lbbbEUlllE0_EEPmJS6_EEE10hipError_tPvRmT3_T4_T5_T6_T7_T9_mT8_P12ihipStream_tbDpT10_ENKUlT_T0_E_clISt17integral_constantIbLb0EES1D_IbLb1EEEEDaS19_S1A_EUlS19_E_NS1_11comp_targetILNS1_3genE9ELNS1_11target_archE1100ELNS1_3gpuE3ELNS1_3repE0EEENS1_30default_config_static_selectorELNS0_4arch9wavefront6targetE0EEEvT1_,comdat
.Lfunc_end1203:
	.size	_ZN7rocprim17ROCPRIM_400000_NS6detail17trampoline_kernelINS0_14default_configENS1_25partition_config_selectorILNS1_17partition_subalgoE8ElNS0_10empty_typeEbEEZZNS1_14partition_implILS5_8ELb0ES3_jPlPS6_PKS6_NS0_5tupleIJS9_S6_EEENSD_IJSA_SA_EEENS0_18inequality_wrapperIZN2at6native12_GLOBAL__N_124unique_dim_cuda_templateIN3c108BFloat16EEESt5tupleIJNSH_6TensorESO_SO_EERKSO_lbbbEUlllE0_EEPmJS6_EEE10hipError_tPvRmT3_T4_T5_T6_T7_T9_mT8_P12ihipStream_tbDpT10_ENKUlT_T0_E_clISt17integral_constantIbLb0EES1D_IbLb1EEEEDaS19_S1A_EUlS19_E_NS1_11comp_targetILNS1_3genE9ELNS1_11target_archE1100ELNS1_3gpuE3ELNS1_3repE0EEENS1_30default_config_static_selectorELNS0_4arch9wavefront6targetE0EEEvT1_, .Lfunc_end1203-_ZN7rocprim17ROCPRIM_400000_NS6detail17trampoline_kernelINS0_14default_configENS1_25partition_config_selectorILNS1_17partition_subalgoE8ElNS0_10empty_typeEbEEZZNS1_14partition_implILS5_8ELb0ES3_jPlPS6_PKS6_NS0_5tupleIJS9_S6_EEENSD_IJSA_SA_EEENS0_18inequality_wrapperIZN2at6native12_GLOBAL__N_124unique_dim_cuda_templateIN3c108BFloat16EEESt5tupleIJNSH_6TensorESO_SO_EERKSO_lbbbEUlllE0_EEPmJS6_EEE10hipError_tPvRmT3_T4_T5_T6_T7_T9_mT8_P12ihipStream_tbDpT10_ENKUlT_T0_E_clISt17integral_constantIbLb0EES1D_IbLb1EEEEDaS19_S1A_EUlS19_E_NS1_11comp_targetILNS1_3genE9ELNS1_11target_archE1100ELNS1_3gpuE3ELNS1_3repE0EEENS1_30default_config_static_selectorELNS0_4arch9wavefront6targetE0EEEvT1_
                                        ; -- End function
	.section	.AMDGPU.csdata,"",@progbits
; Kernel info:
; codeLenInByte = 19184
; NumSgprs: 40
; NumVgprs: 52
; ScratchSize: 0
; MemoryBound: 0
; FloatMode: 240
; IeeeMode: 1
; LDSByteSize: 33804 bytes/workgroup (compile time only)
; SGPRBlocks: 4
; VGPRBlocks: 6
; NumSGPRsForWavesPerEU: 40
; NumVGPRsForWavesPerEU: 52
; Occupancy: 12
; WaveLimiterHint : 1
; COMPUTE_PGM_RSRC2:SCRATCH_EN: 0
; COMPUTE_PGM_RSRC2:USER_SGPR: 15
; COMPUTE_PGM_RSRC2:TRAP_HANDLER: 0
; COMPUTE_PGM_RSRC2:TGID_X_EN: 1
; COMPUTE_PGM_RSRC2:TGID_Y_EN: 0
; COMPUTE_PGM_RSRC2:TGID_Z_EN: 0
; COMPUTE_PGM_RSRC2:TIDIG_COMP_CNT: 0
	.section	.text._ZN7rocprim17ROCPRIM_400000_NS6detail17trampoline_kernelINS0_14default_configENS1_25partition_config_selectorILNS1_17partition_subalgoE8ElNS0_10empty_typeEbEEZZNS1_14partition_implILS5_8ELb0ES3_jPlPS6_PKS6_NS0_5tupleIJS9_S6_EEENSD_IJSA_SA_EEENS0_18inequality_wrapperIZN2at6native12_GLOBAL__N_124unique_dim_cuda_templateIN3c108BFloat16EEESt5tupleIJNSH_6TensorESO_SO_EERKSO_lbbbEUlllE0_EEPmJS6_EEE10hipError_tPvRmT3_T4_T5_T6_T7_T9_mT8_P12ihipStream_tbDpT10_ENKUlT_T0_E_clISt17integral_constantIbLb0EES1D_IbLb1EEEEDaS19_S1A_EUlS19_E_NS1_11comp_targetILNS1_3genE8ELNS1_11target_archE1030ELNS1_3gpuE2ELNS1_3repE0EEENS1_30default_config_static_selectorELNS0_4arch9wavefront6targetE0EEEvT1_,"axG",@progbits,_ZN7rocprim17ROCPRIM_400000_NS6detail17trampoline_kernelINS0_14default_configENS1_25partition_config_selectorILNS1_17partition_subalgoE8ElNS0_10empty_typeEbEEZZNS1_14partition_implILS5_8ELb0ES3_jPlPS6_PKS6_NS0_5tupleIJS9_S6_EEENSD_IJSA_SA_EEENS0_18inequality_wrapperIZN2at6native12_GLOBAL__N_124unique_dim_cuda_templateIN3c108BFloat16EEESt5tupleIJNSH_6TensorESO_SO_EERKSO_lbbbEUlllE0_EEPmJS6_EEE10hipError_tPvRmT3_T4_T5_T6_T7_T9_mT8_P12ihipStream_tbDpT10_ENKUlT_T0_E_clISt17integral_constantIbLb0EES1D_IbLb1EEEEDaS19_S1A_EUlS19_E_NS1_11comp_targetILNS1_3genE8ELNS1_11target_archE1030ELNS1_3gpuE2ELNS1_3repE0EEENS1_30default_config_static_selectorELNS0_4arch9wavefront6targetE0EEEvT1_,comdat
	.globl	_ZN7rocprim17ROCPRIM_400000_NS6detail17trampoline_kernelINS0_14default_configENS1_25partition_config_selectorILNS1_17partition_subalgoE8ElNS0_10empty_typeEbEEZZNS1_14partition_implILS5_8ELb0ES3_jPlPS6_PKS6_NS0_5tupleIJS9_S6_EEENSD_IJSA_SA_EEENS0_18inequality_wrapperIZN2at6native12_GLOBAL__N_124unique_dim_cuda_templateIN3c108BFloat16EEESt5tupleIJNSH_6TensorESO_SO_EERKSO_lbbbEUlllE0_EEPmJS6_EEE10hipError_tPvRmT3_T4_T5_T6_T7_T9_mT8_P12ihipStream_tbDpT10_ENKUlT_T0_E_clISt17integral_constantIbLb0EES1D_IbLb1EEEEDaS19_S1A_EUlS19_E_NS1_11comp_targetILNS1_3genE8ELNS1_11target_archE1030ELNS1_3gpuE2ELNS1_3repE0EEENS1_30default_config_static_selectorELNS0_4arch9wavefront6targetE0EEEvT1_ ; -- Begin function _ZN7rocprim17ROCPRIM_400000_NS6detail17trampoline_kernelINS0_14default_configENS1_25partition_config_selectorILNS1_17partition_subalgoE8ElNS0_10empty_typeEbEEZZNS1_14partition_implILS5_8ELb0ES3_jPlPS6_PKS6_NS0_5tupleIJS9_S6_EEENSD_IJSA_SA_EEENS0_18inequality_wrapperIZN2at6native12_GLOBAL__N_124unique_dim_cuda_templateIN3c108BFloat16EEESt5tupleIJNSH_6TensorESO_SO_EERKSO_lbbbEUlllE0_EEPmJS6_EEE10hipError_tPvRmT3_T4_T5_T6_T7_T9_mT8_P12ihipStream_tbDpT10_ENKUlT_T0_E_clISt17integral_constantIbLb0EES1D_IbLb1EEEEDaS19_S1A_EUlS19_E_NS1_11comp_targetILNS1_3genE8ELNS1_11target_archE1030ELNS1_3gpuE2ELNS1_3repE0EEENS1_30default_config_static_selectorELNS0_4arch9wavefront6targetE0EEEvT1_
	.p2align	8
	.type	_ZN7rocprim17ROCPRIM_400000_NS6detail17trampoline_kernelINS0_14default_configENS1_25partition_config_selectorILNS1_17partition_subalgoE8ElNS0_10empty_typeEbEEZZNS1_14partition_implILS5_8ELb0ES3_jPlPS6_PKS6_NS0_5tupleIJS9_S6_EEENSD_IJSA_SA_EEENS0_18inequality_wrapperIZN2at6native12_GLOBAL__N_124unique_dim_cuda_templateIN3c108BFloat16EEESt5tupleIJNSH_6TensorESO_SO_EERKSO_lbbbEUlllE0_EEPmJS6_EEE10hipError_tPvRmT3_T4_T5_T6_T7_T9_mT8_P12ihipStream_tbDpT10_ENKUlT_T0_E_clISt17integral_constantIbLb0EES1D_IbLb1EEEEDaS19_S1A_EUlS19_E_NS1_11comp_targetILNS1_3genE8ELNS1_11target_archE1030ELNS1_3gpuE2ELNS1_3repE0EEENS1_30default_config_static_selectorELNS0_4arch9wavefront6targetE0EEEvT1_,@function
_ZN7rocprim17ROCPRIM_400000_NS6detail17trampoline_kernelINS0_14default_configENS1_25partition_config_selectorILNS1_17partition_subalgoE8ElNS0_10empty_typeEbEEZZNS1_14partition_implILS5_8ELb0ES3_jPlPS6_PKS6_NS0_5tupleIJS9_S6_EEENSD_IJSA_SA_EEENS0_18inequality_wrapperIZN2at6native12_GLOBAL__N_124unique_dim_cuda_templateIN3c108BFloat16EEESt5tupleIJNSH_6TensorESO_SO_EERKSO_lbbbEUlllE0_EEPmJS6_EEE10hipError_tPvRmT3_T4_T5_T6_T7_T9_mT8_P12ihipStream_tbDpT10_ENKUlT_T0_E_clISt17integral_constantIbLb0EES1D_IbLb1EEEEDaS19_S1A_EUlS19_E_NS1_11comp_targetILNS1_3genE8ELNS1_11target_archE1030ELNS1_3gpuE2ELNS1_3repE0EEENS1_30default_config_static_selectorELNS0_4arch9wavefront6targetE0EEEvT1_: ; @_ZN7rocprim17ROCPRIM_400000_NS6detail17trampoline_kernelINS0_14default_configENS1_25partition_config_selectorILNS1_17partition_subalgoE8ElNS0_10empty_typeEbEEZZNS1_14partition_implILS5_8ELb0ES3_jPlPS6_PKS6_NS0_5tupleIJS9_S6_EEENSD_IJSA_SA_EEENS0_18inequality_wrapperIZN2at6native12_GLOBAL__N_124unique_dim_cuda_templateIN3c108BFloat16EEESt5tupleIJNSH_6TensorESO_SO_EERKSO_lbbbEUlllE0_EEPmJS6_EEE10hipError_tPvRmT3_T4_T5_T6_T7_T9_mT8_P12ihipStream_tbDpT10_ENKUlT_T0_E_clISt17integral_constantIbLb0EES1D_IbLb1EEEEDaS19_S1A_EUlS19_E_NS1_11comp_targetILNS1_3genE8ELNS1_11target_archE1030ELNS1_3gpuE2ELNS1_3repE0EEENS1_30default_config_static_selectorELNS0_4arch9wavefront6targetE0EEEvT1_
; %bb.0:
	.section	.rodata,"a",@progbits
	.p2align	6, 0x0
	.amdhsa_kernel _ZN7rocprim17ROCPRIM_400000_NS6detail17trampoline_kernelINS0_14default_configENS1_25partition_config_selectorILNS1_17partition_subalgoE8ElNS0_10empty_typeEbEEZZNS1_14partition_implILS5_8ELb0ES3_jPlPS6_PKS6_NS0_5tupleIJS9_S6_EEENSD_IJSA_SA_EEENS0_18inequality_wrapperIZN2at6native12_GLOBAL__N_124unique_dim_cuda_templateIN3c108BFloat16EEESt5tupleIJNSH_6TensorESO_SO_EERKSO_lbbbEUlllE0_EEPmJS6_EEE10hipError_tPvRmT3_T4_T5_T6_T7_T9_mT8_P12ihipStream_tbDpT10_ENKUlT_T0_E_clISt17integral_constantIbLb0EES1D_IbLb1EEEEDaS19_S1A_EUlS19_E_NS1_11comp_targetILNS1_3genE8ELNS1_11target_archE1030ELNS1_3gpuE2ELNS1_3repE0EEENS1_30default_config_static_selectorELNS0_4arch9wavefront6targetE0EEEvT1_
		.amdhsa_group_segment_fixed_size 0
		.amdhsa_private_segment_fixed_size 0
		.amdhsa_kernarg_size 136
		.amdhsa_user_sgpr_count 15
		.amdhsa_user_sgpr_dispatch_ptr 0
		.amdhsa_user_sgpr_queue_ptr 0
		.amdhsa_user_sgpr_kernarg_segment_ptr 1
		.amdhsa_user_sgpr_dispatch_id 0
		.amdhsa_user_sgpr_private_segment_size 0
		.amdhsa_wavefront_size32 1
		.amdhsa_uses_dynamic_stack 0
		.amdhsa_enable_private_segment 0
		.amdhsa_system_sgpr_workgroup_id_x 1
		.amdhsa_system_sgpr_workgroup_id_y 0
		.amdhsa_system_sgpr_workgroup_id_z 0
		.amdhsa_system_sgpr_workgroup_info 0
		.amdhsa_system_vgpr_workitem_id 0
		.amdhsa_next_free_vgpr 1
		.amdhsa_next_free_sgpr 1
		.amdhsa_reserve_vcc 0
		.amdhsa_float_round_mode_32 0
		.amdhsa_float_round_mode_16_64 0
		.amdhsa_float_denorm_mode_32 3
		.amdhsa_float_denorm_mode_16_64 3
		.amdhsa_dx10_clamp 1
		.amdhsa_ieee_mode 1
		.amdhsa_fp16_overflow 0
		.amdhsa_workgroup_processor_mode 1
		.amdhsa_memory_ordered 1
		.amdhsa_forward_progress 0
		.amdhsa_shared_vgpr_count 0
		.amdhsa_exception_fp_ieee_invalid_op 0
		.amdhsa_exception_fp_denorm_src 0
		.amdhsa_exception_fp_ieee_div_zero 0
		.amdhsa_exception_fp_ieee_overflow 0
		.amdhsa_exception_fp_ieee_underflow 0
		.amdhsa_exception_fp_ieee_inexact 0
		.amdhsa_exception_int_div_zero 0
	.end_amdhsa_kernel
	.section	.text._ZN7rocprim17ROCPRIM_400000_NS6detail17trampoline_kernelINS0_14default_configENS1_25partition_config_selectorILNS1_17partition_subalgoE8ElNS0_10empty_typeEbEEZZNS1_14partition_implILS5_8ELb0ES3_jPlPS6_PKS6_NS0_5tupleIJS9_S6_EEENSD_IJSA_SA_EEENS0_18inequality_wrapperIZN2at6native12_GLOBAL__N_124unique_dim_cuda_templateIN3c108BFloat16EEESt5tupleIJNSH_6TensorESO_SO_EERKSO_lbbbEUlllE0_EEPmJS6_EEE10hipError_tPvRmT3_T4_T5_T6_T7_T9_mT8_P12ihipStream_tbDpT10_ENKUlT_T0_E_clISt17integral_constantIbLb0EES1D_IbLb1EEEEDaS19_S1A_EUlS19_E_NS1_11comp_targetILNS1_3genE8ELNS1_11target_archE1030ELNS1_3gpuE2ELNS1_3repE0EEENS1_30default_config_static_selectorELNS0_4arch9wavefront6targetE0EEEvT1_,"axG",@progbits,_ZN7rocprim17ROCPRIM_400000_NS6detail17trampoline_kernelINS0_14default_configENS1_25partition_config_selectorILNS1_17partition_subalgoE8ElNS0_10empty_typeEbEEZZNS1_14partition_implILS5_8ELb0ES3_jPlPS6_PKS6_NS0_5tupleIJS9_S6_EEENSD_IJSA_SA_EEENS0_18inequality_wrapperIZN2at6native12_GLOBAL__N_124unique_dim_cuda_templateIN3c108BFloat16EEESt5tupleIJNSH_6TensorESO_SO_EERKSO_lbbbEUlllE0_EEPmJS6_EEE10hipError_tPvRmT3_T4_T5_T6_T7_T9_mT8_P12ihipStream_tbDpT10_ENKUlT_T0_E_clISt17integral_constantIbLb0EES1D_IbLb1EEEEDaS19_S1A_EUlS19_E_NS1_11comp_targetILNS1_3genE8ELNS1_11target_archE1030ELNS1_3gpuE2ELNS1_3repE0EEENS1_30default_config_static_selectorELNS0_4arch9wavefront6targetE0EEEvT1_,comdat
.Lfunc_end1204:
	.size	_ZN7rocprim17ROCPRIM_400000_NS6detail17trampoline_kernelINS0_14default_configENS1_25partition_config_selectorILNS1_17partition_subalgoE8ElNS0_10empty_typeEbEEZZNS1_14partition_implILS5_8ELb0ES3_jPlPS6_PKS6_NS0_5tupleIJS9_S6_EEENSD_IJSA_SA_EEENS0_18inequality_wrapperIZN2at6native12_GLOBAL__N_124unique_dim_cuda_templateIN3c108BFloat16EEESt5tupleIJNSH_6TensorESO_SO_EERKSO_lbbbEUlllE0_EEPmJS6_EEE10hipError_tPvRmT3_T4_T5_T6_T7_T9_mT8_P12ihipStream_tbDpT10_ENKUlT_T0_E_clISt17integral_constantIbLb0EES1D_IbLb1EEEEDaS19_S1A_EUlS19_E_NS1_11comp_targetILNS1_3genE8ELNS1_11target_archE1030ELNS1_3gpuE2ELNS1_3repE0EEENS1_30default_config_static_selectorELNS0_4arch9wavefront6targetE0EEEvT1_, .Lfunc_end1204-_ZN7rocprim17ROCPRIM_400000_NS6detail17trampoline_kernelINS0_14default_configENS1_25partition_config_selectorILNS1_17partition_subalgoE8ElNS0_10empty_typeEbEEZZNS1_14partition_implILS5_8ELb0ES3_jPlPS6_PKS6_NS0_5tupleIJS9_S6_EEENSD_IJSA_SA_EEENS0_18inequality_wrapperIZN2at6native12_GLOBAL__N_124unique_dim_cuda_templateIN3c108BFloat16EEESt5tupleIJNSH_6TensorESO_SO_EERKSO_lbbbEUlllE0_EEPmJS6_EEE10hipError_tPvRmT3_T4_T5_T6_T7_T9_mT8_P12ihipStream_tbDpT10_ENKUlT_T0_E_clISt17integral_constantIbLb0EES1D_IbLb1EEEEDaS19_S1A_EUlS19_E_NS1_11comp_targetILNS1_3genE8ELNS1_11target_archE1030ELNS1_3gpuE2ELNS1_3repE0EEENS1_30default_config_static_selectorELNS0_4arch9wavefront6targetE0EEEvT1_
                                        ; -- End function
	.section	.AMDGPU.csdata,"",@progbits
; Kernel info:
; codeLenInByte = 0
; NumSgprs: 0
; NumVgprs: 0
; ScratchSize: 0
; MemoryBound: 0
; FloatMode: 240
; IeeeMode: 1
; LDSByteSize: 0 bytes/workgroup (compile time only)
; SGPRBlocks: 0
; VGPRBlocks: 0
; NumSGPRsForWavesPerEU: 1
; NumVGPRsForWavesPerEU: 1
; Occupancy: 16
; WaveLimiterHint : 0
; COMPUTE_PGM_RSRC2:SCRATCH_EN: 0
; COMPUTE_PGM_RSRC2:USER_SGPR: 15
; COMPUTE_PGM_RSRC2:TRAP_HANDLER: 0
; COMPUTE_PGM_RSRC2:TGID_X_EN: 1
; COMPUTE_PGM_RSRC2:TGID_Y_EN: 0
; COMPUTE_PGM_RSRC2:TGID_Z_EN: 0
; COMPUTE_PGM_RSRC2:TIDIG_COMP_CNT: 0
	.section	.text._ZN7rocprim17ROCPRIM_400000_NS6detail17trampoline_kernelINS0_14default_configENS1_25partition_config_selectorILNS1_17partition_subalgoE9EllbEEZZNS1_14partition_implILS5_9ELb0ES3_jPlS8_PNS0_10empty_typeENS0_5tupleIJS8_S9_EEENSB_IJS8_SA_EEENS0_18inequality_wrapperIZN2at6native12_GLOBAL__N_124unique_dim_cuda_templateIN3c108BFloat16EEESt5tupleIJNSF_6TensorESM_SM_EERKSM_lbbbEUlllE0_EEPmJS9_EEE10hipError_tPvRmT3_T4_T5_T6_T7_T9_mT8_P12ihipStream_tbDpT10_ENKUlT_T0_E_clISt17integral_constantIbLb0EES1C_EEDaS17_S18_EUlS17_E_NS1_11comp_targetILNS1_3genE0ELNS1_11target_archE4294967295ELNS1_3gpuE0ELNS1_3repE0EEENS1_30default_config_static_selectorELNS0_4arch9wavefront6targetE0EEEvT1_,"axG",@progbits,_ZN7rocprim17ROCPRIM_400000_NS6detail17trampoline_kernelINS0_14default_configENS1_25partition_config_selectorILNS1_17partition_subalgoE9EllbEEZZNS1_14partition_implILS5_9ELb0ES3_jPlS8_PNS0_10empty_typeENS0_5tupleIJS8_S9_EEENSB_IJS8_SA_EEENS0_18inequality_wrapperIZN2at6native12_GLOBAL__N_124unique_dim_cuda_templateIN3c108BFloat16EEESt5tupleIJNSF_6TensorESM_SM_EERKSM_lbbbEUlllE0_EEPmJS9_EEE10hipError_tPvRmT3_T4_T5_T6_T7_T9_mT8_P12ihipStream_tbDpT10_ENKUlT_T0_E_clISt17integral_constantIbLb0EES1C_EEDaS17_S18_EUlS17_E_NS1_11comp_targetILNS1_3genE0ELNS1_11target_archE4294967295ELNS1_3gpuE0ELNS1_3repE0EEENS1_30default_config_static_selectorELNS0_4arch9wavefront6targetE0EEEvT1_,comdat
	.globl	_ZN7rocprim17ROCPRIM_400000_NS6detail17trampoline_kernelINS0_14default_configENS1_25partition_config_selectorILNS1_17partition_subalgoE9EllbEEZZNS1_14partition_implILS5_9ELb0ES3_jPlS8_PNS0_10empty_typeENS0_5tupleIJS8_S9_EEENSB_IJS8_SA_EEENS0_18inequality_wrapperIZN2at6native12_GLOBAL__N_124unique_dim_cuda_templateIN3c108BFloat16EEESt5tupleIJNSF_6TensorESM_SM_EERKSM_lbbbEUlllE0_EEPmJS9_EEE10hipError_tPvRmT3_T4_T5_T6_T7_T9_mT8_P12ihipStream_tbDpT10_ENKUlT_T0_E_clISt17integral_constantIbLb0EES1C_EEDaS17_S18_EUlS17_E_NS1_11comp_targetILNS1_3genE0ELNS1_11target_archE4294967295ELNS1_3gpuE0ELNS1_3repE0EEENS1_30default_config_static_selectorELNS0_4arch9wavefront6targetE0EEEvT1_ ; -- Begin function _ZN7rocprim17ROCPRIM_400000_NS6detail17trampoline_kernelINS0_14default_configENS1_25partition_config_selectorILNS1_17partition_subalgoE9EllbEEZZNS1_14partition_implILS5_9ELb0ES3_jPlS8_PNS0_10empty_typeENS0_5tupleIJS8_S9_EEENSB_IJS8_SA_EEENS0_18inequality_wrapperIZN2at6native12_GLOBAL__N_124unique_dim_cuda_templateIN3c108BFloat16EEESt5tupleIJNSF_6TensorESM_SM_EERKSM_lbbbEUlllE0_EEPmJS9_EEE10hipError_tPvRmT3_T4_T5_T6_T7_T9_mT8_P12ihipStream_tbDpT10_ENKUlT_T0_E_clISt17integral_constantIbLb0EES1C_EEDaS17_S18_EUlS17_E_NS1_11comp_targetILNS1_3genE0ELNS1_11target_archE4294967295ELNS1_3gpuE0ELNS1_3repE0EEENS1_30default_config_static_selectorELNS0_4arch9wavefront6targetE0EEEvT1_
	.p2align	8
	.type	_ZN7rocprim17ROCPRIM_400000_NS6detail17trampoline_kernelINS0_14default_configENS1_25partition_config_selectorILNS1_17partition_subalgoE9EllbEEZZNS1_14partition_implILS5_9ELb0ES3_jPlS8_PNS0_10empty_typeENS0_5tupleIJS8_S9_EEENSB_IJS8_SA_EEENS0_18inequality_wrapperIZN2at6native12_GLOBAL__N_124unique_dim_cuda_templateIN3c108BFloat16EEESt5tupleIJNSF_6TensorESM_SM_EERKSM_lbbbEUlllE0_EEPmJS9_EEE10hipError_tPvRmT3_T4_T5_T6_T7_T9_mT8_P12ihipStream_tbDpT10_ENKUlT_T0_E_clISt17integral_constantIbLb0EES1C_EEDaS17_S18_EUlS17_E_NS1_11comp_targetILNS1_3genE0ELNS1_11target_archE4294967295ELNS1_3gpuE0ELNS1_3repE0EEENS1_30default_config_static_selectorELNS0_4arch9wavefront6targetE0EEEvT1_,@function
_ZN7rocprim17ROCPRIM_400000_NS6detail17trampoline_kernelINS0_14default_configENS1_25partition_config_selectorILNS1_17partition_subalgoE9EllbEEZZNS1_14partition_implILS5_9ELb0ES3_jPlS8_PNS0_10empty_typeENS0_5tupleIJS8_S9_EEENSB_IJS8_SA_EEENS0_18inequality_wrapperIZN2at6native12_GLOBAL__N_124unique_dim_cuda_templateIN3c108BFloat16EEESt5tupleIJNSF_6TensorESM_SM_EERKSM_lbbbEUlllE0_EEPmJS9_EEE10hipError_tPvRmT3_T4_T5_T6_T7_T9_mT8_P12ihipStream_tbDpT10_ENKUlT_T0_E_clISt17integral_constantIbLb0EES1C_EEDaS17_S18_EUlS17_E_NS1_11comp_targetILNS1_3genE0ELNS1_11target_archE4294967295ELNS1_3gpuE0ELNS1_3repE0EEENS1_30default_config_static_selectorELNS0_4arch9wavefront6targetE0EEEvT1_: ; @_ZN7rocprim17ROCPRIM_400000_NS6detail17trampoline_kernelINS0_14default_configENS1_25partition_config_selectorILNS1_17partition_subalgoE9EllbEEZZNS1_14partition_implILS5_9ELb0ES3_jPlS8_PNS0_10empty_typeENS0_5tupleIJS8_S9_EEENSB_IJS8_SA_EEENS0_18inequality_wrapperIZN2at6native12_GLOBAL__N_124unique_dim_cuda_templateIN3c108BFloat16EEESt5tupleIJNSF_6TensorESM_SM_EERKSM_lbbbEUlllE0_EEPmJS9_EEE10hipError_tPvRmT3_T4_T5_T6_T7_T9_mT8_P12ihipStream_tbDpT10_ENKUlT_T0_E_clISt17integral_constantIbLb0EES1C_EEDaS17_S18_EUlS17_E_NS1_11comp_targetILNS1_3genE0ELNS1_11target_archE4294967295ELNS1_3gpuE0ELNS1_3repE0EEENS1_30default_config_static_selectorELNS0_4arch9wavefront6targetE0EEEvT1_
; %bb.0:
	.section	.rodata,"a",@progbits
	.p2align	6, 0x0
	.amdhsa_kernel _ZN7rocprim17ROCPRIM_400000_NS6detail17trampoline_kernelINS0_14default_configENS1_25partition_config_selectorILNS1_17partition_subalgoE9EllbEEZZNS1_14partition_implILS5_9ELb0ES3_jPlS8_PNS0_10empty_typeENS0_5tupleIJS8_S9_EEENSB_IJS8_SA_EEENS0_18inequality_wrapperIZN2at6native12_GLOBAL__N_124unique_dim_cuda_templateIN3c108BFloat16EEESt5tupleIJNSF_6TensorESM_SM_EERKSM_lbbbEUlllE0_EEPmJS9_EEE10hipError_tPvRmT3_T4_T5_T6_T7_T9_mT8_P12ihipStream_tbDpT10_ENKUlT_T0_E_clISt17integral_constantIbLb0EES1C_EEDaS17_S18_EUlS17_E_NS1_11comp_targetILNS1_3genE0ELNS1_11target_archE4294967295ELNS1_3gpuE0ELNS1_3repE0EEENS1_30default_config_static_selectorELNS0_4arch9wavefront6targetE0EEEvT1_
		.amdhsa_group_segment_fixed_size 0
		.amdhsa_private_segment_fixed_size 0
		.amdhsa_kernarg_size 120
		.amdhsa_user_sgpr_count 15
		.amdhsa_user_sgpr_dispatch_ptr 0
		.amdhsa_user_sgpr_queue_ptr 0
		.amdhsa_user_sgpr_kernarg_segment_ptr 1
		.amdhsa_user_sgpr_dispatch_id 0
		.amdhsa_user_sgpr_private_segment_size 0
		.amdhsa_wavefront_size32 1
		.amdhsa_uses_dynamic_stack 0
		.amdhsa_enable_private_segment 0
		.amdhsa_system_sgpr_workgroup_id_x 1
		.amdhsa_system_sgpr_workgroup_id_y 0
		.amdhsa_system_sgpr_workgroup_id_z 0
		.amdhsa_system_sgpr_workgroup_info 0
		.amdhsa_system_vgpr_workitem_id 0
		.amdhsa_next_free_vgpr 1
		.amdhsa_next_free_sgpr 1
		.amdhsa_reserve_vcc 0
		.amdhsa_float_round_mode_32 0
		.amdhsa_float_round_mode_16_64 0
		.amdhsa_float_denorm_mode_32 3
		.amdhsa_float_denorm_mode_16_64 3
		.amdhsa_dx10_clamp 1
		.amdhsa_ieee_mode 1
		.amdhsa_fp16_overflow 0
		.amdhsa_workgroup_processor_mode 1
		.amdhsa_memory_ordered 1
		.amdhsa_forward_progress 0
		.amdhsa_shared_vgpr_count 0
		.amdhsa_exception_fp_ieee_invalid_op 0
		.amdhsa_exception_fp_denorm_src 0
		.amdhsa_exception_fp_ieee_div_zero 0
		.amdhsa_exception_fp_ieee_overflow 0
		.amdhsa_exception_fp_ieee_underflow 0
		.amdhsa_exception_fp_ieee_inexact 0
		.amdhsa_exception_int_div_zero 0
	.end_amdhsa_kernel
	.section	.text._ZN7rocprim17ROCPRIM_400000_NS6detail17trampoline_kernelINS0_14default_configENS1_25partition_config_selectorILNS1_17partition_subalgoE9EllbEEZZNS1_14partition_implILS5_9ELb0ES3_jPlS8_PNS0_10empty_typeENS0_5tupleIJS8_S9_EEENSB_IJS8_SA_EEENS0_18inequality_wrapperIZN2at6native12_GLOBAL__N_124unique_dim_cuda_templateIN3c108BFloat16EEESt5tupleIJNSF_6TensorESM_SM_EERKSM_lbbbEUlllE0_EEPmJS9_EEE10hipError_tPvRmT3_T4_T5_T6_T7_T9_mT8_P12ihipStream_tbDpT10_ENKUlT_T0_E_clISt17integral_constantIbLb0EES1C_EEDaS17_S18_EUlS17_E_NS1_11comp_targetILNS1_3genE0ELNS1_11target_archE4294967295ELNS1_3gpuE0ELNS1_3repE0EEENS1_30default_config_static_selectorELNS0_4arch9wavefront6targetE0EEEvT1_,"axG",@progbits,_ZN7rocprim17ROCPRIM_400000_NS6detail17trampoline_kernelINS0_14default_configENS1_25partition_config_selectorILNS1_17partition_subalgoE9EllbEEZZNS1_14partition_implILS5_9ELb0ES3_jPlS8_PNS0_10empty_typeENS0_5tupleIJS8_S9_EEENSB_IJS8_SA_EEENS0_18inequality_wrapperIZN2at6native12_GLOBAL__N_124unique_dim_cuda_templateIN3c108BFloat16EEESt5tupleIJNSF_6TensorESM_SM_EERKSM_lbbbEUlllE0_EEPmJS9_EEE10hipError_tPvRmT3_T4_T5_T6_T7_T9_mT8_P12ihipStream_tbDpT10_ENKUlT_T0_E_clISt17integral_constantIbLb0EES1C_EEDaS17_S18_EUlS17_E_NS1_11comp_targetILNS1_3genE0ELNS1_11target_archE4294967295ELNS1_3gpuE0ELNS1_3repE0EEENS1_30default_config_static_selectorELNS0_4arch9wavefront6targetE0EEEvT1_,comdat
.Lfunc_end1205:
	.size	_ZN7rocprim17ROCPRIM_400000_NS6detail17trampoline_kernelINS0_14default_configENS1_25partition_config_selectorILNS1_17partition_subalgoE9EllbEEZZNS1_14partition_implILS5_9ELb0ES3_jPlS8_PNS0_10empty_typeENS0_5tupleIJS8_S9_EEENSB_IJS8_SA_EEENS0_18inequality_wrapperIZN2at6native12_GLOBAL__N_124unique_dim_cuda_templateIN3c108BFloat16EEESt5tupleIJNSF_6TensorESM_SM_EERKSM_lbbbEUlllE0_EEPmJS9_EEE10hipError_tPvRmT3_T4_T5_T6_T7_T9_mT8_P12ihipStream_tbDpT10_ENKUlT_T0_E_clISt17integral_constantIbLb0EES1C_EEDaS17_S18_EUlS17_E_NS1_11comp_targetILNS1_3genE0ELNS1_11target_archE4294967295ELNS1_3gpuE0ELNS1_3repE0EEENS1_30default_config_static_selectorELNS0_4arch9wavefront6targetE0EEEvT1_, .Lfunc_end1205-_ZN7rocprim17ROCPRIM_400000_NS6detail17trampoline_kernelINS0_14default_configENS1_25partition_config_selectorILNS1_17partition_subalgoE9EllbEEZZNS1_14partition_implILS5_9ELb0ES3_jPlS8_PNS0_10empty_typeENS0_5tupleIJS8_S9_EEENSB_IJS8_SA_EEENS0_18inequality_wrapperIZN2at6native12_GLOBAL__N_124unique_dim_cuda_templateIN3c108BFloat16EEESt5tupleIJNSF_6TensorESM_SM_EERKSM_lbbbEUlllE0_EEPmJS9_EEE10hipError_tPvRmT3_T4_T5_T6_T7_T9_mT8_P12ihipStream_tbDpT10_ENKUlT_T0_E_clISt17integral_constantIbLb0EES1C_EEDaS17_S18_EUlS17_E_NS1_11comp_targetILNS1_3genE0ELNS1_11target_archE4294967295ELNS1_3gpuE0ELNS1_3repE0EEENS1_30default_config_static_selectorELNS0_4arch9wavefront6targetE0EEEvT1_
                                        ; -- End function
	.section	.AMDGPU.csdata,"",@progbits
; Kernel info:
; codeLenInByte = 0
; NumSgprs: 0
; NumVgprs: 0
; ScratchSize: 0
; MemoryBound: 0
; FloatMode: 240
; IeeeMode: 1
; LDSByteSize: 0 bytes/workgroup (compile time only)
; SGPRBlocks: 0
; VGPRBlocks: 0
; NumSGPRsForWavesPerEU: 1
; NumVGPRsForWavesPerEU: 1
; Occupancy: 16
; WaveLimiterHint : 0
; COMPUTE_PGM_RSRC2:SCRATCH_EN: 0
; COMPUTE_PGM_RSRC2:USER_SGPR: 15
; COMPUTE_PGM_RSRC2:TRAP_HANDLER: 0
; COMPUTE_PGM_RSRC2:TGID_X_EN: 1
; COMPUTE_PGM_RSRC2:TGID_Y_EN: 0
; COMPUTE_PGM_RSRC2:TGID_Z_EN: 0
; COMPUTE_PGM_RSRC2:TIDIG_COMP_CNT: 0
	.section	.text._ZN7rocprim17ROCPRIM_400000_NS6detail17trampoline_kernelINS0_14default_configENS1_25partition_config_selectorILNS1_17partition_subalgoE9EllbEEZZNS1_14partition_implILS5_9ELb0ES3_jPlS8_PNS0_10empty_typeENS0_5tupleIJS8_S9_EEENSB_IJS8_SA_EEENS0_18inequality_wrapperIZN2at6native12_GLOBAL__N_124unique_dim_cuda_templateIN3c108BFloat16EEESt5tupleIJNSF_6TensorESM_SM_EERKSM_lbbbEUlllE0_EEPmJS9_EEE10hipError_tPvRmT3_T4_T5_T6_T7_T9_mT8_P12ihipStream_tbDpT10_ENKUlT_T0_E_clISt17integral_constantIbLb0EES1C_EEDaS17_S18_EUlS17_E_NS1_11comp_targetILNS1_3genE5ELNS1_11target_archE942ELNS1_3gpuE9ELNS1_3repE0EEENS1_30default_config_static_selectorELNS0_4arch9wavefront6targetE0EEEvT1_,"axG",@progbits,_ZN7rocprim17ROCPRIM_400000_NS6detail17trampoline_kernelINS0_14default_configENS1_25partition_config_selectorILNS1_17partition_subalgoE9EllbEEZZNS1_14partition_implILS5_9ELb0ES3_jPlS8_PNS0_10empty_typeENS0_5tupleIJS8_S9_EEENSB_IJS8_SA_EEENS0_18inequality_wrapperIZN2at6native12_GLOBAL__N_124unique_dim_cuda_templateIN3c108BFloat16EEESt5tupleIJNSF_6TensorESM_SM_EERKSM_lbbbEUlllE0_EEPmJS9_EEE10hipError_tPvRmT3_T4_T5_T6_T7_T9_mT8_P12ihipStream_tbDpT10_ENKUlT_T0_E_clISt17integral_constantIbLb0EES1C_EEDaS17_S18_EUlS17_E_NS1_11comp_targetILNS1_3genE5ELNS1_11target_archE942ELNS1_3gpuE9ELNS1_3repE0EEENS1_30default_config_static_selectorELNS0_4arch9wavefront6targetE0EEEvT1_,comdat
	.globl	_ZN7rocprim17ROCPRIM_400000_NS6detail17trampoline_kernelINS0_14default_configENS1_25partition_config_selectorILNS1_17partition_subalgoE9EllbEEZZNS1_14partition_implILS5_9ELb0ES3_jPlS8_PNS0_10empty_typeENS0_5tupleIJS8_S9_EEENSB_IJS8_SA_EEENS0_18inequality_wrapperIZN2at6native12_GLOBAL__N_124unique_dim_cuda_templateIN3c108BFloat16EEESt5tupleIJNSF_6TensorESM_SM_EERKSM_lbbbEUlllE0_EEPmJS9_EEE10hipError_tPvRmT3_T4_T5_T6_T7_T9_mT8_P12ihipStream_tbDpT10_ENKUlT_T0_E_clISt17integral_constantIbLb0EES1C_EEDaS17_S18_EUlS17_E_NS1_11comp_targetILNS1_3genE5ELNS1_11target_archE942ELNS1_3gpuE9ELNS1_3repE0EEENS1_30default_config_static_selectorELNS0_4arch9wavefront6targetE0EEEvT1_ ; -- Begin function _ZN7rocprim17ROCPRIM_400000_NS6detail17trampoline_kernelINS0_14default_configENS1_25partition_config_selectorILNS1_17partition_subalgoE9EllbEEZZNS1_14partition_implILS5_9ELb0ES3_jPlS8_PNS0_10empty_typeENS0_5tupleIJS8_S9_EEENSB_IJS8_SA_EEENS0_18inequality_wrapperIZN2at6native12_GLOBAL__N_124unique_dim_cuda_templateIN3c108BFloat16EEESt5tupleIJNSF_6TensorESM_SM_EERKSM_lbbbEUlllE0_EEPmJS9_EEE10hipError_tPvRmT3_T4_T5_T6_T7_T9_mT8_P12ihipStream_tbDpT10_ENKUlT_T0_E_clISt17integral_constantIbLb0EES1C_EEDaS17_S18_EUlS17_E_NS1_11comp_targetILNS1_3genE5ELNS1_11target_archE942ELNS1_3gpuE9ELNS1_3repE0EEENS1_30default_config_static_selectorELNS0_4arch9wavefront6targetE0EEEvT1_
	.p2align	8
	.type	_ZN7rocprim17ROCPRIM_400000_NS6detail17trampoline_kernelINS0_14default_configENS1_25partition_config_selectorILNS1_17partition_subalgoE9EllbEEZZNS1_14partition_implILS5_9ELb0ES3_jPlS8_PNS0_10empty_typeENS0_5tupleIJS8_S9_EEENSB_IJS8_SA_EEENS0_18inequality_wrapperIZN2at6native12_GLOBAL__N_124unique_dim_cuda_templateIN3c108BFloat16EEESt5tupleIJNSF_6TensorESM_SM_EERKSM_lbbbEUlllE0_EEPmJS9_EEE10hipError_tPvRmT3_T4_T5_T6_T7_T9_mT8_P12ihipStream_tbDpT10_ENKUlT_T0_E_clISt17integral_constantIbLb0EES1C_EEDaS17_S18_EUlS17_E_NS1_11comp_targetILNS1_3genE5ELNS1_11target_archE942ELNS1_3gpuE9ELNS1_3repE0EEENS1_30default_config_static_selectorELNS0_4arch9wavefront6targetE0EEEvT1_,@function
_ZN7rocprim17ROCPRIM_400000_NS6detail17trampoline_kernelINS0_14default_configENS1_25partition_config_selectorILNS1_17partition_subalgoE9EllbEEZZNS1_14partition_implILS5_9ELb0ES3_jPlS8_PNS0_10empty_typeENS0_5tupleIJS8_S9_EEENSB_IJS8_SA_EEENS0_18inequality_wrapperIZN2at6native12_GLOBAL__N_124unique_dim_cuda_templateIN3c108BFloat16EEESt5tupleIJNSF_6TensorESM_SM_EERKSM_lbbbEUlllE0_EEPmJS9_EEE10hipError_tPvRmT3_T4_T5_T6_T7_T9_mT8_P12ihipStream_tbDpT10_ENKUlT_T0_E_clISt17integral_constantIbLb0EES1C_EEDaS17_S18_EUlS17_E_NS1_11comp_targetILNS1_3genE5ELNS1_11target_archE942ELNS1_3gpuE9ELNS1_3repE0EEENS1_30default_config_static_selectorELNS0_4arch9wavefront6targetE0EEEvT1_: ; @_ZN7rocprim17ROCPRIM_400000_NS6detail17trampoline_kernelINS0_14default_configENS1_25partition_config_selectorILNS1_17partition_subalgoE9EllbEEZZNS1_14partition_implILS5_9ELb0ES3_jPlS8_PNS0_10empty_typeENS0_5tupleIJS8_S9_EEENSB_IJS8_SA_EEENS0_18inequality_wrapperIZN2at6native12_GLOBAL__N_124unique_dim_cuda_templateIN3c108BFloat16EEESt5tupleIJNSF_6TensorESM_SM_EERKSM_lbbbEUlllE0_EEPmJS9_EEE10hipError_tPvRmT3_T4_T5_T6_T7_T9_mT8_P12ihipStream_tbDpT10_ENKUlT_T0_E_clISt17integral_constantIbLb0EES1C_EEDaS17_S18_EUlS17_E_NS1_11comp_targetILNS1_3genE5ELNS1_11target_archE942ELNS1_3gpuE9ELNS1_3repE0EEENS1_30default_config_static_selectorELNS0_4arch9wavefront6targetE0EEEvT1_
; %bb.0:
	.section	.rodata,"a",@progbits
	.p2align	6, 0x0
	.amdhsa_kernel _ZN7rocprim17ROCPRIM_400000_NS6detail17trampoline_kernelINS0_14default_configENS1_25partition_config_selectorILNS1_17partition_subalgoE9EllbEEZZNS1_14partition_implILS5_9ELb0ES3_jPlS8_PNS0_10empty_typeENS0_5tupleIJS8_S9_EEENSB_IJS8_SA_EEENS0_18inequality_wrapperIZN2at6native12_GLOBAL__N_124unique_dim_cuda_templateIN3c108BFloat16EEESt5tupleIJNSF_6TensorESM_SM_EERKSM_lbbbEUlllE0_EEPmJS9_EEE10hipError_tPvRmT3_T4_T5_T6_T7_T9_mT8_P12ihipStream_tbDpT10_ENKUlT_T0_E_clISt17integral_constantIbLb0EES1C_EEDaS17_S18_EUlS17_E_NS1_11comp_targetILNS1_3genE5ELNS1_11target_archE942ELNS1_3gpuE9ELNS1_3repE0EEENS1_30default_config_static_selectorELNS0_4arch9wavefront6targetE0EEEvT1_
		.amdhsa_group_segment_fixed_size 0
		.amdhsa_private_segment_fixed_size 0
		.amdhsa_kernarg_size 120
		.amdhsa_user_sgpr_count 15
		.amdhsa_user_sgpr_dispatch_ptr 0
		.amdhsa_user_sgpr_queue_ptr 0
		.amdhsa_user_sgpr_kernarg_segment_ptr 1
		.amdhsa_user_sgpr_dispatch_id 0
		.amdhsa_user_sgpr_private_segment_size 0
		.amdhsa_wavefront_size32 1
		.amdhsa_uses_dynamic_stack 0
		.amdhsa_enable_private_segment 0
		.amdhsa_system_sgpr_workgroup_id_x 1
		.amdhsa_system_sgpr_workgroup_id_y 0
		.amdhsa_system_sgpr_workgroup_id_z 0
		.amdhsa_system_sgpr_workgroup_info 0
		.amdhsa_system_vgpr_workitem_id 0
		.amdhsa_next_free_vgpr 1
		.amdhsa_next_free_sgpr 1
		.amdhsa_reserve_vcc 0
		.amdhsa_float_round_mode_32 0
		.amdhsa_float_round_mode_16_64 0
		.amdhsa_float_denorm_mode_32 3
		.amdhsa_float_denorm_mode_16_64 3
		.amdhsa_dx10_clamp 1
		.amdhsa_ieee_mode 1
		.amdhsa_fp16_overflow 0
		.amdhsa_workgroup_processor_mode 1
		.amdhsa_memory_ordered 1
		.amdhsa_forward_progress 0
		.amdhsa_shared_vgpr_count 0
		.amdhsa_exception_fp_ieee_invalid_op 0
		.amdhsa_exception_fp_denorm_src 0
		.amdhsa_exception_fp_ieee_div_zero 0
		.amdhsa_exception_fp_ieee_overflow 0
		.amdhsa_exception_fp_ieee_underflow 0
		.amdhsa_exception_fp_ieee_inexact 0
		.amdhsa_exception_int_div_zero 0
	.end_amdhsa_kernel
	.section	.text._ZN7rocprim17ROCPRIM_400000_NS6detail17trampoline_kernelINS0_14default_configENS1_25partition_config_selectorILNS1_17partition_subalgoE9EllbEEZZNS1_14partition_implILS5_9ELb0ES3_jPlS8_PNS0_10empty_typeENS0_5tupleIJS8_S9_EEENSB_IJS8_SA_EEENS0_18inequality_wrapperIZN2at6native12_GLOBAL__N_124unique_dim_cuda_templateIN3c108BFloat16EEESt5tupleIJNSF_6TensorESM_SM_EERKSM_lbbbEUlllE0_EEPmJS9_EEE10hipError_tPvRmT3_T4_T5_T6_T7_T9_mT8_P12ihipStream_tbDpT10_ENKUlT_T0_E_clISt17integral_constantIbLb0EES1C_EEDaS17_S18_EUlS17_E_NS1_11comp_targetILNS1_3genE5ELNS1_11target_archE942ELNS1_3gpuE9ELNS1_3repE0EEENS1_30default_config_static_selectorELNS0_4arch9wavefront6targetE0EEEvT1_,"axG",@progbits,_ZN7rocprim17ROCPRIM_400000_NS6detail17trampoline_kernelINS0_14default_configENS1_25partition_config_selectorILNS1_17partition_subalgoE9EllbEEZZNS1_14partition_implILS5_9ELb0ES3_jPlS8_PNS0_10empty_typeENS0_5tupleIJS8_S9_EEENSB_IJS8_SA_EEENS0_18inequality_wrapperIZN2at6native12_GLOBAL__N_124unique_dim_cuda_templateIN3c108BFloat16EEESt5tupleIJNSF_6TensorESM_SM_EERKSM_lbbbEUlllE0_EEPmJS9_EEE10hipError_tPvRmT3_T4_T5_T6_T7_T9_mT8_P12ihipStream_tbDpT10_ENKUlT_T0_E_clISt17integral_constantIbLb0EES1C_EEDaS17_S18_EUlS17_E_NS1_11comp_targetILNS1_3genE5ELNS1_11target_archE942ELNS1_3gpuE9ELNS1_3repE0EEENS1_30default_config_static_selectorELNS0_4arch9wavefront6targetE0EEEvT1_,comdat
.Lfunc_end1206:
	.size	_ZN7rocprim17ROCPRIM_400000_NS6detail17trampoline_kernelINS0_14default_configENS1_25partition_config_selectorILNS1_17partition_subalgoE9EllbEEZZNS1_14partition_implILS5_9ELb0ES3_jPlS8_PNS0_10empty_typeENS0_5tupleIJS8_S9_EEENSB_IJS8_SA_EEENS0_18inequality_wrapperIZN2at6native12_GLOBAL__N_124unique_dim_cuda_templateIN3c108BFloat16EEESt5tupleIJNSF_6TensorESM_SM_EERKSM_lbbbEUlllE0_EEPmJS9_EEE10hipError_tPvRmT3_T4_T5_T6_T7_T9_mT8_P12ihipStream_tbDpT10_ENKUlT_T0_E_clISt17integral_constantIbLb0EES1C_EEDaS17_S18_EUlS17_E_NS1_11comp_targetILNS1_3genE5ELNS1_11target_archE942ELNS1_3gpuE9ELNS1_3repE0EEENS1_30default_config_static_selectorELNS0_4arch9wavefront6targetE0EEEvT1_, .Lfunc_end1206-_ZN7rocprim17ROCPRIM_400000_NS6detail17trampoline_kernelINS0_14default_configENS1_25partition_config_selectorILNS1_17partition_subalgoE9EllbEEZZNS1_14partition_implILS5_9ELb0ES3_jPlS8_PNS0_10empty_typeENS0_5tupleIJS8_S9_EEENSB_IJS8_SA_EEENS0_18inequality_wrapperIZN2at6native12_GLOBAL__N_124unique_dim_cuda_templateIN3c108BFloat16EEESt5tupleIJNSF_6TensorESM_SM_EERKSM_lbbbEUlllE0_EEPmJS9_EEE10hipError_tPvRmT3_T4_T5_T6_T7_T9_mT8_P12ihipStream_tbDpT10_ENKUlT_T0_E_clISt17integral_constantIbLb0EES1C_EEDaS17_S18_EUlS17_E_NS1_11comp_targetILNS1_3genE5ELNS1_11target_archE942ELNS1_3gpuE9ELNS1_3repE0EEENS1_30default_config_static_selectorELNS0_4arch9wavefront6targetE0EEEvT1_
                                        ; -- End function
	.section	.AMDGPU.csdata,"",@progbits
; Kernel info:
; codeLenInByte = 0
; NumSgprs: 0
; NumVgprs: 0
; ScratchSize: 0
; MemoryBound: 0
; FloatMode: 240
; IeeeMode: 1
; LDSByteSize: 0 bytes/workgroup (compile time only)
; SGPRBlocks: 0
; VGPRBlocks: 0
; NumSGPRsForWavesPerEU: 1
; NumVGPRsForWavesPerEU: 1
; Occupancy: 16
; WaveLimiterHint : 0
; COMPUTE_PGM_RSRC2:SCRATCH_EN: 0
; COMPUTE_PGM_RSRC2:USER_SGPR: 15
; COMPUTE_PGM_RSRC2:TRAP_HANDLER: 0
; COMPUTE_PGM_RSRC2:TGID_X_EN: 1
; COMPUTE_PGM_RSRC2:TGID_Y_EN: 0
; COMPUTE_PGM_RSRC2:TGID_Z_EN: 0
; COMPUTE_PGM_RSRC2:TIDIG_COMP_CNT: 0
	.section	.text._ZN7rocprim17ROCPRIM_400000_NS6detail17trampoline_kernelINS0_14default_configENS1_25partition_config_selectorILNS1_17partition_subalgoE9EllbEEZZNS1_14partition_implILS5_9ELb0ES3_jPlS8_PNS0_10empty_typeENS0_5tupleIJS8_S9_EEENSB_IJS8_SA_EEENS0_18inequality_wrapperIZN2at6native12_GLOBAL__N_124unique_dim_cuda_templateIN3c108BFloat16EEESt5tupleIJNSF_6TensorESM_SM_EERKSM_lbbbEUlllE0_EEPmJS9_EEE10hipError_tPvRmT3_T4_T5_T6_T7_T9_mT8_P12ihipStream_tbDpT10_ENKUlT_T0_E_clISt17integral_constantIbLb0EES1C_EEDaS17_S18_EUlS17_E_NS1_11comp_targetILNS1_3genE4ELNS1_11target_archE910ELNS1_3gpuE8ELNS1_3repE0EEENS1_30default_config_static_selectorELNS0_4arch9wavefront6targetE0EEEvT1_,"axG",@progbits,_ZN7rocprim17ROCPRIM_400000_NS6detail17trampoline_kernelINS0_14default_configENS1_25partition_config_selectorILNS1_17partition_subalgoE9EllbEEZZNS1_14partition_implILS5_9ELb0ES3_jPlS8_PNS0_10empty_typeENS0_5tupleIJS8_S9_EEENSB_IJS8_SA_EEENS0_18inequality_wrapperIZN2at6native12_GLOBAL__N_124unique_dim_cuda_templateIN3c108BFloat16EEESt5tupleIJNSF_6TensorESM_SM_EERKSM_lbbbEUlllE0_EEPmJS9_EEE10hipError_tPvRmT3_T4_T5_T6_T7_T9_mT8_P12ihipStream_tbDpT10_ENKUlT_T0_E_clISt17integral_constantIbLb0EES1C_EEDaS17_S18_EUlS17_E_NS1_11comp_targetILNS1_3genE4ELNS1_11target_archE910ELNS1_3gpuE8ELNS1_3repE0EEENS1_30default_config_static_selectorELNS0_4arch9wavefront6targetE0EEEvT1_,comdat
	.globl	_ZN7rocprim17ROCPRIM_400000_NS6detail17trampoline_kernelINS0_14default_configENS1_25partition_config_selectorILNS1_17partition_subalgoE9EllbEEZZNS1_14partition_implILS5_9ELb0ES3_jPlS8_PNS0_10empty_typeENS0_5tupleIJS8_S9_EEENSB_IJS8_SA_EEENS0_18inequality_wrapperIZN2at6native12_GLOBAL__N_124unique_dim_cuda_templateIN3c108BFloat16EEESt5tupleIJNSF_6TensorESM_SM_EERKSM_lbbbEUlllE0_EEPmJS9_EEE10hipError_tPvRmT3_T4_T5_T6_T7_T9_mT8_P12ihipStream_tbDpT10_ENKUlT_T0_E_clISt17integral_constantIbLb0EES1C_EEDaS17_S18_EUlS17_E_NS1_11comp_targetILNS1_3genE4ELNS1_11target_archE910ELNS1_3gpuE8ELNS1_3repE0EEENS1_30default_config_static_selectorELNS0_4arch9wavefront6targetE0EEEvT1_ ; -- Begin function _ZN7rocprim17ROCPRIM_400000_NS6detail17trampoline_kernelINS0_14default_configENS1_25partition_config_selectorILNS1_17partition_subalgoE9EllbEEZZNS1_14partition_implILS5_9ELb0ES3_jPlS8_PNS0_10empty_typeENS0_5tupleIJS8_S9_EEENSB_IJS8_SA_EEENS0_18inequality_wrapperIZN2at6native12_GLOBAL__N_124unique_dim_cuda_templateIN3c108BFloat16EEESt5tupleIJNSF_6TensorESM_SM_EERKSM_lbbbEUlllE0_EEPmJS9_EEE10hipError_tPvRmT3_T4_T5_T6_T7_T9_mT8_P12ihipStream_tbDpT10_ENKUlT_T0_E_clISt17integral_constantIbLb0EES1C_EEDaS17_S18_EUlS17_E_NS1_11comp_targetILNS1_3genE4ELNS1_11target_archE910ELNS1_3gpuE8ELNS1_3repE0EEENS1_30default_config_static_selectorELNS0_4arch9wavefront6targetE0EEEvT1_
	.p2align	8
	.type	_ZN7rocprim17ROCPRIM_400000_NS6detail17trampoline_kernelINS0_14default_configENS1_25partition_config_selectorILNS1_17partition_subalgoE9EllbEEZZNS1_14partition_implILS5_9ELb0ES3_jPlS8_PNS0_10empty_typeENS0_5tupleIJS8_S9_EEENSB_IJS8_SA_EEENS0_18inequality_wrapperIZN2at6native12_GLOBAL__N_124unique_dim_cuda_templateIN3c108BFloat16EEESt5tupleIJNSF_6TensorESM_SM_EERKSM_lbbbEUlllE0_EEPmJS9_EEE10hipError_tPvRmT3_T4_T5_T6_T7_T9_mT8_P12ihipStream_tbDpT10_ENKUlT_T0_E_clISt17integral_constantIbLb0EES1C_EEDaS17_S18_EUlS17_E_NS1_11comp_targetILNS1_3genE4ELNS1_11target_archE910ELNS1_3gpuE8ELNS1_3repE0EEENS1_30default_config_static_selectorELNS0_4arch9wavefront6targetE0EEEvT1_,@function
_ZN7rocprim17ROCPRIM_400000_NS6detail17trampoline_kernelINS0_14default_configENS1_25partition_config_selectorILNS1_17partition_subalgoE9EllbEEZZNS1_14partition_implILS5_9ELb0ES3_jPlS8_PNS0_10empty_typeENS0_5tupleIJS8_S9_EEENSB_IJS8_SA_EEENS0_18inequality_wrapperIZN2at6native12_GLOBAL__N_124unique_dim_cuda_templateIN3c108BFloat16EEESt5tupleIJNSF_6TensorESM_SM_EERKSM_lbbbEUlllE0_EEPmJS9_EEE10hipError_tPvRmT3_T4_T5_T6_T7_T9_mT8_P12ihipStream_tbDpT10_ENKUlT_T0_E_clISt17integral_constantIbLb0EES1C_EEDaS17_S18_EUlS17_E_NS1_11comp_targetILNS1_3genE4ELNS1_11target_archE910ELNS1_3gpuE8ELNS1_3repE0EEENS1_30default_config_static_selectorELNS0_4arch9wavefront6targetE0EEEvT1_: ; @_ZN7rocprim17ROCPRIM_400000_NS6detail17trampoline_kernelINS0_14default_configENS1_25partition_config_selectorILNS1_17partition_subalgoE9EllbEEZZNS1_14partition_implILS5_9ELb0ES3_jPlS8_PNS0_10empty_typeENS0_5tupleIJS8_S9_EEENSB_IJS8_SA_EEENS0_18inequality_wrapperIZN2at6native12_GLOBAL__N_124unique_dim_cuda_templateIN3c108BFloat16EEESt5tupleIJNSF_6TensorESM_SM_EERKSM_lbbbEUlllE0_EEPmJS9_EEE10hipError_tPvRmT3_T4_T5_T6_T7_T9_mT8_P12ihipStream_tbDpT10_ENKUlT_T0_E_clISt17integral_constantIbLb0EES1C_EEDaS17_S18_EUlS17_E_NS1_11comp_targetILNS1_3genE4ELNS1_11target_archE910ELNS1_3gpuE8ELNS1_3repE0EEENS1_30default_config_static_selectorELNS0_4arch9wavefront6targetE0EEEvT1_
; %bb.0:
	.section	.rodata,"a",@progbits
	.p2align	6, 0x0
	.amdhsa_kernel _ZN7rocprim17ROCPRIM_400000_NS6detail17trampoline_kernelINS0_14default_configENS1_25partition_config_selectorILNS1_17partition_subalgoE9EllbEEZZNS1_14partition_implILS5_9ELb0ES3_jPlS8_PNS0_10empty_typeENS0_5tupleIJS8_S9_EEENSB_IJS8_SA_EEENS0_18inequality_wrapperIZN2at6native12_GLOBAL__N_124unique_dim_cuda_templateIN3c108BFloat16EEESt5tupleIJNSF_6TensorESM_SM_EERKSM_lbbbEUlllE0_EEPmJS9_EEE10hipError_tPvRmT3_T4_T5_T6_T7_T9_mT8_P12ihipStream_tbDpT10_ENKUlT_T0_E_clISt17integral_constantIbLb0EES1C_EEDaS17_S18_EUlS17_E_NS1_11comp_targetILNS1_3genE4ELNS1_11target_archE910ELNS1_3gpuE8ELNS1_3repE0EEENS1_30default_config_static_selectorELNS0_4arch9wavefront6targetE0EEEvT1_
		.amdhsa_group_segment_fixed_size 0
		.amdhsa_private_segment_fixed_size 0
		.amdhsa_kernarg_size 120
		.amdhsa_user_sgpr_count 15
		.amdhsa_user_sgpr_dispatch_ptr 0
		.amdhsa_user_sgpr_queue_ptr 0
		.amdhsa_user_sgpr_kernarg_segment_ptr 1
		.amdhsa_user_sgpr_dispatch_id 0
		.amdhsa_user_sgpr_private_segment_size 0
		.amdhsa_wavefront_size32 1
		.amdhsa_uses_dynamic_stack 0
		.amdhsa_enable_private_segment 0
		.amdhsa_system_sgpr_workgroup_id_x 1
		.amdhsa_system_sgpr_workgroup_id_y 0
		.amdhsa_system_sgpr_workgroup_id_z 0
		.amdhsa_system_sgpr_workgroup_info 0
		.amdhsa_system_vgpr_workitem_id 0
		.amdhsa_next_free_vgpr 1
		.amdhsa_next_free_sgpr 1
		.amdhsa_reserve_vcc 0
		.amdhsa_float_round_mode_32 0
		.amdhsa_float_round_mode_16_64 0
		.amdhsa_float_denorm_mode_32 3
		.amdhsa_float_denorm_mode_16_64 3
		.amdhsa_dx10_clamp 1
		.amdhsa_ieee_mode 1
		.amdhsa_fp16_overflow 0
		.amdhsa_workgroup_processor_mode 1
		.amdhsa_memory_ordered 1
		.amdhsa_forward_progress 0
		.amdhsa_shared_vgpr_count 0
		.amdhsa_exception_fp_ieee_invalid_op 0
		.amdhsa_exception_fp_denorm_src 0
		.amdhsa_exception_fp_ieee_div_zero 0
		.amdhsa_exception_fp_ieee_overflow 0
		.amdhsa_exception_fp_ieee_underflow 0
		.amdhsa_exception_fp_ieee_inexact 0
		.amdhsa_exception_int_div_zero 0
	.end_amdhsa_kernel
	.section	.text._ZN7rocprim17ROCPRIM_400000_NS6detail17trampoline_kernelINS0_14default_configENS1_25partition_config_selectorILNS1_17partition_subalgoE9EllbEEZZNS1_14partition_implILS5_9ELb0ES3_jPlS8_PNS0_10empty_typeENS0_5tupleIJS8_S9_EEENSB_IJS8_SA_EEENS0_18inequality_wrapperIZN2at6native12_GLOBAL__N_124unique_dim_cuda_templateIN3c108BFloat16EEESt5tupleIJNSF_6TensorESM_SM_EERKSM_lbbbEUlllE0_EEPmJS9_EEE10hipError_tPvRmT3_T4_T5_T6_T7_T9_mT8_P12ihipStream_tbDpT10_ENKUlT_T0_E_clISt17integral_constantIbLb0EES1C_EEDaS17_S18_EUlS17_E_NS1_11comp_targetILNS1_3genE4ELNS1_11target_archE910ELNS1_3gpuE8ELNS1_3repE0EEENS1_30default_config_static_selectorELNS0_4arch9wavefront6targetE0EEEvT1_,"axG",@progbits,_ZN7rocprim17ROCPRIM_400000_NS6detail17trampoline_kernelINS0_14default_configENS1_25partition_config_selectorILNS1_17partition_subalgoE9EllbEEZZNS1_14partition_implILS5_9ELb0ES3_jPlS8_PNS0_10empty_typeENS0_5tupleIJS8_S9_EEENSB_IJS8_SA_EEENS0_18inequality_wrapperIZN2at6native12_GLOBAL__N_124unique_dim_cuda_templateIN3c108BFloat16EEESt5tupleIJNSF_6TensorESM_SM_EERKSM_lbbbEUlllE0_EEPmJS9_EEE10hipError_tPvRmT3_T4_T5_T6_T7_T9_mT8_P12ihipStream_tbDpT10_ENKUlT_T0_E_clISt17integral_constantIbLb0EES1C_EEDaS17_S18_EUlS17_E_NS1_11comp_targetILNS1_3genE4ELNS1_11target_archE910ELNS1_3gpuE8ELNS1_3repE0EEENS1_30default_config_static_selectorELNS0_4arch9wavefront6targetE0EEEvT1_,comdat
.Lfunc_end1207:
	.size	_ZN7rocprim17ROCPRIM_400000_NS6detail17trampoline_kernelINS0_14default_configENS1_25partition_config_selectorILNS1_17partition_subalgoE9EllbEEZZNS1_14partition_implILS5_9ELb0ES3_jPlS8_PNS0_10empty_typeENS0_5tupleIJS8_S9_EEENSB_IJS8_SA_EEENS0_18inequality_wrapperIZN2at6native12_GLOBAL__N_124unique_dim_cuda_templateIN3c108BFloat16EEESt5tupleIJNSF_6TensorESM_SM_EERKSM_lbbbEUlllE0_EEPmJS9_EEE10hipError_tPvRmT3_T4_T5_T6_T7_T9_mT8_P12ihipStream_tbDpT10_ENKUlT_T0_E_clISt17integral_constantIbLb0EES1C_EEDaS17_S18_EUlS17_E_NS1_11comp_targetILNS1_3genE4ELNS1_11target_archE910ELNS1_3gpuE8ELNS1_3repE0EEENS1_30default_config_static_selectorELNS0_4arch9wavefront6targetE0EEEvT1_, .Lfunc_end1207-_ZN7rocprim17ROCPRIM_400000_NS6detail17trampoline_kernelINS0_14default_configENS1_25partition_config_selectorILNS1_17partition_subalgoE9EllbEEZZNS1_14partition_implILS5_9ELb0ES3_jPlS8_PNS0_10empty_typeENS0_5tupleIJS8_S9_EEENSB_IJS8_SA_EEENS0_18inequality_wrapperIZN2at6native12_GLOBAL__N_124unique_dim_cuda_templateIN3c108BFloat16EEESt5tupleIJNSF_6TensorESM_SM_EERKSM_lbbbEUlllE0_EEPmJS9_EEE10hipError_tPvRmT3_T4_T5_T6_T7_T9_mT8_P12ihipStream_tbDpT10_ENKUlT_T0_E_clISt17integral_constantIbLb0EES1C_EEDaS17_S18_EUlS17_E_NS1_11comp_targetILNS1_3genE4ELNS1_11target_archE910ELNS1_3gpuE8ELNS1_3repE0EEENS1_30default_config_static_selectorELNS0_4arch9wavefront6targetE0EEEvT1_
                                        ; -- End function
	.section	.AMDGPU.csdata,"",@progbits
; Kernel info:
; codeLenInByte = 0
; NumSgprs: 0
; NumVgprs: 0
; ScratchSize: 0
; MemoryBound: 0
; FloatMode: 240
; IeeeMode: 1
; LDSByteSize: 0 bytes/workgroup (compile time only)
; SGPRBlocks: 0
; VGPRBlocks: 0
; NumSGPRsForWavesPerEU: 1
; NumVGPRsForWavesPerEU: 1
; Occupancy: 16
; WaveLimiterHint : 0
; COMPUTE_PGM_RSRC2:SCRATCH_EN: 0
; COMPUTE_PGM_RSRC2:USER_SGPR: 15
; COMPUTE_PGM_RSRC2:TRAP_HANDLER: 0
; COMPUTE_PGM_RSRC2:TGID_X_EN: 1
; COMPUTE_PGM_RSRC2:TGID_Y_EN: 0
; COMPUTE_PGM_RSRC2:TGID_Z_EN: 0
; COMPUTE_PGM_RSRC2:TIDIG_COMP_CNT: 0
	.section	.text._ZN7rocprim17ROCPRIM_400000_NS6detail17trampoline_kernelINS0_14default_configENS1_25partition_config_selectorILNS1_17partition_subalgoE9EllbEEZZNS1_14partition_implILS5_9ELb0ES3_jPlS8_PNS0_10empty_typeENS0_5tupleIJS8_S9_EEENSB_IJS8_SA_EEENS0_18inequality_wrapperIZN2at6native12_GLOBAL__N_124unique_dim_cuda_templateIN3c108BFloat16EEESt5tupleIJNSF_6TensorESM_SM_EERKSM_lbbbEUlllE0_EEPmJS9_EEE10hipError_tPvRmT3_T4_T5_T6_T7_T9_mT8_P12ihipStream_tbDpT10_ENKUlT_T0_E_clISt17integral_constantIbLb0EES1C_EEDaS17_S18_EUlS17_E_NS1_11comp_targetILNS1_3genE3ELNS1_11target_archE908ELNS1_3gpuE7ELNS1_3repE0EEENS1_30default_config_static_selectorELNS0_4arch9wavefront6targetE0EEEvT1_,"axG",@progbits,_ZN7rocprim17ROCPRIM_400000_NS6detail17trampoline_kernelINS0_14default_configENS1_25partition_config_selectorILNS1_17partition_subalgoE9EllbEEZZNS1_14partition_implILS5_9ELb0ES3_jPlS8_PNS0_10empty_typeENS0_5tupleIJS8_S9_EEENSB_IJS8_SA_EEENS0_18inequality_wrapperIZN2at6native12_GLOBAL__N_124unique_dim_cuda_templateIN3c108BFloat16EEESt5tupleIJNSF_6TensorESM_SM_EERKSM_lbbbEUlllE0_EEPmJS9_EEE10hipError_tPvRmT3_T4_T5_T6_T7_T9_mT8_P12ihipStream_tbDpT10_ENKUlT_T0_E_clISt17integral_constantIbLb0EES1C_EEDaS17_S18_EUlS17_E_NS1_11comp_targetILNS1_3genE3ELNS1_11target_archE908ELNS1_3gpuE7ELNS1_3repE0EEENS1_30default_config_static_selectorELNS0_4arch9wavefront6targetE0EEEvT1_,comdat
	.globl	_ZN7rocprim17ROCPRIM_400000_NS6detail17trampoline_kernelINS0_14default_configENS1_25partition_config_selectorILNS1_17partition_subalgoE9EllbEEZZNS1_14partition_implILS5_9ELb0ES3_jPlS8_PNS0_10empty_typeENS0_5tupleIJS8_S9_EEENSB_IJS8_SA_EEENS0_18inequality_wrapperIZN2at6native12_GLOBAL__N_124unique_dim_cuda_templateIN3c108BFloat16EEESt5tupleIJNSF_6TensorESM_SM_EERKSM_lbbbEUlllE0_EEPmJS9_EEE10hipError_tPvRmT3_T4_T5_T6_T7_T9_mT8_P12ihipStream_tbDpT10_ENKUlT_T0_E_clISt17integral_constantIbLb0EES1C_EEDaS17_S18_EUlS17_E_NS1_11comp_targetILNS1_3genE3ELNS1_11target_archE908ELNS1_3gpuE7ELNS1_3repE0EEENS1_30default_config_static_selectorELNS0_4arch9wavefront6targetE0EEEvT1_ ; -- Begin function _ZN7rocprim17ROCPRIM_400000_NS6detail17trampoline_kernelINS0_14default_configENS1_25partition_config_selectorILNS1_17partition_subalgoE9EllbEEZZNS1_14partition_implILS5_9ELb0ES3_jPlS8_PNS0_10empty_typeENS0_5tupleIJS8_S9_EEENSB_IJS8_SA_EEENS0_18inequality_wrapperIZN2at6native12_GLOBAL__N_124unique_dim_cuda_templateIN3c108BFloat16EEESt5tupleIJNSF_6TensorESM_SM_EERKSM_lbbbEUlllE0_EEPmJS9_EEE10hipError_tPvRmT3_T4_T5_T6_T7_T9_mT8_P12ihipStream_tbDpT10_ENKUlT_T0_E_clISt17integral_constantIbLb0EES1C_EEDaS17_S18_EUlS17_E_NS1_11comp_targetILNS1_3genE3ELNS1_11target_archE908ELNS1_3gpuE7ELNS1_3repE0EEENS1_30default_config_static_selectorELNS0_4arch9wavefront6targetE0EEEvT1_
	.p2align	8
	.type	_ZN7rocprim17ROCPRIM_400000_NS6detail17trampoline_kernelINS0_14default_configENS1_25partition_config_selectorILNS1_17partition_subalgoE9EllbEEZZNS1_14partition_implILS5_9ELb0ES3_jPlS8_PNS0_10empty_typeENS0_5tupleIJS8_S9_EEENSB_IJS8_SA_EEENS0_18inequality_wrapperIZN2at6native12_GLOBAL__N_124unique_dim_cuda_templateIN3c108BFloat16EEESt5tupleIJNSF_6TensorESM_SM_EERKSM_lbbbEUlllE0_EEPmJS9_EEE10hipError_tPvRmT3_T4_T5_T6_T7_T9_mT8_P12ihipStream_tbDpT10_ENKUlT_T0_E_clISt17integral_constantIbLb0EES1C_EEDaS17_S18_EUlS17_E_NS1_11comp_targetILNS1_3genE3ELNS1_11target_archE908ELNS1_3gpuE7ELNS1_3repE0EEENS1_30default_config_static_selectorELNS0_4arch9wavefront6targetE0EEEvT1_,@function
_ZN7rocprim17ROCPRIM_400000_NS6detail17trampoline_kernelINS0_14default_configENS1_25partition_config_selectorILNS1_17partition_subalgoE9EllbEEZZNS1_14partition_implILS5_9ELb0ES3_jPlS8_PNS0_10empty_typeENS0_5tupleIJS8_S9_EEENSB_IJS8_SA_EEENS0_18inequality_wrapperIZN2at6native12_GLOBAL__N_124unique_dim_cuda_templateIN3c108BFloat16EEESt5tupleIJNSF_6TensorESM_SM_EERKSM_lbbbEUlllE0_EEPmJS9_EEE10hipError_tPvRmT3_T4_T5_T6_T7_T9_mT8_P12ihipStream_tbDpT10_ENKUlT_T0_E_clISt17integral_constantIbLb0EES1C_EEDaS17_S18_EUlS17_E_NS1_11comp_targetILNS1_3genE3ELNS1_11target_archE908ELNS1_3gpuE7ELNS1_3repE0EEENS1_30default_config_static_selectorELNS0_4arch9wavefront6targetE0EEEvT1_: ; @_ZN7rocprim17ROCPRIM_400000_NS6detail17trampoline_kernelINS0_14default_configENS1_25partition_config_selectorILNS1_17partition_subalgoE9EllbEEZZNS1_14partition_implILS5_9ELb0ES3_jPlS8_PNS0_10empty_typeENS0_5tupleIJS8_S9_EEENSB_IJS8_SA_EEENS0_18inequality_wrapperIZN2at6native12_GLOBAL__N_124unique_dim_cuda_templateIN3c108BFloat16EEESt5tupleIJNSF_6TensorESM_SM_EERKSM_lbbbEUlllE0_EEPmJS9_EEE10hipError_tPvRmT3_T4_T5_T6_T7_T9_mT8_P12ihipStream_tbDpT10_ENKUlT_T0_E_clISt17integral_constantIbLb0EES1C_EEDaS17_S18_EUlS17_E_NS1_11comp_targetILNS1_3genE3ELNS1_11target_archE908ELNS1_3gpuE7ELNS1_3repE0EEENS1_30default_config_static_selectorELNS0_4arch9wavefront6targetE0EEEvT1_
; %bb.0:
	.section	.rodata,"a",@progbits
	.p2align	6, 0x0
	.amdhsa_kernel _ZN7rocprim17ROCPRIM_400000_NS6detail17trampoline_kernelINS0_14default_configENS1_25partition_config_selectorILNS1_17partition_subalgoE9EllbEEZZNS1_14partition_implILS5_9ELb0ES3_jPlS8_PNS0_10empty_typeENS0_5tupleIJS8_S9_EEENSB_IJS8_SA_EEENS0_18inequality_wrapperIZN2at6native12_GLOBAL__N_124unique_dim_cuda_templateIN3c108BFloat16EEESt5tupleIJNSF_6TensorESM_SM_EERKSM_lbbbEUlllE0_EEPmJS9_EEE10hipError_tPvRmT3_T4_T5_T6_T7_T9_mT8_P12ihipStream_tbDpT10_ENKUlT_T0_E_clISt17integral_constantIbLb0EES1C_EEDaS17_S18_EUlS17_E_NS1_11comp_targetILNS1_3genE3ELNS1_11target_archE908ELNS1_3gpuE7ELNS1_3repE0EEENS1_30default_config_static_selectorELNS0_4arch9wavefront6targetE0EEEvT1_
		.amdhsa_group_segment_fixed_size 0
		.amdhsa_private_segment_fixed_size 0
		.amdhsa_kernarg_size 120
		.amdhsa_user_sgpr_count 15
		.amdhsa_user_sgpr_dispatch_ptr 0
		.amdhsa_user_sgpr_queue_ptr 0
		.amdhsa_user_sgpr_kernarg_segment_ptr 1
		.amdhsa_user_sgpr_dispatch_id 0
		.amdhsa_user_sgpr_private_segment_size 0
		.amdhsa_wavefront_size32 1
		.amdhsa_uses_dynamic_stack 0
		.amdhsa_enable_private_segment 0
		.amdhsa_system_sgpr_workgroup_id_x 1
		.amdhsa_system_sgpr_workgroup_id_y 0
		.amdhsa_system_sgpr_workgroup_id_z 0
		.amdhsa_system_sgpr_workgroup_info 0
		.amdhsa_system_vgpr_workitem_id 0
		.amdhsa_next_free_vgpr 1
		.amdhsa_next_free_sgpr 1
		.amdhsa_reserve_vcc 0
		.amdhsa_float_round_mode_32 0
		.amdhsa_float_round_mode_16_64 0
		.amdhsa_float_denorm_mode_32 3
		.amdhsa_float_denorm_mode_16_64 3
		.amdhsa_dx10_clamp 1
		.amdhsa_ieee_mode 1
		.amdhsa_fp16_overflow 0
		.amdhsa_workgroup_processor_mode 1
		.amdhsa_memory_ordered 1
		.amdhsa_forward_progress 0
		.amdhsa_shared_vgpr_count 0
		.amdhsa_exception_fp_ieee_invalid_op 0
		.amdhsa_exception_fp_denorm_src 0
		.amdhsa_exception_fp_ieee_div_zero 0
		.amdhsa_exception_fp_ieee_overflow 0
		.amdhsa_exception_fp_ieee_underflow 0
		.amdhsa_exception_fp_ieee_inexact 0
		.amdhsa_exception_int_div_zero 0
	.end_amdhsa_kernel
	.section	.text._ZN7rocprim17ROCPRIM_400000_NS6detail17trampoline_kernelINS0_14default_configENS1_25partition_config_selectorILNS1_17partition_subalgoE9EllbEEZZNS1_14partition_implILS5_9ELb0ES3_jPlS8_PNS0_10empty_typeENS0_5tupleIJS8_S9_EEENSB_IJS8_SA_EEENS0_18inequality_wrapperIZN2at6native12_GLOBAL__N_124unique_dim_cuda_templateIN3c108BFloat16EEESt5tupleIJNSF_6TensorESM_SM_EERKSM_lbbbEUlllE0_EEPmJS9_EEE10hipError_tPvRmT3_T4_T5_T6_T7_T9_mT8_P12ihipStream_tbDpT10_ENKUlT_T0_E_clISt17integral_constantIbLb0EES1C_EEDaS17_S18_EUlS17_E_NS1_11comp_targetILNS1_3genE3ELNS1_11target_archE908ELNS1_3gpuE7ELNS1_3repE0EEENS1_30default_config_static_selectorELNS0_4arch9wavefront6targetE0EEEvT1_,"axG",@progbits,_ZN7rocprim17ROCPRIM_400000_NS6detail17trampoline_kernelINS0_14default_configENS1_25partition_config_selectorILNS1_17partition_subalgoE9EllbEEZZNS1_14partition_implILS5_9ELb0ES3_jPlS8_PNS0_10empty_typeENS0_5tupleIJS8_S9_EEENSB_IJS8_SA_EEENS0_18inequality_wrapperIZN2at6native12_GLOBAL__N_124unique_dim_cuda_templateIN3c108BFloat16EEESt5tupleIJNSF_6TensorESM_SM_EERKSM_lbbbEUlllE0_EEPmJS9_EEE10hipError_tPvRmT3_T4_T5_T6_T7_T9_mT8_P12ihipStream_tbDpT10_ENKUlT_T0_E_clISt17integral_constantIbLb0EES1C_EEDaS17_S18_EUlS17_E_NS1_11comp_targetILNS1_3genE3ELNS1_11target_archE908ELNS1_3gpuE7ELNS1_3repE0EEENS1_30default_config_static_selectorELNS0_4arch9wavefront6targetE0EEEvT1_,comdat
.Lfunc_end1208:
	.size	_ZN7rocprim17ROCPRIM_400000_NS6detail17trampoline_kernelINS0_14default_configENS1_25partition_config_selectorILNS1_17partition_subalgoE9EllbEEZZNS1_14partition_implILS5_9ELb0ES3_jPlS8_PNS0_10empty_typeENS0_5tupleIJS8_S9_EEENSB_IJS8_SA_EEENS0_18inequality_wrapperIZN2at6native12_GLOBAL__N_124unique_dim_cuda_templateIN3c108BFloat16EEESt5tupleIJNSF_6TensorESM_SM_EERKSM_lbbbEUlllE0_EEPmJS9_EEE10hipError_tPvRmT3_T4_T5_T6_T7_T9_mT8_P12ihipStream_tbDpT10_ENKUlT_T0_E_clISt17integral_constantIbLb0EES1C_EEDaS17_S18_EUlS17_E_NS1_11comp_targetILNS1_3genE3ELNS1_11target_archE908ELNS1_3gpuE7ELNS1_3repE0EEENS1_30default_config_static_selectorELNS0_4arch9wavefront6targetE0EEEvT1_, .Lfunc_end1208-_ZN7rocprim17ROCPRIM_400000_NS6detail17trampoline_kernelINS0_14default_configENS1_25partition_config_selectorILNS1_17partition_subalgoE9EllbEEZZNS1_14partition_implILS5_9ELb0ES3_jPlS8_PNS0_10empty_typeENS0_5tupleIJS8_S9_EEENSB_IJS8_SA_EEENS0_18inequality_wrapperIZN2at6native12_GLOBAL__N_124unique_dim_cuda_templateIN3c108BFloat16EEESt5tupleIJNSF_6TensorESM_SM_EERKSM_lbbbEUlllE0_EEPmJS9_EEE10hipError_tPvRmT3_T4_T5_T6_T7_T9_mT8_P12ihipStream_tbDpT10_ENKUlT_T0_E_clISt17integral_constantIbLb0EES1C_EEDaS17_S18_EUlS17_E_NS1_11comp_targetILNS1_3genE3ELNS1_11target_archE908ELNS1_3gpuE7ELNS1_3repE0EEENS1_30default_config_static_selectorELNS0_4arch9wavefront6targetE0EEEvT1_
                                        ; -- End function
	.section	.AMDGPU.csdata,"",@progbits
; Kernel info:
; codeLenInByte = 0
; NumSgprs: 0
; NumVgprs: 0
; ScratchSize: 0
; MemoryBound: 0
; FloatMode: 240
; IeeeMode: 1
; LDSByteSize: 0 bytes/workgroup (compile time only)
; SGPRBlocks: 0
; VGPRBlocks: 0
; NumSGPRsForWavesPerEU: 1
; NumVGPRsForWavesPerEU: 1
; Occupancy: 16
; WaveLimiterHint : 0
; COMPUTE_PGM_RSRC2:SCRATCH_EN: 0
; COMPUTE_PGM_RSRC2:USER_SGPR: 15
; COMPUTE_PGM_RSRC2:TRAP_HANDLER: 0
; COMPUTE_PGM_RSRC2:TGID_X_EN: 1
; COMPUTE_PGM_RSRC2:TGID_Y_EN: 0
; COMPUTE_PGM_RSRC2:TGID_Z_EN: 0
; COMPUTE_PGM_RSRC2:TIDIG_COMP_CNT: 0
	.section	.text._ZN7rocprim17ROCPRIM_400000_NS6detail17trampoline_kernelINS0_14default_configENS1_25partition_config_selectorILNS1_17partition_subalgoE9EllbEEZZNS1_14partition_implILS5_9ELb0ES3_jPlS8_PNS0_10empty_typeENS0_5tupleIJS8_S9_EEENSB_IJS8_SA_EEENS0_18inequality_wrapperIZN2at6native12_GLOBAL__N_124unique_dim_cuda_templateIN3c108BFloat16EEESt5tupleIJNSF_6TensorESM_SM_EERKSM_lbbbEUlllE0_EEPmJS9_EEE10hipError_tPvRmT3_T4_T5_T6_T7_T9_mT8_P12ihipStream_tbDpT10_ENKUlT_T0_E_clISt17integral_constantIbLb0EES1C_EEDaS17_S18_EUlS17_E_NS1_11comp_targetILNS1_3genE2ELNS1_11target_archE906ELNS1_3gpuE6ELNS1_3repE0EEENS1_30default_config_static_selectorELNS0_4arch9wavefront6targetE0EEEvT1_,"axG",@progbits,_ZN7rocprim17ROCPRIM_400000_NS6detail17trampoline_kernelINS0_14default_configENS1_25partition_config_selectorILNS1_17partition_subalgoE9EllbEEZZNS1_14partition_implILS5_9ELb0ES3_jPlS8_PNS0_10empty_typeENS0_5tupleIJS8_S9_EEENSB_IJS8_SA_EEENS0_18inequality_wrapperIZN2at6native12_GLOBAL__N_124unique_dim_cuda_templateIN3c108BFloat16EEESt5tupleIJNSF_6TensorESM_SM_EERKSM_lbbbEUlllE0_EEPmJS9_EEE10hipError_tPvRmT3_T4_T5_T6_T7_T9_mT8_P12ihipStream_tbDpT10_ENKUlT_T0_E_clISt17integral_constantIbLb0EES1C_EEDaS17_S18_EUlS17_E_NS1_11comp_targetILNS1_3genE2ELNS1_11target_archE906ELNS1_3gpuE6ELNS1_3repE0EEENS1_30default_config_static_selectorELNS0_4arch9wavefront6targetE0EEEvT1_,comdat
	.globl	_ZN7rocprim17ROCPRIM_400000_NS6detail17trampoline_kernelINS0_14default_configENS1_25partition_config_selectorILNS1_17partition_subalgoE9EllbEEZZNS1_14partition_implILS5_9ELb0ES3_jPlS8_PNS0_10empty_typeENS0_5tupleIJS8_S9_EEENSB_IJS8_SA_EEENS0_18inequality_wrapperIZN2at6native12_GLOBAL__N_124unique_dim_cuda_templateIN3c108BFloat16EEESt5tupleIJNSF_6TensorESM_SM_EERKSM_lbbbEUlllE0_EEPmJS9_EEE10hipError_tPvRmT3_T4_T5_T6_T7_T9_mT8_P12ihipStream_tbDpT10_ENKUlT_T0_E_clISt17integral_constantIbLb0EES1C_EEDaS17_S18_EUlS17_E_NS1_11comp_targetILNS1_3genE2ELNS1_11target_archE906ELNS1_3gpuE6ELNS1_3repE0EEENS1_30default_config_static_selectorELNS0_4arch9wavefront6targetE0EEEvT1_ ; -- Begin function _ZN7rocprim17ROCPRIM_400000_NS6detail17trampoline_kernelINS0_14default_configENS1_25partition_config_selectorILNS1_17partition_subalgoE9EllbEEZZNS1_14partition_implILS5_9ELb0ES3_jPlS8_PNS0_10empty_typeENS0_5tupleIJS8_S9_EEENSB_IJS8_SA_EEENS0_18inequality_wrapperIZN2at6native12_GLOBAL__N_124unique_dim_cuda_templateIN3c108BFloat16EEESt5tupleIJNSF_6TensorESM_SM_EERKSM_lbbbEUlllE0_EEPmJS9_EEE10hipError_tPvRmT3_T4_T5_T6_T7_T9_mT8_P12ihipStream_tbDpT10_ENKUlT_T0_E_clISt17integral_constantIbLb0EES1C_EEDaS17_S18_EUlS17_E_NS1_11comp_targetILNS1_3genE2ELNS1_11target_archE906ELNS1_3gpuE6ELNS1_3repE0EEENS1_30default_config_static_selectorELNS0_4arch9wavefront6targetE0EEEvT1_
	.p2align	8
	.type	_ZN7rocprim17ROCPRIM_400000_NS6detail17trampoline_kernelINS0_14default_configENS1_25partition_config_selectorILNS1_17partition_subalgoE9EllbEEZZNS1_14partition_implILS5_9ELb0ES3_jPlS8_PNS0_10empty_typeENS0_5tupleIJS8_S9_EEENSB_IJS8_SA_EEENS0_18inequality_wrapperIZN2at6native12_GLOBAL__N_124unique_dim_cuda_templateIN3c108BFloat16EEESt5tupleIJNSF_6TensorESM_SM_EERKSM_lbbbEUlllE0_EEPmJS9_EEE10hipError_tPvRmT3_T4_T5_T6_T7_T9_mT8_P12ihipStream_tbDpT10_ENKUlT_T0_E_clISt17integral_constantIbLb0EES1C_EEDaS17_S18_EUlS17_E_NS1_11comp_targetILNS1_3genE2ELNS1_11target_archE906ELNS1_3gpuE6ELNS1_3repE0EEENS1_30default_config_static_selectorELNS0_4arch9wavefront6targetE0EEEvT1_,@function
_ZN7rocprim17ROCPRIM_400000_NS6detail17trampoline_kernelINS0_14default_configENS1_25partition_config_selectorILNS1_17partition_subalgoE9EllbEEZZNS1_14partition_implILS5_9ELb0ES3_jPlS8_PNS0_10empty_typeENS0_5tupleIJS8_S9_EEENSB_IJS8_SA_EEENS0_18inequality_wrapperIZN2at6native12_GLOBAL__N_124unique_dim_cuda_templateIN3c108BFloat16EEESt5tupleIJNSF_6TensorESM_SM_EERKSM_lbbbEUlllE0_EEPmJS9_EEE10hipError_tPvRmT3_T4_T5_T6_T7_T9_mT8_P12ihipStream_tbDpT10_ENKUlT_T0_E_clISt17integral_constantIbLb0EES1C_EEDaS17_S18_EUlS17_E_NS1_11comp_targetILNS1_3genE2ELNS1_11target_archE906ELNS1_3gpuE6ELNS1_3repE0EEENS1_30default_config_static_selectorELNS0_4arch9wavefront6targetE0EEEvT1_: ; @_ZN7rocprim17ROCPRIM_400000_NS6detail17trampoline_kernelINS0_14default_configENS1_25partition_config_selectorILNS1_17partition_subalgoE9EllbEEZZNS1_14partition_implILS5_9ELb0ES3_jPlS8_PNS0_10empty_typeENS0_5tupleIJS8_S9_EEENSB_IJS8_SA_EEENS0_18inequality_wrapperIZN2at6native12_GLOBAL__N_124unique_dim_cuda_templateIN3c108BFloat16EEESt5tupleIJNSF_6TensorESM_SM_EERKSM_lbbbEUlllE0_EEPmJS9_EEE10hipError_tPvRmT3_T4_T5_T6_T7_T9_mT8_P12ihipStream_tbDpT10_ENKUlT_T0_E_clISt17integral_constantIbLb0EES1C_EEDaS17_S18_EUlS17_E_NS1_11comp_targetILNS1_3genE2ELNS1_11target_archE906ELNS1_3gpuE6ELNS1_3repE0EEENS1_30default_config_static_selectorELNS0_4arch9wavefront6targetE0EEEvT1_
; %bb.0:
	.section	.rodata,"a",@progbits
	.p2align	6, 0x0
	.amdhsa_kernel _ZN7rocprim17ROCPRIM_400000_NS6detail17trampoline_kernelINS0_14default_configENS1_25partition_config_selectorILNS1_17partition_subalgoE9EllbEEZZNS1_14partition_implILS5_9ELb0ES3_jPlS8_PNS0_10empty_typeENS0_5tupleIJS8_S9_EEENSB_IJS8_SA_EEENS0_18inequality_wrapperIZN2at6native12_GLOBAL__N_124unique_dim_cuda_templateIN3c108BFloat16EEESt5tupleIJNSF_6TensorESM_SM_EERKSM_lbbbEUlllE0_EEPmJS9_EEE10hipError_tPvRmT3_T4_T5_T6_T7_T9_mT8_P12ihipStream_tbDpT10_ENKUlT_T0_E_clISt17integral_constantIbLb0EES1C_EEDaS17_S18_EUlS17_E_NS1_11comp_targetILNS1_3genE2ELNS1_11target_archE906ELNS1_3gpuE6ELNS1_3repE0EEENS1_30default_config_static_selectorELNS0_4arch9wavefront6targetE0EEEvT1_
		.amdhsa_group_segment_fixed_size 0
		.amdhsa_private_segment_fixed_size 0
		.amdhsa_kernarg_size 120
		.amdhsa_user_sgpr_count 15
		.amdhsa_user_sgpr_dispatch_ptr 0
		.amdhsa_user_sgpr_queue_ptr 0
		.amdhsa_user_sgpr_kernarg_segment_ptr 1
		.amdhsa_user_sgpr_dispatch_id 0
		.amdhsa_user_sgpr_private_segment_size 0
		.amdhsa_wavefront_size32 1
		.amdhsa_uses_dynamic_stack 0
		.amdhsa_enable_private_segment 0
		.amdhsa_system_sgpr_workgroup_id_x 1
		.amdhsa_system_sgpr_workgroup_id_y 0
		.amdhsa_system_sgpr_workgroup_id_z 0
		.amdhsa_system_sgpr_workgroup_info 0
		.amdhsa_system_vgpr_workitem_id 0
		.amdhsa_next_free_vgpr 1
		.amdhsa_next_free_sgpr 1
		.amdhsa_reserve_vcc 0
		.amdhsa_float_round_mode_32 0
		.amdhsa_float_round_mode_16_64 0
		.amdhsa_float_denorm_mode_32 3
		.amdhsa_float_denorm_mode_16_64 3
		.amdhsa_dx10_clamp 1
		.amdhsa_ieee_mode 1
		.amdhsa_fp16_overflow 0
		.amdhsa_workgroup_processor_mode 1
		.amdhsa_memory_ordered 1
		.amdhsa_forward_progress 0
		.amdhsa_shared_vgpr_count 0
		.amdhsa_exception_fp_ieee_invalid_op 0
		.amdhsa_exception_fp_denorm_src 0
		.amdhsa_exception_fp_ieee_div_zero 0
		.amdhsa_exception_fp_ieee_overflow 0
		.amdhsa_exception_fp_ieee_underflow 0
		.amdhsa_exception_fp_ieee_inexact 0
		.amdhsa_exception_int_div_zero 0
	.end_amdhsa_kernel
	.section	.text._ZN7rocprim17ROCPRIM_400000_NS6detail17trampoline_kernelINS0_14default_configENS1_25partition_config_selectorILNS1_17partition_subalgoE9EllbEEZZNS1_14partition_implILS5_9ELb0ES3_jPlS8_PNS0_10empty_typeENS0_5tupleIJS8_S9_EEENSB_IJS8_SA_EEENS0_18inequality_wrapperIZN2at6native12_GLOBAL__N_124unique_dim_cuda_templateIN3c108BFloat16EEESt5tupleIJNSF_6TensorESM_SM_EERKSM_lbbbEUlllE0_EEPmJS9_EEE10hipError_tPvRmT3_T4_T5_T6_T7_T9_mT8_P12ihipStream_tbDpT10_ENKUlT_T0_E_clISt17integral_constantIbLb0EES1C_EEDaS17_S18_EUlS17_E_NS1_11comp_targetILNS1_3genE2ELNS1_11target_archE906ELNS1_3gpuE6ELNS1_3repE0EEENS1_30default_config_static_selectorELNS0_4arch9wavefront6targetE0EEEvT1_,"axG",@progbits,_ZN7rocprim17ROCPRIM_400000_NS6detail17trampoline_kernelINS0_14default_configENS1_25partition_config_selectorILNS1_17partition_subalgoE9EllbEEZZNS1_14partition_implILS5_9ELb0ES3_jPlS8_PNS0_10empty_typeENS0_5tupleIJS8_S9_EEENSB_IJS8_SA_EEENS0_18inequality_wrapperIZN2at6native12_GLOBAL__N_124unique_dim_cuda_templateIN3c108BFloat16EEESt5tupleIJNSF_6TensorESM_SM_EERKSM_lbbbEUlllE0_EEPmJS9_EEE10hipError_tPvRmT3_T4_T5_T6_T7_T9_mT8_P12ihipStream_tbDpT10_ENKUlT_T0_E_clISt17integral_constantIbLb0EES1C_EEDaS17_S18_EUlS17_E_NS1_11comp_targetILNS1_3genE2ELNS1_11target_archE906ELNS1_3gpuE6ELNS1_3repE0EEENS1_30default_config_static_selectorELNS0_4arch9wavefront6targetE0EEEvT1_,comdat
.Lfunc_end1209:
	.size	_ZN7rocprim17ROCPRIM_400000_NS6detail17trampoline_kernelINS0_14default_configENS1_25partition_config_selectorILNS1_17partition_subalgoE9EllbEEZZNS1_14partition_implILS5_9ELb0ES3_jPlS8_PNS0_10empty_typeENS0_5tupleIJS8_S9_EEENSB_IJS8_SA_EEENS0_18inequality_wrapperIZN2at6native12_GLOBAL__N_124unique_dim_cuda_templateIN3c108BFloat16EEESt5tupleIJNSF_6TensorESM_SM_EERKSM_lbbbEUlllE0_EEPmJS9_EEE10hipError_tPvRmT3_T4_T5_T6_T7_T9_mT8_P12ihipStream_tbDpT10_ENKUlT_T0_E_clISt17integral_constantIbLb0EES1C_EEDaS17_S18_EUlS17_E_NS1_11comp_targetILNS1_3genE2ELNS1_11target_archE906ELNS1_3gpuE6ELNS1_3repE0EEENS1_30default_config_static_selectorELNS0_4arch9wavefront6targetE0EEEvT1_, .Lfunc_end1209-_ZN7rocprim17ROCPRIM_400000_NS6detail17trampoline_kernelINS0_14default_configENS1_25partition_config_selectorILNS1_17partition_subalgoE9EllbEEZZNS1_14partition_implILS5_9ELb0ES3_jPlS8_PNS0_10empty_typeENS0_5tupleIJS8_S9_EEENSB_IJS8_SA_EEENS0_18inequality_wrapperIZN2at6native12_GLOBAL__N_124unique_dim_cuda_templateIN3c108BFloat16EEESt5tupleIJNSF_6TensorESM_SM_EERKSM_lbbbEUlllE0_EEPmJS9_EEE10hipError_tPvRmT3_T4_T5_T6_T7_T9_mT8_P12ihipStream_tbDpT10_ENKUlT_T0_E_clISt17integral_constantIbLb0EES1C_EEDaS17_S18_EUlS17_E_NS1_11comp_targetILNS1_3genE2ELNS1_11target_archE906ELNS1_3gpuE6ELNS1_3repE0EEENS1_30default_config_static_selectorELNS0_4arch9wavefront6targetE0EEEvT1_
                                        ; -- End function
	.section	.AMDGPU.csdata,"",@progbits
; Kernel info:
; codeLenInByte = 0
; NumSgprs: 0
; NumVgprs: 0
; ScratchSize: 0
; MemoryBound: 0
; FloatMode: 240
; IeeeMode: 1
; LDSByteSize: 0 bytes/workgroup (compile time only)
; SGPRBlocks: 0
; VGPRBlocks: 0
; NumSGPRsForWavesPerEU: 1
; NumVGPRsForWavesPerEU: 1
; Occupancy: 15
; WaveLimiterHint : 0
; COMPUTE_PGM_RSRC2:SCRATCH_EN: 0
; COMPUTE_PGM_RSRC2:USER_SGPR: 15
; COMPUTE_PGM_RSRC2:TRAP_HANDLER: 0
; COMPUTE_PGM_RSRC2:TGID_X_EN: 1
; COMPUTE_PGM_RSRC2:TGID_Y_EN: 0
; COMPUTE_PGM_RSRC2:TGID_Z_EN: 0
; COMPUTE_PGM_RSRC2:TIDIG_COMP_CNT: 0
	.section	.text._ZN7rocprim17ROCPRIM_400000_NS6detail17trampoline_kernelINS0_14default_configENS1_25partition_config_selectorILNS1_17partition_subalgoE9EllbEEZZNS1_14partition_implILS5_9ELb0ES3_jPlS8_PNS0_10empty_typeENS0_5tupleIJS8_S9_EEENSB_IJS8_SA_EEENS0_18inequality_wrapperIZN2at6native12_GLOBAL__N_124unique_dim_cuda_templateIN3c108BFloat16EEESt5tupleIJNSF_6TensorESM_SM_EERKSM_lbbbEUlllE0_EEPmJS9_EEE10hipError_tPvRmT3_T4_T5_T6_T7_T9_mT8_P12ihipStream_tbDpT10_ENKUlT_T0_E_clISt17integral_constantIbLb0EES1C_EEDaS17_S18_EUlS17_E_NS1_11comp_targetILNS1_3genE10ELNS1_11target_archE1200ELNS1_3gpuE4ELNS1_3repE0EEENS1_30default_config_static_selectorELNS0_4arch9wavefront6targetE0EEEvT1_,"axG",@progbits,_ZN7rocprim17ROCPRIM_400000_NS6detail17trampoline_kernelINS0_14default_configENS1_25partition_config_selectorILNS1_17partition_subalgoE9EllbEEZZNS1_14partition_implILS5_9ELb0ES3_jPlS8_PNS0_10empty_typeENS0_5tupleIJS8_S9_EEENSB_IJS8_SA_EEENS0_18inequality_wrapperIZN2at6native12_GLOBAL__N_124unique_dim_cuda_templateIN3c108BFloat16EEESt5tupleIJNSF_6TensorESM_SM_EERKSM_lbbbEUlllE0_EEPmJS9_EEE10hipError_tPvRmT3_T4_T5_T6_T7_T9_mT8_P12ihipStream_tbDpT10_ENKUlT_T0_E_clISt17integral_constantIbLb0EES1C_EEDaS17_S18_EUlS17_E_NS1_11comp_targetILNS1_3genE10ELNS1_11target_archE1200ELNS1_3gpuE4ELNS1_3repE0EEENS1_30default_config_static_selectorELNS0_4arch9wavefront6targetE0EEEvT1_,comdat
	.globl	_ZN7rocprim17ROCPRIM_400000_NS6detail17trampoline_kernelINS0_14default_configENS1_25partition_config_selectorILNS1_17partition_subalgoE9EllbEEZZNS1_14partition_implILS5_9ELb0ES3_jPlS8_PNS0_10empty_typeENS0_5tupleIJS8_S9_EEENSB_IJS8_SA_EEENS0_18inequality_wrapperIZN2at6native12_GLOBAL__N_124unique_dim_cuda_templateIN3c108BFloat16EEESt5tupleIJNSF_6TensorESM_SM_EERKSM_lbbbEUlllE0_EEPmJS9_EEE10hipError_tPvRmT3_T4_T5_T6_T7_T9_mT8_P12ihipStream_tbDpT10_ENKUlT_T0_E_clISt17integral_constantIbLb0EES1C_EEDaS17_S18_EUlS17_E_NS1_11comp_targetILNS1_3genE10ELNS1_11target_archE1200ELNS1_3gpuE4ELNS1_3repE0EEENS1_30default_config_static_selectorELNS0_4arch9wavefront6targetE0EEEvT1_ ; -- Begin function _ZN7rocprim17ROCPRIM_400000_NS6detail17trampoline_kernelINS0_14default_configENS1_25partition_config_selectorILNS1_17partition_subalgoE9EllbEEZZNS1_14partition_implILS5_9ELb0ES3_jPlS8_PNS0_10empty_typeENS0_5tupleIJS8_S9_EEENSB_IJS8_SA_EEENS0_18inequality_wrapperIZN2at6native12_GLOBAL__N_124unique_dim_cuda_templateIN3c108BFloat16EEESt5tupleIJNSF_6TensorESM_SM_EERKSM_lbbbEUlllE0_EEPmJS9_EEE10hipError_tPvRmT3_T4_T5_T6_T7_T9_mT8_P12ihipStream_tbDpT10_ENKUlT_T0_E_clISt17integral_constantIbLb0EES1C_EEDaS17_S18_EUlS17_E_NS1_11comp_targetILNS1_3genE10ELNS1_11target_archE1200ELNS1_3gpuE4ELNS1_3repE0EEENS1_30default_config_static_selectorELNS0_4arch9wavefront6targetE0EEEvT1_
	.p2align	8
	.type	_ZN7rocprim17ROCPRIM_400000_NS6detail17trampoline_kernelINS0_14default_configENS1_25partition_config_selectorILNS1_17partition_subalgoE9EllbEEZZNS1_14partition_implILS5_9ELb0ES3_jPlS8_PNS0_10empty_typeENS0_5tupleIJS8_S9_EEENSB_IJS8_SA_EEENS0_18inequality_wrapperIZN2at6native12_GLOBAL__N_124unique_dim_cuda_templateIN3c108BFloat16EEESt5tupleIJNSF_6TensorESM_SM_EERKSM_lbbbEUlllE0_EEPmJS9_EEE10hipError_tPvRmT3_T4_T5_T6_T7_T9_mT8_P12ihipStream_tbDpT10_ENKUlT_T0_E_clISt17integral_constantIbLb0EES1C_EEDaS17_S18_EUlS17_E_NS1_11comp_targetILNS1_3genE10ELNS1_11target_archE1200ELNS1_3gpuE4ELNS1_3repE0EEENS1_30default_config_static_selectorELNS0_4arch9wavefront6targetE0EEEvT1_,@function
_ZN7rocprim17ROCPRIM_400000_NS6detail17trampoline_kernelINS0_14default_configENS1_25partition_config_selectorILNS1_17partition_subalgoE9EllbEEZZNS1_14partition_implILS5_9ELb0ES3_jPlS8_PNS0_10empty_typeENS0_5tupleIJS8_S9_EEENSB_IJS8_SA_EEENS0_18inequality_wrapperIZN2at6native12_GLOBAL__N_124unique_dim_cuda_templateIN3c108BFloat16EEESt5tupleIJNSF_6TensorESM_SM_EERKSM_lbbbEUlllE0_EEPmJS9_EEE10hipError_tPvRmT3_T4_T5_T6_T7_T9_mT8_P12ihipStream_tbDpT10_ENKUlT_T0_E_clISt17integral_constantIbLb0EES1C_EEDaS17_S18_EUlS17_E_NS1_11comp_targetILNS1_3genE10ELNS1_11target_archE1200ELNS1_3gpuE4ELNS1_3repE0EEENS1_30default_config_static_selectorELNS0_4arch9wavefront6targetE0EEEvT1_: ; @_ZN7rocprim17ROCPRIM_400000_NS6detail17trampoline_kernelINS0_14default_configENS1_25partition_config_selectorILNS1_17partition_subalgoE9EllbEEZZNS1_14partition_implILS5_9ELb0ES3_jPlS8_PNS0_10empty_typeENS0_5tupleIJS8_S9_EEENSB_IJS8_SA_EEENS0_18inequality_wrapperIZN2at6native12_GLOBAL__N_124unique_dim_cuda_templateIN3c108BFloat16EEESt5tupleIJNSF_6TensorESM_SM_EERKSM_lbbbEUlllE0_EEPmJS9_EEE10hipError_tPvRmT3_T4_T5_T6_T7_T9_mT8_P12ihipStream_tbDpT10_ENKUlT_T0_E_clISt17integral_constantIbLb0EES1C_EEDaS17_S18_EUlS17_E_NS1_11comp_targetILNS1_3genE10ELNS1_11target_archE1200ELNS1_3gpuE4ELNS1_3repE0EEENS1_30default_config_static_selectorELNS0_4arch9wavefront6targetE0EEEvT1_
; %bb.0:
	.section	.rodata,"a",@progbits
	.p2align	6, 0x0
	.amdhsa_kernel _ZN7rocprim17ROCPRIM_400000_NS6detail17trampoline_kernelINS0_14default_configENS1_25partition_config_selectorILNS1_17partition_subalgoE9EllbEEZZNS1_14partition_implILS5_9ELb0ES3_jPlS8_PNS0_10empty_typeENS0_5tupleIJS8_S9_EEENSB_IJS8_SA_EEENS0_18inequality_wrapperIZN2at6native12_GLOBAL__N_124unique_dim_cuda_templateIN3c108BFloat16EEESt5tupleIJNSF_6TensorESM_SM_EERKSM_lbbbEUlllE0_EEPmJS9_EEE10hipError_tPvRmT3_T4_T5_T6_T7_T9_mT8_P12ihipStream_tbDpT10_ENKUlT_T0_E_clISt17integral_constantIbLb0EES1C_EEDaS17_S18_EUlS17_E_NS1_11comp_targetILNS1_3genE10ELNS1_11target_archE1200ELNS1_3gpuE4ELNS1_3repE0EEENS1_30default_config_static_selectorELNS0_4arch9wavefront6targetE0EEEvT1_
		.amdhsa_group_segment_fixed_size 0
		.amdhsa_private_segment_fixed_size 0
		.amdhsa_kernarg_size 120
		.amdhsa_user_sgpr_count 15
		.amdhsa_user_sgpr_dispatch_ptr 0
		.amdhsa_user_sgpr_queue_ptr 0
		.amdhsa_user_sgpr_kernarg_segment_ptr 1
		.amdhsa_user_sgpr_dispatch_id 0
		.amdhsa_user_sgpr_private_segment_size 0
		.amdhsa_wavefront_size32 1
		.amdhsa_uses_dynamic_stack 0
		.amdhsa_enable_private_segment 0
		.amdhsa_system_sgpr_workgroup_id_x 1
		.amdhsa_system_sgpr_workgroup_id_y 0
		.amdhsa_system_sgpr_workgroup_id_z 0
		.amdhsa_system_sgpr_workgroup_info 0
		.amdhsa_system_vgpr_workitem_id 0
		.amdhsa_next_free_vgpr 1
		.amdhsa_next_free_sgpr 1
		.amdhsa_reserve_vcc 0
		.amdhsa_float_round_mode_32 0
		.amdhsa_float_round_mode_16_64 0
		.amdhsa_float_denorm_mode_32 3
		.amdhsa_float_denorm_mode_16_64 3
		.amdhsa_dx10_clamp 1
		.amdhsa_ieee_mode 1
		.amdhsa_fp16_overflow 0
		.amdhsa_workgroup_processor_mode 1
		.amdhsa_memory_ordered 1
		.amdhsa_forward_progress 0
		.amdhsa_shared_vgpr_count 0
		.amdhsa_exception_fp_ieee_invalid_op 0
		.amdhsa_exception_fp_denorm_src 0
		.amdhsa_exception_fp_ieee_div_zero 0
		.amdhsa_exception_fp_ieee_overflow 0
		.amdhsa_exception_fp_ieee_underflow 0
		.amdhsa_exception_fp_ieee_inexact 0
		.amdhsa_exception_int_div_zero 0
	.end_amdhsa_kernel
	.section	.text._ZN7rocprim17ROCPRIM_400000_NS6detail17trampoline_kernelINS0_14default_configENS1_25partition_config_selectorILNS1_17partition_subalgoE9EllbEEZZNS1_14partition_implILS5_9ELb0ES3_jPlS8_PNS0_10empty_typeENS0_5tupleIJS8_S9_EEENSB_IJS8_SA_EEENS0_18inequality_wrapperIZN2at6native12_GLOBAL__N_124unique_dim_cuda_templateIN3c108BFloat16EEESt5tupleIJNSF_6TensorESM_SM_EERKSM_lbbbEUlllE0_EEPmJS9_EEE10hipError_tPvRmT3_T4_T5_T6_T7_T9_mT8_P12ihipStream_tbDpT10_ENKUlT_T0_E_clISt17integral_constantIbLb0EES1C_EEDaS17_S18_EUlS17_E_NS1_11comp_targetILNS1_3genE10ELNS1_11target_archE1200ELNS1_3gpuE4ELNS1_3repE0EEENS1_30default_config_static_selectorELNS0_4arch9wavefront6targetE0EEEvT1_,"axG",@progbits,_ZN7rocprim17ROCPRIM_400000_NS6detail17trampoline_kernelINS0_14default_configENS1_25partition_config_selectorILNS1_17partition_subalgoE9EllbEEZZNS1_14partition_implILS5_9ELb0ES3_jPlS8_PNS0_10empty_typeENS0_5tupleIJS8_S9_EEENSB_IJS8_SA_EEENS0_18inequality_wrapperIZN2at6native12_GLOBAL__N_124unique_dim_cuda_templateIN3c108BFloat16EEESt5tupleIJNSF_6TensorESM_SM_EERKSM_lbbbEUlllE0_EEPmJS9_EEE10hipError_tPvRmT3_T4_T5_T6_T7_T9_mT8_P12ihipStream_tbDpT10_ENKUlT_T0_E_clISt17integral_constantIbLb0EES1C_EEDaS17_S18_EUlS17_E_NS1_11comp_targetILNS1_3genE10ELNS1_11target_archE1200ELNS1_3gpuE4ELNS1_3repE0EEENS1_30default_config_static_selectorELNS0_4arch9wavefront6targetE0EEEvT1_,comdat
.Lfunc_end1210:
	.size	_ZN7rocprim17ROCPRIM_400000_NS6detail17trampoline_kernelINS0_14default_configENS1_25partition_config_selectorILNS1_17partition_subalgoE9EllbEEZZNS1_14partition_implILS5_9ELb0ES3_jPlS8_PNS0_10empty_typeENS0_5tupleIJS8_S9_EEENSB_IJS8_SA_EEENS0_18inequality_wrapperIZN2at6native12_GLOBAL__N_124unique_dim_cuda_templateIN3c108BFloat16EEESt5tupleIJNSF_6TensorESM_SM_EERKSM_lbbbEUlllE0_EEPmJS9_EEE10hipError_tPvRmT3_T4_T5_T6_T7_T9_mT8_P12ihipStream_tbDpT10_ENKUlT_T0_E_clISt17integral_constantIbLb0EES1C_EEDaS17_S18_EUlS17_E_NS1_11comp_targetILNS1_3genE10ELNS1_11target_archE1200ELNS1_3gpuE4ELNS1_3repE0EEENS1_30default_config_static_selectorELNS0_4arch9wavefront6targetE0EEEvT1_, .Lfunc_end1210-_ZN7rocprim17ROCPRIM_400000_NS6detail17trampoline_kernelINS0_14default_configENS1_25partition_config_selectorILNS1_17partition_subalgoE9EllbEEZZNS1_14partition_implILS5_9ELb0ES3_jPlS8_PNS0_10empty_typeENS0_5tupleIJS8_S9_EEENSB_IJS8_SA_EEENS0_18inequality_wrapperIZN2at6native12_GLOBAL__N_124unique_dim_cuda_templateIN3c108BFloat16EEESt5tupleIJNSF_6TensorESM_SM_EERKSM_lbbbEUlllE0_EEPmJS9_EEE10hipError_tPvRmT3_T4_T5_T6_T7_T9_mT8_P12ihipStream_tbDpT10_ENKUlT_T0_E_clISt17integral_constantIbLb0EES1C_EEDaS17_S18_EUlS17_E_NS1_11comp_targetILNS1_3genE10ELNS1_11target_archE1200ELNS1_3gpuE4ELNS1_3repE0EEENS1_30default_config_static_selectorELNS0_4arch9wavefront6targetE0EEEvT1_
                                        ; -- End function
	.section	.AMDGPU.csdata,"",@progbits
; Kernel info:
; codeLenInByte = 0
; NumSgprs: 0
; NumVgprs: 0
; ScratchSize: 0
; MemoryBound: 0
; FloatMode: 240
; IeeeMode: 1
; LDSByteSize: 0 bytes/workgroup (compile time only)
; SGPRBlocks: 0
; VGPRBlocks: 0
; NumSGPRsForWavesPerEU: 1
; NumVGPRsForWavesPerEU: 1
; Occupancy: 15
; WaveLimiterHint : 0
; COMPUTE_PGM_RSRC2:SCRATCH_EN: 0
; COMPUTE_PGM_RSRC2:USER_SGPR: 15
; COMPUTE_PGM_RSRC2:TRAP_HANDLER: 0
; COMPUTE_PGM_RSRC2:TGID_X_EN: 1
; COMPUTE_PGM_RSRC2:TGID_Y_EN: 0
; COMPUTE_PGM_RSRC2:TGID_Z_EN: 0
; COMPUTE_PGM_RSRC2:TIDIG_COMP_CNT: 0
	.section	.text._ZN7rocprim17ROCPRIM_400000_NS6detail17trampoline_kernelINS0_14default_configENS1_25partition_config_selectorILNS1_17partition_subalgoE9EllbEEZZNS1_14partition_implILS5_9ELb0ES3_jPlS8_PNS0_10empty_typeENS0_5tupleIJS8_S9_EEENSB_IJS8_SA_EEENS0_18inequality_wrapperIZN2at6native12_GLOBAL__N_124unique_dim_cuda_templateIN3c108BFloat16EEESt5tupleIJNSF_6TensorESM_SM_EERKSM_lbbbEUlllE0_EEPmJS9_EEE10hipError_tPvRmT3_T4_T5_T6_T7_T9_mT8_P12ihipStream_tbDpT10_ENKUlT_T0_E_clISt17integral_constantIbLb0EES1C_EEDaS17_S18_EUlS17_E_NS1_11comp_targetILNS1_3genE9ELNS1_11target_archE1100ELNS1_3gpuE3ELNS1_3repE0EEENS1_30default_config_static_selectorELNS0_4arch9wavefront6targetE0EEEvT1_,"axG",@progbits,_ZN7rocprim17ROCPRIM_400000_NS6detail17trampoline_kernelINS0_14default_configENS1_25partition_config_selectorILNS1_17partition_subalgoE9EllbEEZZNS1_14partition_implILS5_9ELb0ES3_jPlS8_PNS0_10empty_typeENS0_5tupleIJS8_S9_EEENSB_IJS8_SA_EEENS0_18inequality_wrapperIZN2at6native12_GLOBAL__N_124unique_dim_cuda_templateIN3c108BFloat16EEESt5tupleIJNSF_6TensorESM_SM_EERKSM_lbbbEUlllE0_EEPmJS9_EEE10hipError_tPvRmT3_T4_T5_T6_T7_T9_mT8_P12ihipStream_tbDpT10_ENKUlT_T0_E_clISt17integral_constantIbLb0EES1C_EEDaS17_S18_EUlS17_E_NS1_11comp_targetILNS1_3genE9ELNS1_11target_archE1100ELNS1_3gpuE3ELNS1_3repE0EEENS1_30default_config_static_selectorELNS0_4arch9wavefront6targetE0EEEvT1_,comdat
	.globl	_ZN7rocprim17ROCPRIM_400000_NS6detail17trampoline_kernelINS0_14default_configENS1_25partition_config_selectorILNS1_17partition_subalgoE9EllbEEZZNS1_14partition_implILS5_9ELb0ES3_jPlS8_PNS0_10empty_typeENS0_5tupleIJS8_S9_EEENSB_IJS8_SA_EEENS0_18inequality_wrapperIZN2at6native12_GLOBAL__N_124unique_dim_cuda_templateIN3c108BFloat16EEESt5tupleIJNSF_6TensorESM_SM_EERKSM_lbbbEUlllE0_EEPmJS9_EEE10hipError_tPvRmT3_T4_T5_T6_T7_T9_mT8_P12ihipStream_tbDpT10_ENKUlT_T0_E_clISt17integral_constantIbLb0EES1C_EEDaS17_S18_EUlS17_E_NS1_11comp_targetILNS1_3genE9ELNS1_11target_archE1100ELNS1_3gpuE3ELNS1_3repE0EEENS1_30default_config_static_selectorELNS0_4arch9wavefront6targetE0EEEvT1_ ; -- Begin function _ZN7rocprim17ROCPRIM_400000_NS6detail17trampoline_kernelINS0_14default_configENS1_25partition_config_selectorILNS1_17partition_subalgoE9EllbEEZZNS1_14partition_implILS5_9ELb0ES3_jPlS8_PNS0_10empty_typeENS0_5tupleIJS8_S9_EEENSB_IJS8_SA_EEENS0_18inequality_wrapperIZN2at6native12_GLOBAL__N_124unique_dim_cuda_templateIN3c108BFloat16EEESt5tupleIJNSF_6TensorESM_SM_EERKSM_lbbbEUlllE0_EEPmJS9_EEE10hipError_tPvRmT3_T4_T5_T6_T7_T9_mT8_P12ihipStream_tbDpT10_ENKUlT_T0_E_clISt17integral_constantIbLb0EES1C_EEDaS17_S18_EUlS17_E_NS1_11comp_targetILNS1_3genE9ELNS1_11target_archE1100ELNS1_3gpuE3ELNS1_3repE0EEENS1_30default_config_static_selectorELNS0_4arch9wavefront6targetE0EEEvT1_
	.p2align	8
	.type	_ZN7rocprim17ROCPRIM_400000_NS6detail17trampoline_kernelINS0_14default_configENS1_25partition_config_selectorILNS1_17partition_subalgoE9EllbEEZZNS1_14partition_implILS5_9ELb0ES3_jPlS8_PNS0_10empty_typeENS0_5tupleIJS8_S9_EEENSB_IJS8_SA_EEENS0_18inequality_wrapperIZN2at6native12_GLOBAL__N_124unique_dim_cuda_templateIN3c108BFloat16EEESt5tupleIJNSF_6TensorESM_SM_EERKSM_lbbbEUlllE0_EEPmJS9_EEE10hipError_tPvRmT3_T4_T5_T6_T7_T9_mT8_P12ihipStream_tbDpT10_ENKUlT_T0_E_clISt17integral_constantIbLb0EES1C_EEDaS17_S18_EUlS17_E_NS1_11comp_targetILNS1_3genE9ELNS1_11target_archE1100ELNS1_3gpuE3ELNS1_3repE0EEENS1_30default_config_static_selectorELNS0_4arch9wavefront6targetE0EEEvT1_,@function
_ZN7rocprim17ROCPRIM_400000_NS6detail17trampoline_kernelINS0_14default_configENS1_25partition_config_selectorILNS1_17partition_subalgoE9EllbEEZZNS1_14partition_implILS5_9ELb0ES3_jPlS8_PNS0_10empty_typeENS0_5tupleIJS8_S9_EEENSB_IJS8_SA_EEENS0_18inequality_wrapperIZN2at6native12_GLOBAL__N_124unique_dim_cuda_templateIN3c108BFloat16EEESt5tupleIJNSF_6TensorESM_SM_EERKSM_lbbbEUlllE0_EEPmJS9_EEE10hipError_tPvRmT3_T4_T5_T6_T7_T9_mT8_P12ihipStream_tbDpT10_ENKUlT_T0_E_clISt17integral_constantIbLb0EES1C_EEDaS17_S18_EUlS17_E_NS1_11comp_targetILNS1_3genE9ELNS1_11target_archE1100ELNS1_3gpuE3ELNS1_3repE0EEENS1_30default_config_static_selectorELNS0_4arch9wavefront6targetE0EEEvT1_: ; @_ZN7rocprim17ROCPRIM_400000_NS6detail17trampoline_kernelINS0_14default_configENS1_25partition_config_selectorILNS1_17partition_subalgoE9EllbEEZZNS1_14partition_implILS5_9ELb0ES3_jPlS8_PNS0_10empty_typeENS0_5tupleIJS8_S9_EEENSB_IJS8_SA_EEENS0_18inequality_wrapperIZN2at6native12_GLOBAL__N_124unique_dim_cuda_templateIN3c108BFloat16EEESt5tupleIJNSF_6TensorESM_SM_EERKSM_lbbbEUlllE0_EEPmJS9_EEE10hipError_tPvRmT3_T4_T5_T6_T7_T9_mT8_P12ihipStream_tbDpT10_ENKUlT_T0_E_clISt17integral_constantIbLb0EES1C_EEDaS17_S18_EUlS17_E_NS1_11comp_targetILNS1_3genE9ELNS1_11target_archE1100ELNS1_3gpuE3ELNS1_3repE0EEENS1_30default_config_static_selectorELNS0_4arch9wavefront6targetE0EEEvT1_
; %bb.0:
	s_clause 0x3
	s_load_b128 s[4:7], s[0:1], 0x8
	s_load_b32 s8, s[0:1], 0x70
	s_load_b256 s[16:23], s[0:1], 0x40
	s_load_b64 s[24:25], s[0:1], 0x18
	s_mov_b32 s3, 0
	v_lshlrev_b32_e32 v55, 3, v0
	v_lshrrev_b32_e32 v33, 2, v0
	v_or_b32_e32 v38, 0x200, v0
	v_or_b32_e32 v36, 0x400, v0
	;; [unrolled: 1-line block ×7, first 2 shown]
	s_waitcnt lgkmcnt(0)
	s_lshl_b64 s[26:27], s[6:7], 3
	s_delay_alu instid0(SALU_CYCLE_1)
	s_add_u32 s9, s4, s26
	s_addc_u32 s10, s5, s27
	s_add_i32 s11, s8, -1
	s_load_b64 s[12:13], s[18:19], 0x0
	s_lshl_b32 s4, s11, 12
	s_lshl_b32 s5, s8, 12
	s_add_i32 s4, s6, s4
	s_lshl_b32 s2, s15, 12
	s_sub_i32 s28, s20, s4
	s_add_u32 s4, s6, s5
	s_addc_u32 s5, s7, 0
	s_cmp_eq_u32 s15, s11
	v_cmp_ge_u64_e64 s4, s[4:5], s[20:21]
	s_cselect_b32 s14, -1, 0
	s_lshl_b64 s[18:19], s[2:3], 3
	s_mov_b32 s3, -1
	s_delay_alu instid0(VALU_DEP_1) | instskip(NEXT) | instid1(SALU_CYCLE_1)
	s_and_b32 s21, s14, s4
	s_xor_b32 s20, s21, -1
	s_add_u32 s4, s9, s18
	s_addc_u32 s5, s10, s19
	s_and_b32 vcc_lo, exec_lo, s20
	s_cbranch_vccz .LBB1211_2
; %bb.1:
	v_add_co_u32 v9, s2, s4, v55
	s_delay_alu instid0(VALU_DEP_1)
	v_add_co_ci_u32_e64 v10, null, s5, 0, s2
	global_load_b64 v[1:2], v55, s[4:5]
	v_add_co_u32 v3, vcc_lo, v9, 0x2000
	v_add_co_ci_u32_e32 v4, vcc_lo, 0, v10, vcc_lo
	v_add_co_u32 v5, vcc_lo, v9, 0x4000
	v_add_co_ci_u32_e32 v6, vcc_lo, 0, v10, vcc_lo
	;; [unrolled: 2-line block ×4, first 2 shown]
	s_clause 0x6
	global_load_b64 v[11:12], v[3:4], off offset:-4096
	global_load_b64 v[3:4], v[3:4], off
	global_load_b64 v[13:14], v[5:6], off offset:-4096
	global_load_b64 v[5:6], v[5:6], off
	;; [unrolled: 2-line block ×3, first 2 shown]
	global_load_b64 v[9:10], v[9:10], off
	v_lshrrev_b32_e32 v18, 2, v38
	v_lshrrev_b32_e32 v19, 2, v36
	;; [unrolled: 1-line block ×4, first 2 shown]
	v_and_b32_e32 v17, 0x78, v33
	v_lshrrev_b32_e32 v22, 2, v37
	v_lshrrev_b32_e32 v23, 2, v34
	v_lshrrev_b32_e32 v24, 2, v35
	v_and_b32_e32 v18, 0xf8, v18
	v_and_b32_e32 v19, 0x178, v19
	;; [unrolled: 1-line block ×4, first 2 shown]
	v_add_nc_u32_e32 v17, v17, v55
	v_and_b32_e32 v22, 0x2f8, v22
	v_and_b32_e32 v23, 0x378, v23
	;; [unrolled: 1-line block ×3, first 2 shown]
	v_add_nc_u32_e32 v18, v18, v55
	v_add_nc_u32_e32 v19, v19, v55
	;; [unrolled: 1-line block ×4, first 2 shown]
	s_mov_b32 s3, 0
	v_add_nc_u32_e32 v22, v22, v55
	v_add_nc_u32_e32 v23, v23, v55
	;; [unrolled: 1-line block ×3, first 2 shown]
	s_waitcnt vmcnt(7)
	ds_store_b64 v17, v[1:2]
	s_waitcnt vmcnt(6)
	ds_store_b64 v18, v[11:12] offset:4096
	s_waitcnt vmcnt(5)
	ds_store_b64 v19, v[3:4] offset:8192
	s_waitcnt vmcnt(4)
	ds_store_b64 v20, v[13:14] offset:12288
	s_waitcnt vmcnt(3)
	ds_store_b64 v21, v[5:6] offset:16384
	s_waitcnt vmcnt(2)
	ds_store_b64 v22, v[15:16] offset:20480
	s_waitcnt vmcnt(1)
	ds_store_b64 v23, v[7:8] offset:24576
	s_waitcnt vmcnt(0)
	ds_store_b64 v24, v[9:10] offset:28672
	s_waitcnt lgkmcnt(0)
	s_barrier
.LBB1211_2:
	s_load_b128 s[8:11], s[0:1], 0x60
	v_cmp_gt_u32_e64 s2, s28, v0
	s_and_not1_b32 vcc_lo, exec_lo, s3
	s_cbranch_vccnz .LBB1211_20
; %bb.3:
                                        ; implicit-def: $vgpr1_vgpr2_vgpr3_vgpr4_vgpr5_vgpr6_vgpr7_vgpr8_vgpr9_vgpr10_vgpr11_vgpr12_vgpr13_vgpr14_vgpr15_vgpr16
	s_delay_alu instid0(VALU_DEP_1)
	s_and_saveexec_b32 s3, s2
	s_cbranch_execz .LBB1211_11
; %bb.4:
	global_load_b64 v[1:2], v55, s[4:5]
	s_or_b32 exec_lo, exec_lo, s3
	s_delay_alu instid0(SALU_CYCLE_1)
	s_mov_b32 s2, exec_lo
	v_cmpx_gt_u32_e64 s28, v38
	s_cbranch_execnz .LBB1211_12
.LBB1211_5:
	s_or_b32 exec_lo, exec_lo, s2
	s_delay_alu instid0(SALU_CYCLE_1)
	s_mov_b32 s2, exec_lo
	v_cmpx_gt_u32_e64 s28, v36
	s_cbranch_execz .LBB1211_13
.LBB1211_6:
	v_lshlrev_b32_e32 v5, 3, v36
	global_load_b64 v[5:6], v5, s[4:5]
	s_or_b32 exec_lo, exec_lo, s2
	s_delay_alu instid0(SALU_CYCLE_1)
	s_mov_b32 s2, exec_lo
	v_cmpx_gt_u32_e64 s28, v40
	s_cbranch_execnz .LBB1211_14
.LBB1211_7:
	s_or_b32 exec_lo, exec_lo, s2
	s_delay_alu instid0(SALU_CYCLE_1)
	s_mov_b32 s2, exec_lo
	v_cmpx_gt_u32_e64 s28, v39
	s_cbranch_execz .LBB1211_15
.LBB1211_8:
	v_lshlrev_b32_e32 v9, 3, v39
	global_load_b64 v[9:10], v9, s[4:5]
	s_or_b32 exec_lo, exec_lo, s2
	s_delay_alu instid0(SALU_CYCLE_1)
	s_mov_b32 s2, exec_lo
	v_cmpx_gt_u32_e64 s28, v37
	s_cbranch_execnz .LBB1211_16
.LBB1211_9:
	s_or_b32 exec_lo, exec_lo, s2
	s_delay_alu instid0(SALU_CYCLE_1)
	s_mov_b32 s2, exec_lo
	v_cmpx_gt_u32_e64 s28, v34
	s_cbranch_execz .LBB1211_17
.LBB1211_10:
	v_lshlrev_b32_e32 v13, 3, v34
	global_load_b64 v[13:14], v13, s[4:5]
	s_or_b32 exec_lo, exec_lo, s2
	s_delay_alu instid0(SALU_CYCLE_1)
	s_mov_b32 s2, exec_lo
	v_cmpx_gt_u32_e64 s28, v35
	s_cbranch_execnz .LBB1211_18
	s_branch .LBB1211_19
.LBB1211_11:
	s_or_b32 exec_lo, exec_lo, s3
	s_delay_alu instid0(SALU_CYCLE_1)
	s_mov_b32 s2, exec_lo
	v_cmpx_gt_u32_e64 s28, v38
	s_cbranch_execz .LBB1211_5
.LBB1211_12:
	v_lshlrev_b32_e32 v3, 3, v38
	global_load_b64 v[3:4], v3, s[4:5]
	s_or_b32 exec_lo, exec_lo, s2
	s_delay_alu instid0(SALU_CYCLE_1)
	s_mov_b32 s2, exec_lo
	v_cmpx_gt_u32_e64 s28, v36
	s_cbranch_execnz .LBB1211_6
.LBB1211_13:
	s_or_b32 exec_lo, exec_lo, s2
	s_delay_alu instid0(SALU_CYCLE_1)
	s_mov_b32 s2, exec_lo
	v_cmpx_gt_u32_e64 s28, v40
	s_cbranch_execz .LBB1211_7
.LBB1211_14:
	v_lshlrev_b32_e32 v7, 3, v40
	global_load_b64 v[7:8], v7, s[4:5]
	s_or_b32 exec_lo, exec_lo, s2
	s_delay_alu instid0(SALU_CYCLE_1)
	s_mov_b32 s2, exec_lo
	v_cmpx_gt_u32_e64 s28, v39
	s_cbranch_execnz .LBB1211_8
.LBB1211_15:
	s_or_b32 exec_lo, exec_lo, s2
	s_delay_alu instid0(SALU_CYCLE_1)
	s_mov_b32 s2, exec_lo
	v_cmpx_gt_u32_e64 s28, v37
	s_cbranch_execz .LBB1211_9
.LBB1211_16:
	v_lshlrev_b32_e32 v11, 3, v37
	global_load_b64 v[11:12], v11, s[4:5]
	s_or_b32 exec_lo, exec_lo, s2
	s_delay_alu instid0(SALU_CYCLE_1)
	s_mov_b32 s2, exec_lo
	v_cmpx_gt_u32_e64 s28, v34
	s_cbranch_execnz .LBB1211_10
.LBB1211_17:
	s_or_b32 exec_lo, exec_lo, s2
	s_delay_alu instid0(SALU_CYCLE_1)
	s_mov_b32 s2, exec_lo
	v_cmpx_gt_u32_e64 s28, v35
	s_cbranch_execz .LBB1211_19
.LBB1211_18:
	v_lshlrev_b32_e32 v15, 3, v35
	global_load_b64 v[15:16], v15, s[4:5]
.LBB1211_19:
	s_or_b32 exec_lo, exec_lo, s2
	v_lshrrev_b32_e32 v17, 2, v38
	v_lshrrev_b32_e32 v18, 2, v36
	v_lshrrev_b32_e32 v20, 2, v40
	v_lshrrev_b32_e32 v21, 2, v39
	v_and_b32_e32 v19, 0x78, v33
	v_lshrrev_b32_e32 v22, 2, v37
	v_lshrrev_b32_e32 v23, 2, v34
	;; [unrolled: 1-line block ×3, first 2 shown]
	v_and_b32_e32 v17, 0xf8, v17
	v_and_b32_e32 v18, 0x1f8, v18
	;; [unrolled: 1-line block ×4, first 2 shown]
	v_add_nc_u32_e32 v19, v19, v55
	v_and_b32_e32 v22, 0x3f8, v22
	v_and_b32_e32 v23, 0x3f8, v23
	v_and_b32_e32 v24, 0x3f8, v24
	v_add_nc_u32_e32 v17, v17, v55
	v_add_nc_u32_e32 v18, v18, v55
	v_add_nc_u32_e32 v20, v20, v55
	v_add_nc_u32_e32 v21, v21, v55
	v_add_nc_u32_e32 v22, v22, v55
	v_add_nc_u32_e32 v23, v23, v55
	v_add_nc_u32_e32 v24, v24, v55
	s_waitcnt vmcnt(0)
	ds_store_b64 v19, v[1:2]
	ds_store_b64 v17, v[3:4] offset:4096
	ds_store_b64 v18, v[5:6] offset:8192
	;; [unrolled: 1-line block ×7, first 2 shown]
	s_waitcnt lgkmcnt(0)
	s_barrier
.LBB1211_20:
	v_add_lshl_u32 v41, v33, v55, 3
	s_waitcnt lgkmcnt(0)
	buffer_gl0_inv
	s_add_u32 s2, s24, s26
	s_addc_u32 s3, s25, s27
	s_add_u32 s2, s2, s18
	ds_load_2addr_b64 v[29:32], v41 offset1:1
	ds_load_2addr_b64 v[25:28], v41 offset0:2 offset1:3
	ds_load_2addr_b64 v[21:24], v41 offset0:4 offset1:5
	;; [unrolled: 1-line block ×3, first 2 shown]
	s_addc_u32 s3, s3, s19
	s_and_b32 vcc_lo, exec_lo, s20
	s_mov_b32 s18, -1
	s_waitcnt lgkmcnt(0)
	s_barrier
	buffer_gl0_inv
	s_cbranch_vccz .LBB1211_22
; %bb.21:
	v_add_co_u32 v9, s18, s2, v55
	s_delay_alu instid0(VALU_DEP_1)
	v_add_co_ci_u32_e64 v10, null, s3, 0, s18
	global_load_b64 v[1:2], v55, s[2:3]
	v_add_co_u32 v3, vcc_lo, v9, 0x2000
	v_add_co_ci_u32_e32 v4, vcc_lo, 0, v10, vcc_lo
	v_add_co_u32 v5, vcc_lo, v9, 0x4000
	v_add_co_ci_u32_e32 v6, vcc_lo, 0, v10, vcc_lo
	;; [unrolled: 2-line block ×4, first 2 shown]
	s_clause 0x6
	global_load_b64 v[11:12], v[3:4], off offset:-4096
	global_load_b64 v[3:4], v[3:4], off
	global_load_b64 v[13:14], v[5:6], off offset:-4096
	global_load_b64 v[5:6], v[5:6], off
	;; [unrolled: 2-line block ×3, first 2 shown]
	global_load_b64 v[9:10], v[9:10], off
	v_lshrrev_b32_e32 v43, 2, v38
	v_lshrrev_b32_e32 v44, 2, v36
	;; [unrolled: 1-line block ×4, first 2 shown]
	v_and_b32_e32 v42, 0x78, v33
	v_lshrrev_b32_e32 v47, 2, v37
	v_lshrrev_b32_e32 v48, 2, v34
	;; [unrolled: 1-line block ×3, first 2 shown]
	v_and_b32_e32 v43, 0xf8, v43
	v_and_b32_e32 v44, 0x178, v44
	;; [unrolled: 1-line block ×4, first 2 shown]
	v_add_nc_u32_e32 v42, v42, v55
	v_and_b32_e32 v47, 0x2f8, v47
	v_and_b32_e32 v48, 0x378, v48
	;; [unrolled: 1-line block ×3, first 2 shown]
	v_add_nc_u32_e32 v43, v43, v55
	v_add_nc_u32_e32 v44, v44, v55
	;; [unrolled: 1-line block ×4, first 2 shown]
	s_mov_b32 s18, 0
	v_add_nc_u32_e32 v47, v47, v55
	v_add_nc_u32_e32 v48, v48, v55
	;; [unrolled: 1-line block ×3, first 2 shown]
	s_waitcnt vmcnt(7)
	ds_store_b64 v42, v[1:2]
	s_waitcnt vmcnt(6)
	ds_store_b64 v43, v[11:12] offset:4096
	s_waitcnt vmcnt(5)
	ds_store_b64 v44, v[3:4] offset:8192
	;; [unrolled: 2-line block ×7, first 2 shown]
	s_waitcnt lgkmcnt(0)
	s_barrier
.LBB1211_22:
	s_and_not1_b32 vcc_lo, exec_lo, s18
	s_cbranch_vccnz .LBB1211_40
; %bb.23:
	s_mov_b32 s18, exec_lo
                                        ; implicit-def: $vgpr1_vgpr2
	v_cmpx_gt_u32_e64 s28, v0
	s_cbranch_execz .LBB1211_25
; %bb.24:
	global_load_b64 v[1:2], v55, s[2:3]
.LBB1211_25:
	s_or_b32 exec_lo, exec_lo, s18
	s_delay_alu instid0(SALU_CYCLE_1)
	s_mov_b32 s18, exec_lo
                                        ; implicit-def: $vgpr3_vgpr4
	v_cmpx_gt_u32_e64 s28, v38
	s_cbranch_execz .LBB1211_27
; %bb.26:
	v_lshlrev_b32_e32 v3, 3, v38
	global_load_b64 v[3:4], v3, s[2:3]
.LBB1211_27:
	s_or_b32 exec_lo, exec_lo, s18
	s_delay_alu instid0(SALU_CYCLE_1)
	s_mov_b32 s18, exec_lo
                                        ; implicit-def: $vgpr5_vgpr6
	v_cmpx_gt_u32_e64 s28, v36
	s_cbranch_execz .LBB1211_29
; %bb.28:
	v_lshlrev_b32_e32 v5, 3, v36
	global_load_b64 v[5:6], v5, s[2:3]
.LBB1211_29:
	s_or_b32 exec_lo, exec_lo, s18
	s_delay_alu instid0(SALU_CYCLE_1)
	s_mov_b32 s18, exec_lo
                                        ; implicit-def: $vgpr7_vgpr8
	v_cmpx_gt_u32_e64 s28, v40
	s_cbranch_execz .LBB1211_31
; %bb.30:
	v_lshlrev_b32_e32 v7, 3, v40
	global_load_b64 v[7:8], v7, s[2:3]
.LBB1211_31:
	s_or_b32 exec_lo, exec_lo, s18
	s_delay_alu instid0(SALU_CYCLE_1)
	s_mov_b32 s18, exec_lo
                                        ; implicit-def: $vgpr9_vgpr10
	v_cmpx_gt_u32_e64 s28, v39
	s_cbranch_execz .LBB1211_33
; %bb.32:
	v_lshlrev_b32_e32 v9, 3, v39
	global_load_b64 v[9:10], v9, s[2:3]
.LBB1211_33:
	s_or_b32 exec_lo, exec_lo, s18
	s_delay_alu instid0(SALU_CYCLE_1)
	s_mov_b32 s18, exec_lo
                                        ; implicit-def: $vgpr11_vgpr12
	v_cmpx_gt_u32_e64 s28, v37
	s_cbranch_execz .LBB1211_35
; %bb.34:
	v_lshlrev_b32_e32 v11, 3, v37
	global_load_b64 v[11:12], v11, s[2:3]
.LBB1211_35:
	s_or_b32 exec_lo, exec_lo, s18
	s_delay_alu instid0(SALU_CYCLE_1)
	s_mov_b32 s18, exec_lo
                                        ; implicit-def: $vgpr13_vgpr14
	v_cmpx_gt_u32_e64 s28, v34
	s_cbranch_execz .LBB1211_37
; %bb.36:
	v_lshlrev_b32_e32 v13, 3, v34
	global_load_b64 v[13:14], v13, s[2:3]
.LBB1211_37:
	s_or_b32 exec_lo, exec_lo, s18
	s_delay_alu instid0(SALU_CYCLE_1)
	s_mov_b32 s18, exec_lo
                                        ; implicit-def: $vgpr15_vgpr16
	v_cmpx_gt_u32_e64 s28, v35
	s_cbranch_execz .LBB1211_39
; %bb.38:
	v_lshlrev_b32_e32 v15, 3, v35
	global_load_b64 v[15:16], v15, s[2:3]
.LBB1211_39:
	s_or_b32 exec_lo, exec_lo, s18
	v_lshrrev_b32_e32 v38, 2, v38
	v_lshrrev_b32_e32 v36, 2, v36
	v_lshrrev_b32_e32 v40, 2, v40
	v_lshrrev_b32_e32 v39, 2, v39
	v_and_b32_e32 v33, 0x78, v33
	v_lshrrev_b32_e32 v37, 2, v37
	v_lshrrev_b32_e32 v34, 2, v34
	;; [unrolled: 1-line block ×3, first 2 shown]
	v_and_b32_e32 v38, 0xf8, v38
	v_and_b32_e32 v36, 0x1f8, v36
	;; [unrolled: 1-line block ×4, first 2 shown]
	v_add_nc_u32_e32 v33, v33, v55
	v_and_b32_e32 v37, 0x3f8, v37
	v_and_b32_e32 v34, 0x3f8, v34
	;; [unrolled: 1-line block ×3, first 2 shown]
	v_add_nc_u32_e32 v38, v38, v55
	v_add_nc_u32_e32 v36, v36, v55
	;; [unrolled: 1-line block ×7, first 2 shown]
	s_waitcnt vmcnt(0)
	ds_store_b64 v33, v[1:2]
	ds_store_b64 v38, v[3:4] offset:4096
	ds_store_b64 v36, v[5:6] offset:8192
	;; [unrolled: 1-line block ×7, first 2 shown]
	s_waitcnt lgkmcnt(0)
	s_barrier
.LBB1211_40:
	buffer_gl0_inv
	ds_load_2addr_b64 v[13:16], v41 offset1:1
	ds_load_2addr_b64 v[9:12], v41 offset0:2 offset1:3
	ds_load_2addr_b64 v[5:8], v41 offset0:4 offset1:5
	;; [unrolled: 1-line block ×3, first 2 shown]
	s_cmp_lg_u32 s15, 0
	v_cmp_gt_i64_e64 s25, s[22:23], 0
	s_cselect_b32 s24, -1, 0
	s_cmp_lg_u64 s[6:7], 0
	s_mov_b32 s3, 0
	s_cselect_b32 s2, -1, 0
	s_waitcnt lgkmcnt(0)
	s_or_b32 s2, s24, s2
	s_barrier
	s_and_b32 vcc_lo, exec_lo, s2
	buffer_gl0_inv
	s_cbranch_vccz .LBB1211_49
; %bb.41:
	s_add_u32 s2, s4, -8
	s_addc_u32 s3, s5, -1
	v_cndmask_b32_e64 v41, 0, 1, s25
	s_load_b64 s[4:5], s[2:3], 0x0
	s_and_b32 vcc_lo, exec_lo, s20
	ds_store_b64 v55, v[19:20]
	v_cmp_ne_u32_e64 s2, 1, v41
	s_cbranch_vccz .LBB1211_50
; %bb.42:
	v_mul_lo_u32 v35, v18, s22
	v_mul_lo_u32 v36, v17, s23
	v_mad_u64_u32 v[33:34], null, v17, s22, 0
	s_mov_b32 s3, 0
	s_and_b32 vcc_lo, exec_lo, s2
	s_mov_b32 s26, 0
	s_delay_alu instid0(VALU_DEP_1) | instskip(NEXT) | instid1(VALU_DEP_1)
	v_add3_u32 v34, v34, v36, v35
	v_lshlrev_b64 v[33:34], 1, v[33:34]
	s_cbranch_vccnz .LBB1211_53
; %bb.43:
	v_mul_lo_u32 v37, v20, s22
	v_mul_lo_u32 v38, v19, s23
	v_mad_u64_u32 v[35:36], null, v19, s22, 0
	s_mov_b32 s26, -1
	s_mov_b32 s27, exec_lo
	s_delay_alu instid0(VALU_DEP_1) | instskip(NEXT) | instid1(VALU_DEP_1)
	v_add3_u32 v36, v36, v38, v37
	v_lshlrev_b64 v[35:36], 1, v[35:36]
	s_delay_alu instid0(VALU_DEP_1) | instskip(NEXT) | instid1(VALU_DEP_2)
	v_add_co_u32 v35, vcc_lo, s8, v35
	v_add_co_ci_u32_e32 v36, vcc_lo, s9, v36, vcc_lo
	v_add_co_u32 v37, vcc_lo, s8, v33
	v_add_co_ci_u32_e32 v38, vcc_lo, s9, v34, vcc_lo
	s_clause 0x1
	global_load_u16 v39, v[35:36], off
	global_load_u16 v40, v[37:38], off
	s_waitcnt vmcnt(1)
	v_lshlrev_b32_e32 v39, 16, v39
	s_waitcnt vmcnt(0)
	v_lshlrev_b32_e32 v40, 16, v40
	s_delay_alu instid0(VALU_DEP_1)
	v_cmpx_eq_f32_e32 v40, v39
	s_cbranch_execz .LBB1211_52
; %bb.44:
	v_add_co_u32 v35, vcc_lo, v35, 2
	v_add_co_ci_u32_e32 v36, vcc_lo, 0, v36, vcc_lo
	v_add_co_u32 v37, vcc_lo, v37, 2
	v_add_co_ci_u32_e32 v38, vcc_lo, 0, v38, vcc_lo
	s_add_u32 s6, s22, -1
	s_addc_u32 s7, s23, -1
	s_mov_b64 s[18:19], 0
	s_mov_b32 s26, 0
                                        ; implicit-def: $sgpr29
	s_set_inst_prefetch_distance 0x1
	s_branch .LBB1211_47
	.p2align	6
.LBB1211_45:                            ;   in Loop: Header=BB1211_47 Depth=1
	global_load_u16 v39, v[35:36], off
	global_load_u16 v40, v[37:38], off
	v_add_co_u32 v35, vcc_lo, v35, 2
	v_add_co_ci_u32_e32 v36, vcc_lo, 0, v36, vcc_lo
	v_add_co_u32 v37, s2, v37, 2
	s_delay_alu instid0(VALU_DEP_1)
	v_add_co_ci_u32_e64 v38, s2, 0, v38, s2
	s_add_u32 s18, s18, 1
	s_addc_u32 s19, s19, 0
	s_and_not1_b32 s2, s29, exec_lo
	s_waitcnt vmcnt(1)
	v_lshlrev_b32_e32 v39, 16, v39
	s_waitcnt vmcnt(0)
	v_lshlrev_b32_e32 v40, 16, v40
	s_delay_alu instid0(VALU_DEP_1) | instskip(SKIP_1) | instid1(SALU_CYCLE_1)
	v_cmp_neq_f32_e32 vcc_lo, v40, v39
	s_and_b32 s29, vcc_lo, exec_lo
	s_or_b32 s29, s2, s29
.LBB1211_46:                            ;   in Loop: Header=BB1211_47 Depth=1
	v_dual_mov_b32 v40, s19 :: v_dual_mov_b32 v39, s18
	s_and_b32 s2, exec_lo, s29
	s_delay_alu instid0(SALU_CYCLE_1) | instskip(NEXT) | instid1(SALU_CYCLE_1)
	s_or_b32 s26, s2, s26
	s_and_not1_b32 exec_lo, exec_lo, s26
	s_cbranch_execz .LBB1211_51
.LBB1211_47:                            ; =>This Inner Loop Header: Depth=1
	s_or_b32 s29, s29, exec_lo
	s_cmp_eq_u64 s[6:7], s[18:19]
	s_cbranch_scc0 .LBB1211_45
; %bb.48:                               ;   in Loop: Header=BB1211_47 Depth=1
	s_mov_b64 s[18:19], s[22:23]
                                        ; implicit-def: $vgpr35_vgpr36
                                        ; implicit-def: $vgpr37_vgpr38
	s_branch .LBB1211_46
.LBB1211_49:
                                        ; implicit-def: $sgpr2
                                        ; implicit-def: $vgpr34
	s_branch .LBB1211_211
.LBB1211_50:
                                        ; implicit-def: $sgpr2
                                        ; implicit-def: $vgpr34
	s_cbranch_execnz .LBB1211_119
	s_branch .LBB1211_210
.LBB1211_51:
	s_set_inst_prefetch_distance 0x2
	s_or_b32 exec_lo, exec_lo, s26
	v_cmp_gt_i64_e32 vcc_lo, s[22:23], v[39:40]
	s_or_not1_b32 s26, vcc_lo, exec_lo
.LBB1211_52:
	s_or_b32 exec_lo, exec_lo, s27
.LBB1211_53:
	v_mul_lo_u32 v37, v24, s22
	v_mul_lo_u32 v38, v23, s23
	v_mad_u64_u32 v[35:36], null, v23, s22, 0
	s_and_not1_b32 vcc_lo, exec_lo, s25
	s_delay_alu instid0(VALU_DEP_1) | instskip(NEXT) | instid1(VALU_DEP_1)
	v_add3_u32 v36, v36, v38, v37
	v_lshlrev_b64 v[35:36], 1, v[35:36]
	s_cbranch_vccnz .LBB1211_62
; %bb.54:
	v_add_co_u32 v33, vcc_lo, s8, v33
	v_add_co_ci_u32_e32 v34, vcc_lo, s9, v34, vcc_lo
	s_delay_alu instid0(VALU_DEP_3) | instskip(NEXT) | instid1(VALU_DEP_4)
	v_add_co_u32 v37, vcc_lo, s8, v35
	v_add_co_ci_u32_e32 v38, vcc_lo, s9, v36, vcc_lo
	s_mov_b32 s3, -1
	s_clause 0x1
	global_load_u16 v39, v[33:34], off
	global_load_u16 v40, v[37:38], off
	s_mov_b32 s27, exec_lo
	s_waitcnt vmcnt(1)
	v_lshlrev_b32_e32 v39, 16, v39
	s_waitcnt vmcnt(0)
	v_lshlrev_b32_e32 v40, 16, v40
	s_delay_alu instid0(VALU_DEP_1)
	v_cmpx_eq_f32_e32 v40, v39
	s_cbranch_execz .LBB1211_61
; %bb.55:
	v_add_co_u32 v33, vcc_lo, v33, 2
	v_add_co_ci_u32_e32 v34, vcc_lo, 0, v34, vcc_lo
	v_add_co_u32 v37, vcc_lo, v37, 2
	v_add_co_ci_u32_e32 v38, vcc_lo, 0, v38, vcc_lo
	s_add_u32 s6, s22, -1
	s_addc_u32 s7, s23, -1
	s_mov_b64 s[18:19], 0
	s_mov_b32 s3, 0
                                        ; implicit-def: $sgpr29
	s_set_inst_prefetch_distance 0x1
	s_branch .LBB1211_58
	.p2align	6
.LBB1211_56:                            ;   in Loop: Header=BB1211_58 Depth=1
	global_load_u16 v39, v[33:34], off
	global_load_u16 v40, v[37:38], off
	v_add_co_u32 v33, vcc_lo, v33, 2
	v_add_co_ci_u32_e32 v34, vcc_lo, 0, v34, vcc_lo
	v_add_co_u32 v37, s2, v37, 2
	s_delay_alu instid0(VALU_DEP_1)
	v_add_co_ci_u32_e64 v38, s2, 0, v38, s2
	s_add_u32 s18, s18, 1
	s_addc_u32 s19, s19, 0
	s_and_not1_b32 s2, s29, exec_lo
	s_waitcnt vmcnt(1)
	v_lshlrev_b32_e32 v39, 16, v39
	s_waitcnt vmcnt(0)
	v_lshlrev_b32_e32 v40, 16, v40
	s_delay_alu instid0(VALU_DEP_1) | instskip(SKIP_1) | instid1(SALU_CYCLE_1)
	v_cmp_neq_f32_e32 vcc_lo, v40, v39
	s_and_b32 s29, vcc_lo, exec_lo
	s_or_b32 s29, s2, s29
.LBB1211_57:                            ;   in Loop: Header=BB1211_58 Depth=1
	v_dual_mov_b32 v40, s19 :: v_dual_mov_b32 v39, s18
	s_and_b32 s2, exec_lo, s29
	s_delay_alu instid0(SALU_CYCLE_1) | instskip(NEXT) | instid1(SALU_CYCLE_1)
	s_or_b32 s3, s2, s3
	s_and_not1_b32 exec_lo, exec_lo, s3
	s_cbranch_execz .LBB1211_60
.LBB1211_58:                            ; =>This Inner Loop Header: Depth=1
	s_or_b32 s29, s29, exec_lo
	s_cmp_eq_u64 s[6:7], s[18:19]
	s_cbranch_scc0 .LBB1211_56
; %bb.59:                               ;   in Loop: Header=BB1211_58 Depth=1
	s_mov_b64 s[18:19], s[22:23]
                                        ; implicit-def: $vgpr33_vgpr34
                                        ; implicit-def: $vgpr37_vgpr38
	s_branch .LBB1211_57
.LBB1211_60:
	s_set_inst_prefetch_distance 0x2
	s_or_b32 exec_lo, exec_lo, s3
	v_cmp_gt_i64_e32 vcc_lo, s[22:23], v[39:40]
	s_or_not1_b32 s3, vcc_lo, exec_lo
.LBB1211_61:
	s_or_b32 exec_lo, exec_lo, s27
.LBB1211_62:
	v_mul_lo_u32 v37, v22, s22
	v_mul_lo_u32 v38, v21, s23
	v_mad_u64_u32 v[33:34], null, v21, s22, 0
	s_mov_b32 s27, 0
	s_and_not1_b32 vcc_lo, exec_lo, s25
	s_mov_b32 s29, 0
	s_delay_alu instid0(VALU_DEP_1) | instskip(NEXT) | instid1(VALU_DEP_1)
	v_add3_u32 v34, v34, v38, v37
	v_lshlrev_b64 v[37:38], 1, v[33:34]
	s_cbranch_vccnz .LBB1211_71
; %bb.63:
	v_add_co_u32 v33, vcc_lo, s8, v35
	v_add_co_ci_u32_e32 v34, vcc_lo, s9, v36, vcc_lo
	s_delay_alu instid0(VALU_DEP_3) | instskip(NEXT) | instid1(VALU_DEP_4)
	v_add_co_u32 v35, vcc_lo, s8, v37
	v_add_co_ci_u32_e32 v36, vcc_lo, s9, v38, vcc_lo
	s_mov_b32 s29, -1
	s_clause 0x1
	global_load_u16 v39, v[33:34], off
	global_load_u16 v40, v[35:36], off
	s_mov_b32 s30, exec_lo
	s_waitcnt vmcnt(1)
	v_lshlrev_b32_e32 v39, 16, v39
	s_waitcnt vmcnt(0)
	v_lshlrev_b32_e32 v40, 16, v40
	s_delay_alu instid0(VALU_DEP_1)
	v_cmpx_eq_f32_e32 v40, v39
	s_cbranch_execz .LBB1211_70
; %bb.64:
	v_add_co_u32 v33, vcc_lo, v33, 2
	v_add_co_ci_u32_e32 v34, vcc_lo, 0, v34, vcc_lo
	v_add_co_u32 v35, vcc_lo, v35, 2
	v_add_co_ci_u32_e32 v36, vcc_lo, 0, v36, vcc_lo
	s_add_u32 s6, s22, -1
	s_addc_u32 s7, s23, -1
	s_mov_b64 s[18:19], 0
	s_mov_b32 s29, 0
                                        ; implicit-def: $sgpr31
	s_set_inst_prefetch_distance 0x1
	s_branch .LBB1211_67
	.p2align	6
.LBB1211_65:                            ;   in Loop: Header=BB1211_67 Depth=1
	global_load_u16 v39, v[33:34], off
	global_load_u16 v40, v[35:36], off
	v_add_co_u32 v33, vcc_lo, v33, 2
	v_add_co_ci_u32_e32 v34, vcc_lo, 0, v34, vcc_lo
	v_add_co_u32 v35, s2, v35, 2
	s_delay_alu instid0(VALU_DEP_1)
	v_add_co_ci_u32_e64 v36, s2, 0, v36, s2
	s_add_u32 s18, s18, 1
	s_addc_u32 s19, s19, 0
	s_and_not1_b32 s2, s31, exec_lo
	s_waitcnt vmcnt(1)
	v_lshlrev_b32_e32 v39, 16, v39
	s_waitcnt vmcnt(0)
	v_lshlrev_b32_e32 v40, 16, v40
	s_delay_alu instid0(VALU_DEP_1) | instskip(SKIP_1) | instid1(SALU_CYCLE_1)
	v_cmp_neq_f32_e32 vcc_lo, v40, v39
	s_and_b32 s31, vcc_lo, exec_lo
	s_or_b32 s31, s2, s31
.LBB1211_66:                            ;   in Loop: Header=BB1211_67 Depth=1
	v_dual_mov_b32 v40, s19 :: v_dual_mov_b32 v39, s18
	s_and_b32 s2, exec_lo, s31
	s_delay_alu instid0(SALU_CYCLE_1) | instskip(NEXT) | instid1(SALU_CYCLE_1)
	s_or_b32 s29, s2, s29
	s_and_not1_b32 exec_lo, exec_lo, s29
	s_cbranch_execz .LBB1211_69
.LBB1211_67:                            ; =>This Inner Loop Header: Depth=1
	s_or_b32 s31, s31, exec_lo
	s_cmp_eq_u64 s[6:7], s[18:19]
	s_cbranch_scc0 .LBB1211_65
; %bb.68:                               ;   in Loop: Header=BB1211_67 Depth=1
	s_mov_b64 s[18:19], s[22:23]
                                        ; implicit-def: $vgpr33_vgpr34
                                        ; implicit-def: $vgpr35_vgpr36
	s_branch .LBB1211_66
.LBB1211_69:
	s_set_inst_prefetch_distance 0x2
	s_or_b32 exec_lo, exec_lo, s29
	v_cmp_gt_i64_e32 vcc_lo, s[22:23], v[39:40]
	s_or_not1_b32 s29, vcc_lo, exec_lo
.LBB1211_70:
	s_or_b32 exec_lo, exec_lo, s30
.LBB1211_71:
	v_mul_lo_u32 v35, v28, s22
	v_mul_lo_u32 v36, v27, s23
	v_mad_u64_u32 v[33:34], null, v27, s22, 0
	s_and_not1_b32 vcc_lo, exec_lo, s25
	s_delay_alu instid0(VALU_DEP_1) | instskip(NEXT) | instid1(VALU_DEP_1)
	v_add3_u32 v34, v34, v36, v35
	v_lshlrev_b64 v[33:34], 1, v[33:34]
	s_cbranch_vccnz .LBB1211_80
; %bb.72:
	v_add_co_u32 v35, vcc_lo, s8, v37
	v_add_co_ci_u32_e32 v36, vcc_lo, s9, v38, vcc_lo
	s_delay_alu instid0(VALU_DEP_3) | instskip(NEXT) | instid1(VALU_DEP_4)
	v_add_co_u32 v37, vcc_lo, s8, v33
	v_add_co_ci_u32_e32 v38, vcc_lo, s9, v34, vcc_lo
	s_mov_b32 s27, -1
	s_clause 0x1
	global_load_u16 v39, v[35:36], off
	global_load_u16 v40, v[37:38], off
	s_mov_b32 s30, exec_lo
	s_waitcnt vmcnt(1)
	v_lshlrev_b32_e32 v39, 16, v39
	s_waitcnt vmcnt(0)
	v_lshlrev_b32_e32 v40, 16, v40
	s_delay_alu instid0(VALU_DEP_1)
	v_cmpx_eq_f32_e32 v40, v39
	s_cbranch_execz .LBB1211_79
; %bb.73:
	v_add_co_u32 v35, vcc_lo, v35, 2
	v_add_co_ci_u32_e32 v36, vcc_lo, 0, v36, vcc_lo
	v_add_co_u32 v37, vcc_lo, v37, 2
	v_add_co_ci_u32_e32 v38, vcc_lo, 0, v38, vcc_lo
	s_add_u32 s6, s22, -1
	s_addc_u32 s7, s23, -1
	s_mov_b64 s[18:19], 0
	s_mov_b32 s27, 0
                                        ; implicit-def: $sgpr31
	s_set_inst_prefetch_distance 0x1
	s_branch .LBB1211_76
	.p2align	6
.LBB1211_74:                            ;   in Loop: Header=BB1211_76 Depth=1
	global_load_u16 v39, v[35:36], off
	global_load_u16 v40, v[37:38], off
	v_add_co_u32 v35, vcc_lo, v35, 2
	v_add_co_ci_u32_e32 v36, vcc_lo, 0, v36, vcc_lo
	v_add_co_u32 v37, s2, v37, 2
	s_delay_alu instid0(VALU_DEP_1)
	v_add_co_ci_u32_e64 v38, s2, 0, v38, s2
	s_add_u32 s18, s18, 1
	s_addc_u32 s19, s19, 0
	s_and_not1_b32 s2, s31, exec_lo
	s_waitcnt vmcnt(1)
	v_lshlrev_b32_e32 v39, 16, v39
	s_waitcnt vmcnt(0)
	v_lshlrev_b32_e32 v40, 16, v40
	s_delay_alu instid0(VALU_DEP_1) | instskip(SKIP_1) | instid1(SALU_CYCLE_1)
	v_cmp_neq_f32_e32 vcc_lo, v40, v39
	s_and_b32 s31, vcc_lo, exec_lo
	s_or_b32 s31, s2, s31
.LBB1211_75:                            ;   in Loop: Header=BB1211_76 Depth=1
	v_dual_mov_b32 v40, s19 :: v_dual_mov_b32 v39, s18
	s_and_b32 s2, exec_lo, s31
	s_delay_alu instid0(SALU_CYCLE_1) | instskip(NEXT) | instid1(SALU_CYCLE_1)
	s_or_b32 s27, s2, s27
	s_and_not1_b32 exec_lo, exec_lo, s27
	s_cbranch_execz .LBB1211_78
.LBB1211_76:                            ; =>This Inner Loop Header: Depth=1
	s_or_b32 s31, s31, exec_lo
	s_cmp_eq_u64 s[6:7], s[18:19]
	s_cbranch_scc0 .LBB1211_74
; %bb.77:                               ;   in Loop: Header=BB1211_76 Depth=1
	s_mov_b64 s[18:19], s[22:23]
                                        ; implicit-def: $vgpr35_vgpr36
                                        ; implicit-def: $vgpr37_vgpr38
	s_branch .LBB1211_75
.LBB1211_78:
	s_set_inst_prefetch_distance 0x2
	s_or_b32 exec_lo, exec_lo, s27
	v_cmp_gt_i64_e32 vcc_lo, s[22:23], v[39:40]
	s_or_not1_b32 s27, vcc_lo, exec_lo
.LBB1211_79:
	s_or_b32 exec_lo, exec_lo, s30
.LBB1211_80:
	v_mul_lo_u32 v37, v26, s22
	v_mul_lo_u32 v38, v25, s23
	v_mad_u64_u32 v[35:36], null, v25, s22, 0
	s_mov_b32 s30, 0
	s_and_not1_b32 vcc_lo, exec_lo, s25
	s_mov_b32 s31, 0
	s_delay_alu instid0(VALU_DEP_1) | instskip(NEXT) | instid1(VALU_DEP_1)
	v_add3_u32 v36, v36, v38, v37
	v_lshlrev_b64 v[37:38], 1, v[35:36]
	s_cbranch_vccnz .LBB1211_89
; %bb.81:
	v_add_co_u32 v33, vcc_lo, s8, v33
	v_add_co_ci_u32_e32 v34, vcc_lo, s9, v34, vcc_lo
	s_delay_alu instid0(VALU_DEP_3) | instskip(NEXT) | instid1(VALU_DEP_4)
	v_add_co_u32 v35, vcc_lo, s8, v37
	v_add_co_ci_u32_e32 v36, vcc_lo, s9, v38, vcc_lo
	s_mov_b32 s31, -1
	s_clause 0x1
	global_load_u16 v39, v[33:34], off
	global_load_u16 v40, v[35:36], off
	s_mov_b32 s33, exec_lo
	s_waitcnt vmcnt(1)
	v_lshlrev_b32_e32 v39, 16, v39
	s_waitcnt vmcnt(0)
	v_lshlrev_b32_e32 v40, 16, v40
	s_delay_alu instid0(VALU_DEP_1)
	v_cmpx_eq_f32_e32 v40, v39
	s_cbranch_execz .LBB1211_88
; %bb.82:
	v_add_co_u32 v33, vcc_lo, v33, 2
	v_add_co_ci_u32_e32 v34, vcc_lo, 0, v34, vcc_lo
	v_add_co_u32 v35, vcc_lo, v35, 2
	v_add_co_ci_u32_e32 v36, vcc_lo, 0, v36, vcc_lo
	s_add_u32 s6, s22, -1
	s_addc_u32 s7, s23, -1
	s_mov_b64 s[18:19], 0
	s_mov_b32 s31, 0
                                        ; implicit-def: $sgpr34
	s_set_inst_prefetch_distance 0x1
	s_branch .LBB1211_85
	.p2align	6
.LBB1211_83:                            ;   in Loop: Header=BB1211_85 Depth=1
	global_load_u16 v39, v[33:34], off
	global_load_u16 v40, v[35:36], off
	v_add_co_u32 v33, vcc_lo, v33, 2
	v_add_co_ci_u32_e32 v34, vcc_lo, 0, v34, vcc_lo
	v_add_co_u32 v35, s2, v35, 2
	s_delay_alu instid0(VALU_DEP_1)
	v_add_co_ci_u32_e64 v36, s2, 0, v36, s2
	s_add_u32 s18, s18, 1
	s_addc_u32 s19, s19, 0
	s_and_not1_b32 s2, s34, exec_lo
	s_waitcnt vmcnt(1)
	v_lshlrev_b32_e32 v39, 16, v39
	s_waitcnt vmcnt(0)
	v_lshlrev_b32_e32 v40, 16, v40
	s_delay_alu instid0(VALU_DEP_1) | instskip(SKIP_1) | instid1(SALU_CYCLE_1)
	v_cmp_neq_f32_e32 vcc_lo, v40, v39
	s_and_b32 s34, vcc_lo, exec_lo
	s_or_b32 s34, s2, s34
.LBB1211_84:                            ;   in Loop: Header=BB1211_85 Depth=1
	v_dual_mov_b32 v40, s19 :: v_dual_mov_b32 v39, s18
	s_and_b32 s2, exec_lo, s34
	s_delay_alu instid0(SALU_CYCLE_1) | instskip(NEXT) | instid1(SALU_CYCLE_1)
	s_or_b32 s31, s2, s31
	s_and_not1_b32 exec_lo, exec_lo, s31
	s_cbranch_execz .LBB1211_87
.LBB1211_85:                            ; =>This Inner Loop Header: Depth=1
	s_or_b32 s34, s34, exec_lo
	s_cmp_eq_u64 s[6:7], s[18:19]
	s_cbranch_scc0 .LBB1211_83
; %bb.86:                               ;   in Loop: Header=BB1211_85 Depth=1
	s_mov_b64 s[18:19], s[22:23]
                                        ; implicit-def: $vgpr33_vgpr34
                                        ; implicit-def: $vgpr35_vgpr36
	s_branch .LBB1211_84
.LBB1211_87:
	s_set_inst_prefetch_distance 0x2
	s_or_b32 exec_lo, exec_lo, s31
	v_cmp_gt_i64_e32 vcc_lo, s[22:23], v[39:40]
	s_or_not1_b32 s31, vcc_lo, exec_lo
.LBB1211_88:
	s_or_b32 exec_lo, exec_lo, s33
.LBB1211_89:
	v_mul_lo_u32 v35, v32, s22
	v_mul_lo_u32 v36, v31, s23
	v_mad_u64_u32 v[33:34], null, v31, s22, 0
	s_and_not1_b32 vcc_lo, exec_lo, s25
	s_delay_alu instid0(VALU_DEP_1) | instskip(NEXT) | instid1(VALU_DEP_1)
	v_add3_u32 v34, v34, v36, v35
	v_lshlrev_b64 v[35:36], 1, v[33:34]
	s_cbranch_vccnz .LBB1211_98
; %bb.90:
	v_add_co_u32 v33, vcc_lo, s8, v37
	v_add_co_ci_u32_e32 v34, vcc_lo, s9, v38, vcc_lo
	s_delay_alu instid0(VALU_DEP_3) | instskip(NEXT) | instid1(VALU_DEP_4)
	v_add_co_u32 v37, vcc_lo, s8, v35
	v_add_co_ci_u32_e32 v38, vcc_lo, s9, v36, vcc_lo
	s_mov_b32 s30, -1
	s_clause 0x1
	global_load_u16 v39, v[33:34], off
	global_load_u16 v40, v[37:38], off
	s_mov_b32 s33, exec_lo
	s_waitcnt vmcnt(1)
	v_lshlrev_b32_e32 v39, 16, v39
	s_waitcnt vmcnt(0)
	v_lshlrev_b32_e32 v40, 16, v40
	s_delay_alu instid0(VALU_DEP_1)
	v_cmpx_eq_f32_e32 v40, v39
	s_cbranch_execz .LBB1211_97
; %bb.91:
	v_add_co_u32 v33, vcc_lo, v33, 2
	v_add_co_ci_u32_e32 v34, vcc_lo, 0, v34, vcc_lo
	v_add_co_u32 v37, vcc_lo, v37, 2
	v_add_co_ci_u32_e32 v38, vcc_lo, 0, v38, vcc_lo
	s_add_u32 s6, s22, -1
	s_addc_u32 s7, s23, -1
	s_mov_b64 s[18:19], 0
	s_mov_b32 s30, 0
                                        ; implicit-def: $sgpr34
	s_set_inst_prefetch_distance 0x1
	s_branch .LBB1211_94
	.p2align	6
.LBB1211_92:                            ;   in Loop: Header=BB1211_94 Depth=1
	global_load_u16 v39, v[33:34], off
	global_load_u16 v40, v[37:38], off
	v_add_co_u32 v33, vcc_lo, v33, 2
	v_add_co_ci_u32_e32 v34, vcc_lo, 0, v34, vcc_lo
	v_add_co_u32 v37, s2, v37, 2
	s_delay_alu instid0(VALU_DEP_1)
	v_add_co_ci_u32_e64 v38, s2, 0, v38, s2
	s_add_u32 s18, s18, 1
	s_addc_u32 s19, s19, 0
	s_and_not1_b32 s2, s34, exec_lo
	s_waitcnt vmcnt(1)
	v_lshlrev_b32_e32 v39, 16, v39
	s_waitcnt vmcnt(0)
	v_lshlrev_b32_e32 v40, 16, v40
	s_delay_alu instid0(VALU_DEP_1) | instskip(SKIP_1) | instid1(SALU_CYCLE_1)
	v_cmp_neq_f32_e32 vcc_lo, v40, v39
	s_and_b32 s34, vcc_lo, exec_lo
	s_or_b32 s34, s2, s34
.LBB1211_93:                            ;   in Loop: Header=BB1211_94 Depth=1
	v_dual_mov_b32 v40, s19 :: v_dual_mov_b32 v39, s18
	s_and_b32 s2, exec_lo, s34
	s_delay_alu instid0(SALU_CYCLE_1) | instskip(NEXT) | instid1(SALU_CYCLE_1)
	s_or_b32 s30, s2, s30
	s_and_not1_b32 exec_lo, exec_lo, s30
	s_cbranch_execz .LBB1211_96
.LBB1211_94:                            ; =>This Inner Loop Header: Depth=1
	s_or_b32 s34, s34, exec_lo
	s_cmp_eq_u64 s[6:7], s[18:19]
	s_cbranch_scc0 .LBB1211_92
; %bb.95:                               ;   in Loop: Header=BB1211_94 Depth=1
	s_mov_b64 s[18:19], s[22:23]
                                        ; implicit-def: $vgpr33_vgpr34
                                        ; implicit-def: $vgpr37_vgpr38
	s_branch .LBB1211_93
.LBB1211_96:
	s_set_inst_prefetch_distance 0x2
	s_or_b32 exec_lo, exec_lo, s30
	v_cmp_gt_i64_e32 vcc_lo, s[22:23], v[39:40]
	s_or_not1_b32 s30, vcc_lo, exec_lo
.LBB1211_97:
	s_or_b32 exec_lo, exec_lo, s33
.LBB1211_98:
	v_mul_lo_u32 v37, v30, s22
	v_mul_lo_u32 v38, v29, s23
	v_mad_u64_u32 v[33:34], null, v29, s22, 0
	s_and_not1_b32 vcc_lo, exec_lo, s25
	s_mov_b32 s2, 0
	s_delay_alu instid0(VALU_DEP_1) | instskip(NEXT) | instid1(VALU_DEP_1)
	v_add3_u32 v34, v34, v38, v37
	v_lshlrev_b64 v[33:34], 1, v[33:34]
	s_cbranch_vccnz .LBB1211_107
; %bb.99:
	v_add_co_u32 v35, vcc_lo, s8, v35
	v_add_co_ci_u32_e32 v36, vcc_lo, s9, v36, vcc_lo
	s_delay_alu instid0(VALU_DEP_3) | instskip(NEXT) | instid1(VALU_DEP_4)
	v_add_co_u32 v37, vcc_lo, s8, v33
	v_add_co_ci_u32_e32 v38, vcc_lo, s9, v34, vcc_lo
	s_mov_b32 s2, -1
	s_clause 0x1
	global_load_u16 v39, v[35:36], off
	global_load_u16 v40, v[37:38], off
	s_mov_b32 s33, exec_lo
	s_waitcnt vmcnt(1)
	v_lshlrev_b32_e32 v39, 16, v39
	s_waitcnt vmcnt(0)
	v_lshlrev_b32_e32 v40, 16, v40
	s_delay_alu instid0(VALU_DEP_1)
	v_cmpx_eq_f32_e32 v40, v39
	s_cbranch_execz .LBB1211_106
; %bb.100:
	v_add_co_u32 v35, vcc_lo, v35, 2
	v_add_co_ci_u32_e32 v36, vcc_lo, 0, v36, vcc_lo
	v_add_co_u32 v37, vcc_lo, v37, 2
	v_add_co_ci_u32_e32 v38, vcc_lo, 0, v38, vcc_lo
	s_add_u32 s6, s22, -1
	s_addc_u32 s7, s23, -1
	s_mov_b64 s[18:19], 0
	s_mov_b32 s34, 0
                                        ; implicit-def: $sgpr35
	s_set_inst_prefetch_distance 0x1
	s_branch .LBB1211_103
	.p2align	6
.LBB1211_101:                           ;   in Loop: Header=BB1211_103 Depth=1
	global_load_u16 v39, v[35:36], off
	global_load_u16 v40, v[37:38], off
	v_add_co_u32 v35, vcc_lo, v35, 2
	v_add_co_ci_u32_e32 v36, vcc_lo, 0, v36, vcc_lo
	v_add_co_u32 v37, s2, v37, 2
	s_delay_alu instid0(VALU_DEP_1)
	v_add_co_ci_u32_e64 v38, s2, 0, v38, s2
	s_add_u32 s18, s18, 1
	s_addc_u32 s19, s19, 0
	s_and_not1_b32 s2, s35, exec_lo
	s_waitcnt vmcnt(1)
	v_lshlrev_b32_e32 v39, 16, v39
	s_waitcnt vmcnt(0)
	v_lshlrev_b32_e32 v40, 16, v40
	s_delay_alu instid0(VALU_DEP_1) | instskip(SKIP_1) | instid1(SALU_CYCLE_1)
	v_cmp_neq_f32_e32 vcc_lo, v40, v39
	s_and_b32 s35, vcc_lo, exec_lo
	s_or_b32 s35, s2, s35
.LBB1211_102:                           ;   in Loop: Header=BB1211_103 Depth=1
	v_dual_mov_b32 v40, s19 :: v_dual_mov_b32 v39, s18
	s_and_b32 s2, exec_lo, s35
	s_delay_alu instid0(SALU_CYCLE_1) | instskip(NEXT) | instid1(SALU_CYCLE_1)
	s_or_b32 s34, s2, s34
	s_and_not1_b32 exec_lo, exec_lo, s34
	s_cbranch_execz .LBB1211_105
.LBB1211_103:                           ; =>This Inner Loop Header: Depth=1
	s_or_b32 s35, s35, exec_lo
	s_cmp_eq_u64 s[6:7], s[18:19]
	s_cbranch_scc0 .LBB1211_101
; %bb.104:                              ;   in Loop: Header=BB1211_103 Depth=1
	s_mov_b64 s[18:19], s[22:23]
                                        ; implicit-def: $vgpr35_vgpr36
                                        ; implicit-def: $vgpr37_vgpr38
	s_branch .LBB1211_102
.LBB1211_105:
	s_set_inst_prefetch_distance 0x2
	s_or_b32 exec_lo, exec_lo, s34
	v_cmp_gt_i64_e32 vcc_lo, s[22:23], v[39:40]
	s_or_not1_b32 s2, vcc_lo, exec_lo
.LBB1211_106:
	s_or_b32 exec_lo, exec_lo, s33
.LBB1211_107:
	s_waitcnt lgkmcnt(0)
	v_dual_mov_b32 v36, s5 :: v_dual_mov_b32 v35, s4
	s_mov_b32 s6, exec_lo
	s_barrier
	buffer_gl0_inv
	v_cmpx_ne_u32_e32 0, v0
	s_cbranch_execz .LBB1211_109
; %bb.108:
	v_add_nc_u32_e32 v35, -8, v55
	ds_load_b64 v[35:36], v35
.LBB1211_109:
	s_or_b32 exec_lo, exec_lo, s6
	v_cndmask_b32_e64 v38, 0, 1, s31
	v_cndmask_b32_e64 v40, 0, 1, s29
	;; [unrolled: 1-line block ×7, first 2 shown]
	v_lshlrev_b16 v38, 8, v38
	v_lshlrev_b16 v40, 8, v40
	;; [unrolled: 1-line block ×4, first 2 shown]
	s_mov_b32 s3, 0
	v_or_b32_e32 v37, v37, v38
	v_or_b32_e32 v38, v39, v40
	;; [unrolled: 1-line block ×3, first 2 shown]
	v_and_b32_e32 v39, 0xffff, v43
	s_and_not1_b32 vcc_lo, exec_lo, s25
	v_lshlrev_b32_e32 v40, 16, v37
	v_and_b32_e32 v42, 0xffff, v38
	v_lshlrev_b32_e32 v43, 16, v44
	s_mov_b32 s2, 0
	s_cbranch_vccnz .LBB1211_118
; %bb.110:
	s_waitcnt lgkmcnt(0)
	v_mul_lo_u32 v38, v36, s22
	v_mul_lo_u32 v44, v35, s23
	v_mad_u64_u32 v[36:37], null, v35, s22, 0
	s_mov_b32 s2, -1
	s_mov_b32 s26, exec_lo
	s_delay_alu instid0(VALU_DEP_1) | instskip(NEXT) | instid1(VALU_DEP_1)
	v_add3_u32 v37, v37, v44, v38
	v_lshlrev_b64 v[35:36], 1, v[36:37]
	s_delay_alu instid0(VALU_DEP_1) | instskip(NEXT) | instid1(VALU_DEP_2)
	v_add_co_u32 v35, vcc_lo, s8, v35
	v_add_co_ci_u32_e32 v36, vcc_lo, s9, v36, vcc_lo
	v_add_co_u32 v33, vcc_lo, s8, v33
	v_add_co_ci_u32_e32 v34, vcc_lo, s9, v34, vcc_lo
	s_clause 0x1
	global_load_u16 v37, v[35:36], off
	global_load_u16 v38, v[33:34], off
	s_waitcnt vmcnt(1)
	v_lshlrev_b32_e32 v37, 16, v37
	s_waitcnt vmcnt(0)
	v_lshlrev_b32_e32 v38, 16, v38
	s_delay_alu instid0(VALU_DEP_1)
	v_cmpx_eq_f32_e32 v37, v38
	s_cbranch_execz .LBB1211_117
; %bb.111:
	v_add_co_u32 v33, vcc_lo, v33, 2
	v_add_co_ci_u32_e32 v34, vcc_lo, 0, v34, vcc_lo
	v_add_co_u32 v35, vcc_lo, v35, 2
	v_add_co_ci_u32_e32 v36, vcc_lo, 0, v36, vcc_lo
	s_add_u32 s6, s22, -1
	s_addc_u32 s7, s23, -1
	s_mov_b64 s[18:19], 0
	s_mov_b32 s27, 0
                                        ; implicit-def: $sgpr29
	s_set_inst_prefetch_distance 0x1
	s_branch .LBB1211_114
	.p2align	6
.LBB1211_112:                           ;   in Loop: Header=BB1211_114 Depth=1
	global_load_u16 v37, v[33:34], off
	global_load_u16 v38, v[35:36], off
	v_add_co_u32 v33, vcc_lo, v33, 2
	v_add_co_ci_u32_e32 v34, vcc_lo, 0, v34, vcc_lo
	v_add_co_u32 v35, s2, v35, 2
	s_delay_alu instid0(VALU_DEP_1)
	v_add_co_ci_u32_e64 v36, s2, 0, v36, s2
	s_add_u32 s18, s18, 1
	s_addc_u32 s19, s19, 0
	s_and_not1_b32 s2, s29, exec_lo
	s_waitcnt vmcnt(1)
	v_lshlrev_b32_e32 v37, 16, v37
	s_waitcnt vmcnt(0)
	v_lshlrev_b32_e32 v38, 16, v38
	s_delay_alu instid0(VALU_DEP_1) | instskip(SKIP_1) | instid1(SALU_CYCLE_1)
	v_cmp_neq_f32_e32 vcc_lo, v38, v37
	s_and_b32 s29, vcc_lo, exec_lo
	s_or_b32 s29, s2, s29
.LBB1211_113:                           ;   in Loop: Header=BB1211_114 Depth=1
	v_dual_mov_b32 v38, s19 :: v_dual_mov_b32 v37, s18
	s_and_b32 s2, exec_lo, s29
	s_delay_alu instid0(SALU_CYCLE_1) | instskip(NEXT) | instid1(SALU_CYCLE_1)
	s_or_b32 s27, s2, s27
	s_and_not1_b32 exec_lo, exec_lo, s27
	s_cbranch_execz .LBB1211_116
.LBB1211_114:                           ; =>This Inner Loop Header: Depth=1
	s_or_b32 s29, s29, exec_lo
	s_cmp_eq_u64 s[6:7], s[18:19]
	s_cbranch_scc0 .LBB1211_112
; %bb.115:                              ;   in Loop: Header=BB1211_114 Depth=1
	s_mov_b64 s[18:19], s[22:23]
                                        ; implicit-def: $vgpr33_vgpr34
                                        ; implicit-def: $vgpr35_vgpr36
	s_branch .LBB1211_113
.LBB1211_116:
	s_set_inst_prefetch_distance 0x2
	s_or_b32 exec_lo, exec_lo, s27
	v_cmp_gt_i64_e32 vcc_lo, s[22:23], v[37:38]
	s_or_not1_b32 s2, vcc_lo, exec_lo
.LBB1211_117:
	s_or_b32 exec_lo, exec_lo, s26
.LBB1211_118:
	v_or_b32_e32 v33, v39, v40
	s_delay_alu instid0(VALU_DEP_2)
	v_or_b32_e32 v34, v42, v43
	s_and_b32 vcc_lo, exec_lo, s3
	s_cbranch_vccz .LBB1211_210
.LBB1211_119:
	v_or_b32_e32 v33, 7, v55
	s_mov_b32 s3, 0
	s_mov_b32 s26, 0
	s_mov_b32 s27, exec_lo
	s_delay_alu instid0(VALU_DEP_1)
	v_cmpx_gt_u32_e64 s28, v33
	s_cbranch_execz .LBB1211_130
; %bb.120:
	s_and_not1_b32 vcc_lo, exec_lo, s25
	s_mov_b32 s2, 0
	s_cbranch_vccnz .LBB1211_129
; %bb.121:
	v_mul_lo_u32 v37, v20, s22
	v_mul_lo_u32 v38, v19, s23
	v_mad_u64_u32 v[33:34], null, v19, s22, 0
	v_mul_lo_u32 v39, v18, s22
	v_mul_lo_u32 v40, v17, s23
	s_waitcnt lgkmcnt(0)
	v_mad_u64_u32 v[35:36], null, v17, s22, 0
	s_mov_b32 s2, -1
	s_mov_b32 s25, exec_lo
	s_delay_alu instid0(VALU_DEP_4) | instskip(NEXT) | instid1(VALU_DEP_2)
	v_add3_u32 v34, v34, v38, v37
	v_add3_u32 v36, v36, v40, v39
	s_delay_alu instid0(VALU_DEP_2) | instskip(NEXT) | instid1(VALU_DEP_2)
	v_lshlrev_b64 v[33:34], 1, v[33:34]
	v_lshlrev_b64 v[35:36], 1, v[35:36]
	s_delay_alu instid0(VALU_DEP_2) | instskip(NEXT) | instid1(VALU_DEP_3)
	v_add_co_u32 v33, vcc_lo, s8, v33
	v_add_co_ci_u32_e32 v34, vcc_lo, s9, v34, vcc_lo
	s_delay_alu instid0(VALU_DEP_3) | instskip(NEXT) | instid1(VALU_DEP_4)
	v_add_co_u32 v35, vcc_lo, s8, v35
	v_add_co_ci_u32_e32 v36, vcc_lo, s9, v36, vcc_lo
	s_clause 0x1
	global_load_u16 v37, v[33:34], off
	global_load_u16 v38, v[35:36], off
	s_waitcnt vmcnt(1)
	v_lshlrev_b32_e32 v37, 16, v37
	s_waitcnt vmcnt(0)
	v_lshlrev_b32_e32 v38, 16, v38
	s_delay_alu instid0(VALU_DEP_1)
	v_cmpx_eq_f32_e32 v38, v37
	s_cbranch_execz .LBB1211_128
; %bb.122:
	v_add_co_u32 v33, vcc_lo, v33, 2
	v_add_co_ci_u32_e32 v34, vcc_lo, 0, v34, vcc_lo
	v_add_co_u32 v35, vcc_lo, v35, 2
	v_add_co_ci_u32_e32 v36, vcc_lo, 0, v36, vcc_lo
	s_add_u32 s6, s22, -1
	s_addc_u32 s7, s23, -1
	s_mov_b64 s[18:19], 0
                                        ; implicit-def: $sgpr29
	s_set_inst_prefetch_distance 0x1
	s_branch .LBB1211_125
	.p2align	6
.LBB1211_123:                           ;   in Loop: Header=BB1211_125 Depth=1
	global_load_u16 v37, v[33:34], off
	global_load_u16 v38, v[35:36], off
	v_add_co_u32 v33, vcc_lo, v33, 2
	v_add_co_ci_u32_e32 v34, vcc_lo, 0, v34, vcc_lo
	v_add_co_u32 v35, s2, v35, 2
	s_delay_alu instid0(VALU_DEP_1)
	v_add_co_ci_u32_e64 v36, s2, 0, v36, s2
	s_add_u32 s18, s18, 1
	s_addc_u32 s19, s19, 0
	s_and_not1_b32 s2, s29, exec_lo
	s_waitcnt vmcnt(1)
	v_lshlrev_b32_e32 v37, 16, v37
	s_waitcnt vmcnt(0)
	v_lshlrev_b32_e32 v38, 16, v38
	s_delay_alu instid0(VALU_DEP_1) | instskip(SKIP_1) | instid1(SALU_CYCLE_1)
	v_cmp_neq_f32_e32 vcc_lo, v38, v37
	s_and_b32 s29, vcc_lo, exec_lo
	s_or_b32 s29, s2, s29
.LBB1211_124:                           ;   in Loop: Header=BB1211_125 Depth=1
	v_dual_mov_b32 v38, s19 :: v_dual_mov_b32 v37, s18
	s_and_b32 s2, exec_lo, s29
	s_delay_alu instid0(SALU_CYCLE_1) | instskip(NEXT) | instid1(SALU_CYCLE_1)
	s_or_b32 s26, s2, s26
	s_and_not1_b32 exec_lo, exec_lo, s26
	s_cbranch_execz .LBB1211_127
.LBB1211_125:                           ; =>This Inner Loop Header: Depth=1
	s_or_b32 s29, s29, exec_lo
	s_cmp_eq_u64 s[6:7], s[18:19]
	s_cbranch_scc0 .LBB1211_123
; %bb.126:                              ;   in Loop: Header=BB1211_125 Depth=1
	s_mov_b64 s[18:19], s[22:23]
                                        ; implicit-def: $vgpr33_vgpr34
                                        ; implicit-def: $vgpr35_vgpr36
	s_branch .LBB1211_124
.LBB1211_127:
	s_set_inst_prefetch_distance 0x2
	s_or_b32 exec_lo, exec_lo, s26
	v_cmp_gt_i64_e32 vcc_lo, s[22:23], v[37:38]
	s_or_not1_b32 s2, vcc_lo, exec_lo
.LBB1211_128:
	s_or_b32 exec_lo, exec_lo, s25
.LBB1211_129:
	s_delay_alu instid0(SALU_CYCLE_1)
	s_and_b32 s26, s2, exec_lo
.LBB1211_130:
	s_or_b32 exec_lo, exec_lo, s27
	v_or_b32_e32 v33, 6, v55
	s_mov_b32 s25, exec_lo
	s_delay_alu instid0(VALU_DEP_1)
	v_cmpx_gt_u32_e64 s28, v33
	s_cbranch_execz .LBB1211_141
; %bb.131:
	v_cmp_ne_u32_e32 vcc_lo, 1, v41
	s_mov_b32 s2, 0
	s_cbranch_vccnz .LBB1211_140
; %bb.132:
	v_mul_lo_u32 v37, v18, s22
	v_mul_lo_u32 v38, v17, s23
	v_mad_u64_u32 v[33:34], null, v17, s22, 0
	v_mul_lo_u32 v39, v24, s22
	v_mul_lo_u32 v40, v23, s23
	s_waitcnt lgkmcnt(0)
	v_mad_u64_u32 v[35:36], null, v23, s22, 0
	s_mov_b32 s2, -1
	s_mov_b32 s3, exec_lo
	s_delay_alu instid0(VALU_DEP_4) | instskip(NEXT) | instid1(VALU_DEP_2)
	v_add3_u32 v34, v34, v38, v37
	v_add3_u32 v36, v36, v40, v39
	s_delay_alu instid0(VALU_DEP_2) | instskip(NEXT) | instid1(VALU_DEP_2)
	v_lshlrev_b64 v[33:34], 1, v[33:34]
	v_lshlrev_b64 v[35:36], 1, v[35:36]
	s_delay_alu instid0(VALU_DEP_2) | instskip(NEXT) | instid1(VALU_DEP_3)
	v_add_co_u32 v33, vcc_lo, s8, v33
	v_add_co_ci_u32_e32 v34, vcc_lo, s9, v34, vcc_lo
	s_delay_alu instid0(VALU_DEP_3) | instskip(NEXT) | instid1(VALU_DEP_4)
	v_add_co_u32 v35, vcc_lo, s8, v35
	v_add_co_ci_u32_e32 v36, vcc_lo, s9, v36, vcc_lo
	s_clause 0x1
	global_load_u16 v37, v[33:34], off
	global_load_u16 v38, v[35:36], off
	s_waitcnt vmcnt(1)
	v_lshlrev_b32_e32 v37, 16, v37
	s_waitcnt vmcnt(0)
	v_lshlrev_b32_e32 v38, 16, v38
	s_delay_alu instid0(VALU_DEP_1)
	v_cmpx_eq_f32_e32 v38, v37
	s_cbranch_execz .LBB1211_139
; %bb.133:
	v_add_co_u32 v33, vcc_lo, v33, 2
	v_add_co_ci_u32_e32 v34, vcc_lo, 0, v34, vcc_lo
	v_add_co_u32 v35, vcc_lo, v35, 2
	v_add_co_ci_u32_e32 v36, vcc_lo, 0, v36, vcc_lo
	s_add_u32 s6, s22, -1
	s_addc_u32 s7, s23, -1
	s_mov_b64 s[18:19], 0
	s_mov_b32 s27, 0
                                        ; implicit-def: $sgpr29
	s_set_inst_prefetch_distance 0x1
	s_branch .LBB1211_136
	.p2align	6
.LBB1211_134:                           ;   in Loop: Header=BB1211_136 Depth=1
	global_load_u16 v37, v[33:34], off
	global_load_u16 v38, v[35:36], off
	v_add_co_u32 v33, vcc_lo, v33, 2
	v_add_co_ci_u32_e32 v34, vcc_lo, 0, v34, vcc_lo
	v_add_co_u32 v35, s2, v35, 2
	s_delay_alu instid0(VALU_DEP_1)
	v_add_co_ci_u32_e64 v36, s2, 0, v36, s2
	s_add_u32 s18, s18, 1
	s_addc_u32 s19, s19, 0
	s_and_not1_b32 s2, s29, exec_lo
	s_waitcnt vmcnt(1)
	v_lshlrev_b32_e32 v37, 16, v37
	s_waitcnt vmcnt(0)
	v_lshlrev_b32_e32 v38, 16, v38
	s_delay_alu instid0(VALU_DEP_1) | instskip(SKIP_1) | instid1(SALU_CYCLE_1)
	v_cmp_neq_f32_e32 vcc_lo, v38, v37
	s_and_b32 s29, vcc_lo, exec_lo
	s_or_b32 s29, s2, s29
.LBB1211_135:                           ;   in Loop: Header=BB1211_136 Depth=1
	v_dual_mov_b32 v38, s19 :: v_dual_mov_b32 v37, s18
	s_and_b32 s2, exec_lo, s29
	s_delay_alu instid0(SALU_CYCLE_1) | instskip(NEXT) | instid1(SALU_CYCLE_1)
	s_or_b32 s27, s2, s27
	s_and_not1_b32 exec_lo, exec_lo, s27
	s_cbranch_execz .LBB1211_138
.LBB1211_136:                           ; =>This Inner Loop Header: Depth=1
	s_or_b32 s29, s29, exec_lo
	s_cmp_eq_u64 s[6:7], s[18:19]
	s_cbranch_scc0 .LBB1211_134
; %bb.137:                              ;   in Loop: Header=BB1211_136 Depth=1
	s_mov_b64 s[18:19], s[22:23]
                                        ; implicit-def: $vgpr33_vgpr34
                                        ; implicit-def: $vgpr35_vgpr36
	s_branch .LBB1211_135
.LBB1211_138:
	s_set_inst_prefetch_distance 0x2
	s_or_b32 exec_lo, exec_lo, s27
	v_cmp_gt_i64_e32 vcc_lo, s[22:23], v[37:38]
	s_or_not1_b32 s2, vcc_lo, exec_lo
.LBB1211_139:
	s_or_b32 exec_lo, exec_lo, s3
.LBB1211_140:
	s_delay_alu instid0(SALU_CYCLE_1)
	s_and_b32 s3, s2, exec_lo
.LBB1211_141:
	s_or_b32 exec_lo, exec_lo, s25
	v_or_b32_e32 v33, 5, v55
	s_mov_b32 s27, 0
	s_mov_b32 s25, 0
	s_mov_b32 s29, exec_lo
	s_delay_alu instid0(VALU_DEP_1)
	v_cmpx_gt_u32_e64 s28, v33
	s_cbranch_execz .LBB1211_152
; %bb.142:
	v_cmp_ne_u32_e32 vcc_lo, 1, v41
	s_mov_b32 s2, 0
	s_cbranch_vccnz .LBB1211_151
; %bb.143:
	v_mul_lo_u32 v37, v24, s22
	v_mul_lo_u32 v38, v23, s23
	v_mad_u64_u32 v[33:34], null, v23, s22, 0
	v_mul_lo_u32 v39, v22, s22
	v_mul_lo_u32 v40, v21, s23
	s_waitcnt lgkmcnt(0)
	v_mad_u64_u32 v[35:36], null, v21, s22, 0
	s_mov_b32 s2, -1
	s_mov_b32 s25, exec_lo
	s_delay_alu instid0(VALU_DEP_4) | instskip(NEXT) | instid1(VALU_DEP_2)
	v_add3_u32 v34, v34, v38, v37
	v_add3_u32 v36, v36, v40, v39
	s_delay_alu instid0(VALU_DEP_2) | instskip(NEXT) | instid1(VALU_DEP_2)
	v_lshlrev_b64 v[33:34], 1, v[33:34]
	v_lshlrev_b64 v[35:36], 1, v[35:36]
	s_delay_alu instid0(VALU_DEP_2) | instskip(NEXT) | instid1(VALU_DEP_3)
	v_add_co_u32 v33, vcc_lo, s8, v33
	v_add_co_ci_u32_e32 v34, vcc_lo, s9, v34, vcc_lo
	s_delay_alu instid0(VALU_DEP_3) | instskip(NEXT) | instid1(VALU_DEP_4)
	v_add_co_u32 v35, vcc_lo, s8, v35
	v_add_co_ci_u32_e32 v36, vcc_lo, s9, v36, vcc_lo
	s_clause 0x1
	global_load_u16 v37, v[33:34], off
	global_load_u16 v38, v[35:36], off
	s_waitcnt vmcnt(1)
	v_lshlrev_b32_e32 v37, 16, v37
	s_waitcnt vmcnt(0)
	v_lshlrev_b32_e32 v38, 16, v38
	s_delay_alu instid0(VALU_DEP_1)
	v_cmpx_eq_f32_e32 v38, v37
	s_cbranch_execz .LBB1211_150
; %bb.144:
	v_add_co_u32 v33, vcc_lo, v33, 2
	v_add_co_ci_u32_e32 v34, vcc_lo, 0, v34, vcc_lo
	v_add_co_u32 v35, vcc_lo, v35, 2
	v_add_co_ci_u32_e32 v36, vcc_lo, 0, v36, vcc_lo
	s_add_u32 s6, s22, -1
	s_addc_u32 s7, s23, -1
	s_mov_b64 s[18:19], 0
	s_mov_b32 s30, 0
                                        ; implicit-def: $sgpr31
	s_set_inst_prefetch_distance 0x1
	s_branch .LBB1211_147
	.p2align	6
.LBB1211_145:                           ;   in Loop: Header=BB1211_147 Depth=1
	global_load_u16 v37, v[33:34], off
	global_load_u16 v38, v[35:36], off
	v_add_co_u32 v33, vcc_lo, v33, 2
	v_add_co_ci_u32_e32 v34, vcc_lo, 0, v34, vcc_lo
	v_add_co_u32 v35, s2, v35, 2
	s_delay_alu instid0(VALU_DEP_1)
	v_add_co_ci_u32_e64 v36, s2, 0, v36, s2
	s_add_u32 s18, s18, 1
	s_addc_u32 s19, s19, 0
	s_and_not1_b32 s2, s31, exec_lo
	s_waitcnt vmcnt(1)
	v_lshlrev_b32_e32 v37, 16, v37
	s_waitcnt vmcnt(0)
	v_lshlrev_b32_e32 v38, 16, v38
	s_delay_alu instid0(VALU_DEP_1) | instskip(SKIP_1) | instid1(SALU_CYCLE_1)
	v_cmp_neq_f32_e32 vcc_lo, v38, v37
	s_and_b32 s31, vcc_lo, exec_lo
	s_or_b32 s31, s2, s31
.LBB1211_146:                           ;   in Loop: Header=BB1211_147 Depth=1
	v_dual_mov_b32 v38, s19 :: v_dual_mov_b32 v37, s18
	s_and_b32 s2, exec_lo, s31
	s_delay_alu instid0(SALU_CYCLE_1) | instskip(NEXT) | instid1(SALU_CYCLE_1)
	s_or_b32 s30, s2, s30
	s_and_not1_b32 exec_lo, exec_lo, s30
	s_cbranch_execz .LBB1211_149
.LBB1211_147:                           ; =>This Inner Loop Header: Depth=1
	s_or_b32 s31, s31, exec_lo
	s_cmp_eq_u64 s[6:7], s[18:19]
	s_cbranch_scc0 .LBB1211_145
; %bb.148:                              ;   in Loop: Header=BB1211_147 Depth=1
	s_mov_b64 s[18:19], s[22:23]
                                        ; implicit-def: $vgpr33_vgpr34
                                        ; implicit-def: $vgpr35_vgpr36
	s_branch .LBB1211_146
.LBB1211_149:
	s_set_inst_prefetch_distance 0x2
	s_or_b32 exec_lo, exec_lo, s30
	v_cmp_gt_i64_e32 vcc_lo, s[22:23], v[37:38]
	s_or_not1_b32 s2, vcc_lo, exec_lo
.LBB1211_150:
	s_or_b32 exec_lo, exec_lo, s25
.LBB1211_151:
	s_delay_alu instid0(SALU_CYCLE_1)
	s_and_b32 s25, s2, exec_lo
.LBB1211_152:
	s_or_b32 exec_lo, exec_lo, s29
	v_or_b32_e32 v33, 4, v55
	s_mov_b32 s29, exec_lo
	s_delay_alu instid0(VALU_DEP_1)
	v_cmpx_gt_u32_e64 s28, v33
	s_cbranch_execz .LBB1211_163
; %bb.153:
	v_cmp_ne_u32_e32 vcc_lo, 1, v41
	s_mov_b32 s2, 0
	s_cbranch_vccnz .LBB1211_162
; %bb.154:
	v_mul_lo_u32 v37, v22, s22
	v_mul_lo_u32 v38, v21, s23
	v_mad_u64_u32 v[33:34], null, v21, s22, 0
	v_mul_lo_u32 v39, v28, s22
	v_mul_lo_u32 v40, v27, s23
	s_waitcnt lgkmcnt(0)
	v_mad_u64_u32 v[35:36], null, v27, s22, 0
	s_mov_b32 s2, -1
	s_mov_b32 s27, exec_lo
	s_delay_alu instid0(VALU_DEP_4) | instskip(NEXT) | instid1(VALU_DEP_2)
	v_add3_u32 v34, v34, v38, v37
	v_add3_u32 v36, v36, v40, v39
	s_delay_alu instid0(VALU_DEP_2) | instskip(NEXT) | instid1(VALU_DEP_2)
	v_lshlrev_b64 v[33:34], 1, v[33:34]
	v_lshlrev_b64 v[35:36], 1, v[35:36]
	s_delay_alu instid0(VALU_DEP_2) | instskip(NEXT) | instid1(VALU_DEP_3)
	v_add_co_u32 v33, vcc_lo, s8, v33
	v_add_co_ci_u32_e32 v34, vcc_lo, s9, v34, vcc_lo
	s_delay_alu instid0(VALU_DEP_3) | instskip(NEXT) | instid1(VALU_DEP_4)
	v_add_co_u32 v35, vcc_lo, s8, v35
	v_add_co_ci_u32_e32 v36, vcc_lo, s9, v36, vcc_lo
	s_clause 0x1
	global_load_u16 v37, v[33:34], off
	global_load_u16 v38, v[35:36], off
	s_waitcnt vmcnt(1)
	v_lshlrev_b32_e32 v37, 16, v37
	s_waitcnt vmcnt(0)
	v_lshlrev_b32_e32 v38, 16, v38
	s_delay_alu instid0(VALU_DEP_1)
	v_cmpx_eq_f32_e32 v38, v37
	s_cbranch_execz .LBB1211_161
; %bb.155:
	v_add_co_u32 v33, vcc_lo, v33, 2
	v_add_co_ci_u32_e32 v34, vcc_lo, 0, v34, vcc_lo
	v_add_co_u32 v35, vcc_lo, v35, 2
	v_add_co_ci_u32_e32 v36, vcc_lo, 0, v36, vcc_lo
	s_add_u32 s6, s22, -1
	s_addc_u32 s7, s23, -1
	s_mov_b64 s[18:19], 0
	s_mov_b32 s30, 0
                                        ; implicit-def: $sgpr31
	s_set_inst_prefetch_distance 0x1
	s_branch .LBB1211_158
	.p2align	6
.LBB1211_156:                           ;   in Loop: Header=BB1211_158 Depth=1
	global_load_u16 v37, v[33:34], off
	global_load_u16 v38, v[35:36], off
	v_add_co_u32 v33, vcc_lo, v33, 2
	v_add_co_ci_u32_e32 v34, vcc_lo, 0, v34, vcc_lo
	v_add_co_u32 v35, s2, v35, 2
	s_delay_alu instid0(VALU_DEP_1)
	v_add_co_ci_u32_e64 v36, s2, 0, v36, s2
	s_add_u32 s18, s18, 1
	s_addc_u32 s19, s19, 0
	s_and_not1_b32 s2, s31, exec_lo
	s_waitcnt vmcnt(1)
	v_lshlrev_b32_e32 v37, 16, v37
	s_waitcnt vmcnt(0)
	v_lshlrev_b32_e32 v38, 16, v38
	s_delay_alu instid0(VALU_DEP_1) | instskip(SKIP_1) | instid1(SALU_CYCLE_1)
	v_cmp_neq_f32_e32 vcc_lo, v38, v37
	s_and_b32 s31, vcc_lo, exec_lo
	s_or_b32 s31, s2, s31
.LBB1211_157:                           ;   in Loop: Header=BB1211_158 Depth=1
	v_dual_mov_b32 v38, s19 :: v_dual_mov_b32 v37, s18
	s_and_b32 s2, exec_lo, s31
	s_delay_alu instid0(SALU_CYCLE_1) | instskip(NEXT) | instid1(SALU_CYCLE_1)
	s_or_b32 s30, s2, s30
	s_and_not1_b32 exec_lo, exec_lo, s30
	s_cbranch_execz .LBB1211_160
.LBB1211_158:                           ; =>This Inner Loop Header: Depth=1
	s_or_b32 s31, s31, exec_lo
	s_cmp_eq_u64 s[6:7], s[18:19]
	s_cbranch_scc0 .LBB1211_156
; %bb.159:                              ;   in Loop: Header=BB1211_158 Depth=1
	s_mov_b64 s[18:19], s[22:23]
                                        ; implicit-def: $vgpr33_vgpr34
                                        ; implicit-def: $vgpr35_vgpr36
	s_branch .LBB1211_157
.LBB1211_160:
	s_set_inst_prefetch_distance 0x2
	s_or_b32 exec_lo, exec_lo, s30
	v_cmp_gt_i64_e32 vcc_lo, s[22:23], v[37:38]
	s_or_not1_b32 s2, vcc_lo, exec_lo
.LBB1211_161:
	s_or_b32 exec_lo, exec_lo, s27
.LBB1211_162:
	s_delay_alu instid0(SALU_CYCLE_1)
	s_and_b32 s27, s2, exec_lo
.LBB1211_163:
	s_or_b32 exec_lo, exec_lo, s29
	v_or_b32_e32 v33, 3, v55
	s_mov_b32 s30, 0
	s_mov_b32 s29, 0
	s_mov_b32 s31, exec_lo
	s_delay_alu instid0(VALU_DEP_1)
	v_cmpx_gt_u32_e64 s28, v33
	s_cbranch_execz .LBB1211_174
; %bb.164:
	v_cmp_ne_u32_e32 vcc_lo, 1, v41
	s_mov_b32 s2, 0
	s_cbranch_vccnz .LBB1211_173
; %bb.165:
	v_mul_lo_u32 v37, v28, s22
	v_mul_lo_u32 v38, v27, s23
	v_mad_u64_u32 v[33:34], null, v27, s22, 0
	v_mul_lo_u32 v39, v26, s22
	v_mul_lo_u32 v40, v25, s23
	s_waitcnt lgkmcnt(0)
	v_mad_u64_u32 v[35:36], null, v25, s22, 0
	s_mov_b32 s2, -1
	s_mov_b32 s29, exec_lo
	s_delay_alu instid0(VALU_DEP_4) | instskip(NEXT) | instid1(VALU_DEP_2)
	v_add3_u32 v34, v34, v38, v37
	v_add3_u32 v36, v36, v40, v39
	s_delay_alu instid0(VALU_DEP_2) | instskip(NEXT) | instid1(VALU_DEP_2)
	v_lshlrev_b64 v[33:34], 1, v[33:34]
	v_lshlrev_b64 v[35:36], 1, v[35:36]
	s_delay_alu instid0(VALU_DEP_2) | instskip(NEXT) | instid1(VALU_DEP_3)
	v_add_co_u32 v33, vcc_lo, s8, v33
	v_add_co_ci_u32_e32 v34, vcc_lo, s9, v34, vcc_lo
	s_delay_alu instid0(VALU_DEP_3) | instskip(NEXT) | instid1(VALU_DEP_4)
	v_add_co_u32 v35, vcc_lo, s8, v35
	v_add_co_ci_u32_e32 v36, vcc_lo, s9, v36, vcc_lo
	s_clause 0x1
	global_load_u16 v37, v[33:34], off
	global_load_u16 v38, v[35:36], off
	s_waitcnt vmcnt(1)
	v_lshlrev_b32_e32 v37, 16, v37
	s_waitcnt vmcnt(0)
	v_lshlrev_b32_e32 v38, 16, v38
	s_delay_alu instid0(VALU_DEP_1)
	v_cmpx_eq_f32_e32 v38, v37
	s_cbranch_execz .LBB1211_172
; %bb.166:
	v_add_co_u32 v33, vcc_lo, v33, 2
	v_add_co_ci_u32_e32 v34, vcc_lo, 0, v34, vcc_lo
	v_add_co_u32 v35, vcc_lo, v35, 2
	v_add_co_ci_u32_e32 v36, vcc_lo, 0, v36, vcc_lo
	s_add_u32 s6, s22, -1
	s_addc_u32 s7, s23, -1
	s_mov_b64 s[18:19], 0
	s_mov_b32 s33, 0
                                        ; implicit-def: $sgpr34
	s_set_inst_prefetch_distance 0x1
	s_branch .LBB1211_169
	.p2align	6
.LBB1211_167:                           ;   in Loop: Header=BB1211_169 Depth=1
	global_load_u16 v37, v[33:34], off
	global_load_u16 v38, v[35:36], off
	v_add_co_u32 v33, vcc_lo, v33, 2
	v_add_co_ci_u32_e32 v34, vcc_lo, 0, v34, vcc_lo
	v_add_co_u32 v35, s2, v35, 2
	s_delay_alu instid0(VALU_DEP_1)
	v_add_co_ci_u32_e64 v36, s2, 0, v36, s2
	s_add_u32 s18, s18, 1
	s_addc_u32 s19, s19, 0
	s_and_not1_b32 s2, s34, exec_lo
	s_waitcnt vmcnt(1)
	v_lshlrev_b32_e32 v37, 16, v37
	s_waitcnt vmcnt(0)
	v_lshlrev_b32_e32 v38, 16, v38
	s_delay_alu instid0(VALU_DEP_1) | instskip(SKIP_1) | instid1(SALU_CYCLE_1)
	v_cmp_neq_f32_e32 vcc_lo, v38, v37
	s_and_b32 s34, vcc_lo, exec_lo
	s_or_b32 s34, s2, s34
.LBB1211_168:                           ;   in Loop: Header=BB1211_169 Depth=1
	v_dual_mov_b32 v38, s19 :: v_dual_mov_b32 v37, s18
	s_and_b32 s2, exec_lo, s34
	s_delay_alu instid0(SALU_CYCLE_1) | instskip(NEXT) | instid1(SALU_CYCLE_1)
	s_or_b32 s33, s2, s33
	s_and_not1_b32 exec_lo, exec_lo, s33
	s_cbranch_execz .LBB1211_171
.LBB1211_169:                           ; =>This Inner Loop Header: Depth=1
	s_or_b32 s34, s34, exec_lo
	s_cmp_eq_u64 s[6:7], s[18:19]
	s_cbranch_scc0 .LBB1211_167
; %bb.170:                              ;   in Loop: Header=BB1211_169 Depth=1
	s_mov_b64 s[18:19], s[22:23]
                                        ; implicit-def: $vgpr33_vgpr34
                                        ; implicit-def: $vgpr35_vgpr36
	s_branch .LBB1211_168
.LBB1211_171:
	s_set_inst_prefetch_distance 0x2
	s_or_b32 exec_lo, exec_lo, s33
	v_cmp_gt_i64_e32 vcc_lo, s[22:23], v[37:38]
	s_or_not1_b32 s2, vcc_lo, exec_lo
.LBB1211_172:
	s_or_b32 exec_lo, exec_lo, s29
.LBB1211_173:
	s_delay_alu instid0(SALU_CYCLE_1)
	s_and_b32 s29, s2, exec_lo
.LBB1211_174:
	s_or_b32 exec_lo, exec_lo, s31
	v_or_b32_e32 v33, 2, v55
	s_mov_b32 s31, exec_lo
	s_delay_alu instid0(VALU_DEP_1)
	v_cmpx_gt_u32_e64 s28, v33
	s_cbranch_execz .LBB1211_185
; %bb.175:
	v_cmp_ne_u32_e32 vcc_lo, 1, v41
	s_mov_b32 s2, 0
	s_cbranch_vccnz .LBB1211_184
; %bb.176:
	v_mul_lo_u32 v37, v26, s22
	v_mul_lo_u32 v38, v25, s23
	v_mad_u64_u32 v[33:34], null, v25, s22, 0
	v_mul_lo_u32 v39, v32, s22
	v_mul_lo_u32 v40, v31, s23
	s_waitcnt lgkmcnt(0)
	v_mad_u64_u32 v[35:36], null, v31, s22, 0
	s_mov_b32 s2, -1
	s_mov_b32 s30, exec_lo
	s_delay_alu instid0(VALU_DEP_4) | instskip(NEXT) | instid1(VALU_DEP_2)
	v_add3_u32 v34, v34, v38, v37
	v_add3_u32 v36, v36, v40, v39
	s_delay_alu instid0(VALU_DEP_2) | instskip(NEXT) | instid1(VALU_DEP_2)
	v_lshlrev_b64 v[33:34], 1, v[33:34]
	v_lshlrev_b64 v[35:36], 1, v[35:36]
	s_delay_alu instid0(VALU_DEP_2) | instskip(NEXT) | instid1(VALU_DEP_3)
	v_add_co_u32 v33, vcc_lo, s8, v33
	v_add_co_ci_u32_e32 v34, vcc_lo, s9, v34, vcc_lo
	s_delay_alu instid0(VALU_DEP_3) | instskip(NEXT) | instid1(VALU_DEP_4)
	v_add_co_u32 v35, vcc_lo, s8, v35
	v_add_co_ci_u32_e32 v36, vcc_lo, s9, v36, vcc_lo
	s_clause 0x1
	global_load_u16 v37, v[33:34], off
	global_load_u16 v38, v[35:36], off
	s_waitcnt vmcnt(1)
	v_lshlrev_b32_e32 v37, 16, v37
	s_waitcnt vmcnt(0)
	v_lshlrev_b32_e32 v38, 16, v38
	s_delay_alu instid0(VALU_DEP_1)
	v_cmpx_eq_f32_e32 v38, v37
	s_cbranch_execz .LBB1211_183
; %bb.177:
	v_add_co_u32 v33, vcc_lo, v33, 2
	v_add_co_ci_u32_e32 v34, vcc_lo, 0, v34, vcc_lo
	v_add_co_u32 v35, vcc_lo, v35, 2
	v_add_co_ci_u32_e32 v36, vcc_lo, 0, v36, vcc_lo
	s_add_u32 s6, s22, -1
	s_addc_u32 s7, s23, -1
	s_mov_b64 s[18:19], 0
	s_mov_b32 s33, 0
                                        ; implicit-def: $sgpr34
	s_set_inst_prefetch_distance 0x1
	s_branch .LBB1211_180
	.p2align	6
.LBB1211_178:                           ;   in Loop: Header=BB1211_180 Depth=1
	global_load_u16 v37, v[33:34], off
	global_load_u16 v38, v[35:36], off
	v_add_co_u32 v33, vcc_lo, v33, 2
	v_add_co_ci_u32_e32 v34, vcc_lo, 0, v34, vcc_lo
	v_add_co_u32 v35, s2, v35, 2
	s_delay_alu instid0(VALU_DEP_1)
	v_add_co_ci_u32_e64 v36, s2, 0, v36, s2
	s_add_u32 s18, s18, 1
	s_addc_u32 s19, s19, 0
	s_and_not1_b32 s2, s34, exec_lo
	s_waitcnt vmcnt(1)
	v_lshlrev_b32_e32 v37, 16, v37
	s_waitcnt vmcnt(0)
	v_lshlrev_b32_e32 v38, 16, v38
	s_delay_alu instid0(VALU_DEP_1) | instskip(SKIP_1) | instid1(SALU_CYCLE_1)
	v_cmp_neq_f32_e32 vcc_lo, v38, v37
	s_and_b32 s34, vcc_lo, exec_lo
	s_or_b32 s34, s2, s34
.LBB1211_179:                           ;   in Loop: Header=BB1211_180 Depth=1
	v_dual_mov_b32 v38, s19 :: v_dual_mov_b32 v37, s18
	s_and_b32 s2, exec_lo, s34
	s_delay_alu instid0(SALU_CYCLE_1) | instskip(NEXT) | instid1(SALU_CYCLE_1)
	s_or_b32 s33, s2, s33
	s_and_not1_b32 exec_lo, exec_lo, s33
	s_cbranch_execz .LBB1211_182
.LBB1211_180:                           ; =>This Inner Loop Header: Depth=1
	s_or_b32 s34, s34, exec_lo
	s_cmp_eq_u64 s[6:7], s[18:19]
	s_cbranch_scc0 .LBB1211_178
; %bb.181:                              ;   in Loop: Header=BB1211_180 Depth=1
	s_mov_b64 s[18:19], s[22:23]
                                        ; implicit-def: $vgpr33_vgpr34
                                        ; implicit-def: $vgpr35_vgpr36
	s_branch .LBB1211_179
.LBB1211_182:
	s_set_inst_prefetch_distance 0x2
	s_or_b32 exec_lo, exec_lo, s33
	v_cmp_gt_i64_e32 vcc_lo, s[22:23], v[37:38]
	s_or_not1_b32 s2, vcc_lo, exec_lo
.LBB1211_183:
	s_or_b32 exec_lo, exec_lo, s30
.LBB1211_184:
	s_delay_alu instid0(SALU_CYCLE_1)
	s_and_b32 s30, s2, exec_lo
.LBB1211_185:
	s_or_b32 exec_lo, exec_lo, s31
	v_or_b32_e32 v33, 1, v55
	s_mov_b32 s2, 0
	s_mov_b32 s31, exec_lo
	s_delay_alu instid0(VALU_DEP_1)
	v_cmpx_gt_u32_e64 s28, v33
	s_cbranch_execz .LBB1211_196
; %bb.186:
	v_cmp_ne_u32_e32 vcc_lo, 1, v41
	s_cbranch_vccnz .LBB1211_195
; %bb.187:
	v_mul_lo_u32 v37, v32, s22
	v_mul_lo_u32 v38, v31, s23
	v_mad_u64_u32 v[33:34], null, v31, s22, 0
	v_mul_lo_u32 v39, v30, s22
	v_mul_lo_u32 v40, v29, s23
	s_waitcnt lgkmcnt(0)
	v_mad_u64_u32 v[35:36], null, v29, s22, 0
	s_mov_b32 s2, -1
	s_mov_b32 s33, exec_lo
	s_delay_alu instid0(VALU_DEP_4) | instskip(NEXT) | instid1(VALU_DEP_2)
	v_add3_u32 v34, v34, v38, v37
	v_add3_u32 v36, v36, v40, v39
	s_delay_alu instid0(VALU_DEP_2) | instskip(NEXT) | instid1(VALU_DEP_2)
	v_lshlrev_b64 v[33:34], 1, v[33:34]
	v_lshlrev_b64 v[35:36], 1, v[35:36]
	s_delay_alu instid0(VALU_DEP_2) | instskip(NEXT) | instid1(VALU_DEP_3)
	v_add_co_u32 v33, vcc_lo, s8, v33
	v_add_co_ci_u32_e32 v34, vcc_lo, s9, v34, vcc_lo
	s_delay_alu instid0(VALU_DEP_3) | instskip(NEXT) | instid1(VALU_DEP_4)
	v_add_co_u32 v35, vcc_lo, s8, v35
	v_add_co_ci_u32_e32 v36, vcc_lo, s9, v36, vcc_lo
	s_clause 0x1
	global_load_u16 v37, v[33:34], off
	global_load_u16 v38, v[35:36], off
	s_waitcnt vmcnt(1)
	v_lshlrev_b32_e32 v37, 16, v37
	s_waitcnt vmcnt(0)
	v_lshlrev_b32_e32 v38, 16, v38
	s_delay_alu instid0(VALU_DEP_1)
	v_cmpx_eq_f32_e32 v38, v37
	s_cbranch_execz .LBB1211_194
; %bb.188:
	v_add_co_u32 v33, vcc_lo, v33, 2
	v_add_co_ci_u32_e32 v34, vcc_lo, 0, v34, vcc_lo
	v_add_co_u32 v35, vcc_lo, v35, 2
	v_add_co_ci_u32_e32 v36, vcc_lo, 0, v36, vcc_lo
	s_add_u32 s6, s22, -1
	s_addc_u32 s7, s23, -1
	s_mov_b64 s[18:19], 0
	s_mov_b32 s34, 0
                                        ; implicit-def: $sgpr35
	s_set_inst_prefetch_distance 0x1
	s_branch .LBB1211_191
	.p2align	6
.LBB1211_189:                           ;   in Loop: Header=BB1211_191 Depth=1
	global_load_u16 v37, v[33:34], off
	global_load_u16 v38, v[35:36], off
	v_add_co_u32 v33, vcc_lo, v33, 2
	v_add_co_ci_u32_e32 v34, vcc_lo, 0, v34, vcc_lo
	v_add_co_u32 v35, s2, v35, 2
	s_delay_alu instid0(VALU_DEP_1)
	v_add_co_ci_u32_e64 v36, s2, 0, v36, s2
	s_add_u32 s18, s18, 1
	s_addc_u32 s19, s19, 0
	s_and_not1_b32 s2, s35, exec_lo
	s_waitcnt vmcnt(1)
	v_lshlrev_b32_e32 v37, 16, v37
	s_waitcnt vmcnt(0)
	v_lshlrev_b32_e32 v38, 16, v38
	s_delay_alu instid0(VALU_DEP_1) | instskip(SKIP_1) | instid1(SALU_CYCLE_1)
	v_cmp_neq_f32_e32 vcc_lo, v38, v37
	s_and_b32 s35, vcc_lo, exec_lo
	s_or_b32 s35, s2, s35
.LBB1211_190:                           ;   in Loop: Header=BB1211_191 Depth=1
	v_dual_mov_b32 v38, s19 :: v_dual_mov_b32 v37, s18
	s_and_b32 s2, exec_lo, s35
	s_delay_alu instid0(SALU_CYCLE_1) | instskip(NEXT) | instid1(SALU_CYCLE_1)
	s_or_b32 s34, s2, s34
	s_and_not1_b32 exec_lo, exec_lo, s34
	s_cbranch_execz .LBB1211_193
.LBB1211_191:                           ; =>This Inner Loop Header: Depth=1
	s_or_b32 s35, s35, exec_lo
	s_cmp_eq_u64 s[6:7], s[18:19]
	s_cbranch_scc0 .LBB1211_189
; %bb.192:                              ;   in Loop: Header=BB1211_191 Depth=1
	s_mov_b64 s[18:19], s[22:23]
                                        ; implicit-def: $vgpr33_vgpr34
                                        ; implicit-def: $vgpr35_vgpr36
	s_branch .LBB1211_190
.LBB1211_193:
	s_set_inst_prefetch_distance 0x2
	s_or_b32 exec_lo, exec_lo, s34
	v_cmp_gt_i64_e32 vcc_lo, s[22:23], v[37:38]
	s_or_not1_b32 s2, vcc_lo, exec_lo
.LBB1211_194:
	s_or_b32 exec_lo, exec_lo, s33
.LBB1211_195:
	s_delay_alu instid0(SALU_CYCLE_1)
	s_and_b32 s2, s2, exec_lo
.LBB1211_196:
	s_or_b32 exec_lo, exec_lo, s31
	s_waitcnt lgkmcnt(0)
	v_dual_mov_b32 v34, s5 :: v_dual_mov_b32 v33, s4
	s_mov_b32 s4, exec_lo
	s_barrier
	buffer_gl0_inv
	v_cmpx_ne_u32_e32 0, v0
	s_cbranch_execz .LBB1211_198
; %bb.197:
	v_add_nc_u32_e32 v33, -8, v55
	ds_load_b64 v[33:34], v33
.LBB1211_198:
	s_or_b32 exec_lo, exec_lo, s4
	v_cndmask_b32_e64 v36, 0, 1, s29
	v_cndmask_b32_e64 v38, 0, 1, s25
	;; [unrolled: 1-line block ×7, first 2 shown]
	v_lshlrev_b16 v36, 8, v36
	v_lshlrev_b16 v38, 8, v38
	;; [unrolled: 1-line block ×3, first 2 shown]
	s_mov_b32 s2, 0
	v_lshlrev_b16 v42, 8, v42
	v_or_b32_e32 v35, v35, v36
	v_or_b32_e32 v36, v37, v38
	;; [unrolled: 1-line block ×3, first 2 shown]
	s_mov_b32 s3, exec_lo
	v_and_b32_e32 v39, 0xffff, v42
	v_lshlrev_b32_e32 v40, 16, v35
	v_and_b32_e32 v42, 0xffff, v36
	v_lshlrev_b32_e32 v43, 16, v37
	v_cmpx_gt_u32_e64 s28, v55
	s_cbranch_execz .LBB1211_209
; %bb.199:
	v_cmp_ne_u32_e32 vcc_lo, 1, v41
	s_cbranch_vccnz .LBB1211_208
; %bb.200:
	v_mul_lo_u32 v41, v30, s22
	v_mul_lo_u32 v44, v29, s23
	v_mad_u64_u32 v[35:36], null, v29, s22, 0
	s_waitcnt lgkmcnt(0)
	v_mul_lo_u32 v34, v34, s22
	v_mul_lo_u32 v45, v33, s23
	v_mad_u64_u32 v[37:38], null, v33, s22, 0
	s_mov_b32 s2, -1
	s_mov_b32 s18, exec_lo
	s_delay_alu instid0(VALU_DEP_4) | instskip(NEXT) | instid1(VALU_DEP_2)
	v_add3_u32 v36, v36, v44, v41
	v_add3_u32 v38, v38, v45, v34
	s_delay_alu instid0(VALU_DEP_2) | instskip(NEXT) | instid1(VALU_DEP_2)
	v_lshlrev_b64 v[33:34], 1, v[35:36]
	v_lshlrev_b64 v[35:36], 1, v[37:38]
	s_delay_alu instid0(VALU_DEP_2) | instskip(NEXT) | instid1(VALU_DEP_3)
	v_add_co_u32 v33, vcc_lo, s8, v33
	v_add_co_ci_u32_e32 v34, vcc_lo, s9, v34, vcc_lo
	s_delay_alu instid0(VALU_DEP_3) | instskip(NEXT) | instid1(VALU_DEP_4)
	v_add_co_u32 v35, vcc_lo, s8, v35
	v_add_co_ci_u32_e32 v36, vcc_lo, s9, v36, vcc_lo
	s_clause 0x1
	global_load_u16 v37, v[33:34], off
	global_load_u16 v38, v[35:36], off
	s_waitcnt vmcnt(1)
	v_lshlrev_b32_e32 v37, 16, v37
	s_waitcnt vmcnt(0)
	v_lshlrev_b32_e32 v38, 16, v38
	s_delay_alu instid0(VALU_DEP_1)
	v_cmpx_eq_f32_e32 v38, v37
	s_cbranch_execz .LBB1211_207
; %bb.201:
	v_add_co_u32 v33, vcc_lo, v33, 2
	v_add_co_ci_u32_e32 v34, vcc_lo, 0, v34, vcc_lo
	v_add_co_u32 v35, vcc_lo, v35, 2
	v_add_co_ci_u32_e32 v36, vcc_lo, 0, v36, vcc_lo
	s_add_u32 s4, s22, -1
	s_addc_u32 s5, s23, -1
	s_mov_b64 s[6:7], 0
	s_mov_b32 s19, 0
                                        ; implicit-def: $sgpr25
	s_set_inst_prefetch_distance 0x1
	s_branch .LBB1211_204
	.p2align	6
.LBB1211_202:                           ;   in Loop: Header=BB1211_204 Depth=1
	global_load_u16 v37, v[33:34], off
	global_load_u16 v38, v[35:36], off
	v_add_co_u32 v33, vcc_lo, v33, 2
	v_add_co_ci_u32_e32 v34, vcc_lo, 0, v34, vcc_lo
	v_add_co_u32 v35, s2, v35, 2
	s_delay_alu instid0(VALU_DEP_1)
	v_add_co_ci_u32_e64 v36, s2, 0, v36, s2
	s_add_u32 s6, s6, 1
	s_addc_u32 s7, s7, 0
	s_and_not1_b32 s2, s25, exec_lo
	s_waitcnt vmcnt(1)
	v_lshlrev_b32_e32 v37, 16, v37
	s_waitcnt vmcnt(0)
	v_lshlrev_b32_e32 v38, 16, v38
	s_delay_alu instid0(VALU_DEP_1) | instskip(SKIP_1) | instid1(SALU_CYCLE_1)
	v_cmp_neq_f32_e32 vcc_lo, v38, v37
	s_and_b32 s25, vcc_lo, exec_lo
	s_or_b32 s25, s2, s25
.LBB1211_203:                           ;   in Loop: Header=BB1211_204 Depth=1
	v_dual_mov_b32 v38, s7 :: v_dual_mov_b32 v37, s6
	s_and_b32 s2, exec_lo, s25
	s_delay_alu instid0(SALU_CYCLE_1) | instskip(NEXT) | instid1(SALU_CYCLE_1)
	s_or_b32 s19, s2, s19
	s_and_not1_b32 exec_lo, exec_lo, s19
	s_cbranch_execz .LBB1211_206
.LBB1211_204:                           ; =>This Inner Loop Header: Depth=1
	s_or_b32 s25, s25, exec_lo
	s_cmp_eq_u64 s[4:5], s[6:7]
	s_cbranch_scc0 .LBB1211_202
; %bb.205:                              ;   in Loop: Header=BB1211_204 Depth=1
	s_mov_b64 s[6:7], s[22:23]
                                        ; implicit-def: $vgpr33_vgpr34
                                        ; implicit-def: $vgpr35_vgpr36
	s_branch .LBB1211_203
.LBB1211_206:
	s_set_inst_prefetch_distance 0x2
	s_or_b32 exec_lo, exec_lo, s19
	v_cmp_gt_i64_e32 vcc_lo, s[22:23], v[37:38]
	s_or_not1_b32 s2, vcc_lo, exec_lo
.LBB1211_207:
	s_or_b32 exec_lo, exec_lo, s18
.LBB1211_208:
	s_delay_alu instid0(SALU_CYCLE_1)
	s_and_b32 s2, s2, exec_lo
.LBB1211_209:
	s_or_b32 exec_lo, exec_lo, s3
	s_waitcnt lgkmcnt(0)
	v_or_b32_e32 v33, v39, v40
	v_or_b32_e32 v34, v42, v43
.LBB1211_210:
	s_waitcnt lgkmcnt(0)
	s_mov_b32 s3, -1
	s_cbranch_execnz .LBB1211_379
.LBB1211_211:
	v_cmp_gt_i64_e64 s18, s[22:23], 0
	s_and_b32 vcc_lo, exec_lo, s20
	ds_store_b64 v55, v[19:20]
	s_cbranch_vccz .LBB1211_219
; %bb.212:
	v_mul_lo_u32 v35, v18, s22
	v_mul_lo_u32 v36, v17, s23
	v_mad_u64_u32 v[33:34], null, v17, s22, 0
	s_mov_b32 s19, 0
	s_and_not1_b32 vcc_lo, exec_lo, s18
	s_mov_b32 s25, 0
	s_delay_alu instid0(VALU_DEP_1) | instskip(NEXT) | instid1(VALU_DEP_1)
	v_add3_u32 v34, v34, v36, v35
	v_lshlrev_b64 v[33:34], 1, v[33:34]
	s_cbranch_vccnz .LBB1211_222
; %bb.213:
	v_mul_lo_u32 v37, v20, s22
	v_mul_lo_u32 v38, v19, s23
	v_mad_u64_u32 v[35:36], null, v19, s22, 0
	s_mov_b32 s25, -1
	s_mov_b32 s26, exec_lo
	s_delay_alu instid0(VALU_DEP_1) | instskip(NEXT) | instid1(VALU_DEP_1)
	v_add3_u32 v36, v36, v38, v37
	v_lshlrev_b64 v[35:36], 1, v[35:36]
	s_delay_alu instid0(VALU_DEP_1) | instskip(NEXT) | instid1(VALU_DEP_2)
	v_add_co_u32 v35, vcc_lo, s8, v35
	v_add_co_ci_u32_e32 v36, vcc_lo, s9, v36, vcc_lo
	v_add_co_u32 v37, vcc_lo, s8, v33
	v_add_co_ci_u32_e32 v38, vcc_lo, s9, v34, vcc_lo
	s_clause 0x1
	global_load_u16 v39, v[35:36], off
	global_load_u16 v40, v[37:38], off
	s_waitcnt vmcnt(1)
	v_lshlrev_b32_e32 v39, 16, v39
	s_waitcnt vmcnt(0)
	v_lshlrev_b32_e32 v40, 16, v40
	s_delay_alu instid0(VALU_DEP_1)
	v_cmpx_eq_f32_e32 v40, v39
	s_cbranch_execz .LBB1211_221
; %bb.214:
	v_add_co_u32 v35, vcc_lo, v35, 2
	v_add_co_ci_u32_e32 v36, vcc_lo, 0, v36, vcc_lo
	v_add_co_u32 v37, vcc_lo, v37, 2
	v_add_co_ci_u32_e32 v38, vcc_lo, 0, v38, vcc_lo
	s_add_u32 s4, s22, -1
	s_addc_u32 s5, s23, -1
	s_mov_b64 s[6:7], 0
	s_mov_b32 s25, 0
                                        ; implicit-def: $sgpr27
	s_set_inst_prefetch_distance 0x1
	s_branch .LBB1211_217
	.p2align	6
.LBB1211_215:                           ;   in Loop: Header=BB1211_217 Depth=1
	global_load_u16 v39, v[35:36], off
	global_load_u16 v40, v[37:38], off
	v_add_co_u32 v35, vcc_lo, v35, 2
	v_add_co_ci_u32_e32 v36, vcc_lo, 0, v36, vcc_lo
	v_add_co_u32 v37, s2, v37, 2
	s_delay_alu instid0(VALU_DEP_1)
	v_add_co_ci_u32_e64 v38, s2, 0, v38, s2
	s_add_u32 s6, s6, 1
	s_addc_u32 s7, s7, 0
	s_and_not1_b32 s2, s27, exec_lo
	s_waitcnt vmcnt(1)
	v_lshlrev_b32_e32 v39, 16, v39
	s_waitcnt vmcnt(0)
	v_lshlrev_b32_e32 v40, 16, v40
	s_delay_alu instid0(VALU_DEP_1) | instskip(SKIP_1) | instid1(SALU_CYCLE_1)
	v_cmp_neq_f32_e32 vcc_lo, v40, v39
	s_and_b32 s27, vcc_lo, exec_lo
	s_or_b32 s27, s2, s27
.LBB1211_216:                           ;   in Loop: Header=BB1211_217 Depth=1
	v_dual_mov_b32 v40, s7 :: v_dual_mov_b32 v39, s6
	s_and_b32 s2, exec_lo, s27
	s_delay_alu instid0(SALU_CYCLE_1) | instskip(NEXT) | instid1(SALU_CYCLE_1)
	s_or_b32 s25, s2, s25
	s_and_not1_b32 exec_lo, exec_lo, s25
	s_cbranch_execz .LBB1211_220
.LBB1211_217:                           ; =>This Inner Loop Header: Depth=1
	s_or_b32 s27, s27, exec_lo
	s_cmp_eq_u64 s[4:5], s[6:7]
	s_cbranch_scc0 .LBB1211_215
; %bb.218:                              ;   in Loop: Header=BB1211_217 Depth=1
	s_mov_b64 s[6:7], s[22:23]
                                        ; implicit-def: $vgpr35_vgpr36
                                        ; implicit-def: $vgpr37_vgpr38
	s_branch .LBB1211_216
.LBB1211_219:
                                        ; implicit-def: $sgpr2
                                        ; implicit-def: $vgpr34
	s_cbranch_execnz .LBB1211_288
	s_branch .LBB1211_379
.LBB1211_220:
	s_set_inst_prefetch_distance 0x2
	s_or_b32 exec_lo, exec_lo, s25
	v_cmp_gt_i64_e32 vcc_lo, s[22:23], v[39:40]
	s_or_not1_b32 s25, vcc_lo, exec_lo
.LBB1211_221:
	s_or_b32 exec_lo, exec_lo, s26
.LBB1211_222:
	v_mul_lo_u32 v37, v24, s22
	v_mul_lo_u32 v38, v23, s23
	v_mad_u64_u32 v[35:36], null, v23, s22, 0
	s_and_not1_b32 vcc_lo, exec_lo, s18
	s_delay_alu instid0(VALU_DEP_1) | instskip(NEXT) | instid1(VALU_DEP_1)
	v_add3_u32 v36, v36, v38, v37
	v_lshlrev_b64 v[35:36], 1, v[35:36]
	s_cbranch_vccnz .LBB1211_231
; %bb.223:
	v_add_co_u32 v33, vcc_lo, s8, v33
	v_add_co_ci_u32_e32 v34, vcc_lo, s9, v34, vcc_lo
	s_delay_alu instid0(VALU_DEP_3) | instskip(NEXT) | instid1(VALU_DEP_4)
	v_add_co_u32 v37, vcc_lo, s8, v35
	v_add_co_ci_u32_e32 v38, vcc_lo, s9, v36, vcc_lo
	s_mov_b32 s19, -1
	s_clause 0x1
	global_load_u16 v39, v[33:34], off
	global_load_u16 v40, v[37:38], off
	s_mov_b32 s26, exec_lo
	s_waitcnt vmcnt(1)
	v_lshlrev_b32_e32 v39, 16, v39
	s_waitcnt vmcnt(0)
	v_lshlrev_b32_e32 v40, 16, v40
	s_delay_alu instid0(VALU_DEP_1)
	v_cmpx_eq_f32_e32 v40, v39
	s_cbranch_execz .LBB1211_230
; %bb.224:
	v_add_co_u32 v33, vcc_lo, v33, 2
	v_add_co_ci_u32_e32 v34, vcc_lo, 0, v34, vcc_lo
	v_add_co_u32 v37, vcc_lo, v37, 2
	v_add_co_ci_u32_e32 v38, vcc_lo, 0, v38, vcc_lo
	s_add_u32 s4, s22, -1
	s_addc_u32 s5, s23, -1
	s_mov_b64 s[6:7], 0
	s_mov_b32 s19, 0
                                        ; implicit-def: $sgpr27
	s_set_inst_prefetch_distance 0x1
	s_branch .LBB1211_227
	.p2align	6
.LBB1211_225:                           ;   in Loop: Header=BB1211_227 Depth=1
	global_load_u16 v39, v[33:34], off
	global_load_u16 v40, v[37:38], off
	v_add_co_u32 v33, vcc_lo, v33, 2
	v_add_co_ci_u32_e32 v34, vcc_lo, 0, v34, vcc_lo
	v_add_co_u32 v37, s2, v37, 2
	s_delay_alu instid0(VALU_DEP_1)
	v_add_co_ci_u32_e64 v38, s2, 0, v38, s2
	s_add_u32 s6, s6, 1
	s_addc_u32 s7, s7, 0
	s_and_not1_b32 s2, s27, exec_lo
	s_waitcnt vmcnt(1)
	v_lshlrev_b32_e32 v39, 16, v39
	s_waitcnt vmcnt(0)
	v_lshlrev_b32_e32 v40, 16, v40
	s_delay_alu instid0(VALU_DEP_1) | instskip(SKIP_1) | instid1(SALU_CYCLE_1)
	v_cmp_neq_f32_e32 vcc_lo, v40, v39
	s_and_b32 s27, vcc_lo, exec_lo
	s_or_b32 s27, s2, s27
.LBB1211_226:                           ;   in Loop: Header=BB1211_227 Depth=1
	v_dual_mov_b32 v40, s7 :: v_dual_mov_b32 v39, s6
	s_and_b32 s2, exec_lo, s27
	s_delay_alu instid0(SALU_CYCLE_1) | instskip(NEXT) | instid1(SALU_CYCLE_1)
	s_or_b32 s19, s2, s19
	s_and_not1_b32 exec_lo, exec_lo, s19
	s_cbranch_execz .LBB1211_229
.LBB1211_227:                           ; =>This Inner Loop Header: Depth=1
	s_or_b32 s27, s27, exec_lo
	s_cmp_eq_u64 s[4:5], s[6:7]
	s_cbranch_scc0 .LBB1211_225
; %bb.228:                              ;   in Loop: Header=BB1211_227 Depth=1
	s_mov_b64 s[6:7], s[22:23]
                                        ; implicit-def: $vgpr33_vgpr34
                                        ; implicit-def: $vgpr37_vgpr38
	s_branch .LBB1211_226
.LBB1211_229:
	s_set_inst_prefetch_distance 0x2
	s_or_b32 exec_lo, exec_lo, s19
	v_cmp_gt_i64_e32 vcc_lo, s[22:23], v[39:40]
	s_or_not1_b32 s19, vcc_lo, exec_lo
.LBB1211_230:
	s_or_b32 exec_lo, exec_lo, s26
.LBB1211_231:
	v_mul_lo_u32 v37, v22, s22
	v_mul_lo_u32 v38, v21, s23
	v_mad_u64_u32 v[33:34], null, v21, s22, 0
	s_mov_b32 s26, 0
	s_and_not1_b32 vcc_lo, exec_lo, s18
	s_mov_b32 s27, 0
	s_delay_alu instid0(VALU_DEP_1) | instskip(NEXT) | instid1(VALU_DEP_1)
	v_add3_u32 v34, v34, v38, v37
	v_lshlrev_b64 v[37:38], 1, v[33:34]
	s_cbranch_vccnz .LBB1211_240
; %bb.232:
	v_add_co_u32 v33, vcc_lo, s8, v35
	v_add_co_ci_u32_e32 v34, vcc_lo, s9, v36, vcc_lo
	s_delay_alu instid0(VALU_DEP_3) | instskip(NEXT) | instid1(VALU_DEP_4)
	v_add_co_u32 v35, vcc_lo, s8, v37
	v_add_co_ci_u32_e32 v36, vcc_lo, s9, v38, vcc_lo
	s_mov_b32 s27, -1
	s_clause 0x1
	global_load_u16 v39, v[33:34], off
	global_load_u16 v40, v[35:36], off
	s_mov_b32 s29, exec_lo
	s_waitcnt vmcnt(1)
	v_lshlrev_b32_e32 v39, 16, v39
	s_waitcnt vmcnt(0)
	v_lshlrev_b32_e32 v40, 16, v40
	s_delay_alu instid0(VALU_DEP_1)
	v_cmpx_eq_f32_e32 v40, v39
	s_cbranch_execz .LBB1211_239
; %bb.233:
	v_add_co_u32 v33, vcc_lo, v33, 2
	v_add_co_ci_u32_e32 v34, vcc_lo, 0, v34, vcc_lo
	v_add_co_u32 v35, vcc_lo, v35, 2
	v_add_co_ci_u32_e32 v36, vcc_lo, 0, v36, vcc_lo
	s_add_u32 s4, s22, -1
	s_addc_u32 s5, s23, -1
	s_mov_b64 s[6:7], 0
	s_mov_b32 s27, 0
                                        ; implicit-def: $sgpr30
	s_set_inst_prefetch_distance 0x1
	s_branch .LBB1211_236
	.p2align	6
.LBB1211_234:                           ;   in Loop: Header=BB1211_236 Depth=1
	global_load_u16 v39, v[33:34], off
	global_load_u16 v40, v[35:36], off
	v_add_co_u32 v33, vcc_lo, v33, 2
	v_add_co_ci_u32_e32 v34, vcc_lo, 0, v34, vcc_lo
	v_add_co_u32 v35, s2, v35, 2
	s_delay_alu instid0(VALU_DEP_1)
	v_add_co_ci_u32_e64 v36, s2, 0, v36, s2
	s_add_u32 s6, s6, 1
	s_addc_u32 s7, s7, 0
	s_and_not1_b32 s2, s30, exec_lo
	s_waitcnt vmcnt(1)
	v_lshlrev_b32_e32 v39, 16, v39
	s_waitcnt vmcnt(0)
	v_lshlrev_b32_e32 v40, 16, v40
	s_delay_alu instid0(VALU_DEP_1) | instskip(SKIP_1) | instid1(SALU_CYCLE_1)
	v_cmp_neq_f32_e32 vcc_lo, v40, v39
	s_and_b32 s30, vcc_lo, exec_lo
	s_or_b32 s30, s2, s30
.LBB1211_235:                           ;   in Loop: Header=BB1211_236 Depth=1
	v_dual_mov_b32 v40, s7 :: v_dual_mov_b32 v39, s6
	s_and_b32 s2, exec_lo, s30
	s_delay_alu instid0(SALU_CYCLE_1) | instskip(NEXT) | instid1(SALU_CYCLE_1)
	s_or_b32 s27, s2, s27
	s_and_not1_b32 exec_lo, exec_lo, s27
	s_cbranch_execz .LBB1211_238
.LBB1211_236:                           ; =>This Inner Loop Header: Depth=1
	s_or_b32 s30, s30, exec_lo
	s_cmp_eq_u64 s[4:5], s[6:7]
	s_cbranch_scc0 .LBB1211_234
; %bb.237:                              ;   in Loop: Header=BB1211_236 Depth=1
	s_mov_b64 s[6:7], s[22:23]
                                        ; implicit-def: $vgpr33_vgpr34
                                        ; implicit-def: $vgpr35_vgpr36
	s_branch .LBB1211_235
.LBB1211_238:
	s_set_inst_prefetch_distance 0x2
	s_or_b32 exec_lo, exec_lo, s27
	v_cmp_gt_i64_e32 vcc_lo, s[22:23], v[39:40]
	s_or_not1_b32 s27, vcc_lo, exec_lo
.LBB1211_239:
	s_or_b32 exec_lo, exec_lo, s29
.LBB1211_240:
	v_mul_lo_u32 v35, v28, s22
	v_mul_lo_u32 v36, v27, s23
	v_mad_u64_u32 v[33:34], null, v27, s22, 0
	s_and_not1_b32 vcc_lo, exec_lo, s18
	s_delay_alu instid0(VALU_DEP_1) | instskip(NEXT) | instid1(VALU_DEP_1)
	v_add3_u32 v34, v34, v36, v35
	v_lshlrev_b64 v[33:34], 1, v[33:34]
	s_cbranch_vccnz .LBB1211_249
; %bb.241:
	v_add_co_u32 v35, vcc_lo, s8, v37
	v_add_co_ci_u32_e32 v36, vcc_lo, s9, v38, vcc_lo
	s_delay_alu instid0(VALU_DEP_3) | instskip(NEXT) | instid1(VALU_DEP_4)
	v_add_co_u32 v37, vcc_lo, s8, v33
	v_add_co_ci_u32_e32 v38, vcc_lo, s9, v34, vcc_lo
	s_mov_b32 s26, -1
	s_clause 0x1
	global_load_u16 v39, v[35:36], off
	global_load_u16 v40, v[37:38], off
	s_mov_b32 s29, exec_lo
	s_waitcnt vmcnt(1)
	v_lshlrev_b32_e32 v39, 16, v39
	s_waitcnt vmcnt(0)
	v_lshlrev_b32_e32 v40, 16, v40
	s_delay_alu instid0(VALU_DEP_1)
	v_cmpx_eq_f32_e32 v40, v39
	s_cbranch_execz .LBB1211_248
; %bb.242:
	v_add_co_u32 v35, vcc_lo, v35, 2
	v_add_co_ci_u32_e32 v36, vcc_lo, 0, v36, vcc_lo
	v_add_co_u32 v37, vcc_lo, v37, 2
	v_add_co_ci_u32_e32 v38, vcc_lo, 0, v38, vcc_lo
	s_add_u32 s4, s22, -1
	s_addc_u32 s5, s23, -1
	s_mov_b64 s[6:7], 0
	s_mov_b32 s26, 0
                                        ; implicit-def: $sgpr30
	s_set_inst_prefetch_distance 0x1
	s_branch .LBB1211_245
	.p2align	6
.LBB1211_243:                           ;   in Loop: Header=BB1211_245 Depth=1
	global_load_u16 v39, v[35:36], off
	global_load_u16 v40, v[37:38], off
	v_add_co_u32 v35, vcc_lo, v35, 2
	v_add_co_ci_u32_e32 v36, vcc_lo, 0, v36, vcc_lo
	v_add_co_u32 v37, s2, v37, 2
	s_delay_alu instid0(VALU_DEP_1)
	v_add_co_ci_u32_e64 v38, s2, 0, v38, s2
	s_add_u32 s6, s6, 1
	s_addc_u32 s7, s7, 0
	s_and_not1_b32 s2, s30, exec_lo
	s_waitcnt vmcnt(1)
	v_lshlrev_b32_e32 v39, 16, v39
	s_waitcnt vmcnt(0)
	v_lshlrev_b32_e32 v40, 16, v40
	s_delay_alu instid0(VALU_DEP_1) | instskip(SKIP_1) | instid1(SALU_CYCLE_1)
	v_cmp_neq_f32_e32 vcc_lo, v40, v39
	s_and_b32 s30, vcc_lo, exec_lo
	s_or_b32 s30, s2, s30
.LBB1211_244:                           ;   in Loop: Header=BB1211_245 Depth=1
	v_dual_mov_b32 v40, s7 :: v_dual_mov_b32 v39, s6
	s_and_b32 s2, exec_lo, s30
	s_delay_alu instid0(SALU_CYCLE_1) | instskip(NEXT) | instid1(SALU_CYCLE_1)
	s_or_b32 s26, s2, s26
	s_and_not1_b32 exec_lo, exec_lo, s26
	s_cbranch_execz .LBB1211_247
.LBB1211_245:                           ; =>This Inner Loop Header: Depth=1
	s_or_b32 s30, s30, exec_lo
	s_cmp_eq_u64 s[4:5], s[6:7]
	s_cbranch_scc0 .LBB1211_243
; %bb.246:                              ;   in Loop: Header=BB1211_245 Depth=1
	s_mov_b64 s[6:7], s[22:23]
                                        ; implicit-def: $vgpr35_vgpr36
                                        ; implicit-def: $vgpr37_vgpr38
	s_branch .LBB1211_244
.LBB1211_247:
	s_set_inst_prefetch_distance 0x2
	s_or_b32 exec_lo, exec_lo, s26
	v_cmp_gt_i64_e32 vcc_lo, s[22:23], v[39:40]
	s_or_not1_b32 s26, vcc_lo, exec_lo
.LBB1211_248:
	s_or_b32 exec_lo, exec_lo, s29
.LBB1211_249:
	v_mul_lo_u32 v37, v26, s22
	v_mul_lo_u32 v38, v25, s23
	v_mad_u64_u32 v[35:36], null, v25, s22, 0
	s_mov_b32 s29, 0
	s_and_not1_b32 vcc_lo, exec_lo, s18
	s_mov_b32 s30, 0
	s_delay_alu instid0(VALU_DEP_1) | instskip(NEXT) | instid1(VALU_DEP_1)
	v_add3_u32 v36, v36, v38, v37
	v_lshlrev_b64 v[35:36], 1, v[35:36]
	s_cbranch_vccnz .LBB1211_258
; %bb.250:
	v_add_co_u32 v33, vcc_lo, s8, v33
	v_add_co_ci_u32_e32 v34, vcc_lo, s9, v34, vcc_lo
	s_delay_alu instid0(VALU_DEP_3) | instskip(NEXT) | instid1(VALU_DEP_4)
	v_add_co_u32 v37, vcc_lo, s8, v35
	v_add_co_ci_u32_e32 v38, vcc_lo, s9, v36, vcc_lo
	s_mov_b32 s30, -1
	s_clause 0x1
	global_load_u16 v39, v[33:34], off
	global_load_u16 v40, v[37:38], off
	s_mov_b32 s31, exec_lo
	s_waitcnt vmcnt(1)
	v_lshlrev_b32_e32 v39, 16, v39
	s_waitcnt vmcnt(0)
	v_lshlrev_b32_e32 v40, 16, v40
	s_delay_alu instid0(VALU_DEP_1)
	v_cmpx_eq_f32_e32 v40, v39
	s_cbranch_execz .LBB1211_257
; %bb.251:
	v_add_co_u32 v33, vcc_lo, v33, 2
	v_add_co_ci_u32_e32 v34, vcc_lo, 0, v34, vcc_lo
	v_add_co_u32 v37, vcc_lo, v37, 2
	v_add_co_ci_u32_e32 v38, vcc_lo, 0, v38, vcc_lo
	s_add_u32 s4, s22, -1
	s_addc_u32 s5, s23, -1
	s_mov_b64 s[6:7], 0
	s_mov_b32 s30, 0
                                        ; implicit-def: $sgpr33
	s_set_inst_prefetch_distance 0x1
	s_branch .LBB1211_254
	.p2align	6
.LBB1211_252:                           ;   in Loop: Header=BB1211_254 Depth=1
	global_load_u16 v39, v[33:34], off
	global_load_u16 v40, v[37:38], off
	v_add_co_u32 v33, vcc_lo, v33, 2
	v_add_co_ci_u32_e32 v34, vcc_lo, 0, v34, vcc_lo
	v_add_co_u32 v37, s2, v37, 2
	s_delay_alu instid0(VALU_DEP_1)
	v_add_co_ci_u32_e64 v38, s2, 0, v38, s2
	s_add_u32 s6, s6, 1
	s_addc_u32 s7, s7, 0
	s_and_not1_b32 s2, s33, exec_lo
	s_waitcnt vmcnt(1)
	v_lshlrev_b32_e32 v39, 16, v39
	s_waitcnt vmcnt(0)
	v_lshlrev_b32_e32 v40, 16, v40
	s_delay_alu instid0(VALU_DEP_1) | instskip(SKIP_1) | instid1(SALU_CYCLE_1)
	v_cmp_neq_f32_e32 vcc_lo, v40, v39
	s_and_b32 s33, vcc_lo, exec_lo
	s_or_b32 s33, s2, s33
.LBB1211_253:                           ;   in Loop: Header=BB1211_254 Depth=1
	v_dual_mov_b32 v40, s7 :: v_dual_mov_b32 v39, s6
	s_and_b32 s2, exec_lo, s33
	s_delay_alu instid0(SALU_CYCLE_1) | instskip(NEXT) | instid1(SALU_CYCLE_1)
	s_or_b32 s30, s2, s30
	s_and_not1_b32 exec_lo, exec_lo, s30
	s_cbranch_execz .LBB1211_256
.LBB1211_254:                           ; =>This Inner Loop Header: Depth=1
	s_or_b32 s33, s33, exec_lo
	s_cmp_eq_u64 s[4:5], s[6:7]
	s_cbranch_scc0 .LBB1211_252
; %bb.255:                              ;   in Loop: Header=BB1211_254 Depth=1
	s_mov_b64 s[6:7], s[22:23]
                                        ; implicit-def: $vgpr33_vgpr34
                                        ; implicit-def: $vgpr37_vgpr38
	s_branch .LBB1211_253
.LBB1211_256:
	s_set_inst_prefetch_distance 0x2
	s_or_b32 exec_lo, exec_lo, s30
	v_cmp_gt_i64_e32 vcc_lo, s[22:23], v[39:40]
	s_or_not1_b32 s30, vcc_lo, exec_lo
.LBB1211_257:
	s_or_b32 exec_lo, exec_lo, s31
.LBB1211_258:
	v_mul_lo_u32 v37, v32, s22
	v_mul_lo_u32 v38, v31, s23
	v_mad_u64_u32 v[33:34], null, v31, s22, 0
	s_and_not1_b32 vcc_lo, exec_lo, s18
	s_delay_alu instid0(VALU_DEP_1) | instskip(NEXT) | instid1(VALU_DEP_1)
	v_add3_u32 v34, v34, v38, v37
	v_lshlrev_b64 v[33:34], 1, v[33:34]
	s_cbranch_vccnz .LBB1211_267
; %bb.259:
	v_add_co_u32 v35, vcc_lo, s8, v35
	v_add_co_ci_u32_e32 v36, vcc_lo, s9, v36, vcc_lo
	s_delay_alu instid0(VALU_DEP_3) | instskip(NEXT) | instid1(VALU_DEP_4)
	v_add_co_u32 v37, vcc_lo, s8, v33
	v_add_co_ci_u32_e32 v38, vcc_lo, s9, v34, vcc_lo
	s_mov_b32 s29, -1
	s_clause 0x1
	global_load_u16 v39, v[35:36], off
	global_load_u16 v40, v[37:38], off
	s_mov_b32 s31, exec_lo
	s_waitcnt vmcnt(1)
	v_lshlrev_b32_e32 v39, 16, v39
	s_waitcnt vmcnt(0)
	v_lshlrev_b32_e32 v40, 16, v40
	s_delay_alu instid0(VALU_DEP_1)
	v_cmpx_eq_f32_e32 v40, v39
	s_cbranch_execz .LBB1211_266
; %bb.260:
	v_add_co_u32 v35, vcc_lo, v35, 2
	v_add_co_ci_u32_e32 v36, vcc_lo, 0, v36, vcc_lo
	v_add_co_u32 v37, vcc_lo, v37, 2
	v_add_co_ci_u32_e32 v38, vcc_lo, 0, v38, vcc_lo
	s_add_u32 s4, s22, -1
	s_addc_u32 s5, s23, -1
	s_mov_b64 s[6:7], 0
	s_mov_b32 s29, 0
                                        ; implicit-def: $sgpr33
	s_set_inst_prefetch_distance 0x1
	s_branch .LBB1211_263
	.p2align	6
.LBB1211_261:                           ;   in Loop: Header=BB1211_263 Depth=1
	global_load_u16 v39, v[35:36], off
	global_load_u16 v40, v[37:38], off
	v_add_co_u32 v35, vcc_lo, v35, 2
	v_add_co_ci_u32_e32 v36, vcc_lo, 0, v36, vcc_lo
	v_add_co_u32 v37, s2, v37, 2
	s_delay_alu instid0(VALU_DEP_1)
	v_add_co_ci_u32_e64 v38, s2, 0, v38, s2
	s_add_u32 s6, s6, 1
	s_addc_u32 s7, s7, 0
	s_and_not1_b32 s2, s33, exec_lo
	s_waitcnt vmcnt(1)
	v_lshlrev_b32_e32 v39, 16, v39
	s_waitcnt vmcnt(0)
	v_lshlrev_b32_e32 v40, 16, v40
	s_delay_alu instid0(VALU_DEP_1) | instskip(SKIP_1) | instid1(SALU_CYCLE_1)
	v_cmp_neq_f32_e32 vcc_lo, v40, v39
	s_and_b32 s33, vcc_lo, exec_lo
	s_or_b32 s33, s2, s33
.LBB1211_262:                           ;   in Loop: Header=BB1211_263 Depth=1
	v_dual_mov_b32 v40, s7 :: v_dual_mov_b32 v39, s6
	s_and_b32 s2, exec_lo, s33
	s_delay_alu instid0(SALU_CYCLE_1) | instskip(NEXT) | instid1(SALU_CYCLE_1)
	s_or_b32 s29, s2, s29
	s_and_not1_b32 exec_lo, exec_lo, s29
	s_cbranch_execz .LBB1211_265
.LBB1211_263:                           ; =>This Inner Loop Header: Depth=1
	s_or_b32 s33, s33, exec_lo
	s_cmp_eq_u64 s[4:5], s[6:7]
	s_cbranch_scc0 .LBB1211_261
; %bb.264:                              ;   in Loop: Header=BB1211_263 Depth=1
	s_mov_b64 s[6:7], s[22:23]
                                        ; implicit-def: $vgpr35_vgpr36
                                        ; implicit-def: $vgpr37_vgpr38
	s_branch .LBB1211_262
.LBB1211_265:
	s_set_inst_prefetch_distance 0x2
	s_or_b32 exec_lo, exec_lo, s29
	v_cmp_gt_i64_e32 vcc_lo, s[22:23], v[39:40]
	s_or_not1_b32 s29, vcc_lo, exec_lo
.LBB1211_266:
	s_or_b32 exec_lo, exec_lo, s31
.LBB1211_267:
	v_mul_lo_u32 v37, v30, s22
	v_mul_lo_u32 v38, v29, s23
	v_mad_u64_u32 v[35:36], null, v29, s22, 0
	s_and_not1_b32 vcc_lo, exec_lo, s18
	s_mov_b32 s2, 0
	s_delay_alu instid0(VALU_DEP_1)
	v_add3_u32 v36, v36, v38, v37
	s_cbranch_vccnz .LBB1211_276
; %bb.268:
	s_delay_alu instid0(VALU_DEP_1) | instskip(SKIP_3) | instid1(VALU_DEP_3)
	v_lshlrev_b64 v[37:38], 1, v[35:36]
	v_add_co_u32 v33, vcc_lo, s8, v33
	v_add_co_ci_u32_e32 v34, vcc_lo, s9, v34, vcc_lo
	s_mov_b32 s2, -1
	v_add_co_u32 v37, vcc_lo, s8, v37
	s_delay_alu instid0(VALU_DEP_4)
	v_add_co_ci_u32_e32 v38, vcc_lo, s9, v38, vcc_lo
	s_mov_b32 s31, exec_lo
	s_clause 0x1
	global_load_u16 v39, v[33:34], off
	global_load_u16 v40, v[37:38], off
	s_waitcnt vmcnt(1)
	v_lshlrev_b32_e32 v39, 16, v39
	s_waitcnt vmcnt(0)
	v_lshlrev_b32_e32 v40, 16, v40
	s_delay_alu instid0(VALU_DEP_1)
	v_cmpx_eq_f32_e32 v40, v39
	s_cbranch_execz .LBB1211_275
; %bb.269:
	v_add_co_u32 v33, vcc_lo, v33, 2
	v_add_co_ci_u32_e32 v34, vcc_lo, 0, v34, vcc_lo
	v_add_co_u32 v37, vcc_lo, v37, 2
	v_add_co_ci_u32_e32 v38, vcc_lo, 0, v38, vcc_lo
	s_add_u32 s4, s22, -1
	s_addc_u32 s5, s23, -1
	s_mov_b64 s[6:7], 0
	s_mov_b32 s33, 0
                                        ; implicit-def: $sgpr34
	s_set_inst_prefetch_distance 0x1
	s_branch .LBB1211_272
	.p2align	6
.LBB1211_270:                           ;   in Loop: Header=BB1211_272 Depth=1
	global_load_u16 v39, v[33:34], off
	global_load_u16 v40, v[37:38], off
	v_add_co_u32 v33, vcc_lo, v33, 2
	v_add_co_ci_u32_e32 v34, vcc_lo, 0, v34, vcc_lo
	v_add_co_u32 v37, s2, v37, 2
	s_delay_alu instid0(VALU_DEP_1)
	v_add_co_ci_u32_e64 v38, s2, 0, v38, s2
	s_add_u32 s6, s6, 1
	s_addc_u32 s7, s7, 0
	s_and_not1_b32 s2, s34, exec_lo
	s_waitcnt vmcnt(1)
	v_lshlrev_b32_e32 v39, 16, v39
	s_waitcnt vmcnt(0)
	v_lshlrev_b32_e32 v40, 16, v40
	s_delay_alu instid0(VALU_DEP_1) | instskip(SKIP_1) | instid1(SALU_CYCLE_1)
	v_cmp_neq_f32_e32 vcc_lo, v40, v39
	s_and_b32 s34, vcc_lo, exec_lo
	s_or_b32 s34, s2, s34
.LBB1211_271:                           ;   in Loop: Header=BB1211_272 Depth=1
	v_dual_mov_b32 v40, s7 :: v_dual_mov_b32 v39, s6
	s_and_b32 s2, exec_lo, s34
	s_delay_alu instid0(SALU_CYCLE_1) | instskip(NEXT) | instid1(SALU_CYCLE_1)
	s_or_b32 s33, s2, s33
	s_and_not1_b32 exec_lo, exec_lo, s33
	s_cbranch_execz .LBB1211_274
.LBB1211_272:                           ; =>This Inner Loop Header: Depth=1
	s_or_b32 s34, s34, exec_lo
	s_cmp_eq_u64 s[4:5], s[6:7]
	s_cbranch_scc0 .LBB1211_270
; %bb.273:                              ;   in Loop: Header=BB1211_272 Depth=1
	s_mov_b64 s[6:7], s[22:23]
                                        ; implicit-def: $vgpr33_vgpr34
                                        ; implicit-def: $vgpr37_vgpr38
	s_branch .LBB1211_271
.LBB1211_274:
	s_set_inst_prefetch_distance 0x2
	s_or_b32 exec_lo, exec_lo, s33
	v_cmp_gt_i64_e32 vcc_lo, s[22:23], v[39:40]
	s_or_not1_b32 s2, vcc_lo, exec_lo
.LBB1211_275:
	s_or_b32 exec_lo, exec_lo, s31
.LBB1211_276:
	v_cndmask_b32_e64 v34, 0, 1, s30
	v_cndmask_b32_e64 v37, 0, 1, s27
	;; [unrolled: 1-line block ×7, first 2 shown]
	v_lshlrev_b16 v37, 8, v37
	v_lshlrev_b16 v38, 8, v38
	;; [unrolled: 1-line block ×4, first 2 shown]
	s_waitcnt lgkmcnt(0)
	v_or_b32_e32 v37, v40, v37
	v_or_b32_e32 v38, v41, v38
	;; [unrolled: 1-line block ×4, first 2 shown]
	s_barrier
	v_and_b32_e32 v34, 0xffff, v37
	v_lshlrev_b32_e32 v37, 16, v38
	v_and_b32_e32 v38, 0xffff, v39
	v_lshlrev_b32_e32 v33, 16, v33
	buffer_gl0_inv
                                        ; implicit-def: $sgpr2
	s_mov_b32 s4, exec_lo
	v_or_b32_e32 v34, v34, v37
	v_or_b32_e32 v33, v38, v33
	v_cmpx_ne_u32_e32 0, v0
	s_xor_b32 s19, exec_lo, s4
	s_cbranch_execz .LBB1211_287
; %bb.277:
	s_and_not1_b32 vcc_lo, exec_lo, s18
	s_mov_b32 s2, 0
	s_cbranch_vccnz .LBB1211_286
; %bb.278:
	v_add_nc_u32_e32 v37, -8, v55
	v_lshlrev_b64 v[35:36], 1, v[35:36]
	s_mov_b32 s2, -1
	s_mov_b32 s25, exec_lo
	ds_load_b64 v[37:38], v37
	s_waitcnt lgkmcnt(0)
	v_mul_lo_u32 v40, v38, s22
	v_mul_lo_u32 v41, v37, s23
	v_mad_u64_u32 v[38:39], null, v37, s22, 0
	s_delay_alu instid0(VALU_DEP_1) | instskip(NEXT) | instid1(VALU_DEP_1)
	v_add3_u32 v39, v39, v41, v40
	v_lshlrev_b64 v[37:38], 1, v[38:39]
	s_delay_alu instid0(VALU_DEP_1) | instskip(NEXT) | instid1(VALU_DEP_2)
	v_add_co_u32 v37, vcc_lo, s8, v37
	v_add_co_ci_u32_e32 v38, vcc_lo, s9, v38, vcc_lo
	v_add_co_u32 v35, vcc_lo, s8, v35
	v_add_co_ci_u32_e32 v36, vcc_lo, s9, v36, vcc_lo
	s_clause 0x1
	global_load_u16 v39, v[37:38], off
	global_load_u16 v40, v[35:36], off
	s_waitcnt vmcnt(1)
	v_lshlrev_b32_e32 v39, 16, v39
	s_waitcnt vmcnt(0)
	v_lshlrev_b32_e32 v40, 16, v40
	s_delay_alu instid0(VALU_DEP_1)
	v_cmpx_eq_f32_e32 v39, v40
	s_cbranch_execz .LBB1211_285
; %bb.279:
	v_add_co_u32 v35, vcc_lo, v35, 2
	v_add_co_ci_u32_e32 v36, vcc_lo, 0, v36, vcc_lo
	v_add_co_u32 v37, vcc_lo, v37, 2
	v_add_co_ci_u32_e32 v38, vcc_lo, 0, v38, vcc_lo
	s_add_u32 s4, s22, -1
	s_addc_u32 s5, s23, -1
	s_mov_b64 s[6:7], 0
	s_mov_b32 s26, 0
                                        ; implicit-def: $sgpr27
	s_set_inst_prefetch_distance 0x1
	s_branch .LBB1211_282
	.p2align	6
.LBB1211_280:                           ;   in Loop: Header=BB1211_282 Depth=1
	global_load_u16 v39, v[35:36], off
	global_load_u16 v40, v[37:38], off
	v_add_co_u32 v35, vcc_lo, v35, 2
	v_add_co_ci_u32_e32 v36, vcc_lo, 0, v36, vcc_lo
	v_add_co_u32 v37, s2, v37, 2
	s_delay_alu instid0(VALU_DEP_1)
	v_add_co_ci_u32_e64 v38, s2, 0, v38, s2
	s_add_u32 s6, s6, 1
	s_addc_u32 s7, s7, 0
	s_and_not1_b32 s2, s27, exec_lo
	s_waitcnt vmcnt(1)
	v_lshlrev_b32_e32 v39, 16, v39
	s_waitcnt vmcnt(0)
	v_lshlrev_b32_e32 v40, 16, v40
	s_delay_alu instid0(VALU_DEP_1) | instskip(SKIP_1) | instid1(SALU_CYCLE_1)
	v_cmp_neq_f32_e32 vcc_lo, v40, v39
	s_and_b32 s27, vcc_lo, exec_lo
	s_or_b32 s27, s2, s27
.LBB1211_281:                           ;   in Loop: Header=BB1211_282 Depth=1
	v_dual_mov_b32 v40, s7 :: v_dual_mov_b32 v39, s6
	s_and_b32 s2, exec_lo, s27
	s_delay_alu instid0(SALU_CYCLE_1) | instskip(NEXT) | instid1(SALU_CYCLE_1)
	s_or_b32 s26, s2, s26
	s_and_not1_b32 exec_lo, exec_lo, s26
	s_cbranch_execz .LBB1211_284
.LBB1211_282:                           ; =>This Inner Loop Header: Depth=1
	s_or_b32 s27, s27, exec_lo
	s_cmp_eq_u64 s[4:5], s[6:7]
	s_cbranch_scc0 .LBB1211_280
; %bb.283:                              ;   in Loop: Header=BB1211_282 Depth=1
	s_mov_b64 s[6:7], s[22:23]
                                        ; implicit-def: $vgpr35_vgpr36
                                        ; implicit-def: $vgpr37_vgpr38
	s_branch .LBB1211_281
.LBB1211_284:
	s_set_inst_prefetch_distance 0x2
	s_or_b32 exec_lo, exec_lo, s26
	v_cmp_gt_i64_e32 vcc_lo, s[22:23], v[39:40]
	s_or_not1_b32 s2, vcc_lo, exec_lo
.LBB1211_285:
	s_or_b32 exec_lo, exec_lo, s25
.LBB1211_286:
	s_delay_alu instid0(SALU_CYCLE_1)
	s_and_b32 s2, s2, exec_lo
	s_or_b32 s3, s3, exec_lo
.LBB1211_287:
	s_or_b32 exec_lo, exec_lo, s19
	s_branch .LBB1211_379
.LBB1211_288:
	v_or_b32_e32 v33, 7, v55
	s_mov_b32 s19, 0
	s_mov_b32 s25, 0
	s_mov_b32 s26, exec_lo
	s_delay_alu instid0(VALU_DEP_1)
	v_cmpx_gt_u32_e64 s28, v33
	s_cbranch_execz .LBB1211_299
; %bb.289:
	s_and_not1_b32 vcc_lo, exec_lo, s18
	s_mov_b32 s2, 0
	s_cbranch_vccnz .LBB1211_298
; %bb.290:
	v_mul_lo_u32 v37, v20, s22
	v_mul_lo_u32 v38, v19, s23
	v_mad_u64_u32 v[33:34], null, v19, s22, 0
	v_mul_lo_u32 v39, v18, s22
	v_mul_lo_u32 v40, v17, s23
	v_mad_u64_u32 v[35:36], null, v17, s22, 0
	s_mov_b32 s2, -1
	s_mov_b32 s25, exec_lo
	s_delay_alu instid0(VALU_DEP_4) | instskip(NEXT) | instid1(VALU_DEP_2)
	v_add3_u32 v34, v34, v38, v37
	v_add3_u32 v36, v36, v40, v39
	s_delay_alu instid0(VALU_DEP_2) | instskip(NEXT) | instid1(VALU_DEP_2)
	v_lshlrev_b64 v[33:34], 1, v[33:34]
	v_lshlrev_b64 v[35:36], 1, v[35:36]
	s_delay_alu instid0(VALU_DEP_2) | instskip(NEXT) | instid1(VALU_DEP_3)
	v_add_co_u32 v33, vcc_lo, s8, v33
	v_add_co_ci_u32_e32 v34, vcc_lo, s9, v34, vcc_lo
	s_delay_alu instid0(VALU_DEP_3) | instskip(NEXT) | instid1(VALU_DEP_4)
	v_add_co_u32 v35, vcc_lo, s8, v35
	v_add_co_ci_u32_e32 v36, vcc_lo, s9, v36, vcc_lo
	s_clause 0x1
	global_load_u16 v37, v[33:34], off
	global_load_u16 v38, v[35:36], off
	s_waitcnt vmcnt(1)
	v_lshlrev_b32_e32 v37, 16, v37
	s_waitcnt vmcnt(0)
	v_lshlrev_b32_e32 v38, 16, v38
	s_delay_alu instid0(VALU_DEP_1)
	v_cmpx_eq_f32_e32 v38, v37
	s_cbranch_execz .LBB1211_297
; %bb.291:
	v_add_co_u32 v33, vcc_lo, v33, 2
	v_add_co_ci_u32_e32 v34, vcc_lo, 0, v34, vcc_lo
	v_add_co_u32 v35, vcc_lo, v35, 2
	v_add_co_ci_u32_e32 v36, vcc_lo, 0, v36, vcc_lo
	s_add_u32 s4, s22, -1
	s_addc_u32 s5, s23, -1
	s_mov_b64 s[6:7], 0
	s_mov_b32 s27, 0
                                        ; implicit-def: $sgpr29
	s_set_inst_prefetch_distance 0x1
	s_branch .LBB1211_294
	.p2align	6
.LBB1211_292:                           ;   in Loop: Header=BB1211_294 Depth=1
	global_load_u16 v37, v[33:34], off
	global_load_u16 v38, v[35:36], off
	v_add_co_u32 v33, vcc_lo, v33, 2
	v_add_co_ci_u32_e32 v34, vcc_lo, 0, v34, vcc_lo
	v_add_co_u32 v35, s2, v35, 2
	s_delay_alu instid0(VALU_DEP_1)
	v_add_co_ci_u32_e64 v36, s2, 0, v36, s2
	s_add_u32 s6, s6, 1
	s_addc_u32 s7, s7, 0
	s_and_not1_b32 s2, s29, exec_lo
	s_waitcnt vmcnt(1)
	v_lshlrev_b32_e32 v37, 16, v37
	s_waitcnt vmcnt(0)
	v_lshlrev_b32_e32 v38, 16, v38
	s_delay_alu instid0(VALU_DEP_1) | instskip(SKIP_1) | instid1(SALU_CYCLE_1)
	v_cmp_neq_f32_e32 vcc_lo, v38, v37
	s_and_b32 s29, vcc_lo, exec_lo
	s_or_b32 s29, s2, s29
.LBB1211_293:                           ;   in Loop: Header=BB1211_294 Depth=1
	v_dual_mov_b32 v38, s7 :: v_dual_mov_b32 v37, s6
	s_and_b32 s2, exec_lo, s29
	s_delay_alu instid0(SALU_CYCLE_1) | instskip(NEXT) | instid1(SALU_CYCLE_1)
	s_or_b32 s27, s2, s27
	s_and_not1_b32 exec_lo, exec_lo, s27
	s_cbranch_execz .LBB1211_296
.LBB1211_294:                           ; =>This Inner Loop Header: Depth=1
	s_or_b32 s29, s29, exec_lo
	s_cmp_eq_u64 s[4:5], s[6:7]
	s_cbranch_scc0 .LBB1211_292
; %bb.295:                              ;   in Loop: Header=BB1211_294 Depth=1
	s_mov_b64 s[6:7], s[22:23]
                                        ; implicit-def: $vgpr33_vgpr34
                                        ; implicit-def: $vgpr35_vgpr36
	s_branch .LBB1211_293
.LBB1211_296:
	s_set_inst_prefetch_distance 0x2
	s_or_b32 exec_lo, exec_lo, s27
	v_cmp_gt_i64_e32 vcc_lo, s[22:23], v[37:38]
	s_or_not1_b32 s2, vcc_lo, exec_lo
.LBB1211_297:
	s_or_b32 exec_lo, exec_lo, s25
.LBB1211_298:
	s_delay_alu instid0(SALU_CYCLE_1)
	s_and_b32 s25, s2, exec_lo
.LBB1211_299:
	s_or_b32 exec_lo, exec_lo, s26
	v_or_b32_e32 v33, 6, v55
	s_mov_b32 s26, exec_lo
	s_delay_alu instid0(VALU_DEP_1)
	v_cmpx_gt_u32_e64 s28, v33
	s_cbranch_execz .LBB1211_310
; %bb.300:
	s_and_not1_b32 vcc_lo, exec_lo, s18
	s_mov_b32 s2, 0
	s_cbranch_vccnz .LBB1211_309
; %bb.301:
	v_mul_lo_u32 v37, v18, s22
	v_mul_lo_u32 v38, v17, s23
	v_mad_u64_u32 v[33:34], null, v17, s22, 0
	v_mul_lo_u32 v39, v24, s22
	v_mul_lo_u32 v40, v23, s23
	v_mad_u64_u32 v[35:36], null, v23, s22, 0
	s_mov_b32 s2, -1
	s_mov_b32 s19, exec_lo
	s_delay_alu instid0(VALU_DEP_4) | instskip(NEXT) | instid1(VALU_DEP_2)
	v_add3_u32 v34, v34, v38, v37
	v_add3_u32 v36, v36, v40, v39
	s_delay_alu instid0(VALU_DEP_2) | instskip(NEXT) | instid1(VALU_DEP_2)
	v_lshlrev_b64 v[33:34], 1, v[33:34]
	v_lshlrev_b64 v[35:36], 1, v[35:36]
	s_delay_alu instid0(VALU_DEP_2) | instskip(NEXT) | instid1(VALU_DEP_3)
	v_add_co_u32 v33, vcc_lo, s8, v33
	v_add_co_ci_u32_e32 v34, vcc_lo, s9, v34, vcc_lo
	s_delay_alu instid0(VALU_DEP_3) | instskip(NEXT) | instid1(VALU_DEP_4)
	v_add_co_u32 v35, vcc_lo, s8, v35
	v_add_co_ci_u32_e32 v36, vcc_lo, s9, v36, vcc_lo
	s_clause 0x1
	global_load_u16 v37, v[33:34], off
	global_load_u16 v38, v[35:36], off
	s_waitcnt vmcnt(1)
	v_lshlrev_b32_e32 v37, 16, v37
	s_waitcnt vmcnt(0)
	v_lshlrev_b32_e32 v38, 16, v38
	s_delay_alu instid0(VALU_DEP_1)
	v_cmpx_eq_f32_e32 v38, v37
	s_cbranch_execz .LBB1211_308
; %bb.302:
	v_add_co_u32 v33, vcc_lo, v33, 2
	v_add_co_ci_u32_e32 v34, vcc_lo, 0, v34, vcc_lo
	v_add_co_u32 v35, vcc_lo, v35, 2
	v_add_co_ci_u32_e32 v36, vcc_lo, 0, v36, vcc_lo
	s_add_u32 s4, s22, -1
	s_addc_u32 s5, s23, -1
	s_mov_b64 s[6:7], 0
	s_mov_b32 s27, 0
                                        ; implicit-def: $sgpr29
	s_set_inst_prefetch_distance 0x1
	s_branch .LBB1211_305
	.p2align	6
.LBB1211_303:                           ;   in Loop: Header=BB1211_305 Depth=1
	global_load_u16 v37, v[33:34], off
	global_load_u16 v38, v[35:36], off
	v_add_co_u32 v33, vcc_lo, v33, 2
	v_add_co_ci_u32_e32 v34, vcc_lo, 0, v34, vcc_lo
	v_add_co_u32 v35, s2, v35, 2
	s_delay_alu instid0(VALU_DEP_1)
	v_add_co_ci_u32_e64 v36, s2, 0, v36, s2
	s_add_u32 s6, s6, 1
	s_addc_u32 s7, s7, 0
	s_and_not1_b32 s2, s29, exec_lo
	s_waitcnt vmcnt(1)
	v_lshlrev_b32_e32 v37, 16, v37
	s_waitcnt vmcnt(0)
	v_lshlrev_b32_e32 v38, 16, v38
	s_delay_alu instid0(VALU_DEP_1) | instskip(SKIP_1) | instid1(SALU_CYCLE_1)
	v_cmp_neq_f32_e32 vcc_lo, v38, v37
	s_and_b32 s29, vcc_lo, exec_lo
	s_or_b32 s29, s2, s29
.LBB1211_304:                           ;   in Loop: Header=BB1211_305 Depth=1
	v_dual_mov_b32 v38, s7 :: v_dual_mov_b32 v37, s6
	s_and_b32 s2, exec_lo, s29
	s_delay_alu instid0(SALU_CYCLE_1) | instskip(NEXT) | instid1(SALU_CYCLE_1)
	s_or_b32 s27, s2, s27
	s_and_not1_b32 exec_lo, exec_lo, s27
	s_cbranch_execz .LBB1211_307
.LBB1211_305:                           ; =>This Inner Loop Header: Depth=1
	s_or_b32 s29, s29, exec_lo
	s_cmp_eq_u64 s[4:5], s[6:7]
	s_cbranch_scc0 .LBB1211_303
; %bb.306:                              ;   in Loop: Header=BB1211_305 Depth=1
	s_mov_b64 s[6:7], s[22:23]
                                        ; implicit-def: $vgpr33_vgpr34
                                        ; implicit-def: $vgpr35_vgpr36
	s_branch .LBB1211_304
.LBB1211_307:
	s_set_inst_prefetch_distance 0x2
	s_or_b32 exec_lo, exec_lo, s27
	v_cmp_gt_i64_e32 vcc_lo, s[22:23], v[37:38]
	s_or_not1_b32 s2, vcc_lo, exec_lo
.LBB1211_308:
	s_or_b32 exec_lo, exec_lo, s19
.LBB1211_309:
	s_delay_alu instid0(SALU_CYCLE_1)
	s_and_b32 s19, s2, exec_lo
.LBB1211_310:
	s_or_b32 exec_lo, exec_lo, s26
	v_or_b32_e32 v33, 5, v55
	s_mov_b32 s26, 0
	s_mov_b32 s27, 0
	s_mov_b32 s29, exec_lo
	s_delay_alu instid0(VALU_DEP_1)
	v_cmpx_gt_u32_e64 s28, v33
	s_cbranch_execz .LBB1211_321
; %bb.311:
	s_and_not1_b32 vcc_lo, exec_lo, s18
	s_mov_b32 s2, 0
	s_cbranch_vccnz .LBB1211_320
; %bb.312:
	v_mul_lo_u32 v37, v24, s22
	v_mul_lo_u32 v38, v23, s23
	v_mad_u64_u32 v[33:34], null, v23, s22, 0
	v_mul_lo_u32 v39, v22, s22
	v_mul_lo_u32 v40, v21, s23
	v_mad_u64_u32 v[35:36], null, v21, s22, 0
	s_mov_b32 s2, -1
	s_mov_b32 s27, exec_lo
	s_delay_alu instid0(VALU_DEP_4) | instskip(NEXT) | instid1(VALU_DEP_2)
	v_add3_u32 v34, v34, v38, v37
	v_add3_u32 v36, v36, v40, v39
	s_delay_alu instid0(VALU_DEP_2) | instskip(NEXT) | instid1(VALU_DEP_2)
	v_lshlrev_b64 v[33:34], 1, v[33:34]
	v_lshlrev_b64 v[35:36], 1, v[35:36]
	s_delay_alu instid0(VALU_DEP_2) | instskip(NEXT) | instid1(VALU_DEP_3)
	v_add_co_u32 v33, vcc_lo, s8, v33
	v_add_co_ci_u32_e32 v34, vcc_lo, s9, v34, vcc_lo
	s_delay_alu instid0(VALU_DEP_3) | instskip(NEXT) | instid1(VALU_DEP_4)
	v_add_co_u32 v35, vcc_lo, s8, v35
	v_add_co_ci_u32_e32 v36, vcc_lo, s9, v36, vcc_lo
	s_clause 0x1
	global_load_u16 v37, v[33:34], off
	global_load_u16 v38, v[35:36], off
	s_waitcnt vmcnt(1)
	v_lshlrev_b32_e32 v37, 16, v37
	s_waitcnt vmcnt(0)
	v_lshlrev_b32_e32 v38, 16, v38
	s_delay_alu instid0(VALU_DEP_1)
	v_cmpx_eq_f32_e32 v38, v37
	s_cbranch_execz .LBB1211_319
; %bb.313:
	v_add_co_u32 v33, vcc_lo, v33, 2
	v_add_co_ci_u32_e32 v34, vcc_lo, 0, v34, vcc_lo
	v_add_co_u32 v35, vcc_lo, v35, 2
	v_add_co_ci_u32_e32 v36, vcc_lo, 0, v36, vcc_lo
	s_add_u32 s4, s22, -1
	s_addc_u32 s5, s23, -1
	s_mov_b64 s[6:7], 0
	s_mov_b32 s30, 0
                                        ; implicit-def: $sgpr31
	s_set_inst_prefetch_distance 0x1
	s_branch .LBB1211_316
	.p2align	6
.LBB1211_314:                           ;   in Loop: Header=BB1211_316 Depth=1
	global_load_u16 v37, v[33:34], off
	global_load_u16 v38, v[35:36], off
	v_add_co_u32 v33, vcc_lo, v33, 2
	v_add_co_ci_u32_e32 v34, vcc_lo, 0, v34, vcc_lo
	v_add_co_u32 v35, s2, v35, 2
	s_delay_alu instid0(VALU_DEP_1)
	v_add_co_ci_u32_e64 v36, s2, 0, v36, s2
	s_add_u32 s6, s6, 1
	s_addc_u32 s7, s7, 0
	s_and_not1_b32 s2, s31, exec_lo
	s_waitcnt vmcnt(1)
	v_lshlrev_b32_e32 v37, 16, v37
	s_waitcnt vmcnt(0)
	v_lshlrev_b32_e32 v38, 16, v38
	s_delay_alu instid0(VALU_DEP_1) | instskip(SKIP_1) | instid1(SALU_CYCLE_1)
	v_cmp_neq_f32_e32 vcc_lo, v38, v37
	s_and_b32 s31, vcc_lo, exec_lo
	s_or_b32 s31, s2, s31
.LBB1211_315:                           ;   in Loop: Header=BB1211_316 Depth=1
	v_dual_mov_b32 v38, s7 :: v_dual_mov_b32 v37, s6
	s_and_b32 s2, exec_lo, s31
	s_delay_alu instid0(SALU_CYCLE_1) | instskip(NEXT) | instid1(SALU_CYCLE_1)
	s_or_b32 s30, s2, s30
	s_and_not1_b32 exec_lo, exec_lo, s30
	s_cbranch_execz .LBB1211_318
.LBB1211_316:                           ; =>This Inner Loop Header: Depth=1
	s_or_b32 s31, s31, exec_lo
	s_cmp_eq_u64 s[4:5], s[6:7]
	s_cbranch_scc0 .LBB1211_314
; %bb.317:                              ;   in Loop: Header=BB1211_316 Depth=1
	s_mov_b64 s[6:7], s[22:23]
                                        ; implicit-def: $vgpr33_vgpr34
                                        ; implicit-def: $vgpr35_vgpr36
	s_branch .LBB1211_315
.LBB1211_318:
	s_set_inst_prefetch_distance 0x2
	s_or_b32 exec_lo, exec_lo, s30
	v_cmp_gt_i64_e32 vcc_lo, s[22:23], v[37:38]
	s_or_not1_b32 s2, vcc_lo, exec_lo
.LBB1211_319:
	s_or_b32 exec_lo, exec_lo, s27
.LBB1211_320:
	s_delay_alu instid0(SALU_CYCLE_1)
	s_and_b32 s27, s2, exec_lo
.LBB1211_321:
	s_or_b32 exec_lo, exec_lo, s29
	v_or_b32_e32 v33, 4, v55
	s_mov_b32 s29, exec_lo
	s_delay_alu instid0(VALU_DEP_1)
	v_cmpx_gt_u32_e64 s28, v33
	s_cbranch_execz .LBB1211_332
; %bb.322:
	s_and_not1_b32 vcc_lo, exec_lo, s18
	s_mov_b32 s2, 0
	s_cbranch_vccnz .LBB1211_331
; %bb.323:
	v_mul_lo_u32 v37, v22, s22
	v_mul_lo_u32 v38, v21, s23
	v_mad_u64_u32 v[33:34], null, v21, s22, 0
	v_mul_lo_u32 v39, v28, s22
	v_mul_lo_u32 v40, v27, s23
	v_mad_u64_u32 v[35:36], null, v27, s22, 0
	s_mov_b32 s2, -1
	s_mov_b32 s26, exec_lo
	s_delay_alu instid0(VALU_DEP_4) | instskip(NEXT) | instid1(VALU_DEP_2)
	v_add3_u32 v34, v34, v38, v37
	v_add3_u32 v36, v36, v40, v39
	s_delay_alu instid0(VALU_DEP_2) | instskip(NEXT) | instid1(VALU_DEP_2)
	v_lshlrev_b64 v[33:34], 1, v[33:34]
	v_lshlrev_b64 v[35:36], 1, v[35:36]
	s_delay_alu instid0(VALU_DEP_2) | instskip(NEXT) | instid1(VALU_DEP_3)
	v_add_co_u32 v33, vcc_lo, s8, v33
	v_add_co_ci_u32_e32 v34, vcc_lo, s9, v34, vcc_lo
	s_delay_alu instid0(VALU_DEP_3) | instskip(NEXT) | instid1(VALU_DEP_4)
	v_add_co_u32 v35, vcc_lo, s8, v35
	v_add_co_ci_u32_e32 v36, vcc_lo, s9, v36, vcc_lo
	s_clause 0x1
	global_load_u16 v37, v[33:34], off
	global_load_u16 v38, v[35:36], off
	s_waitcnt vmcnt(1)
	v_lshlrev_b32_e32 v37, 16, v37
	s_waitcnt vmcnt(0)
	v_lshlrev_b32_e32 v38, 16, v38
	s_delay_alu instid0(VALU_DEP_1)
	v_cmpx_eq_f32_e32 v38, v37
	s_cbranch_execz .LBB1211_330
; %bb.324:
	v_add_co_u32 v33, vcc_lo, v33, 2
	v_add_co_ci_u32_e32 v34, vcc_lo, 0, v34, vcc_lo
	v_add_co_u32 v35, vcc_lo, v35, 2
	v_add_co_ci_u32_e32 v36, vcc_lo, 0, v36, vcc_lo
	s_add_u32 s4, s22, -1
	s_addc_u32 s5, s23, -1
	s_mov_b64 s[6:7], 0
	s_mov_b32 s30, 0
                                        ; implicit-def: $sgpr31
	s_set_inst_prefetch_distance 0x1
	s_branch .LBB1211_327
	.p2align	6
.LBB1211_325:                           ;   in Loop: Header=BB1211_327 Depth=1
	global_load_u16 v37, v[33:34], off
	global_load_u16 v38, v[35:36], off
	v_add_co_u32 v33, vcc_lo, v33, 2
	v_add_co_ci_u32_e32 v34, vcc_lo, 0, v34, vcc_lo
	v_add_co_u32 v35, s2, v35, 2
	s_delay_alu instid0(VALU_DEP_1)
	v_add_co_ci_u32_e64 v36, s2, 0, v36, s2
	s_add_u32 s6, s6, 1
	s_addc_u32 s7, s7, 0
	s_and_not1_b32 s2, s31, exec_lo
	s_waitcnt vmcnt(1)
	v_lshlrev_b32_e32 v37, 16, v37
	s_waitcnt vmcnt(0)
	v_lshlrev_b32_e32 v38, 16, v38
	s_delay_alu instid0(VALU_DEP_1) | instskip(SKIP_1) | instid1(SALU_CYCLE_1)
	v_cmp_neq_f32_e32 vcc_lo, v38, v37
	s_and_b32 s31, vcc_lo, exec_lo
	s_or_b32 s31, s2, s31
.LBB1211_326:                           ;   in Loop: Header=BB1211_327 Depth=1
	v_dual_mov_b32 v38, s7 :: v_dual_mov_b32 v37, s6
	s_and_b32 s2, exec_lo, s31
	s_delay_alu instid0(SALU_CYCLE_1) | instskip(NEXT) | instid1(SALU_CYCLE_1)
	s_or_b32 s30, s2, s30
	s_and_not1_b32 exec_lo, exec_lo, s30
	s_cbranch_execz .LBB1211_329
.LBB1211_327:                           ; =>This Inner Loop Header: Depth=1
	s_or_b32 s31, s31, exec_lo
	s_cmp_eq_u64 s[4:5], s[6:7]
	s_cbranch_scc0 .LBB1211_325
; %bb.328:                              ;   in Loop: Header=BB1211_327 Depth=1
	s_mov_b64 s[6:7], s[22:23]
                                        ; implicit-def: $vgpr33_vgpr34
                                        ; implicit-def: $vgpr35_vgpr36
	s_branch .LBB1211_326
.LBB1211_329:
	s_set_inst_prefetch_distance 0x2
	s_or_b32 exec_lo, exec_lo, s30
	v_cmp_gt_i64_e32 vcc_lo, s[22:23], v[37:38]
	s_or_not1_b32 s2, vcc_lo, exec_lo
.LBB1211_330:
	s_or_b32 exec_lo, exec_lo, s26
.LBB1211_331:
	s_delay_alu instid0(SALU_CYCLE_1)
	s_and_b32 s26, s2, exec_lo
.LBB1211_332:
	s_or_b32 exec_lo, exec_lo, s29
	v_or_b32_e32 v33, 3, v55
	s_mov_b32 s30, 0
	s_mov_b32 s29, 0
	s_mov_b32 s31, exec_lo
	s_delay_alu instid0(VALU_DEP_1)
	v_cmpx_gt_u32_e64 s28, v33
	s_cbranch_execz .LBB1211_343
; %bb.333:
	s_and_not1_b32 vcc_lo, exec_lo, s18
	s_mov_b32 s2, 0
	s_cbranch_vccnz .LBB1211_342
; %bb.334:
	v_mul_lo_u32 v37, v28, s22
	v_mul_lo_u32 v38, v27, s23
	v_mad_u64_u32 v[33:34], null, v27, s22, 0
	v_mul_lo_u32 v39, v26, s22
	v_mul_lo_u32 v40, v25, s23
	v_mad_u64_u32 v[35:36], null, v25, s22, 0
	s_mov_b32 s2, -1
	s_mov_b32 s29, exec_lo
	s_delay_alu instid0(VALU_DEP_4) | instskip(NEXT) | instid1(VALU_DEP_2)
	v_add3_u32 v34, v34, v38, v37
	v_add3_u32 v36, v36, v40, v39
	s_delay_alu instid0(VALU_DEP_2) | instskip(NEXT) | instid1(VALU_DEP_2)
	v_lshlrev_b64 v[33:34], 1, v[33:34]
	v_lshlrev_b64 v[35:36], 1, v[35:36]
	s_delay_alu instid0(VALU_DEP_2) | instskip(NEXT) | instid1(VALU_DEP_3)
	v_add_co_u32 v33, vcc_lo, s8, v33
	v_add_co_ci_u32_e32 v34, vcc_lo, s9, v34, vcc_lo
	s_delay_alu instid0(VALU_DEP_3) | instskip(NEXT) | instid1(VALU_DEP_4)
	v_add_co_u32 v35, vcc_lo, s8, v35
	v_add_co_ci_u32_e32 v36, vcc_lo, s9, v36, vcc_lo
	s_clause 0x1
	global_load_u16 v37, v[33:34], off
	global_load_u16 v38, v[35:36], off
	s_waitcnt vmcnt(1)
	v_lshlrev_b32_e32 v37, 16, v37
	s_waitcnt vmcnt(0)
	v_lshlrev_b32_e32 v38, 16, v38
	s_delay_alu instid0(VALU_DEP_1)
	v_cmpx_eq_f32_e32 v38, v37
	s_cbranch_execz .LBB1211_341
; %bb.335:
	v_add_co_u32 v33, vcc_lo, v33, 2
	v_add_co_ci_u32_e32 v34, vcc_lo, 0, v34, vcc_lo
	v_add_co_u32 v35, vcc_lo, v35, 2
	v_add_co_ci_u32_e32 v36, vcc_lo, 0, v36, vcc_lo
	s_add_u32 s4, s22, -1
	s_addc_u32 s5, s23, -1
	s_mov_b64 s[6:7], 0
	s_mov_b32 s33, 0
                                        ; implicit-def: $sgpr34
	s_set_inst_prefetch_distance 0x1
	s_branch .LBB1211_338
	.p2align	6
.LBB1211_336:                           ;   in Loop: Header=BB1211_338 Depth=1
	global_load_u16 v37, v[33:34], off
	global_load_u16 v38, v[35:36], off
	v_add_co_u32 v33, vcc_lo, v33, 2
	v_add_co_ci_u32_e32 v34, vcc_lo, 0, v34, vcc_lo
	v_add_co_u32 v35, s2, v35, 2
	s_delay_alu instid0(VALU_DEP_1)
	v_add_co_ci_u32_e64 v36, s2, 0, v36, s2
	s_add_u32 s6, s6, 1
	s_addc_u32 s7, s7, 0
	s_and_not1_b32 s2, s34, exec_lo
	s_waitcnt vmcnt(1)
	v_lshlrev_b32_e32 v37, 16, v37
	s_waitcnt vmcnt(0)
	v_lshlrev_b32_e32 v38, 16, v38
	s_delay_alu instid0(VALU_DEP_1) | instskip(SKIP_1) | instid1(SALU_CYCLE_1)
	v_cmp_neq_f32_e32 vcc_lo, v38, v37
	s_and_b32 s34, vcc_lo, exec_lo
	s_or_b32 s34, s2, s34
.LBB1211_337:                           ;   in Loop: Header=BB1211_338 Depth=1
	v_dual_mov_b32 v38, s7 :: v_dual_mov_b32 v37, s6
	s_and_b32 s2, exec_lo, s34
	s_delay_alu instid0(SALU_CYCLE_1) | instskip(NEXT) | instid1(SALU_CYCLE_1)
	s_or_b32 s33, s2, s33
	s_and_not1_b32 exec_lo, exec_lo, s33
	s_cbranch_execz .LBB1211_340
.LBB1211_338:                           ; =>This Inner Loop Header: Depth=1
	s_or_b32 s34, s34, exec_lo
	s_cmp_eq_u64 s[4:5], s[6:7]
	s_cbranch_scc0 .LBB1211_336
; %bb.339:                              ;   in Loop: Header=BB1211_338 Depth=1
	s_mov_b64 s[6:7], s[22:23]
                                        ; implicit-def: $vgpr33_vgpr34
                                        ; implicit-def: $vgpr35_vgpr36
	s_branch .LBB1211_337
.LBB1211_340:
	s_set_inst_prefetch_distance 0x2
	s_or_b32 exec_lo, exec_lo, s33
	v_cmp_gt_i64_e32 vcc_lo, s[22:23], v[37:38]
	s_or_not1_b32 s2, vcc_lo, exec_lo
.LBB1211_341:
	s_or_b32 exec_lo, exec_lo, s29
.LBB1211_342:
	s_delay_alu instid0(SALU_CYCLE_1)
	s_and_b32 s29, s2, exec_lo
.LBB1211_343:
	s_or_b32 exec_lo, exec_lo, s31
	v_or_b32_e32 v33, 2, v55
	s_mov_b32 s31, exec_lo
	s_delay_alu instid0(VALU_DEP_1)
	v_cmpx_gt_u32_e64 s28, v33
	s_cbranch_execz .LBB1211_354
; %bb.344:
	s_and_not1_b32 vcc_lo, exec_lo, s18
	s_mov_b32 s2, 0
	s_cbranch_vccnz .LBB1211_353
; %bb.345:
	v_mul_lo_u32 v37, v26, s22
	v_mul_lo_u32 v38, v25, s23
	v_mad_u64_u32 v[33:34], null, v25, s22, 0
	v_mul_lo_u32 v39, v32, s22
	v_mul_lo_u32 v40, v31, s23
	v_mad_u64_u32 v[35:36], null, v31, s22, 0
	s_mov_b32 s2, -1
	s_mov_b32 s30, exec_lo
	s_delay_alu instid0(VALU_DEP_4) | instskip(NEXT) | instid1(VALU_DEP_2)
	v_add3_u32 v34, v34, v38, v37
	v_add3_u32 v36, v36, v40, v39
	s_delay_alu instid0(VALU_DEP_2) | instskip(NEXT) | instid1(VALU_DEP_2)
	v_lshlrev_b64 v[33:34], 1, v[33:34]
	v_lshlrev_b64 v[35:36], 1, v[35:36]
	s_delay_alu instid0(VALU_DEP_2) | instskip(NEXT) | instid1(VALU_DEP_3)
	v_add_co_u32 v33, vcc_lo, s8, v33
	v_add_co_ci_u32_e32 v34, vcc_lo, s9, v34, vcc_lo
	s_delay_alu instid0(VALU_DEP_3) | instskip(NEXT) | instid1(VALU_DEP_4)
	v_add_co_u32 v35, vcc_lo, s8, v35
	v_add_co_ci_u32_e32 v36, vcc_lo, s9, v36, vcc_lo
	s_clause 0x1
	global_load_u16 v37, v[33:34], off
	global_load_u16 v38, v[35:36], off
	s_waitcnt vmcnt(1)
	v_lshlrev_b32_e32 v37, 16, v37
	s_waitcnt vmcnt(0)
	v_lshlrev_b32_e32 v38, 16, v38
	s_delay_alu instid0(VALU_DEP_1)
	v_cmpx_eq_f32_e32 v38, v37
	s_cbranch_execz .LBB1211_352
; %bb.346:
	v_add_co_u32 v33, vcc_lo, v33, 2
	v_add_co_ci_u32_e32 v34, vcc_lo, 0, v34, vcc_lo
	v_add_co_u32 v35, vcc_lo, v35, 2
	v_add_co_ci_u32_e32 v36, vcc_lo, 0, v36, vcc_lo
	s_add_u32 s4, s22, -1
	s_addc_u32 s5, s23, -1
	s_mov_b64 s[6:7], 0
	s_mov_b32 s33, 0
                                        ; implicit-def: $sgpr34
	s_set_inst_prefetch_distance 0x1
	s_branch .LBB1211_349
	.p2align	6
.LBB1211_347:                           ;   in Loop: Header=BB1211_349 Depth=1
	global_load_u16 v37, v[33:34], off
	global_load_u16 v38, v[35:36], off
	v_add_co_u32 v33, vcc_lo, v33, 2
	v_add_co_ci_u32_e32 v34, vcc_lo, 0, v34, vcc_lo
	v_add_co_u32 v35, s2, v35, 2
	s_delay_alu instid0(VALU_DEP_1)
	v_add_co_ci_u32_e64 v36, s2, 0, v36, s2
	s_add_u32 s6, s6, 1
	s_addc_u32 s7, s7, 0
	s_and_not1_b32 s2, s34, exec_lo
	s_waitcnt vmcnt(1)
	v_lshlrev_b32_e32 v37, 16, v37
	s_waitcnt vmcnt(0)
	v_lshlrev_b32_e32 v38, 16, v38
	s_delay_alu instid0(VALU_DEP_1) | instskip(SKIP_1) | instid1(SALU_CYCLE_1)
	v_cmp_neq_f32_e32 vcc_lo, v38, v37
	s_and_b32 s34, vcc_lo, exec_lo
	s_or_b32 s34, s2, s34
.LBB1211_348:                           ;   in Loop: Header=BB1211_349 Depth=1
	v_dual_mov_b32 v38, s7 :: v_dual_mov_b32 v37, s6
	s_and_b32 s2, exec_lo, s34
	s_delay_alu instid0(SALU_CYCLE_1) | instskip(NEXT) | instid1(SALU_CYCLE_1)
	s_or_b32 s33, s2, s33
	s_and_not1_b32 exec_lo, exec_lo, s33
	s_cbranch_execz .LBB1211_351
.LBB1211_349:                           ; =>This Inner Loop Header: Depth=1
	s_or_b32 s34, s34, exec_lo
	s_cmp_eq_u64 s[4:5], s[6:7]
	s_cbranch_scc0 .LBB1211_347
; %bb.350:                              ;   in Loop: Header=BB1211_349 Depth=1
	s_mov_b64 s[6:7], s[22:23]
                                        ; implicit-def: $vgpr33_vgpr34
                                        ; implicit-def: $vgpr35_vgpr36
	s_branch .LBB1211_348
.LBB1211_351:
	s_set_inst_prefetch_distance 0x2
	s_or_b32 exec_lo, exec_lo, s33
	v_cmp_gt_i64_e32 vcc_lo, s[22:23], v[37:38]
	s_or_not1_b32 s2, vcc_lo, exec_lo
.LBB1211_352:
	s_or_b32 exec_lo, exec_lo, s30
.LBB1211_353:
	s_delay_alu instid0(SALU_CYCLE_1)
	s_and_b32 s30, s2, exec_lo
.LBB1211_354:
	s_or_b32 exec_lo, exec_lo, s31
	v_or_b32_e32 v33, 1, v55
	s_mov_b32 s2, 0
	s_mov_b32 s31, exec_lo
	s_delay_alu instid0(VALU_DEP_1)
	v_cmpx_gt_u32_e64 s28, v33
	s_cbranch_execz .LBB1211_365
; %bb.355:
	s_and_not1_b32 vcc_lo, exec_lo, s18
	s_cbranch_vccnz .LBB1211_364
; %bb.356:
	v_mul_lo_u32 v37, v32, s22
	v_mul_lo_u32 v38, v31, s23
	v_mad_u64_u32 v[33:34], null, v31, s22, 0
	v_mul_lo_u32 v39, v30, s22
	v_mul_lo_u32 v40, v29, s23
	v_mad_u64_u32 v[35:36], null, v29, s22, 0
	s_mov_b32 s2, -1
	s_mov_b32 s33, exec_lo
	s_delay_alu instid0(VALU_DEP_4) | instskip(NEXT) | instid1(VALU_DEP_2)
	v_add3_u32 v34, v34, v38, v37
	v_add3_u32 v36, v36, v40, v39
	s_delay_alu instid0(VALU_DEP_2) | instskip(NEXT) | instid1(VALU_DEP_2)
	v_lshlrev_b64 v[33:34], 1, v[33:34]
	v_lshlrev_b64 v[35:36], 1, v[35:36]
	s_delay_alu instid0(VALU_DEP_2) | instskip(NEXT) | instid1(VALU_DEP_3)
	v_add_co_u32 v33, vcc_lo, s8, v33
	v_add_co_ci_u32_e32 v34, vcc_lo, s9, v34, vcc_lo
	s_delay_alu instid0(VALU_DEP_3) | instskip(NEXT) | instid1(VALU_DEP_4)
	v_add_co_u32 v35, vcc_lo, s8, v35
	v_add_co_ci_u32_e32 v36, vcc_lo, s9, v36, vcc_lo
	s_clause 0x1
	global_load_u16 v37, v[33:34], off
	global_load_u16 v38, v[35:36], off
	s_waitcnt vmcnt(1)
	v_lshlrev_b32_e32 v37, 16, v37
	s_waitcnt vmcnt(0)
	v_lshlrev_b32_e32 v38, 16, v38
	s_delay_alu instid0(VALU_DEP_1)
	v_cmpx_eq_f32_e32 v38, v37
	s_cbranch_execz .LBB1211_363
; %bb.357:
	v_add_co_u32 v33, vcc_lo, v33, 2
	v_add_co_ci_u32_e32 v34, vcc_lo, 0, v34, vcc_lo
	v_add_co_u32 v35, vcc_lo, v35, 2
	v_add_co_ci_u32_e32 v36, vcc_lo, 0, v36, vcc_lo
	s_add_u32 s4, s22, -1
	s_addc_u32 s5, s23, -1
	s_mov_b64 s[6:7], 0
	s_mov_b32 s34, 0
                                        ; implicit-def: $sgpr35
	s_set_inst_prefetch_distance 0x1
	s_branch .LBB1211_360
	.p2align	6
.LBB1211_358:                           ;   in Loop: Header=BB1211_360 Depth=1
	global_load_u16 v37, v[33:34], off
	global_load_u16 v38, v[35:36], off
	v_add_co_u32 v33, vcc_lo, v33, 2
	v_add_co_ci_u32_e32 v34, vcc_lo, 0, v34, vcc_lo
	v_add_co_u32 v35, s2, v35, 2
	s_delay_alu instid0(VALU_DEP_1)
	v_add_co_ci_u32_e64 v36, s2, 0, v36, s2
	s_add_u32 s6, s6, 1
	s_addc_u32 s7, s7, 0
	s_and_not1_b32 s2, s35, exec_lo
	s_waitcnt vmcnt(1)
	v_lshlrev_b32_e32 v37, 16, v37
	s_waitcnt vmcnt(0)
	v_lshlrev_b32_e32 v38, 16, v38
	s_delay_alu instid0(VALU_DEP_1) | instskip(SKIP_1) | instid1(SALU_CYCLE_1)
	v_cmp_neq_f32_e32 vcc_lo, v38, v37
	s_and_b32 s35, vcc_lo, exec_lo
	s_or_b32 s35, s2, s35
.LBB1211_359:                           ;   in Loop: Header=BB1211_360 Depth=1
	v_dual_mov_b32 v38, s7 :: v_dual_mov_b32 v37, s6
	s_and_b32 s2, exec_lo, s35
	s_delay_alu instid0(SALU_CYCLE_1) | instskip(NEXT) | instid1(SALU_CYCLE_1)
	s_or_b32 s34, s2, s34
	s_and_not1_b32 exec_lo, exec_lo, s34
	s_cbranch_execz .LBB1211_362
.LBB1211_360:                           ; =>This Inner Loop Header: Depth=1
	s_or_b32 s35, s35, exec_lo
	s_cmp_eq_u64 s[4:5], s[6:7]
	s_cbranch_scc0 .LBB1211_358
; %bb.361:                              ;   in Loop: Header=BB1211_360 Depth=1
	s_mov_b64 s[6:7], s[22:23]
                                        ; implicit-def: $vgpr33_vgpr34
                                        ; implicit-def: $vgpr35_vgpr36
	s_branch .LBB1211_359
.LBB1211_362:
	s_set_inst_prefetch_distance 0x2
	s_or_b32 exec_lo, exec_lo, s34
	v_cmp_gt_i64_e32 vcc_lo, s[22:23], v[37:38]
	s_or_not1_b32 s2, vcc_lo, exec_lo
.LBB1211_363:
	s_or_b32 exec_lo, exec_lo, s33
.LBB1211_364:
	s_delay_alu instid0(SALU_CYCLE_1)
	s_and_b32 s2, s2, exec_lo
.LBB1211_365:
	s_or_b32 exec_lo, exec_lo, s31
	v_cndmask_b32_e64 v34, 0, 1, s29
	v_cndmask_b32_e64 v35, 0, 1, s27
	;; [unrolled: 1-line block ×7, first 2 shown]
	v_lshlrev_b16 v35, 8, v35
	v_lshlrev_b16 v36, 8, v36
	;; [unrolled: 1-line block ×4, first 2 shown]
	s_mov_b32 s19, exec_lo
	v_or_b32_e32 v35, v38, v35
	v_or_b32_e32 v36, v39, v36
	;; [unrolled: 1-line block ×4, first 2 shown]
	s_waitcnt lgkmcnt(0)
	v_and_b32_e32 v34, 0xffff, v35
	v_lshlrev_b32_e32 v35, 16, v36
	v_and_b32_e32 v36, 0xffff, v37
	v_lshlrev_b32_e32 v33, 16, v33
	s_barrier
	buffer_gl0_inv
	v_or_b32_e32 v34, v34, v35
                                        ; implicit-def: $sgpr2
	v_or_b32_e32 v33, v36, v33
	v_cmpx_ne_u32_e32 0, v0
	s_cbranch_execz .LBB1211_378
; %bb.366:
	s_mov_b32 s2, 0
	s_mov_b32 s25, exec_lo
	v_cmpx_gt_u32_e64 s28, v55
	s_cbranch_execz .LBB1211_377
; %bb.367:
	s_and_not1_b32 vcc_lo, exec_lo, s18
	s_cbranch_vccnz .LBB1211_376
; %bb.368:
	v_add_nc_u32_e32 v35, -8, v55
	v_mul_lo_u32 v41, v30, s22
	v_mul_lo_u32 v42, v29, s23
	v_mad_u64_u32 v[37:38], null, v29, s22, 0
	ds_load_b64 v[35:36], v35
	s_mov_b32 s2, -1
	v_add3_u32 v38, v38, v42, v41
	s_waitcnt lgkmcnt(0)
	v_mul_lo_u32 v36, v36, s22
	v_mul_lo_u32 v43, v35, s23
	v_mad_u64_u32 v[39:40], null, v35, s22, 0
	s_delay_alu instid0(VALU_DEP_1) | instskip(SKIP_1) | instid1(VALU_DEP_2)
	v_add3_u32 v40, v40, v43, v36
	v_lshlrev_b64 v[35:36], 1, v[37:38]
	v_lshlrev_b64 v[37:38], 1, v[39:40]
	s_delay_alu instid0(VALU_DEP_2) | instskip(NEXT) | instid1(VALU_DEP_3)
	v_add_co_u32 v35, vcc_lo, s8, v35
	v_add_co_ci_u32_e32 v36, vcc_lo, s9, v36, vcc_lo
	s_delay_alu instid0(VALU_DEP_3) | instskip(NEXT) | instid1(VALU_DEP_4)
	v_add_co_u32 v37, vcc_lo, s8, v37
	v_add_co_ci_u32_e32 v38, vcc_lo, s9, v38, vcc_lo
	s_clause 0x1
	global_load_u16 v39, v[35:36], off
	global_load_u16 v40, v[37:38], off
	s_mov_b32 s8, exec_lo
	s_waitcnt vmcnt(1)
	v_lshlrev_b32_e32 v39, 16, v39
	s_waitcnt vmcnt(0)
	v_lshlrev_b32_e32 v40, 16, v40
	s_delay_alu instid0(VALU_DEP_1)
	v_cmpx_eq_f32_e32 v40, v39
	s_cbranch_execz .LBB1211_375
; %bb.369:
	v_add_co_u32 v35, vcc_lo, v35, 2
	v_add_co_ci_u32_e32 v36, vcc_lo, 0, v36, vcc_lo
	v_add_co_u32 v37, vcc_lo, v37, 2
	v_add_co_ci_u32_e32 v38, vcc_lo, 0, v38, vcc_lo
	s_add_u32 s4, s22, -1
	s_addc_u32 s5, s23, -1
	s_mov_b64 s[6:7], 0
	s_mov_b32 s9, 0
                                        ; implicit-def: $sgpr18
	s_set_inst_prefetch_distance 0x1
	s_branch .LBB1211_372
	.p2align	6
.LBB1211_370:                           ;   in Loop: Header=BB1211_372 Depth=1
	global_load_u16 v39, v[35:36], off
	global_load_u16 v40, v[37:38], off
	v_add_co_u32 v35, vcc_lo, v35, 2
	v_add_co_ci_u32_e32 v36, vcc_lo, 0, v36, vcc_lo
	v_add_co_u32 v37, s2, v37, 2
	s_delay_alu instid0(VALU_DEP_1)
	v_add_co_ci_u32_e64 v38, s2, 0, v38, s2
	s_add_u32 s6, s6, 1
	s_addc_u32 s7, s7, 0
	s_and_not1_b32 s2, s18, exec_lo
	s_waitcnt vmcnt(1)
	v_lshlrev_b32_e32 v39, 16, v39
	s_waitcnt vmcnt(0)
	v_lshlrev_b32_e32 v40, 16, v40
	s_delay_alu instid0(VALU_DEP_1) | instskip(SKIP_1) | instid1(SALU_CYCLE_1)
	v_cmp_neq_f32_e32 vcc_lo, v40, v39
	s_and_b32 s18, vcc_lo, exec_lo
	s_or_b32 s18, s2, s18
.LBB1211_371:                           ;   in Loop: Header=BB1211_372 Depth=1
	v_dual_mov_b32 v40, s7 :: v_dual_mov_b32 v39, s6
	s_and_b32 s2, exec_lo, s18
	s_delay_alu instid0(SALU_CYCLE_1) | instskip(NEXT) | instid1(SALU_CYCLE_1)
	s_or_b32 s9, s2, s9
	s_and_not1_b32 exec_lo, exec_lo, s9
	s_cbranch_execz .LBB1211_374
.LBB1211_372:                           ; =>This Inner Loop Header: Depth=1
	s_or_b32 s18, s18, exec_lo
	s_cmp_eq_u64 s[4:5], s[6:7]
	s_cbranch_scc0 .LBB1211_370
; %bb.373:                              ;   in Loop: Header=BB1211_372 Depth=1
	s_mov_b64 s[6:7], s[22:23]
                                        ; implicit-def: $vgpr35_vgpr36
                                        ; implicit-def: $vgpr37_vgpr38
	s_branch .LBB1211_371
.LBB1211_374:
	s_set_inst_prefetch_distance 0x2
	s_or_b32 exec_lo, exec_lo, s9
	v_cmp_gt_i64_e32 vcc_lo, s[22:23], v[39:40]
	s_or_not1_b32 s2, vcc_lo, exec_lo
.LBB1211_375:
	s_or_b32 exec_lo, exec_lo, s8
.LBB1211_376:
	s_delay_alu instid0(SALU_CYCLE_1)
	s_and_b32 s2, s2, exec_lo
.LBB1211_377:
	s_or_b32 exec_lo, exec_lo, s25
	s_delay_alu instid0(SALU_CYCLE_1)
	s_and_b32 s2, s2, exec_lo
	s_or_b32 s3, s3, exec_lo
.LBB1211_378:
	s_or_b32 exec_lo, exec_lo, s19
.LBB1211_379:
	s_and_saveexec_b32 s4, s3
; %bb.380:
	v_and_b32_e32 v35, 0xffffff00, v33
	v_cndmask_b32_e64 v36, 0, 1, s2
	s_delay_alu instid0(VALU_DEP_1) | instskip(NEXT) | instid1(VALU_DEP_1)
	v_or_b32_e32 v35, v36, v35
	v_and_b32_e32 v35, 0xffff, v35
	s_delay_alu instid0(VALU_DEP_1)
	v_and_or_b32 v33, 0xffff0000, v33, v35
; %bb.381:
	s_or_b32 exec_lo, exec_lo, s4
	s_delay_alu instid0(SALU_CYCLE_1)
	s_and_not1_b32 vcc_lo, exec_lo, s21
	s_cbranch_vccnz .LBB1211_383
; %bb.382:
	v_cmp_gt_u32_e32 vcc_lo, s28, v55
	v_or_b32_e32 v36, 1, v55
	v_and_b32_e32 v37, 0xffffff00, v34
	v_or_b32_e32 v38, 2, v55
	v_cndmask_b32_e32 v35, 0, v33, vcc_lo
	s_delay_alu instid0(VALU_DEP_4) | instskip(SKIP_1) | instid1(VALU_DEP_4)
	v_cmp_gt_u32_e32 vcc_lo, s28, v36
	v_or_b32_e32 v36, 4, v55
	v_cmp_gt_u32_e64 s2, s28, v38
	v_or_b32_e32 v38, 3, v55
	v_and_b32_e32 v35, 0xff, v35
	s_delay_alu instid0(VALU_DEP_2) | instskip(NEXT) | instid1(VALU_DEP_2)
	v_cmp_gt_u32_e64 s3, s28, v38
	v_cndmask_b32_e32 v35, v35, v33, vcc_lo
	v_cmp_gt_u32_e32 vcc_lo, s28, v36
	v_cndmask_b32_e32 v36, v37, v34, vcc_lo
	v_or_b32_e32 v37, 5, v55
	s_delay_alu instid0(VALU_DEP_2) | instskip(SKIP_1) | instid1(VALU_DEP_1)
	v_and_b32_e32 v36, 0xffff00ff, v36
	v_and_b32_e32 v35, 0xffff, v35
	v_cndmask_b32_e64 v35, v35, v33, s2
	s_delay_alu instid0(VALU_DEP_4) | instskip(SKIP_1) | instid1(VALU_DEP_3)
	v_cmp_gt_u32_e64 s2, s28, v37
	v_or_b32_e32 v37, 6, v55
	v_and_b32_e32 v35, 0xffffff, v35
	s_delay_alu instid0(VALU_DEP_3) | instskip(NEXT) | instid1(VALU_DEP_2)
	v_cndmask_b32_e64 v36, v36, v34, s2
	v_cndmask_b32_e64 v35, v35, v33, s3
	s_delay_alu instid0(VALU_DEP_1) | instskip(SKIP_2) | instid1(VALU_DEP_3)
	v_dual_cndmask_b32 v35, v35, v33 :: v_dual_and_b32 v36, 0xff00ffff, v36
	v_cmp_gt_u32_e32 vcc_lo, s28, v37
	v_or_b32_e32 v37, 7, v55
	v_cndmask_b32_e64 v35, v35, v33, s2
	s_delay_alu instid0(VALU_DEP_1) | instskip(NEXT) | instid1(VALU_DEP_1)
	v_dual_cndmask_b32 v36, v36, v34 :: v_dual_cndmask_b32 v35, v35, v33
	v_and_b32_e32 v36, 0xffffff, v36
	s_delay_alu instid0(VALU_DEP_4) | instskip(NEXT) | instid1(VALU_DEP_2)
	v_cmp_gt_u32_e32 vcc_lo, s28, v37
	v_dual_cndmask_b32 v34, v36, v34 :: v_dual_cndmask_b32 v33, v35, v33
.LBB1211_383:
	s_delay_alu instid0(VALU_DEP_1) | instskip(NEXT) | instid1(VALU_DEP_2)
	v_and_b32_e32 v42, 0xff, v33
	v_alignbit_b32 v35, v34, v33, 24
	v_bfe_u32 v44, v33, 8, 8
	v_bfe_u32 v46, v33, 16, 8
	v_and_b32_e32 v50, 0xff, v34
	v_bfe_u32 v52, v34, 8, 8
	v_and_b32_e32 v48, 0xff, v35
	v_add_nc_u32_e32 v35, v44, v42
	v_mbcnt_lo_u32_b32 v57, -1, 0
	v_bfe_u32 v54, v34, 16, 8
	v_lshrrev_b32_e32 v56, 24, v34
	v_lshrrev_b32_e32 v58, 5, v0
	v_add3_u32 v35, v35, v46, v48
	v_and_b32_e32 v36, 15, v57
	v_and_b32_e32 v37, 16, v57
	s_and_b32 vcc_lo, exec_lo, s24
	s_mov_b32 s9, -1
	v_add3_u32 v35, v35, v50, v52
	v_cmp_eq_u32_e64 s4, 0, v36
	v_cmp_lt_u32_e64 s2, 1, v36
	v_cmp_lt_u32_e64 s5, 3, v36
	;; [unrolled: 1-line block ×3, first 2 shown]
	v_add3_u32 v59, v35, v54, v56
	v_or_b32_e32 v35, 31, v0
	v_cmp_eq_u32_e64 s7, 0, v37
	s_waitcnt lgkmcnt(0)
	s_barrier
	buffer_gl0_inv
	v_cmp_eq_u32_e64 s6, v35, v0
	s_cbranch_vccz .LBB1211_409
; %bb.384:
	v_mov_b32_dpp v35, v59 row_shr:1 row_mask:0xf bank_mask:0xf
	s_delay_alu instid0(VALU_DEP_1) | instskip(NEXT) | instid1(VALU_DEP_1)
	v_cndmask_b32_e64 v35, v35, 0, s4
	v_add_nc_u32_e32 v35, v35, v59
	s_delay_alu instid0(VALU_DEP_1) | instskip(NEXT) | instid1(VALU_DEP_1)
	v_mov_b32_dpp v36, v35 row_shr:2 row_mask:0xf bank_mask:0xf
	v_cndmask_b32_e64 v36, 0, v36, s2
	s_delay_alu instid0(VALU_DEP_1) | instskip(NEXT) | instid1(VALU_DEP_1)
	v_add_nc_u32_e32 v35, v35, v36
	v_mov_b32_dpp v36, v35 row_shr:4 row_mask:0xf bank_mask:0xf
	s_delay_alu instid0(VALU_DEP_1) | instskip(NEXT) | instid1(VALU_DEP_1)
	v_cndmask_b32_e64 v36, 0, v36, s5
	v_add_nc_u32_e32 v35, v35, v36
	s_delay_alu instid0(VALU_DEP_1) | instskip(NEXT) | instid1(VALU_DEP_1)
	v_mov_b32_dpp v36, v35 row_shr:8 row_mask:0xf bank_mask:0xf
	v_cndmask_b32_e64 v36, 0, v36, s3
	s_delay_alu instid0(VALU_DEP_1) | instskip(SKIP_3) | instid1(VALU_DEP_1)
	v_add_nc_u32_e32 v35, v35, v36
	ds_swizzle_b32 v36, v35 offset:swizzle(BROADCAST,32,15)
	s_waitcnt lgkmcnt(0)
	v_cndmask_b32_e64 v36, v36, 0, s7
	v_add_nc_u32_e32 v35, v35, v36
	s_and_saveexec_b32 s8, s6
	s_cbranch_execz .LBB1211_386
; %bb.385:
	v_lshlrev_b32_e32 v36, 2, v58
	ds_store_b32 v36, v35
.LBB1211_386:
	s_or_b32 exec_lo, exec_lo, s8
	s_delay_alu instid0(SALU_CYCLE_1)
	s_mov_b32 s8, exec_lo
	s_waitcnt lgkmcnt(0)
	s_barrier
	buffer_gl0_inv
	v_cmpx_gt_u32_e32 16, v0
	s_cbranch_execz .LBB1211_388
; %bb.387:
	v_lshlrev_b32_e32 v36, 2, v0
	ds_load_b32 v37, v36
	s_waitcnt lgkmcnt(0)
	v_mov_b32_dpp v38, v37 row_shr:1 row_mask:0xf bank_mask:0xf
	s_delay_alu instid0(VALU_DEP_1) | instskip(NEXT) | instid1(VALU_DEP_1)
	v_cndmask_b32_e64 v38, v38, 0, s4
	v_add_nc_u32_e32 v37, v38, v37
	s_delay_alu instid0(VALU_DEP_1) | instskip(NEXT) | instid1(VALU_DEP_1)
	v_mov_b32_dpp v38, v37 row_shr:2 row_mask:0xf bank_mask:0xf
	v_cndmask_b32_e64 v38, 0, v38, s2
	s_delay_alu instid0(VALU_DEP_1) | instskip(NEXT) | instid1(VALU_DEP_1)
	v_add_nc_u32_e32 v37, v37, v38
	v_mov_b32_dpp v38, v37 row_shr:4 row_mask:0xf bank_mask:0xf
	s_delay_alu instid0(VALU_DEP_1) | instskip(NEXT) | instid1(VALU_DEP_1)
	v_cndmask_b32_e64 v38, 0, v38, s5
	v_add_nc_u32_e32 v37, v37, v38
	s_delay_alu instid0(VALU_DEP_1) | instskip(NEXT) | instid1(VALU_DEP_1)
	v_mov_b32_dpp v38, v37 row_shr:8 row_mask:0xf bank_mask:0xf
	v_cndmask_b32_e64 v38, 0, v38, s3
	s_delay_alu instid0(VALU_DEP_1)
	v_add_nc_u32_e32 v37, v37, v38
	ds_store_b32 v36, v37
.LBB1211_388:
	s_or_b32 exec_lo, exec_lo, s8
	v_cmp_gt_u32_e32 vcc_lo, 32, v0
	s_mov_b32 s9, exec_lo
	s_waitcnt lgkmcnt(0)
	s_barrier
	buffer_gl0_inv
                                        ; implicit-def: $vgpr43
	v_cmpx_lt_u32_e32 31, v0
	s_cbranch_execz .LBB1211_390
; %bb.389:
	v_lshl_add_u32 v36, v58, 2, -4
	ds_load_b32 v43, v36
	s_waitcnt lgkmcnt(0)
	v_add_nc_u32_e32 v35, v43, v35
.LBB1211_390:
	s_or_b32 exec_lo, exec_lo, s9
	v_add_nc_u32_e32 v36, -1, v57
	s_delay_alu instid0(VALU_DEP_1) | instskip(NEXT) | instid1(VALU_DEP_1)
	v_cmp_gt_i32_e64 s8, 0, v36
	v_cndmask_b32_e64 v36, v36, v57, s8
	v_cmp_eq_u32_e64 s8, 0, v57
	s_delay_alu instid0(VALU_DEP_2)
	v_lshlrev_b32_e32 v36, 2, v36
	ds_bpermute_b32 v45, v36, v35
	s_and_saveexec_b32 s9, vcc_lo
	s_cbranch_execz .LBB1211_408
; %bb.391:
	v_mov_b32_e32 v38, 0
	ds_load_b32 v35, v38 offset:60
	s_and_saveexec_b32 s18, s8
	s_cbranch_execz .LBB1211_393
; %bb.392:
	s_add_i32 s22, s15, 32
	s_mov_b32 s23, 0
	v_mov_b32_e32 v36, 1
	s_lshl_b64 s[22:23], s[22:23], 3
	s_delay_alu instid0(SALU_CYCLE_1)
	s_add_u32 s22, s10, s22
	s_addc_u32 s23, s11, s23
	s_waitcnt lgkmcnt(0)
	global_store_b64 v38, v[35:36], s[22:23]
.LBB1211_393:
	s_or_b32 exec_lo, exec_lo, s18
	v_xad_u32 v36, v57, -1, s15
	s_mov_b32 s19, 0
	s_mov_b32 s18, exec_lo
	s_delay_alu instid0(VALU_DEP_1) | instskip(NEXT) | instid1(VALU_DEP_1)
	v_add_nc_u32_e32 v37, 32, v36
	v_lshlrev_b64 v[37:38], 3, v[37:38]
	s_delay_alu instid0(VALU_DEP_1) | instskip(NEXT) | instid1(VALU_DEP_2)
	v_add_co_u32 v40, vcc_lo, s10, v37
	v_add_co_ci_u32_e32 v41, vcc_lo, s11, v38, vcc_lo
	global_load_b64 v[38:39], v[40:41], off glc
	s_waitcnt vmcnt(0)
	v_and_b32_e32 v37, 0xff, v39
	s_delay_alu instid0(VALU_DEP_1)
	v_cmpx_eq_u16_e32 0, v37
	s_cbranch_execz .LBB1211_396
.LBB1211_394:                           ; =>This Inner Loop Header: Depth=1
	global_load_b64 v[38:39], v[40:41], off glc
	s_waitcnt vmcnt(0)
	v_and_b32_e32 v37, 0xff, v39
	s_delay_alu instid0(VALU_DEP_1) | instskip(SKIP_1) | instid1(SALU_CYCLE_1)
	v_cmp_ne_u16_e32 vcc_lo, 0, v37
	s_or_b32 s19, vcc_lo, s19
	s_and_not1_b32 exec_lo, exec_lo, s19
	s_cbranch_execnz .LBB1211_394
; %bb.395:
	s_or_b32 exec_lo, exec_lo, s19
.LBB1211_396:
	s_delay_alu instid0(SALU_CYCLE_1)
	s_or_b32 exec_lo, exec_lo, s18
	v_cmp_ne_u32_e32 vcc_lo, 31, v57
	v_lshlrev_b32_e64 v49, v57, -1
	v_add_nc_u32_e32 v53, 2, v57
	v_add_nc_u32_e32 v62, 4, v57
	;; [unrolled: 1-line block ×3, first 2 shown]
	v_add_co_ci_u32_e32 v37, vcc_lo, 0, v57, vcc_lo
	v_add_nc_u32_e32 v66, 16, v57
	s_delay_alu instid0(VALU_DEP_2)
	v_lshlrev_b32_e32 v47, 2, v37
	v_and_b32_e32 v37, 0xff, v39
	ds_bpermute_b32 v40, v47, v38
	v_cmp_eq_u16_e32 vcc_lo, 2, v37
	v_and_or_b32 v37, vcc_lo, v49, 0x80000000
	v_cmp_gt_u32_e32 vcc_lo, 30, v57
	s_delay_alu instid0(VALU_DEP_2) | instskip(SKIP_1) | instid1(VALU_DEP_2)
	v_ctz_i32_b32_e32 v37, v37
	v_cndmask_b32_e64 v41, 0, 1, vcc_lo
	v_cmp_lt_u32_e32 vcc_lo, v57, v37
	s_waitcnt lgkmcnt(0)
	s_delay_alu instid0(VALU_DEP_2) | instskip(NEXT) | instid1(VALU_DEP_1)
	v_dual_cndmask_b32 v40, 0, v40 :: v_dual_lshlrev_b32 v41, 1, v41
	v_add_lshl_u32 v51, v41, v57, 2
	v_cmp_gt_u32_e32 vcc_lo, 28, v57
	s_delay_alu instid0(VALU_DEP_3) | instskip(SKIP_4) | instid1(VALU_DEP_1)
	v_add_nc_u32_e32 v38, v40, v38
	v_cndmask_b32_e64 v41, 0, 1, vcc_lo
	v_cmp_le_u32_e32 vcc_lo, v53, v37
	ds_bpermute_b32 v40, v51, v38
	v_lshlrev_b32_e32 v41, 2, v41
	v_add_lshl_u32 v60, v41, v57, 2
	s_waitcnt lgkmcnt(0)
	v_cndmask_b32_e32 v40, 0, v40, vcc_lo
	v_cmp_gt_u32_e32 vcc_lo, 24, v57
	s_delay_alu instid0(VALU_DEP_2) | instskip(SKIP_4) | instid1(VALU_DEP_1)
	v_add_nc_u32_e32 v38, v38, v40
	v_cndmask_b32_e64 v41, 0, 1, vcc_lo
	v_cmp_le_u32_e32 vcc_lo, v62, v37
	ds_bpermute_b32 v40, v60, v38
	v_lshlrev_b32_e32 v41, 3, v41
	v_add_lshl_u32 v63, v41, v57, 2
	s_waitcnt lgkmcnt(0)
	v_cndmask_b32_e32 v40, 0, v40, vcc_lo
	v_cmp_gt_u32_e32 vcc_lo, 16, v57
	s_delay_alu instid0(VALU_DEP_2) | instskip(SKIP_4) | instid1(VALU_DEP_1)
	v_add_nc_u32_e32 v38, v38, v40
	v_cndmask_b32_e64 v41, 0, 1, vcc_lo
	v_cmp_le_u32_e32 vcc_lo, v64, v37
	ds_bpermute_b32 v40, v63, v38
	v_lshlrev_b32_e32 v41, 4, v41
	v_add_lshl_u32 v65, v41, v57, 2
	s_waitcnt lgkmcnt(0)
	v_cndmask_b32_e32 v40, 0, v40, vcc_lo
	v_cmp_le_u32_e32 vcc_lo, v66, v37
	s_delay_alu instid0(VALU_DEP_2) | instskip(SKIP_3) | instid1(VALU_DEP_1)
	v_add_nc_u32_e32 v38, v38, v40
	ds_bpermute_b32 v40, v65, v38
	s_waitcnt lgkmcnt(0)
	v_cndmask_b32_e32 v37, 0, v40, vcc_lo
	v_dual_mov_b32 v37, 0 :: v_dual_add_nc_u32 v38, v38, v37
	s_branch .LBB1211_398
.LBB1211_397:                           ;   in Loop: Header=BB1211_398 Depth=1
	s_or_b32 exec_lo, exec_lo, s18
	ds_bpermute_b32 v41, v47, v38
	v_and_b32_e32 v40, 0xff, v39
	v_subrev_nc_u32_e32 v36, 32, v36
	s_delay_alu instid0(VALU_DEP_2) | instskip(SKIP_1) | instid1(VALU_DEP_1)
	v_cmp_eq_u16_e32 vcc_lo, 2, v40
	v_and_or_b32 v40, vcc_lo, v49, 0x80000000
	v_ctz_i32_b32_e32 v40, v40
	s_delay_alu instid0(VALU_DEP_1) | instskip(SKIP_3) | instid1(VALU_DEP_2)
	v_cmp_lt_u32_e32 vcc_lo, v57, v40
	s_waitcnt lgkmcnt(0)
	v_cndmask_b32_e32 v41, 0, v41, vcc_lo
	v_cmp_le_u32_e32 vcc_lo, v53, v40
	v_add_nc_u32_e32 v38, v41, v38
	ds_bpermute_b32 v41, v51, v38
	s_waitcnt lgkmcnt(0)
	v_cndmask_b32_e32 v41, 0, v41, vcc_lo
	v_cmp_le_u32_e32 vcc_lo, v62, v40
	s_delay_alu instid0(VALU_DEP_2) | instskip(SKIP_4) | instid1(VALU_DEP_2)
	v_add_nc_u32_e32 v38, v38, v41
	ds_bpermute_b32 v41, v60, v38
	s_waitcnt lgkmcnt(0)
	v_cndmask_b32_e32 v41, 0, v41, vcc_lo
	v_cmp_le_u32_e32 vcc_lo, v64, v40
	v_add_nc_u32_e32 v38, v38, v41
	ds_bpermute_b32 v41, v63, v38
	s_waitcnt lgkmcnt(0)
	v_cndmask_b32_e32 v41, 0, v41, vcc_lo
	v_cmp_le_u32_e32 vcc_lo, v66, v40
	s_delay_alu instid0(VALU_DEP_2) | instskip(SKIP_3) | instid1(VALU_DEP_1)
	v_add_nc_u32_e32 v38, v38, v41
	ds_bpermute_b32 v41, v65, v38
	s_waitcnt lgkmcnt(0)
	v_cndmask_b32_e32 v40, 0, v41, vcc_lo
	v_add3_u32 v38, v40, v61, v38
.LBB1211_398:                           ; =>This Loop Header: Depth=1
                                        ;     Child Loop BB1211_401 Depth 2
	v_and_b32_e32 v39, 0xff, v39
	s_delay_alu instid0(VALU_DEP_2) | instskip(NEXT) | instid1(VALU_DEP_2)
	v_mov_b32_e32 v61, v38
	v_cmp_ne_u16_e32 vcc_lo, 2, v39
	v_cndmask_b32_e64 v39, 0, 1, vcc_lo
	;;#ASMSTART
	;;#ASMEND
	s_delay_alu instid0(VALU_DEP_1)
	v_cmp_ne_u32_e32 vcc_lo, 0, v39
	s_cmp_lg_u32 vcc_lo, exec_lo
	s_cbranch_scc1 .LBB1211_403
; %bb.399:                              ;   in Loop: Header=BB1211_398 Depth=1
	v_lshlrev_b64 v[38:39], 3, v[36:37]
	s_mov_b32 s18, exec_lo
	s_delay_alu instid0(VALU_DEP_1) | instskip(NEXT) | instid1(VALU_DEP_2)
	v_add_co_u32 v40, vcc_lo, s10, v38
	v_add_co_ci_u32_e32 v41, vcc_lo, s11, v39, vcc_lo
	global_load_b64 v[38:39], v[40:41], off glc
	s_waitcnt vmcnt(0)
	v_and_b32_e32 v67, 0xff, v39
	s_delay_alu instid0(VALU_DEP_1)
	v_cmpx_eq_u16_e32 0, v67
	s_cbranch_execz .LBB1211_397
; %bb.400:                              ;   in Loop: Header=BB1211_398 Depth=1
	s_mov_b32 s19, 0
.LBB1211_401:                           ;   Parent Loop BB1211_398 Depth=1
                                        ; =>  This Inner Loop Header: Depth=2
	global_load_b64 v[38:39], v[40:41], off glc
	s_waitcnt vmcnt(0)
	v_and_b32_e32 v67, 0xff, v39
	s_delay_alu instid0(VALU_DEP_1) | instskip(SKIP_1) | instid1(SALU_CYCLE_1)
	v_cmp_ne_u16_e32 vcc_lo, 0, v67
	s_or_b32 s19, vcc_lo, s19
	s_and_not1_b32 exec_lo, exec_lo, s19
	s_cbranch_execnz .LBB1211_401
; %bb.402:                              ;   in Loop: Header=BB1211_398 Depth=1
	s_or_b32 exec_lo, exec_lo, s19
	s_branch .LBB1211_397
.LBB1211_403:                           ;   in Loop: Header=BB1211_398 Depth=1
                                        ; implicit-def: $vgpr38
                                        ; implicit-def: $vgpr39
	s_cbranch_execz .LBB1211_398
; %bb.404:
	s_and_saveexec_b32 s18, s8
	s_cbranch_execz .LBB1211_406
; %bb.405:
	s_add_i32 s22, s15, 32
	s_mov_b32 s23, 0
	v_dual_mov_b32 v37, 2 :: v_dual_add_nc_u32 v36, v61, v35
	s_lshl_b64 s[22:23], s[22:23], 3
	v_mov_b32_e32 v38, 0
	v_add_nc_u32_e64 v39, 0x8400, 0
	s_add_u32 s22, s10, s22
	s_addc_u32 s23, s11, s23
	global_store_b64 v38, v[36:37], s[22:23]
	ds_store_2addr_b32 v39, v35, v61 offset1:2
.LBB1211_406:
	s_or_b32 exec_lo, exec_lo, s18
	v_cmp_eq_u32_e32 vcc_lo, 0, v0
	s_and_b32 exec_lo, exec_lo, vcc_lo
	s_cbranch_execz .LBB1211_408
; %bb.407:
	v_mov_b32_e32 v35, 0
	ds_store_b32 v35, v61 offset:60
.LBB1211_408:
	s_or_b32 exec_lo, exec_lo, s9
	s_waitcnt lgkmcnt(0)
	v_cndmask_b32_e64 v36, v45, v43, s8
	v_cmp_ne_u32_e32 vcc_lo, 0, v0
	v_mov_b32_e32 v35, 0
	s_waitcnt_vscnt null, 0x0
	s_barrier
	buffer_gl0_inv
	v_cndmask_b32_e32 v36, 0, v36, vcc_lo
	ds_load_b32 v35, v35 offset:60
	s_waitcnt lgkmcnt(0)
	s_barrier
	buffer_gl0_inv
	v_add_nc_u32_e32 v53, v35, v36
	v_add_nc_u32_e64 v35, 0x8400, 0
	s_delay_alu instid0(VALU_DEP_2) | instskip(SKIP_2) | instid1(VALU_DEP_1)
	v_add_nc_u32_e32 v51, v53, v42
	ds_load_2addr_b32 v[35:36], v35 offset1:2
	v_add_nc_u32_e32 v49, v51, v44
	v_add_nc_u32_e32 v47, v49, v46
	s_delay_alu instid0(VALU_DEP_1) | instskip(NEXT) | instid1(VALU_DEP_1)
	v_add_nc_u32_e32 v45, v47, v48
	v_add_nc_u32_e32 v43, v45, v50
	s_waitcnt lgkmcnt(0)
	v_readfirstlane_b32 s8, v36
	s_delay_alu instid0(VALU_DEP_2) | instskip(NEXT) | instid1(VALU_DEP_1)
	v_add_nc_u32_e32 v41, v43, v52
	v_add_nc_u32_e32 v39, v41, v54
	v_lshrrev_b64 v[37:38], 24, v[33:34]
	s_branch .LBB1211_419
.LBB1211_409:
                                        ; implicit-def: $vgpr39
                                        ; implicit-def: $vgpr41
                                        ; implicit-def: $vgpr43
                                        ; implicit-def: $vgpr45
                                        ; implicit-def: $vgpr47
                                        ; implicit-def: $vgpr49
                                        ; implicit-def: $vgpr51
                                        ; implicit-def: $vgpr53
                                        ; implicit-def: $sgpr8
                                        ; implicit-def: $vgpr35
	v_lshrrev_b64 v[37:38], 24, v[33:34]
	s_and_b32 vcc_lo, exec_lo, s9
	s_cbranch_vccz .LBB1211_419
; %bb.410:
	v_mov_b32_dpp v35, v59 row_shr:1 row_mask:0xf bank_mask:0xf
	s_delay_alu instid0(VALU_DEP_1) | instskip(NEXT) | instid1(VALU_DEP_1)
	v_cndmask_b32_e64 v35, v35, 0, s4
	v_add_nc_u32_e32 v35, v35, v59
	s_delay_alu instid0(VALU_DEP_1) | instskip(NEXT) | instid1(VALU_DEP_1)
	v_mov_b32_dpp v36, v35 row_shr:2 row_mask:0xf bank_mask:0xf
	v_cndmask_b32_e64 v36, 0, v36, s2
	s_delay_alu instid0(VALU_DEP_1) | instskip(NEXT) | instid1(VALU_DEP_1)
	v_add_nc_u32_e32 v35, v35, v36
	v_mov_b32_dpp v36, v35 row_shr:4 row_mask:0xf bank_mask:0xf
	s_delay_alu instid0(VALU_DEP_1) | instskip(NEXT) | instid1(VALU_DEP_1)
	v_cndmask_b32_e64 v36, 0, v36, s5
	v_add_nc_u32_e32 v35, v35, v36
	s_delay_alu instid0(VALU_DEP_1) | instskip(NEXT) | instid1(VALU_DEP_1)
	v_mov_b32_dpp v36, v35 row_shr:8 row_mask:0xf bank_mask:0xf
	v_cndmask_b32_e64 v36, 0, v36, s3
	s_delay_alu instid0(VALU_DEP_1) | instskip(SKIP_3) | instid1(VALU_DEP_1)
	v_add_nc_u32_e32 v35, v35, v36
	ds_swizzle_b32 v36, v35 offset:swizzle(BROADCAST,32,15)
	s_waitcnt lgkmcnt(0)
	v_cndmask_b32_e64 v36, v36, 0, s7
	v_add_nc_u32_e32 v35, v35, v36
	s_and_saveexec_b32 s7, s6
	s_cbranch_execz .LBB1211_412
; %bb.411:
	v_lshlrev_b32_e32 v36, 2, v58
	ds_store_b32 v36, v35
.LBB1211_412:
	s_or_b32 exec_lo, exec_lo, s7
	s_delay_alu instid0(SALU_CYCLE_1)
	s_mov_b32 s6, exec_lo
	s_waitcnt lgkmcnt(0)
	s_barrier
	buffer_gl0_inv
	v_cmpx_gt_u32_e32 16, v0
	s_cbranch_execz .LBB1211_414
; %bb.413:
	v_lshlrev_b32_e32 v36, 2, v0
	ds_load_b32 v38, v36
	s_waitcnt lgkmcnt(0)
	v_mov_b32_dpp v39, v38 row_shr:1 row_mask:0xf bank_mask:0xf
	s_delay_alu instid0(VALU_DEP_1) | instskip(NEXT) | instid1(VALU_DEP_1)
	v_cndmask_b32_e64 v39, v39, 0, s4
	v_add_nc_u32_e32 v38, v39, v38
	s_delay_alu instid0(VALU_DEP_1) | instskip(NEXT) | instid1(VALU_DEP_1)
	v_mov_b32_dpp v39, v38 row_shr:2 row_mask:0xf bank_mask:0xf
	v_cndmask_b32_e64 v39, 0, v39, s2
	s_delay_alu instid0(VALU_DEP_1) | instskip(NEXT) | instid1(VALU_DEP_1)
	v_add_nc_u32_e32 v38, v38, v39
	v_mov_b32_dpp v39, v38 row_shr:4 row_mask:0xf bank_mask:0xf
	s_delay_alu instid0(VALU_DEP_1) | instskip(NEXT) | instid1(VALU_DEP_1)
	v_cndmask_b32_e64 v39, 0, v39, s5
	v_add_nc_u32_e32 v38, v38, v39
	s_delay_alu instid0(VALU_DEP_1) | instskip(NEXT) | instid1(VALU_DEP_1)
	v_mov_b32_dpp v39, v38 row_shr:8 row_mask:0xf bank_mask:0xf
	v_cndmask_b32_e64 v39, 0, v39, s3
	s_delay_alu instid0(VALU_DEP_1)
	v_add_nc_u32_e32 v38, v38, v39
	ds_store_b32 v36, v38
.LBB1211_414:
	s_or_b32 exec_lo, exec_lo, s6
	v_mov_b32_e32 v36, 0
	v_mov_b32_e32 v38, 0
	s_mov_b32 s2, exec_lo
	s_waitcnt lgkmcnt(0)
	s_barrier
	buffer_gl0_inv
	v_cmpx_lt_u32_e32 31, v0
	s_cbranch_execz .LBB1211_416
; %bb.415:
	v_lshl_add_u32 v38, v58, 2, -4
	ds_load_b32 v38, v38
.LBB1211_416:
	s_or_b32 exec_lo, exec_lo, s2
	v_add_nc_u32_e32 v39, -1, v57
	s_waitcnt lgkmcnt(0)
	v_add_nc_u32_e32 v35, v38, v35
	s_mov_b32 s8, 0
	s_delay_alu instid0(VALU_DEP_2) | instskip(SKIP_2) | instid1(VALU_DEP_2)
	v_cmp_gt_i32_e32 vcc_lo, 0, v39
	v_cndmask_b32_e32 v39, v39, v57, vcc_lo
	v_cmp_eq_u32_e32 vcc_lo, 0, v0
	v_lshlrev_b32_e32 v39, 2, v39
	ds_bpermute_b32 v39, v39, v35
	ds_load_b32 v35, v36 offset:60
	s_and_saveexec_b32 s2, vcc_lo
	s_cbranch_execz .LBB1211_418
; %bb.417:
	v_mov_b32_e32 v40, 0
	v_mov_b32_e32 v36, 2
	s_waitcnt lgkmcnt(0)
	global_store_b64 v40, v[35:36], s[10:11] offset:256
.LBB1211_418:
	s_or_b32 exec_lo, exec_lo, s2
	v_cmp_eq_u32_e64 s2, 0, v57
	s_waitcnt lgkmcnt(0)
	s_waitcnt_vscnt null, 0x0
	s_barrier
	buffer_gl0_inv
	v_cndmask_b32_e64 v36, v39, v38, s2
	s_delay_alu instid0(VALU_DEP_1) | instskip(NEXT) | instid1(VALU_DEP_1)
	v_cndmask_b32_e64 v53, v36, 0, vcc_lo
	v_add_nc_u32_e32 v51, v53, v42
	s_delay_alu instid0(VALU_DEP_1) | instskip(NEXT) | instid1(VALU_DEP_1)
	v_add_nc_u32_e32 v49, v51, v44
	v_add_nc_u32_e32 v47, v49, v46
	s_delay_alu instid0(VALU_DEP_1) | instskip(NEXT) | instid1(VALU_DEP_1)
	v_add_nc_u32_e32 v45, v47, v48
	;; [unrolled: 3-line block ×3, first 2 shown]
	v_add_nc_u32_e32 v39, v41, v54
.LBB1211_419:
	s_load_b128 s[4:7], s[0:1], 0x28
	v_add_nc_u32_e32 v59, s8, v35
	v_cmp_gt_u32_e64 s0, 0x201, v35
	v_lshrrev_b32_e32 v58, 8, v33
	v_lshrrev_b32_e32 v57, 16, v33
	;; [unrolled: 1-line block ×4, first 2 shown]
	v_cmp_lt_u32_e64 s1, v53, v59
	s_and_b32 vcc_lo, exec_lo, s0
	s_mov_b32 s2, -1
	s_cbranch_vccz .LBB1211_445
; %bb.420:
	s_delay_alu instid0(VALU_DEP_1) | instskip(NEXT) | instid1(SALU_CYCLE_1)
	s_or_b32 s2, s20, s1
	s_and_saveexec_b32 s1, s2
	s_cbranch_execz .LBB1211_423
; %bb.421:
	v_and_b32_e32 v40, 1, v33
	s_delay_alu instid0(VALU_DEP_1)
	v_cmp_eq_u32_e32 vcc_lo, 1, v40
	s_and_b32 exec_lo, exec_lo, vcc_lo
	s_cbranch_execz .LBB1211_423
; %bb.422:
	v_mov_b32_e32 v54, 0
	s_lshl_b64 s[2:3], s[12:13], 3
	s_waitcnt lgkmcnt(0)
	s_add_u32 s2, s4, s2
	s_addc_u32 s3, s5, s3
	v_lshlrev_b64 v[60:61], 3, v[53:54]
	s_delay_alu instid0(VALU_DEP_1) | instskip(NEXT) | instid1(VALU_DEP_2)
	v_add_co_u32 v60, vcc_lo, s2, v60
	v_add_co_ci_u32_e32 v61, vcc_lo, s3, v61, vcc_lo
	global_store_b64 v[60:61], v[29:30], off
.LBB1211_423:
	s_or_b32 exec_lo, exec_lo, s1
	v_cmp_lt_u32_e32 vcc_lo, v51, v59
	s_or_b32 s2, s20, vcc_lo
	s_delay_alu instid0(SALU_CYCLE_1)
	s_and_saveexec_b32 s1, s2
	s_cbranch_execz .LBB1211_426
; %bb.424:
	v_and_b32_e32 v40, 1, v58
	s_delay_alu instid0(VALU_DEP_1)
	v_cmp_eq_u32_e32 vcc_lo, 1, v40
	s_and_b32 exec_lo, exec_lo, vcc_lo
	s_cbranch_execz .LBB1211_426
; %bb.425:
	v_mov_b32_e32 v52, 0
	s_lshl_b64 s[2:3], s[12:13], 3
	s_waitcnt lgkmcnt(0)
	s_add_u32 s2, s4, s2
	s_addc_u32 s3, s5, s3
	v_lshlrev_b64 v[60:61], 3, v[51:52]
	s_delay_alu instid0(VALU_DEP_1) | instskip(NEXT) | instid1(VALU_DEP_2)
	v_add_co_u32 v60, vcc_lo, s2, v60
	v_add_co_ci_u32_e32 v61, vcc_lo, s3, v61, vcc_lo
	global_store_b64 v[60:61], v[31:32], off
.LBB1211_426:
	s_or_b32 exec_lo, exec_lo, s1
	v_cmp_lt_u32_e32 vcc_lo, v49, v59
	s_or_b32 s2, s20, vcc_lo
	s_delay_alu instid0(SALU_CYCLE_1)
	;; [unrolled: 24-line block ×7, first 2 shown]
	s_and_saveexec_b32 s1, s2
	s_cbranch_execz .LBB1211_444
; %bb.442:
	v_and_b32_e32 v40, 1, v56
	s_delay_alu instid0(VALU_DEP_1)
	v_cmp_eq_u32_e32 vcc_lo, 1, v40
	s_and_b32 exec_lo, exec_lo, vcc_lo
	s_cbranch_execz .LBB1211_444
; %bb.443:
	v_mov_b32_e32 v40, 0
	s_lshl_b64 s[2:3], s[12:13], 3
	s_waitcnt lgkmcnt(0)
	s_add_u32 s2, s4, s2
	s_addc_u32 s3, s5, s3
	v_lshlrev_b64 v[60:61], 3, v[39:40]
	s_delay_alu instid0(VALU_DEP_1) | instskip(NEXT) | instid1(VALU_DEP_2)
	v_add_co_u32 v60, vcc_lo, s2, v60
	v_add_co_ci_u32_e32 v61, vcc_lo, s3, v61, vcc_lo
	global_store_b64 v[60:61], v[19:20], off
.LBB1211_444:
	s_or_b32 exec_lo, exec_lo, s1
	s_mov_b32 s2, 0
.LBB1211_445:
	v_and_b32_e32 v33, 1, v33
	s_and_b32 vcc_lo, exec_lo, s2
	s_delay_alu instid0(VALU_DEP_1)
	v_cmp_eq_u32_e64 s1, 1, v33
	s_cbranch_vccz .LBB1211_466
; %bb.446:
	s_delay_alu instid0(VALU_DEP_1)
	s_and_saveexec_b32 s2, s1
	s_cbranch_execz .LBB1211_448
; %bb.447:
	v_subrev_nc_u32_e32 v40, s8, v53
	s_delay_alu instid0(VALU_DEP_1)
	v_lshlrev_b32_e32 v40, 3, v40
	ds_store_b64 v40, v[29:30]
.LBB1211_448:
	s_or_b32 exec_lo, exec_lo, s2
	v_and_b32_e32 v29, 1, v58
	s_mov_b32 s1, exec_lo
	s_delay_alu instid0(VALU_DEP_1)
	v_cmpx_eq_u32_e32 1, v29
	s_cbranch_execz .LBB1211_450
; %bb.449:
	v_subrev_nc_u32_e32 v29, s8, v51
	s_delay_alu instid0(VALU_DEP_1)
	v_lshlrev_b32_e32 v29, 3, v29
	ds_store_b64 v29, v[31:32]
.LBB1211_450:
	s_or_b32 exec_lo, exec_lo, s1
	v_and_b32_e32 v29, 1, v57
	s_mov_b32 s1, exec_lo
	s_delay_alu instid0(VALU_DEP_1)
	v_cmpx_eq_u32_e32 1, v29
	;; [unrolled: 12-line block ×7, first 2 shown]
	s_cbranch_execz .LBB1211_462
; %bb.461:
	v_subrev_nc_u32_e32 v17, s8, v39
	s_delay_alu instid0(VALU_DEP_1)
	v_lshlrev_b32_e32 v17, 3, v17
	ds_store_b64 v17, v[19:20]
.LBB1211_462:
	s_or_b32 exec_lo, exec_lo, s1
	s_delay_alu instid0(SALU_CYCLE_1)
	s_mov_b32 s2, exec_lo
	s_waitcnt lgkmcnt(0)
	s_waitcnt_vscnt null, 0x0
	s_barrier
	buffer_gl0_inv
	v_cmpx_lt_u32_e64 v0, v35
	s_cbranch_execz .LBB1211_465
; %bb.463:
	s_mov_b32 s9, 0
	s_lshl_b64 s[10:11], s[12:13], 3
	s_lshl_b64 s[18:19], s[8:9], 3
	v_dual_mov_b32 v19, v55 :: v_dual_mov_b32 v20, v0
	s_add_u32 s1, s10, s18
	s_addc_u32 s3, s11, s19
	s_add_u32 s1, s4, s1
	s_addc_u32 s3, s5, s3
	v_add_co_u32 v17, s1, s1, v55
	s_delay_alu instid0(VALU_DEP_1)
	v_add_co_ci_u32_e64 v18, null, s3, 0, s1
	.p2align	6
.LBB1211_464:                           ; =>This Inner Loop Header: Depth=1
	ds_load_b64 v[21:22], v19
	v_add_nc_u32_e32 v20, 0x200, v20
	v_add_nc_u32_e32 v19, 0x1000, v19
	s_delay_alu instid0(VALU_DEP_2) | instskip(SKIP_4) | instid1(VALU_DEP_1)
	v_cmp_ge_u32_e32 vcc_lo, v20, v35
	s_or_b32 s9, vcc_lo, s9
	s_waitcnt lgkmcnt(0)
	global_store_b64 v[17:18], v[21:22], off
	v_add_co_u32 v17, s1, 0x1000, v17
	v_add_co_ci_u32_e64 v18, s1, 0, v18, s1
	s_and_not1_b32 exec_lo, exec_lo, s9
	s_cbranch_execnz .LBB1211_464
.LBB1211_465:
	s_or_b32 exec_lo, exec_lo, s2
.LBB1211_466:
	s_delay_alu instid0(SALU_CYCLE_1)
	s_and_b32 vcc_lo, exec_lo, s0
	s_mov_b32 s0, -1
	s_waitcnt lgkmcnt(0)
	s_waitcnt_vscnt null, 0x0
	s_barrier
	buffer_gl0_inv
	s_cbranch_vccz .LBB1211_494
; %bb.467:
	v_cmp_lt_u32_e32 vcc_lo, v53, v59
	s_or_b32 s1, s20, vcc_lo
	s_delay_alu instid0(SALU_CYCLE_1)
	s_and_saveexec_b32 s0, s1
	s_cbranch_execz .LBB1211_470
; %bb.468:
	v_cmp_eq_u32_e32 vcc_lo, 1, v33
	s_and_b32 exec_lo, exec_lo, vcc_lo
	s_cbranch_execz .LBB1211_470
; %bb.469:
	v_mov_b32_e32 v54, 0
	s_lshl_b64 s[2:3], s[12:13], 3
	s_delay_alu instid0(SALU_CYCLE_1) | instskip(SKIP_1) | instid1(VALU_DEP_1)
	s_add_u32 s1, s6, s2
	s_addc_u32 s2, s7, s3
	v_lshlrev_b64 v[17:18], 3, v[53:54]
	s_delay_alu instid0(VALU_DEP_1) | instskip(NEXT) | instid1(VALU_DEP_2)
	v_add_co_u32 v17, vcc_lo, s1, v17
	v_add_co_ci_u32_e32 v18, vcc_lo, s2, v18, vcc_lo
	global_store_b64 v[17:18], v[13:14], off
.LBB1211_470:
	s_or_b32 exec_lo, exec_lo, s0
	v_cmp_lt_u32_e32 vcc_lo, v51, v59
	s_or_b32 s1, s20, vcc_lo
	s_delay_alu instid0(SALU_CYCLE_1)
	s_and_saveexec_b32 s0, s1
	s_cbranch_execz .LBB1211_473
; %bb.471:
	v_and_b32_e32 v17, 1, v58
	s_delay_alu instid0(VALU_DEP_1)
	v_cmp_eq_u32_e32 vcc_lo, 1, v17
	s_and_b32 exec_lo, exec_lo, vcc_lo
	s_cbranch_execz .LBB1211_473
; %bb.472:
	v_mov_b32_e32 v52, 0
	s_lshl_b64 s[2:3], s[12:13], 3
	s_delay_alu instid0(SALU_CYCLE_1) | instskip(SKIP_1) | instid1(VALU_DEP_1)
	s_add_u32 s1, s6, s2
	s_addc_u32 s2, s7, s3
	v_lshlrev_b64 v[17:18], 3, v[51:52]
	s_delay_alu instid0(VALU_DEP_1) | instskip(NEXT) | instid1(VALU_DEP_2)
	v_add_co_u32 v17, vcc_lo, s1, v17
	v_add_co_ci_u32_e32 v18, vcc_lo, s2, v18, vcc_lo
	global_store_b64 v[17:18], v[15:16], off
.LBB1211_473:
	s_or_b32 exec_lo, exec_lo, s0
	v_cmp_lt_u32_e32 vcc_lo, v49, v59
	s_or_b32 s1, s20, vcc_lo
	s_delay_alu instid0(SALU_CYCLE_1)
	s_and_saveexec_b32 s0, s1
	s_cbranch_execz .LBB1211_476
; %bb.474:
	v_and_b32_e32 v17, 1, v57
	s_delay_alu instid0(VALU_DEP_1)
	v_cmp_eq_u32_e32 vcc_lo, 1, v17
	s_and_b32 exec_lo, exec_lo, vcc_lo
	s_cbranch_execz .LBB1211_476
; %bb.475:
	v_mov_b32_e32 v50, 0
	s_lshl_b64 s[2:3], s[12:13], 3
	s_delay_alu instid0(SALU_CYCLE_1) | instskip(SKIP_1) | instid1(VALU_DEP_1)
	s_add_u32 s1, s6, s2
	s_addc_u32 s2, s7, s3
	v_lshlrev_b64 v[17:18], 3, v[49:50]
	s_delay_alu instid0(VALU_DEP_1) | instskip(NEXT) | instid1(VALU_DEP_2)
	v_add_co_u32 v17, vcc_lo, s1, v17
	v_add_co_ci_u32_e32 v18, vcc_lo, s2, v18, vcc_lo
	global_store_b64 v[17:18], v[9:10], off
.LBB1211_476:
	;; [unrolled: 24-line block ×7, first 2 shown]
	s_or_b32 exec_lo, exec_lo, s0
.LBB1211_492:
	v_cmp_eq_u32_e32 vcc_lo, 0, v0
	s_and_b32 s0, vcc_lo, s14
	s_delay_alu instid0(SALU_CYCLE_1)
	s_and_saveexec_b32 s1, s0
	s_cbranch_execz .LBB1211_515
.LBB1211_493:
	v_add_co_u32 v0, s0, s12, v35
	s_delay_alu instid0(VALU_DEP_1) | instskip(SKIP_1) | instid1(VALU_DEP_3)
	v_add_co_ci_u32_e64 v1, null, s13, 0, s0
	v_mov_b32_e32 v2, 0
	v_add_co_u32 v0, vcc_lo, v0, s8
	s_delay_alu instid0(VALU_DEP_3)
	v_add_co_ci_u32_e32 v1, vcc_lo, 0, v1, vcc_lo
	global_store_b64 v2, v[0:1], s[16:17]
	s_nop 0
	s_sendmsg sendmsg(MSG_DEALLOC_VGPRS)
	s_endpgm
.LBB1211_494:
	s_and_b32 vcc_lo, exec_lo, s0
	s_cbranch_vccz .LBB1211_492
; %bb.495:
	s_mov_b32 s0, exec_lo
	v_cmpx_eq_u32_e32 1, v33
	s_cbranch_execz .LBB1211_497
; %bb.496:
	v_subrev_nc_u32_e32 v17, s8, v53
	s_delay_alu instid0(VALU_DEP_1)
	v_lshlrev_b32_e32 v17, 3, v17
	ds_store_b64 v17, v[13:14]
.LBB1211_497:
	s_or_b32 exec_lo, exec_lo, s0
	v_and_b32_e32 v13, 1, v58
	s_mov_b32 s0, exec_lo
	s_delay_alu instid0(VALU_DEP_1)
	v_cmpx_eq_u32_e32 1, v13
	s_cbranch_execz .LBB1211_499
; %bb.498:
	v_subrev_nc_u32_e32 v13, s8, v51
	s_delay_alu instid0(VALU_DEP_1)
	v_lshlrev_b32_e32 v13, 3, v13
	ds_store_b64 v13, v[15:16]
.LBB1211_499:
	s_or_b32 exec_lo, exec_lo, s0
	v_and_b32_e32 v13, 1, v57
	s_mov_b32 s0, exec_lo
	s_delay_alu instid0(VALU_DEP_1)
	;; [unrolled: 12-line block ×7, first 2 shown]
	v_cmpx_eq_u32_e32 1, v1
	s_cbranch_execz .LBB1211_511
; %bb.510:
	v_subrev_nc_u32_e32 v1, s8, v39
	s_delay_alu instid0(VALU_DEP_1)
	v_lshlrev_b32_e32 v1, 3, v1
	ds_store_b64 v1, v[3:4]
.LBB1211_511:
	s_or_b32 exec_lo, exec_lo, s0
	s_delay_alu instid0(SALU_CYCLE_1)
	s_mov_b32 s1, exec_lo
	s_waitcnt lgkmcnt(0)
	s_waitcnt_vscnt null, 0x0
	s_barrier
	buffer_gl0_inv
	v_cmpx_lt_u32_e64 v0, v35
	s_cbranch_execz .LBB1211_514
; %bb.512:
	s_mov_b32 s9, 0
	s_lshl_b64 s[2:3], s[12:13], 3
	s_lshl_b64 s[4:5], s[8:9], 3
	v_mov_b32_e32 v3, v0
	s_add_u32 s0, s2, s4
	s_addc_u32 s2, s3, s5
	s_add_u32 s0, s6, s0
	s_addc_u32 s2, s7, s2
	v_add_co_u32 v1, s0, s0, v55
	s_delay_alu instid0(VALU_DEP_1)
	v_add_co_ci_u32_e64 v2, null, s2, 0, s0
	.p2align	6
.LBB1211_513:                           ; =>This Inner Loop Header: Depth=1
	ds_load_b64 v[4:5], v55
	v_add_nc_u32_e32 v3, 0x200, v3
	v_add_nc_u32_e32 v55, 0x1000, v55
	s_delay_alu instid0(VALU_DEP_2) | instskip(SKIP_4) | instid1(VALU_DEP_1)
	v_cmp_ge_u32_e32 vcc_lo, v3, v35
	s_or_b32 s9, vcc_lo, s9
	s_waitcnt lgkmcnt(0)
	global_store_b64 v[1:2], v[4:5], off
	v_add_co_u32 v1, s0, 0x1000, v1
	v_add_co_ci_u32_e64 v2, s0, 0, v2, s0
	s_and_not1_b32 exec_lo, exec_lo, s9
	s_cbranch_execnz .LBB1211_513
.LBB1211_514:
	s_or_b32 exec_lo, exec_lo, s1
	v_cmp_eq_u32_e32 vcc_lo, 0, v0
	s_and_b32 s0, vcc_lo, s14
	s_delay_alu instid0(SALU_CYCLE_1)
	s_and_saveexec_b32 s1, s0
	s_cbranch_execnz .LBB1211_493
.LBB1211_515:
	s_nop 0
	s_sendmsg sendmsg(MSG_DEALLOC_VGPRS)
	s_endpgm
	.section	.rodata,"a",@progbits
	.p2align	6, 0x0
	.amdhsa_kernel _ZN7rocprim17ROCPRIM_400000_NS6detail17trampoline_kernelINS0_14default_configENS1_25partition_config_selectorILNS1_17partition_subalgoE9EllbEEZZNS1_14partition_implILS5_9ELb0ES3_jPlS8_PNS0_10empty_typeENS0_5tupleIJS8_S9_EEENSB_IJS8_SA_EEENS0_18inequality_wrapperIZN2at6native12_GLOBAL__N_124unique_dim_cuda_templateIN3c108BFloat16EEESt5tupleIJNSF_6TensorESM_SM_EERKSM_lbbbEUlllE0_EEPmJS9_EEE10hipError_tPvRmT3_T4_T5_T6_T7_T9_mT8_P12ihipStream_tbDpT10_ENKUlT_T0_E_clISt17integral_constantIbLb0EES1C_EEDaS17_S18_EUlS17_E_NS1_11comp_targetILNS1_3genE9ELNS1_11target_archE1100ELNS1_3gpuE3ELNS1_3repE0EEENS1_30default_config_static_selectorELNS0_4arch9wavefront6targetE0EEEvT1_
		.amdhsa_group_segment_fixed_size 33804
		.amdhsa_private_segment_fixed_size 0
		.amdhsa_kernarg_size 120
		.amdhsa_user_sgpr_count 15
		.amdhsa_user_sgpr_dispatch_ptr 0
		.amdhsa_user_sgpr_queue_ptr 0
		.amdhsa_user_sgpr_kernarg_segment_ptr 1
		.amdhsa_user_sgpr_dispatch_id 0
		.amdhsa_user_sgpr_private_segment_size 0
		.amdhsa_wavefront_size32 1
		.amdhsa_uses_dynamic_stack 0
		.amdhsa_enable_private_segment 0
		.amdhsa_system_sgpr_workgroup_id_x 1
		.amdhsa_system_sgpr_workgroup_id_y 0
		.amdhsa_system_sgpr_workgroup_id_z 0
		.amdhsa_system_sgpr_workgroup_info 0
		.amdhsa_system_vgpr_workitem_id 0
		.amdhsa_next_free_vgpr 68
		.amdhsa_next_free_sgpr 36
		.amdhsa_reserve_vcc 1
		.amdhsa_float_round_mode_32 0
		.amdhsa_float_round_mode_16_64 0
		.amdhsa_float_denorm_mode_32 3
		.amdhsa_float_denorm_mode_16_64 3
		.amdhsa_dx10_clamp 1
		.amdhsa_ieee_mode 1
		.amdhsa_fp16_overflow 0
		.amdhsa_workgroup_processor_mode 1
		.amdhsa_memory_ordered 1
		.amdhsa_forward_progress 0
		.amdhsa_shared_vgpr_count 0
		.amdhsa_exception_fp_ieee_invalid_op 0
		.amdhsa_exception_fp_denorm_src 0
		.amdhsa_exception_fp_ieee_div_zero 0
		.amdhsa_exception_fp_ieee_overflow 0
		.amdhsa_exception_fp_ieee_underflow 0
		.amdhsa_exception_fp_ieee_inexact 0
		.amdhsa_exception_int_div_zero 0
	.end_amdhsa_kernel
	.section	.text._ZN7rocprim17ROCPRIM_400000_NS6detail17trampoline_kernelINS0_14default_configENS1_25partition_config_selectorILNS1_17partition_subalgoE9EllbEEZZNS1_14partition_implILS5_9ELb0ES3_jPlS8_PNS0_10empty_typeENS0_5tupleIJS8_S9_EEENSB_IJS8_SA_EEENS0_18inequality_wrapperIZN2at6native12_GLOBAL__N_124unique_dim_cuda_templateIN3c108BFloat16EEESt5tupleIJNSF_6TensorESM_SM_EERKSM_lbbbEUlllE0_EEPmJS9_EEE10hipError_tPvRmT3_T4_T5_T6_T7_T9_mT8_P12ihipStream_tbDpT10_ENKUlT_T0_E_clISt17integral_constantIbLb0EES1C_EEDaS17_S18_EUlS17_E_NS1_11comp_targetILNS1_3genE9ELNS1_11target_archE1100ELNS1_3gpuE3ELNS1_3repE0EEENS1_30default_config_static_selectorELNS0_4arch9wavefront6targetE0EEEvT1_,"axG",@progbits,_ZN7rocprim17ROCPRIM_400000_NS6detail17trampoline_kernelINS0_14default_configENS1_25partition_config_selectorILNS1_17partition_subalgoE9EllbEEZZNS1_14partition_implILS5_9ELb0ES3_jPlS8_PNS0_10empty_typeENS0_5tupleIJS8_S9_EEENSB_IJS8_SA_EEENS0_18inequality_wrapperIZN2at6native12_GLOBAL__N_124unique_dim_cuda_templateIN3c108BFloat16EEESt5tupleIJNSF_6TensorESM_SM_EERKSM_lbbbEUlllE0_EEPmJS9_EEE10hipError_tPvRmT3_T4_T5_T6_T7_T9_mT8_P12ihipStream_tbDpT10_ENKUlT_T0_E_clISt17integral_constantIbLb0EES1C_EEDaS17_S18_EUlS17_E_NS1_11comp_targetILNS1_3genE9ELNS1_11target_archE1100ELNS1_3gpuE3ELNS1_3repE0EEENS1_30default_config_static_selectorELNS0_4arch9wavefront6targetE0EEEvT1_,comdat
.Lfunc_end1211:
	.size	_ZN7rocprim17ROCPRIM_400000_NS6detail17trampoline_kernelINS0_14default_configENS1_25partition_config_selectorILNS1_17partition_subalgoE9EllbEEZZNS1_14partition_implILS5_9ELb0ES3_jPlS8_PNS0_10empty_typeENS0_5tupleIJS8_S9_EEENSB_IJS8_SA_EEENS0_18inequality_wrapperIZN2at6native12_GLOBAL__N_124unique_dim_cuda_templateIN3c108BFloat16EEESt5tupleIJNSF_6TensorESM_SM_EERKSM_lbbbEUlllE0_EEPmJS9_EEE10hipError_tPvRmT3_T4_T5_T6_T7_T9_mT8_P12ihipStream_tbDpT10_ENKUlT_T0_E_clISt17integral_constantIbLb0EES1C_EEDaS17_S18_EUlS17_E_NS1_11comp_targetILNS1_3genE9ELNS1_11target_archE1100ELNS1_3gpuE3ELNS1_3repE0EEENS1_30default_config_static_selectorELNS0_4arch9wavefront6targetE0EEEvT1_, .Lfunc_end1211-_ZN7rocprim17ROCPRIM_400000_NS6detail17trampoline_kernelINS0_14default_configENS1_25partition_config_selectorILNS1_17partition_subalgoE9EllbEEZZNS1_14partition_implILS5_9ELb0ES3_jPlS8_PNS0_10empty_typeENS0_5tupleIJS8_S9_EEENSB_IJS8_SA_EEENS0_18inequality_wrapperIZN2at6native12_GLOBAL__N_124unique_dim_cuda_templateIN3c108BFloat16EEESt5tupleIJNSF_6TensorESM_SM_EERKSM_lbbbEUlllE0_EEPmJS9_EEE10hipError_tPvRmT3_T4_T5_T6_T7_T9_mT8_P12ihipStream_tbDpT10_ENKUlT_T0_E_clISt17integral_constantIbLb0EES1C_EEDaS17_S18_EUlS17_E_NS1_11comp_targetILNS1_3genE9ELNS1_11target_archE1100ELNS1_3gpuE3ELNS1_3repE0EEENS1_30default_config_static_selectorELNS0_4arch9wavefront6targetE0EEEvT1_
                                        ; -- End function
	.section	.AMDGPU.csdata,"",@progbits
; Kernel info:
; codeLenInByte = 21252
; NumSgprs: 38
; NumVgprs: 68
; ScratchSize: 0
; MemoryBound: 0
; FloatMode: 240
; IeeeMode: 1
; LDSByteSize: 33804 bytes/workgroup (compile time only)
; SGPRBlocks: 4
; VGPRBlocks: 8
; NumSGPRsForWavesPerEU: 38
; NumVGPRsForWavesPerEU: 68
; Occupancy: 12
; WaveLimiterHint : 1
; COMPUTE_PGM_RSRC2:SCRATCH_EN: 0
; COMPUTE_PGM_RSRC2:USER_SGPR: 15
; COMPUTE_PGM_RSRC2:TRAP_HANDLER: 0
; COMPUTE_PGM_RSRC2:TGID_X_EN: 1
; COMPUTE_PGM_RSRC2:TGID_Y_EN: 0
; COMPUTE_PGM_RSRC2:TGID_Z_EN: 0
; COMPUTE_PGM_RSRC2:TIDIG_COMP_CNT: 0
	.section	.text._ZN7rocprim17ROCPRIM_400000_NS6detail17trampoline_kernelINS0_14default_configENS1_25partition_config_selectorILNS1_17partition_subalgoE9EllbEEZZNS1_14partition_implILS5_9ELb0ES3_jPlS8_PNS0_10empty_typeENS0_5tupleIJS8_S9_EEENSB_IJS8_SA_EEENS0_18inequality_wrapperIZN2at6native12_GLOBAL__N_124unique_dim_cuda_templateIN3c108BFloat16EEESt5tupleIJNSF_6TensorESM_SM_EERKSM_lbbbEUlllE0_EEPmJS9_EEE10hipError_tPvRmT3_T4_T5_T6_T7_T9_mT8_P12ihipStream_tbDpT10_ENKUlT_T0_E_clISt17integral_constantIbLb0EES1C_EEDaS17_S18_EUlS17_E_NS1_11comp_targetILNS1_3genE8ELNS1_11target_archE1030ELNS1_3gpuE2ELNS1_3repE0EEENS1_30default_config_static_selectorELNS0_4arch9wavefront6targetE0EEEvT1_,"axG",@progbits,_ZN7rocprim17ROCPRIM_400000_NS6detail17trampoline_kernelINS0_14default_configENS1_25partition_config_selectorILNS1_17partition_subalgoE9EllbEEZZNS1_14partition_implILS5_9ELb0ES3_jPlS8_PNS0_10empty_typeENS0_5tupleIJS8_S9_EEENSB_IJS8_SA_EEENS0_18inequality_wrapperIZN2at6native12_GLOBAL__N_124unique_dim_cuda_templateIN3c108BFloat16EEESt5tupleIJNSF_6TensorESM_SM_EERKSM_lbbbEUlllE0_EEPmJS9_EEE10hipError_tPvRmT3_T4_T5_T6_T7_T9_mT8_P12ihipStream_tbDpT10_ENKUlT_T0_E_clISt17integral_constantIbLb0EES1C_EEDaS17_S18_EUlS17_E_NS1_11comp_targetILNS1_3genE8ELNS1_11target_archE1030ELNS1_3gpuE2ELNS1_3repE0EEENS1_30default_config_static_selectorELNS0_4arch9wavefront6targetE0EEEvT1_,comdat
	.globl	_ZN7rocprim17ROCPRIM_400000_NS6detail17trampoline_kernelINS0_14default_configENS1_25partition_config_selectorILNS1_17partition_subalgoE9EllbEEZZNS1_14partition_implILS5_9ELb0ES3_jPlS8_PNS0_10empty_typeENS0_5tupleIJS8_S9_EEENSB_IJS8_SA_EEENS0_18inequality_wrapperIZN2at6native12_GLOBAL__N_124unique_dim_cuda_templateIN3c108BFloat16EEESt5tupleIJNSF_6TensorESM_SM_EERKSM_lbbbEUlllE0_EEPmJS9_EEE10hipError_tPvRmT3_T4_T5_T6_T7_T9_mT8_P12ihipStream_tbDpT10_ENKUlT_T0_E_clISt17integral_constantIbLb0EES1C_EEDaS17_S18_EUlS17_E_NS1_11comp_targetILNS1_3genE8ELNS1_11target_archE1030ELNS1_3gpuE2ELNS1_3repE0EEENS1_30default_config_static_selectorELNS0_4arch9wavefront6targetE0EEEvT1_ ; -- Begin function _ZN7rocprim17ROCPRIM_400000_NS6detail17trampoline_kernelINS0_14default_configENS1_25partition_config_selectorILNS1_17partition_subalgoE9EllbEEZZNS1_14partition_implILS5_9ELb0ES3_jPlS8_PNS0_10empty_typeENS0_5tupleIJS8_S9_EEENSB_IJS8_SA_EEENS0_18inequality_wrapperIZN2at6native12_GLOBAL__N_124unique_dim_cuda_templateIN3c108BFloat16EEESt5tupleIJNSF_6TensorESM_SM_EERKSM_lbbbEUlllE0_EEPmJS9_EEE10hipError_tPvRmT3_T4_T5_T6_T7_T9_mT8_P12ihipStream_tbDpT10_ENKUlT_T0_E_clISt17integral_constantIbLb0EES1C_EEDaS17_S18_EUlS17_E_NS1_11comp_targetILNS1_3genE8ELNS1_11target_archE1030ELNS1_3gpuE2ELNS1_3repE0EEENS1_30default_config_static_selectorELNS0_4arch9wavefront6targetE0EEEvT1_
	.p2align	8
	.type	_ZN7rocprim17ROCPRIM_400000_NS6detail17trampoline_kernelINS0_14default_configENS1_25partition_config_selectorILNS1_17partition_subalgoE9EllbEEZZNS1_14partition_implILS5_9ELb0ES3_jPlS8_PNS0_10empty_typeENS0_5tupleIJS8_S9_EEENSB_IJS8_SA_EEENS0_18inequality_wrapperIZN2at6native12_GLOBAL__N_124unique_dim_cuda_templateIN3c108BFloat16EEESt5tupleIJNSF_6TensorESM_SM_EERKSM_lbbbEUlllE0_EEPmJS9_EEE10hipError_tPvRmT3_T4_T5_T6_T7_T9_mT8_P12ihipStream_tbDpT10_ENKUlT_T0_E_clISt17integral_constantIbLb0EES1C_EEDaS17_S18_EUlS17_E_NS1_11comp_targetILNS1_3genE8ELNS1_11target_archE1030ELNS1_3gpuE2ELNS1_3repE0EEENS1_30default_config_static_selectorELNS0_4arch9wavefront6targetE0EEEvT1_,@function
_ZN7rocprim17ROCPRIM_400000_NS6detail17trampoline_kernelINS0_14default_configENS1_25partition_config_selectorILNS1_17partition_subalgoE9EllbEEZZNS1_14partition_implILS5_9ELb0ES3_jPlS8_PNS0_10empty_typeENS0_5tupleIJS8_S9_EEENSB_IJS8_SA_EEENS0_18inequality_wrapperIZN2at6native12_GLOBAL__N_124unique_dim_cuda_templateIN3c108BFloat16EEESt5tupleIJNSF_6TensorESM_SM_EERKSM_lbbbEUlllE0_EEPmJS9_EEE10hipError_tPvRmT3_T4_T5_T6_T7_T9_mT8_P12ihipStream_tbDpT10_ENKUlT_T0_E_clISt17integral_constantIbLb0EES1C_EEDaS17_S18_EUlS17_E_NS1_11comp_targetILNS1_3genE8ELNS1_11target_archE1030ELNS1_3gpuE2ELNS1_3repE0EEENS1_30default_config_static_selectorELNS0_4arch9wavefront6targetE0EEEvT1_: ; @_ZN7rocprim17ROCPRIM_400000_NS6detail17trampoline_kernelINS0_14default_configENS1_25partition_config_selectorILNS1_17partition_subalgoE9EllbEEZZNS1_14partition_implILS5_9ELb0ES3_jPlS8_PNS0_10empty_typeENS0_5tupleIJS8_S9_EEENSB_IJS8_SA_EEENS0_18inequality_wrapperIZN2at6native12_GLOBAL__N_124unique_dim_cuda_templateIN3c108BFloat16EEESt5tupleIJNSF_6TensorESM_SM_EERKSM_lbbbEUlllE0_EEPmJS9_EEE10hipError_tPvRmT3_T4_T5_T6_T7_T9_mT8_P12ihipStream_tbDpT10_ENKUlT_T0_E_clISt17integral_constantIbLb0EES1C_EEDaS17_S18_EUlS17_E_NS1_11comp_targetILNS1_3genE8ELNS1_11target_archE1030ELNS1_3gpuE2ELNS1_3repE0EEENS1_30default_config_static_selectorELNS0_4arch9wavefront6targetE0EEEvT1_
; %bb.0:
	.section	.rodata,"a",@progbits
	.p2align	6, 0x0
	.amdhsa_kernel _ZN7rocprim17ROCPRIM_400000_NS6detail17trampoline_kernelINS0_14default_configENS1_25partition_config_selectorILNS1_17partition_subalgoE9EllbEEZZNS1_14partition_implILS5_9ELb0ES3_jPlS8_PNS0_10empty_typeENS0_5tupleIJS8_S9_EEENSB_IJS8_SA_EEENS0_18inequality_wrapperIZN2at6native12_GLOBAL__N_124unique_dim_cuda_templateIN3c108BFloat16EEESt5tupleIJNSF_6TensorESM_SM_EERKSM_lbbbEUlllE0_EEPmJS9_EEE10hipError_tPvRmT3_T4_T5_T6_T7_T9_mT8_P12ihipStream_tbDpT10_ENKUlT_T0_E_clISt17integral_constantIbLb0EES1C_EEDaS17_S18_EUlS17_E_NS1_11comp_targetILNS1_3genE8ELNS1_11target_archE1030ELNS1_3gpuE2ELNS1_3repE0EEENS1_30default_config_static_selectorELNS0_4arch9wavefront6targetE0EEEvT1_
		.amdhsa_group_segment_fixed_size 0
		.amdhsa_private_segment_fixed_size 0
		.amdhsa_kernarg_size 120
		.amdhsa_user_sgpr_count 15
		.amdhsa_user_sgpr_dispatch_ptr 0
		.amdhsa_user_sgpr_queue_ptr 0
		.amdhsa_user_sgpr_kernarg_segment_ptr 1
		.amdhsa_user_sgpr_dispatch_id 0
		.amdhsa_user_sgpr_private_segment_size 0
		.amdhsa_wavefront_size32 1
		.amdhsa_uses_dynamic_stack 0
		.amdhsa_enable_private_segment 0
		.amdhsa_system_sgpr_workgroup_id_x 1
		.amdhsa_system_sgpr_workgroup_id_y 0
		.amdhsa_system_sgpr_workgroup_id_z 0
		.amdhsa_system_sgpr_workgroup_info 0
		.amdhsa_system_vgpr_workitem_id 0
		.amdhsa_next_free_vgpr 1
		.amdhsa_next_free_sgpr 1
		.amdhsa_reserve_vcc 0
		.amdhsa_float_round_mode_32 0
		.amdhsa_float_round_mode_16_64 0
		.amdhsa_float_denorm_mode_32 3
		.amdhsa_float_denorm_mode_16_64 3
		.amdhsa_dx10_clamp 1
		.amdhsa_ieee_mode 1
		.amdhsa_fp16_overflow 0
		.amdhsa_workgroup_processor_mode 1
		.amdhsa_memory_ordered 1
		.amdhsa_forward_progress 0
		.amdhsa_shared_vgpr_count 0
		.amdhsa_exception_fp_ieee_invalid_op 0
		.amdhsa_exception_fp_denorm_src 0
		.amdhsa_exception_fp_ieee_div_zero 0
		.amdhsa_exception_fp_ieee_overflow 0
		.amdhsa_exception_fp_ieee_underflow 0
		.amdhsa_exception_fp_ieee_inexact 0
		.amdhsa_exception_int_div_zero 0
	.end_amdhsa_kernel
	.section	.text._ZN7rocprim17ROCPRIM_400000_NS6detail17trampoline_kernelINS0_14default_configENS1_25partition_config_selectorILNS1_17partition_subalgoE9EllbEEZZNS1_14partition_implILS5_9ELb0ES3_jPlS8_PNS0_10empty_typeENS0_5tupleIJS8_S9_EEENSB_IJS8_SA_EEENS0_18inequality_wrapperIZN2at6native12_GLOBAL__N_124unique_dim_cuda_templateIN3c108BFloat16EEESt5tupleIJNSF_6TensorESM_SM_EERKSM_lbbbEUlllE0_EEPmJS9_EEE10hipError_tPvRmT3_T4_T5_T6_T7_T9_mT8_P12ihipStream_tbDpT10_ENKUlT_T0_E_clISt17integral_constantIbLb0EES1C_EEDaS17_S18_EUlS17_E_NS1_11comp_targetILNS1_3genE8ELNS1_11target_archE1030ELNS1_3gpuE2ELNS1_3repE0EEENS1_30default_config_static_selectorELNS0_4arch9wavefront6targetE0EEEvT1_,"axG",@progbits,_ZN7rocprim17ROCPRIM_400000_NS6detail17trampoline_kernelINS0_14default_configENS1_25partition_config_selectorILNS1_17partition_subalgoE9EllbEEZZNS1_14partition_implILS5_9ELb0ES3_jPlS8_PNS0_10empty_typeENS0_5tupleIJS8_S9_EEENSB_IJS8_SA_EEENS0_18inequality_wrapperIZN2at6native12_GLOBAL__N_124unique_dim_cuda_templateIN3c108BFloat16EEESt5tupleIJNSF_6TensorESM_SM_EERKSM_lbbbEUlllE0_EEPmJS9_EEE10hipError_tPvRmT3_T4_T5_T6_T7_T9_mT8_P12ihipStream_tbDpT10_ENKUlT_T0_E_clISt17integral_constantIbLb0EES1C_EEDaS17_S18_EUlS17_E_NS1_11comp_targetILNS1_3genE8ELNS1_11target_archE1030ELNS1_3gpuE2ELNS1_3repE0EEENS1_30default_config_static_selectorELNS0_4arch9wavefront6targetE0EEEvT1_,comdat
.Lfunc_end1212:
	.size	_ZN7rocprim17ROCPRIM_400000_NS6detail17trampoline_kernelINS0_14default_configENS1_25partition_config_selectorILNS1_17partition_subalgoE9EllbEEZZNS1_14partition_implILS5_9ELb0ES3_jPlS8_PNS0_10empty_typeENS0_5tupleIJS8_S9_EEENSB_IJS8_SA_EEENS0_18inequality_wrapperIZN2at6native12_GLOBAL__N_124unique_dim_cuda_templateIN3c108BFloat16EEESt5tupleIJNSF_6TensorESM_SM_EERKSM_lbbbEUlllE0_EEPmJS9_EEE10hipError_tPvRmT3_T4_T5_T6_T7_T9_mT8_P12ihipStream_tbDpT10_ENKUlT_T0_E_clISt17integral_constantIbLb0EES1C_EEDaS17_S18_EUlS17_E_NS1_11comp_targetILNS1_3genE8ELNS1_11target_archE1030ELNS1_3gpuE2ELNS1_3repE0EEENS1_30default_config_static_selectorELNS0_4arch9wavefront6targetE0EEEvT1_, .Lfunc_end1212-_ZN7rocprim17ROCPRIM_400000_NS6detail17trampoline_kernelINS0_14default_configENS1_25partition_config_selectorILNS1_17partition_subalgoE9EllbEEZZNS1_14partition_implILS5_9ELb0ES3_jPlS8_PNS0_10empty_typeENS0_5tupleIJS8_S9_EEENSB_IJS8_SA_EEENS0_18inequality_wrapperIZN2at6native12_GLOBAL__N_124unique_dim_cuda_templateIN3c108BFloat16EEESt5tupleIJNSF_6TensorESM_SM_EERKSM_lbbbEUlllE0_EEPmJS9_EEE10hipError_tPvRmT3_T4_T5_T6_T7_T9_mT8_P12ihipStream_tbDpT10_ENKUlT_T0_E_clISt17integral_constantIbLb0EES1C_EEDaS17_S18_EUlS17_E_NS1_11comp_targetILNS1_3genE8ELNS1_11target_archE1030ELNS1_3gpuE2ELNS1_3repE0EEENS1_30default_config_static_selectorELNS0_4arch9wavefront6targetE0EEEvT1_
                                        ; -- End function
	.section	.AMDGPU.csdata,"",@progbits
; Kernel info:
; codeLenInByte = 0
; NumSgprs: 0
; NumVgprs: 0
; ScratchSize: 0
; MemoryBound: 0
; FloatMode: 240
; IeeeMode: 1
; LDSByteSize: 0 bytes/workgroup (compile time only)
; SGPRBlocks: 0
; VGPRBlocks: 0
; NumSGPRsForWavesPerEU: 1
; NumVGPRsForWavesPerEU: 1
; Occupancy: 16
; WaveLimiterHint : 0
; COMPUTE_PGM_RSRC2:SCRATCH_EN: 0
; COMPUTE_PGM_RSRC2:USER_SGPR: 15
; COMPUTE_PGM_RSRC2:TRAP_HANDLER: 0
; COMPUTE_PGM_RSRC2:TGID_X_EN: 1
; COMPUTE_PGM_RSRC2:TGID_Y_EN: 0
; COMPUTE_PGM_RSRC2:TGID_Z_EN: 0
; COMPUTE_PGM_RSRC2:TIDIG_COMP_CNT: 0
	.section	.text._ZN7rocprim17ROCPRIM_400000_NS6detail17trampoline_kernelINS0_14default_configENS1_25partition_config_selectorILNS1_17partition_subalgoE9EllbEEZZNS1_14partition_implILS5_9ELb0ES3_jPlS8_PNS0_10empty_typeENS0_5tupleIJS8_S9_EEENSB_IJS8_SA_EEENS0_18inequality_wrapperIZN2at6native12_GLOBAL__N_124unique_dim_cuda_templateIN3c108BFloat16EEESt5tupleIJNSF_6TensorESM_SM_EERKSM_lbbbEUlllE0_EEPmJS9_EEE10hipError_tPvRmT3_T4_T5_T6_T7_T9_mT8_P12ihipStream_tbDpT10_ENKUlT_T0_E_clISt17integral_constantIbLb1EES1C_EEDaS17_S18_EUlS17_E_NS1_11comp_targetILNS1_3genE0ELNS1_11target_archE4294967295ELNS1_3gpuE0ELNS1_3repE0EEENS1_30default_config_static_selectorELNS0_4arch9wavefront6targetE0EEEvT1_,"axG",@progbits,_ZN7rocprim17ROCPRIM_400000_NS6detail17trampoline_kernelINS0_14default_configENS1_25partition_config_selectorILNS1_17partition_subalgoE9EllbEEZZNS1_14partition_implILS5_9ELb0ES3_jPlS8_PNS0_10empty_typeENS0_5tupleIJS8_S9_EEENSB_IJS8_SA_EEENS0_18inequality_wrapperIZN2at6native12_GLOBAL__N_124unique_dim_cuda_templateIN3c108BFloat16EEESt5tupleIJNSF_6TensorESM_SM_EERKSM_lbbbEUlllE0_EEPmJS9_EEE10hipError_tPvRmT3_T4_T5_T6_T7_T9_mT8_P12ihipStream_tbDpT10_ENKUlT_T0_E_clISt17integral_constantIbLb1EES1C_EEDaS17_S18_EUlS17_E_NS1_11comp_targetILNS1_3genE0ELNS1_11target_archE4294967295ELNS1_3gpuE0ELNS1_3repE0EEENS1_30default_config_static_selectorELNS0_4arch9wavefront6targetE0EEEvT1_,comdat
	.globl	_ZN7rocprim17ROCPRIM_400000_NS6detail17trampoline_kernelINS0_14default_configENS1_25partition_config_selectorILNS1_17partition_subalgoE9EllbEEZZNS1_14partition_implILS5_9ELb0ES3_jPlS8_PNS0_10empty_typeENS0_5tupleIJS8_S9_EEENSB_IJS8_SA_EEENS0_18inequality_wrapperIZN2at6native12_GLOBAL__N_124unique_dim_cuda_templateIN3c108BFloat16EEESt5tupleIJNSF_6TensorESM_SM_EERKSM_lbbbEUlllE0_EEPmJS9_EEE10hipError_tPvRmT3_T4_T5_T6_T7_T9_mT8_P12ihipStream_tbDpT10_ENKUlT_T0_E_clISt17integral_constantIbLb1EES1C_EEDaS17_S18_EUlS17_E_NS1_11comp_targetILNS1_3genE0ELNS1_11target_archE4294967295ELNS1_3gpuE0ELNS1_3repE0EEENS1_30default_config_static_selectorELNS0_4arch9wavefront6targetE0EEEvT1_ ; -- Begin function _ZN7rocprim17ROCPRIM_400000_NS6detail17trampoline_kernelINS0_14default_configENS1_25partition_config_selectorILNS1_17partition_subalgoE9EllbEEZZNS1_14partition_implILS5_9ELb0ES3_jPlS8_PNS0_10empty_typeENS0_5tupleIJS8_S9_EEENSB_IJS8_SA_EEENS0_18inequality_wrapperIZN2at6native12_GLOBAL__N_124unique_dim_cuda_templateIN3c108BFloat16EEESt5tupleIJNSF_6TensorESM_SM_EERKSM_lbbbEUlllE0_EEPmJS9_EEE10hipError_tPvRmT3_T4_T5_T6_T7_T9_mT8_P12ihipStream_tbDpT10_ENKUlT_T0_E_clISt17integral_constantIbLb1EES1C_EEDaS17_S18_EUlS17_E_NS1_11comp_targetILNS1_3genE0ELNS1_11target_archE4294967295ELNS1_3gpuE0ELNS1_3repE0EEENS1_30default_config_static_selectorELNS0_4arch9wavefront6targetE0EEEvT1_
	.p2align	8
	.type	_ZN7rocprim17ROCPRIM_400000_NS6detail17trampoline_kernelINS0_14default_configENS1_25partition_config_selectorILNS1_17partition_subalgoE9EllbEEZZNS1_14partition_implILS5_9ELb0ES3_jPlS8_PNS0_10empty_typeENS0_5tupleIJS8_S9_EEENSB_IJS8_SA_EEENS0_18inequality_wrapperIZN2at6native12_GLOBAL__N_124unique_dim_cuda_templateIN3c108BFloat16EEESt5tupleIJNSF_6TensorESM_SM_EERKSM_lbbbEUlllE0_EEPmJS9_EEE10hipError_tPvRmT3_T4_T5_T6_T7_T9_mT8_P12ihipStream_tbDpT10_ENKUlT_T0_E_clISt17integral_constantIbLb1EES1C_EEDaS17_S18_EUlS17_E_NS1_11comp_targetILNS1_3genE0ELNS1_11target_archE4294967295ELNS1_3gpuE0ELNS1_3repE0EEENS1_30default_config_static_selectorELNS0_4arch9wavefront6targetE0EEEvT1_,@function
_ZN7rocprim17ROCPRIM_400000_NS6detail17trampoline_kernelINS0_14default_configENS1_25partition_config_selectorILNS1_17partition_subalgoE9EllbEEZZNS1_14partition_implILS5_9ELb0ES3_jPlS8_PNS0_10empty_typeENS0_5tupleIJS8_S9_EEENSB_IJS8_SA_EEENS0_18inequality_wrapperIZN2at6native12_GLOBAL__N_124unique_dim_cuda_templateIN3c108BFloat16EEESt5tupleIJNSF_6TensorESM_SM_EERKSM_lbbbEUlllE0_EEPmJS9_EEE10hipError_tPvRmT3_T4_T5_T6_T7_T9_mT8_P12ihipStream_tbDpT10_ENKUlT_T0_E_clISt17integral_constantIbLb1EES1C_EEDaS17_S18_EUlS17_E_NS1_11comp_targetILNS1_3genE0ELNS1_11target_archE4294967295ELNS1_3gpuE0ELNS1_3repE0EEENS1_30default_config_static_selectorELNS0_4arch9wavefront6targetE0EEEvT1_: ; @_ZN7rocprim17ROCPRIM_400000_NS6detail17trampoline_kernelINS0_14default_configENS1_25partition_config_selectorILNS1_17partition_subalgoE9EllbEEZZNS1_14partition_implILS5_9ELb0ES3_jPlS8_PNS0_10empty_typeENS0_5tupleIJS8_S9_EEENSB_IJS8_SA_EEENS0_18inequality_wrapperIZN2at6native12_GLOBAL__N_124unique_dim_cuda_templateIN3c108BFloat16EEESt5tupleIJNSF_6TensorESM_SM_EERKSM_lbbbEUlllE0_EEPmJS9_EEE10hipError_tPvRmT3_T4_T5_T6_T7_T9_mT8_P12ihipStream_tbDpT10_ENKUlT_T0_E_clISt17integral_constantIbLb1EES1C_EEDaS17_S18_EUlS17_E_NS1_11comp_targetILNS1_3genE0ELNS1_11target_archE4294967295ELNS1_3gpuE0ELNS1_3repE0EEENS1_30default_config_static_selectorELNS0_4arch9wavefront6targetE0EEEvT1_
; %bb.0:
	.section	.rodata,"a",@progbits
	.p2align	6, 0x0
	.amdhsa_kernel _ZN7rocprim17ROCPRIM_400000_NS6detail17trampoline_kernelINS0_14default_configENS1_25partition_config_selectorILNS1_17partition_subalgoE9EllbEEZZNS1_14partition_implILS5_9ELb0ES3_jPlS8_PNS0_10empty_typeENS0_5tupleIJS8_S9_EEENSB_IJS8_SA_EEENS0_18inequality_wrapperIZN2at6native12_GLOBAL__N_124unique_dim_cuda_templateIN3c108BFloat16EEESt5tupleIJNSF_6TensorESM_SM_EERKSM_lbbbEUlllE0_EEPmJS9_EEE10hipError_tPvRmT3_T4_T5_T6_T7_T9_mT8_P12ihipStream_tbDpT10_ENKUlT_T0_E_clISt17integral_constantIbLb1EES1C_EEDaS17_S18_EUlS17_E_NS1_11comp_targetILNS1_3genE0ELNS1_11target_archE4294967295ELNS1_3gpuE0ELNS1_3repE0EEENS1_30default_config_static_selectorELNS0_4arch9wavefront6targetE0EEEvT1_
		.amdhsa_group_segment_fixed_size 0
		.amdhsa_private_segment_fixed_size 0
		.amdhsa_kernarg_size 136
		.amdhsa_user_sgpr_count 15
		.amdhsa_user_sgpr_dispatch_ptr 0
		.amdhsa_user_sgpr_queue_ptr 0
		.amdhsa_user_sgpr_kernarg_segment_ptr 1
		.amdhsa_user_sgpr_dispatch_id 0
		.amdhsa_user_sgpr_private_segment_size 0
		.amdhsa_wavefront_size32 1
		.amdhsa_uses_dynamic_stack 0
		.amdhsa_enable_private_segment 0
		.amdhsa_system_sgpr_workgroup_id_x 1
		.amdhsa_system_sgpr_workgroup_id_y 0
		.amdhsa_system_sgpr_workgroup_id_z 0
		.amdhsa_system_sgpr_workgroup_info 0
		.amdhsa_system_vgpr_workitem_id 0
		.amdhsa_next_free_vgpr 1
		.amdhsa_next_free_sgpr 1
		.amdhsa_reserve_vcc 0
		.amdhsa_float_round_mode_32 0
		.amdhsa_float_round_mode_16_64 0
		.amdhsa_float_denorm_mode_32 3
		.amdhsa_float_denorm_mode_16_64 3
		.amdhsa_dx10_clamp 1
		.amdhsa_ieee_mode 1
		.amdhsa_fp16_overflow 0
		.amdhsa_workgroup_processor_mode 1
		.amdhsa_memory_ordered 1
		.amdhsa_forward_progress 0
		.amdhsa_shared_vgpr_count 0
		.amdhsa_exception_fp_ieee_invalid_op 0
		.amdhsa_exception_fp_denorm_src 0
		.amdhsa_exception_fp_ieee_div_zero 0
		.amdhsa_exception_fp_ieee_overflow 0
		.amdhsa_exception_fp_ieee_underflow 0
		.amdhsa_exception_fp_ieee_inexact 0
		.amdhsa_exception_int_div_zero 0
	.end_amdhsa_kernel
	.section	.text._ZN7rocprim17ROCPRIM_400000_NS6detail17trampoline_kernelINS0_14default_configENS1_25partition_config_selectorILNS1_17partition_subalgoE9EllbEEZZNS1_14partition_implILS5_9ELb0ES3_jPlS8_PNS0_10empty_typeENS0_5tupleIJS8_S9_EEENSB_IJS8_SA_EEENS0_18inequality_wrapperIZN2at6native12_GLOBAL__N_124unique_dim_cuda_templateIN3c108BFloat16EEESt5tupleIJNSF_6TensorESM_SM_EERKSM_lbbbEUlllE0_EEPmJS9_EEE10hipError_tPvRmT3_T4_T5_T6_T7_T9_mT8_P12ihipStream_tbDpT10_ENKUlT_T0_E_clISt17integral_constantIbLb1EES1C_EEDaS17_S18_EUlS17_E_NS1_11comp_targetILNS1_3genE0ELNS1_11target_archE4294967295ELNS1_3gpuE0ELNS1_3repE0EEENS1_30default_config_static_selectorELNS0_4arch9wavefront6targetE0EEEvT1_,"axG",@progbits,_ZN7rocprim17ROCPRIM_400000_NS6detail17trampoline_kernelINS0_14default_configENS1_25partition_config_selectorILNS1_17partition_subalgoE9EllbEEZZNS1_14partition_implILS5_9ELb0ES3_jPlS8_PNS0_10empty_typeENS0_5tupleIJS8_S9_EEENSB_IJS8_SA_EEENS0_18inequality_wrapperIZN2at6native12_GLOBAL__N_124unique_dim_cuda_templateIN3c108BFloat16EEESt5tupleIJNSF_6TensorESM_SM_EERKSM_lbbbEUlllE0_EEPmJS9_EEE10hipError_tPvRmT3_T4_T5_T6_T7_T9_mT8_P12ihipStream_tbDpT10_ENKUlT_T0_E_clISt17integral_constantIbLb1EES1C_EEDaS17_S18_EUlS17_E_NS1_11comp_targetILNS1_3genE0ELNS1_11target_archE4294967295ELNS1_3gpuE0ELNS1_3repE0EEENS1_30default_config_static_selectorELNS0_4arch9wavefront6targetE0EEEvT1_,comdat
.Lfunc_end1213:
	.size	_ZN7rocprim17ROCPRIM_400000_NS6detail17trampoline_kernelINS0_14default_configENS1_25partition_config_selectorILNS1_17partition_subalgoE9EllbEEZZNS1_14partition_implILS5_9ELb0ES3_jPlS8_PNS0_10empty_typeENS0_5tupleIJS8_S9_EEENSB_IJS8_SA_EEENS0_18inequality_wrapperIZN2at6native12_GLOBAL__N_124unique_dim_cuda_templateIN3c108BFloat16EEESt5tupleIJNSF_6TensorESM_SM_EERKSM_lbbbEUlllE0_EEPmJS9_EEE10hipError_tPvRmT3_T4_T5_T6_T7_T9_mT8_P12ihipStream_tbDpT10_ENKUlT_T0_E_clISt17integral_constantIbLb1EES1C_EEDaS17_S18_EUlS17_E_NS1_11comp_targetILNS1_3genE0ELNS1_11target_archE4294967295ELNS1_3gpuE0ELNS1_3repE0EEENS1_30default_config_static_selectorELNS0_4arch9wavefront6targetE0EEEvT1_, .Lfunc_end1213-_ZN7rocprim17ROCPRIM_400000_NS6detail17trampoline_kernelINS0_14default_configENS1_25partition_config_selectorILNS1_17partition_subalgoE9EllbEEZZNS1_14partition_implILS5_9ELb0ES3_jPlS8_PNS0_10empty_typeENS0_5tupleIJS8_S9_EEENSB_IJS8_SA_EEENS0_18inequality_wrapperIZN2at6native12_GLOBAL__N_124unique_dim_cuda_templateIN3c108BFloat16EEESt5tupleIJNSF_6TensorESM_SM_EERKSM_lbbbEUlllE0_EEPmJS9_EEE10hipError_tPvRmT3_T4_T5_T6_T7_T9_mT8_P12ihipStream_tbDpT10_ENKUlT_T0_E_clISt17integral_constantIbLb1EES1C_EEDaS17_S18_EUlS17_E_NS1_11comp_targetILNS1_3genE0ELNS1_11target_archE4294967295ELNS1_3gpuE0ELNS1_3repE0EEENS1_30default_config_static_selectorELNS0_4arch9wavefront6targetE0EEEvT1_
                                        ; -- End function
	.section	.AMDGPU.csdata,"",@progbits
; Kernel info:
; codeLenInByte = 0
; NumSgprs: 0
; NumVgprs: 0
; ScratchSize: 0
; MemoryBound: 0
; FloatMode: 240
; IeeeMode: 1
; LDSByteSize: 0 bytes/workgroup (compile time only)
; SGPRBlocks: 0
; VGPRBlocks: 0
; NumSGPRsForWavesPerEU: 1
; NumVGPRsForWavesPerEU: 1
; Occupancy: 16
; WaveLimiterHint : 0
; COMPUTE_PGM_RSRC2:SCRATCH_EN: 0
; COMPUTE_PGM_RSRC2:USER_SGPR: 15
; COMPUTE_PGM_RSRC2:TRAP_HANDLER: 0
; COMPUTE_PGM_RSRC2:TGID_X_EN: 1
; COMPUTE_PGM_RSRC2:TGID_Y_EN: 0
; COMPUTE_PGM_RSRC2:TGID_Z_EN: 0
; COMPUTE_PGM_RSRC2:TIDIG_COMP_CNT: 0
	.section	.text._ZN7rocprim17ROCPRIM_400000_NS6detail17trampoline_kernelINS0_14default_configENS1_25partition_config_selectorILNS1_17partition_subalgoE9EllbEEZZNS1_14partition_implILS5_9ELb0ES3_jPlS8_PNS0_10empty_typeENS0_5tupleIJS8_S9_EEENSB_IJS8_SA_EEENS0_18inequality_wrapperIZN2at6native12_GLOBAL__N_124unique_dim_cuda_templateIN3c108BFloat16EEESt5tupleIJNSF_6TensorESM_SM_EERKSM_lbbbEUlllE0_EEPmJS9_EEE10hipError_tPvRmT3_T4_T5_T6_T7_T9_mT8_P12ihipStream_tbDpT10_ENKUlT_T0_E_clISt17integral_constantIbLb1EES1C_EEDaS17_S18_EUlS17_E_NS1_11comp_targetILNS1_3genE5ELNS1_11target_archE942ELNS1_3gpuE9ELNS1_3repE0EEENS1_30default_config_static_selectorELNS0_4arch9wavefront6targetE0EEEvT1_,"axG",@progbits,_ZN7rocprim17ROCPRIM_400000_NS6detail17trampoline_kernelINS0_14default_configENS1_25partition_config_selectorILNS1_17partition_subalgoE9EllbEEZZNS1_14partition_implILS5_9ELb0ES3_jPlS8_PNS0_10empty_typeENS0_5tupleIJS8_S9_EEENSB_IJS8_SA_EEENS0_18inequality_wrapperIZN2at6native12_GLOBAL__N_124unique_dim_cuda_templateIN3c108BFloat16EEESt5tupleIJNSF_6TensorESM_SM_EERKSM_lbbbEUlllE0_EEPmJS9_EEE10hipError_tPvRmT3_T4_T5_T6_T7_T9_mT8_P12ihipStream_tbDpT10_ENKUlT_T0_E_clISt17integral_constantIbLb1EES1C_EEDaS17_S18_EUlS17_E_NS1_11comp_targetILNS1_3genE5ELNS1_11target_archE942ELNS1_3gpuE9ELNS1_3repE0EEENS1_30default_config_static_selectorELNS0_4arch9wavefront6targetE0EEEvT1_,comdat
	.globl	_ZN7rocprim17ROCPRIM_400000_NS6detail17trampoline_kernelINS0_14default_configENS1_25partition_config_selectorILNS1_17partition_subalgoE9EllbEEZZNS1_14partition_implILS5_9ELb0ES3_jPlS8_PNS0_10empty_typeENS0_5tupleIJS8_S9_EEENSB_IJS8_SA_EEENS0_18inequality_wrapperIZN2at6native12_GLOBAL__N_124unique_dim_cuda_templateIN3c108BFloat16EEESt5tupleIJNSF_6TensorESM_SM_EERKSM_lbbbEUlllE0_EEPmJS9_EEE10hipError_tPvRmT3_T4_T5_T6_T7_T9_mT8_P12ihipStream_tbDpT10_ENKUlT_T0_E_clISt17integral_constantIbLb1EES1C_EEDaS17_S18_EUlS17_E_NS1_11comp_targetILNS1_3genE5ELNS1_11target_archE942ELNS1_3gpuE9ELNS1_3repE0EEENS1_30default_config_static_selectorELNS0_4arch9wavefront6targetE0EEEvT1_ ; -- Begin function _ZN7rocprim17ROCPRIM_400000_NS6detail17trampoline_kernelINS0_14default_configENS1_25partition_config_selectorILNS1_17partition_subalgoE9EllbEEZZNS1_14partition_implILS5_9ELb0ES3_jPlS8_PNS0_10empty_typeENS0_5tupleIJS8_S9_EEENSB_IJS8_SA_EEENS0_18inequality_wrapperIZN2at6native12_GLOBAL__N_124unique_dim_cuda_templateIN3c108BFloat16EEESt5tupleIJNSF_6TensorESM_SM_EERKSM_lbbbEUlllE0_EEPmJS9_EEE10hipError_tPvRmT3_T4_T5_T6_T7_T9_mT8_P12ihipStream_tbDpT10_ENKUlT_T0_E_clISt17integral_constantIbLb1EES1C_EEDaS17_S18_EUlS17_E_NS1_11comp_targetILNS1_3genE5ELNS1_11target_archE942ELNS1_3gpuE9ELNS1_3repE0EEENS1_30default_config_static_selectorELNS0_4arch9wavefront6targetE0EEEvT1_
	.p2align	8
	.type	_ZN7rocprim17ROCPRIM_400000_NS6detail17trampoline_kernelINS0_14default_configENS1_25partition_config_selectorILNS1_17partition_subalgoE9EllbEEZZNS1_14partition_implILS5_9ELb0ES3_jPlS8_PNS0_10empty_typeENS0_5tupleIJS8_S9_EEENSB_IJS8_SA_EEENS0_18inequality_wrapperIZN2at6native12_GLOBAL__N_124unique_dim_cuda_templateIN3c108BFloat16EEESt5tupleIJNSF_6TensorESM_SM_EERKSM_lbbbEUlllE0_EEPmJS9_EEE10hipError_tPvRmT3_T4_T5_T6_T7_T9_mT8_P12ihipStream_tbDpT10_ENKUlT_T0_E_clISt17integral_constantIbLb1EES1C_EEDaS17_S18_EUlS17_E_NS1_11comp_targetILNS1_3genE5ELNS1_11target_archE942ELNS1_3gpuE9ELNS1_3repE0EEENS1_30default_config_static_selectorELNS0_4arch9wavefront6targetE0EEEvT1_,@function
_ZN7rocprim17ROCPRIM_400000_NS6detail17trampoline_kernelINS0_14default_configENS1_25partition_config_selectorILNS1_17partition_subalgoE9EllbEEZZNS1_14partition_implILS5_9ELb0ES3_jPlS8_PNS0_10empty_typeENS0_5tupleIJS8_S9_EEENSB_IJS8_SA_EEENS0_18inequality_wrapperIZN2at6native12_GLOBAL__N_124unique_dim_cuda_templateIN3c108BFloat16EEESt5tupleIJNSF_6TensorESM_SM_EERKSM_lbbbEUlllE0_EEPmJS9_EEE10hipError_tPvRmT3_T4_T5_T6_T7_T9_mT8_P12ihipStream_tbDpT10_ENKUlT_T0_E_clISt17integral_constantIbLb1EES1C_EEDaS17_S18_EUlS17_E_NS1_11comp_targetILNS1_3genE5ELNS1_11target_archE942ELNS1_3gpuE9ELNS1_3repE0EEENS1_30default_config_static_selectorELNS0_4arch9wavefront6targetE0EEEvT1_: ; @_ZN7rocprim17ROCPRIM_400000_NS6detail17trampoline_kernelINS0_14default_configENS1_25partition_config_selectorILNS1_17partition_subalgoE9EllbEEZZNS1_14partition_implILS5_9ELb0ES3_jPlS8_PNS0_10empty_typeENS0_5tupleIJS8_S9_EEENSB_IJS8_SA_EEENS0_18inequality_wrapperIZN2at6native12_GLOBAL__N_124unique_dim_cuda_templateIN3c108BFloat16EEESt5tupleIJNSF_6TensorESM_SM_EERKSM_lbbbEUlllE0_EEPmJS9_EEE10hipError_tPvRmT3_T4_T5_T6_T7_T9_mT8_P12ihipStream_tbDpT10_ENKUlT_T0_E_clISt17integral_constantIbLb1EES1C_EEDaS17_S18_EUlS17_E_NS1_11comp_targetILNS1_3genE5ELNS1_11target_archE942ELNS1_3gpuE9ELNS1_3repE0EEENS1_30default_config_static_selectorELNS0_4arch9wavefront6targetE0EEEvT1_
; %bb.0:
	.section	.rodata,"a",@progbits
	.p2align	6, 0x0
	.amdhsa_kernel _ZN7rocprim17ROCPRIM_400000_NS6detail17trampoline_kernelINS0_14default_configENS1_25partition_config_selectorILNS1_17partition_subalgoE9EllbEEZZNS1_14partition_implILS5_9ELb0ES3_jPlS8_PNS0_10empty_typeENS0_5tupleIJS8_S9_EEENSB_IJS8_SA_EEENS0_18inequality_wrapperIZN2at6native12_GLOBAL__N_124unique_dim_cuda_templateIN3c108BFloat16EEESt5tupleIJNSF_6TensorESM_SM_EERKSM_lbbbEUlllE0_EEPmJS9_EEE10hipError_tPvRmT3_T4_T5_T6_T7_T9_mT8_P12ihipStream_tbDpT10_ENKUlT_T0_E_clISt17integral_constantIbLb1EES1C_EEDaS17_S18_EUlS17_E_NS1_11comp_targetILNS1_3genE5ELNS1_11target_archE942ELNS1_3gpuE9ELNS1_3repE0EEENS1_30default_config_static_selectorELNS0_4arch9wavefront6targetE0EEEvT1_
		.amdhsa_group_segment_fixed_size 0
		.amdhsa_private_segment_fixed_size 0
		.amdhsa_kernarg_size 136
		.amdhsa_user_sgpr_count 15
		.amdhsa_user_sgpr_dispatch_ptr 0
		.amdhsa_user_sgpr_queue_ptr 0
		.amdhsa_user_sgpr_kernarg_segment_ptr 1
		.amdhsa_user_sgpr_dispatch_id 0
		.amdhsa_user_sgpr_private_segment_size 0
		.amdhsa_wavefront_size32 1
		.amdhsa_uses_dynamic_stack 0
		.amdhsa_enable_private_segment 0
		.amdhsa_system_sgpr_workgroup_id_x 1
		.amdhsa_system_sgpr_workgroup_id_y 0
		.amdhsa_system_sgpr_workgroup_id_z 0
		.amdhsa_system_sgpr_workgroup_info 0
		.amdhsa_system_vgpr_workitem_id 0
		.amdhsa_next_free_vgpr 1
		.amdhsa_next_free_sgpr 1
		.amdhsa_reserve_vcc 0
		.amdhsa_float_round_mode_32 0
		.amdhsa_float_round_mode_16_64 0
		.amdhsa_float_denorm_mode_32 3
		.amdhsa_float_denorm_mode_16_64 3
		.amdhsa_dx10_clamp 1
		.amdhsa_ieee_mode 1
		.amdhsa_fp16_overflow 0
		.amdhsa_workgroup_processor_mode 1
		.amdhsa_memory_ordered 1
		.amdhsa_forward_progress 0
		.amdhsa_shared_vgpr_count 0
		.amdhsa_exception_fp_ieee_invalid_op 0
		.amdhsa_exception_fp_denorm_src 0
		.amdhsa_exception_fp_ieee_div_zero 0
		.amdhsa_exception_fp_ieee_overflow 0
		.amdhsa_exception_fp_ieee_underflow 0
		.amdhsa_exception_fp_ieee_inexact 0
		.amdhsa_exception_int_div_zero 0
	.end_amdhsa_kernel
	.section	.text._ZN7rocprim17ROCPRIM_400000_NS6detail17trampoline_kernelINS0_14default_configENS1_25partition_config_selectorILNS1_17partition_subalgoE9EllbEEZZNS1_14partition_implILS5_9ELb0ES3_jPlS8_PNS0_10empty_typeENS0_5tupleIJS8_S9_EEENSB_IJS8_SA_EEENS0_18inequality_wrapperIZN2at6native12_GLOBAL__N_124unique_dim_cuda_templateIN3c108BFloat16EEESt5tupleIJNSF_6TensorESM_SM_EERKSM_lbbbEUlllE0_EEPmJS9_EEE10hipError_tPvRmT3_T4_T5_T6_T7_T9_mT8_P12ihipStream_tbDpT10_ENKUlT_T0_E_clISt17integral_constantIbLb1EES1C_EEDaS17_S18_EUlS17_E_NS1_11comp_targetILNS1_3genE5ELNS1_11target_archE942ELNS1_3gpuE9ELNS1_3repE0EEENS1_30default_config_static_selectorELNS0_4arch9wavefront6targetE0EEEvT1_,"axG",@progbits,_ZN7rocprim17ROCPRIM_400000_NS6detail17trampoline_kernelINS0_14default_configENS1_25partition_config_selectorILNS1_17partition_subalgoE9EllbEEZZNS1_14partition_implILS5_9ELb0ES3_jPlS8_PNS0_10empty_typeENS0_5tupleIJS8_S9_EEENSB_IJS8_SA_EEENS0_18inequality_wrapperIZN2at6native12_GLOBAL__N_124unique_dim_cuda_templateIN3c108BFloat16EEESt5tupleIJNSF_6TensorESM_SM_EERKSM_lbbbEUlllE0_EEPmJS9_EEE10hipError_tPvRmT3_T4_T5_T6_T7_T9_mT8_P12ihipStream_tbDpT10_ENKUlT_T0_E_clISt17integral_constantIbLb1EES1C_EEDaS17_S18_EUlS17_E_NS1_11comp_targetILNS1_3genE5ELNS1_11target_archE942ELNS1_3gpuE9ELNS1_3repE0EEENS1_30default_config_static_selectorELNS0_4arch9wavefront6targetE0EEEvT1_,comdat
.Lfunc_end1214:
	.size	_ZN7rocprim17ROCPRIM_400000_NS6detail17trampoline_kernelINS0_14default_configENS1_25partition_config_selectorILNS1_17partition_subalgoE9EllbEEZZNS1_14partition_implILS5_9ELb0ES3_jPlS8_PNS0_10empty_typeENS0_5tupleIJS8_S9_EEENSB_IJS8_SA_EEENS0_18inequality_wrapperIZN2at6native12_GLOBAL__N_124unique_dim_cuda_templateIN3c108BFloat16EEESt5tupleIJNSF_6TensorESM_SM_EERKSM_lbbbEUlllE0_EEPmJS9_EEE10hipError_tPvRmT3_T4_T5_T6_T7_T9_mT8_P12ihipStream_tbDpT10_ENKUlT_T0_E_clISt17integral_constantIbLb1EES1C_EEDaS17_S18_EUlS17_E_NS1_11comp_targetILNS1_3genE5ELNS1_11target_archE942ELNS1_3gpuE9ELNS1_3repE0EEENS1_30default_config_static_selectorELNS0_4arch9wavefront6targetE0EEEvT1_, .Lfunc_end1214-_ZN7rocprim17ROCPRIM_400000_NS6detail17trampoline_kernelINS0_14default_configENS1_25partition_config_selectorILNS1_17partition_subalgoE9EllbEEZZNS1_14partition_implILS5_9ELb0ES3_jPlS8_PNS0_10empty_typeENS0_5tupleIJS8_S9_EEENSB_IJS8_SA_EEENS0_18inequality_wrapperIZN2at6native12_GLOBAL__N_124unique_dim_cuda_templateIN3c108BFloat16EEESt5tupleIJNSF_6TensorESM_SM_EERKSM_lbbbEUlllE0_EEPmJS9_EEE10hipError_tPvRmT3_T4_T5_T6_T7_T9_mT8_P12ihipStream_tbDpT10_ENKUlT_T0_E_clISt17integral_constantIbLb1EES1C_EEDaS17_S18_EUlS17_E_NS1_11comp_targetILNS1_3genE5ELNS1_11target_archE942ELNS1_3gpuE9ELNS1_3repE0EEENS1_30default_config_static_selectorELNS0_4arch9wavefront6targetE0EEEvT1_
                                        ; -- End function
	.section	.AMDGPU.csdata,"",@progbits
; Kernel info:
; codeLenInByte = 0
; NumSgprs: 0
; NumVgprs: 0
; ScratchSize: 0
; MemoryBound: 0
; FloatMode: 240
; IeeeMode: 1
; LDSByteSize: 0 bytes/workgroup (compile time only)
; SGPRBlocks: 0
; VGPRBlocks: 0
; NumSGPRsForWavesPerEU: 1
; NumVGPRsForWavesPerEU: 1
; Occupancy: 16
; WaveLimiterHint : 0
; COMPUTE_PGM_RSRC2:SCRATCH_EN: 0
; COMPUTE_PGM_RSRC2:USER_SGPR: 15
; COMPUTE_PGM_RSRC2:TRAP_HANDLER: 0
; COMPUTE_PGM_RSRC2:TGID_X_EN: 1
; COMPUTE_PGM_RSRC2:TGID_Y_EN: 0
; COMPUTE_PGM_RSRC2:TGID_Z_EN: 0
; COMPUTE_PGM_RSRC2:TIDIG_COMP_CNT: 0
	.section	.text._ZN7rocprim17ROCPRIM_400000_NS6detail17trampoline_kernelINS0_14default_configENS1_25partition_config_selectorILNS1_17partition_subalgoE9EllbEEZZNS1_14partition_implILS5_9ELb0ES3_jPlS8_PNS0_10empty_typeENS0_5tupleIJS8_S9_EEENSB_IJS8_SA_EEENS0_18inequality_wrapperIZN2at6native12_GLOBAL__N_124unique_dim_cuda_templateIN3c108BFloat16EEESt5tupleIJNSF_6TensorESM_SM_EERKSM_lbbbEUlllE0_EEPmJS9_EEE10hipError_tPvRmT3_T4_T5_T6_T7_T9_mT8_P12ihipStream_tbDpT10_ENKUlT_T0_E_clISt17integral_constantIbLb1EES1C_EEDaS17_S18_EUlS17_E_NS1_11comp_targetILNS1_3genE4ELNS1_11target_archE910ELNS1_3gpuE8ELNS1_3repE0EEENS1_30default_config_static_selectorELNS0_4arch9wavefront6targetE0EEEvT1_,"axG",@progbits,_ZN7rocprim17ROCPRIM_400000_NS6detail17trampoline_kernelINS0_14default_configENS1_25partition_config_selectorILNS1_17partition_subalgoE9EllbEEZZNS1_14partition_implILS5_9ELb0ES3_jPlS8_PNS0_10empty_typeENS0_5tupleIJS8_S9_EEENSB_IJS8_SA_EEENS0_18inequality_wrapperIZN2at6native12_GLOBAL__N_124unique_dim_cuda_templateIN3c108BFloat16EEESt5tupleIJNSF_6TensorESM_SM_EERKSM_lbbbEUlllE0_EEPmJS9_EEE10hipError_tPvRmT3_T4_T5_T6_T7_T9_mT8_P12ihipStream_tbDpT10_ENKUlT_T0_E_clISt17integral_constantIbLb1EES1C_EEDaS17_S18_EUlS17_E_NS1_11comp_targetILNS1_3genE4ELNS1_11target_archE910ELNS1_3gpuE8ELNS1_3repE0EEENS1_30default_config_static_selectorELNS0_4arch9wavefront6targetE0EEEvT1_,comdat
	.globl	_ZN7rocprim17ROCPRIM_400000_NS6detail17trampoline_kernelINS0_14default_configENS1_25partition_config_selectorILNS1_17partition_subalgoE9EllbEEZZNS1_14partition_implILS5_9ELb0ES3_jPlS8_PNS0_10empty_typeENS0_5tupleIJS8_S9_EEENSB_IJS8_SA_EEENS0_18inequality_wrapperIZN2at6native12_GLOBAL__N_124unique_dim_cuda_templateIN3c108BFloat16EEESt5tupleIJNSF_6TensorESM_SM_EERKSM_lbbbEUlllE0_EEPmJS9_EEE10hipError_tPvRmT3_T4_T5_T6_T7_T9_mT8_P12ihipStream_tbDpT10_ENKUlT_T0_E_clISt17integral_constantIbLb1EES1C_EEDaS17_S18_EUlS17_E_NS1_11comp_targetILNS1_3genE4ELNS1_11target_archE910ELNS1_3gpuE8ELNS1_3repE0EEENS1_30default_config_static_selectorELNS0_4arch9wavefront6targetE0EEEvT1_ ; -- Begin function _ZN7rocprim17ROCPRIM_400000_NS6detail17trampoline_kernelINS0_14default_configENS1_25partition_config_selectorILNS1_17partition_subalgoE9EllbEEZZNS1_14partition_implILS5_9ELb0ES3_jPlS8_PNS0_10empty_typeENS0_5tupleIJS8_S9_EEENSB_IJS8_SA_EEENS0_18inequality_wrapperIZN2at6native12_GLOBAL__N_124unique_dim_cuda_templateIN3c108BFloat16EEESt5tupleIJNSF_6TensorESM_SM_EERKSM_lbbbEUlllE0_EEPmJS9_EEE10hipError_tPvRmT3_T4_T5_T6_T7_T9_mT8_P12ihipStream_tbDpT10_ENKUlT_T0_E_clISt17integral_constantIbLb1EES1C_EEDaS17_S18_EUlS17_E_NS1_11comp_targetILNS1_3genE4ELNS1_11target_archE910ELNS1_3gpuE8ELNS1_3repE0EEENS1_30default_config_static_selectorELNS0_4arch9wavefront6targetE0EEEvT1_
	.p2align	8
	.type	_ZN7rocprim17ROCPRIM_400000_NS6detail17trampoline_kernelINS0_14default_configENS1_25partition_config_selectorILNS1_17partition_subalgoE9EllbEEZZNS1_14partition_implILS5_9ELb0ES3_jPlS8_PNS0_10empty_typeENS0_5tupleIJS8_S9_EEENSB_IJS8_SA_EEENS0_18inequality_wrapperIZN2at6native12_GLOBAL__N_124unique_dim_cuda_templateIN3c108BFloat16EEESt5tupleIJNSF_6TensorESM_SM_EERKSM_lbbbEUlllE0_EEPmJS9_EEE10hipError_tPvRmT3_T4_T5_T6_T7_T9_mT8_P12ihipStream_tbDpT10_ENKUlT_T0_E_clISt17integral_constantIbLb1EES1C_EEDaS17_S18_EUlS17_E_NS1_11comp_targetILNS1_3genE4ELNS1_11target_archE910ELNS1_3gpuE8ELNS1_3repE0EEENS1_30default_config_static_selectorELNS0_4arch9wavefront6targetE0EEEvT1_,@function
_ZN7rocprim17ROCPRIM_400000_NS6detail17trampoline_kernelINS0_14default_configENS1_25partition_config_selectorILNS1_17partition_subalgoE9EllbEEZZNS1_14partition_implILS5_9ELb0ES3_jPlS8_PNS0_10empty_typeENS0_5tupleIJS8_S9_EEENSB_IJS8_SA_EEENS0_18inequality_wrapperIZN2at6native12_GLOBAL__N_124unique_dim_cuda_templateIN3c108BFloat16EEESt5tupleIJNSF_6TensorESM_SM_EERKSM_lbbbEUlllE0_EEPmJS9_EEE10hipError_tPvRmT3_T4_T5_T6_T7_T9_mT8_P12ihipStream_tbDpT10_ENKUlT_T0_E_clISt17integral_constantIbLb1EES1C_EEDaS17_S18_EUlS17_E_NS1_11comp_targetILNS1_3genE4ELNS1_11target_archE910ELNS1_3gpuE8ELNS1_3repE0EEENS1_30default_config_static_selectorELNS0_4arch9wavefront6targetE0EEEvT1_: ; @_ZN7rocprim17ROCPRIM_400000_NS6detail17trampoline_kernelINS0_14default_configENS1_25partition_config_selectorILNS1_17partition_subalgoE9EllbEEZZNS1_14partition_implILS5_9ELb0ES3_jPlS8_PNS0_10empty_typeENS0_5tupleIJS8_S9_EEENSB_IJS8_SA_EEENS0_18inequality_wrapperIZN2at6native12_GLOBAL__N_124unique_dim_cuda_templateIN3c108BFloat16EEESt5tupleIJNSF_6TensorESM_SM_EERKSM_lbbbEUlllE0_EEPmJS9_EEE10hipError_tPvRmT3_T4_T5_T6_T7_T9_mT8_P12ihipStream_tbDpT10_ENKUlT_T0_E_clISt17integral_constantIbLb1EES1C_EEDaS17_S18_EUlS17_E_NS1_11comp_targetILNS1_3genE4ELNS1_11target_archE910ELNS1_3gpuE8ELNS1_3repE0EEENS1_30default_config_static_selectorELNS0_4arch9wavefront6targetE0EEEvT1_
; %bb.0:
	.section	.rodata,"a",@progbits
	.p2align	6, 0x0
	.amdhsa_kernel _ZN7rocprim17ROCPRIM_400000_NS6detail17trampoline_kernelINS0_14default_configENS1_25partition_config_selectorILNS1_17partition_subalgoE9EllbEEZZNS1_14partition_implILS5_9ELb0ES3_jPlS8_PNS0_10empty_typeENS0_5tupleIJS8_S9_EEENSB_IJS8_SA_EEENS0_18inequality_wrapperIZN2at6native12_GLOBAL__N_124unique_dim_cuda_templateIN3c108BFloat16EEESt5tupleIJNSF_6TensorESM_SM_EERKSM_lbbbEUlllE0_EEPmJS9_EEE10hipError_tPvRmT3_T4_T5_T6_T7_T9_mT8_P12ihipStream_tbDpT10_ENKUlT_T0_E_clISt17integral_constantIbLb1EES1C_EEDaS17_S18_EUlS17_E_NS1_11comp_targetILNS1_3genE4ELNS1_11target_archE910ELNS1_3gpuE8ELNS1_3repE0EEENS1_30default_config_static_selectorELNS0_4arch9wavefront6targetE0EEEvT1_
		.amdhsa_group_segment_fixed_size 0
		.amdhsa_private_segment_fixed_size 0
		.amdhsa_kernarg_size 136
		.amdhsa_user_sgpr_count 15
		.amdhsa_user_sgpr_dispatch_ptr 0
		.amdhsa_user_sgpr_queue_ptr 0
		.amdhsa_user_sgpr_kernarg_segment_ptr 1
		.amdhsa_user_sgpr_dispatch_id 0
		.amdhsa_user_sgpr_private_segment_size 0
		.amdhsa_wavefront_size32 1
		.amdhsa_uses_dynamic_stack 0
		.amdhsa_enable_private_segment 0
		.amdhsa_system_sgpr_workgroup_id_x 1
		.amdhsa_system_sgpr_workgroup_id_y 0
		.amdhsa_system_sgpr_workgroup_id_z 0
		.amdhsa_system_sgpr_workgroup_info 0
		.amdhsa_system_vgpr_workitem_id 0
		.amdhsa_next_free_vgpr 1
		.amdhsa_next_free_sgpr 1
		.amdhsa_reserve_vcc 0
		.amdhsa_float_round_mode_32 0
		.amdhsa_float_round_mode_16_64 0
		.amdhsa_float_denorm_mode_32 3
		.amdhsa_float_denorm_mode_16_64 3
		.amdhsa_dx10_clamp 1
		.amdhsa_ieee_mode 1
		.amdhsa_fp16_overflow 0
		.amdhsa_workgroup_processor_mode 1
		.amdhsa_memory_ordered 1
		.amdhsa_forward_progress 0
		.amdhsa_shared_vgpr_count 0
		.amdhsa_exception_fp_ieee_invalid_op 0
		.amdhsa_exception_fp_denorm_src 0
		.amdhsa_exception_fp_ieee_div_zero 0
		.amdhsa_exception_fp_ieee_overflow 0
		.amdhsa_exception_fp_ieee_underflow 0
		.amdhsa_exception_fp_ieee_inexact 0
		.amdhsa_exception_int_div_zero 0
	.end_amdhsa_kernel
	.section	.text._ZN7rocprim17ROCPRIM_400000_NS6detail17trampoline_kernelINS0_14default_configENS1_25partition_config_selectorILNS1_17partition_subalgoE9EllbEEZZNS1_14partition_implILS5_9ELb0ES3_jPlS8_PNS0_10empty_typeENS0_5tupleIJS8_S9_EEENSB_IJS8_SA_EEENS0_18inequality_wrapperIZN2at6native12_GLOBAL__N_124unique_dim_cuda_templateIN3c108BFloat16EEESt5tupleIJNSF_6TensorESM_SM_EERKSM_lbbbEUlllE0_EEPmJS9_EEE10hipError_tPvRmT3_T4_T5_T6_T7_T9_mT8_P12ihipStream_tbDpT10_ENKUlT_T0_E_clISt17integral_constantIbLb1EES1C_EEDaS17_S18_EUlS17_E_NS1_11comp_targetILNS1_3genE4ELNS1_11target_archE910ELNS1_3gpuE8ELNS1_3repE0EEENS1_30default_config_static_selectorELNS0_4arch9wavefront6targetE0EEEvT1_,"axG",@progbits,_ZN7rocprim17ROCPRIM_400000_NS6detail17trampoline_kernelINS0_14default_configENS1_25partition_config_selectorILNS1_17partition_subalgoE9EllbEEZZNS1_14partition_implILS5_9ELb0ES3_jPlS8_PNS0_10empty_typeENS0_5tupleIJS8_S9_EEENSB_IJS8_SA_EEENS0_18inequality_wrapperIZN2at6native12_GLOBAL__N_124unique_dim_cuda_templateIN3c108BFloat16EEESt5tupleIJNSF_6TensorESM_SM_EERKSM_lbbbEUlllE0_EEPmJS9_EEE10hipError_tPvRmT3_T4_T5_T6_T7_T9_mT8_P12ihipStream_tbDpT10_ENKUlT_T0_E_clISt17integral_constantIbLb1EES1C_EEDaS17_S18_EUlS17_E_NS1_11comp_targetILNS1_3genE4ELNS1_11target_archE910ELNS1_3gpuE8ELNS1_3repE0EEENS1_30default_config_static_selectorELNS0_4arch9wavefront6targetE0EEEvT1_,comdat
.Lfunc_end1215:
	.size	_ZN7rocprim17ROCPRIM_400000_NS6detail17trampoline_kernelINS0_14default_configENS1_25partition_config_selectorILNS1_17partition_subalgoE9EllbEEZZNS1_14partition_implILS5_9ELb0ES3_jPlS8_PNS0_10empty_typeENS0_5tupleIJS8_S9_EEENSB_IJS8_SA_EEENS0_18inequality_wrapperIZN2at6native12_GLOBAL__N_124unique_dim_cuda_templateIN3c108BFloat16EEESt5tupleIJNSF_6TensorESM_SM_EERKSM_lbbbEUlllE0_EEPmJS9_EEE10hipError_tPvRmT3_T4_T5_T6_T7_T9_mT8_P12ihipStream_tbDpT10_ENKUlT_T0_E_clISt17integral_constantIbLb1EES1C_EEDaS17_S18_EUlS17_E_NS1_11comp_targetILNS1_3genE4ELNS1_11target_archE910ELNS1_3gpuE8ELNS1_3repE0EEENS1_30default_config_static_selectorELNS0_4arch9wavefront6targetE0EEEvT1_, .Lfunc_end1215-_ZN7rocprim17ROCPRIM_400000_NS6detail17trampoline_kernelINS0_14default_configENS1_25partition_config_selectorILNS1_17partition_subalgoE9EllbEEZZNS1_14partition_implILS5_9ELb0ES3_jPlS8_PNS0_10empty_typeENS0_5tupleIJS8_S9_EEENSB_IJS8_SA_EEENS0_18inequality_wrapperIZN2at6native12_GLOBAL__N_124unique_dim_cuda_templateIN3c108BFloat16EEESt5tupleIJNSF_6TensorESM_SM_EERKSM_lbbbEUlllE0_EEPmJS9_EEE10hipError_tPvRmT3_T4_T5_T6_T7_T9_mT8_P12ihipStream_tbDpT10_ENKUlT_T0_E_clISt17integral_constantIbLb1EES1C_EEDaS17_S18_EUlS17_E_NS1_11comp_targetILNS1_3genE4ELNS1_11target_archE910ELNS1_3gpuE8ELNS1_3repE0EEENS1_30default_config_static_selectorELNS0_4arch9wavefront6targetE0EEEvT1_
                                        ; -- End function
	.section	.AMDGPU.csdata,"",@progbits
; Kernel info:
; codeLenInByte = 0
; NumSgprs: 0
; NumVgprs: 0
; ScratchSize: 0
; MemoryBound: 0
; FloatMode: 240
; IeeeMode: 1
; LDSByteSize: 0 bytes/workgroup (compile time only)
; SGPRBlocks: 0
; VGPRBlocks: 0
; NumSGPRsForWavesPerEU: 1
; NumVGPRsForWavesPerEU: 1
; Occupancy: 16
; WaveLimiterHint : 0
; COMPUTE_PGM_RSRC2:SCRATCH_EN: 0
; COMPUTE_PGM_RSRC2:USER_SGPR: 15
; COMPUTE_PGM_RSRC2:TRAP_HANDLER: 0
; COMPUTE_PGM_RSRC2:TGID_X_EN: 1
; COMPUTE_PGM_RSRC2:TGID_Y_EN: 0
; COMPUTE_PGM_RSRC2:TGID_Z_EN: 0
; COMPUTE_PGM_RSRC2:TIDIG_COMP_CNT: 0
	.section	.text._ZN7rocprim17ROCPRIM_400000_NS6detail17trampoline_kernelINS0_14default_configENS1_25partition_config_selectorILNS1_17partition_subalgoE9EllbEEZZNS1_14partition_implILS5_9ELb0ES3_jPlS8_PNS0_10empty_typeENS0_5tupleIJS8_S9_EEENSB_IJS8_SA_EEENS0_18inequality_wrapperIZN2at6native12_GLOBAL__N_124unique_dim_cuda_templateIN3c108BFloat16EEESt5tupleIJNSF_6TensorESM_SM_EERKSM_lbbbEUlllE0_EEPmJS9_EEE10hipError_tPvRmT3_T4_T5_T6_T7_T9_mT8_P12ihipStream_tbDpT10_ENKUlT_T0_E_clISt17integral_constantIbLb1EES1C_EEDaS17_S18_EUlS17_E_NS1_11comp_targetILNS1_3genE3ELNS1_11target_archE908ELNS1_3gpuE7ELNS1_3repE0EEENS1_30default_config_static_selectorELNS0_4arch9wavefront6targetE0EEEvT1_,"axG",@progbits,_ZN7rocprim17ROCPRIM_400000_NS6detail17trampoline_kernelINS0_14default_configENS1_25partition_config_selectorILNS1_17partition_subalgoE9EllbEEZZNS1_14partition_implILS5_9ELb0ES3_jPlS8_PNS0_10empty_typeENS0_5tupleIJS8_S9_EEENSB_IJS8_SA_EEENS0_18inequality_wrapperIZN2at6native12_GLOBAL__N_124unique_dim_cuda_templateIN3c108BFloat16EEESt5tupleIJNSF_6TensorESM_SM_EERKSM_lbbbEUlllE0_EEPmJS9_EEE10hipError_tPvRmT3_T4_T5_T6_T7_T9_mT8_P12ihipStream_tbDpT10_ENKUlT_T0_E_clISt17integral_constantIbLb1EES1C_EEDaS17_S18_EUlS17_E_NS1_11comp_targetILNS1_3genE3ELNS1_11target_archE908ELNS1_3gpuE7ELNS1_3repE0EEENS1_30default_config_static_selectorELNS0_4arch9wavefront6targetE0EEEvT1_,comdat
	.globl	_ZN7rocprim17ROCPRIM_400000_NS6detail17trampoline_kernelINS0_14default_configENS1_25partition_config_selectorILNS1_17partition_subalgoE9EllbEEZZNS1_14partition_implILS5_9ELb0ES3_jPlS8_PNS0_10empty_typeENS0_5tupleIJS8_S9_EEENSB_IJS8_SA_EEENS0_18inequality_wrapperIZN2at6native12_GLOBAL__N_124unique_dim_cuda_templateIN3c108BFloat16EEESt5tupleIJNSF_6TensorESM_SM_EERKSM_lbbbEUlllE0_EEPmJS9_EEE10hipError_tPvRmT3_T4_T5_T6_T7_T9_mT8_P12ihipStream_tbDpT10_ENKUlT_T0_E_clISt17integral_constantIbLb1EES1C_EEDaS17_S18_EUlS17_E_NS1_11comp_targetILNS1_3genE3ELNS1_11target_archE908ELNS1_3gpuE7ELNS1_3repE0EEENS1_30default_config_static_selectorELNS0_4arch9wavefront6targetE0EEEvT1_ ; -- Begin function _ZN7rocprim17ROCPRIM_400000_NS6detail17trampoline_kernelINS0_14default_configENS1_25partition_config_selectorILNS1_17partition_subalgoE9EllbEEZZNS1_14partition_implILS5_9ELb0ES3_jPlS8_PNS0_10empty_typeENS0_5tupleIJS8_S9_EEENSB_IJS8_SA_EEENS0_18inequality_wrapperIZN2at6native12_GLOBAL__N_124unique_dim_cuda_templateIN3c108BFloat16EEESt5tupleIJNSF_6TensorESM_SM_EERKSM_lbbbEUlllE0_EEPmJS9_EEE10hipError_tPvRmT3_T4_T5_T6_T7_T9_mT8_P12ihipStream_tbDpT10_ENKUlT_T0_E_clISt17integral_constantIbLb1EES1C_EEDaS17_S18_EUlS17_E_NS1_11comp_targetILNS1_3genE3ELNS1_11target_archE908ELNS1_3gpuE7ELNS1_3repE0EEENS1_30default_config_static_selectorELNS0_4arch9wavefront6targetE0EEEvT1_
	.p2align	8
	.type	_ZN7rocprim17ROCPRIM_400000_NS6detail17trampoline_kernelINS0_14default_configENS1_25partition_config_selectorILNS1_17partition_subalgoE9EllbEEZZNS1_14partition_implILS5_9ELb0ES3_jPlS8_PNS0_10empty_typeENS0_5tupleIJS8_S9_EEENSB_IJS8_SA_EEENS0_18inequality_wrapperIZN2at6native12_GLOBAL__N_124unique_dim_cuda_templateIN3c108BFloat16EEESt5tupleIJNSF_6TensorESM_SM_EERKSM_lbbbEUlllE0_EEPmJS9_EEE10hipError_tPvRmT3_T4_T5_T6_T7_T9_mT8_P12ihipStream_tbDpT10_ENKUlT_T0_E_clISt17integral_constantIbLb1EES1C_EEDaS17_S18_EUlS17_E_NS1_11comp_targetILNS1_3genE3ELNS1_11target_archE908ELNS1_3gpuE7ELNS1_3repE0EEENS1_30default_config_static_selectorELNS0_4arch9wavefront6targetE0EEEvT1_,@function
_ZN7rocprim17ROCPRIM_400000_NS6detail17trampoline_kernelINS0_14default_configENS1_25partition_config_selectorILNS1_17partition_subalgoE9EllbEEZZNS1_14partition_implILS5_9ELb0ES3_jPlS8_PNS0_10empty_typeENS0_5tupleIJS8_S9_EEENSB_IJS8_SA_EEENS0_18inequality_wrapperIZN2at6native12_GLOBAL__N_124unique_dim_cuda_templateIN3c108BFloat16EEESt5tupleIJNSF_6TensorESM_SM_EERKSM_lbbbEUlllE0_EEPmJS9_EEE10hipError_tPvRmT3_T4_T5_T6_T7_T9_mT8_P12ihipStream_tbDpT10_ENKUlT_T0_E_clISt17integral_constantIbLb1EES1C_EEDaS17_S18_EUlS17_E_NS1_11comp_targetILNS1_3genE3ELNS1_11target_archE908ELNS1_3gpuE7ELNS1_3repE0EEENS1_30default_config_static_selectorELNS0_4arch9wavefront6targetE0EEEvT1_: ; @_ZN7rocprim17ROCPRIM_400000_NS6detail17trampoline_kernelINS0_14default_configENS1_25partition_config_selectorILNS1_17partition_subalgoE9EllbEEZZNS1_14partition_implILS5_9ELb0ES3_jPlS8_PNS0_10empty_typeENS0_5tupleIJS8_S9_EEENSB_IJS8_SA_EEENS0_18inequality_wrapperIZN2at6native12_GLOBAL__N_124unique_dim_cuda_templateIN3c108BFloat16EEESt5tupleIJNSF_6TensorESM_SM_EERKSM_lbbbEUlllE0_EEPmJS9_EEE10hipError_tPvRmT3_T4_T5_T6_T7_T9_mT8_P12ihipStream_tbDpT10_ENKUlT_T0_E_clISt17integral_constantIbLb1EES1C_EEDaS17_S18_EUlS17_E_NS1_11comp_targetILNS1_3genE3ELNS1_11target_archE908ELNS1_3gpuE7ELNS1_3repE0EEENS1_30default_config_static_selectorELNS0_4arch9wavefront6targetE0EEEvT1_
; %bb.0:
	.section	.rodata,"a",@progbits
	.p2align	6, 0x0
	.amdhsa_kernel _ZN7rocprim17ROCPRIM_400000_NS6detail17trampoline_kernelINS0_14default_configENS1_25partition_config_selectorILNS1_17partition_subalgoE9EllbEEZZNS1_14partition_implILS5_9ELb0ES3_jPlS8_PNS0_10empty_typeENS0_5tupleIJS8_S9_EEENSB_IJS8_SA_EEENS0_18inequality_wrapperIZN2at6native12_GLOBAL__N_124unique_dim_cuda_templateIN3c108BFloat16EEESt5tupleIJNSF_6TensorESM_SM_EERKSM_lbbbEUlllE0_EEPmJS9_EEE10hipError_tPvRmT3_T4_T5_T6_T7_T9_mT8_P12ihipStream_tbDpT10_ENKUlT_T0_E_clISt17integral_constantIbLb1EES1C_EEDaS17_S18_EUlS17_E_NS1_11comp_targetILNS1_3genE3ELNS1_11target_archE908ELNS1_3gpuE7ELNS1_3repE0EEENS1_30default_config_static_selectorELNS0_4arch9wavefront6targetE0EEEvT1_
		.amdhsa_group_segment_fixed_size 0
		.amdhsa_private_segment_fixed_size 0
		.amdhsa_kernarg_size 136
		.amdhsa_user_sgpr_count 15
		.amdhsa_user_sgpr_dispatch_ptr 0
		.amdhsa_user_sgpr_queue_ptr 0
		.amdhsa_user_sgpr_kernarg_segment_ptr 1
		.amdhsa_user_sgpr_dispatch_id 0
		.amdhsa_user_sgpr_private_segment_size 0
		.amdhsa_wavefront_size32 1
		.amdhsa_uses_dynamic_stack 0
		.amdhsa_enable_private_segment 0
		.amdhsa_system_sgpr_workgroup_id_x 1
		.amdhsa_system_sgpr_workgroup_id_y 0
		.amdhsa_system_sgpr_workgroup_id_z 0
		.amdhsa_system_sgpr_workgroup_info 0
		.amdhsa_system_vgpr_workitem_id 0
		.amdhsa_next_free_vgpr 1
		.amdhsa_next_free_sgpr 1
		.amdhsa_reserve_vcc 0
		.amdhsa_float_round_mode_32 0
		.amdhsa_float_round_mode_16_64 0
		.amdhsa_float_denorm_mode_32 3
		.amdhsa_float_denorm_mode_16_64 3
		.amdhsa_dx10_clamp 1
		.amdhsa_ieee_mode 1
		.amdhsa_fp16_overflow 0
		.amdhsa_workgroup_processor_mode 1
		.amdhsa_memory_ordered 1
		.amdhsa_forward_progress 0
		.amdhsa_shared_vgpr_count 0
		.amdhsa_exception_fp_ieee_invalid_op 0
		.amdhsa_exception_fp_denorm_src 0
		.amdhsa_exception_fp_ieee_div_zero 0
		.amdhsa_exception_fp_ieee_overflow 0
		.amdhsa_exception_fp_ieee_underflow 0
		.amdhsa_exception_fp_ieee_inexact 0
		.amdhsa_exception_int_div_zero 0
	.end_amdhsa_kernel
	.section	.text._ZN7rocprim17ROCPRIM_400000_NS6detail17trampoline_kernelINS0_14default_configENS1_25partition_config_selectorILNS1_17partition_subalgoE9EllbEEZZNS1_14partition_implILS5_9ELb0ES3_jPlS8_PNS0_10empty_typeENS0_5tupleIJS8_S9_EEENSB_IJS8_SA_EEENS0_18inequality_wrapperIZN2at6native12_GLOBAL__N_124unique_dim_cuda_templateIN3c108BFloat16EEESt5tupleIJNSF_6TensorESM_SM_EERKSM_lbbbEUlllE0_EEPmJS9_EEE10hipError_tPvRmT3_T4_T5_T6_T7_T9_mT8_P12ihipStream_tbDpT10_ENKUlT_T0_E_clISt17integral_constantIbLb1EES1C_EEDaS17_S18_EUlS17_E_NS1_11comp_targetILNS1_3genE3ELNS1_11target_archE908ELNS1_3gpuE7ELNS1_3repE0EEENS1_30default_config_static_selectorELNS0_4arch9wavefront6targetE0EEEvT1_,"axG",@progbits,_ZN7rocprim17ROCPRIM_400000_NS6detail17trampoline_kernelINS0_14default_configENS1_25partition_config_selectorILNS1_17partition_subalgoE9EllbEEZZNS1_14partition_implILS5_9ELb0ES3_jPlS8_PNS0_10empty_typeENS0_5tupleIJS8_S9_EEENSB_IJS8_SA_EEENS0_18inequality_wrapperIZN2at6native12_GLOBAL__N_124unique_dim_cuda_templateIN3c108BFloat16EEESt5tupleIJNSF_6TensorESM_SM_EERKSM_lbbbEUlllE0_EEPmJS9_EEE10hipError_tPvRmT3_T4_T5_T6_T7_T9_mT8_P12ihipStream_tbDpT10_ENKUlT_T0_E_clISt17integral_constantIbLb1EES1C_EEDaS17_S18_EUlS17_E_NS1_11comp_targetILNS1_3genE3ELNS1_11target_archE908ELNS1_3gpuE7ELNS1_3repE0EEENS1_30default_config_static_selectorELNS0_4arch9wavefront6targetE0EEEvT1_,comdat
.Lfunc_end1216:
	.size	_ZN7rocprim17ROCPRIM_400000_NS6detail17trampoline_kernelINS0_14default_configENS1_25partition_config_selectorILNS1_17partition_subalgoE9EllbEEZZNS1_14partition_implILS5_9ELb0ES3_jPlS8_PNS0_10empty_typeENS0_5tupleIJS8_S9_EEENSB_IJS8_SA_EEENS0_18inequality_wrapperIZN2at6native12_GLOBAL__N_124unique_dim_cuda_templateIN3c108BFloat16EEESt5tupleIJNSF_6TensorESM_SM_EERKSM_lbbbEUlllE0_EEPmJS9_EEE10hipError_tPvRmT3_T4_T5_T6_T7_T9_mT8_P12ihipStream_tbDpT10_ENKUlT_T0_E_clISt17integral_constantIbLb1EES1C_EEDaS17_S18_EUlS17_E_NS1_11comp_targetILNS1_3genE3ELNS1_11target_archE908ELNS1_3gpuE7ELNS1_3repE0EEENS1_30default_config_static_selectorELNS0_4arch9wavefront6targetE0EEEvT1_, .Lfunc_end1216-_ZN7rocprim17ROCPRIM_400000_NS6detail17trampoline_kernelINS0_14default_configENS1_25partition_config_selectorILNS1_17partition_subalgoE9EllbEEZZNS1_14partition_implILS5_9ELb0ES3_jPlS8_PNS0_10empty_typeENS0_5tupleIJS8_S9_EEENSB_IJS8_SA_EEENS0_18inequality_wrapperIZN2at6native12_GLOBAL__N_124unique_dim_cuda_templateIN3c108BFloat16EEESt5tupleIJNSF_6TensorESM_SM_EERKSM_lbbbEUlllE0_EEPmJS9_EEE10hipError_tPvRmT3_T4_T5_T6_T7_T9_mT8_P12ihipStream_tbDpT10_ENKUlT_T0_E_clISt17integral_constantIbLb1EES1C_EEDaS17_S18_EUlS17_E_NS1_11comp_targetILNS1_3genE3ELNS1_11target_archE908ELNS1_3gpuE7ELNS1_3repE0EEENS1_30default_config_static_selectorELNS0_4arch9wavefront6targetE0EEEvT1_
                                        ; -- End function
	.section	.AMDGPU.csdata,"",@progbits
; Kernel info:
; codeLenInByte = 0
; NumSgprs: 0
; NumVgprs: 0
; ScratchSize: 0
; MemoryBound: 0
; FloatMode: 240
; IeeeMode: 1
; LDSByteSize: 0 bytes/workgroup (compile time only)
; SGPRBlocks: 0
; VGPRBlocks: 0
; NumSGPRsForWavesPerEU: 1
; NumVGPRsForWavesPerEU: 1
; Occupancy: 16
; WaveLimiterHint : 0
; COMPUTE_PGM_RSRC2:SCRATCH_EN: 0
; COMPUTE_PGM_RSRC2:USER_SGPR: 15
; COMPUTE_PGM_RSRC2:TRAP_HANDLER: 0
; COMPUTE_PGM_RSRC2:TGID_X_EN: 1
; COMPUTE_PGM_RSRC2:TGID_Y_EN: 0
; COMPUTE_PGM_RSRC2:TGID_Z_EN: 0
; COMPUTE_PGM_RSRC2:TIDIG_COMP_CNT: 0
	.section	.text._ZN7rocprim17ROCPRIM_400000_NS6detail17trampoline_kernelINS0_14default_configENS1_25partition_config_selectorILNS1_17partition_subalgoE9EllbEEZZNS1_14partition_implILS5_9ELb0ES3_jPlS8_PNS0_10empty_typeENS0_5tupleIJS8_S9_EEENSB_IJS8_SA_EEENS0_18inequality_wrapperIZN2at6native12_GLOBAL__N_124unique_dim_cuda_templateIN3c108BFloat16EEESt5tupleIJNSF_6TensorESM_SM_EERKSM_lbbbEUlllE0_EEPmJS9_EEE10hipError_tPvRmT3_T4_T5_T6_T7_T9_mT8_P12ihipStream_tbDpT10_ENKUlT_T0_E_clISt17integral_constantIbLb1EES1C_EEDaS17_S18_EUlS17_E_NS1_11comp_targetILNS1_3genE2ELNS1_11target_archE906ELNS1_3gpuE6ELNS1_3repE0EEENS1_30default_config_static_selectorELNS0_4arch9wavefront6targetE0EEEvT1_,"axG",@progbits,_ZN7rocprim17ROCPRIM_400000_NS6detail17trampoline_kernelINS0_14default_configENS1_25partition_config_selectorILNS1_17partition_subalgoE9EllbEEZZNS1_14partition_implILS5_9ELb0ES3_jPlS8_PNS0_10empty_typeENS0_5tupleIJS8_S9_EEENSB_IJS8_SA_EEENS0_18inequality_wrapperIZN2at6native12_GLOBAL__N_124unique_dim_cuda_templateIN3c108BFloat16EEESt5tupleIJNSF_6TensorESM_SM_EERKSM_lbbbEUlllE0_EEPmJS9_EEE10hipError_tPvRmT3_T4_T5_T6_T7_T9_mT8_P12ihipStream_tbDpT10_ENKUlT_T0_E_clISt17integral_constantIbLb1EES1C_EEDaS17_S18_EUlS17_E_NS1_11comp_targetILNS1_3genE2ELNS1_11target_archE906ELNS1_3gpuE6ELNS1_3repE0EEENS1_30default_config_static_selectorELNS0_4arch9wavefront6targetE0EEEvT1_,comdat
	.globl	_ZN7rocprim17ROCPRIM_400000_NS6detail17trampoline_kernelINS0_14default_configENS1_25partition_config_selectorILNS1_17partition_subalgoE9EllbEEZZNS1_14partition_implILS5_9ELb0ES3_jPlS8_PNS0_10empty_typeENS0_5tupleIJS8_S9_EEENSB_IJS8_SA_EEENS0_18inequality_wrapperIZN2at6native12_GLOBAL__N_124unique_dim_cuda_templateIN3c108BFloat16EEESt5tupleIJNSF_6TensorESM_SM_EERKSM_lbbbEUlllE0_EEPmJS9_EEE10hipError_tPvRmT3_T4_T5_T6_T7_T9_mT8_P12ihipStream_tbDpT10_ENKUlT_T0_E_clISt17integral_constantIbLb1EES1C_EEDaS17_S18_EUlS17_E_NS1_11comp_targetILNS1_3genE2ELNS1_11target_archE906ELNS1_3gpuE6ELNS1_3repE0EEENS1_30default_config_static_selectorELNS0_4arch9wavefront6targetE0EEEvT1_ ; -- Begin function _ZN7rocprim17ROCPRIM_400000_NS6detail17trampoline_kernelINS0_14default_configENS1_25partition_config_selectorILNS1_17partition_subalgoE9EllbEEZZNS1_14partition_implILS5_9ELb0ES3_jPlS8_PNS0_10empty_typeENS0_5tupleIJS8_S9_EEENSB_IJS8_SA_EEENS0_18inequality_wrapperIZN2at6native12_GLOBAL__N_124unique_dim_cuda_templateIN3c108BFloat16EEESt5tupleIJNSF_6TensorESM_SM_EERKSM_lbbbEUlllE0_EEPmJS9_EEE10hipError_tPvRmT3_T4_T5_T6_T7_T9_mT8_P12ihipStream_tbDpT10_ENKUlT_T0_E_clISt17integral_constantIbLb1EES1C_EEDaS17_S18_EUlS17_E_NS1_11comp_targetILNS1_3genE2ELNS1_11target_archE906ELNS1_3gpuE6ELNS1_3repE0EEENS1_30default_config_static_selectorELNS0_4arch9wavefront6targetE0EEEvT1_
	.p2align	8
	.type	_ZN7rocprim17ROCPRIM_400000_NS6detail17trampoline_kernelINS0_14default_configENS1_25partition_config_selectorILNS1_17partition_subalgoE9EllbEEZZNS1_14partition_implILS5_9ELb0ES3_jPlS8_PNS0_10empty_typeENS0_5tupleIJS8_S9_EEENSB_IJS8_SA_EEENS0_18inequality_wrapperIZN2at6native12_GLOBAL__N_124unique_dim_cuda_templateIN3c108BFloat16EEESt5tupleIJNSF_6TensorESM_SM_EERKSM_lbbbEUlllE0_EEPmJS9_EEE10hipError_tPvRmT3_T4_T5_T6_T7_T9_mT8_P12ihipStream_tbDpT10_ENKUlT_T0_E_clISt17integral_constantIbLb1EES1C_EEDaS17_S18_EUlS17_E_NS1_11comp_targetILNS1_3genE2ELNS1_11target_archE906ELNS1_3gpuE6ELNS1_3repE0EEENS1_30default_config_static_selectorELNS0_4arch9wavefront6targetE0EEEvT1_,@function
_ZN7rocprim17ROCPRIM_400000_NS6detail17trampoline_kernelINS0_14default_configENS1_25partition_config_selectorILNS1_17partition_subalgoE9EllbEEZZNS1_14partition_implILS5_9ELb0ES3_jPlS8_PNS0_10empty_typeENS0_5tupleIJS8_S9_EEENSB_IJS8_SA_EEENS0_18inequality_wrapperIZN2at6native12_GLOBAL__N_124unique_dim_cuda_templateIN3c108BFloat16EEESt5tupleIJNSF_6TensorESM_SM_EERKSM_lbbbEUlllE0_EEPmJS9_EEE10hipError_tPvRmT3_T4_T5_T6_T7_T9_mT8_P12ihipStream_tbDpT10_ENKUlT_T0_E_clISt17integral_constantIbLb1EES1C_EEDaS17_S18_EUlS17_E_NS1_11comp_targetILNS1_3genE2ELNS1_11target_archE906ELNS1_3gpuE6ELNS1_3repE0EEENS1_30default_config_static_selectorELNS0_4arch9wavefront6targetE0EEEvT1_: ; @_ZN7rocprim17ROCPRIM_400000_NS6detail17trampoline_kernelINS0_14default_configENS1_25partition_config_selectorILNS1_17partition_subalgoE9EllbEEZZNS1_14partition_implILS5_9ELb0ES3_jPlS8_PNS0_10empty_typeENS0_5tupleIJS8_S9_EEENSB_IJS8_SA_EEENS0_18inequality_wrapperIZN2at6native12_GLOBAL__N_124unique_dim_cuda_templateIN3c108BFloat16EEESt5tupleIJNSF_6TensorESM_SM_EERKSM_lbbbEUlllE0_EEPmJS9_EEE10hipError_tPvRmT3_T4_T5_T6_T7_T9_mT8_P12ihipStream_tbDpT10_ENKUlT_T0_E_clISt17integral_constantIbLb1EES1C_EEDaS17_S18_EUlS17_E_NS1_11comp_targetILNS1_3genE2ELNS1_11target_archE906ELNS1_3gpuE6ELNS1_3repE0EEENS1_30default_config_static_selectorELNS0_4arch9wavefront6targetE0EEEvT1_
; %bb.0:
	.section	.rodata,"a",@progbits
	.p2align	6, 0x0
	.amdhsa_kernel _ZN7rocprim17ROCPRIM_400000_NS6detail17trampoline_kernelINS0_14default_configENS1_25partition_config_selectorILNS1_17partition_subalgoE9EllbEEZZNS1_14partition_implILS5_9ELb0ES3_jPlS8_PNS0_10empty_typeENS0_5tupleIJS8_S9_EEENSB_IJS8_SA_EEENS0_18inequality_wrapperIZN2at6native12_GLOBAL__N_124unique_dim_cuda_templateIN3c108BFloat16EEESt5tupleIJNSF_6TensorESM_SM_EERKSM_lbbbEUlllE0_EEPmJS9_EEE10hipError_tPvRmT3_T4_T5_T6_T7_T9_mT8_P12ihipStream_tbDpT10_ENKUlT_T0_E_clISt17integral_constantIbLb1EES1C_EEDaS17_S18_EUlS17_E_NS1_11comp_targetILNS1_3genE2ELNS1_11target_archE906ELNS1_3gpuE6ELNS1_3repE0EEENS1_30default_config_static_selectorELNS0_4arch9wavefront6targetE0EEEvT1_
		.amdhsa_group_segment_fixed_size 0
		.amdhsa_private_segment_fixed_size 0
		.amdhsa_kernarg_size 136
		.amdhsa_user_sgpr_count 15
		.amdhsa_user_sgpr_dispatch_ptr 0
		.amdhsa_user_sgpr_queue_ptr 0
		.amdhsa_user_sgpr_kernarg_segment_ptr 1
		.amdhsa_user_sgpr_dispatch_id 0
		.amdhsa_user_sgpr_private_segment_size 0
		.amdhsa_wavefront_size32 1
		.amdhsa_uses_dynamic_stack 0
		.amdhsa_enable_private_segment 0
		.amdhsa_system_sgpr_workgroup_id_x 1
		.amdhsa_system_sgpr_workgroup_id_y 0
		.amdhsa_system_sgpr_workgroup_id_z 0
		.amdhsa_system_sgpr_workgroup_info 0
		.amdhsa_system_vgpr_workitem_id 0
		.amdhsa_next_free_vgpr 1
		.amdhsa_next_free_sgpr 1
		.amdhsa_reserve_vcc 0
		.amdhsa_float_round_mode_32 0
		.amdhsa_float_round_mode_16_64 0
		.amdhsa_float_denorm_mode_32 3
		.amdhsa_float_denorm_mode_16_64 3
		.amdhsa_dx10_clamp 1
		.amdhsa_ieee_mode 1
		.amdhsa_fp16_overflow 0
		.amdhsa_workgroup_processor_mode 1
		.amdhsa_memory_ordered 1
		.amdhsa_forward_progress 0
		.amdhsa_shared_vgpr_count 0
		.amdhsa_exception_fp_ieee_invalid_op 0
		.amdhsa_exception_fp_denorm_src 0
		.amdhsa_exception_fp_ieee_div_zero 0
		.amdhsa_exception_fp_ieee_overflow 0
		.amdhsa_exception_fp_ieee_underflow 0
		.amdhsa_exception_fp_ieee_inexact 0
		.amdhsa_exception_int_div_zero 0
	.end_amdhsa_kernel
	.section	.text._ZN7rocprim17ROCPRIM_400000_NS6detail17trampoline_kernelINS0_14default_configENS1_25partition_config_selectorILNS1_17partition_subalgoE9EllbEEZZNS1_14partition_implILS5_9ELb0ES3_jPlS8_PNS0_10empty_typeENS0_5tupleIJS8_S9_EEENSB_IJS8_SA_EEENS0_18inequality_wrapperIZN2at6native12_GLOBAL__N_124unique_dim_cuda_templateIN3c108BFloat16EEESt5tupleIJNSF_6TensorESM_SM_EERKSM_lbbbEUlllE0_EEPmJS9_EEE10hipError_tPvRmT3_T4_T5_T6_T7_T9_mT8_P12ihipStream_tbDpT10_ENKUlT_T0_E_clISt17integral_constantIbLb1EES1C_EEDaS17_S18_EUlS17_E_NS1_11comp_targetILNS1_3genE2ELNS1_11target_archE906ELNS1_3gpuE6ELNS1_3repE0EEENS1_30default_config_static_selectorELNS0_4arch9wavefront6targetE0EEEvT1_,"axG",@progbits,_ZN7rocprim17ROCPRIM_400000_NS6detail17trampoline_kernelINS0_14default_configENS1_25partition_config_selectorILNS1_17partition_subalgoE9EllbEEZZNS1_14partition_implILS5_9ELb0ES3_jPlS8_PNS0_10empty_typeENS0_5tupleIJS8_S9_EEENSB_IJS8_SA_EEENS0_18inequality_wrapperIZN2at6native12_GLOBAL__N_124unique_dim_cuda_templateIN3c108BFloat16EEESt5tupleIJNSF_6TensorESM_SM_EERKSM_lbbbEUlllE0_EEPmJS9_EEE10hipError_tPvRmT3_T4_T5_T6_T7_T9_mT8_P12ihipStream_tbDpT10_ENKUlT_T0_E_clISt17integral_constantIbLb1EES1C_EEDaS17_S18_EUlS17_E_NS1_11comp_targetILNS1_3genE2ELNS1_11target_archE906ELNS1_3gpuE6ELNS1_3repE0EEENS1_30default_config_static_selectorELNS0_4arch9wavefront6targetE0EEEvT1_,comdat
.Lfunc_end1217:
	.size	_ZN7rocprim17ROCPRIM_400000_NS6detail17trampoline_kernelINS0_14default_configENS1_25partition_config_selectorILNS1_17partition_subalgoE9EllbEEZZNS1_14partition_implILS5_9ELb0ES3_jPlS8_PNS0_10empty_typeENS0_5tupleIJS8_S9_EEENSB_IJS8_SA_EEENS0_18inequality_wrapperIZN2at6native12_GLOBAL__N_124unique_dim_cuda_templateIN3c108BFloat16EEESt5tupleIJNSF_6TensorESM_SM_EERKSM_lbbbEUlllE0_EEPmJS9_EEE10hipError_tPvRmT3_T4_T5_T6_T7_T9_mT8_P12ihipStream_tbDpT10_ENKUlT_T0_E_clISt17integral_constantIbLb1EES1C_EEDaS17_S18_EUlS17_E_NS1_11comp_targetILNS1_3genE2ELNS1_11target_archE906ELNS1_3gpuE6ELNS1_3repE0EEENS1_30default_config_static_selectorELNS0_4arch9wavefront6targetE0EEEvT1_, .Lfunc_end1217-_ZN7rocprim17ROCPRIM_400000_NS6detail17trampoline_kernelINS0_14default_configENS1_25partition_config_selectorILNS1_17partition_subalgoE9EllbEEZZNS1_14partition_implILS5_9ELb0ES3_jPlS8_PNS0_10empty_typeENS0_5tupleIJS8_S9_EEENSB_IJS8_SA_EEENS0_18inequality_wrapperIZN2at6native12_GLOBAL__N_124unique_dim_cuda_templateIN3c108BFloat16EEESt5tupleIJNSF_6TensorESM_SM_EERKSM_lbbbEUlllE0_EEPmJS9_EEE10hipError_tPvRmT3_T4_T5_T6_T7_T9_mT8_P12ihipStream_tbDpT10_ENKUlT_T0_E_clISt17integral_constantIbLb1EES1C_EEDaS17_S18_EUlS17_E_NS1_11comp_targetILNS1_3genE2ELNS1_11target_archE906ELNS1_3gpuE6ELNS1_3repE0EEENS1_30default_config_static_selectorELNS0_4arch9wavefront6targetE0EEEvT1_
                                        ; -- End function
	.section	.AMDGPU.csdata,"",@progbits
; Kernel info:
; codeLenInByte = 0
; NumSgprs: 0
; NumVgprs: 0
; ScratchSize: 0
; MemoryBound: 0
; FloatMode: 240
; IeeeMode: 1
; LDSByteSize: 0 bytes/workgroup (compile time only)
; SGPRBlocks: 0
; VGPRBlocks: 0
; NumSGPRsForWavesPerEU: 1
; NumVGPRsForWavesPerEU: 1
; Occupancy: 15
; WaveLimiterHint : 0
; COMPUTE_PGM_RSRC2:SCRATCH_EN: 0
; COMPUTE_PGM_RSRC2:USER_SGPR: 15
; COMPUTE_PGM_RSRC2:TRAP_HANDLER: 0
; COMPUTE_PGM_RSRC2:TGID_X_EN: 1
; COMPUTE_PGM_RSRC2:TGID_Y_EN: 0
; COMPUTE_PGM_RSRC2:TGID_Z_EN: 0
; COMPUTE_PGM_RSRC2:TIDIG_COMP_CNT: 0
	.section	.text._ZN7rocprim17ROCPRIM_400000_NS6detail17trampoline_kernelINS0_14default_configENS1_25partition_config_selectorILNS1_17partition_subalgoE9EllbEEZZNS1_14partition_implILS5_9ELb0ES3_jPlS8_PNS0_10empty_typeENS0_5tupleIJS8_S9_EEENSB_IJS8_SA_EEENS0_18inequality_wrapperIZN2at6native12_GLOBAL__N_124unique_dim_cuda_templateIN3c108BFloat16EEESt5tupleIJNSF_6TensorESM_SM_EERKSM_lbbbEUlllE0_EEPmJS9_EEE10hipError_tPvRmT3_T4_T5_T6_T7_T9_mT8_P12ihipStream_tbDpT10_ENKUlT_T0_E_clISt17integral_constantIbLb1EES1C_EEDaS17_S18_EUlS17_E_NS1_11comp_targetILNS1_3genE10ELNS1_11target_archE1200ELNS1_3gpuE4ELNS1_3repE0EEENS1_30default_config_static_selectorELNS0_4arch9wavefront6targetE0EEEvT1_,"axG",@progbits,_ZN7rocprim17ROCPRIM_400000_NS6detail17trampoline_kernelINS0_14default_configENS1_25partition_config_selectorILNS1_17partition_subalgoE9EllbEEZZNS1_14partition_implILS5_9ELb0ES3_jPlS8_PNS0_10empty_typeENS0_5tupleIJS8_S9_EEENSB_IJS8_SA_EEENS0_18inequality_wrapperIZN2at6native12_GLOBAL__N_124unique_dim_cuda_templateIN3c108BFloat16EEESt5tupleIJNSF_6TensorESM_SM_EERKSM_lbbbEUlllE0_EEPmJS9_EEE10hipError_tPvRmT3_T4_T5_T6_T7_T9_mT8_P12ihipStream_tbDpT10_ENKUlT_T0_E_clISt17integral_constantIbLb1EES1C_EEDaS17_S18_EUlS17_E_NS1_11comp_targetILNS1_3genE10ELNS1_11target_archE1200ELNS1_3gpuE4ELNS1_3repE0EEENS1_30default_config_static_selectorELNS0_4arch9wavefront6targetE0EEEvT1_,comdat
	.globl	_ZN7rocprim17ROCPRIM_400000_NS6detail17trampoline_kernelINS0_14default_configENS1_25partition_config_selectorILNS1_17partition_subalgoE9EllbEEZZNS1_14partition_implILS5_9ELb0ES3_jPlS8_PNS0_10empty_typeENS0_5tupleIJS8_S9_EEENSB_IJS8_SA_EEENS0_18inequality_wrapperIZN2at6native12_GLOBAL__N_124unique_dim_cuda_templateIN3c108BFloat16EEESt5tupleIJNSF_6TensorESM_SM_EERKSM_lbbbEUlllE0_EEPmJS9_EEE10hipError_tPvRmT3_T4_T5_T6_T7_T9_mT8_P12ihipStream_tbDpT10_ENKUlT_T0_E_clISt17integral_constantIbLb1EES1C_EEDaS17_S18_EUlS17_E_NS1_11comp_targetILNS1_3genE10ELNS1_11target_archE1200ELNS1_3gpuE4ELNS1_3repE0EEENS1_30default_config_static_selectorELNS0_4arch9wavefront6targetE0EEEvT1_ ; -- Begin function _ZN7rocprim17ROCPRIM_400000_NS6detail17trampoline_kernelINS0_14default_configENS1_25partition_config_selectorILNS1_17partition_subalgoE9EllbEEZZNS1_14partition_implILS5_9ELb0ES3_jPlS8_PNS0_10empty_typeENS0_5tupleIJS8_S9_EEENSB_IJS8_SA_EEENS0_18inequality_wrapperIZN2at6native12_GLOBAL__N_124unique_dim_cuda_templateIN3c108BFloat16EEESt5tupleIJNSF_6TensorESM_SM_EERKSM_lbbbEUlllE0_EEPmJS9_EEE10hipError_tPvRmT3_T4_T5_T6_T7_T9_mT8_P12ihipStream_tbDpT10_ENKUlT_T0_E_clISt17integral_constantIbLb1EES1C_EEDaS17_S18_EUlS17_E_NS1_11comp_targetILNS1_3genE10ELNS1_11target_archE1200ELNS1_3gpuE4ELNS1_3repE0EEENS1_30default_config_static_selectorELNS0_4arch9wavefront6targetE0EEEvT1_
	.p2align	8
	.type	_ZN7rocprim17ROCPRIM_400000_NS6detail17trampoline_kernelINS0_14default_configENS1_25partition_config_selectorILNS1_17partition_subalgoE9EllbEEZZNS1_14partition_implILS5_9ELb0ES3_jPlS8_PNS0_10empty_typeENS0_5tupleIJS8_S9_EEENSB_IJS8_SA_EEENS0_18inequality_wrapperIZN2at6native12_GLOBAL__N_124unique_dim_cuda_templateIN3c108BFloat16EEESt5tupleIJNSF_6TensorESM_SM_EERKSM_lbbbEUlllE0_EEPmJS9_EEE10hipError_tPvRmT3_T4_T5_T6_T7_T9_mT8_P12ihipStream_tbDpT10_ENKUlT_T0_E_clISt17integral_constantIbLb1EES1C_EEDaS17_S18_EUlS17_E_NS1_11comp_targetILNS1_3genE10ELNS1_11target_archE1200ELNS1_3gpuE4ELNS1_3repE0EEENS1_30default_config_static_selectorELNS0_4arch9wavefront6targetE0EEEvT1_,@function
_ZN7rocprim17ROCPRIM_400000_NS6detail17trampoline_kernelINS0_14default_configENS1_25partition_config_selectorILNS1_17partition_subalgoE9EllbEEZZNS1_14partition_implILS5_9ELb0ES3_jPlS8_PNS0_10empty_typeENS0_5tupleIJS8_S9_EEENSB_IJS8_SA_EEENS0_18inequality_wrapperIZN2at6native12_GLOBAL__N_124unique_dim_cuda_templateIN3c108BFloat16EEESt5tupleIJNSF_6TensorESM_SM_EERKSM_lbbbEUlllE0_EEPmJS9_EEE10hipError_tPvRmT3_T4_T5_T6_T7_T9_mT8_P12ihipStream_tbDpT10_ENKUlT_T0_E_clISt17integral_constantIbLb1EES1C_EEDaS17_S18_EUlS17_E_NS1_11comp_targetILNS1_3genE10ELNS1_11target_archE1200ELNS1_3gpuE4ELNS1_3repE0EEENS1_30default_config_static_selectorELNS0_4arch9wavefront6targetE0EEEvT1_: ; @_ZN7rocprim17ROCPRIM_400000_NS6detail17trampoline_kernelINS0_14default_configENS1_25partition_config_selectorILNS1_17partition_subalgoE9EllbEEZZNS1_14partition_implILS5_9ELb0ES3_jPlS8_PNS0_10empty_typeENS0_5tupleIJS8_S9_EEENSB_IJS8_SA_EEENS0_18inequality_wrapperIZN2at6native12_GLOBAL__N_124unique_dim_cuda_templateIN3c108BFloat16EEESt5tupleIJNSF_6TensorESM_SM_EERKSM_lbbbEUlllE0_EEPmJS9_EEE10hipError_tPvRmT3_T4_T5_T6_T7_T9_mT8_P12ihipStream_tbDpT10_ENKUlT_T0_E_clISt17integral_constantIbLb1EES1C_EEDaS17_S18_EUlS17_E_NS1_11comp_targetILNS1_3genE10ELNS1_11target_archE1200ELNS1_3gpuE4ELNS1_3repE0EEENS1_30default_config_static_selectorELNS0_4arch9wavefront6targetE0EEEvT1_
; %bb.0:
	.section	.rodata,"a",@progbits
	.p2align	6, 0x0
	.amdhsa_kernel _ZN7rocprim17ROCPRIM_400000_NS6detail17trampoline_kernelINS0_14default_configENS1_25partition_config_selectorILNS1_17partition_subalgoE9EllbEEZZNS1_14partition_implILS5_9ELb0ES3_jPlS8_PNS0_10empty_typeENS0_5tupleIJS8_S9_EEENSB_IJS8_SA_EEENS0_18inequality_wrapperIZN2at6native12_GLOBAL__N_124unique_dim_cuda_templateIN3c108BFloat16EEESt5tupleIJNSF_6TensorESM_SM_EERKSM_lbbbEUlllE0_EEPmJS9_EEE10hipError_tPvRmT3_T4_T5_T6_T7_T9_mT8_P12ihipStream_tbDpT10_ENKUlT_T0_E_clISt17integral_constantIbLb1EES1C_EEDaS17_S18_EUlS17_E_NS1_11comp_targetILNS1_3genE10ELNS1_11target_archE1200ELNS1_3gpuE4ELNS1_3repE0EEENS1_30default_config_static_selectorELNS0_4arch9wavefront6targetE0EEEvT1_
		.amdhsa_group_segment_fixed_size 0
		.amdhsa_private_segment_fixed_size 0
		.amdhsa_kernarg_size 136
		.amdhsa_user_sgpr_count 15
		.amdhsa_user_sgpr_dispatch_ptr 0
		.amdhsa_user_sgpr_queue_ptr 0
		.amdhsa_user_sgpr_kernarg_segment_ptr 1
		.amdhsa_user_sgpr_dispatch_id 0
		.amdhsa_user_sgpr_private_segment_size 0
		.amdhsa_wavefront_size32 1
		.amdhsa_uses_dynamic_stack 0
		.amdhsa_enable_private_segment 0
		.amdhsa_system_sgpr_workgroup_id_x 1
		.amdhsa_system_sgpr_workgroup_id_y 0
		.amdhsa_system_sgpr_workgroup_id_z 0
		.amdhsa_system_sgpr_workgroup_info 0
		.amdhsa_system_vgpr_workitem_id 0
		.amdhsa_next_free_vgpr 1
		.amdhsa_next_free_sgpr 1
		.amdhsa_reserve_vcc 0
		.amdhsa_float_round_mode_32 0
		.amdhsa_float_round_mode_16_64 0
		.amdhsa_float_denorm_mode_32 3
		.amdhsa_float_denorm_mode_16_64 3
		.amdhsa_dx10_clamp 1
		.amdhsa_ieee_mode 1
		.amdhsa_fp16_overflow 0
		.amdhsa_workgroup_processor_mode 1
		.amdhsa_memory_ordered 1
		.amdhsa_forward_progress 0
		.amdhsa_shared_vgpr_count 0
		.amdhsa_exception_fp_ieee_invalid_op 0
		.amdhsa_exception_fp_denorm_src 0
		.amdhsa_exception_fp_ieee_div_zero 0
		.amdhsa_exception_fp_ieee_overflow 0
		.amdhsa_exception_fp_ieee_underflow 0
		.amdhsa_exception_fp_ieee_inexact 0
		.amdhsa_exception_int_div_zero 0
	.end_amdhsa_kernel
	.section	.text._ZN7rocprim17ROCPRIM_400000_NS6detail17trampoline_kernelINS0_14default_configENS1_25partition_config_selectorILNS1_17partition_subalgoE9EllbEEZZNS1_14partition_implILS5_9ELb0ES3_jPlS8_PNS0_10empty_typeENS0_5tupleIJS8_S9_EEENSB_IJS8_SA_EEENS0_18inequality_wrapperIZN2at6native12_GLOBAL__N_124unique_dim_cuda_templateIN3c108BFloat16EEESt5tupleIJNSF_6TensorESM_SM_EERKSM_lbbbEUlllE0_EEPmJS9_EEE10hipError_tPvRmT3_T4_T5_T6_T7_T9_mT8_P12ihipStream_tbDpT10_ENKUlT_T0_E_clISt17integral_constantIbLb1EES1C_EEDaS17_S18_EUlS17_E_NS1_11comp_targetILNS1_3genE10ELNS1_11target_archE1200ELNS1_3gpuE4ELNS1_3repE0EEENS1_30default_config_static_selectorELNS0_4arch9wavefront6targetE0EEEvT1_,"axG",@progbits,_ZN7rocprim17ROCPRIM_400000_NS6detail17trampoline_kernelINS0_14default_configENS1_25partition_config_selectorILNS1_17partition_subalgoE9EllbEEZZNS1_14partition_implILS5_9ELb0ES3_jPlS8_PNS0_10empty_typeENS0_5tupleIJS8_S9_EEENSB_IJS8_SA_EEENS0_18inequality_wrapperIZN2at6native12_GLOBAL__N_124unique_dim_cuda_templateIN3c108BFloat16EEESt5tupleIJNSF_6TensorESM_SM_EERKSM_lbbbEUlllE0_EEPmJS9_EEE10hipError_tPvRmT3_T4_T5_T6_T7_T9_mT8_P12ihipStream_tbDpT10_ENKUlT_T0_E_clISt17integral_constantIbLb1EES1C_EEDaS17_S18_EUlS17_E_NS1_11comp_targetILNS1_3genE10ELNS1_11target_archE1200ELNS1_3gpuE4ELNS1_3repE0EEENS1_30default_config_static_selectorELNS0_4arch9wavefront6targetE0EEEvT1_,comdat
.Lfunc_end1218:
	.size	_ZN7rocprim17ROCPRIM_400000_NS6detail17trampoline_kernelINS0_14default_configENS1_25partition_config_selectorILNS1_17partition_subalgoE9EllbEEZZNS1_14partition_implILS5_9ELb0ES3_jPlS8_PNS0_10empty_typeENS0_5tupleIJS8_S9_EEENSB_IJS8_SA_EEENS0_18inequality_wrapperIZN2at6native12_GLOBAL__N_124unique_dim_cuda_templateIN3c108BFloat16EEESt5tupleIJNSF_6TensorESM_SM_EERKSM_lbbbEUlllE0_EEPmJS9_EEE10hipError_tPvRmT3_T4_T5_T6_T7_T9_mT8_P12ihipStream_tbDpT10_ENKUlT_T0_E_clISt17integral_constantIbLb1EES1C_EEDaS17_S18_EUlS17_E_NS1_11comp_targetILNS1_3genE10ELNS1_11target_archE1200ELNS1_3gpuE4ELNS1_3repE0EEENS1_30default_config_static_selectorELNS0_4arch9wavefront6targetE0EEEvT1_, .Lfunc_end1218-_ZN7rocprim17ROCPRIM_400000_NS6detail17trampoline_kernelINS0_14default_configENS1_25partition_config_selectorILNS1_17partition_subalgoE9EllbEEZZNS1_14partition_implILS5_9ELb0ES3_jPlS8_PNS0_10empty_typeENS0_5tupleIJS8_S9_EEENSB_IJS8_SA_EEENS0_18inequality_wrapperIZN2at6native12_GLOBAL__N_124unique_dim_cuda_templateIN3c108BFloat16EEESt5tupleIJNSF_6TensorESM_SM_EERKSM_lbbbEUlllE0_EEPmJS9_EEE10hipError_tPvRmT3_T4_T5_T6_T7_T9_mT8_P12ihipStream_tbDpT10_ENKUlT_T0_E_clISt17integral_constantIbLb1EES1C_EEDaS17_S18_EUlS17_E_NS1_11comp_targetILNS1_3genE10ELNS1_11target_archE1200ELNS1_3gpuE4ELNS1_3repE0EEENS1_30default_config_static_selectorELNS0_4arch9wavefront6targetE0EEEvT1_
                                        ; -- End function
	.section	.AMDGPU.csdata,"",@progbits
; Kernel info:
; codeLenInByte = 0
; NumSgprs: 0
; NumVgprs: 0
; ScratchSize: 0
; MemoryBound: 0
; FloatMode: 240
; IeeeMode: 1
; LDSByteSize: 0 bytes/workgroup (compile time only)
; SGPRBlocks: 0
; VGPRBlocks: 0
; NumSGPRsForWavesPerEU: 1
; NumVGPRsForWavesPerEU: 1
; Occupancy: 15
; WaveLimiterHint : 0
; COMPUTE_PGM_RSRC2:SCRATCH_EN: 0
; COMPUTE_PGM_RSRC2:USER_SGPR: 15
; COMPUTE_PGM_RSRC2:TRAP_HANDLER: 0
; COMPUTE_PGM_RSRC2:TGID_X_EN: 1
; COMPUTE_PGM_RSRC2:TGID_Y_EN: 0
; COMPUTE_PGM_RSRC2:TGID_Z_EN: 0
; COMPUTE_PGM_RSRC2:TIDIG_COMP_CNT: 0
	.section	.text._ZN7rocprim17ROCPRIM_400000_NS6detail17trampoline_kernelINS0_14default_configENS1_25partition_config_selectorILNS1_17partition_subalgoE9EllbEEZZNS1_14partition_implILS5_9ELb0ES3_jPlS8_PNS0_10empty_typeENS0_5tupleIJS8_S9_EEENSB_IJS8_SA_EEENS0_18inequality_wrapperIZN2at6native12_GLOBAL__N_124unique_dim_cuda_templateIN3c108BFloat16EEESt5tupleIJNSF_6TensorESM_SM_EERKSM_lbbbEUlllE0_EEPmJS9_EEE10hipError_tPvRmT3_T4_T5_T6_T7_T9_mT8_P12ihipStream_tbDpT10_ENKUlT_T0_E_clISt17integral_constantIbLb1EES1C_EEDaS17_S18_EUlS17_E_NS1_11comp_targetILNS1_3genE9ELNS1_11target_archE1100ELNS1_3gpuE3ELNS1_3repE0EEENS1_30default_config_static_selectorELNS0_4arch9wavefront6targetE0EEEvT1_,"axG",@progbits,_ZN7rocprim17ROCPRIM_400000_NS6detail17trampoline_kernelINS0_14default_configENS1_25partition_config_selectorILNS1_17partition_subalgoE9EllbEEZZNS1_14partition_implILS5_9ELb0ES3_jPlS8_PNS0_10empty_typeENS0_5tupleIJS8_S9_EEENSB_IJS8_SA_EEENS0_18inequality_wrapperIZN2at6native12_GLOBAL__N_124unique_dim_cuda_templateIN3c108BFloat16EEESt5tupleIJNSF_6TensorESM_SM_EERKSM_lbbbEUlllE0_EEPmJS9_EEE10hipError_tPvRmT3_T4_T5_T6_T7_T9_mT8_P12ihipStream_tbDpT10_ENKUlT_T0_E_clISt17integral_constantIbLb1EES1C_EEDaS17_S18_EUlS17_E_NS1_11comp_targetILNS1_3genE9ELNS1_11target_archE1100ELNS1_3gpuE3ELNS1_3repE0EEENS1_30default_config_static_selectorELNS0_4arch9wavefront6targetE0EEEvT1_,comdat
	.globl	_ZN7rocprim17ROCPRIM_400000_NS6detail17trampoline_kernelINS0_14default_configENS1_25partition_config_selectorILNS1_17partition_subalgoE9EllbEEZZNS1_14partition_implILS5_9ELb0ES3_jPlS8_PNS0_10empty_typeENS0_5tupleIJS8_S9_EEENSB_IJS8_SA_EEENS0_18inequality_wrapperIZN2at6native12_GLOBAL__N_124unique_dim_cuda_templateIN3c108BFloat16EEESt5tupleIJNSF_6TensorESM_SM_EERKSM_lbbbEUlllE0_EEPmJS9_EEE10hipError_tPvRmT3_T4_T5_T6_T7_T9_mT8_P12ihipStream_tbDpT10_ENKUlT_T0_E_clISt17integral_constantIbLb1EES1C_EEDaS17_S18_EUlS17_E_NS1_11comp_targetILNS1_3genE9ELNS1_11target_archE1100ELNS1_3gpuE3ELNS1_3repE0EEENS1_30default_config_static_selectorELNS0_4arch9wavefront6targetE0EEEvT1_ ; -- Begin function _ZN7rocprim17ROCPRIM_400000_NS6detail17trampoline_kernelINS0_14default_configENS1_25partition_config_selectorILNS1_17partition_subalgoE9EllbEEZZNS1_14partition_implILS5_9ELb0ES3_jPlS8_PNS0_10empty_typeENS0_5tupleIJS8_S9_EEENSB_IJS8_SA_EEENS0_18inequality_wrapperIZN2at6native12_GLOBAL__N_124unique_dim_cuda_templateIN3c108BFloat16EEESt5tupleIJNSF_6TensorESM_SM_EERKSM_lbbbEUlllE0_EEPmJS9_EEE10hipError_tPvRmT3_T4_T5_T6_T7_T9_mT8_P12ihipStream_tbDpT10_ENKUlT_T0_E_clISt17integral_constantIbLb1EES1C_EEDaS17_S18_EUlS17_E_NS1_11comp_targetILNS1_3genE9ELNS1_11target_archE1100ELNS1_3gpuE3ELNS1_3repE0EEENS1_30default_config_static_selectorELNS0_4arch9wavefront6targetE0EEEvT1_
	.p2align	8
	.type	_ZN7rocprim17ROCPRIM_400000_NS6detail17trampoline_kernelINS0_14default_configENS1_25partition_config_selectorILNS1_17partition_subalgoE9EllbEEZZNS1_14partition_implILS5_9ELb0ES3_jPlS8_PNS0_10empty_typeENS0_5tupleIJS8_S9_EEENSB_IJS8_SA_EEENS0_18inequality_wrapperIZN2at6native12_GLOBAL__N_124unique_dim_cuda_templateIN3c108BFloat16EEESt5tupleIJNSF_6TensorESM_SM_EERKSM_lbbbEUlllE0_EEPmJS9_EEE10hipError_tPvRmT3_T4_T5_T6_T7_T9_mT8_P12ihipStream_tbDpT10_ENKUlT_T0_E_clISt17integral_constantIbLb1EES1C_EEDaS17_S18_EUlS17_E_NS1_11comp_targetILNS1_3genE9ELNS1_11target_archE1100ELNS1_3gpuE3ELNS1_3repE0EEENS1_30default_config_static_selectorELNS0_4arch9wavefront6targetE0EEEvT1_,@function
_ZN7rocprim17ROCPRIM_400000_NS6detail17trampoline_kernelINS0_14default_configENS1_25partition_config_selectorILNS1_17partition_subalgoE9EllbEEZZNS1_14partition_implILS5_9ELb0ES3_jPlS8_PNS0_10empty_typeENS0_5tupleIJS8_S9_EEENSB_IJS8_SA_EEENS0_18inequality_wrapperIZN2at6native12_GLOBAL__N_124unique_dim_cuda_templateIN3c108BFloat16EEESt5tupleIJNSF_6TensorESM_SM_EERKSM_lbbbEUlllE0_EEPmJS9_EEE10hipError_tPvRmT3_T4_T5_T6_T7_T9_mT8_P12ihipStream_tbDpT10_ENKUlT_T0_E_clISt17integral_constantIbLb1EES1C_EEDaS17_S18_EUlS17_E_NS1_11comp_targetILNS1_3genE9ELNS1_11target_archE1100ELNS1_3gpuE3ELNS1_3repE0EEENS1_30default_config_static_selectorELNS0_4arch9wavefront6targetE0EEEvT1_: ; @_ZN7rocprim17ROCPRIM_400000_NS6detail17trampoline_kernelINS0_14default_configENS1_25partition_config_selectorILNS1_17partition_subalgoE9EllbEEZZNS1_14partition_implILS5_9ELb0ES3_jPlS8_PNS0_10empty_typeENS0_5tupleIJS8_S9_EEENSB_IJS8_SA_EEENS0_18inequality_wrapperIZN2at6native12_GLOBAL__N_124unique_dim_cuda_templateIN3c108BFloat16EEESt5tupleIJNSF_6TensorESM_SM_EERKSM_lbbbEUlllE0_EEPmJS9_EEE10hipError_tPvRmT3_T4_T5_T6_T7_T9_mT8_P12ihipStream_tbDpT10_ENKUlT_T0_E_clISt17integral_constantIbLb1EES1C_EEDaS17_S18_EUlS17_E_NS1_11comp_targetILNS1_3genE9ELNS1_11target_archE1100ELNS1_3gpuE3ELNS1_3repE0EEENS1_30default_config_static_selectorELNS0_4arch9wavefront6targetE0EEEvT1_
; %bb.0:
	s_clause 0x3
	s_load_b128 s[4:7], s[0:1], 0x8
	s_load_b64 s[24:25], s[0:1], 0x18
	s_load_b256 s[8:15], s[0:1], 0x40
	s_load_b128 s[20:23], s[0:1], 0x60
	v_cmp_ne_u32_e64 s3, 0, v0
	v_cmp_eq_u32_e64 s2, 0, v0
	s_delay_alu instid0(VALU_DEP_1)
	s_and_saveexec_b32 s16, s2
	s_cbranch_execz .LBB1219_4
; %bb.1:
	s_mov_b32 s18, exec_lo
	s_mov_b32 s17, exec_lo
	v_mbcnt_lo_u32_b32 v1, s18, 0
                                        ; implicit-def: $vgpr2
	s_delay_alu instid0(VALU_DEP_1)
	v_cmpx_eq_u32_e32 0, v1
	s_cbranch_execz .LBB1219_3
; %bb.2:
	s_load_b64 s[26:27], s[0:1], 0x78
	s_bcnt1_i32_b32 s18, s18
	s_delay_alu instid0(SALU_CYCLE_1)
	v_dual_mov_b32 v2, 0 :: v_dual_mov_b32 v3, s18
	s_waitcnt lgkmcnt(0)
	global_atomic_add_u32 v2, v2, v3, s[26:27] glc
.LBB1219_3:
	s_or_b32 exec_lo, exec_lo, s17
	s_waitcnt vmcnt(0)
	v_readfirstlane_b32 s17, v2
	s_delay_alu instid0(VALU_DEP_1)
	v_dual_mov_b32 v2, 0 :: v_dual_add_nc_u32 v1, s17, v1
	ds_store_b32 v2, v1
.LBB1219_4:
	s_or_b32 exec_lo, exec_lo, s16
	v_mov_b32_e32 v1, 0
	s_clause 0x1
	s_load_b128 s[16:19], s[0:1], 0x28
	s_load_b32 s0, s[0:1], 0x70
	s_waitcnt lgkmcnt(0)
	s_barrier
	buffer_gl0_inv
	ds_load_b32 v3, v1
	s_waitcnt lgkmcnt(0)
	s_barrier
	buffer_gl0_inv
	global_load_b64 v[1:2], v1, s[10:11]
	s_lshl_b64 s[26:27], s[6:7], 3
	s_mov_b32 s1, 0
	s_add_u32 s10, s4, s26
	s_addc_u32 s11, s5, s27
	v_lshlrev_b32_e32 v55, 3, v0
	v_lshrrev_b32_e32 v34, 2, v0
	v_or_b32_e32 v39, 0x200, v0
	v_or_b32_e32 v38, 0x400, v0
	;; [unrolled: 1-line block ×5, first 2 shown]
	s_add_i32 s28, s0, -1
	s_lshl_b32 s5, s0, 12
	s_lshl_b32 s4, s28, 12
	v_or_b32_e32 v33, 0xc00, v0
	v_readfirstlane_b32 s30, v3
	s_add_i32 s4, s6, s4
	v_or_b32_e32 v36, 0xe00, v0
	s_sub_i32 s31, s12, s4
	s_delay_alu instid0(VALU_DEP_2)
	s_lshl_b32 s0, s30, 12
	s_add_u32 s4, s6, s5
	s_addc_u32 s5, s7, 0
	s_cmp_eq_u32 s30, s28
	v_cmp_ge_u64_e64 s4, s[4:5], s[12:13]
	s_cselect_b32 s28, -1, 0
	s_lshl_b64 s[12:13], s[0:1], 3
	s_mov_b32 s1, -1
	s_delay_alu instid0(VALU_DEP_1) | instskip(NEXT) | instid1(SALU_CYCLE_1)
	s_and_b32 s33, s4, s28
	s_xor_b32 s29, s33, -1
	s_add_u32 s4, s10, s12
	s_addc_u32 s5, s11, s13
	s_and_b32 vcc_lo, exec_lo, s29
	s_waitcnt vmcnt(0)
	v_readfirstlane_b32 s10, v1
	v_readfirstlane_b32 s11, v2
	s_cbranch_vccz .LBB1219_6
; %bb.5:
	v_add_co_u32 v9, s0, s4, v55
	s_delay_alu instid0(VALU_DEP_1)
	v_add_co_ci_u32_e64 v10, null, s5, 0, s0
	global_load_b64 v[1:2], v55, s[4:5]
	v_add_co_u32 v3, vcc_lo, v9, 0x2000
	v_add_co_ci_u32_e32 v4, vcc_lo, 0, v10, vcc_lo
	v_add_co_u32 v5, vcc_lo, v9, 0x4000
	v_add_co_ci_u32_e32 v6, vcc_lo, 0, v10, vcc_lo
	;; [unrolled: 2-line block ×4, first 2 shown]
	s_clause 0x6
	global_load_b64 v[11:12], v[3:4], off offset:-4096
	global_load_b64 v[3:4], v[3:4], off
	global_load_b64 v[13:14], v[5:6], off offset:-4096
	global_load_b64 v[5:6], v[5:6], off
	global_load_b64 v[15:16], v[7:8], off offset:-4096
	global_load_b64 v[7:8], v[7:8], off
	global_load_b64 v[9:10], v[9:10], off
	v_lshrrev_b32_e32 v18, 2, v39
	v_lshrrev_b32_e32 v19, 2, v38
	;; [unrolled: 1-line block ×4, first 2 shown]
	v_and_b32_e32 v17, 0x78, v34
	v_lshrrev_b32_e32 v22, 2, v35
	v_lshrrev_b32_e32 v23, 2, v33
	;; [unrolled: 1-line block ×3, first 2 shown]
	v_and_b32_e32 v18, 0xf8, v18
	v_and_b32_e32 v19, 0x178, v19
	;; [unrolled: 1-line block ×4, first 2 shown]
	v_add_nc_u32_e32 v17, v17, v55
	v_and_b32_e32 v22, 0x2f8, v22
	v_and_b32_e32 v23, 0x378, v23
	;; [unrolled: 1-line block ×3, first 2 shown]
	v_add_nc_u32_e32 v18, v18, v55
	v_add_nc_u32_e32 v19, v19, v55
	;; [unrolled: 1-line block ×4, first 2 shown]
	s_mov_b32 s1, 0
	v_add_nc_u32_e32 v22, v22, v55
	v_add_nc_u32_e32 v23, v23, v55
	;; [unrolled: 1-line block ×3, first 2 shown]
	s_waitcnt vmcnt(7)
	ds_store_b64 v17, v[1:2]
	s_waitcnt vmcnt(6)
	ds_store_b64 v18, v[11:12] offset:4096
	s_waitcnt vmcnt(5)
	ds_store_b64 v19, v[3:4] offset:8192
	;; [unrolled: 2-line block ×7, first 2 shown]
	s_waitcnt lgkmcnt(0)
	s_barrier
.LBB1219_6:
	v_cmp_gt_u32_e64 s0, s31, v0
	s_and_not1_b32 vcc_lo, exec_lo, s1
	s_cbranch_vccnz .LBB1219_24
; %bb.7:
                                        ; implicit-def: $vgpr1_vgpr2_vgpr3_vgpr4_vgpr5_vgpr6_vgpr7_vgpr8_vgpr9_vgpr10_vgpr11_vgpr12_vgpr13_vgpr14_vgpr15_vgpr16
	s_delay_alu instid0(VALU_DEP_1)
	s_and_saveexec_b32 s1, s0
	s_cbranch_execz .LBB1219_15
; %bb.8:
	global_load_b64 v[1:2], v55, s[4:5]
	s_or_b32 exec_lo, exec_lo, s1
	s_delay_alu instid0(SALU_CYCLE_1)
	s_mov_b32 s0, exec_lo
	v_cmpx_gt_u32_e64 s31, v39
	s_cbranch_execnz .LBB1219_16
.LBB1219_9:
	s_or_b32 exec_lo, exec_lo, s0
	s_delay_alu instid0(SALU_CYCLE_1)
	s_mov_b32 s0, exec_lo
	v_cmpx_gt_u32_e64 s31, v38
	s_cbranch_execz .LBB1219_17
.LBB1219_10:
	v_lshlrev_b32_e32 v5, 3, v38
	global_load_b64 v[5:6], v5, s[4:5]
	s_or_b32 exec_lo, exec_lo, s0
	s_delay_alu instid0(SALU_CYCLE_1)
	s_mov_b32 s0, exec_lo
	v_cmpx_gt_u32_e64 s31, v40
	s_cbranch_execnz .LBB1219_18
.LBB1219_11:
	s_or_b32 exec_lo, exec_lo, s0
	s_delay_alu instid0(SALU_CYCLE_1)
	s_mov_b32 s0, exec_lo
	v_cmpx_gt_u32_e64 s31, v37
	s_cbranch_execz .LBB1219_19
.LBB1219_12:
	v_lshlrev_b32_e32 v9, 3, v37
	global_load_b64 v[9:10], v9, s[4:5]
	s_or_b32 exec_lo, exec_lo, s0
	s_delay_alu instid0(SALU_CYCLE_1)
	s_mov_b32 s0, exec_lo
	v_cmpx_gt_u32_e64 s31, v35
	s_cbranch_execnz .LBB1219_20
.LBB1219_13:
	s_or_b32 exec_lo, exec_lo, s0
	s_delay_alu instid0(SALU_CYCLE_1)
	s_mov_b32 s0, exec_lo
	v_cmpx_gt_u32_e64 s31, v33
	s_cbranch_execz .LBB1219_21
.LBB1219_14:
	v_lshlrev_b32_e32 v13, 3, v33
	global_load_b64 v[13:14], v13, s[4:5]
	s_or_b32 exec_lo, exec_lo, s0
	s_delay_alu instid0(SALU_CYCLE_1)
	s_mov_b32 s0, exec_lo
	v_cmpx_gt_u32_e64 s31, v36
	s_cbranch_execnz .LBB1219_22
	s_branch .LBB1219_23
.LBB1219_15:
	s_or_b32 exec_lo, exec_lo, s1
	s_delay_alu instid0(SALU_CYCLE_1)
	s_mov_b32 s0, exec_lo
	v_cmpx_gt_u32_e64 s31, v39
	s_cbranch_execz .LBB1219_9
.LBB1219_16:
	v_lshlrev_b32_e32 v3, 3, v39
	global_load_b64 v[3:4], v3, s[4:5]
	s_or_b32 exec_lo, exec_lo, s0
	s_delay_alu instid0(SALU_CYCLE_1)
	s_mov_b32 s0, exec_lo
	v_cmpx_gt_u32_e64 s31, v38
	s_cbranch_execnz .LBB1219_10
.LBB1219_17:
	s_or_b32 exec_lo, exec_lo, s0
	s_delay_alu instid0(SALU_CYCLE_1)
	s_mov_b32 s0, exec_lo
	v_cmpx_gt_u32_e64 s31, v40
	s_cbranch_execz .LBB1219_11
.LBB1219_18:
	v_lshlrev_b32_e32 v7, 3, v40
	global_load_b64 v[7:8], v7, s[4:5]
	s_or_b32 exec_lo, exec_lo, s0
	s_delay_alu instid0(SALU_CYCLE_1)
	s_mov_b32 s0, exec_lo
	v_cmpx_gt_u32_e64 s31, v37
	s_cbranch_execnz .LBB1219_12
.LBB1219_19:
	s_or_b32 exec_lo, exec_lo, s0
	s_delay_alu instid0(SALU_CYCLE_1)
	s_mov_b32 s0, exec_lo
	v_cmpx_gt_u32_e64 s31, v35
	s_cbranch_execz .LBB1219_13
.LBB1219_20:
	v_lshlrev_b32_e32 v11, 3, v35
	global_load_b64 v[11:12], v11, s[4:5]
	s_or_b32 exec_lo, exec_lo, s0
	s_delay_alu instid0(SALU_CYCLE_1)
	s_mov_b32 s0, exec_lo
	v_cmpx_gt_u32_e64 s31, v33
	s_cbranch_execnz .LBB1219_14
.LBB1219_21:
	s_or_b32 exec_lo, exec_lo, s0
	s_delay_alu instid0(SALU_CYCLE_1)
	s_mov_b32 s0, exec_lo
	v_cmpx_gt_u32_e64 s31, v36
	s_cbranch_execz .LBB1219_23
.LBB1219_22:
	v_lshlrev_b32_e32 v15, 3, v36
	global_load_b64 v[15:16], v15, s[4:5]
.LBB1219_23:
	s_or_b32 exec_lo, exec_lo, s0
	v_lshrrev_b32_e32 v17, 2, v39
	v_lshrrev_b32_e32 v18, 2, v38
	;; [unrolled: 1-line block ×4, first 2 shown]
	v_and_b32_e32 v19, 0x78, v34
	v_lshrrev_b32_e32 v22, 2, v35
	v_lshrrev_b32_e32 v23, 2, v33
	;; [unrolled: 1-line block ×3, first 2 shown]
	v_and_b32_e32 v17, 0xf8, v17
	v_and_b32_e32 v18, 0x1f8, v18
	;; [unrolled: 1-line block ×4, first 2 shown]
	v_add_nc_u32_e32 v19, v19, v55
	v_and_b32_e32 v22, 0x3f8, v22
	v_and_b32_e32 v23, 0x3f8, v23
	;; [unrolled: 1-line block ×3, first 2 shown]
	v_add_nc_u32_e32 v17, v17, v55
	v_add_nc_u32_e32 v18, v18, v55
	;; [unrolled: 1-line block ×7, first 2 shown]
	s_waitcnt vmcnt(0)
	ds_store_b64 v19, v[1:2]
	ds_store_b64 v17, v[3:4] offset:4096
	ds_store_b64 v18, v[5:6] offset:8192
	;; [unrolled: 1-line block ×7, first 2 shown]
	s_waitcnt lgkmcnt(0)
	s_barrier
.LBB1219_24:
	v_add_lshl_u32 v41, v34, v55, 3
	buffer_gl0_inv
	s_add_u32 s0, s24, s26
	s_addc_u32 s1, s25, s27
	s_add_u32 s0, s0, s12
	ds_load_2addr_b64 v[29:32], v41 offset1:1
	ds_load_2addr_b64 v[25:28], v41 offset0:2 offset1:3
	ds_load_2addr_b64 v[21:24], v41 offset0:4 offset1:5
	;; [unrolled: 1-line block ×3, first 2 shown]
	s_addc_u32 s1, s1, s13
	s_and_b32 vcc_lo, exec_lo, s29
	s_mov_b32 s12, -1
	s_waitcnt lgkmcnt(0)
	s_barrier
	buffer_gl0_inv
	s_cbranch_vccz .LBB1219_26
; %bb.25:
	v_add_co_u32 v9, s12, s0, v55
	s_delay_alu instid0(VALU_DEP_1)
	v_add_co_ci_u32_e64 v10, null, s1, 0, s12
	global_load_b64 v[1:2], v55, s[0:1]
	v_add_co_u32 v3, vcc_lo, v9, 0x2000
	v_add_co_ci_u32_e32 v4, vcc_lo, 0, v10, vcc_lo
	v_add_co_u32 v5, vcc_lo, v9, 0x4000
	v_add_co_ci_u32_e32 v6, vcc_lo, 0, v10, vcc_lo
	;; [unrolled: 2-line block ×4, first 2 shown]
	s_clause 0x6
	global_load_b64 v[11:12], v[3:4], off offset:-4096
	global_load_b64 v[3:4], v[3:4], off
	global_load_b64 v[13:14], v[5:6], off offset:-4096
	global_load_b64 v[5:6], v[5:6], off
	;; [unrolled: 2-line block ×3, first 2 shown]
	global_load_b64 v[9:10], v[9:10], off
	v_lshrrev_b32_e32 v43, 2, v39
	v_lshrrev_b32_e32 v44, 2, v38
	;; [unrolled: 1-line block ×4, first 2 shown]
	v_and_b32_e32 v42, 0x78, v34
	v_lshrrev_b32_e32 v47, 2, v35
	v_lshrrev_b32_e32 v48, 2, v33
	;; [unrolled: 1-line block ×3, first 2 shown]
	v_and_b32_e32 v43, 0xf8, v43
	v_and_b32_e32 v44, 0x178, v44
	;; [unrolled: 1-line block ×4, first 2 shown]
	v_add_nc_u32_e32 v42, v42, v55
	v_and_b32_e32 v47, 0x2f8, v47
	v_and_b32_e32 v48, 0x378, v48
	;; [unrolled: 1-line block ×3, first 2 shown]
	v_add_nc_u32_e32 v43, v43, v55
	v_add_nc_u32_e32 v44, v44, v55
	;; [unrolled: 1-line block ×4, first 2 shown]
	s_mov_b32 s12, 0
	v_add_nc_u32_e32 v47, v47, v55
	v_add_nc_u32_e32 v48, v48, v55
	;; [unrolled: 1-line block ×3, first 2 shown]
	s_waitcnt vmcnt(7)
	ds_store_b64 v42, v[1:2]
	s_waitcnt vmcnt(6)
	ds_store_b64 v43, v[11:12] offset:4096
	s_waitcnt vmcnt(5)
	ds_store_b64 v44, v[3:4] offset:8192
	;; [unrolled: 2-line block ×7, first 2 shown]
	s_waitcnt lgkmcnt(0)
	s_barrier
.LBB1219_26:
	s_and_not1_b32 vcc_lo, exec_lo, s12
	s_cbranch_vccnz .LBB1219_44
; %bb.27:
	s_mov_b32 s12, exec_lo
                                        ; implicit-def: $vgpr1_vgpr2
	v_cmpx_gt_u32_e64 s31, v0
	s_cbranch_execz .LBB1219_29
; %bb.28:
	global_load_b64 v[1:2], v55, s[0:1]
.LBB1219_29:
	s_or_b32 exec_lo, exec_lo, s12
	s_delay_alu instid0(SALU_CYCLE_1)
	s_mov_b32 s12, exec_lo
                                        ; implicit-def: $vgpr3_vgpr4
	v_cmpx_gt_u32_e64 s31, v39
	s_cbranch_execz .LBB1219_31
; %bb.30:
	v_lshlrev_b32_e32 v3, 3, v39
	global_load_b64 v[3:4], v3, s[0:1]
.LBB1219_31:
	s_or_b32 exec_lo, exec_lo, s12
	s_delay_alu instid0(SALU_CYCLE_1)
	s_mov_b32 s12, exec_lo
                                        ; implicit-def: $vgpr5_vgpr6
	v_cmpx_gt_u32_e64 s31, v38
	s_cbranch_execz .LBB1219_33
; %bb.32:
	v_lshlrev_b32_e32 v5, 3, v38
	global_load_b64 v[5:6], v5, s[0:1]
.LBB1219_33:
	s_or_b32 exec_lo, exec_lo, s12
	s_delay_alu instid0(SALU_CYCLE_1)
	s_mov_b32 s12, exec_lo
                                        ; implicit-def: $vgpr7_vgpr8
	v_cmpx_gt_u32_e64 s31, v40
	s_cbranch_execz .LBB1219_35
; %bb.34:
	v_lshlrev_b32_e32 v7, 3, v40
	global_load_b64 v[7:8], v7, s[0:1]
.LBB1219_35:
	s_or_b32 exec_lo, exec_lo, s12
	s_delay_alu instid0(SALU_CYCLE_1)
	s_mov_b32 s12, exec_lo
                                        ; implicit-def: $vgpr9_vgpr10
	v_cmpx_gt_u32_e64 s31, v37
	s_cbranch_execz .LBB1219_37
; %bb.36:
	v_lshlrev_b32_e32 v9, 3, v37
	global_load_b64 v[9:10], v9, s[0:1]
.LBB1219_37:
	s_or_b32 exec_lo, exec_lo, s12
	s_delay_alu instid0(SALU_CYCLE_1)
	s_mov_b32 s12, exec_lo
                                        ; implicit-def: $vgpr11_vgpr12
	v_cmpx_gt_u32_e64 s31, v35
	s_cbranch_execz .LBB1219_39
; %bb.38:
	v_lshlrev_b32_e32 v11, 3, v35
	global_load_b64 v[11:12], v11, s[0:1]
.LBB1219_39:
	s_or_b32 exec_lo, exec_lo, s12
	s_delay_alu instid0(SALU_CYCLE_1)
	s_mov_b32 s12, exec_lo
                                        ; implicit-def: $vgpr13_vgpr14
	v_cmpx_gt_u32_e64 s31, v33
	s_cbranch_execz .LBB1219_41
; %bb.40:
	v_lshlrev_b32_e32 v13, 3, v33
	global_load_b64 v[13:14], v13, s[0:1]
.LBB1219_41:
	s_or_b32 exec_lo, exec_lo, s12
	s_delay_alu instid0(SALU_CYCLE_1)
	s_mov_b32 s12, exec_lo
                                        ; implicit-def: $vgpr15_vgpr16
	v_cmpx_gt_u32_e64 s31, v36
	s_cbranch_execz .LBB1219_43
; %bb.42:
	v_lshlrev_b32_e32 v15, 3, v36
	global_load_b64 v[15:16], v15, s[0:1]
.LBB1219_43:
	s_or_b32 exec_lo, exec_lo, s12
	v_lshrrev_b32_e32 v39, 2, v39
	v_lshrrev_b32_e32 v38, 2, v38
	;; [unrolled: 1-line block ×4, first 2 shown]
	v_and_b32_e32 v34, 0x78, v34
	v_lshrrev_b32_e32 v35, 2, v35
	v_lshrrev_b32_e32 v33, 2, v33
	;; [unrolled: 1-line block ×3, first 2 shown]
	v_and_b32_e32 v39, 0xf8, v39
	v_and_b32_e32 v38, 0x1f8, v38
	;; [unrolled: 1-line block ×4, first 2 shown]
	v_add_nc_u32_e32 v34, v34, v55
	v_and_b32_e32 v35, 0x3f8, v35
	v_and_b32_e32 v33, 0x3f8, v33
	;; [unrolled: 1-line block ×3, first 2 shown]
	v_add_nc_u32_e32 v39, v39, v55
	v_add_nc_u32_e32 v38, v38, v55
	;; [unrolled: 1-line block ×7, first 2 shown]
	s_waitcnt vmcnt(0)
	ds_store_b64 v34, v[1:2]
	ds_store_b64 v39, v[3:4] offset:4096
	ds_store_b64 v38, v[5:6] offset:8192
	;; [unrolled: 1-line block ×7, first 2 shown]
	s_waitcnt lgkmcnt(0)
	s_barrier
.LBB1219_44:
	buffer_gl0_inv
	ds_load_2addr_b64 v[13:16], v41 offset1:1
	ds_load_2addr_b64 v[9:12], v41 offset0:2 offset1:3
	ds_load_2addr_b64 v[5:8], v41 offset0:4 offset1:5
	;; [unrolled: 1-line block ×3, first 2 shown]
	s_cmp_lg_u32 s30, 0
	v_cmp_gt_i64_e64 s13, s[14:15], 0
	s_cselect_b32 s12, -1, 0
	s_cmp_lg_u64 s[6:7], 0
	s_mov_b32 s1, 0
	s_cselect_b32 s0, -1, 0
	s_waitcnt lgkmcnt(0)
	s_or_b32 s0, s0, s12
	s_barrier
	s_and_b32 vcc_lo, exec_lo, s0
	buffer_gl0_inv
	s_cbranch_vccz .LBB1219_53
; %bb.45:
	v_mov_b32_e32 v33, 0
	v_cndmask_b32_e64 v43, 0, 1, s13
	s_and_b32 vcc_lo, exec_lo, s29
	ds_store_b64 v55, v[19:20]
	global_load_b64 v[33:34], v33, s[4:5] offset:-8
	v_cmp_ne_u32_e64 s0, 1, v43
	s_cbranch_vccz .LBB1219_54
; %bb.46:
	v_mul_lo_u32 v37, v18, s14
	v_mul_lo_u32 v38, v17, s15
	v_mad_u64_u32 v[35:36], null, v17, s14, 0
	s_and_b32 vcc_lo, exec_lo, s0
	s_mov_b32 s24, 0
	s_delay_alu instid0(VALU_DEP_1) | instskip(NEXT) | instid1(VALU_DEP_1)
	v_add3_u32 v36, v36, v38, v37
	v_lshlrev_b64 v[35:36], 1, v[35:36]
	s_cbranch_vccnz .LBB1219_57
; %bb.47:
	v_mul_lo_u32 v39, v20, s14
	v_mul_lo_u32 v40, v19, s15
	v_mad_u64_u32 v[37:38], null, v19, s14, 0
	s_mov_b32 s24, -1
	s_mov_b32 s25, exec_lo
	s_delay_alu instid0(VALU_DEP_1) | instskip(NEXT) | instid1(VALU_DEP_1)
	v_add3_u32 v38, v38, v40, v39
	v_lshlrev_b64 v[37:38], 1, v[37:38]
	s_delay_alu instid0(VALU_DEP_1) | instskip(NEXT) | instid1(VALU_DEP_2)
	v_add_co_u32 v37, vcc_lo, s20, v37
	v_add_co_ci_u32_e32 v38, vcc_lo, s21, v38, vcc_lo
	v_add_co_u32 v39, vcc_lo, s20, v35
	v_add_co_ci_u32_e32 v40, vcc_lo, s21, v36, vcc_lo
	s_clause 0x1
	global_load_u16 v41, v[37:38], off
	global_load_u16 v42, v[39:40], off
	s_waitcnt vmcnt(1)
	v_lshlrev_b32_e32 v41, 16, v41
	s_waitcnt vmcnt(0)
	v_lshlrev_b32_e32 v42, 16, v42
	s_delay_alu instid0(VALU_DEP_1)
	v_cmpx_eq_f32_e32 v42, v41
	s_cbranch_execz .LBB1219_56
; %bb.48:
	v_add_co_u32 v37, vcc_lo, v37, 2
	v_add_co_ci_u32_e32 v38, vcc_lo, 0, v38, vcc_lo
	v_add_co_u32 v39, vcc_lo, v39, 2
	v_add_co_ci_u32_e32 v40, vcc_lo, 0, v40, vcc_lo
	s_add_u32 s4, s14, -1
	s_addc_u32 s5, s15, -1
	s_mov_b64 s[6:7], 0
	s_mov_b32 s24, 0
                                        ; implicit-def: $sgpr26
	s_set_inst_prefetch_distance 0x1
	s_branch .LBB1219_51
	.p2align	6
.LBB1219_49:                            ;   in Loop: Header=BB1219_51 Depth=1
	global_load_u16 v41, v[37:38], off
	global_load_u16 v42, v[39:40], off
	v_add_co_u32 v37, vcc_lo, v37, 2
	v_add_co_ci_u32_e32 v38, vcc_lo, 0, v38, vcc_lo
	v_add_co_u32 v39, s0, v39, 2
	s_delay_alu instid0(VALU_DEP_1)
	v_add_co_ci_u32_e64 v40, s0, 0, v40, s0
	s_add_u32 s6, s6, 1
	s_addc_u32 s7, s7, 0
	s_and_not1_b32 s0, s26, exec_lo
	s_waitcnt vmcnt(1)
	v_lshlrev_b32_e32 v41, 16, v41
	s_waitcnt vmcnt(0)
	v_lshlrev_b32_e32 v42, 16, v42
	s_delay_alu instid0(VALU_DEP_1) | instskip(SKIP_1) | instid1(SALU_CYCLE_1)
	v_cmp_neq_f32_e32 vcc_lo, v42, v41
	s_and_b32 s26, vcc_lo, exec_lo
	s_or_b32 s26, s0, s26
.LBB1219_50:                            ;   in Loop: Header=BB1219_51 Depth=1
	v_dual_mov_b32 v42, s7 :: v_dual_mov_b32 v41, s6
	s_and_b32 s0, exec_lo, s26
	s_delay_alu instid0(SALU_CYCLE_1) | instskip(NEXT) | instid1(SALU_CYCLE_1)
	s_or_b32 s24, s0, s24
	s_and_not1_b32 exec_lo, exec_lo, s24
	s_cbranch_execz .LBB1219_55
.LBB1219_51:                            ; =>This Inner Loop Header: Depth=1
	s_or_b32 s26, s26, exec_lo
	s_cmp_eq_u64 s[4:5], s[6:7]
	s_cbranch_scc0 .LBB1219_49
; %bb.52:                               ;   in Loop: Header=BB1219_51 Depth=1
	s_mov_b64 s[6:7], s[14:15]
                                        ; implicit-def: $vgpr37_vgpr38
                                        ; implicit-def: $vgpr39_vgpr40
	s_branch .LBB1219_50
.LBB1219_53:
                                        ; implicit-def: $sgpr0
                                        ; implicit-def: $vgpr36
	s_branch .LBB1219_215
.LBB1219_54:
                                        ; implicit-def: $sgpr0
                                        ; implicit-def: $vgpr36
	s_cbranch_execnz .LBB1219_123
	s_branch .LBB1219_214
.LBB1219_55:
	s_set_inst_prefetch_distance 0x2
	s_or_b32 exec_lo, exec_lo, s24
	v_cmp_gt_i64_e32 vcc_lo, s[14:15], v[41:42]
	s_or_not1_b32 s24, vcc_lo, exec_lo
.LBB1219_56:
	s_or_b32 exec_lo, exec_lo, s25
.LBB1219_57:
	v_mul_lo_u32 v39, v24, s14
	v_mul_lo_u32 v40, v23, s15
	v_mad_u64_u32 v[37:38], null, v23, s14, 0
	s_and_not1_b32 vcc_lo, exec_lo, s13
	s_delay_alu instid0(VALU_DEP_1) | instskip(NEXT) | instid1(VALU_DEP_1)
	v_add3_u32 v38, v38, v40, v39
	v_lshlrev_b64 v[37:38], 1, v[37:38]
	s_cbranch_vccnz .LBB1219_66
; %bb.58:
	v_add_co_u32 v35, vcc_lo, s20, v35
	v_add_co_ci_u32_e32 v36, vcc_lo, s21, v36, vcc_lo
	s_delay_alu instid0(VALU_DEP_3) | instskip(NEXT) | instid1(VALU_DEP_4)
	v_add_co_u32 v39, vcc_lo, s20, v37
	v_add_co_ci_u32_e32 v40, vcc_lo, s21, v38, vcc_lo
	s_mov_b32 s1, -1
	s_clause 0x1
	global_load_u16 v41, v[35:36], off
	global_load_u16 v42, v[39:40], off
	s_mov_b32 s25, exec_lo
	s_waitcnt vmcnt(1)
	v_lshlrev_b32_e32 v41, 16, v41
	s_waitcnt vmcnt(0)
	v_lshlrev_b32_e32 v42, 16, v42
	s_delay_alu instid0(VALU_DEP_1)
	v_cmpx_eq_f32_e32 v42, v41
	s_cbranch_execz .LBB1219_65
; %bb.59:
	v_add_co_u32 v35, vcc_lo, v35, 2
	v_add_co_ci_u32_e32 v36, vcc_lo, 0, v36, vcc_lo
	v_add_co_u32 v39, vcc_lo, v39, 2
	v_add_co_ci_u32_e32 v40, vcc_lo, 0, v40, vcc_lo
	s_add_u32 s4, s14, -1
	s_addc_u32 s5, s15, -1
	s_mov_b64 s[6:7], 0
	s_mov_b32 s1, 0
                                        ; implicit-def: $sgpr26
	s_set_inst_prefetch_distance 0x1
	s_branch .LBB1219_62
	.p2align	6
.LBB1219_60:                            ;   in Loop: Header=BB1219_62 Depth=1
	global_load_u16 v41, v[35:36], off
	global_load_u16 v42, v[39:40], off
	v_add_co_u32 v35, vcc_lo, v35, 2
	v_add_co_ci_u32_e32 v36, vcc_lo, 0, v36, vcc_lo
	v_add_co_u32 v39, s0, v39, 2
	s_delay_alu instid0(VALU_DEP_1)
	v_add_co_ci_u32_e64 v40, s0, 0, v40, s0
	s_add_u32 s6, s6, 1
	s_addc_u32 s7, s7, 0
	s_and_not1_b32 s0, s26, exec_lo
	s_waitcnt vmcnt(1)
	v_lshlrev_b32_e32 v41, 16, v41
	s_waitcnt vmcnt(0)
	v_lshlrev_b32_e32 v42, 16, v42
	s_delay_alu instid0(VALU_DEP_1) | instskip(SKIP_1) | instid1(SALU_CYCLE_1)
	v_cmp_neq_f32_e32 vcc_lo, v42, v41
	s_and_b32 s26, vcc_lo, exec_lo
	s_or_b32 s26, s0, s26
.LBB1219_61:                            ;   in Loop: Header=BB1219_62 Depth=1
	v_dual_mov_b32 v42, s7 :: v_dual_mov_b32 v41, s6
	s_and_b32 s0, exec_lo, s26
	s_delay_alu instid0(SALU_CYCLE_1) | instskip(NEXT) | instid1(SALU_CYCLE_1)
	s_or_b32 s1, s0, s1
	s_and_not1_b32 exec_lo, exec_lo, s1
	s_cbranch_execz .LBB1219_64
.LBB1219_62:                            ; =>This Inner Loop Header: Depth=1
	s_or_b32 s26, s26, exec_lo
	s_cmp_eq_u64 s[4:5], s[6:7]
	s_cbranch_scc0 .LBB1219_60
; %bb.63:                               ;   in Loop: Header=BB1219_62 Depth=1
	s_mov_b64 s[6:7], s[14:15]
                                        ; implicit-def: $vgpr35_vgpr36
                                        ; implicit-def: $vgpr39_vgpr40
	s_branch .LBB1219_61
.LBB1219_64:
	s_set_inst_prefetch_distance 0x2
	s_or_b32 exec_lo, exec_lo, s1
	v_cmp_gt_i64_e32 vcc_lo, s[14:15], v[41:42]
	s_or_not1_b32 s1, vcc_lo, exec_lo
.LBB1219_65:
	s_or_b32 exec_lo, exec_lo, s25
.LBB1219_66:
	v_mul_lo_u32 v39, v22, s14
	v_mul_lo_u32 v40, v21, s15
	v_mad_u64_u32 v[35:36], null, v21, s14, 0
	s_mov_b32 s25, 0
	s_and_not1_b32 vcc_lo, exec_lo, s13
	s_mov_b32 s26, 0
	s_delay_alu instid0(VALU_DEP_1) | instskip(NEXT) | instid1(VALU_DEP_1)
	v_add3_u32 v36, v36, v40, v39
	v_lshlrev_b64 v[39:40], 1, v[35:36]
	s_cbranch_vccnz .LBB1219_75
; %bb.67:
	v_add_co_u32 v35, vcc_lo, s20, v37
	v_add_co_ci_u32_e32 v36, vcc_lo, s21, v38, vcc_lo
	s_delay_alu instid0(VALU_DEP_3) | instskip(NEXT) | instid1(VALU_DEP_4)
	v_add_co_u32 v37, vcc_lo, s20, v39
	v_add_co_ci_u32_e32 v38, vcc_lo, s21, v40, vcc_lo
	s_mov_b32 s26, -1
	s_clause 0x1
	global_load_u16 v41, v[35:36], off
	global_load_u16 v42, v[37:38], off
	s_mov_b32 s27, exec_lo
	s_waitcnt vmcnt(1)
	v_lshlrev_b32_e32 v41, 16, v41
	s_waitcnt vmcnt(0)
	v_lshlrev_b32_e32 v42, 16, v42
	s_delay_alu instid0(VALU_DEP_1)
	v_cmpx_eq_f32_e32 v42, v41
	s_cbranch_execz .LBB1219_74
; %bb.68:
	v_add_co_u32 v35, vcc_lo, v35, 2
	v_add_co_ci_u32_e32 v36, vcc_lo, 0, v36, vcc_lo
	v_add_co_u32 v37, vcc_lo, v37, 2
	v_add_co_ci_u32_e32 v38, vcc_lo, 0, v38, vcc_lo
	s_add_u32 s4, s14, -1
	s_addc_u32 s5, s15, -1
	s_mov_b64 s[6:7], 0
	s_mov_b32 s26, 0
                                        ; implicit-def: $sgpr34
	s_set_inst_prefetch_distance 0x1
	s_branch .LBB1219_71
	.p2align	6
.LBB1219_69:                            ;   in Loop: Header=BB1219_71 Depth=1
	global_load_u16 v41, v[35:36], off
	global_load_u16 v42, v[37:38], off
	v_add_co_u32 v35, vcc_lo, v35, 2
	v_add_co_ci_u32_e32 v36, vcc_lo, 0, v36, vcc_lo
	v_add_co_u32 v37, s0, v37, 2
	s_delay_alu instid0(VALU_DEP_1)
	v_add_co_ci_u32_e64 v38, s0, 0, v38, s0
	s_add_u32 s6, s6, 1
	s_addc_u32 s7, s7, 0
	s_and_not1_b32 s0, s34, exec_lo
	s_waitcnt vmcnt(1)
	v_lshlrev_b32_e32 v41, 16, v41
	s_waitcnt vmcnt(0)
	v_lshlrev_b32_e32 v42, 16, v42
	s_delay_alu instid0(VALU_DEP_1) | instskip(SKIP_1) | instid1(SALU_CYCLE_1)
	v_cmp_neq_f32_e32 vcc_lo, v42, v41
	s_and_b32 s34, vcc_lo, exec_lo
	s_or_b32 s34, s0, s34
.LBB1219_70:                            ;   in Loop: Header=BB1219_71 Depth=1
	v_dual_mov_b32 v42, s7 :: v_dual_mov_b32 v41, s6
	s_and_b32 s0, exec_lo, s34
	s_delay_alu instid0(SALU_CYCLE_1) | instskip(NEXT) | instid1(SALU_CYCLE_1)
	s_or_b32 s26, s0, s26
	s_and_not1_b32 exec_lo, exec_lo, s26
	s_cbranch_execz .LBB1219_73
.LBB1219_71:                            ; =>This Inner Loop Header: Depth=1
	s_or_b32 s34, s34, exec_lo
	s_cmp_eq_u64 s[4:5], s[6:7]
	s_cbranch_scc0 .LBB1219_69
; %bb.72:                               ;   in Loop: Header=BB1219_71 Depth=1
	s_mov_b64 s[6:7], s[14:15]
                                        ; implicit-def: $vgpr35_vgpr36
                                        ; implicit-def: $vgpr37_vgpr38
	s_branch .LBB1219_70
.LBB1219_73:
	s_set_inst_prefetch_distance 0x2
	s_or_b32 exec_lo, exec_lo, s26
	v_cmp_gt_i64_e32 vcc_lo, s[14:15], v[41:42]
	s_or_not1_b32 s26, vcc_lo, exec_lo
.LBB1219_74:
	s_or_b32 exec_lo, exec_lo, s27
.LBB1219_75:
	v_mul_lo_u32 v37, v28, s14
	v_mul_lo_u32 v38, v27, s15
	v_mad_u64_u32 v[35:36], null, v27, s14, 0
	s_and_not1_b32 vcc_lo, exec_lo, s13
	s_delay_alu instid0(VALU_DEP_1) | instskip(NEXT) | instid1(VALU_DEP_1)
	v_add3_u32 v36, v36, v38, v37
	v_lshlrev_b64 v[35:36], 1, v[35:36]
	s_cbranch_vccnz .LBB1219_84
; %bb.76:
	v_add_co_u32 v37, vcc_lo, s20, v39
	v_add_co_ci_u32_e32 v38, vcc_lo, s21, v40, vcc_lo
	s_delay_alu instid0(VALU_DEP_3) | instskip(NEXT) | instid1(VALU_DEP_4)
	v_add_co_u32 v39, vcc_lo, s20, v35
	v_add_co_ci_u32_e32 v40, vcc_lo, s21, v36, vcc_lo
	s_mov_b32 s25, -1
	s_clause 0x1
	global_load_u16 v41, v[37:38], off
	global_load_u16 v42, v[39:40], off
	s_mov_b32 s27, exec_lo
	s_waitcnt vmcnt(1)
	v_lshlrev_b32_e32 v41, 16, v41
	s_waitcnt vmcnt(0)
	v_lshlrev_b32_e32 v42, 16, v42
	s_delay_alu instid0(VALU_DEP_1)
	v_cmpx_eq_f32_e32 v42, v41
	s_cbranch_execz .LBB1219_83
; %bb.77:
	v_add_co_u32 v37, vcc_lo, v37, 2
	v_add_co_ci_u32_e32 v38, vcc_lo, 0, v38, vcc_lo
	v_add_co_u32 v39, vcc_lo, v39, 2
	v_add_co_ci_u32_e32 v40, vcc_lo, 0, v40, vcc_lo
	s_add_u32 s4, s14, -1
	s_addc_u32 s5, s15, -1
	s_mov_b64 s[6:7], 0
	s_mov_b32 s25, 0
                                        ; implicit-def: $sgpr34
	s_set_inst_prefetch_distance 0x1
	s_branch .LBB1219_80
	.p2align	6
.LBB1219_78:                            ;   in Loop: Header=BB1219_80 Depth=1
	global_load_u16 v41, v[37:38], off
	global_load_u16 v42, v[39:40], off
	v_add_co_u32 v37, vcc_lo, v37, 2
	v_add_co_ci_u32_e32 v38, vcc_lo, 0, v38, vcc_lo
	v_add_co_u32 v39, s0, v39, 2
	s_delay_alu instid0(VALU_DEP_1)
	v_add_co_ci_u32_e64 v40, s0, 0, v40, s0
	s_add_u32 s6, s6, 1
	s_addc_u32 s7, s7, 0
	s_and_not1_b32 s0, s34, exec_lo
	s_waitcnt vmcnt(1)
	v_lshlrev_b32_e32 v41, 16, v41
	s_waitcnt vmcnt(0)
	v_lshlrev_b32_e32 v42, 16, v42
	s_delay_alu instid0(VALU_DEP_1) | instskip(SKIP_1) | instid1(SALU_CYCLE_1)
	v_cmp_neq_f32_e32 vcc_lo, v42, v41
	s_and_b32 s34, vcc_lo, exec_lo
	s_or_b32 s34, s0, s34
.LBB1219_79:                            ;   in Loop: Header=BB1219_80 Depth=1
	v_dual_mov_b32 v42, s7 :: v_dual_mov_b32 v41, s6
	s_and_b32 s0, exec_lo, s34
	s_delay_alu instid0(SALU_CYCLE_1) | instskip(NEXT) | instid1(SALU_CYCLE_1)
	s_or_b32 s25, s0, s25
	s_and_not1_b32 exec_lo, exec_lo, s25
	s_cbranch_execz .LBB1219_82
.LBB1219_80:                            ; =>This Inner Loop Header: Depth=1
	s_or_b32 s34, s34, exec_lo
	s_cmp_eq_u64 s[4:5], s[6:7]
	s_cbranch_scc0 .LBB1219_78
; %bb.81:                               ;   in Loop: Header=BB1219_80 Depth=1
	s_mov_b64 s[6:7], s[14:15]
                                        ; implicit-def: $vgpr37_vgpr38
                                        ; implicit-def: $vgpr39_vgpr40
	s_branch .LBB1219_79
.LBB1219_82:
	s_set_inst_prefetch_distance 0x2
	s_or_b32 exec_lo, exec_lo, s25
	v_cmp_gt_i64_e32 vcc_lo, s[14:15], v[41:42]
	s_or_not1_b32 s25, vcc_lo, exec_lo
.LBB1219_83:
	s_or_b32 exec_lo, exec_lo, s27
.LBB1219_84:
	v_mul_lo_u32 v39, v26, s14
	v_mul_lo_u32 v40, v25, s15
	v_mad_u64_u32 v[37:38], null, v25, s14, 0
	s_mov_b32 s27, 0
	s_and_not1_b32 vcc_lo, exec_lo, s13
	s_mov_b32 s34, 0
	s_delay_alu instid0(VALU_DEP_1) | instskip(NEXT) | instid1(VALU_DEP_1)
	v_add3_u32 v38, v38, v40, v39
	v_lshlrev_b64 v[39:40], 1, v[37:38]
	s_cbranch_vccnz .LBB1219_93
; %bb.85:
	v_add_co_u32 v35, vcc_lo, s20, v35
	v_add_co_ci_u32_e32 v36, vcc_lo, s21, v36, vcc_lo
	s_delay_alu instid0(VALU_DEP_3) | instskip(NEXT) | instid1(VALU_DEP_4)
	v_add_co_u32 v37, vcc_lo, s20, v39
	v_add_co_ci_u32_e32 v38, vcc_lo, s21, v40, vcc_lo
	s_mov_b32 s34, -1
	s_clause 0x1
	global_load_u16 v41, v[35:36], off
	global_load_u16 v42, v[37:38], off
	s_mov_b32 s35, exec_lo
	s_waitcnt vmcnt(1)
	v_lshlrev_b32_e32 v41, 16, v41
	s_waitcnt vmcnt(0)
	v_lshlrev_b32_e32 v42, 16, v42
	s_delay_alu instid0(VALU_DEP_1)
	v_cmpx_eq_f32_e32 v42, v41
	s_cbranch_execz .LBB1219_92
; %bb.86:
	v_add_co_u32 v35, vcc_lo, v35, 2
	v_add_co_ci_u32_e32 v36, vcc_lo, 0, v36, vcc_lo
	v_add_co_u32 v37, vcc_lo, v37, 2
	v_add_co_ci_u32_e32 v38, vcc_lo, 0, v38, vcc_lo
	s_add_u32 s4, s14, -1
	s_addc_u32 s5, s15, -1
	s_mov_b64 s[6:7], 0
	s_mov_b32 s34, 0
                                        ; implicit-def: $sgpr36
	s_set_inst_prefetch_distance 0x1
	s_branch .LBB1219_89
	.p2align	6
.LBB1219_87:                            ;   in Loop: Header=BB1219_89 Depth=1
	global_load_u16 v41, v[35:36], off
	global_load_u16 v42, v[37:38], off
	v_add_co_u32 v35, vcc_lo, v35, 2
	v_add_co_ci_u32_e32 v36, vcc_lo, 0, v36, vcc_lo
	v_add_co_u32 v37, s0, v37, 2
	s_delay_alu instid0(VALU_DEP_1)
	v_add_co_ci_u32_e64 v38, s0, 0, v38, s0
	s_add_u32 s6, s6, 1
	s_addc_u32 s7, s7, 0
	s_and_not1_b32 s0, s36, exec_lo
	s_waitcnt vmcnt(1)
	v_lshlrev_b32_e32 v41, 16, v41
	s_waitcnt vmcnt(0)
	v_lshlrev_b32_e32 v42, 16, v42
	s_delay_alu instid0(VALU_DEP_1) | instskip(SKIP_1) | instid1(SALU_CYCLE_1)
	v_cmp_neq_f32_e32 vcc_lo, v42, v41
	s_and_b32 s36, vcc_lo, exec_lo
	s_or_b32 s36, s0, s36
.LBB1219_88:                            ;   in Loop: Header=BB1219_89 Depth=1
	v_dual_mov_b32 v42, s7 :: v_dual_mov_b32 v41, s6
	s_and_b32 s0, exec_lo, s36
	s_delay_alu instid0(SALU_CYCLE_1) | instskip(NEXT) | instid1(SALU_CYCLE_1)
	s_or_b32 s34, s0, s34
	s_and_not1_b32 exec_lo, exec_lo, s34
	s_cbranch_execz .LBB1219_91
.LBB1219_89:                            ; =>This Inner Loop Header: Depth=1
	s_or_b32 s36, s36, exec_lo
	s_cmp_eq_u64 s[4:5], s[6:7]
	s_cbranch_scc0 .LBB1219_87
; %bb.90:                               ;   in Loop: Header=BB1219_89 Depth=1
	s_mov_b64 s[6:7], s[14:15]
                                        ; implicit-def: $vgpr35_vgpr36
                                        ; implicit-def: $vgpr37_vgpr38
	s_branch .LBB1219_88
.LBB1219_91:
	s_set_inst_prefetch_distance 0x2
	s_or_b32 exec_lo, exec_lo, s34
	v_cmp_gt_i64_e32 vcc_lo, s[14:15], v[41:42]
	s_or_not1_b32 s34, vcc_lo, exec_lo
.LBB1219_92:
	s_or_b32 exec_lo, exec_lo, s35
.LBB1219_93:
	v_mul_lo_u32 v37, v32, s14
	v_mul_lo_u32 v38, v31, s15
	v_mad_u64_u32 v[35:36], null, v31, s14, 0
	s_and_not1_b32 vcc_lo, exec_lo, s13
	s_delay_alu instid0(VALU_DEP_1) | instskip(NEXT) | instid1(VALU_DEP_1)
	v_add3_u32 v36, v36, v38, v37
	v_lshlrev_b64 v[37:38], 1, v[35:36]
	s_cbranch_vccnz .LBB1219_102
; %bb.94:
	v_add_co_u32 v35, vcc_lo, s20, v39
	v_add_co_ci_u32_e32 v36, vcc_lo, s21, v40, vcc_lo
	s_delay_alu instid0(VALU_DEP_3) | instskip(NEXT) | instid1(VALU_DEP_4)
	v_add_co_u32 v39, vcc_lo, s20, v37
	v_add_co_ci_u32_e32 v40, vcc_lo, s21, v38, vcc_lo
	s_mov_b32 s27, -1
	s_clause 0x1
	global_load_u16 v41, v[35:36], off
	global_load_u16 v42, v[39:40], off
	s_mov_b32 s35, exec_lo
	s_waitcnt vmcnt(1)
	v_lshlrev_b32_e32 v41, 16, v41
	s_waitcnt vmcnt(0)
	v_lshlrev_b32_e32 v42, 16, v42
	s_delay_alu instid0(VALU_DEP_1)
	v_cmpx_eq_f32_e32 v42, v41
	s_cbranch_execz .LBB1219_101
; %bb.95:
	v_add_co_u32 v35, vcc_lo, v35, 2
	v_add_co_ci_u32_e32 v36, vcc_lo, 0, v36, vcc_lo
	v_add_co_u32 v39, vcc_lo, v39, 2
	v_add_co_ci_u32_e32 v40, vcc_lo, 0, v40, vcc_lo
	s_add_u32 s4, s14, -1
	s_addc_u32 s5, s15, -1
	s_mov_b64 s[6:7], 0
	s_mov_b32 s27, 0
                                        ; implicit-def: $sgpr36
	s_set_inst_prefetch_distance 0x1
	s_branch .LBB1219_98
	.p2align	6
.LBB1219_96:                            ;   in Loop: Header=BB1219_98 Depth=1
	global_load_u16 v41, v[35:36], off
	global_load_u16 v42, v[39:40], off
	v_add_co_u32 v35, vcc_lo, v35, 2
	v_add_co_ci_u32_e32 v36, vcc_lo, 0, v36, vcc_lo
	v_add_co_u32 v39, s0, v39, 2
	s_delay_alu instid0(VALU_DEP_1)
	v_add_co_ci_u32_e64 v40, s0, 0, v40, s0
	s_add_u32 s6, s6, 1
	s_addc_u32 s7, s7, 0
	s_and_not1_b32 s0, s36, exec_lo
	s_waitcnt vmcnt(1)
	v_lshlrev_b32_e32 v41, 16, v41
	s_waitcnt vmcnt(0)
	v_lshlrev_b32_e32 v42, 16, v42
	s_delay_alu instid0(VALU_DEP_1) | instskip(SKIP_1) | instid1(SALU_CYCLE_1)
	v_cmp_neq_f32_e32 vcc_lo, v42, v41
	s_and_b32 s36, vcc_lo, exec_lo
	s_or_b32 s36, s0, s36
.LBB1219_97:                            ;   in Loop: Header=BB1219_98 Depth=1
	v_dual_mov_b32 v42, s7 :: v_dual_mov_b32 v41, s6
	s_and_b32 s0, exec_lo, s36
	s_delay_alu instid0(SALU_CYCLE_1) | instskip(NEXT) | instid1(SALU_CYCLE_1)
	s_or_b32 s27, s0, s27
	s_and_not1_b32 exec_lo, exec_lo, s27
	s_cbranch_execz .LBB1219_100
.LBB1219_98:                            ; =>This Inner Loop Header: Depth=1
	s_or_b32 s36, s36, exec_lo
	s_cmp_eq_u64 s[4:5], s[6:7]
	s_cbranch_scc0 .LBB1219_96
; %bb.99:                               ;   in Loop: Header=BB1219_98 Depth=1
	s_mov_b64 s[6:7], s[14:15]
                                        ; implicit-def: $vgpr35_vgpr36
                                        ; implicit-def: $vgpr39_vgpr40
	s_branch .LBB1219_97
.LBB1219_100:
	s_set_inst_prefetch_distance 0x2
	s_or_b32 exec_lo, exec_lo, s27
	v_cmp_gt_i64_e32 vcc_lo, s[14:15], v[41:42]
	s_or_not1_b32 s27, vcc_lo, exec_lo
.LBB1219_101:
	s_or_b32 exec_lo, exec_lo, s35
.LBB1219_102:
	v_mul_lo_u32 v39, v30, s14
	v_mul_lo_u32 v40, v29, s15
	v_mad_u64_u32 v[35:36], null, v29, s14, 0
	s_and_not1_b32 vcc_lo, exec_lo, s13
	s_mov_b32 s0, 0
	s_delay_alu instid0(VALU_DEP_1) | instskip(NEXT) | instid1(VALU_DEP_1)
	v_add3_u32 v36, v36, v40, v39
	v_lshlrev_b64 v[35:36], 1, v[35:36]
	s_cbranch_vccnz .LBB1219_111
; %bb.103:
	v_add_co_u32 v37, vcc_lo, s20, v37
	v_add_co_ci_u32_e32 v38, vcc_lo, s21, v38, vcc_lo
	s_delay_alu instid0(VALU_DEP_3) | instskip(NEXT) | instid1(VALU_DEP_4)
	v_add_co_u32 v39, vcc_lo, s20, v35
	v_add_co_ci_u32_e32 v40, vcc_lo, s21, v36, vcc_lo
	s_mov_b32 s0, -1
	s_clause 0x1
	global_load_u16 v41, v[37:38], off
	global_load_u16 v42, v[39:40], off
	s_mov_b32 s35, exec_lo
	s_waitcnt vmcnt(1)
	v_lshlrev_b32_e32 v41, 16, v41
	s_waitcnt vmcnt(0)
	v_lshlrev_b32_e32 v42, 16, v42
	s_delay_alu instid0(VALU_DEP_1)
	v_cmpx_eq_f32_e32 v42, v41
	s_cbranch_execz .LBB1219_110
; %bb.104:
	v_add_co_u32 v37, vcc_lo, v37, 2
	v_add_co_ci_u32_e32 v38, vcc_lo, 0, v38, vcc_lo
	v_add_co_u32 v39, vcc_lo, v39, 2
	v_add_co_ci_u32_e32 v40, vcc_lo, 0, v40, vcc_lo
	s_add_u32 s4, s14, -1
	s_addc_u32 s5, s15, -1
	s_mov_b64 s[6:7], 0
	s_mov_b32 s36, 0
                                        ; implicit-def: $sgpr37
	s_set_inst_prefetch_distance 0x1
	s_branch .LBB1219_107
	.p2align	6
.LBB1219_105:                           ;   in Loop: Header=BB1219_107 Depth=1
	global_load_u16 v41, v[37:38], off
	global_load_u16 v42, v[39:40], off
	v_add_co_u32 v37, vcc_lo, v37, 2
	v_add_co_ci_u32_e32 v38, vcc_lo, 0, v38, vcc_lo
	v_add_co_u32 v39, s0, v39, 2
	s_delay_alu instid0(VALU_DEP_1)
	v_add_co_ci_u32_e64 v40, s0, 0, v40, s0
	s_add_u32 s6, s6, 1
	s_addc_u32 s7, s7, 0
	s_and_not1_b32 s0, s37, exec_lo
	s_waitcnt vmcnt(1)
	v_lshlrev_b32_e32 v41, 16, v41
	s_waitcnt vmcnt(0)
	v_lshlrev_b32_e32 v42, 16, v42
	s_delay_alu instid0(VALU_DEP_1) | instskip(SKIP_1) | instid1(SALU_CYCLE_1)
	v_cmp_neq_f32_e32 vcc_lo, v42, v41
	s_and_b32 s37, vcc_lo, exec_lo
	s_or_b32 s37, s0, s37
.LBB1219_106:                           ;   in Loop: Header=BB1219_107 Depth=1
	v_dual_mov_b32 v42, s7 :: v_dual_mov_b32 v41, s6
	s_and_b32 s0, exec_lo, s37
	s_delay_alu instid0(SALU_CYCLE_1) | instskip(NEXT) | instid1(SALU_CYCLE_1)
	s_or_b32 s36, s0, s36
	s_and_not1_b32 exec_lo, exec_lo, s36
	s_cbranch_execz .LBB1219_109
.LBB1219_107:                           ; =>This Inner Loop Header: Depth=1
	s_or_b32 s37, s37, exec_lo
	s_cmp_eq_u64 s[4:5], s[6:7]
	s_cbranch_scc0 .LBB1219_105
; %bb.108:                              ;   in Loop: Header=BB1219_107 Depth=1
	s_mov_b64 s[6:7], s[14:15]
                                        ; implicit-def: $vgpr37_vgpr38
                                        ; implicit-def: $vgpr39_vgpr40
	s_branch .LBB1219_106
.LBB1219_109:
	s_set_inst_prefetch_distance 0x2
	s_or_b32 exec_lo, exec_lo, s36
	v_cmp_gt_i64_e32 vcc_lo, s[14:15], v[41:42]
	s_or_not1_b32 s0, vcc_lo, exec_lo
.LBB1219_110:
	s_or_b32 exec_lo, exec_lo, s35
.LBB1219_111:
	s_waitcnt vmcnt(0)
	v_dual_mov_b32 v38, v34 :: v_dual_mov_b32 v37, v33
	s_waitcnt lgkmcnt(0)
	s_barrier
	buffer_gl0_inv
	s_and_saveexec_b32 s4, s3
	s_cbranch_execz .LBB1219_113
; %bb.112:
	v_add_nc_u32_e32 v37, -8, v55
	ds_load_b64 v[37:38], v37
.LBB1219_113:
	s_or_b32 exec_lo, exec_lo, s4
	v_cndmask_b32_e64 v40, 0, 1, s34
	v_cndmask_b32_e64 v42, 0, 1, s26
	v_cndmask_b32_e64 v44, 0, 1, s24
	v_cndmask_b32_e64 v39, 0, 1, s27
	v_cndmask_b32_e64 v41, 0, 1, s25
	v_cndmask_b32_e64 v45, 0, 1, s0
	v_cndmask_b32_e64 v46, 0, 1, s1
	v_lshlrev_b16 v40, 8, v40
	v_lshlrev_b16 v42, 8, v42
	;; [unrolled: 1-line block ×4, first 2 shown]
	s_mov_b32 s1, 0
	v_or_b32_e32 v39, v39, v40
	v_or_b32_e32 v40, v41, v42
	;; [unrolled: 1-line block ×3, first 2 shown]
	v_and_b32_e32 v41, 0xffff, v45
	s_and_not1_b32 vcc_lo, exec_lo, s13
	v_lshlrev_b32_e32 v42, 16, v39
	v_and_b32_e32 v44, 0xffff, v40
	v_lshlrev_b32_e32 v45, 16, v46
	s_mov_b32 s0, 0
	s_cbranch_vccnz .LBB1219_122
; %bb.114:
	s_waitcnt lgkmcnt(0)
	v_mul_lo_u32 v40, v38, s14
	v_mul_lo_u32 v46, v37, s15
	v_mad_u64_u32 v[38:39], null, v37, s14, 0
	s_mov_b32 s0, -1
	s_mov_b32 s24, exec_lo
	s_delay_alu instid0(VALU_DEP_1) | instskip(NEXT) | instid1(VALU_DEP_1)
	v_add3_u32 v39, v39, v46, v40
	v_lshlrev_b64 v[37:38], 1, v[38:39]
	s_delay_alu instid0(VALU_DEP_1) | instskip(NEXT) | instid1(VALU_DEP_2)
	v_add_co_u32 v37, vcc_lo, s20, v37
	v_add_co_ci_u32_e32 v38, vcc_lo, s21, v38, vcc_lo
	v_add_co_u32 v35, vcc_lo, s20, v35
	v_add_co_ci_u32_e32 v36, vcc_lo, s21, v36, vcc_lo
	s_clause 0x1
	global_load_u16 v39, v[37:38], off
	global_load_u16 v40, v[35:36], off
	s_waitcnt vmcnt(1)
	v_lshlrev_b32_e32 v39, 16, v39
	s_waitcnt vmcnt(0)
	v_lshlrev_b32_e32 v40, 16, v40
	s_delay_alu instid0(VALU_DEP_1)
	v_cmpx_eq_f32_e32 v39, v40
	s_cbranch_execz .LBB1219_121
; %bb.115:
	v_add_co_u32 v35, vcc_lo, v35, 2
	v_add_co_ci_u32_e32 v36, vcc_lo, 0, v36, vcc_lo
	v_add_co_u32 v37, vcc_lo, v37, 2
	v_add_co_ci_u32_e32 v38, vcc_lo, 0, v38, vcc_lo
	s_add_u32 s4, s14, -1
	s_addc_u32 s5, s15, -1
	s_mov_b64 s[6:7], 0
	s_mov_b32 s25, 0
                                        ; implicit-def: $sgpr26
	s_set_inst_prefetch_distance 0x1
	s_branch .LBB1219_118
	.p2align	6
.LBB1219_116:                           ;   in Loop: Header=BB1219_118 Depth=1
	global_load_u16 v39, v[35:36], off
	global_load_u16 v40, v[37:38], off
	v_add_co_u32 v35, vcc_lo, v35, 2
	v_add_co_ci_u32_e32 v36, vcc_lo, 0, v36, vcc_lo
	v_add_co_u32 v37, s0, v37, 2
	s_delay_alu instid0(VALU_DEP_1)
	v_add_co_ci_u32_e64 v38, s0, 0, v38, s0
	s_add_u32 s6, s6, 1
	s_addc_u32 s7, s7, 0
	s_and_not1_b32 s0, s26, exec_lo
	s_waitcnt vmcnt(1)
	v_lshlrev_b32_e32 v39, 16, v39
	s_waitcnt vmcnt(0)
	v_lshlrev_b32_e32 v40, 16, v40
	s_delay_alu instid0(VALU_DEP_1) | instskip(SKIP_1) | instid1(SALU_CYCLE_1)
	v_cmp_neq_f32_e32 vcc_lo, v40, v39
	s_and_b32 s26, vcc_lo, exec_lo
	s_or_b32 s26, s0, s26
.LBB1219_117:                           ;   in Loop: Header=BB1219_118 Depth=1
	v_dual_mov_b32 v40, s7 :: v_dual_mov_b32 v39, s6
	s_and_b32 s0, exec_lo, s26
	s_delay_alu instid0(SALU_CYCLE_1) | instskip(NEXT) | instid1(SALU_CYCLE_1)
	s_or_b32 s25, s0, s25
	s_and_not1_b32 exec_lo, exec_lo, s25
	s_cbranch_execz .LBB1219_120
.LBB1219_118:                           ; =>This Inner Loop Header: Depth=1
	s_or_b32 s26, s26, exec_lo
	s_cmp_eq_u64 s[4:5], s[6:7]
	s_cbranch_scc0 .LBB1219_116
; %bb.119:                              ;   in Loop: Header=BB1219_118 Depth=1
	s_mov_b64 s[6:7], s[14:15]
                                        ; implicit-def: $vgpr35_vgpr36
                                        ; implicit-def: $vgpr37_vgpr38
	s_branch .LBB1219_117
.LBB1219_120:
	s_set_inst_prefetch_distance 0x2
	s_or_b32 exec_lo, exec_lo, s25
	v_cmp_gt_i64_e32 vcc_lo, s[14:15], v[39:40]
	s_or_not1_b32 s0, vcc_lo, exec_lo
.LBB1219_121:
	s_or_b32 exec_lo, exec_lo, s24
.LBB1219_122:
	v_or_b32_e32 v35, v41, v42
	s_delay_alu instid0(VALU_DEP_2)
	v_or_b32_e32 v36, v44, v45
	s_and_b32 vcc_lo, exec_lo, s1
	s_cbranch_vccz .LBB1219_214
.LBB1219_123:
	v_or_b32_e32 v35, 7, v55
	s_mov_b32 s1, 0
	s_mov_b32 s24, 0
	s_mov_b32 s25, exec_lo
	s_delay_alu instid0(VALU_DEP_1)
	v_cmpx_gt_u32_e64 s31, v35
	s_cbranch_execz .LBB1219_134
; %bb.124:
	s_and_not1_b32 vcc_lo, exec_lo, s13
	s_mov_b32 s0, 0
	s_cbranch_vccnz .LBB1219_133
; %bb.125:
	v_mul_lo_u32 v39, v20, s14
	v_mul_lo_u32 v40, v19, s15
	v_mad_u64_u32 v[35:36], null, v19, s14, 0
	v_mul_lo_u32 v41, v18, s14
	v_mul_lo_u32 v42, v17, s15
	s_waitcnt lgkmcnt(0)
	v_mad_u64_u32 v[37:38], null, v17, s14, 0
	s_mov_b32 s0, -1
	s_mov_b32 s13, exec_lo
	s_delay_alu instid0(VALU_DEP_4) | instskip(NEXT) | instid1(VALU_DEP_2)
	v_add3_u32 v36, v36, v40, v39
	v_add3_u32 v38, v38, v42, v41
	s_delay_alu instid0(VALU_DEP_2) | instskip(NEXT) | instid1(VALU_DEP_2)
	v_lshlrev_b64 v[35:36], 1, v[35:36]
	v_lshlrev_b64 v[37:38], 1, v[37:38]
	s_delay_alu instid0(VALU_DEP_2) | instskip(NEXT) | instid1(VALU_DEP_3)
	v_add_co_u32 v35, vcc_lo, s20, v35
	v_add_co_ci_u32_e32 v36, vcc_lo, s21, v36, vcc_lo
	s_delay_alu instid0(VALU_DEP_3) | instskip(NEXT) | instid1(VALU_DEP_4)
	v_add_co_u32 v37, vcc_lo, s20, v37
	v_add_co_ci_u32_e32 v38, vcc_lo, s21, v38, vcc_lo
	s_clause 0x1
	global_load_u16 v39, v[35:36], off
	global_load_u16 v40, v[37:38], off
	s_waitcnt vmcnt(1)
	v_lshlrev_b32_e32 v39, 16, v39
	s_waitcnt vmcnt(0)
	v_lshlrev_b32_e32 v40, 16, v40
	s_delay_alu instid0(VALU_DEP_1)
	v_cmpx_eq_f32_e32 v40, v39
	s_cbranch_execz .LBB1219_132
; %bb.126:
	v_add_co_u32 v35, vcc_lo, v35, 2
	v_add_co_ci_u32_e32 v36, vcc_lo, 0, v36, vcc_lo
	v_add_co_u32 v37, vcc_lo, v37, 2
	v_add_co_ci_u32_e32 v38, vcc_lo, 0, v38, vcc_lo
	s_add_u32 s4, s14, -1
	s_addc_u32 s5, s15, -1
	s_mov_b64 s[6:7], 0
                                        ; implicit-def: $sgpr26
	s_set_inst_prefetch_distance 0x1
	s_branch .LBB1219_129
	.p2align	6
.LBB1219_127:                           ;   in Loop: Header=BB1219_129 Depth=1
	global_load_u16 v39, v[35:36], off
	global_load_u16 v40, v[37:38], off
	v_add_co_u32 v35, vcc_lo, v35, 2
	v_add_co_ci_u32_e32 v36, vcc_lo, 0, v36, vcc_lo
	v_add_co_u32 v37, s0, v37, 2
	s_delay_alu instid0(VALU_DEP_1)
	v_add_co_ci_u32_e64 v38, s0, 0, v38, s0
	s_add_u32 s6, s6, 1
	s_addc_u32 s7, s7, 0
	s_and_not1_b32 s0, s26, exec_lo
	s_waitcnt vmcnt(1)
	v_lshlrev_b32_e32 v39, 16, v39
	s_waitcnt vmcnt(0)
	v_lshlrev_b32_e32 v40, 16, v40
	s_delay_alu instid0(VALU_DEP_1) | instskip(SKIP_1) | instid1(SALU_CYCLE_1)
	v_cmp_neq_f32_e32 vcc_lo, v40, v39
	s_and_b32 s26, vcc_lo, exec_lo
	s_or_b32 s26, s0, s26
.LBB1219_128:                           ;   in Loop: Header=BB1219_129 Depth=1
	v_dual_mov_b32 v40, s7 :: v_dual_mov_b32 v39, s6
	s_and_b32 s0, exec_lo, s26
	s_delay_alu instid0(SALU_CYCLE_1) | instskip(NEXT) | instid1(SALU_CYCLE_1)
	s_or_b32 s24, s0, s24
	s_and_not1_b32 exec_lo, exec_lo, s24
	s_cbranch_execz .LBB1219_131
.LBB1219_129:                           ; =>This Inner Loop Header: Depth=1
	s_or_b32 s26, s26, exec_lo
	s_cmp_eq_u64 s[4:5], s[6:7]
	s_cbranch_scc0 .LBB1219_127
; %bb.130:                              ;   in Loop: Header=BB1219_129 Depth=1
	s_mov_b64 s[6:7], s[14:15]
                                        ; implicit-def: $vgpr35_vgpr36
                                        ; implicit-def: $vgpr37_vgpr38
	s_branch .LBB1219_128
.LBB1219_131:
	s_set_inst_prefetch_distance 0x2
	s_or_b32 exec_lo, exec_lo, s24
	v_cmp_gt_i64_e32 vcc_lo, s[14:15], v[39:40]
	s_or_not1_b32 s0, vcc_lo, exec_lo
.LBB1219_132:
	s_or_b32 exec_lo, exec_lo, s13
.LBB1219_133:
	s_delay_alu instid0(SALU_CYCLE_1)
	s_and_b32 s24, s0, exec_lo
.LBB1219_134:
	s_or_b32 exec_lo, exec_lo, s25
	v_or_b32_e32 v35, 6, v55
	s_mov_b32 s13, exec_lo
	s_delay_alu instid0(VALU_DEP_1)
	v_cmpx_gt_u32_e64 s31, v35
	s_cbranch_execz .LBB1219_145
; %bb.135:
	v_cmp_ne_u32_e32 vcc_lo, 1, v43
	s_mov_b32 s0, 0
	s_cbranch_vccnz .LBB1219_144
; %bb.136:
	v_mul_lo_u32 v39, v18, s14
	v_mul_lo_u32 v40, v17, s15
	v_mad_u64_u32 v[35:36], null, v17, s14, 0
	v_mul_lo_u32 v41, v24, s14
	v_mul_lo_u32 v42, v23, s15
	s_waitcnt lgkmcnt(0)
	v_mad_u64_u32 v[37:38], null, v23, s14, 0
	s_mov_b32 s0, -1
	s_mov_b32 s1, exec_lo
	s_delay_alu instid0(VALU_DEP_4) | instskip(NEXT) | instid1(VALU_DEP_2)
	v_add3_u32 v36, v36, v40, v39
	v_add3_u32 v38, v38, v42, v41
	s_delay_alu instid0(VALU_DEP_2) | instskip(NEXT) | instid1(VALU_DEP_2)
	v_lshlrev_b64 v[35:36], 1, v[35:36]
	v_lshlrev_b64 v[37:38], 1, v[37:38]
	s_delay_alu instid0(VALU_DEP_2) | instskip(NEXT) | instid1(VALU_DEP_3)
	v_add_co_u32 v35, vcc_lo, s20, v35
	v_add_co_ci_u32_e32 v36, vcc_lo, s21, v36, vcc_lo
	s_delay_alu instid0(VALU_DEP_3) | instskip(NEXT) | instid1(VALU_DEP_4)
	v_add_co_u32 v37, vcc_lo, s20, v37
	v_add_co_ci_u32_e32 v38, vcc_lo, s21, v38, vcc_lo
	s_clause 0x1
	global_load_u16 v39, v[35:36], off
	global_load_u16 v40, v[37:38], off
	s_waitcnt vmcnt(1)
	v_lshlrev_b32_e32 v39, 16, v39
	s_waitcnt vmcnt(0)
	v_lshlrev_b32_e32 v40, 16, v40
	s_delay_alu instid0(VALU_DEP_1)
	v_cmpx_eq_f32_e32 v40, v39
	s_cbranch_execz .LBB1219_143
; %bb.137:
	v_add_co_u32 v35, vcc_lo, v35, 2
	v_add_co_ci_u32_e32 v36, vcc_lo, 0, v36, vcc_lo
	v_add_co_u32 v37, vcc_lo, v37, 2
	v_add_co_ci_u32_e32 v38, vcc_lo, 0, v38, vcc_lo
	s_add_u32 s4, s14, -1
	s_addc_u32 s5, s15, -1
	s_mov_b64 s[6:7], 0
	s_mov_b32 s25, 0
                                        ; implicit-def: $sgpr26
	s_set_inst_prefetch_distance 0x1
	s_branch .LBB1219_140
	.p2align	6
.LBB1219_138:                           ;   in Loop: Header=BB1219_140 Depth=1
	global_load_u16 v39, v[35:36], off
	global_load_u16 v40, v[37:38], off
	v_add_co_u32 v35, vcc_lo, v35, 2
	v_add_co_ci_u32_e32 v36, vcc_lo, 0, v36, vcc_lo
	v_add_co_u32 v37, s0, v37, 2
	s_delay_alu instid0(VALU_DEP_1)
	v_add_co_ci_u32_e64 v38, s0, 0, v38, s0
	s_add_u32 s6, s6, 1
	s_addc_u32 s7, s7, 0
	s_and_not1_b32 s0, s26, exec_lo
	s_waitcnt vmcnt(1)
	v_lshlrev_b32_e32 v39, 16, v39
	s_waitcnt vmcnt(0)
	v_lshlrev_b32_e32 v40, 16, v40
	s_delay_alu instid0(VALU_DEP_1) | instskip(SKIP_1) | instid1(SALU_CYCLE_1)
	v_cmp_neq_f32_e32 vcc_lo, v40, v39
	s_and_b32 s26, vcc_lo, exec_lo
	s_or_b32 s26, s0, s26
.LBB1219_139:                           ;   in Loop: Header=BB1219_140 Depth=1
	v_dual_mov_b32 v40, s7 :: v_dual_mov_b32 v39, s6
	s_and_b32 s0, exec_lo, s26
	s_delay_alu instid0(SALU_CYCLE_1) | instskip(NEXT) | instid1(SALU_CYCLE_1)
	s_or_b32 s25, s0, s25
	s_and_not1_b32 exec_lo, exec_lo, s25
	s_cbranch_execz .LBB1219_142
.LBB1219_140:                           ; =>This Inner Loop Header: Depth=1
	s_or_b32 s26, s26, exec_lo
	s_cmp_eq_u64 s[4:5], s[6:7]
	s_cbranch_scc0 .LBB1219_138
; %bb.141:                              ;   in Loop: Header=BB1219_140 Depth=1
	s_mov_b64 s[6:7], s[14:15]
                                        ; implicit-def: $vgpr35_vgpr36
                                        ; implicit-def: $vgpr37_vgpr38
	s_branch .LBB1219_139
.LBB1219_142:
	s_set_inst_prefetch_distance 0x2
	s_or_b32 exec_lo, exec_lo, s25
	v_cmp_gt_i64_e32 vcc_lo, s[14:15], v[39:40]
	s_or_not1_b32 s0, vcc_lo, exec_lo
.LBB1219_143:
	s_or_b32 exec_lo, exec_lo, s1
.LBB1219_144:
	s_delay_alu instid0(SALU_CYCLE_1)
	s_and_b32 s1, s0, exec_lo
.LBB1219_145:
	s_or_b32 exec_lo, exec_lo, s13
	v_or_b32_e32 v35, 5, v55
	s_mov_b32 s25, 0
	s_mov_b32 s13, 0
	s_mov_b32 s26, exec_lo
	s_delay_alu instid0(VALU_DEP_1)
	v_cmpx_gt_u32_e64 s31, v35
	s_cbranch_execz .LBB1219_156
; %bb.146:
	v_cmp_ne_u32_e32 vcc_lo, 1, v43
	s_mov_b32 s0, 0
	s_cbranch_vccnz .LBB1219_155
; %bb.147:
	v_mul_lo_u32 v39, v24, s14
	v_mul_lo_u32 v40, v23, s15
	v_mad_u64_u32 v[35:36], null, v23, s14, 0
	v_mul_lo_u32 v41, v22, s14
	v_mul_lo_u32 v42, v21, s15
	s_waitcnt lgkmcnt(0)
	v_mad_u64_u32 v[37:38], null, v21, s14, 0
	s_mov_b32 s0, -1
	s_mov_b32 s13, exec_lo
	s_delay_alu instid0(VALU_DEP_4) | instskip(NEXT) | instid1(VALU_DEP_2)
	v_add3_u32 v36, v36, v40, v39
	v_add3_u32 v38, v38, v42, v41
	s_delay_alu instid0(VALU_DEP_2) | instskip(NEXT) | instid1(VALU_DEP_2)
	v_lshlrev_b64 v[35:36], 1, v[35:36]
	v_lshlrev_b64 v[37:38], 1, v[37:38]
	s_delay_alu instid0(VALU_DEP_2) | instskip(NEXT) | instid1(VALU_DEP_3)
	v_add_co_u32 v35, vcc_lo, s20, v35
	v_add_co_ci_u32_e32 v36, vcc_lo, s21, v36, vcc_lo
	s_delay_alu instid0(VALU_DEP_3) | instskip(NEXT) | instid1(VALU_DEP_4)
	v_add_co_u32 v37, vcc_lo, s20, v37
	v_add_co_ci_u32_e32 v38, vcc_lo, s21, v38, vcc_lo
	s_clause 0x1
	global_load_u16 v39, v[35:36], off
	global_load_u16 v40, v[37:38], off
	s_waitcnt vmcnt(1)
	v_lshlrev_b32_e32 v39, 16, v39
	s_waitcnt vmcnt(0)
	v_lshlrev_b32_e32 v40, 16, v40
	s_delay_alu instid0(VALU_DEP_1)
	v_cmpx_eq_f32_e32 v40, v39
	s_cbranch_execz .LBB1219_154
; %bb.148:
	v_add_co_u32 v35, vcc_lo, v35, 2
	v_add_co_ci_u32_e32 v36, vcc_lo, 0, v36, vcc_lo
	v_add_co_u32 v37, vcc_lo, v37, 2
	v_add_co_ci_u32_e32 v38, vcc_lo, 0, v38, vcc_lo
	s_add_u32 s4, s14, -1
	s_addc_u32 s5, s15, -1
	s_mov_b64 s[6:7], 0
	s_mov_b32 s27, 0
                                        ; implicit-def: $sgpr34
	s_set_inst_prefetch_distance 0x1
	s_branch .LBB1219_151
	.p2align	6
.LBB1219_149:                           ;   in Loop: Header=BB1219_151 Depth=1
	global_load_u16 v39, v[35:36], off
	global_load_u16 v40, v[37:38], off
	v_add_co_u32 v35, vcc_lo, v35, 2
	v_add_co_ci_u32_e32 v36, vcc_lo, 0, v36, vcc_lo
	v_add_co_u32 v37, s0, v37, 2
	s_delay_alu instid0(VALU_DEP_1)
	v_add_co_ci_u32_e64 v38, s0, 0, v38, s0
	s_add_u32 s6, s6, 1
	s_addc_u32 s7, s7, 0
	s_and_not1_b32 s0, s34, exec_lo
	s_waitcnt vmcnt(1)
	v_lshlrev_b32_e32 v39, 16, v39
	s_waitcnt vmcnt(0)
	v_lshlrev_b32_e32 v40, 16, v40
	s_delay_alu instid0(VALU_DEP_1) | instskip(SKIP_1) | instid1(SALU_CYCLE_1)
	v_cmp_neq_f32_e32 vcc_lo, v40, v39
	s_and_b32 s34, vcc_lo, exec_lo
	s_or_b32 s34, s0, s34
.LBB1219_150:                           ;   in Loop: Header=BB1219_151 Depth=1
	v_dual_mov_b32 v40, s7 :: v_dual_mov_b32 v39, s6
	s_and_b32 s0, exec_lo, s34
	s_delay_alu instid0(SALU_CYCLE_1) | instskip(NEXT) | instid1(SALU_CYCLE_1)
	s_or_b32 s27, s0, s27
	s_and_not1_b32 exec_lo, exec_lo, s27
	s_cbranch_execz .LBB1219_153
.LBB1219_151:                           ; =>This Inner Loop Header: Depth=1
	s_or_b32 s34, s34, exec_lo
	s_cmp_eq_u64 s[4:5], s[6:7]
	s_cbranch_scc0 .LBB1219_149
; %bb.152:                              ;   in Loop: Header=BB1219_151 Depth=1
	s_mov_b64 s[6:7], s[14:15]
                                        ; implicit-def: $vgpr35_vgpr36
                                        ; implicit-def: $vgpr37_vgpr38
	s_branch .LBB1219_150
.LBB1219_153:
	s_set_inst_prefetch_distance 0x2
	s_or_b32 exec_lo, exec_lo, s27
	v_cmp_gt_i64_e32 vcc_lo, s[14:15], v[39:40]
	s_or_not1_b32 s0, vcc_lo, exec_lo
.LBB1219_154:
	s_or_b32 exec_lo, exec_lo, s13
.LBB1219_155:
	s_delay_alu instid0(SALU_CYCLE_1)
	s_and_b32 s13, s0, exec_lo
.LBB1219_156:
	s_or_b32 exec_lo, exec_lo, s26
	v_or_b32_e32 v35, 4, v55
	s_mov_b32 s26, exec_lo
	s_delay_alu instid0(VALU_DEP_1)
	v_cmpx_gt_u32_e64 s31, v35
	s_cbranch_execz .LBB1219_167
; %bb.157:
	v_cmp_ne_u32_e32 vcc_lo, 1, v43
	s_mov_b32 s0, 0
	s_cbranch_vccnz .LBB1219_166
; %bb.158:
	v_mul_lo_u32 v39, v22, s14
	v_mul_lo_u32 v40, v21, s15
	v_mad_u64_u32 v[35:36], null, v21, s14, 0
	v_mul_lo_u32 v41, v28, s14
	v_mul_lo_u32 v42, v27, s15
	s_waitcnt lgkmcnt(0)
	v_mad_u64_u32 v[37:38], null, v27, s14, 0
	s_mov_b32 s0, -1
	s_mov_b32 s25, exec_lo
	s_delay_alu instid0(VALU_DEP_4) | instskip(NEXT) | instid1(VALU_DEP_2)
	v_add3_u32 v36, v36, v40, v39
	v_add3_u32 v38, v38, v42, v41
	s_delay_alu instid0(VALU_DEP_2) | instskip(NEXT) | instid1(VALU_DEP_2)
	v_lshlrev_b64 v[35:36], 1, v[35:36]
	v_lshlrev_b64 v[37:38], 1, v[37:38]
	s_delay_alu instid0(VALU_DEP_2) | instskip(NEXT) | instid1(VALU_DEP_3)
	v_add_co_u32 v35, vcc_lo, s20, v35
	v_add_co_ci_u32_e32 v36, vcc_lo, s21, v36, vcc_lo
	s_delay_alu instid0(VALU_DEP_3) | instskip(NEXT) | instid1(VALU_DEP_4)
	v_add_co_u32 v37, vcc_lo, s20, v37
	v_add_co_ci_u32_e32 v38, vcc_lo, s21, v38, vcc_lo
	s_clause 0x1
	global_load_u16 v39, v[35:36], off
	global_load_u16 v40, v[37:38], off
	s_waitcnt vmcnt(1)
	v_lshlrev_b32_e32 v39, 16, v39
	s_waitcnt vmcnt(0)
	v_lshlrev_b32_e32 v40, 16, v40
	s_delay_alu instid0(VALU_DEP_1)
	v_cmpx_eq_f32_e32 v40, v39
	s_cbranch_execz .LBB1219_165
; %bb.159:
	v_add_co_u32 v35, vcc_lo, v35, 2
	v_add_co_ci_u32_e32 v36, vcc_lo, 0, v36, vcc_lo
	v_add_co_u32 v37, vcc_lo, v37, 2
	v_add_co_ci_u32_e32 v38, vcc_lo, 0, v38, vcc_lo
	s_add_u32 s4, s14, -1
	s_addc_u32 s5, s15, -1
	s_mov_b64 s[6:7], 0
	s_mov_b32 s27, 0
                                        ; implicit-def: $sgpr34
	s_set_inst_prefetch_distance 0x1
	s_branch .LBB1219_162
	.p2align	6
.LBB1219_160:                           ;   in Loop: Header=BB1219_162 Depth=1
	global_load_u16 v39, v[35:36], off
	global_load_u16 v40, v[37:38], off
	v_add_co_u32 v35, vcc_lo, v35, 2
	v_add_co_ci_u32_e32 v36, vcc_lo, 0, v36, vcc_lo
	v_add_co_u32 v37, s0, v37, 2
	s_delay_alu instid0(VALU_DEP_1)
	v_add_co_ci_u32_e64 v38, s0, 0, v38, s0
	s_add_u32 s6, s6, 1
	s_addc_u32 s7, s7, 0
	s_and_not1_b32 s0, s34, exec_lo
	s_waitcnt vmcnt(1)
	v_lshlrev_b32_e32 v39, 16, v39
	s_waitcnt vmcnt(0)
	v_lshlrev_b32_e32 v40, 16, v40
	s_delay_alu instid0(VALU_DEP_1) | instskip(SKIP_1) | instid1(SALU_CYCLE_1)
	v_cmp_neq_f32_e32 vcc_lo, v40, v39
	s_and_b32 s34, vcc_lo, exec_lo
	s_or_b32 s34, s0, s34
.LBB1219_161:                           ;   in Loop: Header=BB1219_162 Depth=1
	v_dual_mov_b32 v40, s7 :: v_dual_mov_b32 v39, s6
	s_and_b32 s0, exec_lo, s34
	s_delay_alu instid0(SALU_CYCLE_1) | instskip(NEXT) | instid1(SALU_CYCLE_1)
	s_or_b32 s27, s0, s27
	s_and_not1_b32 exec_lo, exec_lo, s27
	s_cbranch_execz .LBB1219_164
.LBB1219_162:                           ; =>This Inner Loop Header: Depth=1
	s_or_b32 s34, s34, exec_lo
	s_cmp_eq_u64 s[4:5], s[6:7]
	s_cbranch_scc0 .LBB1219_160
; %bb.163:                              ;   in Loop: Header=BB1219_162 Depth=1
	s_mov_b64 s[6:7], s[14:15]
                                        ; implicit-def: $vgpr35_vgpr36
                                        ; implicit-def: $vgpr37_vgpr38
	s_branch .LBB1219_161
.LBB1219_164:
	s_set_inst_prefetch_distance 0x2
	s_or_b32 exec_lo, exec_lo, s27
	v_cmp_gt_i64_e32 vcc_lo, s[14:15], v[39:40]
	s_or_not1_b32 s0, vcc_lo, exec_lo
.LBB1219_165:
	s_or_b32 exec_lo, exec_lo, s25
.LBB1219_166:
	s_delay_alu instid0(SALU_CYCLE_1)
	s_and_b32 s25, s0, exec_lo
.LBB1219_167:
	s_or_b32 exec_lo, exec_lo, s26
	v_or_b32_e32 v35, 3, v55
	s_mov_b32 s27, 0
	s_mov_b32 s26, 0
	s_mov_b32 s34, exec_lo
	s_delay_alu instid0(VALU_DEP_1)
	v_cmpx_gt_u32_e64 s31, v35
	s_cbranch_execz .LBB1219_178
; %bb.168:
	v_cmp_ne_u32_e32 vcc_lo, 1, v43
	s_mov_b32 s0, 0
	s_cbranch_vccnz .LBB1219_177
; %bb.169:
	v_mul_lo_u32 v39, v28, s14
	v_mul_lo_u32 v40, v27, s15
	v_mad_u64_u32 v[35:36], null, v27, s14, 0
	v_mul_lo_u32 v41, v26, s14
	v_mul_lo_u32 v42, v25, s15
	s_waitcnt lgkmcnt(0)
	v_mad_u64_u32 v[37:38], null, v25, s14, 0
	s_mov_b32 s0, -1
	s_mov_b32 s26, exec_lo
	s_delay_alu instid0(VALU_DEP_4) | instskip(NEXT) | instid1(VALU_DEP_2)
	v_add3_u32 v36, v36, v40, v39
	v_add3_u32 v38, v38, v42, v41
	s_delay_alu instid0(VALU_DEP_2) | instskip(NEXT) | instid1(VALU_DEP_2)
	v_lshlrev_b64 v[35:36], 1, v[35:36]
	v_lshlrev_b64 v[37:38], 1, v[37:38]
	s_delay_alu instid0(VALU_DEP_2) | instskip(NEXT) | instid1(VALU_DEP_3)
	v_add_co_u32 v35, vcc_lo, s20, v35
	v_add_co_ci_u32_e32 v36, vcc_lo, s21, v36, vcc_lo
	s_delay_alu instid0(VALU_DEP_3) | instskip(NEXT) | instid1(VALU_DEP_4)
	v_add_co_u32 v37, vcc_lo, s20, v37
	v_add_co_ci_u32_e32 v38, vcc_lo, s21, v38, vcc_lo
	s_clause 0x1
	global_load_u16 v39, v[35:36], off
	global_load_u16 v40, v[37:38], off
	s_waitcnt vmcnt(1)
	v_lshlrev_b32_e32 v39, 16, v39
	s_waitcnt vmcnt(0)
	v_lshlrev_b32_e32 v40, 16, v40
	s_delay_alu instid0(VALU_DEP_1)
	v_cmpx_eq_f32_e32 v40, v39
	s_cbranch_execz .LBB1219_176
; %bb.170:
	v_add_co_u32 v35, vcc_lo, v35, 2
	v_add_co_ci_u32_e32 v36, vcc_lo, 0, v36, vcc_lo
	v_add_co_u32 v37, vcc_lo, v37, 2
	v_add_co_ci_u32_e32 v38, vcc_lo, 0, v38, vcc_lo
	s_add_u32 s4, s14, -1
	s_addc_u32 s5, s15, -1
	s_mov_b64 s[6:7], 0
	s_mov_b32 s35, 0
                                        ; implicit-def: $sgpr36
	s_set_inst_prefetch_distance 0x1
	s_branch .LBB1219_173
	.p2align	6
.LBB1219_171:                           ;   in Loop: Header=BB1219_173 Depth=1
	global_load_u16 v39, v[35:36], off
	global_load_u16 v40, v[37:38], off
	v_add_co_u32 v35, vcc_lo, v35, 2
	v_add_co_ci_u32_e32 v36, vcc_lo, 0, v36, vcc_lo
	v_add_co_u32 v37, s0, v37, 2
	s_delay_alu instid0(VALU_DEP_1)
	v_add_co_ci_u32_e64 v38, s0, 0, v38, s0
	s_add_u32 s6, s6, 1
	s_addc_u32 s7, s7, 0
	s_and_not1_b32 s0, s36, exec_lo
	s_waitcnt vmcnt(1)
	v_lshlrev_b32_e32 v39, 16, v39
	s_waitcnt vmcnt(0)
	v_lshlrev_b32_e32 v40, 16, v40
	s_delay_alu instid0(VALU_DEP_1) | instskip(SKIP_1) | instid1(SALU_CYCLE_1)
	v_cmp_neq_f32_e32 vcc_lo, v40, v39
	s_and_b32 s36, vcc_lo, exec_lo
	s_or_b32 s36, s0, s36
.LBB1219_172:                           ;   in Loop: Header=BB1219_173 Depth=1
	v_dual_mov_b32 v40, s7 :: v_dual_mov_b32 v39, s6
	s_and_b32 s0, exec_lo, s36
	s_delay_alu instid0(SALU_CYCLE_1) | instskip(NEXT) | instid1(SALU_CYCLE_1)
	s_or_b32 s35, s0, s35
	s_and_not1_b32 exec_lo, exec_lo, s35
	s_cbranch_execz .LBB1219_175
.LBB1219_173:                           ; =>This Inner Loop Header: Depth=1
	s_or_b32 s36, s36, exec_lo
	s_cmp_eq_u64 s[4:5], s[6:7]
	s_cbranch_scc0 .LBB1219_171
; %bb.174:                              ;   in Loop: Header=BB1219_173 Depth=1
	s_mov_b64 s[6:7], s[14:15]
                                        ; implicit-def: $vgpr35_vgpr36
                                        ; implicit-def: $vgpr37_vgpr38
	s_branch .LBB1219_172
.LBB1219_175:
	s_set_inst_prefetch_distance 0x2
	s_or_b32 exec_lo, exec_lo, s35
	v_cmp_gt_i64_e32 vcc_lo, s[14:15], v[39:40]
	s_or_not1_b32 s0, vcc_lo, exec_lo
.LBB1219_176:
	s_or_b32 exec_lo, exec_lo, s26
.LBB1219_177:
	s_delay_alu instid0(SALU_CYCLE_1)
	s_and_b32 s26, s0, exec_lo
.LBB1219_178:
	s_or_b32 exec_lo, exec_lo, s34
	v_or_b32_e32 v35, 2, v55
	s_mov_b32 s34, exec_lo
	s_delay_alu instid0(VALU_DEP_1)
	v_cmpx_gt_u32_e64 s31, v35
	s_cbranch_execz .LBB1219_189
; %bb.179:
	v_cmp_ne_u32_e32 vcc_lo, 1, v43
	s_mov_b32 s0, 0
	s_cbranch_vccnz .LBB1219_188
; %bb.180:
	v_mul_lo_u32 v39, v26, s14
	v_mul_lo_u32 v40, v25, s15
	v_mad_u64_u32 v[35:36], null, v25, s14, 0
	v_mul_lo_u32 v41, v32, s14
	v_mul_lo_u32 v42, v31, s15
	s_waitcnt lgkmcnt(0)
	v_mad_u64_u32 v[37:38], null, v31, s14, 0
	s_mov_b32 s0, -1
	s_mov_b32 s27, exec_lo
	s_delay_alu instid0(VALU_DEP_4) | instskip(NEXT) | instid1(VALU_DEP_2)
	v_add3_u32 v36, v36, v40, v39
	v_add3_u32 v38, v38, v42, v41
	s_delay_alu instid0(VALU_DEP_2) | instskip(NEXT) | instid1(VALU_DEP_2)
	v_lshlrev_b64 v[35:36], 1, v[35:36]
	v_lshlrev_b64 v[37:38], 1, v[37:38]
	s_delay_alu instid0(VALU_DEP_2) | instskip(NEXT) | instid1(VALU_DEP_3)
	v_add_co_u32 v35, vcc_lo, s20, v35
	v_add_co_ci_u32_e32 v36, vcc_lo, s21, v36, vcc_lo
	s_delay_alu instid0(VALU_DEP_3) | instskip(NEXT) | instid1(VALU_DEP_4)
	v_add_co_u32 v37, vcc_lo, s20, v37
	v_add_co_ci_u32_e32 v38, vcc_lo, s21, v38, vcc_lo
	s_clause 0x1
	global_load_u16 v39, v[35:36], off
	global_load_u16 v40, v[37:38], off
	s_waitcnt vmcnt(1)
	v_lshlrev_b32_e32 v39, 16, v39
	s_waitcnt vmcnt(0)
	v_lshlrev_b32_e32 v40, 16, v40
	s_delay_alu instid0(VALU_DEP_1)
	v_cmpx_eq_f32_e32 v40, v39
	s_cbranch_execz .LBB1219_187
; %bb.181:
	v_add_co_u32 v35, vcc_lo, v35, 2
	v_add_co_ci_u32_e32 v36, vcc_lo, 0, v36, vcc_lo
	v_add_co_u32 v37, vcc_lo, v37, 2
	v_add_co_ci_u32_e32 v38, vcc_lo, 0, v38, vcc_lo
	s_add_u32 s4, s14, -1
	s_addc_u32 s5, s15, -1
	s_mov_b64 s[6:7], 0
	s_mov_b32 s35, 0
                                        ; implicit-def: $sgpr36
	s_set_inst_prefetch_distance 0x1
	s_branch .LBB1219_184
	.p2align	6
.LBB1219_182:                           ;   in Loop: Header=BB1219_184 Depth=1
	global_load_u16 v39, v[35:36], off
	global_load_u16 v40, v[37:38], off
	v_add_co_u32 v35, vcc_lo, v35, 2
	v_add_co_ci_u32_e32 v36, vcc_lo, 0, v36, vcc_lo
	v_add_co_u32 v37, s0, v37, 2
	s_delay_alu instid0(VALU_DEP_1)
	v_add_co_ci_u32_e64 v38, s0, 0, v38, s0
	s_add_u32 s6, s6, 1
	s_addc_u32 s7, s7, 0
	s_and_not1_b32 s0, s36, exec_lo
	s_waitcnt vmcnt(1)
	v_lshlrev_b32_e32 v39, 16, v39
	s_waitcnt vmcnt(0)
	v_lshlrev_b32_e32 v40, 16, v40
	s_delay_alu instid0(VALU_DEP_1) | instskip(SKIP_1) | instid1(SALU_CYCLE_1)
	v_cmp_neq_f32_e32 vcc_lo, v40, v39
	s_and_b32 s36, vcc_lo, exec_lo
	s_or_b32 s36, s0, s36
.LBB1219_183:                           ;   in Loop: Header=BB1219_184 Depth=1
	v_dual_mov_b32 v40, s7 :: v_dual_mov_b32 v39, s6
	s_and_b32 s0, exec_lo, s36
	s_delay_alu instid0(SALU_CYCLE_1) | instskip(NEXT) | instid1(SALU_CYCLE_1)
	s_or_b32 s35, s0, s35
	s_and_not1_b32 exec_lo, exec_lo, s35
	s_cbranch_execz .LBB1219_186
.LBB1219_184:                           ; =>This Inner Loop Header: Depth=1
	s_or_b32 s36, s36, exec_lo
	s_cmp_eq_u64 s[4:5], s[6:7]
	s_cbranch_scc0 .LBB1219_182
; %bb.185:                              ;   in Loop: Header=BB1219_184 Depth=1
	s_mov_b64 s[6:7], s[14:15]
                                        ; implicit-def: $vgpr35_vgpr36
                                        ; implicit-def: $vgpr37_vgpr38
	s_branch .LBB1219_183
.LBB1219_186:
	s_set_inst_prefetch_distance 0x2
	s_or_b32 exec_lo, exec_lo, s35
	v_cmp_gt_i64_e32 vcc_lo, s[14:15], v[39:40]
	s_or_not1_b32 s0, vcc_lo, exec_lo
.LBB1219_187:
	s_or_b32 exec_lo, exec_lo, s27
.LBB1219_188:
	s_delay_alu instid0(SALU_CYCLE_1)
	s_and_b32 s27, s0, exec_lo
.LBB1219_189:
	s_or_b32 exec_lo, exec_lo, s34
	v_or_b32_e32 v35, 1, v55
	s_mov_b32 s0, 0
	s_mov_b32 s34, exec_lo
	s_delay_alu instid0(VALU_DEP_1)
	v_cmpx_gt_u32_e64 s31, v35
	s_cbranch_execz .LBB1219_200
; %bb.190:
	v_cmp_ne_u32_e32 vcc_lo, 1, v43
	s_cbranch_vccnz .LBB1219_199
; %bb.191:
	v_mul_lo_u32 v39, v32, s14
	v_mul_lo_u32 v40, v31, s15
	v_mad_u64_u32 v[35:36], null, v31, s14, 0
	v_mul_lo_u32 v41, v30, s14
	v_mul_lo_u32 v42, v29, s15
	s_waitcnt lgkmcnt(0)
	v_mad_u64_u32 v[37:38], null, v29, s14, 0
	s_mov_b32 s0, -1
	s_mov_b32 s35, exec_lo
	s_delay_alu instid0(VALU_DEP_4) | instskip(NEXT) | instid1(VALU_DEP_2)
	v_add3_u32 v36, v36, v40, v39
	v_add3_u32 v38, v38, v42, v41
	s_delay_alu instid0(VALU_DEP_2) | instskip(NEXT) | instid1(VALU_DEP_2)
	v_lshlrev_b64 v[35:36], 1, v[35:36]
	v_lshlrev_b64 v[37:38], 1, v[37:38]
	s_delay_alu instid0(VALU_DEP_2) | instskip(NEXT) | instid1(VALU_DEP_3)
	v_add_co_u32 v35, vcc_lo, s20, v35
	v_add_co_ci_u32_e32 v36, vcc_lo, s21, v36, vcc_lo
	s_delay_alu instid0(VALU_DEP_3) | instskip(NEXT) | instid1(VALU_DEP_4)
	v_add_co_u32 v37, vcc_lo, s20, v37
	v_add_co_ci_u32_e32 v38, vcc_lo, s21, v38, vcc_lo
	s_clause 0x1
	global_load_u16 v39, v[35:36], off
	global_load_u16 v40, v[37:38], off
	s_waitcnt vmcnt(1)
	v_lshlrev_b32_e32 v39, 16, v39
	s_waitcnt vmcnt(0)
	v_lshlrev_b32_e32 v40, 16, v40
	s_delay_alu instid0(VALU_DEP_1)
	v_cmpx_eq_f32_e32 v40, v39
	s_cbranch_execz .LBB1219_198
; %bb.192:
	v_add_co_u32 v35, vcc_lo, v35, 2
	v_add_co_ci_u32_e32 v36, vcc_lo, 0, v36, vcc_lo
	v_add_co_u32 v37, vcc_lo, v37, 2
	v_add_co_ci_u32_e32 v38, vcc_lo, 0, v38, vcc_lo
	s_add_u32 s4, s14, -1
	s_addc_u32 s5, s15, -1
	s_mov_b64 s[6:7], 0
	s_mov_b32 s36, 0
                                        ; implicit-def: $sgpr37
	s_set_inst_prefetch_distance 0x1
	s_branch .LBB1219_195
	.p2align	6
.LBB1219_193:                           ;   in Loop: Header=BB1219_195 Depth=1
	global_load_u16 v39, v[35:36], off
	global_load_u16 v40, v[37:38], off
	v_add_co_u32 v35, vcc_lo, v35, 2
	v_add_co_ci_u32_e32 v36, vcc_lo, 0, v36, vcc_lo
	v_add_co_u32 v37, s0, v37, 2
	s_delay_alu instid0(VALU_DEP_1)
	v_add_co_ci_u32_e64 v38, s0, 0, v38, s0
	s_add_u32 s6, s6, 1
	s_addc_u32 s7, s7, 0
	s_and_not1_b32 s0, s37, exec_lo
	s_waitcnt vmcnt(1)
	v_lshlrev_b32_e32 v39, 16, v39
	s_waitcnt vmcnt(0)
	v_lshlrev_b32_e32 v40, 16, v40
	s_delay_alu instid0(VALU_DEP_1) | instskip(SKIP_1) | instid1(SALU_CYCLE_1)
	v_cmp_neq_f32_e32 vcc_lo, v40, v39
	s_and_b32 s37, vcc_lo, exec_lo
	s_or_b32 s37, s0, s37
.LBB1219_194:                           ;   in Loop: Header=BB1219_195 Depth=1
	v_dual_mov_b32 v40, s7 :: v_dual_mov_b32 v39, s6
	s_and_b32 s0, exec_lo, s37
	s_delay_alu instid0(SALU_CYCLE_1) | instskip(NEXT) | instid1(SALU_CYCLE_1)
	s_or_b32 s36, s0, s36
	s_and_not1_b32 exec_lo, exec_lo, s36
	s_cbranch_execz .LBB1219_197
.LBB1219_195:                           ; =>This Inner Loop Header: Depth=1
	s_or_b32 s37, s37, exec_lo
	s_cmp_eq_u64 s[4:5], s[6:7]
	s_cbranch_scc0 .LBB1219_193
; %bb.196:                              ;   in Loop: Header=BB1219_195 Depth=1
	s_mov_b64 s[6:7], s[14:15]
                                        ; implicit-def: $vgpr35_vgpr36
                                        ; implicit-def: $vgpr37_vgpr38
	s_branch .LBB1219_194
.LBB1219_197:
	s_set_inst_prefetch_distance 0x2
	s_or_b32 exec_lo, exec_lo, s36
	v_cmp_gt_i64_e32 vcc_lo, s[14:15], v[39:40]
	s_or_not1_b32 s0, vcc_lo, exec_lo
.LBB1219_198:
	s_or_b32 exec_lo, exec_lo, s35
.LBB1219_199:
	s_delay_alu instid0(SALU_CYCLE_1)
	s_and_b32 s0, s0, exec_lo
.LBB1219_200:
	s_or_b32 exec_lo, exec_lo, s34
	s_waitcnt vmcnt(0) lgkmcnt(0)
	s_barrier
	buffer_gl0_inv
	s_and_saveexec_b32 s4, s3
	s_cbranch_execz .LBB1219_202
; %bb.201:
	v_add_nc_u32_e32 v33, -8, v55
	ds_load_b64 v[33:34], v33
.LBB1219_202:
	s_or_b32 exec_lo, exec_lo, s4
	v_cndmask_b32_e64 v36, 0, 1, s26
	v_cndmask_b32_e64 v38, 0, 1, s13
	;; [unrolled: 1-line block ×7, first 2 shown]
	v_lshlrev_b16 v36, 8, v36
	v_lshlrev_b16 v38, 8, v38
	;; [unrolled: 1-line block ×3, first 2 shown]
	s_mov_b32 s0, 0
	v_lshlrev_b16 v41, 8, v41
	v_or_b32_e32 v35, v35, v36
	v_or_b32_e32 v36, v37, v38
	;; [unrolled: 1-line block ×3, first 2 shown]
	s_mov_b32 s1, exec_lo
	v_and_b32_e32 v39, 0xffff, v41
	v_lshlrev_b32_e32 v40, 16, v35
	v_and_b32_e32 v41, 0xffff, v36
	v_lshlrev_b32_e32 v42, 16, v37
	v_cmpx_gt_u32_e64 s31, v55
	s_cbranch_execz .LBB1219_213
; %bb.203:
	v_cmp_ne_u32_e32 vcc_lo, 1, v43
	s_cbranch_vccnz .LBB1219_212
; %bb.204:
	v_mul_lo_u32 v43, v30, s14
	v_mul_lo_u32 v44, v29, s15
	v_mad_u64_u32 v[35:36], null, v29, s14, 0
	s_waitcnt lgkmcnt(0)
	v_mul_lo_u32 v34, v34, s14
	v_mul_lo_u32 v45, v33, s15
	v_mad_u64_u32 v[37:38], null, v33, s14, 0
	s_mov_b32 s0, -1
	s_mov_b32 s13, exec_lo
	s_delay_alu instid0(VALU_DEP_4) | instskip(NEXT) | instid1(VALU_DEP_2)
	v_add3_u32 v36, v36, v44, v43
	v_add3_u32 v38, v38, v45, v34
	s_delay_alu instid0(VALU_DEP_2) | instskip(NEXT) | instid1(VALU_DEP_2)
	v_lshlrev_b64 v[33:34], 1, v[35:36]
	v_lshlrev_b64 v[35:36], 1, v[37:38]
	s_delay_alu instid0(VALU_DEP_2) | instskip(NEXT) | instid1(VALU_DEP_3)
	v_add_co_u32 v33, vcc_lo, s20, v33
	v_add_co_ci_u32_e32 v34, vcc_lo, s21, v34, vcc_lo
	s_delay_alu instid0(VALU_DEP_3) | instskip(NEXT) | instid1(VALU_DEP_4)
	v_add_co_u32 v35, vcc_lo, s20, v35
	v_add_co_ci_u32_e32 v36, vcc_lo, s21, v36, vcc_lo
	s_clause 0x1
	global_load_u16 v37, v[33:34], off
	global_load_u16 v38, v[35:36], off
	s_waitcnt vmcnt(1)
	v_lshlrev_b32_e32 v37, 16, v37
	s_waitcnt vmcnt(0)
	v_lshlrev_b32_e32 v38, 16, v38
	s_delay_alu instid0(VALU_DEP_1)
	v_cmpx_eq_f32_e32 v38, v37
	s_cbranch_execz .LBB1219_211
; %bb.205:
	v_add_co_u32 v33, vcc_lo, v33, 2
	v_add_co_ci_u32_e32 v34, vcc_lo, 0, v34, vcc_lo
	v_add_co_u32 v35, vcc_lo, v35, 2
	v_add_co_ci_u32_e32 v36, vcc_lo, 0, v36, vcc_lo
	s_add_u32 s4, s14, -1
	s_addc_u32 s5, s15, -1
	s_mov_b64 s[6:7], 0
	s_mov_b32 s24, 0
                                        ; implicit-def: $sgpr25
	s_set_inst_prefetch_distance 0x1
	s_branch .LBB1219_208
	.p2align	6
.LBB1219_206:                           ;   in Loop: Header=BB1219_208 Depth=1
	global_load_u16 v37, v[33:34], off
	global_load_u16 v38, v[35:36], off
	v_add_co_u32 v33, vcc_lo, v33, 2
	v_add_co_ci_u32_e32 v34, vcc_lo, 0, v34, vcc_lo
	v_add_co_u32 v35, s0, v35, 2
	s_delay_alu instid0(VALU_DEP_1)
	v_add_co_ci_u32_e64 v36, s0, 0, v36, s0
	s_add_u32 s6, s6, 1
	s_addc_u32 s7, s7, 0
	s_and_not1_b32 s0, s25, exec_lo
	s_waitcnt vmcnt(1)
	v_lshlrev_b32_e32 v37, 16, v37
	s_waitcnt vmcnt(0)
	v_lshlrev_b32_e32 v38, 16, v38
	s_delay_alu instid0(VALU_DEP_1) | instskip(SKIP_1) | instid1(SALU_CYCLE_1)
	v_cmp_neq_f32_e32 vcc_lo, v38, v37
	s_and_b32 s25, vcc_lo, exec_lo
	s_or_b32 s25, s0, s25
.LBB1219_207:                           ;   in Loop: Header=BB1219_208 Depth=1
	v_dual_mov_b32 v38, s7 :: v_dual_mov_b32 v37, s6
	s_and_b32 s0, exec_lo, s25
	s_delay_alu instid0(SALU_CYCLE_1) | instskip(NEXT) | instid1(SALU_CYCLE_1)
	s_or_b32 s24, s0, s24
	s_and_not1_b32 exec_lo, exec_lo, s24
	s_cbranch_execz .LBB1219_210
.LBB1219_208:                           ; =>This Inner Loop Header: Depth=1
	s_or_b32 s25, s25, exec_lo
	s_cmp_eq_u64 s[4:5], s[6:7]
	s_cbranch_scc0 .LBB1219_206
; %bb.209:                              ;   in Loop: Header=BB1219_208 Depth=1
	s_mov_b64 s[6:7], s[14:15]
                                        ; implicit-def: $vgpr33_vgpr34
                                        ; implicit-def: $vgpr35_vgpr36
	s_branch .LBB1219_207
.LBB1219_210:
	s_set_inst_prefetch_distance 0x2
	s_or_b32 exec_lo, exec_lo, s24
	v_cmp_gt_i64_e32 vcc_lo, s[14:15], v[37:38]
	s_or_not1_b32 s0, vcc_lo, exec_lo
.LBB1219_211:
	s_or_b32 exec_lo, exec_lo, s13
.LBB1219_212:
	s_delay_alu instid0(SALU_CYCLE_1)
	s_and_b32 s0, s0, exec_lo
.LBB1219_213:
	s_or_b32 exec_lo, exec_lo, s1
	v_or_b32_e32 v35, v39, v40
	v_or_b32_e32 v36, v41, v42
.LBB1219_214:
	s_mov_b32 s1, -1
	s_cbranch_execnz .LBB1219_383
.LBB1219_215:
	v_cmp_gt_i64_e64 s13, s[14:15], 0
	s_and_b32 vcc_lo, exec_lo, s29
	ds_store_b64 v55, v[19:20]
	s_cbranch_vccz .LBB1219_223
; %bb.216:
	v_mul_lo_u32 v35, v18, s14
	v_mul_lo_u32 v36, v17, s15
	s_waitcnt vmcnt(0) lgkmcnt(1)
	v_mad_u64_u32 v[33:34], null, v17, s14, 0
	s_mov_b32 s24, 0
	s_and_not1_b32 vcc_lo, exec_lo, s13
	s_mov_b32 s25, 0
	s_delay_alu instid0(VALU_DEP_1) | instskip(NEXT) | instid1(VALU_DEP_1)
	v_add3_u32 v34, v34, v36, v35
	v_lshlrev_b64 v[33:34], 1, v[33:34]
	s_cbranch_vccnz .LBB1219_226
; %bb.217:
	v_mul_lo_u32 v37, v20, s14
	v_mul_lo_u32 v38, v19, s15
	v_mad_u64_u32 v[35:36], null, v19, s14, 0
	s_mov_b32 s25, -1
	s_mov_b32 s26, exec_lo
	s_delay_alu instid0(VALU_DEP_1) | instskip(NEXT) | instid1(VALU_DEP_1)
	v_add3_u32 v36, v36, v38, v37
	v_lshlrev_b64 v[35:36], 1, v[35:36]
	s_delay_alu instid0(VALU_DEP_1) | instskip(NEXT) | instid1(VALU_DEP_2)
	v_add_co_u32 v35, vcc_lo, s20, v35
	v_add_co_ci_u32_e32 v36, vcc_lo, s21, v36, vcc_lo
	v_add_co_u32 v37, vcc_lo, s20, v33
	v_add_co_ci_u32_e32 v38, vcc_lo, s21, v34, vcc_lo
	s_clause 0x1
	global_load_u16 v39, v[35:36], off
	global_load_u16 v40, v[37:38], off
	s_waitcnt vmcnt(1)
	v_lshlrev_b32_e32 v39, 16, v39
	s_waitcnt vmcnt(0)
	v_lshlrev_b32_e32 v40, 16, v40
	s_delay_alu instid0(VALU_DEP_1)
	v_cmpx_eq_f32_e32 v40, v39
	s_cbranch_execz .LBB1219_225
; %bb.218:
	v_add_co_u32 v35, vcc_lo, v35, 2
	v_add_co_ci_u32_e32 v36, vcc_lo, 0, v36, vcc_lo
	v_add_co_u32 v37, vcc_lo, v37, 2
	v_add_co_ci_u32_e32 v38, vcc_lo, 0, v38, vcc_lo
	s_add_u32 s4, s14, -1
	s_addc_u32 s5, s15, -1
	s_mov_b64 s[6:7], 0
	s_mov_b32 s25, 0
                                        ; implicit-def: $sgpr27
	s_set_inst_prefetch_distance 0x1
	s_branch .LBB1219_221
	.p2align	6
.LBB1219_219:                           ;   in Loop: Header=BB1219_221 Depth=1
	global_load_u16 v39, v[35:36], off
	global_load_u16 v40, v[37:38], off
	v_add_co_u32 v35, vcc_lo, v35, 2
	v_add_co_ci_u32_e32 v36, vcc_lo, 0, v36, vcc_lo
	v_add_co_u32 v37, s0, v37, 2
	s_delay_alu instid0(VALU_DEP_1)
	v_add_co_ci_u32_e64 v38, s0, 0, v38, s0
	s_add_u32 s6, s6, 1
	s_addc_u32 s7, s7, 0
	s_and_not1_b32 s0, s27, exec_lo
	s_waitcnt vmcnt(1)
	v_lshlrev_b32_e32 v39, 16, v39
	s_waitcnt vmcnt(0)
	v_lshlrev_b32_e32 v40, 16, v40
	s_delay_alu instid0(VALU_DEP_1) | instskip(SKIP_1) | instid1(SALU_CYCLE_1)
	v_cmp_neq_f32_e32 vcc_lo, v40, v39
	s_and_b32 s27, vcc_lo, exec_lo
	s_or_b32 s27, s0, s27
.LBB1219_220:                           ;   in Loop: Header=BB1219_221 Depth=1
	v_dual_mov_b32 v40, s7 :: v_dual_mov_b32 v39, s6
	s_and_b32 s0, exec_lo, s27
	s_delay_alu instid0(SALU_CYCLE_1) | instskip(NEXT) | instid1(SALU_CYCLE_1)
	s_or_b32 s25, s0, s25
	s_and_not1_b32 exec_lo, exec_lo, s25
	s_cbranch_execz .LBB1219_224
.LBB1219_221:                           ; =>This Inner Loop Header: Depth=1
	s_or_b32 s27, s27, exec_lo
	s_cmp_eq_u64 s[4:5], s[6:7]
	s_cbranch_scc0 .LBB1219_219
; %bb.222:                              ;   in Loop: Header=BB1219_221 Depth=1
	s_mov_b64 s[6:7], s[14:15]
                                        ; implicit-def: $vgpr35_vgpr36
                                        ; implicit-def: $vgpr37_vgpr38
	s_branch .LBB1219_220
.LBB1219_223:
                                        ; implicit-def: $sgpr0
                                        ; implicit-def: $vgpr36
	s_cbranch_execnz .LBB1219_292
	s_branch .LBB1219_383
.LBB1219_224:
	s_set_inst_prefetch_distance 0x2
	s_or_b32 exec_lo, exec_lo, s25
	v_cmp_gt_i64_e32 vcc_lo, s[14:15], v[39:40]
	s_or_not1_b32 s25, vcc_lo, exec_lo
.LBB1219_225:
	s_or_b32 exec_lo, exec_lo, s26
.LBB1219_226:
	v_mul_lo_u32 v37, v24, s14
	v_mul_lo_u32 v38, v23, s15
	v_mad_u64_u32 v[35:36], null, v23, s14, 0
	s_and_not1_b32 vcc_lo, exec_lo, s13
	s_delay_alu instid0(VALU_DEP_1) | instskip(NEXT) | instid1(VALU_DEP_1)
	v_add3_u32 v36, v36, v38, v37
	v_lshlrev_b64 v[35:36], 1, v[35:36]
	s_cbranch_vccnz .LBB1219_235
; %bb.227:
	v_add_co_u32 v33, vcc_lo, s20, v33
	v_add_co_ci_u32_e32 v34, vcc_lo, s21, v34, vcc_lo
	s_delay_alu instid0(VALU_DEP_3) | instskip(NEXT) | instid1(VALU_DEP_4)
	v_add_co_u32 v37, vcc_lo, s20, v35
	v_add_co_ci_u32_e32 v38, vcc_lo, s21, v36, vcc_lo
	s_mov_b32 s24, -1
	s_clause 0x1
	global_load_u16 v39, v[33:34], off
	global_load_u16 v40, v[37:38], off
	s_mov_b32 s26, exec_lo
	s_waitcnt vmcnt(1)
	v_lshlrev_b32_e32 v39, 16, v39
	s_waitcnt vmcnt(0)
	v_lshlrev_b32_e32 v40, 16, v40
	s_delay_alu instid0(VALU_DEP_1)
	v_cmpx_eq_f32_e32 v40, v39
	s_cbranch_execz .LBB1219_234
; %bb.228:
	v_add_co_u32 v33, vcc_lo, v33, 2
	v_add_co_ci_u32_e32 v34, vcc_lo, 0, v34, vcc_lo
	v_add_co_u32 v37, vcc_lo, v37, 2
	v_add_co_ci_u32_e32 v38, vcc_lo, 0, v38, vcc_lo
	s_add_u32 s4, s14, -1
	s_addc_u32 s5, s15, -1
	s_mov_b64 s[6:7], 0
	s_mov_b32 s24, 0
                                        ; implicit-def: $sgpr27
	s_set_inst_prefetch_distance 0x1
	s_branch .LBB1219_231
	.p2align	6
.LBB1219_229:                           ;   in Loop: Header=BB1219_231 Depth=1
	global_load_u16 v39, v[33:34], off
	global_load_u16 v40, v[37:38], off
	v_add_co_u32 v33, vcc_lo, v33, 2
	v_add_co_ci_u32_e32 v34, vcc_lo, 0, v34, vcc_lo
	v_add_co_u32 v37, s0, v37, 2
	s_delay_alu instid0(VALU_DEP_1)
	v_add_co_ci_u32_e64 v38, s0, 0, v38, s0
	s_add_u32 s6, s6, 1
	s_addc_u32 s7, s7, 0
	s_and_not1_b32 s0, s27, exec_lo
	s_waitcnt vmcnt(1)
	v_lshlrev_b32_e32 v39, 16, v39
	s_waitcnt vmcnt(0)
	v_lshlrev_b32_e32 v40, 16, v40
	s_delay_alu instid0(VALU_DEP_1) | instskip(SKIP_1) | instid1(SALU_CYCLE_1)
	v_cmp_neq_f32_e32 vcc_lo, v40, v39
	s_and_b32 s27, vcc_lo, exec_lo
	s_or_b32 s27, s0, s27
.LBB1219_230:                           ;   in Loop: Header=BB1219_231 Depth=1
	v_dual_mov_b32 v40, s7 :: v_dual_mov_b32 v39, s6
	s_and_b32 s0, exec_lo, s27
	s_delay_alu instid0(SALU_CYCLE_1) | instskip(NEXT) | instid1(SALU_CYCLE_1)
	s_or_b32 s24, s0, s24
	s_and_not1_b32 exec_lo, exec_lo, s24
	s_cbranch_execz .LBB1219_233
.LBB1219_231:                           ; =>This Inner Loop Header: Depth=1
	s_or_b32 s27, s27, exec_lo
	s_cmp_eq_u64 s[4:5], s[6:7]
	s_cbranch_scc0 .LBB1219_229
; %bb.232:                              ;   in Loop: Header=BB1219_231 Depth=1
	s_mov_b64 s[6:7], s[14:15]
                                        ; implicit-def: $vgpr33_vgpr34
                                        ; implicit-def: $vgpr37_vgpr38
	s_branch .LBB1219_230
.LBB1219_233:
	s_set_inst_prefetch_distance 0x2
	s_or_b32 exec_lo, exec_lo, s24
	v_cmp_gt_i64_e32 vcc_lo, s[14:15], v[39:40]
	s_or_not1_b32 s24, vcc_lo, exec_lo
.LBB1219_234:
	s_or_b32 exec_lo, exec_lo, s26
.LBB1219_235:
	v_mul_lo_u32 v37, v22, s14
	v_mul_lo_u32 v38, v21, s15
	v_mad_u64_u32 v[33:34], null, v21, s14, 0
	s_mov_b32 s26, 0
	s_and_not1_b32 vcc_lo, exec_lo, s13
	s_mov_b32 s27, 0
	s_delay_alu instid0(VALU_DEP_1) | instskip(NEXT) | instid1(VALU_DEP_1)
	v_add3_u32 v34, v34, v38, v37
	v_lshlrev_b64 v[37:38], 1, v[33:34]
	s_cbranch_vccnz .LBB1219_244
; %bb.236:
	v_add_co_u32 v33, vcc_lo, s20, v35
	v_add_co_ci_u32_e32 v34, vcc_lo, s21, v36, vcc_lo
	s_delay_alu instid0(VALU_DEP_3) | instskip(NEXT) | instid1(VALU_DEP_4)
	v_add_co_u32 v35, vcc_lo, s20, v37
	v_add_co_ci_u32_e32 v36, vcc_lo, s21, v38, vcc_lo
	s_mov_b32 s27, -1
	s_clause 0x1
	global_load_u16 v39, v[33:34], off
	global_load_u16 v40, v[35:36], off
	s_mov_b32 s34, exec_lo
	s_waitcnt vmcnt(1)
	v_lshlrev_b32_e32 v39, 16, v39
	s_waitcnt vmcnt(0)
	v_lshlrev_b32_e32 v40, 16, v40
	s_delay_alu instid0(VALU_DEP_1)
	v_cmpx_eq_f32_e32 v40, v39
	s_cbranch_execz .LBB1219_243
; %bb.237:
	v_add_co_u32 v33, vcc_lo, v33, 2
	v_add_co_ci_u32_e32 v34, vcc_lo, 0, v34, vcc_lo
	v_add_co_u32 v35, vcc_lo, v35, 2
	v_add_co_ci_u32_e32 v36, vcc_lo, 0, v36, vcc_lo
	s_add_u32 s4, s14, -1
	s_addc_u32 s5, s15, -1
	s_mov_b64 s[6:7], 0
	s_mov_b32 s27, 0
                                        ; implicit-def: $sgpr35
	s_set_inst_prefetch_distance 0x1
	s_branch .LBB1219_240
	.p2align	6
.LBB1219_238:                           ;   in Loop: Header=BB1219_240 Depth=1
	global_load_u16 v39, v[33:34], off
	global_load_u16 v40, v[35:36], off
	v_add_co_u32 v33, vcc_lo, v33, 2
	v_add_co_ci_u32_e32 v34, vcc_lo, 0, v34, vcc_lo
	v_add_co_u32 v35, s0, v35, 2
	s_delay_alu instid0(VALU_DEP_1)
	v_add_co_ci_u32_e64 v36, s0, 0, v36, s0
	s_add_u32 s6, s6, 1
	s_addc_u32 s7, s7, 0
	s_and_not1_b32 s0, s35, exec_lo
	s_waitcnt vmcnt(1)
	v_lshlrev_b32_e32 v39, 16, v39
	s_waitcnt vmcnt(0)
	v_lshlrev_b32_e32 v40, 16, v40
	s_delay_alu instid0(VALU_DEP_1) | instskip(SKIP_1) | instid1(SALU_CYCLE_1)
	v_cmp_neq_f32_e32 vcc_lo, v40, v39
	s_and_b32 s35, vcc_lo, exec_lo
	s_or_b32 s35, s0, s35
.LBB1219_239:                           ;   in Loop: Header=BB1219_240 Depth=1
	v_dual_mov_b32 v40, s7 :: v_dual_mov_b32 v39, s6
	s_and_b32 s0, exec_lo, s35
	s_delay_alu instid0(SALU_CYCLE_1) | instskip(NEXT) | instid1(SALU_CYCLE_1)
	s_or_b32 s27, s0, s27
	s_and_not1_b32 exec_lo, exec_lo, s27
	s_cbranch_execz .LBB1219_242
.LBB1219_240:                           ; =>This Inner Loop Header: Depth=1
	s_or_b32 s35, s35, exec_lo
	s_cmp_eq_u64 s[4:5], s[6:7]
	s_cbranch_scc0 .LBB1219_238
; %bb.241:                              ;   in Loop: Header=BB1219_240 Depth=1
	s_mov_b64 s[6:7], s[14:15]
                                        ; implicit-def: $vgpr33_vgpr34
                                        ; implicit-def: $vgpr35_vgpr36
	s_branch .LBB1219_239
.LBB1219_242:
	s_set_inst_prefetch_distance 0x2
	s_or_b32 exec_lo, exec_lo, s27
	v_cmp_gt_i64_e32 vcc_lo, s[14:15], v[39:40]
	s_or_not1_b32 s27, vcc_lo, exec_lo
.LBB1219_243:
	s_or_b32 exec_lo, exec_lo, s34
.LBB1219_244:
	v_mul_lo_u32 v35, v28, s14
	v_mul_lo_u32 v36, v27, s15
	v_mad_u64_u32 v[33:34], null, v27, s14, 0
	s_and_not1_b32 vcc_lo, exec_lo, s13
	s_delay_alu instid0(VALU_DEP_1) | instskip(NEXT) | instid1(VALU_DEP_1)
	v_add3_u32 v34, v34, v36, v35
	v_lshlrev_b64 v[33:34], 1, v[33:34]
	s_cbranch_vccnz .LBB1219_253
; %bb.245:
	v_add_co_u32 v35, vcc_lo, s20, v37
	v_add_co_ci_u32_e32 v36, vcc_lo, s21, v38, vcc_lo
	s_delay_alu instid0(VALU_DEP_3) | instskip(NEXT) | instid1(VALU_DEP_4)
	v_add_co_u32 v37, vcc_lo, s20, v33
	v_add_co_ci_u32_e32 v38, vcc_lo, s21, v34, vcc_lo
	s_mov_b32 s26, -1
	s_clause 0x1
	global_load_u16 v39, v[35:36], off
	global_load_u16 v40, v[37:38], off
	s_mov_b32 s34, exec_lo
	s_waitcnt vmcnt(1)
	v_lshlrev_b32_e32 v39, 16, v39
	s_waitcnt vmcnt(0)
	v_lshlrev_b32_e32 v40, 16, v40
	s_delay_alu instid0(VALU_DEP_1)
	v_cmpx_eq_f32_e32 v40, v39
	s_cbranch_execz .LBB1219_252
; %bb.246:
	v_add_co_u32 v35, vcc_lo, v35, 2
	v_add_co_ci_u32_e32 v36, vcc_lo, 0, v36, vcc_lo
	v_add_co_u32 v37, vcc_lo, v37, 2
	v_add_co_ci_u32_e32 v38, vcc_lo, 0, v38, vcc_lo
	s_add_u32 s4, s14, -1
	s_addc_u32 s5, s15, -1
	s_mov_b64 s[6:7], 0
	s_mov_b32 s26, 0
                                        ; implicit-def: $sgpr35
	s_set_inst_prefetch_distance 0x1
	s_branch .LBB1219_249
	.p2align	6
.LBB1219_247:                           ;   in Loop: Header=BB1219_249 Depth=1
	global_load_u16 v39, v[35:36], off
	global_load_u16 v40, v[37:38], off
	v_add_co_u32 v35, vcc_lo, v35, 2
	v_add_co_ci_u32_e32 v36, vcc_lo, 0, v36, vcc_lo
	v_add_co_u32 v37, s0, v37, 2
	s_delay_alu instid0(VALU_DEP_1)
	v_add_co_ci_u32_e64 v38, s0, 0, v38, s0
	s_add_u32 s6, s6, 1
	s_addc_u32 s7, s7, 0
	s_and_not1_b32 s0, s35, exec_lo
	s_waitcnt vmcnt(1)
	v_lshlrev_b32_e32 v39, 16, v39
	s_waitcnt vmcnt(0)
	v_lshlrev_b32_e32 v40, 16, v40
	s_delay_alu instid0(VALU_DEP_1) | instskip(SKIP_1) | instid1(SALU_CYCLE_1)
	v_cmp_neq_f32_e32 vcc_lo, v40, v39
	s_and_b32 s35, vcc_lo, exec_lo
	s_or_b32 s35, s0, s35
.LBB1219_248:                           ;   in Loop: Header=BB1219_249 Depth=1
	v_dual_mov_b32 v40, s7 :: v_dual_mov_b32 v39, s6
	s_and_b32 s0, exec_lo, s35
	s_delay_alu instid0(SALU_CYCLE_1) | instskip(NEXT) | instid1(SALU_CYCLE_1)
	s_or_b32 s26, s0, s26
	s_and_not1_b32 exec_lo, exec_lo, s26
	s_cbranch_execz .LBB1219_251
.LBB1219_249:                           ; =>This Inner Loop Header: Depth=1
	s_or_b32 s35, s35, exec_lo
	s_cmp_eq_u64 s[4:5], s[6:7]
	s_cbranch_scc0 .LBB1219_247
; %bb.250:                              ;   in Loop: Header=BB1219_249 Depth=1
	s_mov_b64 s[6:7], s[14:15]
                                        ; implicit-def: $vgpr35_vgpr36
                                        ; implicit-def: $vgpr37_vgpr38
	s_branch .LBB1219_248
.LBB1219_251:
	s_set_inst_prefetch_distance 0x2
	s_or_b32 exec_lo, exec_lo, s26
	v_cmp_gt_i64_e32 vcc_lo, s[14:15], v[39:40]
	s_or_not1_b32 s26, vcc_lo, exec_lo
.LBB1219_252:
	s_or_b32 exec_lo, exec_lo, s34
.LBB1219_253:
	v_mul_lo_u32 v37, v26, s14
	v_mul_lo_u32 v38, v25, s15
	v_mad_u64_u32 v[35:36], null, v25, s14, 0
	s_mov_b32 s34, 0
	s_and_not1_b32 vcc_lo, exec_lo, s13
	s_mov_b32 s35, 0
	s_delay_alu instid0(VALU_DEP_1) | instskip(NEXT) | instid1(VALU_DEP_1)
	v_add3_u32 v36, v36, v38, v37
	v_lshlrev_b64 v[37:38], 1, v[35:36]
	s_cbranch_vccnz .LBB1219_262
; %bb.254:
	v_add_co_u32 v33, vcc_lo, s20, v33
	v_add_co_ci_u32_e32 v34, vcc_lo, s21, v34, vcc_lo
	s_delay_alu instid0(VALU_DEP_3) | instskip(NEXT) | instid1(VALU_DEP_4)
	v_add_co_u32 v35, vcc_lo, s20, v37
	v_add_co_ci_u32_e32 v36, vcc_lo, s21, v38, vcc_lo
	s_mov_b32 s35, -1
	s_clause 0x1
	global_load_u16 v39, v[33:34], off
	global_load_u16 v40, v[35:36], off
	s_mov_b32 s36, exec_lo
	s_waitcnt vmcnt(1)
	v_lshlrev_b32_e32 v39, 16, v39
	s_waitcnt vmcnt(0)
	v_lshlrev_b32_e32 v40, 16, v40
	s_delay_alu instid0(VALU_DEP_1)
	v_cmpx_eq_f32_e32 v40, v39
	s_cbranch_execz .LBB1219_261
; %bb.255:
	v_add_co_u32 v33, vcc_lo, v33, 2
	v_add_co_ci_u32_e32 v34, vcc_lo, 0, v34, vcc_lo
	v_add_co_u32 v35, vcc_lo, v35, 2
	v_add_co_ci_u32_e32 v36, vcc_lo, 0, v36, vcc_lo
	s_add_u32 s4, s14, -1
	s_addc_u32 s5, s15, -1
	s_mov_b64 s[6:7], 0
	s_mov_b32 s35, 0
                                        ; implicit-def: $sgpr37
	s_set_inst_prefetch_distance 0x1
	s_branch .LBB1219_258
	.p2align	6
.LBB1219_256:                           ;   in Loop: Header=BB1219_258 Depth=1
	global_load_u16 v39, v[33:34], off
	global_load_u16 v40, v[35:36], off
	v_add_co_u32 v33, vcc_lo, v33, 2
	v_add_co_ci_u32_e32 v34, vcc_lo, 0, v34, vcc_lo
	v_add_co_u32 v35, s0, v35, 2
	s_delay_alu instid0(VALU_DEP_1)
	v_add_co_ci_u32_e64 v36, s0, 0, v36, s0
	s_add_u32 s6, s6, 1
	s_addc_u32 s7, s7, 0
	s_and_not1_b32 s0, s37, exec_lo
	s_waitcnt vmcnt(1)
	v_lshlrev_b32_e32 v39, 16, v39
	s_waitcnt vmcnt(0)
	v_lshlrev_b32_e32 v40, 16, v40
	s_delay_alu instid0(VALU_DEP_1) | instskip(SKIP_1) | instid1(SALU_CYCLE_1)
	v_cmp_neq_f32_e32 vcc_lo, v40, v39
	s_and_b32 s37, vcc_lo, exec_lo
	s_or_b32 s37, s0, s37
.LBB1219_257:                           ;   in Loop: Header=BB1219_258 Depth=1
	v_dual_mov_b32 v40, s7 :: v_dual_mov_b32 v39, s6
	s_and_b32 s0, exec_lo, s37
	s_delay_alu instid0(SALU_CYCLE_1) | instskip(NEXT) | instid1(SALU_CYCLE_1)
	s_or_b32 s35, s0, s35
	s_and_not1_b32 exec_lo, exec_lo, s35
	s_cbranch_execz .LBB1219_260
.LBB1219_258:                           ; =>This Inner Loop Header: Depth=1
	s_or_b32 s37, s37, exec_lo
	s_cmp_eq_u64 s[4:5], s[6:7]
	s_cbranch_scc0 .LBB1219_256
; %bb.259:                              ;   in Loop: Header=BB1219_258 Depth=1
	s_mov_b64 s[6:7], s[14:15]
                                        ; implicit-def: $vgpr33_vgpr34
                                        ; implicit-def: $vgpr35_vgpr36
	s_branch .LBB1219_257
.LBB1219_260:
	s_set_inst_prefetch_distance 0x2
	s_or_b32 exec_lo, exec_lo, s35
	v_cmp_gt_i64_e32 vcc_lo, s[14:15], v[39:40]
	s_or_not1_b32 s35, vcc_lo, exec_lo
.LBB1219_261:
	s_or_b32 exec_lo, exec_lo, s36
.LBB1219_262:
	v_mul_lo_u32 v35, v32, s14
	v_mul_lo_u32 v36, v31, s15
	v_mad_u64_u32 v[33:34], null, v31, s14, 0
	s_and_not1_b32 vcc_lo, exec_lo, s13
	s_delay_alu instid0(VALU_DEP_1) | instskip(NEXT) | instid1(VALU_DEP_1)
	v_add3_u32 v34, v34, v36, v35
	v_lshlrev_b64 v[35:36], 1, v[33:34]
	s_cbranch_vccnz .LBB1219_271
; %bb.263:
	v_add_co_u32 v33, vcc_lo, s20, v37
	v_add_co_ci_u32_e32 v34, vcc_lo, s21, v38, vcc_lo
	s_delay_alu instid0(VALU_DEP_3) | instskip(NEXT) | instid1(VALU_DEP_4)
	v_add_co_u32 v37, vcc_lo, s20, v35
	v_add_co_ci_u32_e32 v38, vcc_lo, s21, v36, vcc_lo
	s_mov_b32 s34, -1
	s_clause 0x1
	global_load_u16 v39, v[33:34], off
	global_load_u16 v40, v[37:38], off
	s_mov_b32 s36, exec_lo
	s_waitcnt vmcnt(1)
	v_lshlrev_b32_e32 v39, 16, v39
	s_waitcnt vmcnt(0)
	v_lshlrev_b32_e32 v40, 16, v40
	s_delay_alu instid0(VALU_DEP_1)
	v_cmpx_eq_f32_e32 v40, v39
	s_cbranch_execz .LBB1219_270
; %bb.264:
	v_add_co_u32 v33, vcc_lo, v33, 2
	v_add_co_ci_u32_e32 v34, vcc_lo, 0, v34, vcc_lo
	v_add_co_u32 v37, vcc_lo, v37, 2
	v_add_co_ci_u32_e32 v38, vcc_lo, 0, v38, vcc_lo
	s_add_u32 s4, s14, -1
	s_addc_u32 s5, s15, -1
	s_mov_b64 s[6:7], 0
	s_mov_b32 s34, 0
                                        ; implicit-def: $sgpr37
	s_set_inst_prefetch_distance 0x1
	s_branch .LBB1219_267
	.p2align	6
.LBB1219_265:                           ;   in Loop: Header=BB1219_267 Depth=1
	global_load_u16 v39, v[33:34], off
	global_load_u16 v40, v[37:38], off
	v_add_co_u32 v33, vcc_lo, v33, 2
	v_add_co_ci_u32_e32 v34, vcc_lo, 0, v34, vcc_lo
	v_add_co_u32 v37, s0, v37, 2
	s_delay_alu instid0(VALU_DEP_1)
	v_add_co_ci_u32_e64 v38, s0, 0, v38, s0
	s_add_u32 s6, s6, 1
	s_addc_u32 s7, s7, 0
	s_and_not1_b32 s0, s37, exec_lo
	s_waitcnt vmcnt(1)
	v_lshlrev_b32_e32 v39, 16, v39
	s_waitcnt vmcnt(0)
	v_lshlrev_b32_e32 v40, 16, v40
	s_delay_alu instid0(VALU_DEP_1) | instskip(SKIP_1) | instid1(SALU_CYCLE_1)
	v_cmp_neq_f32_e32 vcc_lo, v40, v39
	s_and_b32 s37, vcc_lo, exec_lo
	s_or_b32 s37, s0, s37
.LBB1219_266:                           ;   in Loop: Header=BB1219_267 Depth=1
	v_dual_mov_b32 v40, s7 :: v_dual_mov_b32 v39, s6
	s_and_b32 s0, exec_lo, s37
	s_delay_alu instid0(SALU_CYCLE_1) | instskip(NEXT) | instid1(SALU_CYCLE_1)
	s_or_b32 s34, s0, s34
	s_and_not1_b32 exec_lo, exec_lo, s34
	s_cbranch_execz .LBB1219_269
.LBB1219_267:                           ; =>This Inner Loop Header: Depth=1
	s_or_b32 s37, s37, exec_lo
	s_cmp_eq_u64 s[4:5], s[6:7]
	s_cbranch_scc0 .LBB1219_265
; %bb.268:                              ;   in Loop: Header=BB1219_267 Depth=1
	s_mov_b64 s[6:7], s[14:15]
                                        ; implicit-def: $vgpr33_vgpr34
                                        ; implicit-def: $vgpr37_vgpr38
	s_branch .LBB1219_266
.LBB1219_269:
	s_set_inst_prefetch_distance 0x2
	s_or_b32 exec_lo, exec_lo, s34
	v_cmp_gt_i64_e32 vcc_lo, s[14:15], v[39:40]
	s_or_not1_b32 s34, vcc_lo, exec_lo
.LBB1219_270:
	s_or_b32 exec_lo, exec_lo, s36
.LBB1219_271:
	v_mul_lo_u32 v37, v30, s14
	v_mul_lo_u32 v38, v29, s15
	v_mad_u64_u32 v[33:34], null, v29, s14, 0
	s_and_not1_b32 vcc_lo, exec_lo, s13
	s_mov_b32 s0, 0
	s_delay_alu instid0(VALU_DEP_1)
	v_add3_u32 v34, v34, v38, v37
	s_cbranch_vccnz .LBB1219_280
; %bb.272:
	s_delay_alu instid0(VALU_DEP_1) | instskip(SKIP_3) | instid1(VALU_DEP_3)
	v_lshlrev_b64 v[37:38], 1, v[33:34]
	v_add_co_u32 v35, vcc_lo, s20, v35
	v_add_co_ci_u32_e32 v36, vcc_lo, s21, v36, vcc_lo
	s_mov_b32 s0, -1
	v_add_co_u32 v37, vcc_lo, s20, v37
	s_delay_alu instid0(VALU_DEP_4)
	v_add_co_ci_u32_e32 v38, vcc_lo, s21, v38, vcc_lo
	s_mov_b32 s36, exec_lo
	s_clause 0x1
	global_load_u16 v39, v[35:36], off
	global_load_u16 v40, v[37:38], off
	s_waitcnt vmcnt(1)
	v_lshlrev_b32_e32 v39, 16, v39
	s_waitcnt vmcnt(0)
	v_lshlrev_b32_e32 v40, 16, v40
	s_delay_alu instid0(VALU_DEP_1)
	v_cmpx_eq_f32_e32 v40, v39
	s_cbranch_execz .LBB1219_279
; %bb.273:
	v_add_co_u32 v35, vcc_lo, v35, 2
	v_add_co_ci_u32_e32 v36, vcc_lo, 0, v36, vcc_lo
	v_add_co_u32 v37, vcc_lo, v37, 2
	v_add_co_ci_u32_e32 v38, vcc_lo, 0, v38, vcc_lo
	s_add_u32 s4, s14, -1
	s_addc_u32 s5, s15, -1
	s_mov_b64 s[6:7], 0
	s_mov_b32 s37, 0
                                        ; implicit-def: $sgpr38
	s_set_inst_prefetch_distance 0x1
	s_branch .LBB1219_276
	.p2align	6
.LBB1219_274:                           ;   in Loop: Header=BB1219_276 Depth=1
	global_load_u16 v39, v[35:36], off
	global_load_u16 v40, v[37:38], off
	v_add_co_u32 v35, vcc_lo, v35, 2
	v_add_co_ci_u32_e32 v36, vcc_lo, 0, v36, vcc_lo
	v_add_co_u32 v37, s0, v37, 2
	s_delay_alu instid0(VALU_DEP_1)
	v_add_co_ci_u32_e64 v38, s0, 0, v38, s0
	s_add_u32 s6, s6, 1
	s_addc_u32 s7, s7, 0
	s_and_not1_b32 s0, s38, exec_lo
	s_waitcnt vmcnt(1)
	v_lshlrev_b32_e32 v39, 16, v39
	s_waitcnt vmcnt(0)
	v_lshlrev_b32_e32 v40, 16, v40
	s_delay_alu instid0(VALU_DEP_1) | instskip(SKIP_1) | instid1(SALU_CYCLE_1)
	v_cmp_neq_f32_e32 vcc_lo, v40, v39
	s_and_b32 s38, vcc_lo, exec_lo
	s_or_b32 s38, s0, s38
.LBB1219_275:                           ;   in Loop: Header=BB1219_276 Depth=1
	v_dual_mov_b32 v40, s7 :: v_dual_mov_b32 v39, s6
	s_and_b32 s0, exec_lo, s38
	s_delay_alu instid0(SALU_CYCLE_1) | instskip(NEXT) | instid1(SALU_CYCLE_1)
	s_or_b32 s37, s0, s37
	s_and_not1_b32 exec_lo, exec_lo, s37
	s_cbranch_execz .LBB1219_278
.LBB1219_276:                           ; =>This Inner Loop Header: Depth=1
	s_or_b32 s38, s38, exec_lo
	s_cmp_eq_u64 s[4:5], s[6:7]
	s_cbranch_scc0 .LBB1219_274
; %bb.277:                              ;   in Loop: Header=BB1219_276 Depth=1
	s_mov_b64 s[6:7], s[14:15]
                                        ; implicit-def: $vgpr35_vgpr36
                                        ; implicit-def: $vgpr37_vgpr38
	s_branch .LBB1219_275
.LBB1219_278:
	s_set_inst_prefetch_distance 0x2
	s_or_b32 exec_lo, exec_lo, s37
	v_cmp_gt_i64_e32 vcc_lo, s[14:15], v[39:40]
	s_or_not1_b32 s0, vcc_lo, exec_lo
.LBB1219_279:
	s_or_b32 exec_lo, exec_lo, s36
.LBB1219_280:
	v_cndmask_b32_e64 v36, 0, 1, s35
	v_cndmask_b32_e64 v37, 0, 1, s27
	;; [unrolled: 1-line block ×7, first 2 shown]
	v_lshlrev_b16 v37, 8, v37
	v_lshlrev_b16 v38, 8, v38
	;; [unrolled: 1-line block ×4, first 2 shown]
	s_waitcnt lgkmcnt(0)
	v_or_b32_e32 v37, v40, v37
	v_or_b32_e32 v38, v41, v38
	;; [unrolled: 1-line block ×4, first 2 shown]
	s_barrier
	v_and_b32_e32 v36, 0xffff, v37
	v_lshlrev_b32_e32 v37, 16, v38
	v_and_b32_e32 v38, 0xffff, v39
	v_lshlrev_b32_e32 v35, 16, v35
	buffer_gl0_inv
                                        ; implicit-def: $sgpr0
	v_or_b32_e32 v36, v36, v37
	v_or_b32_e32 v35, v38, v35
	s_and_saveexec_b32 s4, s3
	s_delay_alu instid0(SALU_CYCLE_1)
	s_xor_b32 s24, exec_lo, s4
	s_cbranch_execz .LBB1219_291
; %bb.281:
	s_and_not1_b32 vcc_lo, exec_lo, s13
	s_mov_b32 s0, 0
	s_cbranch_vccnz .LBB1219_290
; %bb.282:
	v_add_nc_u32_e32 v37, -8, v55
	v_lshlrev_b64 v[33:34], 1, v[33:34]
	s_mov_b32 s0, -1
	s_mov_b32 s25, exec_lo
	ds_load_b64 v[37:38], v37
	s_waitcnt lgkmcnt(0)
	v_mul_lo_u32 v40, v38, s14
	v_mul_lo_u32 v41, v37, s15
	v_mad_u64_u32 v[38:39], null, v37, s14, 0
	s_delay_alu instid0(VALU_DEP_1) | instskip(NEXT) | instid1(VALU_DEP_1)
	v_add3_u32 v39, v39, v41, v40
	v_lshlrev_b64 v[37:38], 1, v[38:39]
	s_delay_alu instid0(VALU_DEP_1) | instskip(NEXT) | instid1(VALU_DEP_2)
	v_add_co_u32 v37, vcc_lo, s20, v37
	v_add_co_ci_u32_e32 v38, vcc_lo, s21, v38, vcc_lo
	v_add_co_u32 v33, vcc_lo, s20, v33
	v_add_co_ci_u32_e32 v34, vcc_lo, s21, v34, vcc_lo
	s_clause 0x1
	global_load_u16 v39, v[37:38], off
	global_load_u16 v40, v[33:34], off
	s_waitcnt vmcnt(1)
	v_lshlrev_b32_e32 v39, 16, v39
	s_waitcnt vmcnt(0)
	v_lshlrev_b32_e32 v40, 16, v40
	s_delay_alu instid0(VALU_DEP_1)
	v_cmpx_eq_f32_e32 v39, v40
	s_cbranch_execz .LBB1219_289
; %bb.283:
	v_add_co_u32 v33, vcc_lo, v33, 2
	v_add_co_ci_u32_e32 v34, vcc_lo, 0, v34, vcc_lo
	v_add_co_u32 v37, vcc_lo, v37, 2
	v_add_co_ci_u32_e32 v38, vcc_lo, 0, v38, vcc_lo
	s_add_u32 s4, s14, -1
	s_addc_u32 s5, s15, -1
	s_mov_b64 s[6:7], 0
	s_mov_b32 s26, 0
                                        ; implicit-def: $sgpr27
	s_set_inst_prefetch_distance 0x1
	s_branch .LBB1219_286
	.p2align	6
.LBB1219_284:                           ;   in Loop: Header=BB1219_286 Depth=1
	global_load_u16 v39, v[33:34], off
	global_load_u16 v40, v[37:38], off
	v_add_co_u32 v33, vcc_lo, v33, 2
	v_add_co_ci_u32_e32 v34, vcc_lo, 0, v34, vcc_lo
	v_add_co_u32 v37, s0, v37, 2
	s_delay_alu instid0(VALU_DEP_1)
	v_add_co_ci_u32_e64 v38, s0, 0, v38, s0
	s_add_u32 s6, s6, 1
	s_addc_u32 s7, s7, 0
	s_and_not1_b32 s0, s27, exec_lo
	s_waitcnt vmcnt(1)
	v_lshlrev_b32_e32 v39, 16, v39
	s_waitcnt vmcnt(0)
	v_lshlrev_b32_e32 v40, 16, v40
	s_delay_alu instid0(VALU_DEP_1) | instskip(SKIP_1) | instid1(SALU_CYCLE_1)
	v_cmp_neq_f32_e32 vcc_lo, v40, v39
	s_and_b32 s27, vcc_lo, exec_lo
	s_or_b32 s27, s0, s27
.LBB1219_285:                           ;   in Loop: Header=BB1219_286 Depth=1
	v_dual_mov_b32 v40, s7 :: v_dual_mov_b32 v39, s6
	s_and_b32 s0, exec_lo, s27
	s_delay_alu instid0(SALU_CYCLE_1) | instskip(NEXT) | instid1(SALU_CYCLE_1)
	s_or_b32 s26, s0, s26
	s_and_not1_b32 exec_lo, exec_lo, s26
	s_cbranch_execz .LBB1219_288
.LBB1219_286:                           ; =>This Inner Loop Header: Depth=1
	s_or_b32 s27, s27, exec_lo
	s_cmp_eq_u64 s[4:5], s[6:7]
	s_cbranch_scc0 .LBB1219_284
; %bb.287:                              ;   in Loop: Header=BB1219_286 Depth=1
	s_mov_b64 s[6:7], s[14:15]
                                        ; implicit-def: $vgpr33_vgpr34
                                        ; implicit-def: $vgpr37_vgpr38
	s_branch .LBB1219_285
.LBB1219_288:
	s_set_inst_prefetch_distance 0x2
	s_or_b32 exec_lo, exec_lo, s26
	v_cmp_gt_i64_e32 vcc_lo, s[14:15], v[39:40]
	s_or_not1_b32 s0, vcc_lo, exec_lo
.LBB1219_289:
	s_or_b32 exec_lo, exec_lo, s25
.LBB1219_290:
	s_delay_alu instid0(SALU_CYCLE_1)
	s_and_b32 s0, s0, exec_lo
	s_or_b32 s1, s1, exec_lo
.LBB1219_291:
	s_or_b32 exec_lo, exec_lo, s24
	s_branch .LBB1219_383
.LBB1219_292:
	s_waitcnt vmcnt(0) lgkmcnt(1)
	v_or_b32_e32 v33, 7, v55
	s_mov_b32 s24, 0
	s_mov_b32 s25, 0
	s_mov_b32 s26, exec_lo
	s_delay_alu instid0(VALU_DEP_1)
	v_cmpx_gt_u32_e64 s31, v33
	s_cbranch_execz .LBB1219_303
; %bb.293:
	s_and_not1_b32 vcc_lo, exec_lo, s13
	s_mov_b32 s0, 0
	s_cbranch_vccnz .LBB1219_302
; %bb.294:
	v_mul_lo_u32 v37, v20, s14
	v_mul_lo_u32 v38, v19, s15
	v_mad_u64_u32 v[33:34], null, v19, s14, 0
	v_mul_lo_u32 v39, v18, s14
	v_mul_lo_u32 v40, v17, s15
	v_mad_u64_u32 v[35:36], null, v17, s14, 0
	s_mov_b32 s0, -1
	s_mov_b32 s25, exec_lo
	s_delay_alu instid0(VALU_DEP_4) | instskip(NEXT) | instid1(VALU_DEP_2)
	v_add3_u32 v34, v34, v38, v37
	v_add3_u32 v36, v36, v40, v39
	s_delay_alu instid0(VALU_DEP_2) | instskip(NEXT) | instid1(VALU_DEP_2)
	v_lshlrev_b64 v[33:34], 1, v[33:34]
	v_lshlrev_b64 v[35:36], 1, v[35:36]
	s_delay_alu instid0(VALU_DEP_2) | instskip(NEXT) | instid1(VALU_DEP_3)
	v_add_co_u32 v33, vcc_lo, s20, v33
	v_add_co_ci_u32_e32 v34, vcc_lo, s21, v34, vcc_lo
	s_delay_alu instid0(VALU_DEP_3) | instskip(NEXT) | instid1(VALU_DEP_4)
	v_add_co_u32 v35, vcc_lo, s20, v35
	v_add_co_ci_u32_e32 v36, vcc_lo, s21, v36, vcc_lo
	s_clause 0x1
	global_load_u16 v37, v[33:34], off
	global_load_u16 v38, v[35:36], off
	s_waitcnt vmcnt(1)
	v_lshlrev_b32_e32 v37, 16, v37
	s_waitcnt vmcnt(0)
	v_lshlrev_b32_e32 v38, 16, v38
	s_delay_alu instid0(VALU_DEP_1)
	v_cmpx_eq_f32_e32 v38, v37
	s_cbranch_execz .LBB1219_301
; %bb.295:
	v_add_co_u32 v33, vcc_lo, v33, 2
	v_add_co_ci_u32_e32 v34, vcc_lo, 0, v34, vcc_lo
	v_add_co_u32 v35, vcc_lo, v35, 2
	v_add_co_ci_u32_e32 v36, vcc_lo, 0, v36, vcc_lo
	s_add_u32 s4, s14, -1
	s_addc_u32 s5, s15, -1
	s_mov_b64 s[6:7], 0
	s_mov_b32 s27, 0
                                        ; implicit-def: $sgpr34
	s_set_inst_prefetch_distance 0x1
	s_branch .LBB1219_298
	.p2align	6
.LBB1219_296:                           ;   in Loop: Header=BB1219_298 Depth=1
	global_load_u16 v37, v[33:34], off
	global_load_u16 v38, v[35:36], off
	v_add_co_u32 v33, vcc_lo, v33, 2
	v_add_co_ci_u32_e32 v34, vcc_lo, 0, v34, vcc_lo
	v_add_co_u32 v35, s0, v35, 2
	s_delay_alu instid0(VALU_DEP_1)
	v_add_co_ci_u32_e64 v36, s0, 0, v36, s0
	s_add_u32 s6, s6, 1
	s_addc_u32 s7, s7, 0
	s_and_not1_b32 s0, s34, exec_lo
	s_waitcnt vmcnt(1)
	v_lshlrev_b32_e32 v37, 16, v37
	s_waitcnt vmcnt(0)
	v_lshlrev_b32_e32 v38, 16, v38
	s_delay_alu instid0(VALU_DEP_1) | instskip(SKIP_1) | instid1(SALU_CYCLE_1)
	v_cmp_neq_f32_e32 vcc_lo, v38, v37
	s_and_b32 s34, vcc_lo, exec_lo
	s_or_b32 s34, s0, s34
.LBB1219_297:                           ;   in Loop: Header=BB1219_298 Depth=1
	v_dual_mov_b32 v38, s7 :: v_dual_mov_b32 v37, s6
	s_and_b32 s0, exec_lo, s34
	s_delay_alu instid0(SALU_CYCLE_1) | instskip(NEXT) | instid1(SALU_CYCLE_1)
	s_or_b32 s27, s0, s27
	s_and_not1_b32 exec_lo, exec_lo, s27
	s_cbranch_execz .LBB1219_300
.LBB1219_298:                           ; =>This Inner Loop Header: Depth=1
	s_or_b32 s34, s34, exec_lo
	s_cmp_eq_u64 s[4:5], s[6:7]
	s_cbranch_scc0 .LBB1219_296
; %bb.299:                              ;   in Loop: Header=BB1219_298 Depth=1
	s_mov_b64 s[6:7], s[14:15]
                                        ; implicit-def: $vgpr33_vgpr34
                                        ; implicit-def: $vgpr35_vgpr36
	s_branch .LBB1219_297
.LBB1219_300:
	s_set_inst_prefetch_distance 0x2
	s_or_b32 exec_lo, exec_lo, s27
	v_cmp_gt_i64_e32 vcc_lo, s[14:15], v[37:38]
	s_or_not1_b32 s0, vcc_lo, exec_lo
.LBB1219_301:
	s_or_b32 exec_lo, exec_lo, s25
.LBB1219_302:
	s_delay_alu instid0(SALU_CYCLE_1)
	s_and_b32 s25, s0, exec_lo
.LBB1219_303:
	s_or_b32 exec_lo, exec_lo, s26
	v_or_b32_e32 v33, 6, v55
	s_mov_b32 s26, exec_lo
	s_delay_alu instid0(VALU_DEP_1)
	v_cmpx_gt_u32_e64 s31, v33
	s_cbranch_execz .LBB1219_314
; %bb.304:
	s_and_not1_b32 vcc_lo, exec_lo, s13
	s_mov_b32 s0, 0
	s_cbranch_vccnz .LBB1219_313
; %bb.305:
	v_mul_lo_u32 v37, v18, s14
	v_mul_lo_u32 v38, v17, s15
	v_mad_u64_u32 v[33:34], null, v17, s14, 0
	v_mul_lo_u32 v39, v24, s14
	v_mul_lo_u32 v40, v23, s15
	v_mad_u64_u32 v[35:36], null, v23, s14, 0
	s_mov_b32 s0, -1
	s_mov_b32 s24, exec_lo
	s_delay_alu instid0(VALU_DEP_4) | instskip(NEXT) | instid1(VALU_DEP_2)
	v_add3_u32 v34, v34, v38, v37
	v_add3_u32 v36, v36, v40, v39
	s_delay_alu instid0(VALU_DEP_2) | instskip(NEXT) | instid1(VALU_DEP_2)
	v_lshlrev_b64 v[33:34], 1, v[33:34]
	v_lshlrev_b64 v[35:36], 1, v[35:36]
	s_delay_alu instid0(VALU_DEP_2) | instskip(NEXT) | instid1(VALU_DEP_3)
	v_add_co_u32 v33, vcc_lo, s20, v33
	v_add_co_ci_u32_e32 v34, vcc_lo, s21, v34, vcc_lo
	s_delay_alu instid0(VALU_DEP_3) | instskip(NEXT) | instid1(VALU_DEP_4)
	v_add_co_u32 v35, vcc_lo, s20, v35
	v_add_co_ci_u32_e32 v36, vcc_lo, s21, v36, vcc_lo
	s_clause 0x1
	global_load_u16 v37, v[33:34], off
	global_load_u16 v38, v[35:36], off
	s_waitcnt vmcnt(1)
	v_lshlrev_b32_e32 v37, 16, v37
	s_waitcnt vmcnt(0)
	v_lshlrev_b32_e32 v38, 16, v38
	s_delay_alu instid0(VALU_DEP_1)
	v_cmpx_eq_f32_e32 v38, v37
	s_cbranch_execz .LBB1219_312
; %bb.306:
	v_add_co_u32 v33, vcc_lo, v33, 2
	v_add_co_ci_u32_e32 v34, vcc_lo, 0, v34, vcc_lo
	v_add_co_u32 v35, vcc_lo, v35, 2
	v_add_co_ci_u32_e32 v36, vcc_lo, 0, v36, vcc_lo
	s_add_u32 s4, s14, -1
	s_addc_u32 s5, s15, -1
	s_mov_b64 s[6:7], 0
	s_mov_b32 s27, 0
                                        ; implicit-def: $sgpr34
	s_set_inst_prefetch_distance 0x1
	s_branch .LBB1219_309
	.p2align	6
.LBB1219_307:                           ;   in Loop: Header=BB1219_309 Depth=1
	global_load_u16 v37, v[33:34], off
	global_load_u16 v38, v[35:36], off
	v_add_co_u32 v33, vcc_lo, v33, 2
	v_add_co_ci_u32_e32 v34, vcc_lo, 0, v34, vcc_lo
	v_add_co_u32 v35, s0, v35, 2
	s_delay_alu instid0(VALU_DEP_1)
	v_add_co_ci_u32_e64 v36, s0, 0, v36, s0
	s_add_u32 s6, s6, 1
	s_addc_u32 s7, s7, 0
	s_and_not1_b32 s0, s34, exec_lo
	s_waitcnt vmcnt(1)
	v_lshlrev_b32_e32 v37, 16, v37
	s_waitcnt vmcnt(0)
	v_lshlrev_b32_e32 v38, 16, v38
	s_delay_alu instid0(VALU_DEP_1) | instskip(SKIP_1) | instid1(SALU_CYCLE_1)
	v_cmp_neq_f32_e32 vcc_lo, v38, v37
	s_and_b32 s34, vcc_lo, exec_lo
	s_or_b32 s34, s0, s34
.LBB1219_308:                           ;   in Loop: Header=BB1219_309 Depth=1
	v_dual_mov_b32 v38, s7 :: v_dual_mov_b32 v37, s6
	s_and_b32 s0, exec_lo, s34
	s_delay_alu instid0(SALU_CYCLE_1) | instskip(NEXT) | instid1(SALU_CYCLE_1)
	s_or_b32 s27, s0, s27
	s_and_not1_b32 exec_lo, exec_lo, s27
	s_cbranch_execz .LBB1219_311
.LBB1219_309:                           ; =>This Inner Loop Header: Depth=1
	s_or_b32 s34, s34, exec_lo
	s_cmp_eq_u64 s[4:5], s[6:7]
	s_cbranch_scc0 .LBB1219_307
; %bb.310:                              ;   in Loop: Header=BB1219_309 Depth=1
	s_mov_b64 s[6:7], s[14:15]
                                        ; implicit-def: $vgpr33_vgpr34
                                        ; implicit-def: $vgpr35_vgpr36
	s_branch .LBB1219_308
.LBB1219_311:
	s_set_inst_prefetch_distance 0x2
	s_or_b32 exec_lo, exec_lo, s27
	v_cmp_gt_i64_e32 vcc_lo, s[14:15], v[37:38]
	s_or_not1_b32 s0, vcc_lo, exec_lo
.LBB1219_312:
	s_or_b32 exec_lo, exec_lo, s24
.LBB1219_313:
	s_delay_alu instid0(SALU_CYCLE_1)
	s_and_b32 s24, s0, exec_lo
.LBB1219_314:
	s_or_b32 exec_lo, exec_lo, s26
	v_or_b32_e32 v33, 5, v55
	s_mov_b32 s26, 0
	s_mov_b32 s27, 0
	s_mov_b32 s34, exec_lo
	s_delay_alu instid0(VALU_DEP_1)
	v_cmpx_gt_u32_e64 s31, v33
	s_cbranch_execz .LBB1219_325
; %bb.315:
	s_and_not1_b32 vcc_lo, exec_lo, s13
	s_mov_b32 s0, 0
	s_cbranch_vccnz .LBB1219_324
; %bb.316:
	v_mul_lo_u32 v37, v24, s14
	v_mul_lo_u32 v38, v23, s15
	v_mad_u64_u32 v[33:34], null, v23, s14, 0
	v_mul_lo_u32 v39, v22, s14
	v_mul_lo_u32 v40, v21, s15
	v_mad_u64_u32 v[35:36], null, v21, s14, 0
	s_mov_b32 s0, -1
	s_mov_b32 s27, exec_lo
	s_delay_alu instid0(VALU_DEP_4) | instskip(NEXT) | instid1(VALU_DEP_2)
	v_add3_u32 v34, v34, v38, v37
	v_add3_u32 v36, v36, v40, v39
	s_delay_alu instid0(VALU_DEP_2) | instskip(NEXT) | instid1(VALU_DEP_2)
	v_lshlrev_b64 v[33:34], 1, v[33:34]
	v_lshlrev_b64 v[35:36], 1, v[35:36]
	s_delay_alu instid0(VALU_DEP_2) | instskip(NEXT) | instid1(VALU_DEP_3)
	v_add_co_u32 v33, vcc_lo, s20, v33
	v_add_co_ci_u32_e32 v34, vcc_lo, s21, v34, vcc_lo
	s_delay_alu instid0(VALU_DEP_3) | instskip(NEXT) | instid1(VALU_DEP_4)
	v_add_co_u32 v35, vcc_lo, s20, v35
	v_add_co_ci_u32_e32 v36, vcc_lo, s21, v36, vcc_lo
	s_clause 0x1
	global_load_u16 v37, v[33:34], off
	global_load_u16 v38, v[35:36], off
	s_waitcnt vmcnt(1)
	v_lshlrev_b32_e32 v37, 16, v37
	s_waitcnt vmcnt(0)
	v_lshlrev_b32_e32 v38, 16, v38
	s_delay_alu instid0(VALU_DEP_1)
	v_cmpx_eq_f32_e32 v38, v37
	s_cbranch_execz .LBB1219_323
; %bb.317:
	v_add_co_u32 v33, vcc_lo, v33, 2
	v_add_co_ci_u32_e32 v34, vcc_lo, 0, v34, vcc_lo
	v_add_co_u32 v35, vcc_lo, v35, 2
	v_add_co_ci_u32_e32 v36, vcc_lo, 0, v36, vcc_lo
	s_add_u32 s4, s14, -1
	s_addc_u32 s5, s15, -1
	s_mov_b64 s[6:7], 0
	s_mov_b32 s35, 0
                                        ; implicit-def: $sgpr36
	s_set_inst_prefetch_distance 0x1
	s_branch .LBB1219_320
	.p2align	6
.LBB1219_318:                           ;   in Loop: Header=BB1219_320 Depth=1
	global_load_u16 v37, v[33:34], off
	global_load_u16 v38, v[35:36], off
	v_add_co_u32 v33, vcc_lo, v33, 2
	v_add_co_ci_u32_e32 v34, vcc_lo, 0, v34, vcc_lo
	v_add_co_u32 v35, s0, v35, 2
	s_delay_alu instid0(VALU_DEP_1)
	v_add_co_ci_u32_e64 v36, s0, 0, v36, s0
	s_add_u32 s6, s6, 1
	s_addc_u32 s7, s7, 0
	s_and_not1_b32 s0, s36, exec_lo
	s_waitcnt vmcnt(1)
	v_lshlrev_b32_e32 v37, 16, v37
	s_waitcnt vmcnt(0)
	v_lshlrev_b32_e32 v38, 16, v38
	s_delay_alu instid0(VALU_DEP_1) | instskip(SKIP_1) | instid1(SALU_CYCLE_1)
	v_cmp_neq_f32_e32 vcc_lo, v38, v37
	s_and_b32 s36, vcc_lo, exec_lo
	s_or_b32 s36, s0, s36
.LBB1219_319:                           ;   in Loop: Header=BB1219_320 Depth=1
	v_dual_mov_b32 v38, s7 :: v_dual_mov_b32 v37, s6
	s_and_b32 s0, exec_lo, s36
	s_delay_alu instid0(SALU_CYCLE_1) | instskip(NEXT) | instid1(SALU_CYCLE_1)
	s_or_b32 s35, s0, s35
	s_and_not1_b32 exec_lo, exec_lo, s35
	s_cbranch_execz .LBB1219_322
.LBB1219_320:                           ; =>This Inner Loop Header: Depth=1
	s_or_b32 s36, s36, exec_lo
	s_cmp_eq_u64 s[4:5], s[6:7]
	s_cbranch_scc0 .LBB1219_318
; %bb.321:                              ;   in Loop: Header=BB1219_320 Depth=1
	s_mov_b64 s[6:7], s[14:15]
                                        ; implicit-def: $vgpr33_vgpr34
                                        ; implicit-def: $vgpr35_vgpr36
	s_branch .LBB1219_319
.LBB1219_322:
	s_set_inst_prefetch_distance 0x2
	s_or_b32 exec_lo, exec_lo, s35
	v_cmp_gt_i64_e32 vcc_lo, s[14:15], v[37:38]
	s_or_not1_b32 s0, vcc_lo, exec_lo
.LBB1219_323:
	s_or_b32 exec_lo, exec_lo, s27
.LBB1219_324:
	s_delay_alu instid0(SALU_CYCLE_1)
	s_and_b32 s27, s0, exec_lo
.LBB1219_325:
	s_or_b32 exec_lo, exec_lo, s34
	v_or_b32_e32 v33, 4, v55
	s_mov_b32 s34, exec_lo
	s_delay_alu instid0(VALU_DEP_1)
	v_cmpx_gt_u32_e64 s31, v33
	s_cbranch_execz .LBB1219_336
; %bb.326:
	s_and_not1_b32 vcc_lo, exec_lo, s13
	s_mov_b32 s0, 0
	s_cbranch_vccnz .LBB1219_335
; %bb.327:
	v_mul_lo_u32 v37, v22, s14
	v_mul_lo_u32 v38, v21, s15
	v_mad_u64_u32 v[33:34], null, v21, s14, 0
	v_mul_lo_u32 v39, v28, s14
	v_mul_lo_u32 v40, v27, s15
	v_mad_u64_u32 v[35:36], null, v27, s14, 0
	s_mov_b32 s0, -1
	s_mov_b32 s26, exec_lo
	s_delay_alu instid0(VALU_DEP_4) | instskip(NEXT) | instid1(VALU_DEP_2)
	v_add3_u32 v34, v34, v38, v37
	v_add3_u32 v36, v36, v40, v39
	s_delay_alu instid0(VALU_DEP_2) | instskip(NEXT) | instid1(VALU_DEP_2)
	v_lshlrev_b64 v[33:34], 1, v[33:34]
	v_lshlrev_b64 v[35:36], 1, v[35:36]
	s_delay_alu instid0(VALU_DEP_2) | instskip(NEXT) | instid1(VALU_DEP_3)
	v_add_co_u32 v33, vcc_lo, s20, v33
	v_add_co_ci_u32_e32 v34, vcc_lo, s21, v34, vcc_lo
	s_delay_alu instid0(VALU_DEP_3) | instskip(NEXT) | instid1(VALU_DEP_4)
	v_add_co_u32 v35, vcc_lo, s20, v35
	v_add_co_ci_u32_e32 v36, vcc_lo, s21, v36, vcc_lo
	s_clause 0x1
	global_load_u16 v37, v[33:34], off
	global_load_u16 v38, v[35:36], off
	s_waitcnt vmcnt(1)
	v_lshlrev_b32_e32 v37, 16, v37
	s_waitcnt vmcnt(0)
	v_lshlrev_b32_e32 v38, 16, v38
	s_delay_alu instid0(VALU_DEP_1)
	v_cmpx_eq_f32_e32 v38, v37
	s_cbranch_execz .LBB1219_334
; %bb.328:
	v_add_co_u32 v33, vcc_lo, v33, 2
	v_add_co_ci_u32_e32 v34, vcc_lo, 0, v34, vcc_lo
	v_add_co_u32 v35, vcc_lo, v35, 2
	v_add_co_ci_u32_e32 v36, vcc_lo, 0, v36, vcc_lo
	s_add_u32 s4, s14, -1
	s_addc_u32 s5, s15, -1
	s_mov_b64 s[6:7], 0
	s_mov_b32 s35, 0
                                        ; implicit-def: $sgpr36
	s_set_inst_prefetch_distance 0x1
	s_branch .LBB1219_331
	.p2align	6
.LBB1219_329:                           ;   in Loop: Header=BB1219_331 Depth=1
	global_load_u16 v37, v[33:34], off
	global_load_u16 v38, v[35:36], off
	v_add_co_u32 v33, vcc_lo, v33, 2
	v_add_co_ci_u32_e32 v34, vcc_lo, 0, v34, vcc_lo
	v_add_co_u32 v35, s0, v35, 2
	s_delay_alu instid0(VALU_DEP_1)
	v_add_co_ci_u32_e64 v36, s0, 0, v36, s0
	s_add_u32 s6, s6, 1
	s_addc_u32 s7, s7, 0
	s_and_not1_b32 s0, s36, exec_lo
	s_waitcnt vmcnt(1)
	v_lshlrev_b32_e32 v37, 16, v37
	s_waitcnt vmcnt(0)
	v_lshlrev_b32_e32 v38, 16, v38
	s_delay_alu instid0(VALU_DEP_1) | instskip(SKIP_1) | instid1(SALU_CYCLE_1)
	v_cmp_neq_f32_e32 vcc_lo, v38, v37
	s_and_b32 s36, vcc_lo, exec_lo
	s_or_b32 s36, s0, s36
.LBB1219_330:                           ;   in Loop: Header=BB1219_331 Depth=1
	v_dual_mov_b32 v38, s7 :: v_dual_mov_b32 v37, s6
	s_and_b32 s0, exec_lo, s36
	s_delay_alu instid0(SALU_CYCLE_1) | instskip(NEXT) | instid1(SALU_CYCLE_1)
	s_or_b32 s35, s0, s35
	s_and_not1_b32 exec_lo, exec_lo, s35
	s_cbranch_execz .LBB1219_333
.LBB1219_331:                           ; =>This Inner Loop Header: Depth=1
	s_or_b32 s36, s36, exec_lo
	s_cmp_eq_u64 s[4:5], s[6:7]
	s_cbranch_scc0 .LBB1219_329
; %bb.332:                              ;   in Loop: Header=BB1219_331 Depth=1
	s_mov_b64 s[6:7], s[14:15]
                                        ; implicit-def: $vgpr33_vgpr34
                                        ; implicit-def: $vgpr35_vgpr36
	s_branch .LBB1219_330
.LBB1219_333:
	s_set_inst_prefetch_distance 0x2
	s_or_b32 exec_lo, exec_lo, s35
	v_cmp_gt_i64_e32 vcc_lo, s[14:15], v[37:38]
	s_or_not1_b32 s0, vcc_lo, exec_lo
.LBB1219_334:
	s_or_b32 exec_lo, exec_lo, s26
.LBB1219_335:
	s_delay_alu instid0(SALU_CYCLE_1)
	s_and_b32 s26, s0, exec_lo
.LBB1219_336:
	s_or_b32 exec_lo, exec_lo, s34
	v_or_b32_e32 v33, 3, v55
	s_mov_b32 s35, 0
	s_mov_b32 s34, 0
	s_mov_b32 s36, exec_lo
	s_delay_alu instid0(VALU_DEP_1)
	v_cmpx_gt_u32_e64 s31, v33
	s_cbranch_execz .LBB1219_347
; %bb.337:
	s_and_not1_b32 vcc_lo, exec_lo, s13
	s_mov_b32 s0, 0
	s_cbranch_vccnz .LBB1219_346
; %bb.338:
	v_mul_lo_u32 v37, v28, s14
	v_mul_lo_u32 v38, v27, s15
	v_mad_u64_u32 v[33:34], null, v27, s14, 0
	v_mul_lo_u32 v39, v26, s14
	v_mul_lo_u32 v40, v25, s15
	v_mad_u64_u32 v[35:36], null, v25, s14, 0
	s_mov_b32 s0, -1
	s_mov_b32 s34, exec_lo
	s_delay_alu instid0(VALU_DEP_4) | instskip(NEXT) | instid1(VALU_DEP_2)
	v_add3_u32 v34, v34, v38, v37
	v_add3_u32 v36, v36, v40, v39
	s_delay_alu instid0(VALU_DEP_2) | instskip(NEXT) | instid1(VALU_DEP_2)
	v_lshlrev_b64 v[33:34], 1, v[33:34]
	v_lshlrev_b64 v[35:36], 1, v[35:36]
	s_delay_alu instid0(VALU_DEP_2) | instskip(NEXT) | instid1(VALU_DEP_3)
	v_add_co_u32 v33, vcc_lo, s20, v33
	v_add_co_ci_u32_e32 v34, vcc_lo, s21, v34, vcc_lo
	s_delay_alu instid0(VALU_DEP_3) | instskip(NEXT) | instid1(VALU_DEP_4)
	v_add_co_u32 v35, vcc_lo, s20, v35
	v_add_co_ci_u32_e32 v36, vcc_lo, s21, v36, vcc_lo
	s_clause 0x1
	global_load_u16 v37, v[33:34], off
	global_load_u16 v38, v[35:36], off
	s_waitcnt vmcnt(1)
	v_lshlrev_b32_e32 v37, 16, v37
	s_waitcnt vmcnt(0)
	v_lshlrev_b32_e32 v38, 16, v38
	s_delay_alu instid0(VALU_DEP_1)
	v_cmpx_eq_f32_e32 v38, v37
	s_cbranch_execz .LBB1219_345
; %bb.339:
	v_add_co_u32 v33, vcc_lo, v33, 2
	v_add_co_ci_u32_e32 v34, vcc_lo, 0, v34, vcc_lo
	v_add_co_u32 v35, vcc_lo, v35, 2
	v_add_co_ci_u32_e32 v36, vcc_lo, 0, v36, vcc_lo
	s_add_u32 s4, s14, -1
	s_addc_u32 s5, s15, -1
	s_mov_b64 s[6:7], 0
	s_mov_b32 s37, 0
                                        ; implicit-def: $sgpr38
	s_set_inst_prefetch_distance 0x1
	s_branch .LBB1219_342
	.p2align	6
.LBB1219_340:                           ;   in Loop: Header=BB1219_342 Depth=1
	global_load_u16 v37, v[33:34], off
	global_load_u16 v38, v[35:36], off
	v_add_co_u32 v33, vcc_lo, v33, 2
	v_add_co_ci_u32_e32 v34, vcc_lo, 0, v34, vcc_lo
	v_add_co_u32 v35, s0, v35, 2
	s_delay_alu instid0(VALU_DEP_1)
	v_add_co_ci_u32_e64 v36, s0, 0, v36, s0
	s_add_u32 s6, s6, 1
	s_addc_u32 s7, s7, 0
	s_and_not1_b32 s0, s38, exec_lo
	s_waitcnt vmcnt(1)
	v_lshlrev_b32_e32 v37, 16, v37
	s_waitcnt vmcnt(0)
	v_lshlrev_b32_e32 v38, 16, v38
	s_delay_alu instid0(VALU_DEP_1) | instskip(SKIP_1) | instid1(SALU_CYCLE_1)
	v_cmp_neq_f32_e32 vcc_lo, v38, v37
	s_and_b32 s38, vcc_lo, exec_lo
	s_or_b32 s38, s0, s38
.LBB1219_341:                           ;   in Loop: Header=BB1219_342 Depth=1
	v_dual_mov_b32 v38, s7 :: v_dual_mov_b32 v37, s6
	s_and_b32 s0, exec_lo, s38
	s_delay_alu instid0(SALU_CYCLE_1) | instskip(NEXT) | instid1(SALU_CYCLE_1)
	s_or_b32 s37, s0, s37
	s_and_not1_b32 exec_lo, exec_lo, s37
	s_cbranch_execz .LBB1219_344
.LBB1219_342:                           ; =>This Inner Loop Header: Depth=1
	s_or_b32 s38, s38, exec_lo
	s_cmp_eq_u64 s[4:5], s[6:7]
	s_cbranch_scc0 .LBB1219_340
; %bb.343:                              ;   in Loop: Header=BB1219_342 Depth=1
	s_mov_b64 s[6:7], s[14:15]
                                        ; implicit-def: $vgpr33_vgpr34
                                        ; implicit-def: $vgpr35_vgpr36
	s_branch .LBB1219_341
.LBB1219_344:
	s_set_inst_prefetch_distance 0x2
	s_or_b32 exec_lo, exec_lo, s37
	v_cmp_gt_i64_e32 vcc_lo, s[14:15], v[37:38]
	s_or_not1_b32 s0, vcc_lo, exec_lo
.LBB1219_345:
	s_or_b32 exec_lo, exec_lo, s34
.LBB1219_346:
	s_delay_alu instid0(SALU_CYCLE_1)
	s_and_b32 s34, s0, exec_lo
.LBB1219_347:
	s_or_b32 exec_lo, exec_lo, s36
	v_or_b32_e32 v33, 2, v55
	s_mov_b32 s36, exec_lo
	s_delay_alu instid0(VALU_DEP_1)
	v_cmpx_gt_u32_e64 s31, v33
	s_cbranch_execz .LBB1219_358
; %bb.348:
	s_and_not1_b32 vcc_lo, exec_lo, s13
	s_mov_b32 s0, 0
	s_cbranch_vccnz .LBB1219_357
; %bb.349:
	v_mul_lo_u32 v37, v26, s14
	v_mul_lo_u32 v38, v25, s15
	v_mad_u64_u32 v[33:34], null, v25, s14, 0
	v_mul_lo_u32 v39, v32, s14
	v_mul_lo_u32 v40, v31, s15
	v_mad_u64_u32 v[35:36], null, v31, s14, 0
	s_mov_b32 s0, -1
	s_mov_b32 s35, exec_lo
	s_delay_alu instid0(VALU_DEP_4) | instskip(NEXT) | instid1(VALU_DEP_2)
	v_add3_u32 v34, v34, v38, v37
	v_add3_u32 v36, v36, v40, v39
	s_delay_alu instid0(VALU_DEP_2) | instskip(NEXT) | instid1(VALU_DEP_2)
	v_lshlrev_b64 v[33:34], 1, v[33:34]
	v_lshlrev_b64 v[35:36], 1, v[35:36]
	s_delay_alu instid0(VALU_DEP_2) | instskip(NEXT) | instid1(VALU_DEP_3)
	v_add_co_u32 v33, vcc_lo, s20, v33
	v_add_co_ci_u32_e32 v34, vcc_lo, s21, v34, vcc_lo
	s_delay_alu instid0(VALU_DEP_3) | instskip(NEXT) | instid1(VALU_DEP_4)
	v_add_co_u32 v35, vcc_lo, s20, v35
	v_add_co_ci_u32_e32 v36, vcc_lo, s21, v36, vcc_lo
	s_clause 0x1
	global_load_u16 v37, v[33:34], off
	global_load_u16 v38, v[35:36], off
	s_waitcnt vmcnt(1)
	v_lshlrev_b32_e32 v37, 16, v37
	s_waitcnt vmcnt(0)
	v_lshlrev_b32_e32 v38, 16, v38
	s_delay_alu instid0(VALU_DEP_1)
	v_cmpx_eq_f32_e32 v38, v37
	s_cbranch_execz .LBB1219_356
; %bb.350:
	v_add_co_u32 v33, vcc_lo, v33, 2
	v_add_co_ci_u32_e32 v34, vcc_lo, 0, v34, vcc_lo
	v_add_co_u32 v35, vcc_lo, v35, 2
	v_add_co_ci_u32_e32 v36, vcc_lo, 0, v36, vcc_lo
	s_add_u32 s4, s14, -1
	s_addc_u32 s5, s15, -1
	s_mov_b64 s[6:7], 0
	s_mov_b32 s37, 0
                                        ; implicit-def: $sgpr38
	s_set_inst_prefetch_distance 0x1
	s_branch .LBB1219_353
	.p2align	6
.LBB1219_351:                           ;   in Loop: Header=BB1219_353 Depth=1
	global_load_u16 v37, v[33:34], off
	global_load_u16 v38, v[35:36], off
	v_add_co_u32 v33, vcc_lo, v33, 2
	v_add_co_ci_u32_e32 v34, vcc_lo, 0, v34, vcc_lo
	v_add_co_u32 v35, s0, v35, 2
	s_delay_alu instid0(VALU_DEP_1)
	v_add_co_ci_u32_e64 v36, s0, 0, v36, s0
	s_add_u32 s6, s6, 1
	s_addc_u32 s7, s7, 0
	s_and_not1_b32 s0, s38, exec_lo
	s_waitcnt vmcnt(1)
	v_lshlrev_b32_e32 v37, 16, v37
	s_waitcnt vmcnt(0)
	v_lshlrev_b32_e32 v38, 16, v38
	s_delay_alu instid0(VALU_DEP_1) | instskip(SKIP_1) | instid1(SALU_CYCLE_1)
	v_cmp_neq_f32_e32 vcc_lo, v38, v37
	s_and_b32 s38, vcc_lo, exec_lo
	s_or_b32 s38, s0, s38
.LBB1219_352:                           ;   in Loop: Header=BB1219_353 Depth=1
	v_dual_mov_b32 v38, s7 :: v_dual_mov_b32 v37, s6
	s_and_b32 s0, exec_lo, s38
	s_delay_alu instid0(SALU_CYCLE_1) | instskip(NEXT) | instid1(SALU_CYCLE_1)
	s_or_b32 s37, s0, s37
	s_and_not1_b32 exec_lo, exec_lo, s37
	s_cbranch_execz .LBB1219_355
.LBB1219_353:                           ; =>This Inner Loop Header: Depth=1
	s_or_b32 s38, s38, exec_lo
	s_cmp_eq_u64 s[4:5], s[6:7]
	s_cbranch_scc0 .LBB1219_351
; %bb.354:                              ;   in Loop: Header=BB1219_353 Depth=1
	s_mov_b64 s[6:7], s[14:15]
                                        ; implicit-def: $vgpr33_vgpr34
                                        ; implicit-def: $vgpr35_vgpr36
	s_branch .LBB1219_352
.LBB1219_355:
	s_set_inst_prefetch_distance 0x2
	s_or_b32 exec_lo, exec_lo, s37
	v_cmp_gt_i64_e32 vcc_lo, s[14:15], v[37:38]
	s_or_not1_b32 s0, vcc_lo, exec_lo
.LBB1219_356:
	s_or_b32 exec_lo, exec_lo, s35
.LBB1219_357:
	s_delay_alu instid0(SALU_CYCLE_1)
	s_and_b32 s35, s0, exec_lo
.LBB1219_358:
	s_or_b32 exec_lo, exec_lo, s36
	v_or_b32_e32 v33, 1, v55
	s_mov_b32 s0, 0
	s_mov_b32 s36, exec_lo
	s_delay_alu instid0(VALU_DEP_1)
	v_cmpx_gt_u32_e64 s31, v33
	s_cbranch_execz .LBB1219_369
; %bb.359:
	s_and_not1_b32 vcc_lo, exec_lo, s13
	s_cbranch_vccnz .LBB1219_368
; %bb.360:
	v_mul_lo_u32 v37, v32, s14
	v_mul_lo_u32 v38, v31, s15
	v_mad_u64_u32 v[33:34], null, v31, s14, 0
	v_mul_lo_u32 v39, v30, s14
	v_mul_lo_u32 v40, v29, s15
	v_mad_u64_u32 v[35:36], null, v29, s14, 0
	s_mov_b32 s0, -1
	s_mov_b32 s37, exec_lo
	s_delay_alu instid0(VALU_DEP_4) | instskip(NEXT) | instid1(VALU_DEP_2)
	v_add3_u32 v34, v34, v38, v37
	v_add3_u32 v36, v36, v40, v39
	s_delay_alu instid0(VALU_DEP_2) | instskip(NEXT) | instid1(VALU_DEP_2)
	v_lshlrev_b64 v[33:34], 1, v[33:34]
	v_lshlrev_b64 v[35:36], 1, v[35:36]
	s_delay_alu instid0(VALU_DEP_2) | instskip(NEXT) | instid1(VALU_DEP_3)
	v_add_co_u32 v33, vcc_lo, s20, v33
	v_add_co_ci_u32_e32 v34, vcc_lo, s21, v34, vcc_lo
	s_delay_alu instid0(VALU_DEP_3) | instskip(NEXT) | instid1(VALU_DEP_4)
	v_add_co_u32 v35, vcc_lo, s20, v35
	v_add_co_ci_u32_e32 v36, vcc_lo, s21, v36, vcc_lo
	s_clause 0x1
	global_load_u16 v37, v[33:34], off
	global_load_u16 v38, v[35:36], off
	s_waitcnt vmcnt(1)
	v_lshlrev_b32_e32 v37, 16, v37
	s_waitcnt vmcnt(0)
	v_lshlrev_b32_e32 v38, 16, v38
	s_delay_alu instid0(VALU_DEP_1)
	v_cmpx_eq_f32_e32 v38, v37
	s_cbranch_execz .LBB1219_367
; %bb.361:
	v_add_co_u32 v33, vcc_lo, v33, 2
	v_add_co_ci_u32_e32 v34, vcc_lo, 0, v34, vcc_lo
	v_add_co_u32 v35, vcc_lo, v35, 2
	v_add_co_ci_u32_e32 v36, vcc_lo, 0, v36, vcc_lo
	s_add_u32 s4, s14, -1
	s_addc_u32 s5, s15, -1
	s_mov_b64 s[6:7], 0
	s_mov_b32 s38, 0
                                        ; implicit-def: $sgpr39
	s_set_inst_prefetch_distance 0x1
	s_branch .LBB1219_364
	.p2align	6
.LBB1219_362:                           ;   in Loop: Header=BB1219_364 Depth=1
	global_load_u16 v37, v[33:34], off
	global_load_u16 v38, v[35:36], off
	v_add_co_u32 v33, vcc_lo, v33, 2
	v_add_co_ci_u32_e32 v34, vcc_lo, 0, v34, vcc_lo
	v_add_co_u32 v35, s0, v35, 2
	s_delay_alu instid0(VALU_DEP_1)
	v_add_co_ci_u32_e64 v36, s0, 0, v36, s0
	s_add_u32 s6, s6, 1
	s_addc_u32 s7, s7, 0
	s_and_not1_b32 s0, s39, exec_lo
	s_waitcnt vmcnt(1)
	v_lshlrev_b32_e32 v37, 16, v37
	s_waitcnt vmcnt(0)
	v_lshlrev_b32_e32 v38, 16, v38
	s_delay_alu instid0(VALU_DEP_1) | instskip(SKIP_1) | instid1(SALU_CYCLE_1)
	v_cmp_neq_f32_e32 vcc_lo, v38, v37
	s_and_b32 s39, vcc_lo, exec_lo
	s_or_b32 s39, s0, s39
.LBB1219_363:                           ;   in Loop: Header=BB1219_364 Depth=1
	v_dual_mov_b32 v38, s7 :: v_dual_mov_b32 v37, s6
	s_and_b32 s0, exec_lo, s39
	s_delay_alu instid0(SALU_CYCLE_1) | instskip(NEXT) | instid1(SALU_CYCLE_1)
	s_or_b32 s38, s0, s38
	s_and_not1_b32 exec_lo, exec_lo, s38
	s_cbranch_execz .LBB1219_366
.LBB1219_364:                           ; =>This Inner Loop Header: Depth=1
	s_or_b32 s39, s39, exec_lo
	s_cmp_eq_u64 s[4:5], s[6:7]
	s_cbranch_scc0 .LBB1219_362
; %bb.365:                              ;   in Loop: Header=BB1219_364 Depth=1
	s_mov_b64 s[6:7], s[14:15]
                                        ; implicit-def: $vgpr33_vgpr34
                                        ; implicit-def: $vgpr35_vgpr36
	s_branch .LBB1219_363
.LBB1219_366:
	s_set_inst_prefetch_distance 0x2
	s_or_b32 exec_lo, exec_lo, s38
	v_cmp_gt_i64_e32 vcc_lo, s[14:15], v[37:38]
	s_or_not1_b32 s0, vcc_lo, exec_lo
.LBB1219_367:
	s_or_b32 exec_lo, exec_lo, s37
.LBB1219_368:
	s_delay_alu instid0(SALU_CYCLE_1)
	s_and_b32 s0, s0, exec_lo
.LBB1219_369:
	s_or_b32 exec_lo, exec_lo, s36
	v_cndmask_b32_e64 v34, 0, 1, s34
	v_cndmask_b32_e64 v35, 0, 1, s27
	;; [unrolled: 1-line block ×7, first 2 shown]
	v_lshlrev_b16 v35, 8, v35
	v_lshlrev_b16 v36, 8, v36
	;; [unrolled: 1-line block ×4, first 2 shown]
	s_waitcnt lgkmcnt(0)
	v_or_b32_e32 v35, v38, v35
	v_or_b32_e32 v36, v39, v36
	v_or_b32_e32 v37, 1, v37
	v_or_b32_e32 v33, v33, v34
	s_barrier
	v_and_b32_e32 v34, 0xffff, v35
	v_lshlrev_b32_e32 v35, 16, v36
	v_and_b32_e32 v37, 0xffff, v37
	v_lshlrev_b32_e32 v33, 16, v33
	buffer_gl0_inv
                                        ; implicit-def: $sgpr0
	v_or_b32_e32 v36, v34, v35
	v_or_b32_e32 v35, v37, v33
	s_and_saveexec_b32 s24, s3
	s_cbranch_execz .LBB1219_382
; %bb.370:
	s_mov_b32 s0, 0
	s_mov_b32 s3, exec_lo
	v_cmpx_gt_u32_e64 s31, v55
	s_cbranch_execz .LBB1219_381
; %bb.371:
	s_and_not1_b32 vcc_lo, exec_lo, s13
	s_cbranch_vccnz .LBB1219_380
; %bb.372:
	v_add_nc_u32_e32 v33, -8, v55
	v_mul_lo_u32 v41, v30, s14
	v_mul_lo_u32 v42, v29, s15
	v_mad_u64_u32 v[37:38], null, v29, s14, 0
	ds_load_b64 v[33:34], v33
	s_mov_b32 s0, -1
	s_mov_b32 s13, exec_lo
	v_add3_u32 v38, v38, v42, v41
	s_waitcnt lgkmcnt(0)
	v_mul_lo_u32 v34, v34, s14
	v_mul_lo_u32 v43, v33, s15
	v_mad_u64_u32 v[39:40], null, v33, s14, 0
	s_delay_alu instid0(VALU_DEP_1) | instskip(SKIP_1) | instid1(VALU_DEP_2)
	v_add3_u32 v40, v40, v43, v34
	v_lshlrev_b64 v[33:34], 1, v[37:38]
	v_lshlrev_b64 v[37:38], 1, v[39:40]
	s_delay_alu instid0(VALU_DEP_2) | instskip(NEXT) | instid1(VALU_DEP_3)
	v_add_co_u32 v33, vcc_lo, s20, v33
	v_add_co_ci_u32_e32 v34, vcc_lo, s21, v34, vcc_lo
	s_delay_alu instid0(VALU_DEP_3) | instskip(NEXT) | instid1(VALU_DEP_4)
	v_add_co_u32 v37, vcc_lo, s20, v37
	v_add_co_ci_u32_e32 v38, vcc_lo, s21, v38, vcc_lo
	s_clause 0x1
	global_load_u16 v39, v[33:34], off
	global_load_u16 v40, v[37:38], off
	s_waitcnt vmcnt(1)
	v_lshlrev_b32_e32 v39, 16, v39
	s_waitcnt vmcnt(0)
	v_lshlrev_b32_e32 v40, 16, v40
	s_delay_alu instid0(VALU_DEP_1)
	v_cmpx_eq_f32_e32 v40, v39
	s_cbranch_execz .LBB1219_379
; %bb.373:
	v_add_co_u32 v33, vcc_lo, v33, 2
	v_add_co_ci_u32_e32 v34, vcc_lo, 0, v34, vcc_lo
	v_add_co_u32 v37, vcc_lo, v37, 2
	v_add_co_ci_u32_e32 v38, vcc_lo, 0, v38, vcc_lo
	s_add_u32 s4, s14, -1
	s_addc_u32 s5, s15, -1
	s_mov_b64 s[6:7], 0
	s_mov_b32 s20, 0
                                        ; implicit-def: $sgpr21
	s_set_inst_prefetch_distance 0x1
	s_branch .LBB1219_376
	.p2align	6
.LBB1219_374:                           ;   in Loop: Header=BB1219_376 Depth=1
	global_load_u16 v39, v[33:34], off
	global_load_u16 v40, v[37:38], off
	v_add_co_u32 v33, vcc_lo, v33, 2
	v_add_co_ci_u32_e32 v34, vcc_lo, 0, v34, vcc_lo
	v_add_co_u32 v37, s0, v37, 2
	s_delay_alu instid0(VALU_DEP_1)
	v_add_co_ci_u32_e64 v38, s0, 0, v38, s0
	s_add_u32 s6, s6, 1
	s_addc_u32 s7, s7, 0
	s_and_not1_b32 s0, s21, exec_lo
	s_waitcnt vmcnt(1)
	v_lshlrev_b32_e32 v39, 16, v39
	s_waitcnt vmcnt(0)
	v_lshlrev_b32_e32 v40, 16, v40
	s_delay_alu instid0(VALU_DEP_1) | instskip(SKIP_1) | instid1(SALU_CYCLE_1)
	v_cmp_neq_f32_e32 vcc_lo, v40, v39
	s_and_b32 s21, vcc_lo, exec_lo
	s_or_b32 s21, s0, s21
.LBB1219_375:                           ;   in Loop: Header=BB1219_376 Depth=1
	v_dual_mov_b32 v40, s7 :: v_dual_mov_b32 v39, s6
	s_and_b32 s0, exec_lo, s21
	s_delay_alu instid0(SALU_CYCLE_1) | instskip(NEXT) | instid1(SALU_CYCLE_1)
	s_or_b32 s20, s0, s20
	s_and_not1_b32 exec_lo, exec_lo, s20
	s_cbranch_execz .LBB1219_378
.LBB1219_376:                           ; =>This Inner Loop Header: Depth=1
	s_or_b32 s21, s21, exec_lo
	s_cmp_eq_u64 s[4:5], s[6:7]
	s_cbranch_scc0 .LBB1219_374
; %bb.377:                              ;   in Loop: Header=BB1219_376 Depth=1
	s_mov_b64 s[6:7], s[14:15]
                                        ; implicit-def: $vgpr33_vgpr34
                                        ; implicit-def: $vgpr37_vgpr38
	s_branch .LBB1219_375
.LBB1219_378:
	s_set_inst_prefetch_distance 0x2
	s_or_b32 exec_lo, exec_lo, s20
	v_cmp_gt_i64_e32 vcc_lo, s[14:15], v[39:40]
	s_or_not1_b32 s0, vcc_lo, exec_lo
.LBB1219_379:
	s_or_b32 exec_lo, exec_lo, s13
.LBB1219_380:
	s_delay_alu instid0(SALU_CYCLE_1)
	s_and_b32 s0, s0, exec_lo
.LBB1219_381:
	s_or_b32 exec_lo, exec_lo, s3
	s_delay_alu instid0(SALU_CYCLE_1)
	s_and_b32 s0, s0, exec_lo
	s_or_b32 s1, s1, exec_lo
.LBB1219_382:
	s_or_b32 exec_lo, exec_lo, s24
.LBB1219_383:
	s_and_saveexec_b32 s3, s1
	s_cbranch_execz .LBB1219_385
; %bb.384:
	s_waitcnt vmcnt(0) lgkmcnt(0)
	v_and_b32_e32 v33, 0xffffff00, v35
	v_cndmask_b32_e64 v34, 0, 1, s0
	s_delay_alu instid0(VALU_DEP_1) | instskip(NEXT) | instid1(VALU_DEP_1)
	v_or_b32_e32 v33, v34, v33
	v_and_b32_e32 v33, 0xffff, v33
	s_delay_alu instid0(VALU_DEP_1)
	v_and_or_b32 v35, 0xffff0000, v35, v33
.LBB1219_385:
	s_or_b32 exec_lo, exec_lo, s3
	s_delay_alu instid0(SALU_CYCLE_1)
	s_and_not1_b32 vcc_lo, exec_lo, s33
	s_cbranch_vccnz .LBB1219_387
; %bb.386:
	v_cmp_gt_u32_e32 vcc_lo, s31, v55
	s_waitcnt vmcnt(0) lgkmcnt(0)
	v_or_b32_e32 v34, 1, v55
	v_and_b32_e32 v37, 0xffffff00, v36
	v_or_b32_e32 v38, 2, v55
	v_cndmask_b32_e32 v33, 0, v35, vcc_lo
	s_delay_alu instid0(VALU_DEP_4) | instskip(SKIP_1) | instid1(VALU_DEP_4)
	v_cmp_gt_u32_e32 vcc_lo, s31, v34
	v_or_b32_e32 v34, 4, v55
	v_cmp_gt_u32_e64 s0, s31, v38
	v_or_b32_e32 v38, 3, v55
	v_and_b32_e32 v33, 0xff, v33
	s_delay_alu instid0(VALU_DEP_2) | instskip(NEXT) | instid1(VALU_DEP_2)
	v_cmp_gt_u32_e64 s1, s31, v38
	v_cndmask_b32_e32 v33, v33, v35, vcc_lo
	v_cmp_gt_u32_e32 vcc_lo, s31, v34
	v_cndmask_b32_e32 v34, v37, v36, vcc_lo
	v_or_b32_e32 v37, 5, v55
	s_delay_alu instid0(VALU_DEP_2) | instskip(SKIP_1) | instid1(VALU_DEP_1)
	v_and_b32_e32 v34, 0xffff00ff, v34
	v_and_b32_e32 v33, 0xffff, v33
	v_cndmask_b32_e64 v33, v33, v35, s0
	s_delay_alu instid0(VALU_DEP_4) | instskip(SKIP_1) | instid1(VALU_DEP_3)
	v_cmp_gt_u32_e64 s0, s31, v37
	v_or_b32_e32 v37, 6, v55
	v_and_b32_e32 v33, 0xffffff, v33
	s_delay_alu instid0(VALU_DEP_3) | instskip(NEXT) | instid1(VALU_DEP_2)
	v_cndmask_b32_e64 v34, v34, v36, s0
	v_cndmask_b32_e64 v33, v33, v35, s1
	s_delay_alu instid0(VALU_DEP_1) | instskip(SKIP_2) | instid1(VALU_DEP_3)
	v_dual_cndmask_b32 v33, v33, v35 :: v_dual_and_b32 v34, 0xff00ffff, v34
	v_cmp_gt_u32_e32 vcc_lo, s31, v37
	v_or_b32_e32 v37, 7, v55
	v_cndmask_b32_e64 v33, v33, v35, s0
	s_delay_alu instid0(VALU_DEP_1) | instskip(NEXT) | instid1(VALU_DEP_1)
	v_dual_cndmask_b32 v34, v34, v36 :: v_dual_cndmask_b32 v33, v33, v35
	v_and_b32_e32 v34, 0xffffff, v34
	s_delay_alu instid0(VALU_DEP_4) | instskip(NEXT) | instid1(VALU_DEP_2)
	v_cmp_gt_u32_e32 vcc_lo, s31, v37
	v_dual_cndmask_b32 v36, v34, v36 :: v_dual_cndmask_b32 v35, v33, v35
.LBB1219_387:
	s_delay_alu instid0(VALU_DEP_1) | instskip(SKIP_1) | instid1(VALU_DEP_2)
	v_and_b32_e32 v44, 0xff, v35
	s_waitcnt vmcnt(0) lgkmcnt(0)
	v_alignbit_b32 v33, v36, v35, 24
	v_bfe_u32 v46, v35, 8, 8
	v_bfe_u32 v48, v35, 16, 8
	v_and_b32_e32 v52, 0xff, v36
	v_bfe_u32 v54, v36, 8, 8
	v_and_b32_e32 v50, 0xff, v33
	v_add_nc_u32_e32 v33, v46, v44
	v_mbcnt_lo_u32_b32 v58, -1, 0
	v_bfe_u32 v57, v36, 16, 8
	v_lshrrev_b32_e32 v56, 24, v36
	v_lshrrev_b32_e32 v59, 5, v0
	v_add3_u32 v33, v33, v48, v50
	v_and_b32_e32 v34, 15, v58
	v_and_b32_e32 v37, 16, v58
	s_and_b32 vcc_lo, exec_lo, s12
	s_mov_b32 s7, -1
	v_add3_u32 v33, v33, v52, v54
	v_cmp_eq_u32_e64 s3, 0, v34
	v_cmp_lt_u32_e64 s0, 1, v34
	v_cmp_lt_u32_e64 s4, 3, v34
	;; [unrolled: 1-line block ×3, first 2 shown]
	v_add3_u32 v60, v33, v57, v56
	v_or_b32_e32 v33, 31, v0
	v_cmp_eq_u32_e64 s6, 0, v37
	s_barrier
	buffer_gl0_inv
	v_cmp_eq_u32_e64 s5, v33, v0
	s_cbranch_vccz .LBB1219_418
; %bb.388:
	v_mov_b32_dpp v33, v60 row_shr:1 row_mask:0xf bank_mask:0xf
	s_delay_alu instid0(VALU_DEP_1) | instskip(NEXT) | instid1(VALU_DEP_1)
	v_cndmask_b32_e64 v33, v33, 0, s3
	v_add_nc_u32_e32 v33, v33, v60
	s_delay_alu instid0(VALU_DEP_1) | instskip(NEXT) | instid1(VALU_DEP_1)
	v_mov_b32_dpp v34, v33 row_shr:2 row_mask:0xf bank_mask:0xf
	v_cndmask_b32_e64 v34, 0, v34, s0
	s_delay_alu instid0(VALU_DEP_1) | instskip(NEXT) | instid1(VALU_DEP_1)
	v_add_nc_u32_e32 v33, v33, v34
	v_mov_b32_dpp v34, v33 row_shr:4 row_mask:0xf bank_mask:0xf
	s_delay_alu instid0(VALU_DEP_1) | instskip(NEXT) | instid1(VALU_DEP_1)
	v_cndmask_b32_e64 v34, 0, v34, s4
	v_add_nc_u32_e32 v33, v33, v34
	s_delay_alu instid0(VALU_DEP_1) | instskip(NEXT) | instid1(VALU_DEP_1)
	v_mov_b32_dpp v34, v33 row_shr:8 row_mask:0xf bank_mask:0xf
	v_cndmask_b32_e64 v34, 0, v34, s1
	s_delay_alu instid0(VALU_DEP_1) | instskip(SKIP_3) | instid1(VALU_DEP_1)
	v_add_nc_u32_e32 v33, v33, v34
	ds_swizzle_b32 v34, v33 offset:swizzle(BROADCAST,32,15)
	s_waitcnt lgkmcnt(0)
	v_cndmask_b32_e64 v34, v34, 0, s6
	v_add_nc_u32_e32 v33, v33, v34
	s_and_saveexec_b32 s7, s5
	s_cbranch_execz .LBB1219_390
; %bb.389:
	v_lshlrev_b32_e32 v34, 2, v59
	ds_store_b32 v34, v33
.LBB1219_390:
	s_or_b32 exec_lo, exec_lo, s7
	s_delay_alu instid0(SALU_CYCLE_1)
	s_mov_b32 s7, exec_lo
	s_waitcnt lgkmcnt(0)
	s_barrier
	buffer_gl0_inv
	v_cmpx_gt_u32_e32 16, v0
	s_cbranch_execz .LBB1219_392
; %bb.391:
	v_lshlrev_b32_e32 v34, 2, v0
	ds_load_b32 v37, v34
	s_waitcnt lgkmcnt(0)
	v_mov_b32_dpp v38, v37 row_shr:1 row_mask:0xf bank_mask:0xf
	s_delay_alu instid0(VALU_DEP_1) | instskip(NEXT) | instid1(VALU_DEP_1)
	v_cndmask_b32_e64 v38, v38, 0, s3
	v_add_nc_u32_e32 v37, v38, v37
	s_delay_alu instid0(VALU_DEP_1) | instskip(NEXT) | instid1(VALU_DEP_1)
	v_mov_b32_dpp v38, v37 row_shr:2 row_mask:0xf bank_mask:0xf
	v_cndmask_b32_e64 v38, 0, v38, s0
	s_delay_alu instid0(VALU_DEP_1) | instskip(NEXT) | instid1(VALU_DEP_1)
	v_add_nc_u32_e32 v37, v37, v38
	v_mov_b32_dpp v38, v37 row_shr:4 row_mask:0xf bank_mask:0xf
	s_delay_alu instid0(VALU_DEP_1) | instskip(NEXT) | instid1(VALU_DEP_1)
	v_cndmask_b32_e64 v38, 0, v38, s4
	v_add_nc_u32_e32 v37, v37, v38
	s_delay_alu instid0(VALU_DEP_1) | instskip(NEXT) | instid1(VALU_DEP_1)
	v_mov_b32_dpp v38, v37 row_shr:8 row_mask:0xf bank_mask:0xf
	v_cndmask_b32_e64 v38, 0, v38, s1
	s_delay_alu instid0(VALU_DEP_1)
	v_add_nc_u32_e32 v37, v37, v38
	ds_store_b32 v34, v37
.LBB1219_392:
	s_or_b32 exec_lo, exec_lo, s7
	v_cmp_gt_u32_e32 vcc_lo, 32, v0
	s_mov_b32 s12, exec_lo
	s_waitcnt lgkmcnt(0)
	s_barrier
	buffer_gl0_inv
                                        ; implicit-def: $vgpr43
	v_cmpx_lt_u32_e32 31, v0
	s_cbranch_execz .LBB1219_394
; %bb.393:
	v_lshl_add_u32 v34, v59, 2, -4
	ds_load_b32 v43, v34
	s_waitcnt lgkmcnt(0)
	v_add_nc_u32_e32 v33, v43, v33
.LBB1219_394:
	s_or_b32 exec_lo, exec_lo, s12
	v_add_nc_u32_e32 v34, -1, v58
	s_delay_alu instid0(VALU_DEP_1) | instskip(NEXT) | instid1(VALU_DEP_1)
	v_cmp_gt_i32_e64 s7, 0, v34
	v_cndmask_b32_e64 v34, v34, v58, s7
	v_cmp_eq_u32_e64 s7, 0, v58
	s_delay_alu instid0(VALU_DEP_2)
	v_lshlrev_b32_e32 v34, 2, v34
	ds_bpermute_b32 v45, v34, v33
	s_and_saveexec_b32 s12, vcc_lo
	s_cbranch_execz .LBB1219_417
; %bb.395:
	v_mov_b32_e32 v39, 0
	ds_load_b32 v33, v39 offset:60
	s_and_saveexec_b32 s13, s7
	s_cbranch_execz .LBB1219_397
; %bb.396:
	s_add_i32 s14, s30, 32
	s_mov_b32 s15, 0
	v_mov_b32_e32 v34, 1
	s_lshl_b64 s[14:15], s[14:15], 3
	s_delay_alu instid0(SALU_CYCLE_1)
	s_add_u32 s14, s22, s14
	s_addc_u32 s15, s23, s15
	s_waitcnt lgkmcnt(0)
	global_store_b64 v39, v[33:34], s[14:15]
.LBB1219_397:
	s_or_b32 exec_lo, exec_lo, s13
	v_xad_u32 v37, v58, -1, s30
	s_mov_b32 s14, 0
	s_mov_b32 s13, exec_lo
	s_delay_alu instid0(VALU_DEP_1) | instskip(NEXT) | instid1(VALU_DEP_1)
	v_add_nc_u32_e32 v38, 32, v37
	v_lshlrev_b64 v[38:39], 3, v[38:39]
	s_delay_alu instid0(VALU_DEP_1) | instskip(NEXT) | instid1(VALU_DEP_2)
	v_add_co_u32 v41, vcc_lo, s22, v38
	v_add_co_ci_u32_e32 v42, vcc_lo, s23, v39, vcc_lo
	global_load_b64 v[39:40], v[41:42], off glc
	s_waitcnt vmcnt(0)
	v_and_b32_e32 v34, 0xff, v40
	s_delay_alu instid0(VALU_DEP_1)
	v_cmpx_eq_u16_e32 0, v34
	s_cbranch_execz .LBB1219_403
; %bb.398:
	s_mov_b32 s15, 1
	.p2align	6
.LBB1219_399:                           ; =>This Loop Header: Depth=1
                                        ;     Child Loop BB1219_400 Depth 2
	s_delay_alu instid0(SALU_CYCLE_1)
	s_max_u32 s20, s15, 1
.LBB1219_400:                           ;   Parent Loop BB1219_399 Depth=1
                                        ; =>  This Inner Loop Header: Depth=2
	s_delay_alu instid0(SALU_CYCLE_1)
	s_add_i32 s20, s20, -1
	s_sleep 1
	s_cmp_eq_u32 s20, 0
	s_cbranch_scc0 .LBB1219_400
; %bb.401:                              ;   in Loop: Header=BB1219_399 Depth=1
	global_load_b64 v[39:40], v[41:42], off glc
	s_cmp_lt_u32 s15, 32
	s_cselect_b32 s20, -1, 0
	s_delay_alu instid0(SALU_CYCLE_1) | instskip(SKIP_3) | instid1(VALU_DEP_1)
	s_cmp_lg_u32 s20, 0
	s_addc_u32 s15, s15, 0
	s_waitcnt vmcnt(0)
	v_and_b32_e32 v34, 0xff, v40
	v_cmp_ne_u16_e32 vcc_lo, 0, v34
	s_or_b32 s14, vcc_lo, s14
	s_delay_alu instid0(SALU_CYCLE_1)
	s_and_not1_b32 exec_lo, exec_lo, s14
	s_cbranch_execnz .LBB1219_399
; %bb.402:
	s_or_b32 exec_lo, exec_lo, s14
.LBB1219_403:
	s_delay_alu instid0(SALU_CYCLE_1)
	s_or_b32 exec_lo, exec_lo, s13
	v_cmp_ne_u32_e32 vcc_lo, 31, v58
	v_and_b32_e32 v38, 0xff, v40
	v_lshlrev_b32_e64 v47, v58, -1
	v_add_nc_u32_e32 v51, 2, v58
	v_add_nc_u32_e32 v61, 4, v58
	v_add_co_ci_u32_e32 v34, vcc_lo, 0, v58, vcc_lo
	v_cmp_eq_u16_e32 vcc_lo, 2, v38
	v_add_nc_u32_e32 v64, 8, v58
	v_add_nc_u32_e32 v66, 16, v58
	v_and_or_b32 v38, vcc_lo, v47, 0x80000000
	v_cmp_gt_u32_e32 vcc_lo, 30, v58
	s_delay_alu instid0(VALU_DEP_2) | instskip(SKIP_1) | instid1(VALU_DEP_2)
	v_ctz_i32_b32_e32 v38, v38
	v_cndmask_b32_e64 v42, 0, 1, vcc_lo
	v_cmp_lt_u32_e32 vcc_lo, v58, v38
	v_lshlrev_b32_e32 v34, 2, v34
	s_delay_alu instid0(VALU_DEP_3)
	v_lshlrev_b32_e32 v42, 1, v42
	ds_bpermute_b32 v41, v34, v39
	v_add_lshl_u32 v49, v42, v58, 2
	s_waitcnt lgkmcnt(0)
	v_cndmask_b32_e32 v41, 0, v41, vcc_lo
	v_cmp_gt_u32_e32 vcc_lo, 28, v58
	s_delay_alu instid0(VALU_DEP_2) | instskip(SKIP_4) | instid1(VALU_DEP_1)
	v_add_nc_u32_e32 v39, v41, v39
	v_cndmask_b32_e64 v42, 0, 1, vcc_lo
	v_cmp_le_u32_e32 vcc_lo, v51, v38
	ds_bpermute_b32 v41, v49, v39
	v_lshlrev_b32_e32 v42, 2, v42
	v_add_lshl_u32 v53, v42, v58, 2
	s_waitcnt lgkmcnt(0)
	v_cndmask_b32_e32 v41, 0, v41, vcc_lo
	v_cmp_gt_u32_e32 vcc_lo, 24, v58
	s_delay_alu instid0(VALU_DEP_2) | instskip(SKIP_4) | instid1(VALU_DEP_1)
	v_add_nc_u32_e32 v39, v39, v41
	v_cndmask_b32_e64 v42, 0, 1, vcc_lo
	v_cmp_le_u32_e32 vcc_lo, v61, v38
	ds_bpermute_b32 v41, v53, v39
	v_lshlrev_b32_e32 v42, 3, v42
	;; [unrolled: 10-line block ×3, first 2 shown]
	v_add_lshl_u32 v65, v42, v58, 2
	s_waitcnt lgkmcnt(0)
	v_cndmask_b32_e32 v41, 0, v41, vcc_lo
	v_cmp_le_u32_e32 vcc_lo, v66, v38
	s_delay_alu instid0(VALU_DEP_2) | instskip(SKIP_3) | instid1(VALU_DEP_1)
	v_add_nc_u32_e32 v39, v39, v41
	ds_bpermute_b32 v41, v65, v39
	s_waitcnt lgkmcnt(0)
	v_cndmask_b32_e32 v38, 0, v41, vcc_lo
	v_dual_mov_b32 v38, 0 :: v_dual_add_nc_u32 v39, v39, v38
	s_branch .LBB1219_405
.LBB1219_404:                           ;   in Loop: Header=BB1219_405 Depth=1
	s_or_b32 exec_lo, exec_lo, s13
	ds_bpermute_b32 v42, v34, v39
	v_and_b32_e32 v41, 0xff, v40
	v_subrev_nc_u32_e32 v37, 32, v37
	s_delay_alu instid0(VALU_DEP_2) | instskip(SKIP_1) | instid1(VALU_DEP_1)
	v_cmp_eq_u16_e32 vcc_lo, 2, v41
	v_and_or_b32 v41, vcc_lo, v47, 0x80000000
	v_ctz_i32_b32_e32 v41, v41
	s_delay_alu instid0(VALU_DEP_1) | instskip(SKIP_3) | instid1(VALU_DEP_2)
	v_cmp_lt_u32_e32 vcc_lo, v58, v41
	s_waitcnt lgkmcnt(0)
	v_cndmask_b32_e32 v42, 0, v42, vcc_lo
	v_cmp_le_u32_e32 vcc_lo, v51, v41
	v_add_nc_u32_e32 v39, v42, v39
	ds_bpermute_b32 v42, v49, v39
	s_waitcnt lgkmcnt(0)
	v_cndmask_b32_e32 v42, 0, v42, vcc_lo
	v_cmp_le_u32_e32 vcc_lo, v61, v41
	s_delay_alu instid0(VALU_DEP_2) | instskip(SKIP_4) | instid1(VALU_DEP_2)
	v_add_nc_u32_e32 v39, v39, v42
	ds_bpermute_b32 v42, v53, v39
	s_waitcnt lgkmcnt(0)
	v_cndmask_b32_e32 v42, 0, v42, vcc_lo
	v_cmp_le_u32_e32 vcc_lo, v64, v41
	v_add_nc_u32_e32 v39, v39, v42
	ds_bpermute_b32 v42, v63, v39
	s_waitcnt lgkmcnt(0)
	v_cndmask_b32_e32 v42, 0, v42, vcc_lo
	v_cmp_le_u32_e32 vcc_lo, v66, v41
	s_delay_alu instid0(VALU_DEP_2) | instskip(SKIP_3) | instid1(VALU_DEP_1)
	v_add_nc_u32_e32 v39, v39, v42
	ds_bpermute_b32 v42, v65, v39
	s_waitcnt lgkmcnt(0)
	v_cndmask_b32_e32 v41, 0, v42, vcc_lo
	v_add3_u32 v39, v41, v62, v39
.LBB1219_405:                           ; =>This Loop Header: Depth=1
                                        ;     Child Loop BB1219_408 Depth 2
                                        ;       Child Loop BB1219_409 Depth 3
	v_and_b32_e32 v40, 0xff, v40
	s_delay_alu instid0(VALU_DEP_2) | instskip(NEXT) | instid1(VALU_DEP_2)
	v_mov_b32_e32 v62, v39
	v_cmp_ne_u16_e32 vcc_lo, 2, v40
	v_cndmask_b32_e64 v40, 0, 1, vcc_lo
	;;#ASMSTART
	;;#ASMEND
	s_delay_alu instid0(VALU_DEP_1)
	v_cmp_ne_u32_e32 vcc_lo, 0, v40
	s_cmp_lg_u32 vcc_lo, exec_lo
	s_cbranch_scc1 .LBB1219_412
; %bb.406:                              ;   in Loop: Header=BB1219_405 Depth=1
	v_lshlrev_b64 v[39:40], 3, v[37:38]
	s_mov_b32 s13, exec_lo
	s_delay_alu instid0(VALU_DEP_1) | instskip(NEXT) | instid1(VALU_DEP_2)
	v_add_co_u32 v41, vcc_lo, s22, v39
	v_add_co_ci_u32_e32 v42, vcc_lo, s23, v40, vcc_lo
	global_load_b64 v[39:40], v[41:42], off glc
	s_waitcnt vmcnt(0)
	v_and_b32_e32 v67, 0xff, v40
	s_delay_alu instid0(VALU_DEP_1)
	v_cmpx_eq_u16_e32 0, v67
	s_cbranch_execz .LBB1219_404
; %bb.407:                              ;   in Loop: Header=BB1219_405 Depth=1
	s_mov_b32 s15, 1
	s_mov_b32 s14, 0
	.p2align	6
.LBB1219_408:                           ;   Parent Loop BB1219_405 Depth=1
                                        ; =>  This Loop Header: Depth=2
                                        ;       Child Loop BB1219_409 Depth 3
	s_max_u32 s20, s15, 1
.LBB1219_409:                           ;   Parent Loop BB1219_405 Depth=1
                                        ;     Parent Loop BB1219_408 Depth=2
                                        ; =>    This Inner Loop Header: Depth=3
	s_delay_alu instid0(SALU_CYCLE_1)
	s_add_i32 s20, s20, -1
	s_sleep 1
	s_cmp_eq_u32 s20, 0
	s_cbranch_scc0 .LBB1219_409
; %bb.410:                              ;   in Loop: Header=BB1219_408 Depth=2
	global_load_b64 v[39:40], v[41:42], off glc
	s_cmp_lt_u32 s15, 32
	s_cselect_b32 s20, -1, 0
	s_delay_alu instid0(SALU_CYCLE_1) | instskip(SKIP_3) | instid1(VALU_DEP_1)
	s_cmp_lg_u32 s20, 0
	s_addc_u32 s15, s15, 0
	s_waitcnt vmcnt(0)
	v_and_b32_e32 v67, 0xff, v40
	v_cmp_ne_u16_e32 vcc_lo, 0, v67
	s_or_b32 s14, vcc_lo, s14
	s_delay_alu instid0(SALU_CYCLE_1)
	s_and_not1_b32 exec_lo, exec_lo, s14
	s_cbranch_execnz .LBB1219_408
; %bb.411:                              ;   in Loop: Header=BB1219_405 Depth=1
	s_or_b32 exec_lo, exec_lo, s14
	s_branch .LBB1219_404
.LBB1219_412:                           ;   in Loop: Header=BB1219_405 Depth=1
                                        ; implicit-def: $vgpr39
                                        ; implicit-def: $vgpr40
	s_cbranch_execz .LBB1219_405
; %bb.413:
	s_and_saveexec_b32 s13, s7
	s_cbranch_execz .LBB1219_415
; %bb.414:
	s_add_i32 s14, s30, 32
	s_mov_b32 s15, 0
	v_dual_mov_b32 v38, 2 :: v_dual_add_nc_u32 v37, v62, v33
	s_lshl_b64 s[14:15], s[14:15], 3
	v_mov_b32_e32 v34, 0
	v_add_nc_u32_e64 v39, 0x8400, 0
	s_add_u32 s14, s22, s14
	s_addc_u32 s15, s23, s15
	global_store_b64 v34, v[37:38], s[14:15]
	ds_store_2addr_b32 v39, v33, v62 offset1:2
.LBB1219_415:
	s_or_b32 exec_lo, exec_lo, s13
	s_delay_alu instid0(SALU_CYCLE_1)
	s_and_b32 exec_lo, exec_lo, s2
	s_cbranch_execz .LBB1219_417
; %bb.416:
	v_mov_b32_e32 v33, 0
	ds_store_b32 v33, v62 offset:60
.LBB1219_417:
	s_or_b32 exec_lo, exec_lo, s12
	v_mov_b32_e32 v33, 0
	s_waitcnt lgkmcnt(0)
	s_waitcnt_vscnt null, 0x0
	s_barrier
	buffer_gl0_inv
	v_cndmask_b32_e64 v34, v45, v43, s7
	ds_load_b32 v33, v33 offset:60
	s_waitcnt lgkmcnt(0)
	s_barrier
	buffer_gl0_inv
	v_cndmask_b32_e64 v34, v34, 0, s2
	s_delay_alu instid0(VALU_DEP_1) | instskip(SKIP_1) | instid1(VALU_DEP_2)
	v_add_nc_u32_e32 v53, v33, v34
	v_add_nc_u32_e64 v33, 0x8400, 0
	v_add_nc_u32_e32 v51, v53, v44
	ds_load_2addr_b32 v[33:34], v33 offset1:2
	v_add_nc_u32_e32 v49, v51, v46
	s_delay_alu instid0(VALU_DEP_1) | instskip(NEXT) | instid1(VALU_DEP_1)
	v_add_nc_u32_e32 v47, v49, v48
	v_add_nc_u32_e32 v45, v47, v50
	s_delay_alu instid0(VALU_DEP_1) | instskip(SKIP_2) | instid1(VALU_DEP_2)
	v_add_nc_u32_e32 v43, v45, v52
	s_waitcnt lgkmcnt(0)
	v_readfirstlane_b32 s12, v34
	v_add_nc_u32_e32 v41, v43, v54
	s_delay_alu instid0(VALU_DEP_1)
	v_add_nc_u32_e32 v39, v41, v57
	v_lshrrev_b64 v[37:38], 24, v[35:36]
	s_branch .LBB1219_428
.LBB1219_418:
                                        ; implicit-def: $vgpr39
                                        ; implicit-def: $vgpr41
                                        ; implicit-def: $vgpr43
                                        ; implicit-def: $vgpr45
                                        ; implicit-def: $vgpr47
                                        ; implicit-def: $vgpr49
                                        ; implicit-def: $vgpr51
                                        ; implicit-def: $vgpr53
                                        ; implicit-def: $sgpr12
                                        ; implicit-def: $vgpr33
	v_lshrrev_b64 v[37:38], 24, v[35:36]
	s_and_b32 vcc_lo, exec_lo, s7
	s_cbranch_vccz .LBB1219_428
; %bb.419:
	v_mov_b32_dpp v33, v60 row_shr:1 row_mask:0xf bank_mask:0xf
	s_delay_alu instid0(VALU_DEP_1) | instskip(NEXT) | instid1(VALU_DEP_1)
	v_cndmask_b32_e64 v33, v33, 0, s3
	v_add_nc_u32_e32 v33, v33, v60
	s_delay_alu instid0(VALU_DEP_1) | instskip(NEXT) | instid1(VALU_DEP_1)
	v_mov_b32_dpp v34, v33 row_shr:2 row_mask:0xf bank_mask:0xf
	v_cndmask_b32_e64 v34, 0, v34, s0
	s_delay_alu instid0(VALU_DEP_1) | instskip(NEXT) | instid1(VALU_DEP_1)
	v_add_nc_u32_e32 v33, v33, v34
	v_mov_b32_dpp v34, v33 row_shr:4 row_mask:0xf bank_mask:0xf
	s_delay_alu instid0(VALU_DEP_1) | instskip(NEXT) | instid1(VALU_DEP_1)
	v_cndmask_b32_e64 v34, 0, v34, s4
	v_add_nc_u32_e32 v33, v33, v34
	s_delay_alu instid0(VALU_DEP_1) | instskip(NEXT) | instid1(VALU_DEP_1)
	v_mov_b32_dpp v34, v33 row_shr:8 row_mask:0xf bank_mask:0xf
	v_cndmask_b32_e64 v34, 0, v34, s1
	s_delay_alu instid0(VALU_DEP_1) | instskip(SKIP_3) | instid1(VALU_DEP_1)
	v_add_nc_u32_e32 v33, v33, v34
	ds_swizzle_b32 v34, v33 offset:swizzle(BROADCAST,32,15)
	s_waitcnt lgkmcnt(0)
	v_cndmask_b32_e64 v34, v34, 0, s6
	v_add_nc_u32_e32 v33, v33, v34
	s_and_saveexec_b32 s6, s5
	s_cbranch_execz .LBB1219_421
; %bb.420:
	v_lshlrev_b32_e32 v34, 2, v59
	ds_store_b32 v34, v33
.LBB1219_421:
	s_or_b32 exec_lo, exec_lo, s6
	s_delay_alu instid0(SALU_CYCLE_1)
	s_mov_b32 s5, exec_lo
	s_waitcnt lgkmcnt(0)
	s_barrier
	buffer_gl0_inv
	v_cmpx_gt_u32_e32 16, v0
	s_cbranch_execz .LBB1219_423
; %bb.422:
	v_lshlrev_b32_e32 v34, 2, v0
	ds_load_b32 v38, v34
	s_waitcnt lgkmcnt(0)
	v_mov_b32_dpp v39, v38 row_shr:1 row_mask:0xf bank_mask:0xf
	s_delay_alu instid0(VALU_DEP_1) | instskip(NEXT) | instid1(VALU_DEP_1)
	v_cndmask_b32_e64 v39, v39, 0, s3
	v_add_nc_u32_e32 v38, v39, v38
	s_delay_alu instid0(VALU_DEP_1) | instskip(NEXT) | instid1(VALU_DEP_1)
	v_mov_b32_dpp v39, v38 row_shr:2 row_mask:0xf bank_mask:0xf
	v_cndmask_b32_e64 v39, 0, v39, s0
	s_delay_alu instid0(VALU_DEP_1) | instskip(NEXT) | instid1(VALU_DEP_1)
	v_add_nc_u32_e32 v38, v38, v39
	v_mov_b32_dpp v39, v38 row_shr:4 row_mask:0xf bank_mask:0xf
	s_delay_alu instid0(VALU_DEP_1) | instskip(NEXT) | instid1(VALU_DEP_1)
	v_cndmask_b32_e64 v39, 0, v39, s4
	v_add_nc_u32_e32 v38, v38, v39
	s_delay_alu instid0(VALU_DEP_1) | instskip(NEXT) | instid1(VALU_DEP_1)
	v_mov_b32_dpp v39, v38 row_shr:8 row_mask:0xf bank_mask:0xf
	v_cndmask_b32_e64 v39, 0, v39, s1
	s_delay_alu instid0(VALU_DEP_1)
	v_add_nc_u32_e32 v38, v38, v39
	ds_store_b32 v34, v38
.LBB1219_423:
	s_or_b32 exec_lo, exec_lo, s5
	v_mov_b32_e32 v34, 0
	v_mov_b32_e32 v38, 0
	s_mov_b32 s0, exec_lo
	s_waitcnt lgkmcnt(0)
	s_barrier
	buffer_gl0_inv
	v_cmpx_lt_u32_e32 31, v0
	s_cbranch_execz .LBB1219_425
; %bb.424:
	v_lshl_add_u32 v38, v59, 2, -4
	ds_load_b32 v38, v38
.LBB1219_425:
	s_or_b32 exec_lo, exec_lo, s0
	v_add_nc_u32_e32 v39, -1, v58
	s_waitcnt lgkmcnt(0)
	v_add_nc_u32_e32 v33, v38, v33
	s_mov_b32 s12, 0
	s_delay_alu instid0(VALU_DEP_2) | instskip(SKIP_1) | instid1(VALU_DEP_1)
	v_cmp_gt_i32_e32 vcc_lo, 0, v39
	v_cndmask_b32_e32 v39, v39, v58, vcc_lo
	v_lshlrev_b32_e32 v39, 2, v39
	ds_bpermute_b32 v39, v39, v33
	ds_load_b32 v33, v34 offset:60
	s_and_saveexec_b32 s0, s2
	s_cbranch_execz .LBB1219_427
; %bb.426:
	v_mov_b32_e32 v40, 0
	v_mov_b32_e32 v34, 2
	s_waitcnt lgkmcnt(0)
	global_store_b64 v40, v[33:34], s[22:23] offset:256
.LBB1219_427:
	s_or_b32 exec_lo, exec_lo, s0
	v_cmp_eq_u32_e32 vcc_lo, 0, v58
	s_waitcnt lgkmcnt(0)
	s_waitcnt_vscnt null, 0x0
	s_barrier
	buffer_gl0_inv
	v_cndmask_b32_e32 v34, v39, v38, vcc_lo
	s_delay_alu instid0(VALU_DEP_1) | instskip(NEXT) | instid1(VALU_DEP_1)
	v_cndmask_b32_e64 v53, v34, 0, s2
	v_add_nc_u32_e32 v51, v53, v44
	s_delay_alu instid0(VALU_DEP_1) | instskip(NEXT) | instid1(VALU_DEP_1)
	v_add_nc_u32_e32 v49, v51, v46
	v_add_nc_u32_e32 v47, v49, v48
	s_delay_alu instid0(VALU_DEP_1) | instskip(NEXT) | instid1(VALU_DEP_1)
	v_add_nc_u32_e32 v45, v47, v50
	v_add_nc_u32_e32 v43, v45, v52
	s_delay_alu instid0(VALU_DEP_1) | instskip(NEXT) | instid1(VALU_DEP_1)
	v_add_nc_u32_e32 v41, v43, v54
	v_add_nc_u32_e32 v39, v41, v57
.LBB1219_428:
	v_add_nc_u32_e32 v59, s12, v33
	v_cmp_gt_u32_e64 s0, 0x201, v33
	v_lshrrev_b32_e32 v58, 8, v35
	v_lshrrev_b32_e32 v57, 16, v35
	;; [unrolled: 1-line block ×4, first 2 shown]
	v_cmp_lt_u32_e64 s1, v53, v59
	s_and_b32 vcc_lo, exec_lo, s0
	s_mov_b32 s3, -1
	s_cbranch_vccz .LBB1219_454
; %bb.429:
	s_delay_alu instid0(VALU_DEP_1) | instskip(NEXT) | instid1(SALU_CYCLE_1)
	s_or_b32 s3, s29, s1
	s_and_saveexec_b32 s1, s3
	s_cbranch_execz .LBB1219_432
; %bb.430:
	v_and_b32_e32 v40, 1, v35
	s_delay_alu instid0(VALU_DEP_1)
	v_cmp_eq_u32_e32 vcc_lo, 1, v40
	s_and_b32 exec_lo, exec_lo, vcc_lo
	s_cbranch_execz .LBB1219_432
; %bb.431:
	v_mov_b32_e32 v54, 0
	s_lshl_b64 s[4:5], s[10:11], 3
	s_delay_alu instid0(SALU_CYCLE_1) | instskip(SKIP_1) | instid1(VALU_DEP_1)
	s_add_u32 s3, s16, s4
	s_addc_u32 s4, s17, s5
	v_lshlrev_b64 v[60:61], 3, v[53:54]
	s_delay_alu instid0(VALU_DEP_1) | instskip(NEXT) | instid1(VALU_DEP_2)
	v_add_co_u32 v60, vcc_lo, s3, v60
	v_add_co_ci_u32_e32 v61, vcc_lo, s4, v61, vcc_lo
	global_store_b64 v[60:61], v[29:30], off
.LBB1219_432:
	s_or_b32 exec_lo, exec_lo, s1
	v_cmp_lt_u32_e32 vcc_lo, v51, v59
	s_or_b32 s3, s29, vcc_lo
	s_delay_alu instid0(SALU_CYCLE_1)
	s_and_saveexec_b32 s1, s3
	s_cbranch_execz .LBB1219_435
; %bb.433:
	v_and_b32_e32 v40, 1, v58
	s_delay_alu instid0(VALU_DEP_1)
	v_cmp_eq_u32_e32 vcc_lo, 1, v40
	s_and_b32 exec_lo, exec_lo, vcc_lo
	s_cbranch_execz .LBB1219_435
; %bb.434:
	v_mov_b32_e32 v52, 0
	s_lshl_b64 s[4:5], s[10:11], 3
	s_delay_alu instid0(SALU_CYCLE_1) | instskip(SKIP_1) | instid1(VALU_DEP_1)
	s_add_u32 s3, s16, s4
	s_addc_u32 s4, s17, s5
	v_lshlrev_b64 v[60:61], 3, v[51:52]
	s_delay_alu instid0(VALU_DEP_1) | instskip(NEXT) | instid1(VALU_DEP_2)
	v_add_co_u32 v60, vcc_lo, s3, v60
	v_add_co_ci_u32_e32 v61, vcc_lo, s4, v61, vcc_lo
	global_store_b64 v[60:61], v[31:32], off
.LBB1219_435:
	s_or_b32 exec_lo, exec_lo, s1
	v_cmp_lt_u32_e32 vcc_lo, v49, v59
	s_or_b32 s3, s29, vcc_lo
	s_delay_alu instid0(SALU_CYCLE_1)
	;; [unrolled: 24-line block ×7, first 2 shown]
	s_and_saveexec_b32 s1, s3
	s_cbranch_execz .LBB1219_453
; %bb.451:
	v_and_b32_e32 v40, 1, v56
	s_delay_alu instid0(VALU_DEP_1)
	v_cmp_eq_u32_e32 vcc_lo, 1, v40
	s_and_b32 exec_lo, exec_lo, vcc_lo
	s_cbranch_execz .LBB1219_453
; %bb.452:
	v_mov_b32_e32 v40, 0
	s_lshl_b64 s[4:5], s[10:11], 3
	s_delay_alu instid0(SALU_CYCLE_1) | instskip(SKIP_1) | instid1(VALU_DEP_1)
	s_add_u32 s3, s16, s4
	s_addc_u32 s4, s17, s5
	v_lshlrev_b64 v[60:61], 3, v[39:40]
	s_delay_alu instid0(VALU_DEP_1) | instskip(NEXT) | instid1(VALU_DEP_2)
	v_add_co_u32 v60, vcc_lo, s3, v60
	v_add_co_ci_u32_e32 v61, vcc_lo, s4, v61, vcc_lo
	global_store_b64 v[60:61], v[19:20], off
.LBB1219_453:
	s_or_b32 exec_lo, exec_lo, s1
	s_mov_b32 s3, 0
.LBB1219_454:
	v_and_b32_e32 v35, 1, v35
	s_and_b32 vcc_lo, exec_lo, s3
	s_delay_alu instid0(VALU_DEP_1)
	v_cmp_eq_u32_e64 s1, 1, v35
	s_cbranch_vccz .LBB1219_475
; %bb.455:
	s_delay_alu instid0(VALU_DEP_1)
	s_and_saveexec_b32 s3, s1
	s_cbranch_execz .LBB1219_457
; %bb.456:
	v_subrev_nc_u32_e32 v40, s12, v53
	s_delay_alu instid0(VALU_DEP_1)
	v_lshlrev_b32_e32 v40, 3, v40
	ds_store_b64 v40, v[29:30]
.LBB1219_457:
	s_or_b32 exec_lo, exec_lo, s3
	v_and_b32_e32 v29, 1, v58
	s_mov_b32 s1, exec_lo
	s_delay_alu instid0(VALU_DEP_1)
	v_cmpx_eq_u32_e32 1, v29
	s_cbranch_execz .LBB1219_459
; %bb.458:
	v_subrev_nc_u32_e32 v29, s12, v51
	s_delay_alu instid0(VALU_DEP_1)
	v_lshlrev_b32_e32 v29, 3, v29
	ds_store_b64 v29, v[31:32]
.LBB1219_459:
	s_or_b32 exec_lo, exec_lo, s1
	v_and_b32_e32 v29, 1, v57
	s_mov_b32 s1, exec_lo
	s_delay_alu instid0(VALU_DEP_1)
	v_cmpx_eq_u32_e32 1, v29
	;; [unrolled: 12-line block ×7, first 2 shown]
	s_cbranch_execz .LBB1219_471
; %bb.470:
	v_subrev_nc_u32_e32 v17, s12, v39
	s_delay_alu instid0(VALU_DEP_1)
	v_lshlrev_b32_e32 v17, 3, v17
	ds_store_b64 v17, v[19:20]
.LBB1219_471:
	s_or_b32 exec_lo, exec_lo, s1
	s_delay_alu instid0(SALU_CYCLE_1)
	s_mov_b32 s3, exec_lo
	s_waitcnt lgkmcnt(0)
	s_waitcnt_vscnt null, 0x0
	s_barrier
	buffer_gl0_inv
	v_cmpx_lt_u32_e64 v0, v33
	s_cbranch_execz .LBB1219_474
; %bb.472:
	s_mov_b32 s13, 0
	s_lshl_b64 s[4:5], s[10:11], 3
	s_lshl_b64 s[6:7], s[12:13], 3
	v_dual_mov_b32 v19, v55 :: v_dual_mov_b32 v20, v0
	s_add_u32 s1, s4, s6
	s_addc_u32 s4, s5, s7
	s_add_u32 s1, s16, s1
	s_addc_u32 s4, s17, s4
	v_add_co_u32 v17, s1, s1, v55
	s_delay_alu instid0(VALU_DEP_1)
	v_add_co_ci_u32_e64 v18, null, s4, 0, s1
	.p2align	6
.LBB1219_473:                           ; =>This Inner Loop Header: Depth=1
	ds_load_b64 v[21:22], v19
	v_add_nc_u32_e32 v20, 0x200, v20
	v_add_nc_u32_e32 v19, 0x1000, v19
	s_delay_alu instid0(VALU_DEP_2) | instskip(SKIP_4) | instid1(VALU_DEP_1)
	v_cmp_ge_u32_e32 vcc_lo, v20, v33
	s_or_b32 s13, vcc_lo, s13
	s_waitcnt lgkmcnt(0)
	global_store_b64 v[17:18], v[21:22], off
	v_add_co_u32 v17, s1, 0x1000, v17
	v_add_co_ci_u32_e64 v18, s1, 0, v18, s1
	s_and_not1_b32 exec_lo, exec_lo, s13
	s_cbranch_execnz .LBB1219_473
.LBB1219_474:
	s_or_b32 exec_lo, exec_lo, s3
.LBB1219_475:
	s_delay_alu instid0(SALU_CYCLE_1)
	s_and_b32 vcc_lo, exec_lo, s0
	s_mov_b32 s0, -1
	s_waitcnt_vscnt null, 0x0
	s_barrier
	buffer_gl0_inv
	s_cbranch_vccz .LBB1219_503
; %bb.476:
	v_cmp_lt_u32_e32 vcc_lo, v53, v59
	s_or_b32 s1, s29, vcc_lo
	s_delay_alu instid0(SALU_CYCLE_1)
	s_and_saveexec_b32 s0, s1
	s_cbranch_execz .LBB1219_479
; %bb.477:
	v_cmp_eq_u32_e32 vcc_lo, 1, v35
	s_and_b32 exec_lo, exec_lo, vcc_lo
	s_cbranch_execz .LBB1219_479
; %bb.478:
	v_mov_b32_e32 v54, 0
	s_lshl_b64 s[4:5], s[10:11], 3
	s_delay_alu instid0(SALU_CYCLE_1) | instskip(SKIP_1) | instid1(VALU_DEP_1)
	s_add_u32 s1, s18, s4
	s_addc_u32 s3, s19, s5
	v_lshlrev_b64 v[17:18], 3, v[53:54]
	s_delay_alu instid0(VALU_DEP_1) | instskip(NEXT) | instid1(VALU_DEP_2)
	v_add_co_u32 v17, vcc_lo, s1, v17
	v_add_co_ci_u32_e32 v18, vcc_lo, s3, v18, vcc_lo
	global_store_b64 v[17:18], v[13:14], off
.LBB1219_479:
	s_or_b32 exec_lo, exec_lo, s0
	v_cmp_lt_u32_e32 vcc_lo, v51, v59
	s_or_b32 s1, s29, vcc_lo
	s_delay_alu instid0(SALU_CYCLE_1)
	s_and_saveexec_b32 s0, s1
	s_cbranch_execz .LBB1219_482
; %bb.480:
	v_and_b32_e32 v17, 1, v58
	s_delay_alu instid0(VALU_DEP_1)
	v_cmp_eq_u32_e32 vcc_lo, 1, v17
	s_and_b32 exec_lo, exec_lo, vcc_lo
	s_cbranch_execz .LBB1219_482
; %bb.481:
	v_mov_b32_e32 v52, 0
	s_lshl_b64 s[4:5], s[10:11], 3
	s_delay_alu instid0(SALU_CYCLE_1) | instskip(SKIP_1) | instid1(VALU_DEP_1)
	s_add_u32 s1, s18, s4
	s_addc_u32 s3, s19, s5
	v_lshlrev_b64 v[17:18], 3, v[51:52]
	s_delay_alu instid0(VALU_DEP_1) | instskip(NEXT) | instid1(VALU_DEP_2)
	v_add_co_u32 v17, vcc_lo, s1, v17
	v_add_co_ci_u32_e32 v18, vcc_lo, s3, v18, vcc_lo
	global_store_b64 v[17:18], v[15:16], off
.LBB1219_482:
	s_or_b32 exec_lo, exec_lo, s0
	v_cmp_lt_u32_e32 vcc_lo, v49, v59
	s_or_b32 s1, s29, vcc_lo
	s_delay_alu instid0(SALU_CYCLE_1)
	s_and_saveexec_b32 s0, s1
	s_cbranch_execz .LBB1219_485
; %bb.483:
	v_and_b32_e32 v17, 1, v57
	s_delay_alu instid0(VALU_DEP_1)
	v_cmp_eq_u32_e32 vcc_lo, 1, v17
	s_and_b32 exec_lo, exec_lo, vcc_lo
	s_cbranch_execz .LBB1219_485
; %bb.484:
	v_mov_b32_e32 v50, 0
	s_lshl_b64 s[4:5], s[10:11], 3
	s_delay_alu instid0(SALU_CYCLE_1) | instskip(SKIP_1) | instid1(VALU_DEP_1)
	s_add_u32 s1, s18, s4
	s_addc_u32 s3, s19, s5
	v_lshlrev_b64 v[17:18], 3, v[49:50]
	s_delay_alu instid0(VALU_DEP_1) | instskip(NEXT) | instid1(VALU_DEP_2)
	v_add_co_u32 v17, vcc_lo, s1, v17
	v_add_co_ci_u32_e32 v18, vcc_lo, s3, v18, vcc_lo
	global_store_b64 v[17:18], v[9:10], off
.LBB1219_485:
	;; [unrolled: 24-line block ×7, first 2 shown]
	s_or_b32 exec_lo, exec_lo, s0
.LBB1219_501:
	s_and_b32 s0, s2, s28
	s_delay_alu instid0(SALU_CYCLE_1)
	s_and_saveexec_b32 s1, s0
	s_cbranch_execz .LBB1219_524
.LBB1219_502:
	v_add_co_u32 v0, s0, s10, v33
	s_delay_alu instid0(VALU_DEP_1) | instskip(SKIP_1) | instid1(VALU_DEP_3)
	v_add_co_ci_u32_e64 v1, null, s11, 0, s0
	v_mov_b32_e32 v2, 0
	v_add_co_u32 v0, vcc_lo, v0, s12
	s_delay_alu instid0(VALU_DEP_3)
	v_add_co_ci_u32_e32 v1, vcc_lo, 0, v1, vcc_lo
	global_store_b64 v2, v[0:1], s[8:9]
	s_nop 0
	s_sendmsg sendmsg(MSG_DEALLOC_VGPRS)
	s_endpgm
.LBB1219_503:
	s_and_b32 vcc_lo, exec_lo, s0
	s_cbranch_vccz .LBB1219_501
; %bb.504:
	s_mov_b32 s0, exec_lo
	v_cmpx_eq_u32_e32 1, v35
	s_cbranch_execz .LBB1219_506
; %bb.505:
	v_subrev_nc_u32_e32 v17, s12, v53
	s_delay_alu instid0(VALU_DEP_1)
	v_lshlrev_b32_e32 v17, 3, v17
	ds_store_b64 v17, v[13:14]
.LBB1219_506:
	s_or_b32 exec_lo, exec_lo, s0
	v_and_b32_e32 v13, 1, v58
	s_mov_b32 s0, exec_lo
	s_delay_alu instid0(VALU_DEP_1)
	v_cmpx_eq_u32_e32 1, v13
	s_cbranch_execz .LBB1219_508
; %bb.507:
	v_subrev_nc_u32_e32 v13, s12, v51
	s_delay_alu instid0(VALU_DEP_1)
	v_lshlrev_b32_e32 v13, 3, v13
	ds_store_b64 v13, v[15:16]
.LBB1219_508:
	s_or_b32 exec_lo, exec_lo, s0
	v_and_b32_e32 v13, 1, v57
	s_mov_b32 s0, exec_lo
	s_delay_alu instid0(VALU_DEP_1)
	;; [unrolled: 12-line block ×7, first 2 shown]
	v_cmpx_eq_u32_e32 1, v1
	s_cbranch_execz .LBB1219_520
; %bb.519:
	v_subrev_nc_u32_e32 v1, s12, v39
	s_delay_alu instid0(VALU_DEP_1)
	v_lshlrev_b32_e32 v1, 3, v1
	ds_store_b64 v1, v[3:4]
.LBB1219_520:
	s_or_b32 exec_lo, exec_lo, s0
	s_delay_alu instid0(SALU_CYCLE_1)
	s_mov_b32 s1, exec_lo
	s_waitcnt lgkmcnt(0)
	s_waitcnt_vscnt null, 0x0
	s_barrier
	buffer_gl0_inv
	v_cmpx_lt_u32_e64 v0, v33
	s_cbranch_execz .LBB1219_523
; %bb.521:
	s_mov_b32 s13, 0
	s_lshl_b64 s[4:5], s[10:11], 3
	s_lshl_b64 s[6:7], s[12:13], 3
	s_delay_alu instid0(SALU_CYCLE_1) | instskip(SKIP_4) | instid1(VALU_DEP_1)
	s_add_u32 s0, s4, s6
	s_addc_u32 s3, s5, s7
	s_add_u32 s0, s18, s0
	s_addc_u32 s3, s19, s3
	v_add_co_u32 v1, s0, s0, v55
	v_add_co_ci_u32_e64 v2, null, s3, 0, s0
	.p2align	6
.LBB1219_522:                           ; =>This Inner Loop Header: Depth=1
	ds_load_b64 v[3:4], v55
	v_add_nc_u32_e32 v0, 0x200, v0
	v_add_nc_u32_e32 v55, 0x1000, v55
	s_delay_alu instid0(VALU_DEP_2) | instskip(SKIP_4) | instid1(VALU_DEP_1)
	v_cmp_ge_u32_e32 vcc_lo, v0, v33
	s_or_b32 s13, vcc_lo, s13
	s_waitcnt lgkmcnt(0)
	global_store_b64 v[1:2], v[3:4], off
	v_add_co_u32 v1, s0, 0x1000, v1
	v_add_co_ci_u32_e64 v2, s0, 0, v2, s0
	s_and_not1_b32 exec_lo, exec_lo, s13
	s_cbranch_execnz .LBB1219_522
.LBB1219_523:
	s_or_b32 exec_lo, exec_lo, s1
	s_and_b32 s0, s2, s28
	s_delay_alu instid0(SALU_CYCLE_1)
	s_and_saveexec_b32 s1, s0
	s_cbranch_execnz .LBB1219_502
.LBB1219_524:
	s_nop 0
	s_sendmsg sendmsg(MSG_DEALLOC_VGPRS)
	s_endpgm
	.section	.rodata,"a",@progbits
	.p2align	6, 0x0
	.amdhsa_kernel _ZN7rocprim17ROCPRIM_400000_NS6detail17trampoline_kernelINS0_14default_configENS1_25partition_config_selectorILNS1_17partition_subalgoE9EllbEEZZNS1_14partition_implILS5_9ELb0ES3_jPlS8_PNS0_10empty_typeENS0_5tupleIJS8_S9_EEENSB_IJS8_SA_EEENS0_18inequality_wrapperIZN2at6native12_GLOBAL__N_124unique_dim_cuda_templateIN3c108BFloat16EEESt5tupleIJNSF_6TensorESM_SM_EERKSM_lbbbEUlllE0_EEPmJS9_EEE10hipError_tPvRmT3_T4_T5_T6_T7_T9_mT8_P12ihipStream_tbDpT10_ENKUlT_T0_E_clISt17integral_constantIbLb1EES1C_EEDaS17_S18_EUlS17_E_NS1_11comp_targetILNS1_3genE9ELNS1_11target_archE1100ELNS1_3gpuE3ELNS1_3repE0EEENS1_30default_config_static_selectorELNS0_4arch9wavefront6targetE0EEEvT1_
		.amdhsa_group_segment_fixed_size 33804
		.amdhsa_private_segment_fixed_size 0
		.amdhsa_kernarg_size 136
		.amdhsa_user_sgpr_count 15
		.amdhsa_user_sgpr_dispatch_ptr 0
		.amdhsa_user_sgpr_queue_ptr 0
		.amdhsa_user_sgpr_kernarg_segment_ptr 1
		.amdhsa_user_sgpr_dispatch_id 0
		.amdhsa_user_sgpr_private_segment_size 0
		.amdhsa_wavefront_size32 1
		.amdhsa_uses_dynamic_stack 0
		.amdhsa_enable_private_segment 0
		.amdhsa_system_sgpr_workgroup_id_x 1
		.amdhsa_system_sgpr_workgroup_id_y 0
		.amdhsa_system_sgpr_workgroup_id_z 0
		.amdhsa_system_sgpr_workgroup_info 0
		.amdhsa_system_vgpr_workitem_id 0
		.amdhsa_next_free_vgpr 68
		.amdhsa_next_free_sgpr 40
		.amdhsa_reserve_vcc 1
		.amdhsa_float_round_mode_32 0
		.amdhsa_float_round_mode_16_64 0
		.amdhsa_float_denorm_mode_32 3
		.amdhsa_float_denorm_mode_16_64 3
		.amdhsa_dx10_clamp 1
		.amdhsa_ieee_mode 1
		.amdhsa_fp16_overflow 0
		.amdhsa_workgroup_processor_mode 1
		.amdhsa_memory_ordered 1
		.amdhsa_forward_progress 0
		.amdhsa_shared_vgpr_count 0
		.amdhsa_exception_fp_ieee_invalid_op 0
		.amdhsa_exception_fp_denorm_src 0
		.amdhsa_exception_fp_ieee_div_zero 0
		.amdhsa_exception_fp_ieee_overflow 0
		.amdhsa_exception_fp_ieee_underflow 0
		.amdhsa_exception_fp_ieee_inexact 0
		.amdhsa_exception_int_div_zero 0
	.end_amdhsa_kernel
	.section	.text._ZN7rocprim17ROCPRIM_400000_NS6detail17trampoline_kernelINS0_14default_configENS1_25partition_config_selectorILNS1_17partition_subalgoE9EllbEEZZNS1_14partition_implILS5_9ELb0ES3_jPlS8_PNS0_10empty_typeENS0_5tupleIJS8_S9_EEENSB_IJS8_SA_EEENS0_18inequality_wrapperIZN2at6native12_GLOBAL__N_124unique_dim_cuda_templateIN3c108BFloat16EEESt5tupleIJNSF_6TensorESM_SM_EERKSM_lbbbEUlllE0_EEPmJS9_EEE10hipError_tPvRmT3_T4_T5_T6_T7_T9_mT8_P12ihipStream_tbDpT10_ENKUlT_T0_E_clISt17integral_constantIbLb1EES1C_EEDaS17_S18_EUlS17_E_NS1_11comp_targetILNS1_3genE9ELNS1_11target_archE1100ELNS1_3gpuE3ELNS1_3repE0EEENS1_30default_config_static_selectorELNS0_4arch9wavefront6targetE0EEEvT1_,"axG",@progbits,_ZN7rocprim17ROCPRIM_400000_NS6detail17trampoline_kernelINS0_14default_configENS1_25partition_config_selectorILNS1_17partition_subalgoE9EllbEEZZNS1_14partition_implILS5_9ELb0ES3_jPlS8_PNS0_10empty_typeENS0_5tupleIJS8_S9_EEENSB_IJS8_SA_EEENS0_18inequality_wrapperIZN2at6native12_GLOBAL__N_124unique_dim_cuda_templateIN3c108BFloat16EEESt5tupleIJNSF_6TensorESM_SM_EERKSM_lbbbEUlllE0_EEPmJS9_EEE10hipError_tPvRmT3_T4_T5_T6_T7_T9_mT8_P12ihipStream_tbDpT10_ENKUlT_T0_E_clISt17integral_constantIbLb1EES1C_EEDaS17_S18_EUlS17_E_NS1_11comp_targetILNS1_3genE9ELNS1_11target_archE1100ELNS1_3gpuE3ELNS1_3repE0EEENS1_30default_config_static_selectorELNS0_4arch9wavefront6targetE0EEEvT1_,comdat
.Lfunc_end1219:
	.size	_ZN7rocprim17ROCPRIM_400000_NS6detail17trampoline_kernelINS0_14default_configENS1_25partition_config_selectorILNS1_17partition_subalgoE9EllbEEZZNS1_14partition_implILS5_9ELb0ES3_jPlS8_PNS0_10empty_typeENS0_5tupleIJS8_S9_EEENSB_IJS8_SA_EEENS0_18inequality_wrapperIZN2at6native12_GLOBAL__N_124unique_dim_cuda_templateIN3c108BFloat16EEESt5tupleIJNSF_6TensorESM_SM_EERKSM_lbbbEUlllE0_EEPmJS9_EEE10hipError_tPvRmT3_T4_T5_T6_T7_T9_mT8_P12ihipStream_tbDpT10_ENKUlT_T0_E_clISt17integral_constantIbLb1EES1C_EEDaS17_S18_EUlS17_E_NS1_11comp_targetILNS1_3genE9ELNS1_11target_archE1100ELNS1_3gpuE3ELNS1_3repE0EEENS1_30default_config_static_selectorELNS0_4arch9wavefront6targetE0EEEvT1_, .Lfunc_end1219-_ZN7rocprim17ROCPRIM_400000_NS6detail17trampoline_kernelINS0_14default_configENS1_25partition_config_selectorILNS1_17partition_subalgoE9EllbEEZZNS1_14partition_implILS5_9ELb0ES3_jPlS8_PNS0_10empty_typeENS0_5tupleIJS8_S9_EEENSB_IJS8_SA_EEENS0_18inequality_wrapperIZN2at6native12_GLOBAL__N_124unique_dim_cuda_templateIN3c108BFloat16EEESt5tupleIJNSF_6TensorESM_SM_EERKSM_lbbbEUlllE0_EEPmJS9_EEE10hipError_tPvRmT3_T4_T5_T6_T7_T9_mT8_P12ihipStream_tbDpT10_ENKUlT_T0_E_clISt17integral_constantIbLb1EES1C_EEDaS17_S18_EUlS17_E_NS1_11comp_targetILNS1_3genE9ELNS1_11target_archE1100ELNS1_3gpuE3ELNS1_3repE0EEENS1_30default_config_static_selectorELNS0_4arch9wavefront6targetE0EEEvT1_
                                        ; -- End function
	.section	.AMDGPU.csdata,"",@progbits
; Kernel info:
; codeLenInByte = 21496
; NumSgprs: 42
; NumVgprs: 68
; ScratchSize: 0
; MemoryBound: 0
; FloatMode: 240
; IeeeMode: 1
; LDSByteSize: 33804 bytes/workgroup (compile time only)
; SGPRBlocks: 5
; VGPRBlocks: 8
; NumSGPRsForWavesPerEU: 42
; NumVGPRsForWavesPerEU: 68
; Occupancy: 12
; WaveLimiterHint : 1
; COMPUTE_PGM_RSRC2:SCRATCH_EN: 0
; COMPUTE_PGM_RSRC2:USER_SGPR: 15
; COMPUTE_PGM_RSRC2:TRAP_HANDLER: 0
; COMPUTE_PGM_RSRC2:TGID_X_EN: 1
; COMPUTE_PGM_RSRC2:TGID_Y_EN: 0
; COMPUTE_PGM_RSRC2:TGID_Z_EN: 0
; COMPUTE_PGM_RSRC2:TIDIG_COMP_CNT: 0
	.section	.text._ZN7rocprim17ROCPRIM_400000_NS6detail17trampoline_kernelINS0_14default_configENS1_25partition_config_selectorILNS1_17partition_subalgoE9EllbEEZZNS1_14partition_implILS5_9ELb0ES3_jPlS8_PNS0_10empty_typeENS0_5tupleIJS8_S9_EEENSB_IJS8_SA_EEENS0_18inequality_wrapperIZN2at6native12_GLOBAL__N_124unique_dim_cuda_templateIN3c108BFloat16EEESt5tupleIJNSF_6TensorESM_SM_EERKSM_lbbbEUlllE0_EEPmJS9_EEE10hipError_tPvRmT3_T4_T5_T6_T7_T9_mT8_P12ihipStream_tbDpT10_ENKUlT_T0_E_clISt17integral_constantIbLb1EES1C_EEDaS17_S18_EUlS17_E_NS1_11comp_targetILNS1_3genE8ELNS1_11target_archE1030ELNS1_3gpuE2ELNS1_3repE0EEENS1_30default_config_static_selectorELNS0_4arch9wavefront6targetE0EEEvT1_,"axG",@progbits,_ZN7rocprim17ROCPRIM_400000_NS6detail17trampoline_kernelINS0_14default_configENS1_25partition_config_selectorILNS1_17partition_subalgoE9EllbEEZZNS1_14partition_implILS5_9ELb0ES3_jPlS8_PNS0_10empty_typeENS0_5tupleIJS8_S9_EEENSB_IJS8_SA_EEENS0_18inequality_wrapperIZN2at6native12_GLOBAL__N_124unique_dim_cuda_templateIN3c108BFloat16EEESt5tupleIJNSF_6TensorESM_SM_EERKSM_lbbbEUlllE0_EEPmJS9_EEE10hipError_tPvRmT3_T4_T5_T6_T7_T9_mT8_P12ihipStream_tbDpT10_ENKUlT_T0_E_clISt17integral_constantIbLb1EES1C_EEDaS17_S18_EUlS17_E_NS1_11comp_targetILNS1_3genE8ELNS1_11target_archE1030ELNS1_3gpuE2ELNS1_3repE0EEENS1_30default_config_static_selectorELNS0_4arch9wavefront6targetE0EEEvT1_,comdat
	.globl	_ZN7rocprim17ROCPRIM_400000_NS6detail17trampoline_kernelINS0_14default_configENS1_25partition_config_selectorILNS1_17partition_subalgoE9EllbEEZZNS1_14partition_implILS5_9ELb0ES3_jPlS8_PNS0_10empty_typeENS0_5tupleIJS8_S9_EEENSB_IJS8_SA_EEENS0_18inequality_wrapperIZN2at6native12_GLOBAL__N_124unique_dim_cuda_templateIN3c108BFloat16EEESt5tupleIJNSF_6TensorESM_SM_EERKSM_lbbbEUlllE0_EEPmJS9_EEE10hipError_tPvRmT3_T4_T5_T6_T7_T9_mT8_P12ihipStream_tbDpT10_ENKUlT_T0_E_clISt17integral_constantIbLb1EES1C_EEDaS17_S18_EUlS17_E_NS1_11comp_targetILNS1_3genE8ELNS1_11target_archE1030ELNS1_3gpuE2ELNS1_3repE0EEENS1_30default_config_static_selectorELNS0_4arch9wavefront6targetE0EEEvT1_ ; -- Begin function _ZN7rocprim17ROCPRIM_400000_NS6detail17trampoline_kernelINS0_14default_configENS1_25partition_config_selectorILNS1_17partition_subalgoE9EllbEEZZNS1_14partition_implILS5_9ELb0ES3_jPlS8_PNS0_10empty_typeENS0_5tupleIJS8_S9_EEENSB_IJS8_SA_EEENS0_18inequality_wrapperIZN2at6native12_GLOBAL__N_124unique_dim_cuda_templateIN3c108BFloat16EEESt5tupleIJNSF_6TensorESM_SM_EERKSM_lbbbEUlllE0_EEPmJS9_EEE10hipError_tPvRmT3_T4_T5_T6_T7_T9_mT8_P12ihipStream_tbDpT10_ENKUlT_T0_E_clISt17integral_constantIbLb1EES1C_EEDaS17_S18_EUlS17_E_NS1_11comp_targetILNS1_3genE8ELNS1_11target_archE1030ELNS1_3gpuE2ELNS1_3repE0EEENS1_30default_config_static_selectorELNS0_4arch9wavefront6targetE0EEEvT1_
	.p2align	8
	.type	_ZN7rocprim17ROCPRIM_400000_NS6detail17trampoline_kernelINS0_14default_configENS1_25partition_config_selectorILNS1_17partition_subalgoE9EllbEEZZNS1_14partition_implILS5_9ELb0ES3_jPlS8_PNS0_10empty_typeENS0_5tupleIJS8_S9_EEENSB_IJS8_SA_EEENS0_18inequality_wrapperIZN2at6native12_GLOBAL__N_124unique_dim_cuda_templateIN3c108BFloat16EEESt5tupleIJNSF_6TensorESM_SM_EERKSM_lbbbEUlllE0_EEPmJS9_EEE10hipError_tPvRmT3_T4_T5_T6_T7_T9_mT8_P12ihipStream_tbDpT10_ENKUlT_T0_E_clISt17integral_constantIbLb1EES1C_EEDaS17_S18_EUlS17_E_NS1_11comp_targetILNS1_3genE8ELNS1_11target_archE1030ELNS1_3gpuE2ELNS1_3repE0EEENS1_30default_config_static_selectorELNS0_4arch9wavefront6targetE0EEEvT1_,@function
_ZN7rocprim17ROCPRIM_400000_NS6detail17trampoline_kernelINS0_14default_configENS1_25partition_config_selectorILNS1_17partition_subalgoE9EllbEEZZNS1_14partition_implILS5_9ELb0ES3_jPlS8_PNS0_10empty_typeENS0_5tupleIJS8_S9_EEENSB_IJS8_SA_EEENS0_18inequality_wrapperIZN2at6native12_GLOBAL__N_124unique_dim_cuda_templateIN3c108BFloat16EEESt5tupleIJNSF_6TensorESM_SM_EERKSM_lbbbEUlllE0_EEPmJS9_EEE10hipError_tPvRmT3_T4_T5_T6_T7_T9_mT8_P12ihipStream_tbDpT10_ENKUlT_T0_E_clISt17integral_constantIbLb1EES1C_EEDaS17_S18_EUlS17_E_NS1_11comp_targetILNS1_3genE8ELNS1_11target_archE1030ELNS1_3gpuE2ELNS1_3repE0EEENS1_30default_config_static_selectorELNS0_4arch9wavefront6targetE0EEEvT1_: ; @_ZN7rocprim17ROCPRIM_400000_NS6detail17trampoline_kernelINS0_14default_configENS1_25partition_config_selectorILNS1_17partition_subalgoE9EllbEEZZNS1_14partition_implILS5_9ELb0ES3_jPlS8_PNS0_10empty_typeENS0_5tupleIJS8_S9_EEENSB_IJS8_SA_EEENS0_18inequality_wrapperIZN2at6native12_GLOBAL__N_124unique_dim_cuda_templateIN3c108BFloat16EEESt5tupleIJNSF_6TensorESM_SM_EERKSM_lbbbEUlllE0_EEPmJS9_EEE10hipError_tPvRmT3_T4_T5_T6_T7_T9_mT8_P12ihipStream_tbDpT10_ENKUlT_T0_E_clISt17integral_constantIbLb1EES1C_EEDaS17_S18_EUlS17_E_NS1_11comp_targetILNS1_3genE8ELNS1_11target_archE1030ELNS1_3gpuE2ELNS1_3repE0EEENS1_30default_config_static_selectorELNS0_4arch9wavefront6targetE0EEEvT1_
; %bb.0:
	.section	.rodata,"a",@progbits
	.p2align	6, 0x0
	.amdhsa_kernel _ZN7rocprim17ROCPRIM_400000_NS6detail17trampoline_kernelINS0_14default_configENS1_25partition_config_selectorILNS1_17partition_subalgoE9EllbEEZZNS1_14partition_implILS5_9ELb0ES3_jPlS8_PNS0_10empty_typeENS0_5tupleIJS8_S9_EEENSB_IJS8_SA_EEENS0_18inequality_wrapperIZN2at6native12_GLOBAL__N_124unique_dim_cuda_templateIN3c108BFloat16EEESt5tupleIJNSF_6TensorESM_SM_EERKSM_lbbbEUlllE0_EEPmJS9_EEE10hipError_tPvRmT3_T4_T5_T6_T7_T9_mT8_P12ihipStream_tbDpT10_ENKUlT_T0_E_clISt17integral_constantIbLb1EES1C_EEDaS17_S18_EUlS17_E_NS1_11comp_targetILNS1_3genE8ELNS1_11target_archE1030ELNS1_3gpuE2ELNS1_3repE0EEENS1_30default_config_static_selectorELNS0_4arch9wavefront6targetE0EEEvT1_
		.amdhsa_group_segment_fixed_size 0
		.amdhsa_private_segment_fixed_size 0
		.amdhsa_kernarg_size 136
		.amdhsa_user_sgpr_count 15
		.amdhsa_user_sgpr_dispatch_ptr 0
		.amdhsa_user_sgpr_queue_ptr 0
		.amdhsa_user_sgpr_kernarg_segment_ptr 1
		.amdhsa_user_sgpr_dispatch_id 0
		.amdhsa_user_sgpr_private_segment_size 0
		.amdhsa_wavefront_size32 1
		.amdhsa_uses_dynamic_stack 0
		.amdhsa_enable_private_segment 0
		.amdhsa_system_sgpr_workgroup_id_x 1
		.amdhsa_system_sgpr_workgroup_id_y 0
		.amdhsa_system_sgpr_workgroup_id_z 0
		.amdhsa_system_sgpr_workgroup_info 0
		.amdhsa_system_vgpr_workitem_id 0
		.amdhsa_next_free_vgpr 1
		.amdhsa_next_free_sgpr 1
		.amdhsa_reserve_vcc 0
		.amdhsa_float_round_mode_32 0
		.amdhsa_float_round_mode_16_64 0
		.amdhsa_float_denorm_mode_32 3
		.amdhsa_float_denorm_mode_16_64 3
		.amdhsa_dx10_clamp 1
		.amdhsa_ieee_mode 1
		.amdhsa_fp16_overflow 0
		.amdhsa_workgroup_processor_mode 1
		.amdhsa_memory_ordered 1
		.amdhsa_forward_progress 0
		.amdhsa_shared_vgpr_count 0
		.amdhsa_exception_fp_ieee_invalid_op 0
		.amdhsa_exception_fp_denorm_src 0
		.amdhsa_exception_fp_ieee_div_zero 0
		.amdhsa_exception_fp_ieee_overflow 0
		.amdhsa_exception_fp_ieee_underflow 0
		.amdhsa_exception_fp_ieee_inexact 0
		.amdhsa_exception_int_div_zero 0
	.end_amdhsa_kernel
	.section	.text._ZN7rocprim17ROCPRIM_400000_NS6detail17trampoline_kernelINS0_14default_configENS1_25partition_config_selectorILNS1_17partition_subalgoE9EllbEEZZNS1_14partition_implILS5_9ELb0ES3_jPlS8_PNS0_10empty_typeENS0_5tupleIJS8_S9_EEENSB_IJS8_SA_EEENS0_18inequality_wrapperIZN2at6native12_GLOBAL__N_124unique_dim_cuda_templateIN3c108BFloat16EEESt5tupleIJNSF_6TensorESM_SM_EERKSM_lbbbEUlllE0_EEPmJS9_EEE10hipError_tPvRmT3_T4_T5_T6_T7_T9_mT8_P12ihipStream_tbDpT10_ENKUlT_T0_E_clISt17integral_constantIbLb1EES1C_EEDaS17_S18_EUlS17_E_NS1_11comp_targetILNS1_3genE8ELNS1_11target_archE1030ELNS1_3gpuE2ELNS1_3repE0EEENS1_30default_config_static_selectorELNS0_4arch9wavefront6targetE0EEEvT1_,"axG",@progbits,_ZN7rocprim17ROCPRIM_400000_NS6detail17trampoline_kernelINS0_14default_configENS1_25partition_config_selectorILNS1_17partition_subalgoE9EllbEEZZNS1_14partition_implILS5_9ELb0ES3_jPlS8_PNS0_10empty_typeENS0_5tupleIJS8_S9_EEENSB_IJS8_SA_EEENS0_18inequality_wrapperIZN2at6native12_GLOBAL__N_124unique_dim_cuda_templateIN3c108BFloat16EEESt5tupleIJNSF_6TensorESM_SM_EERKSM_lbbbEUlllE0_EEPmJS9_EEE10hipError_tPvRmT3_T4_T5_T6_T7_T9_mT8_P12ihipStream_tbDpT10_ENKUlT_T0_E_clISt17integral_constantIbLb1EES1C_EEDaS17_S18_EUlS17_E_NS1_11comp_targetILNS1_3genE8ELNS1_11target_archE1030ELNS1_3gpuE2ELNS1_3repE0EEENS1_30default_config_static_selectorELNS0_4arch9wavefront6targetE0EEEvT1_,comdat
.Lfunc_end1220:
	.size	_ZN7rocprim17ROCPRIM_400000_NS6detail17trampoline_kernelINS0_14default_configENS1_25partition_config_selectorILNS1_17partition_subalgoE9EllbEEZZNS1_14partition_implILS5_9ELb0ES3_jPlS8_PNS0_10empty_typeENS0_5tupleIJS8_S9_EEENSB_IJS8_SA_EEENS0_18inequality_wrapperIZN2at6native12_GLOBAL__N_124unique_dim_cuda_templateIN3c108BFloat16EEESt5tupleIJNSF_6TensorESM_SM_EERKSM_lbbbEUlllE0_EEPmJS9_EEE10hipError_tPvRmT3_T4_T5_T6_T7_T9_mT8_P12ihipStream_tbDpT10_ENKUlT_T0_E_clISt17integral_constantIbLb1EES1C_EEDaS17_S18_EUlS17_E_NS1_11comp_targetILNS1_3genE8ELNS1_11target_archE1030ELNS1_3gpuE2ELNS1_3repE0EEENS1_30default_config_static_selectorELNS0_4arch9wavefront6targetE0EEEvT1_, .Lfunc_end1220-_ZN7rocprim17ROCPRIM_400000_NS6detail17trampoline_kernelINS0_14default_configENS1_25partition_config_selectorILNS1_17partition_subalgoE9EllbEEZZNS1_14partition_implILS5_9ELb0ES3_jPlS8_PNS0_10empty_typeENS0_5tupleIJS8_S9_EEENSB_IJS8_SA_EEENS0_18inequality_wrapperIZN2at6native12_GLOBAL__N_124unique_dim_cuda_templateIN3c108BFloat16EEESt5tupleIJNSF_6TensorESM_SM_EERKSM_lbbbEUlllE0_EEPmJS9_EEE10hipError_tPvRmT3_T4_T5_T6_T7_T9_mT8_P12ihipStream_tbDpT10_ENKUlT_T0_E_clISt17integral_constantIbLb1EES1C_EEDaS17_S18_EUlS17_E_NS1_11comp_targetILNS1_3genE8ELNS1_11target_archE1030ELNS1_3gpuE2ELNS1_3repE0EEENS1_30default_config_static_selectorELNS0_4arch9wavefront6targetE0EEEvT1_
                                        ; -- End function
	.section	.AMDGPU.csdata,"",@progbits
; Kernel info:
; codeLenInByte = 0
; NumSgprs: 0
; NumVgprs: 0
; ScratchSize: 0
; MemoryBound: 0
; FloatMode: 240
; IeeeMode: 1
; LDSByteSize: 0 bytes/workgroup (compile time only)
; SGPRBlocks: 0
; VGPRBlocks: 0
; NumSGPRsForWavesPerEU: 1
; NumVGPRsForWavesPerEU: 1
; Occupancy: 16
; WaveLimiterHint : 0
; COMPUTE_PGM_RSRC2:SCRATCH_EN: 0
; COMPUTE_PGM_RSRC2:USER_SGPR: 15
; COMPUTE_PGM_RSRC2:TRAP_HANDLER: 0
; COMPUTE_PGM_RSRC2:TGID_X_EN: 1
; COMPUTE_PGM_RSRC2:TGID_Y_EN: 0
; COMPUTE_PGM_RSRC2:TGID_Z_EN: 0
; COMPUTE_PGM_RSRC2:TIDIG_COMP_CNT: 0
	.section	.text._ZN7rocprim17ROCPRIM_400000_NS6detail17trampoline_kernelINS0_14default_configENS1_25partition_config_selectorILNS1_17partition_subalgoE9EllbEEZZNS1_14partition_implILS5_9ELb0ES3_jPlS8_PNS0_10empty_typeENS0_5tupleIJS8_S9_EEENSB_IJS8_SA_EEENS0_18inequality_wrapperIZN2at6native12_GLOBAL__N_124unique_dim_cuda_templateIN3c108BFloat16EEESt5tupleIJNSF_6TensorESM_SM_EERKSM_lbbbEUlllE0_EEPmJS9_EEE10hipError_tPvRmT3_T4_T5_T6_T7_T9_mT8_P12ihipStream_tbDpT10_ENKUlT_T0_E_clISt17integral_constantIbLb1EES1B_IbLb0EEEEDaS17_S18_EUlS17_E_NS1_11comp_targetILNS1_3genE0ELNS1_11target_archE4294967295ELNS1_3gpuE0ELNS1_3repE0EEENS1_30default_config_static_selectorELNS0_4arch9wavefront6targetE0EEEvT1_,"axG",@progbits,_ZN7rocprim17ROCPRIM_400000_NS6detail17trampoline_kernelINS0_14default_configENS1_25partition_config_selectorILNS1_17partition_subalgoE9EllbEEZZNS1_14partition_implILS5_9ELb0ES3_jPlS8_PNS0_10empty_typeENS0_5tupleIJS8_S9_EEENSB_IJS8_SA_EEENS0_18inequality_wrapperIZN2at6native12_GLOBAL__N_124unique_dim_cuda_templateIN3c108BFloat16EEESt5tupleIJNSF_6TensorESM_SM_EERKSM_lbbbEUlllE0_EEPmJS9_EEE10hipError_tPvRmT3_T4_T5_T6_T7_T9_mT8_P12ihipStream_tbDpT10_ENKUlT_T0_E_clISt17integral_constantIbLb1EES1B_IbLb0EEEEDaS17_S18_EUlS17_E_NS1_11comp_targetILNS1_3genE0ELNS1_11target_archE4294967295ELNS1_3gpuE0ELNS1_3repE0EEENS1_30default_config_static_selectorELNS0_4arch9wavefront6targetE0EEEvT1_,comdat
	.globl	_ZN7rocprim17ROCPRIM_400000_NS6detail17trampoline_kernelINS0_14default_configENS1_25partition_config_selectorILNS1_17partition_subalgoE9EllbEEZZNS1_14partition_implILS5_9ELb0ES3_jPlS8_PNS0_10empty_typeENS0_5tupleIJS8_S9_EEENSB_IJS8_SA_EEENS0_18inequality_wrapperIZN2at6native12_GLOBAL__N_124unique_dim_cuda_templateIN3c108BFloat16EEESt5tupleIJNSF_6TensorESM_SM_EERKSM_lbbbEUlllE0_EEPmJS9_EEE10hipError_tPvRmT3_T4_T5_T6_T7_T9_mT8_P12ihipStream_tbDpT10_ENKUlT_T0_E_clISt17integral_constantIbLb1EES1B_IbLb0EEEEDaS17_S18_EUlS17_E_NS1_11comp_targetILNS1_3genE0ELNS1_11target_archE4294967295ELNS1_3gpuE0ELNS1_3repE0EEENS1_30default_config_static_selectorELNS0_4arch9wavefront6targetE0EEEvT1_ ; -- Begin function _ZN7rocprim17ROCPRIM_400000_NS6detail17trampoline_kernelINS0_14default_configENS1_25partition_config_selectorILNS1_17partition_subalgoE9EllbEEZZNS1_14partition_implILS5_9ELb0ES3_jPlS8_PNS0_10empty_typeENS0_5tupleIJS8_S9_EEENSB_IJS8_SA_EEENS0_18inequality_wrapperIZN2at6native12_GLOBAL__N_124unique_dim_cuda_templateIN3c108BFloat16EEESt5tupleIJNSF_6TensorESM_SM_EERKSM_lbbbEUlllE0_EEPmJS9_EEE10hipError_tPvRmT3_T4_T5_T6_T7_T9_mT8_P12ihipStream_tbDpT10_ENKUlT_T0_E_clISt17integral_constantIbLb1EES1B_IbLb0EEEEDaS17_S18_EUlS17_E_NS1_11comp_targetILNS1_3genE0ELNS1_11target_archE4294967295ELNS1_3gpuE0ELNS1_3repE0EEENS1_30default_config_static_selectorELNS0_4arch9wavefront6targetE0EEEvT1_
	.p2align	8
	.type	_ZN7rocprim17ROCPRIM_400000_NS6detail17trampoline_kernelINS0_14default_configENS1_25partition_config_selectorILNS1_17partition_subalgoE9EllbEEZZNS1_14partition_implILS5_9ELb0ES3_jPlS8_PNS0_10empty_typeENS0_5tupleIJS8_S9_EEENSB_IJS8_SA_EEENS0_18inequality_wrapperIZN2at6native12_GLOBAL__N_124unique_dim_cuda_templateIN3c108BFloat16EEESt5tupleIJNSF_6TensorESM_SM_EERKSM_lbbbEUlllE0_EEPmJS9_EEE10hipError_tPvRmT3_T4_T5_T6_T7_T9_mT8_P12ihipStream_tbDpT10_ENKUlT_T0_E_clISt17integral_constantIbLb1EES1B_IbLb0EEEEDaS17_S18_EUlS17_E_NS1_11comp_targetILNS1_3genE0ELNS1_11target_archE4294967295ELNS1_3gpuE0ELNS1_3repE0EEENS1_30default_config_static_selectorELNS0_4arch9wavefront6targetE0EEEvT1_,@function
_ZN7rocprim17ROCPRIM_400000_NS6detail17trampoline_kernelINS0_14default_configENS1_25partition_config_selectorILNS1_17partition_subalgoE9EllbEEZZNS1_14partition_implILS5_9ELb0ES3_jPlS8_PNS0_10empty_typeENS0_5tupleIJS8_S9_EEENSB_IJS8_SA_EEENS0_18inequality_wrapperIZN2at6native12_GLOBAL__N_124unique_dim_cuda_templateIN3c108BFloat16EEESt5tupleIJNSF_6TensorESM_SM_EERKSM_lbbbEUlllE0_EEPmJS9_EEE10hipError_tPvRmT3_T4_T5_T6_T7_T9_mT8_P12ihipStream_tbDpT10_ENKUlT_T0_E_clISt17integral_constantIbLb1EES1B_IbLb0EEEEDaS17_S18_EUlS17_E_NS1_11comp_targetILNS1_3genE0ELNS1_11target_archE4294967295ELNS1_3gpuE0ELNS1_3repE0EEENS1_30default_config_static_selectorELNS0_4arch9wavefront6targetE0EEEvT1_: ; @_ZN7rocprim17ROCPRIM_400000_NS6detail17trampoline_kernelINS0_14default_configENS1_25partition_config_selectorILNS1_17partition_subalgoE9EllbEEZZNS1_14partition_implILS5_9ELb0ES3_jPlS8_PNS0_10empty_typeENS0_5tupleIJS8_S9_EEENSB_IJS8_SA_EEENS0_18inequality_wrapperIZN2at6native12_GLOBAL__N_124unique_dim_cuda_templateIN3c108BFloat16EEESt5tupleIJNSF_6TensorESM_SM_EERKSM_lbbbEUlllE0_EEPmJS9_EEE10hipError_tPvRmT3_T4_T5_T6_T7_T9_mT8_P12ihipStream_tbDpT10_ENKUlT_T0_E_clISt17integral_constantIbLb1EES1B_IbLb0EEEEDaS17_S18_EUlS17_E_NS1_11comp_targetILNS1_3genE0ELNS1_11target_archE4294967295ELNS1_3gpuE0ELNS1_3repE0EEENS1_30default_config_static_selectorELNS0_4arch9wavefront6targetE0EEEvT1_
; %bb.0:
	.section	.rodata,"a",@progbits
	.p2align	6, 0x0
	.amdhsa_kernel _ZN7rocprim17ROCPRIM_400000_NS6detail17trampoline_kernelINS0_14default_configENS1_25partition_config_selectorILNS1_17partition_subalgoE9EllbEEZZNS1_14partition_implILS5_9ELb0ES3_jPlS8_PNS0_10empty_typeENS0_5tupleIJS8_S9_EEENSB_IJS8_SA_EEENS0_18inequality_wrapperIZN2at6native12_GLOBAL__N_124unique_dim_cuda_templateIN3c108BFloat16EEESt5tupleIJNSF_6TensorESM_SM_EERKSM_lbbbEUlllE0_EEPmJS9_EEE10hipError_tPvRmT3_T4_T5_T6_T7_T9_mT8_P12ihipStream_tbDpT10_ENKUlT_T0_E_clISt17integral_constantIbLb1EES1B_IbLb0EEEEDaS17_S18_EUlS17_E_NS1_11comp_targetILNS1_3genE0ELNS1_11target_archE4294967295ELNS1_3gpuE0ELNS1_3repE0EEENS1_30default_config_static_selectorELNS0_4arch9wavefront6targetE0EEEvT1_
		.amdhsa_group_segment_fixed_size 0
		.amdhsa_private_segment_fixed_size 0
		.amdhsa_kernarg_size 120
		.amdhsa_user_sgpr_count 15
		.amdhsa_user_sgpr_dispatch_ptr 0
		.amdhsa_user_sgpr_queue_ptr 0
		.amdhsa_user_sgpr_kernarg_segment_ptr 1
		.amdhsa_user_sgpr_dispatch_id 0
		.amdhsa_user_sgpr_private_segment_size 0
		.amdhsa_wavefront_size32 1
		.amdhsa_uses_dynamic_stack 0
		.amdhsa_enable_private_segment 0
		.amdhsa_system_sgpr_workgroup_id_x 1
		.amdhsa_system_sgpr_workgroup_id_y 0
		.amdhsa_system_sgpr_workgroup_id_z 0
		.amdhsa_system_sgpr_workgroup_info 0
		.amdhsa_system_vgpr_workitem_id 0
		.amdhsa_next_free_vgpr 1
		.amdhsa_next_free_sgpr 1
		.amdhsa_reserve_vcc 0
		.amdhsa_float_round_mode_32 0
		.amdhsa_float_round_mode_16_64 0
		.amdhsa_float_denorm_mode_32 3
		.amdhsa_float_denorm_mode_16_64 3
		.amdhsa_dx10_clamp 1
		.amdhsa_ieee_mode 1
		.amdhsa_fp16_overflow 0
		.amdhsa_workgroup_processor_mode 1
		.amdhsa_memory_ordered 1
		.amdhsa_forward_progress 0
		.amdhsa_shared_vgpr_count 0
		.amdhsa_exception_fp_ieee_invalid_op 0
		.amdhsa_exception_fp_denorm_src 0
		.amdhsa_exception_fp_ieee_div_zero 0
		.amdhsa_exception_fp_ieee_overflow 0
		.amdhsa_exception_fp_ieee_underflow 0
		.amdhsa_exception_fp_ieee_inexact 0
		.amdhsa_exception_int_div_zero 0
	.end_amdhsa_kernel
	.section	.text._ZN7rocprim17ROCPRIM_400000_NS6detail17trampoline_kernelINS0_14default_configENS1_25partition_config_selectorILNS1_17partition_subalgoE9EllbEEZZNS1_14partition_implILS5_9ELb0ES3_jPlS8_PNS0_10empty_typeENS0_5tupleIJS8_S9_EEENSB_IJS8_SA_EEENS0_18inequality_wrapperIZN2at6native12_GLOBAL__N_124unique_dim_cuda_templateIN3c108BFloat16EEESt5tupleIJNSF_6TensorESM_SM_EERKSM_lbbbEUlllE0_EEPmJS9_EEE10hipError_tPvRmT3_T4_T5_T6_T7_T9_mT8_P12ihipStream_tbDpT10_ENKUlT_T0_E_clISt17integral_constantIbLb1EES1B_IbLb0EEEEDaS17_S18_EUlS17_E_NS1_11comp_targetILNS1_3genE0ELNS1_11target_archE4294967295ELNS1_3gpuE0ELNS1_3repE0EEENS1_30default_config_static_selectorELNS0_4arch9wavefront6targetE0EEEvT1_,"axG",@progbits,_ZN7rocprim17ROCPRIM_400000_NS6detail17trampoline_kernelINS0_14default_configENS1_25partition_config_selectorILNS1_17partition_subalgoE9EllbEEZZNS1_14partition_implILS5_9ELb0ES3_jPlS8_PNS0_10empty_typeENS0_5tupleIJS8_S9_EEENSB_IJS8_SA_EEENS0_18inequality_wrapperIZN2at6native12_GLOBAL__N_124unique_dim_cuda_templateIN3c108BFloat16EEESt5tupleIJNSF_6TensorESM_SM_EERKSM_lbbbEUlllE0_EEPmJS9_EEE10hipError_tPvRmT3_T4_T5_T6_T7_T9_mT8_P12ihipStream_tbDpT10_ENKUlT_T0_E_clISt17integral_constantIbLb1EES1B_IbLb0EEEEDaS17_S18_EUlS17_E_NS1_11comp_targetILNS1_3genE0ELNS1_11target_archE4294967295ELNS1_3gpuE0ELNS1_3repE0EEENS1_30default_config_static_selectorELNS0_4arch9wavefront6targetE0EEEvT1_,comdat
.Lfunc_end1221:
	.size	_ZN7rocprim17ROCPRIM_400000_NS6detail17trampoline_kernelINS0_14default_configENS1_25partition_config_selectorILNS1_17partition_subalgoE9EllbEEZZNS1_14partition_implILS5_9ELb0ES3_jPlS8_PNS0_10empty_typeENS0_5tupleIJS8_S9_EEENSB_IJS8_SA_EEENS0_18inequality_wrapperIZN2at6native12_GLOBAL__N_124unique_dim_cuda_templateIN3c108BFloat16EEESt5tupleIJNSF_6TensorESM_SM_EERKSM_lbbbEUlllE0_EEPmJS9_EEE10hipError_tPvRmT3_T4_T5_T6_T7_T9_mT8_P12ihipStream_tbDpT10_ENKUlT_T0_E_clISt17integral_constantIbLb1EES1B_IbLb0EEEEDaS17_S18_EUlS17_E_NS1_11comp_targetILNS1_3genE0ELNS1_11target_archE4294967295ELNS1_3gpuE0ELNS1_3repE0EEENS1_30default_config_static_selectorELNS0_4arch9wavefront6targetE0EEEvT1_, .Lfunc_end1221-_ZN7rocprim17ROCPRIM_400000_NS6detail17trampoline_kernelINS0_14default_configENS1_25partition_config_selectorILNS1_17partition_subalgoE9EllbEEZZNS1_14partition_implILS5_9ELb0ES3_jPlS8_PNS0_10empty_typeENS0_5tupleIJS8_S9_EEENSB_IJS8_SA_EEENS0_18inequality_wrapperIZN2at6native12_GLOBAL__N_124unique_dim_cuda_templateIN3c108BFloat16EEESt5tupleIJNSF_6TensorESM_SM_EERKSM_lbbbEUlllE0_EEPmJS9_EEE10hipError_tPvRmT3_T4_T5_T6_T7_T9_mT8_P12ihipStream_tbDpT10_ENKUlT_T0_E_clISt17integral_constantIbLb1EES1B_IbLb0EEEEDaS17_S18_EUlS17_E_NS1_11comp_targetILNS1_3genE0ELNS1_11target_archE4294967295ELNS1_3gpuE0ELNS1_3repE0EEENS1_30default_config_static_selectorELNS0_4arch9wavefront6targetE0EEEvT1_
                                        ; -- End function
	.section	.AMDGPU.csdata,"",@progbits
; Kernel info:
; codeLenInByte = 0
; NumSgprs: 0
; NumVgprs: 0
; ScratchSize: 0
; MemoryBound: 0
; FloatMode: 240
; IeeeMode: 1
; LDSByteSize: 0 bytes/workgroup (compile time only)
; SGPRBlocks: 0
; VGPRBlocks: 0
; NumSGPRsForWavesPerEU: 1
; NumVGPRsForWavesPerEU: 1
; Occupancy: 16
; WaveLimiterHint : 0
; COMPUTE_PGM_RSRC2:SCRATCH_EN: 0
; COMPUTE_PGM_RSRC2:USER_SGPR: 15
; COMPUTE_PGM_RSRC2:TRAP_HANDLER: 0
; COMPUTE_PGM_RSRC2:TGID_X_EN: 1
; COMPUTE_PGM_RSRC2:TGID_Y_EN: 0
; COMPUTE_PGM_RSRC2:TGID_Z_EN: 0
; COMPUTE_PGM_RSRC2:TIDIG_COMP_CNT: 0
	.section	.text._ZN7rocprim17ROCPRIM_400000_NS6detail17trampoline_kernelINS0_14default_configENS1_25partition_config_selectorILNS1_17partition_subalgoE9EllbEEZZNS1_14partition_implILS5_9ELb0ES3_jPlS8_PNS0_10empty_typeENS0_5tupleIJS8_S9_EEENSB_IJS8_SA_EEENS0_18inequality_wrapperIZN2at6native12_GLOBAL__N_124unique_dim_cuda_templateIN3c108BFloat16EEESt5tupleIJNSF_6TensorESM_SM_EERKSM_lbbbEUlllE0_EEPmJS9_EEE10hipError_tPvRmT3_T4_T5_T6_T7_T9_mT8_P12ihipStream_tbDpT10_ENKUlT_T0_E_clISt17integral_constantIbLb1EES1B_IbLb0EEEEDaS17_S18_EUlS17_E_NS1_11comp_targetILNS1_3genE5ELNS1_11target_archE942ELNS1_3gpuE9ELNS1_3repE0EEENS1_30default_config_static_selectorELNS0_4arch9wavefront6targetE0EEEvT1_,"axG",@progbits,_ZN7rocprim17ROCPRIM_400000_NS6detail17trampoline_kernelINS0_14default_configENS1_25partition_config_selectorILNS1_17partition_subalgoE9EllbEEZZNS1_14partition_implILS5_9ELb0ES3_jPlS8_PNS0_10empty_typeENS0_5tupleIJS8_S9_EEENSB_IJS8_SA_EEENS0_18inequality_wrapperIZN2at6native12_GLOBAL__N_124unique_dim_cuda_templateIN3c108BFloat16EEESt5tupleIJNSF_6TensorESM_SM_EERKSM_lbbbEUlllE0_EEPmJS9_EEE10hipError_tPvRmT3_T4_T5_T6_T7_T9_mT8_P12ihipStream_tbDpT10_ENKUlT_T0_E_clISt17integral_constantIbLb1EES1B_IbLb0EEEEDaS17_S18_EUlS17_E_NS1_11comp_targetILNS1_3genE5ELNS1_11target_archE942ELNS1_3gpuE9ELNS1_3repE0EEENS1_30default_config_static_selectorELNS0_4arch9wavefront6targetE0EEEvT1_,comdat
	.globl	_ZN7rocprim17ROCPRIM_400000_NS6detail17trampoline_kernelINS0_14default_configENS1_25partition_config_selectorILNS1_17partition_subalgoE9EllbEEZZNS1_14partition_implILS5_9ELb0ES3_jPlS8_PNS0_10empty_typeENS0_5tupleIJS8_S9_EEENSB_IJS8_SA_EEENS0_18inequality_wrapperIZN2at6native12_GLOBAL__N_124unique_dim_cuda_templateIN3c108BFloat16EEESt5tupleIJNSF_6TensorESM_SM_EERKSM_lbbbEUlllE0_EEPmJS9_EEE10hipError_tPvRmT3_T4_T5_T6_T7_T9_mT8_P12ihipStream_tbDpT10_ENKUlT_T0_E_clISt17integral_constantIbLb1EES1B_IbLb0EEEEDaS17_S18_EUlS17_E_NS1_11comp_targetILNS1_3genE5ELNS1_11target_archE942ELNS1_3gpuE9ELNS1_3repE0EEENS1_30default_config_static_selectorELNS0_4arch9wavefront6targetE0EEEvT1_ ; -- Begin function _ZN7rocprim17ROCPRIM_400000_NS6detail17trampoline_kernelINS0_14default_configENS1_25partition_config_selectorILNS1_17partition_subalgoE9EllbEEZZNS1_14partition_implILS5_9ELb0ES3_jPlS8_PNS0_10empty_typeENS0_5tupleIJS8_S9_EEENSB_IJS8_SA_EEENS0_18inequality_wrapperIZN2at6native12_GLOBAL__N_124unique_dim_cuda_templateIN3c108BFloat16EEESt5tupleIJNSF_6TensorESM_SM_EERKSM_lbbbEUlllE0_EEPmJS9_EEE10hipError_tPvRmT3_T4_T5_T6_T7_T9_mT8_P12ihipStream_tbDpT10_ENKUlT_T0_E_clISt17integral_constantIbLb1EES1B_IbLb0EEEEDaS17_S18_EUlS17_E_NS1_11comp_targetILNS1_3genE5ELNS1_11target_archE942ELNS1_3gpuE9ELNS1_3repE0EEENS1_30default_config_static_selectorELNS0_4arch9wavefront6targetE0EEEvT1_
	.p2align	8
	.type	_ZN7rocprim17ROCPRIM_400000_NS6detail17trampoline_kernelINS0_14default_configENS1_25partition_config_selectorILNS1_17partition_subalgoE9EllbEEZZNS1_14partition_implILS5_9ELb0ES3_jPlS8_PNS0_10empty_typeENS0_5tupleIJS8_S9_EEENSB_IJS8_SA_EEENS0_18inequality_wrapperIZN2at6native12_GLOBAL__N_124unique_dim_cuda_templateIN3c108BFloat16EEESt5tupleIJNSF_6TensorESM_SM_EERKSM_lbbbEUlllE0_EEPmJS9_EEE10hipError_tPvRmT3_T4_T5_T6_T7_T9_mT8_P12ihipStream_tbDpT10_ENKUlT_T0_E_clISt17integral_constantIbLb1EES1B_IbLb0EEEEDaS17_S18_EUlS17_E_NS1_11comp_targetILNS1_3genE5ELNS1_11target_archE942ELNS1_3gpuE9ELNS1_3repE0EEENS1_30default_config_static_selectorELNS0_4arch9wavefront6targetE0EEEvT1_,@function
_ZN7rocprim17ROCPRIM_400000_NS6detail17trampoline_kernelINS0_14default_configENS1_25partition_config_selectorILNS1_17partition_subalgoE9EllbEEZZNS1_14partition_implILS5_9ELb0ES3_jPlS8_PNS0_10empty_typeENS0_5tupleIJS8_S9_EEENSB_IJS8_SA_EEENS0_18inequality_wrapperIZN2at6native12_GLOBAL__N_124unique_dim_cuda_templateIN3c108BFloat16EEESt5tupleIJNSF_6TensorESM_SM_EERKSM_lbbbEUlllE0_EEPmJS9_EEE10hipError_tPvRmT3_T4_T5_T6_T7_T9_mT8_P12ihipStream_tbDpT10_ENKUlT_T0_E_clISt17integral_constantIbLb1EES1B_IbLb0EEEEDaS17_S18_EUlS17_E_NS1_11comp_targetILNS1_3genE5ELNS1_11target_archE942ELNS1_3gpuE9ELNS1_3repE0EEENS1_30default_config_static_selectorELNS0_4arch9wavefront6targetE0EEEvT1_: ; @_ZN7rocprim17ROCPRIM_400000_NS6detail17trampoline_kernelINS0_14default_configENS1_25partition_config_selectorILNS1_17partition_subalgoE9EllbEEZZNS1_14partition_implILS5_9ELb0ES3_jPlS8_PNS0_10empty_typeENS0_5tupleIJS8_S9_EEENSB_IJS8_SA_EEENS0_18inequality_wrapperIZN2at6native12_GLOBAL__N_124unique_dim_cuda_templateIN3c108BFloat16EEESt5tupleIJNSF_6TensorESM_SM_EERKSM_lbbbEUlllE0_EEPmJS9_EEE10hipError_tPvRmT3_T4_T5_T6_T7_T9_mT8_P12ihipStream_tbDpT10_ENKUlT_T0_E_clISt17integral_constantIbLb1EES1B_IbLb0EEEEDaS17_S18_EUlS17_E_NS1_11comp_targetILNS1_3genE5ELNS1_11target_archE942ELNS1_3gpuE9ELNS1_3repE0EEENS1_30default_config_static_selectorELNS0_4arch9wavefront6targetE0EEEvT1_
; %bb.0:
	.section	.rodata,"a",@progbits
	.p2align	6, 0x0
	.amdhsa_kernel _ZN7rocprim17ROCPRIM_400000_NS6detail17trampoline_kernelINS0_14default_configENS1_25partition_config_selectorILNS1_17partition_subalgoE9EllbEEZZNS1_14partition_implILS5_9ELb0ES3_jPlS8_PNS0_10empty_typeENS0_5tupleIJS8_S9_EEENSB_IJS8_SA_EEENS0_18inequality_wrapperIZN2at6native12_GLOBAL__N_124unique_dim_cuda_templateIN3c108BFloat16EEESt5tupleIJNSF_6TensorESM_SM_EERKSM_lbbbEUlllE0_EEPmJS9_EEE10hipError_tPvRmT3_T4_T5_T6_T7_T9_mT8_P12ihipStream_tbDpT10_ENKUlT_T0_E_clISt17integral_constantIbLb1EES1B_IbLb0EEEEDaS17_S18_EUlS17_E_NS1_11comp_targetILNS1_3genE5ELNS1_11target_archE942ELNS1_3gpuE9ELNS1_3repE0EEENS1_30default_config_static_selectorELNS0_4arch9wavefront6targetE0EEEvT1_
		.amdhsa_group_segment_fixed_size 0
		.amdhsa_private_segment_fixed_size 0
		.amdhsa_kernarg_size 120
		.amdhsa_user_sgpr_count 15
		.amdhsa_user_sgpr_dispatch_ptr 0
		.amdhsa_user_sgpr_queue_ptr 0
		.amdhsa_user_sgpr_kernarg_segment_ptr 1
		.amdhsa_user_sgpr_dispatch_id 0
		.amdhsa_user_sgpr_private_segment_size 0
		.amdhsa_wavefront_size32 1
		.amdhsa_uses_dynamic_stack 0
		.amdhsa_enable_private_segment 0
		.amdhsa_system_sgpr_workgroup_id_x 1
		.amdhsa_system_sgpr_workgroup_id_y 0
		.amdhsa_system_sgpr_workgroup_id_z 0
		.amdhsa_system_sgpr_workgroup_info 0
		.amdhsa_system_vgpr_workitem_id 0
		.amdhsa_next_free_vgpr 1
		.amdhsa_next_free_sgpr 1
		.amdhsa_reserve_vcc 0
		.amdhsa_float_round_mode_32 0
		.amdhsa_float_round_mode_16_64 0
		.amdhsa_float_denorm_mode_32 3
		.amdhsa_float_denorm_mode_16_64 3
		.amdhsa_dx10_clamp 1
		.amdhsa_ieee_mode 1
		.amdhsa_fp16_overflow 0
		.amdhsa_workgroup_processor_mode 1
		.amdhsa_memory_ordered 1
		.amdhsa_forward_progress 0
		.amdhsa_shared_vgpr_count 0
		.amdhsa_exception_fp_ieee_invalid_op 0
		.amdhsa_exception_fp_denorm_src 0
		.amdhsa_exception_fp_ieee_div_zero 0
		.amdhsa_exception_fp_ieee_overflow 0
		.amdhsa_exception_fp_ieee_underflow 0
		.amdhsa_exception_fp_ieee_inexact 0
		.amdhsa_exception_int_div_zero 0
	.end_amdhsa_kernel
	.section	.text._ZN7rocprim17ROCPRIM_400000_NS6detail17trampoline_kernelINS0_14default_configENS1_25partition_config_selectorILNS1_17partition_subalgoE9EllbEEZZNS1_14partition_implILS5_9ELb0ES3_jPlS8_PNS0_10empty_typeENS0_5tupleIJS8_S9_EEENSB_IJS8_SA_EEENS0_18inequality_wrapperIZN2at6native12_GLOBAL__N_124unique_dim_cuda_templateIN3c108BFloat16EEESt5tupleIJNSF_6TensorESM_SM_EERKSM_lbbbEUlllE0_EEPmJS9_EEE10hipError_tPvRmT3_T4_T5_T6_T7_T9_mT8_P12ihipStream_tbDpT10_ENKUlT_T0_E_clISt17integral_constantIbLb1EES1B_IbLb0EEEEDaS17_S18_EUlS17_E_NS1_11comp_targetILNS1_3genE5ELNS1_11target_archE942ELNS1_3gpuE9ELNS1_3repE0EEENS1_30default_config_static_selectorELNS0_4arch9wavefront6targetE0EEEvT1_,"axG",@progbits,_ZN7rocprim17ROCPRIM_400000_NS6detail17trampoline_kernelINS0_14default_configENS1_25partition_config_selectorILNS1_17partition_subalgoE9EllbEEZZNS1_14partition_implILS5_9ELb0ES3_jPlS8_PNS0_10empty_typeENS0_5tupleIJS8_S9_EEENSB_IJS8_SA_EEENS0_18inequality_wrapperIZN2at6native12_GLOBAL__N_124unique_dim_cuda_templateIN3c108BFloat16EEESt5tupleIJNSF_6TensorESM_SM_EERKSM_lbbbEUlllE0_EEPmJS9_EEE10hipError_tPvRmT3_T4_T5_T6_T7_T9_mT8_P12ihipStream_tbDpT10_ENKUlT_T0_E_clISt17integral_constantIbLb1EES1B_IbLb0EEEEDaS17_S18_EUlS17_E_NS1_11comp_targetILNS1_3genE5ELNS1_11target_archE942ELNS1_3gpuE9ELNS1_3repE0EEENS1_30default_config_static_selectorELNS0_4arch9wavefront6targetE0EEEvT1_,comdat
.Lfunc_end1222:
	.size	_ZN7rocprim17ROCPRIM_400000_NS6detail17trampoline_kernelINS0_14default_configENS1_25partition_config_selectorILNS1_17partition_subalgoE9EllbEEZZNS1_14partition_implILS5_9ELb0ES3_jPlS8_PNS0_10empty_typeENS0_5tupleIJS8_S9_EEENSB_IJS8_SA_EEENS0_18inequality_wrapperIZN2at6native12_GLOBAL__N_124unique_dim_cuda_templateIN3c108BFloat16EEESt5tupleIJNSF_6TensorESM_SM_EERKSM_lbbbEUlllE0_EEPmJS9_EEE10hipError_tPvRmT3_T4_T5_T6_T7_T9_mT8_P12ihipStream_tbDpT10_ENKUlT_T0_E_clISt17integral_constantIbLb1EES1B_IbLb0EEEEDaS17_S18_EUlS17_E_NS1_11comp_targetILNS1_3genE5ELNS1_11target_archE942ELNS1_3gpuE9ELNS1_3repE0EEENS1_30default_config_static_selectorELNS0_4arch9wavefront6targetE0EEEvT1_, .Lfunc_end1222-_ZN7rocprim17ROCPRIM_400000_NS6detail17trampoline_kernelINS0_14default_configENS1_25partition_config_selectorILNS1_17partition_subalgoE9EllbEEZZNS1_14partition_implILS5_9ELb0ES3_jPlS8_PNS0_10empty_typeENS0_5tupleIJS8_S9_EEENSB_IJS8_SA_EEENS0_18inequality_wrapperIZN2at6native12_GLOBAL__N_124unique_dim_cuda_templateIN3c108BFloat16EEESt5tupleIJNSF_6TensorESM_SM_EERKSM_lbbbEUlllE0_EEPmJS9_EEE10hipError_tPvRmT3_T4_T5_T6_T7_T9_mT8_P12ihipStream_tbDpT10_ENKUlT_T0_E_clISt17integral_constantIbLb1EES1B_IbLb0EEEEDaS17_S18_EUlS17_E_NS1_11comp_targetILNS1_3genE5ELNS1_11target_archE942ELNS1_3gpuE9ELNS1_3repE0EEENS1_30default_config_static_selectorELNS0_4arch9wavefront6targetE0EEEvT1_
                                        ; -- End function
	.section	.AMDGPU.csdata,"",@progbits
; Kernel info:
; codeLenInByte = 0
; NumSgprs: 0
; NumVgprs: 0
; ScratchSize: 0
; MemoryBound: 0
; FloatMode: 240
; IeeeMode: 1
; LDSByteSize: 0 bytes/workgroup (compile time only)
; SGPRBlocks: 0
; VGPRBlocks: 0
; NumSGPRsForWavesPerEU: 1
; NumVGPRsForWavesPerEU: 1
; Occupancy: 16
; WaveLimiterHint : 0
; COMPUTE_PGM_RSRC2:SCRATCH_EN: 0
; COMPUTE_PGM_RSRC2:USER_SGPR: 15
; COMPUTE_PGM_RSRC2:TRAP_HANDLER: 0
; COMPUTE_PGM_RSRC2:TGID_X_EN: 1
; COMPUTE_PGM_RSRC2:TGID_Y_EN: 0
; COMPUTE_PGM_RSRC2:TGID_Z_EN: 0
; COMPUTE_PGM_RSRC2:TIDIG_COMP_CNT: 0
	.section	.text._ZN7rocprim17ROCPRIM_400000_NS6detail17trampoline_kernelINS0_14default_configENS1_25partition_config_selectorILNS1_17partition_subalgoE9EllbEEZZNS1_14partition_implILS5_9ELb0ES3_jPlS8_PNS0_10empty_typeENS0_5tupleIJS8_S9_EEENSB_IJS8_SA_EEENS0_18inequality_wrapperIZN2at6native12_GLOBAL__N_124unique_dim_cuda_templateIN3c108BFloat16EEESt5tupleIJNSF_6TensorESM_SM_EERKSM_lbbbEUlllE0_EEPmJS9_EEE10hipError_tPvRmT3_T4_T5_T6_T7_T9_mT8_P12ihipStream_tbDpT10_ENKUlT_T0_E_clISt17integral_constantIbLb1EES1B_IbLb0EEEEDaS17_S18_EUlS17_E_NS1_11comp_targetILNS1_3genE4ELNS1_11target_archE910ELNS1_3gpuE8ELNS1_3repE0EEENS1_30default_config_static_selectorELNS0_4arch9wavefront6targetE0EEEvT1_,"axG",@progbits,_ZN7rocprim17ROCPRIM_400000_NS6detail17trampoline_kernelINS0_14default_configENS1_25partition_config_selectorILNS1_17partition_subalgoE9EllbEEZZNS1_14partition_implILS5_9ELb0ES3_jPlS8_PNS0_10empty_typeENS0_5tupleIJS8_S9_EEENSB_IJS8_SA_EEENS0_18inequality_wrapperIZN2at6native12_GLOBAL__N_124unique_dim_cuda_templateIN3c108BFloat16EEESt5tupleIJNSF_6TensorESM_SM_EERKSM_lbbbEUlllE0_EEPmJS9_EEE10hipError_tPvRmT3_T4_T5_T6_T7_T9_mT8_P12ihipStream_tbDpT10_ENKUlT_T0_E_clISt17integral_constantIbLb1EES1B_IbLb0EEEEDaS17_S18_EUlS17_E_NS1_11comp_targetILNS1_3genE4ELNS1_11target_archE910ELNS1_3gpuE8ELNS1_3repE0EEENS1_30default_config_static_selectorELNS0_4arch9wavefront6targetE0EEEvT1_,comdat
	.globl	_ZN7rocprim17ROCPRIM_400000_NS6detail17trampoline_kernelINS0_14default_configENS1_25partition_config_selectorILNS1_17partition_subalgoE9EllbEEZZNS1_14partition_implILS5_9ELb0ES3_jPlS8_PNS0_10empty_typeENS0_5tupleIJS8_S9_EEENSB_IJS8_SA_EEENS0_18inequality_wrapperIZN2at6native12_GLOBAL__N_124unique_dim_cuda_templateIN3c108BFloat16EEESt5tupleIJNSF_6TensorESM_SM_EERKSM_lbbbEUlllE0_EEPmJS9_EEE10hipError_tPvRmT3_T4_T5_T6_T7_T9_mT8_P12ihipStream_tbDpT10_ENKUlT_T0_E_clISt17integral_constantIbLb1EES1B_IbLb0EEEEDaS17_S18_EUlS17_E_NS1_11comp_targetILNS1_3genE4ELNS1_11target_archE910ELNS1_3gpuE8ELNS1_3repE0EEENS1_30default_config_static_selectorELNS0_4arch9wavefront6targetE0EEEvT1_ ; -- Begin function _ZN7rocprim17ROCPRIM_400000_NS6detail17trampoline_kernelINS0_14default_configENS1_25partition_config_selectorILNS1_17partition_subalgoE9EllbEEZZNS1_14partition_implILS5_9ELb0ES3_jPlS8_PNS0_10empty_typeENS0_5tupleIJS8_S9_EEENSB_IJS8_SA_EEENS0_18inequality_wrapperIZN2at6native12_GLOBAL__N_124unique_dim_cuda_templateIN3c108BFloat16EEESt5tupleIJNSF_6TensorESM_SM_EERKSM_lbbbEUlllE0_EEPmJS9_EEE10hipError_tPvRmT3_T4_T5_T6_T7_T9_mT8_P12ihipStream_tbDpT10_ENKUlT_T0_E_clISt17integral_constantIbLb1EES1B_IbLb0EEEEDaS17_S18_EUlS17_E_NS1_11comp_targetILNS1_3genE4ELNS1_11target_archE910ELNS1_3gpuE8ELNS1_3repE0EEENS1_30default_config_static_selectorELNS0_4arch9wavefront6targetE0EEEvT1_
	.p2align	8
	.type	_ZN7rocprim17ROCPRIM_400000_NS6detail17trampoline_kernelINS0_14default_configENS1_25partition_config_selectorILNS1_17partition_subalgoE9EllbEEZZNS1_14partition_implILS5_9ELb0ES3_jPlS8_PNS0_10empty_typeENS0_5tupleIJS8_S9_EEENSB_IJS8_SA_EEENS0_18inequality_wrapperIZN2at6native12_GLOBAL__N_124unique_dim_cuda_templateIN3c108BFloat16EEESt5tupleIJNSF_6TensorESM_SM_EERKSM_lbbbEUlllE0_EEPmJS9_EEE10hipError_tPvRmT3_T4_T5_T6_T7_T9_mT8_P12ihipStream_tbDpT10_ENKUlT_T0_E_clISt17integral_constantIbLb1EES1B_IbLb0EEEEDaS17_S18_EUlS17_E_NS1_11comp_targetILNS1_3genE4ELNS1_11target_archE910ELNS1_3gpuE8ELNS1_3repE0EEENS1_30default_config_static_selectorELNS0_4arch9wavefront6targetE0EEEvT1_,@function
_ZN7rocprim17ROCPRIM_400000_NS6detail17trampoline_kernelINS0_14default_configENS1_25partition_config_selectorILNS1_17partition_subalgoE9EllbEEZZNS1_14partition_implILS5_9ELb0ES3_jPlS8_PNS0_10empty_typeENS0_5tupleIJS8_S9_EEENSB_IJS8_SA_EEENS0_18inequality_wrapperIZN2at6native12_GLOBAL__N_124unique_dim_cuda_templateIN3c108BFloat16EEESt5tupleIJNSF_6TensorESM_SM_EERKSM_lbbbEUlllE0_EEPmJS9_EEE10hipError_tPvRmT3_T4_T5_T6_T7_T9_mT8_P12ihipStream_tbDpT10_ENKUlT_T0_E_clISt17integral_constantIbLb1EES1B_IbLb0EEEEDaS17_S18_EUlS17_E_NS1_11comp_targetILNS1_3genE4ELNS1_11target_archE910ELNS1_3gpuE8ELNS1_3repE0EEENS1_30default_config_static_selectorELNS0_4arch9wavefront6targetE0EEEvT1_: ; @_ZN7rocprim17ROCPRIM_400000_NS6detail17trampoline_kernelINS0_14default_configENS1_25partition_config_selectorILNS1_17partition_subalgoE9EllbEEZZNS1_14partition_implILS5_9ELb0ES3_jPlS8_PNS0_10empty_typeENS0_5tupleIJS8_S9_EEENSB_IJS8_SA_EEENS0_18inequality_wrapperIZN2at6native12_GLOBAL__N_124unique_dim_cuda_templateIN3c108BFloat16EEESt5tupleIJNSF_6TensorESM_SM_EERKSM_lbbbEUlllE0_EEPmJS9_EEE10hipError_tPvRmT3_T4_T5_T6_T7_T9_mT8_P12ihipStream_tbDpT10_ENKUlT_T0_E_clISt17integral_constantIbLb1EES1B_IbLb0EEEEDaS17_S18_EUlS17_E_NS1_11comp_targetILNS1_3genE4ELNS1_11target_archE910ELNS1_3gpuE8ELNS1_3repE0EEENS1_30default_config_static_selectorELNS0_4arch9wavefront6targetE0EEEvT1_
; %bb.0:
	.section	.rodata,"a",@progbits
	.p2align	6, 0x0
	.amdhsa_kernel _ZN7rocprim17ROCPRIM_400000_NS6detail17trampoline_kernelINS0_14default_configENS1_25partition_config_selectorILNS1_17partition_subalgoE9EllbEEZZNS1_14partition_implILS5_9ELb0ES3_jPlS8_PNS0_10empty_typeENS0_5tupleIJS8_S9_EEENSB_IJS8_SA_EEENS0_18inequality_wrapperIZN2at6native12_GLOBAL__N_124unique_dim_cuda_templateIN3c108BFloat16EEESt5tupleIJNSF_6TensorESM_SM_EERKSM_lbbbEUlllE0_EEPmJS9_EEE10hipError_tPvRmT3_T4_T5_T6_T7_T9_mT8_P12ihipStream_tbDpT10_ENKUlT_T0_E_clISt17integral_constantIbLb1EES1B_IbLb0EEEEDaS17_S18_EUlS17_E_NS1_11comp_targetILNS1_3genE4ELNS1_11target_archE910ELNS1_3gpuE8ELNS1_3repE0EEENS1_30default_config_static_selectorELNS0_4arch9wavefront6targetE0EEEvT1_
		.amdhsa_group_segment_fixed_size 0
		.amdhsa_private_segment_fixed_size 0
		.amdhsa_kernarg_size 120
		.amdhsa_user_sgpr_count 15
		.amdhsa_user_sgpr_dispatch_ptr 0
		.amdhsa_user_sgpr_queue_ptr 0
		.amdhsa_user_sgpr_kernarg_segment_ptr 1
		.amdhsa_user_sgpr_dispatch_id 0
		.amdhsa_user_sgpr_private_segment_size 0
		.amdhsa_wavefront_size32 1
		.amdhsa_uses_dynamic_stack 0
		.amdhsa_enable_private_segment 0
		.amdhsa_system_sgpr_workgroup_id_x 1
		.amdhsa_system_sgpr_workgroup_id_y 0
		.amdhsa_system_sgpr_workgroup_id_z 0
		.amdhsa_system_sgpr_workgroup_info 0
		.amdhsa_system_vgpr_workitem_id 0
		.amdhsa_next_free_vgpr 1
		.amdhsa_next_free_sgpr 1
		.amdhsa_reserve_vcc 0
		.amdhsa_float_round_mode_32 0
		.amdhsa_float_round_mode_16_64 0
		.amdhsa_float_denorm_mode_32 3
		.amdhsa_float_denorm_mode_16_64 3
		.amdhsa_dx10_clamp 1
		.amdhsa_ieee_mode 1
		.amdhsa_fp16_overflow 0
		.amdhsa_workgroup_processor_mode 1
		.amdhsa_memory_ordered 1
		.amdhsa_forward_progress 0
		.amdhsa_shared_vgpr_count 0
		.amdhsa_exception_fp_ieee_invalid_op 0
		.amdhsa_exception_fp_denorm_src 0
		.amdhsa_exception_fp_ieee_div_zero 0
		.amdhsa_exception_fp_ieee_overflow 0
		.amdhsa_exception_fp_ieee_underflow 0
		.amdhsa_exception_fp_ieee_inexact 0
		.amdhsa_exception_int_div_zero 0
	.end_amdhsa_kernel
	.section	.text._ZN7rocprim17ROCPRIM_400000_NS6detail17trampoline_kernelINS0_14default_configENS1_25partition_config_selectorILNS1_17partition_subalgoE9EllbEEZZNS1_14partition_implILS5_9ELb0ES3_jPlS8_PNS0_10empty_typeENS0_5tupleIJS8_S9_EEENSB_IJS8_SA_EEENS0_18inequality_wrapperIZN2at6native12_GLOBAL__N_124unique_dim_cuda_templateIN3c108BFloat16EEESt5tupleIJNSF_6TensorESM_SM_EERKSM_lbbbEUlllE0_EEPmJS9_EEE10hipError_tPvRmT3_T4_T5_T6_T7_T9_mT8_P12ihipStream_tbDpT10_ENKUlT_T0_E_clISt17integral_constantIbLb1EES1B_IbLb0EEEEDaS17_S18_EUlS17_E_NS1_11comp_targetILNS1_3genE4ELNS1_11target_archE910ELNS1_3gpuE8ELNS1_3repE0EEENS1_30default_config_static_selectorELNS0_4arch9wavefront6targetE0EEEvT1_,"axG",@progbits,_ZN7rocprim17ROCPRIM_400000_NS6detail17trampoline_kernelINS0_14default_configENS1_25partition_config_selectorILNS1_17partition_subalgoE9EllbEEZZNS1_14partition_implILS5_9ELb0ES3_jPlS8_PNS0_10empty_typeENS0_5tupleIJS8_S9_EEENSB_IJS8_SA_EEENS0_18inequality_wrapperIZN2at6native12_GLOBAL__N_124unique_dim_cuda_templateIN3c108BFloat16EEESt5tupleIJNSF_6TensorESM_SM_EERKSM_lbbbEUlllE0_EEPmJS9_EEE10hipError_tPvRmT3_T4_T5_T6_T7_T9_mT8_P12ihipStream_tbDpT10_ENKUlT_T0_E_clISt17integral_constantIbLb1EES1B_IbLb0EEEEDaS17_S18_EUlS17_E_NS1_11comp_targetILNS1_3genE4ELNS1_11target_archE910ELNS1_3gpuE8ELNS1_3repE0EEENS1_30default_config_static_selectorELNS0_4arch9wavefront6targetE0EEEvT1_,comdat
.Lfunc_end1223:
	.size	_ZN7rocprim17ROCPRIM_400000_NS6detail17trampoline_kernelINS0_14default_configENS1_25partition_config_selectorILNS1_17partition_subalgoE9EllbEEZZNS1_14partition_implILS5_9ELb0ES3_jPlS8_PNS0_10empty_typeENS0_5tupleIJS8_S9_EEENSB_IJS8_SA_EEENS0_18inequality_wrapperIZN2at6native12_GLOBAL__N_124unique_dim_cuda_templateIN3c108BFloat16EEESt5tupleIJNSF_6TensorESM_SM_EERKSM_lbbbEUlllE0_EEPmJS9_EEE10hipError_tPvRmT3_T4_T5_T6_T7_T9_mT8_P12ihipStream_tbDpT10_ENKUlT_T0_E_clISt17integral_constantIbLb1EES1B_IbLb0EEEEDaS17_S18_EUlS17_E_NS1_11comp_targetILNS1_3genE4ELNS1_11target_archE910ELNS1_3gpuE8ELNS1_3repE0EEENS1_30default_config_static_selectorELNS0_4arch9wavefront6targetE0EEEvT1_, .Lfunc_end1223-_ZN7rocprim17ROCPRIM_400000_NS6detail17trampoline_kernelINS0_14default_configENS1_25partition_config_selectorILNS1_17partition_subalgoE9EllbEEZZNS1_14partition_implILS5_9ELb0ES3_jPlS8_PNS0_10empty_typeENS0_5tupleIJS8_S9_EEENSB_IJS8_SA_EEENS0_18inequality_wrapperIZN2at6native12_GLOBAL__N_124unique_dim_cuda_templateIN3c108BFloat16EEESt5tupleIJNSF_6TensorESM_SM_EERKSM_lbbbEUlllE0_EEPmJS9_EEE10hipError_tPvRmT3_T4_T5_T6_T7_T9_mT8_P12ihipStream_tbDpT10_ENKUlT_T0_E_clISt17integral_constantIbLb1EES1B_IbLb0EEEEDaS17_S18_EUlS17_E_NS1_11comp_targetILNS1_3genE4ELNS1_11target_archE910ELNS1_3gpuE8ELNS1_3repE0EEENS1_30default_config_static_selectorELNS0_4arch9wavefront6targetE0EEEvT1_
                                        ; -- End function
	.section	.AMDGPU.csdata,"",@progbits
; Kernel info:
; codeLenInByte = 0
; NumSgprs: 0
; NumVgprs: 0
; ScratchSize: 0
; MemoryBound: 0
; FloatMode: 240
; IeeeMode: 1
; LDSByteSize: 0 bytes/workgroup (compile time only)
; SGPRBlocks: 0
; VGPRBlocks: 0
; NumSGPRsForWavesPerEU: 1
; NumVGPRsForWavesPerEU: 1
; Occupancy: 16
; WaveLimiterHint : 0
; COMPUTE_PGM_RSRC2:SCRATCH_EN: 0
; COMPUTE_PGM_RSRC2:USER_SGPR: 15
; COMPUTE_PGM_RSRC2:TRAP_HANDLER: 0
; COMPUTE_PGM_RSRC2:TGID_X_EN: 1
; COMPUTE_PGM_RSRC2:TGID_Y_EN: 0
; COMPUTE_PGM_RSRC2:TGID_Z_EN: 0
; COMPUTE_PGM_RSRC2:TIDIG_COMP_CNT: 0
	.section	.text._ZN7rocprim17ROCPRIM_400000_NS6detail17trampoline_kernelINS0_14default_configENS1_25partition_config_selectorILNS1_17partition_subalgoE9EllbEEZZNS1_14partition_implILS5_9ELb0ES3_jPlS8_PNS0_10empty_typeENS0_5tupleIJS8_S9_EEENSB_IJS8_SA_EEENS0_18inequality_wrapperIZN2at6native12_GLOBAL__N_124unique_dim_cuda_templateIN3c108BFloat16EEESt5tupleIJNSF_6TensorESM_SM_EERKSM_lbbbEUlllE0_EEPmJS9_EEE10hipError_tPvRmT3_T4_T5_T6_T7_T9_mT8_P12ihipStream_tbDpT10_ENKUlT_T0_E_clISt17integral_constantIbLb1EES1B_IbLb0EEEEDaS17_S18_EUlS17_E_NS1_11comp_targetILNS1_3genE3ELNS1_11target_archE908ELNS1_3gpuE7ELNS1_3repE0EEENS1_30default_config_static_selectorELNS0_4arch9wavefront6targetE0EEEvT1_,"axG",@progbits,_ZN7rocprim17ROCPRIM_400000_NS6detail17trampoline_kernelINS0_14default_configENS1_25partition_config_selectorILNS1_17partition_subalgoE9EllbEEZZNS1_14partition_implILS5_9ELb0ES3_jPlS8_PNS0_10empty_typeENS0_5tupleIJS8_S9_EEENSB_IJS8_SA_EEENS0_18inequality_wrapperIZN2at6native12_GLOBAL__N_124unique_dim_cuda_templateIN3c108BFloat16EEESt5tupleIJNSF_6TensorESM_SM_EERKSM_lbbbEUlllE0_EEPmJS9_EEE10hipError_tPvRmT3_T4_T5_T6_T7_T9_mT8_P12ihipStream_tbDpT10_ENKUlT_T0_E_clISt17integral_constantIbLb1EES1B_IbLb0EEEEDaS17_S18_EUlS17_E_NS1_11comp_targetILNS1_3genE3ELNS1_11target_archE908ELNS1_3gpuE7ELNS1_3repE0EEENS1_30default_config_static_selectorELNS0_4arch9wavefront6targetE0EEEvT1_,comdat
	.globl	_ZN7rocprim17ROCPRIM_400000_NS6detail17trampoline_kernelINS0_14default_configENS1_25partition_config_selectorILNS1_17partition_subalgoE9EllbEEZZNS1_14partition_implILS5_9ELb0ES3_jPlS8_PNS0_10empty_typeENS0_5tupleIJS8_S9_EEENSB_IJS8_SA_EEENS0_18inequality_wrapperIZN2at6native12_GLOBAL__N_124unique_dim_cuda_templateIN3c108BFloat16EEESt5tupleIJNSF_6TensorESM_SM_EERKSM_lbbbEUlllE0_EEPmJS9_EEE10hipError_tPvRmT3_T4_T5_T6_T7_T9_mT8_P12ihipStream_tbDpT10_ENKUlT_T0_E_clISt17integral_constantIbLb1EES1B_IbLb0EEEEDaS17_S18_EUlS17_E_NS1_11comp_targetILNS1_3genE3ELNS1_11target_archE908ELNS1_3gpuE7ELNS1_3repE0EEENS1_30default_config_static_selectorELNS0_4arch9wavefront6targetE0EEEvT1_ ; -- Begin function _ZN7rocprim17ROCPRIM_400000_NS6detail17trampoline_kernelINS0_14default_configENS1_25partition_config_selectorILNS1_17partition_subalgoE9EllbEEZZNS1_14partition_implILS5_9ELb0ES3_jPlS8_PNS0_10empty_typeENS0_5tupleIJS8_S9_EEENSB_IJS8_SA_EEENS0_18inequality_wrapperIZN2at6native12_GLOBAL__N_124unique_dim_cuda_templateIN3c108BFloat16EEESt5tupleIJNSF_6TensorESM_SM_EERKSM_lbbbEUlllE0_EEPmJS9_EEE10hipError_tPvRmT3_T4_T5_T6_T7_T9_mT8_P12ihipStream_tbDpT10_ENKUlT_T0_E_clISt17integral_constantIbLb1EES1B_IbLb0EEEEDaS17_S18_EUlS17_E_NS1_11comp_targetILNS1_3genE3ELNS1_11target_archE908ELNS1_3gpuE7ELNS1_3repE0EEENS1_30default_config_static_selectorELNS0_4arch9wavefront6targetE0EEEvT1_
	.p2align	8
	.type	_ZN7rocprim17ROCPRIM_400000_NS6detail17trampoline_kernelINS0_14default_configENS1_25partition_config_selectorILNS1_17partition_subalgoE9EllbEEZZNS1_14partition_implILS5_9ELb0ES3_jPlS8_PNS0_10empty_typeENS0_5tupleIJS8_S9_EEENSB_IJS8_SA_EEENS0_18inequality_wrapperIZN2at6native12_GLOBAL__N_124unique_dim_cuda_templateIN3c108BFloat16EEESt5tupleIJNSF_6TensorESM_SM_EERKSM_lbbbEUlllE0_EEPmJS9_EEE10hipError_tPvRmT3_T4_T5_T6_T7_T9_mT8_P12ihipStream_tbDpT10_ENKUlT_T0_E_clISt17integral_constantIbLb1EES1B_IbLb0EEEEDaS17_S18_EUlS17_E_NS1_11comp_targetILNS1_3genE3ELNS1_11target_archE908ELNS1_3gpuE7ELNS1_3repE0EEENS1_30default_config_static_selectorELNS0_4arch9wavefront6targetE0EEEvT1_,@function
_ZN7rocprim17ROCPRIM_400000_NS6detail17trampoline_kernelINS0_14default_configENS1_25partition_config_selectorILNS1_17partition_subalgoE9EllbEEZZNS1_14partition_implILS5_9ELb0ES3_jPlS8_PNS0_10empty_typeENS0_5tupleIJS8_S9_EEENSB_IJS8_SA_EEENS0_18inequality_wrapperIZN2at6native12_GLOBAL__N_124unique_dim_cuda_templateIN3c108BFloat16EEESt5tupleIJNSF_6TensorESM_SM_EERKSM_lbbbEUlllE0_EEPmJS9_EEE10hipError_tPvRmT3_T4_T5_T6_T7_T9_mT8_P12ihipStream_tbDpT10_ENKUlT_T0_E_clISt17integral_constantIbLb1EES1B_IbLb0EEEEDaS17_S18_EUlS17_E_NS1_11comp_targetILNS1_3genE3ELNS1_11target_archE908ELNS1_3gpuE7ELNS1_3repE0EEENS1_30default_config_static_selectorELNS0_4arch9wavefront6targetE0EEEvT1_: ; @_ZN7rocprim17ROCPRIM_400000_NS6detail17trampoline_kernelINS0_14default_configENS1_25partition_config_selectorILNS1_17partition_subalgoE9EllbEEZZNS1_14partition_implILS5_9ELb0ES3_jPlS8_PNS0_10empty_typeENS0_5tupleIJS8_S9_EEENSB_IJS8_SA_EEENS0_18inequality_wrapperIZN2at6native12_GLOBAL__N_124unique_dim_cuda_templateIN3c108BFloat16EEESt5tupleIJNSF_6TensorESM_SM_EERKSM_lbbbEUlllE0_EEPmJS9_EEE10hipError_tPvRmT3_T4_T5_T6_T7_T9_mT8_P12ihipStream_tbDpT10_ENKUlT_T0_E_clISt17integral_constantIbLb1EES1B_IbLb0EEEEDaS17_S18_EUlS17_E_NS1_11comp_targetILNS1_3genE3ELNS1_11target_archE908ELNS1_3gpuE7ELNS1_3repE0EEENS1_30default_config_static_selectorELNS0_4arch9wavefront6targetE0EEEvT1_
; %bb.0:
	.section	.rodata,"a",@progbits
	.p2align	6, 0x0
	.amdhsa_kernel _ZN7rocprim17ROCPRIM_400000_NS6detail17trampoline_kernelINS0_14default_configENS1_25partition_config_selectorILNS1_17partition_subalgoE9EllbEEZZNS1_14partition_implILS5_9ELb0ES3_jPlS8_PNS0_10empty_typeENS0_5tupleIJS8_S9_EEENSB_IJS8_SA_EEENS0_18inequality_wrapperIZN2at6native12_GLOBAL__N_124unique_dim_cuda_templateIN3c108BFloat16EEESt5tupleIJNSF_6TensorESM_SM_EERKSM_lbbbEUlllE0_EEPmJS9_EEE10hipError_tPvRmT3_T4_T5_T6_T7_T9_mT8_P12ihipStream_tbDpT10_ENKUlT_T0_E_clISt17integral_constantIbLb1EES1B_IbLb0EEEEDaS17_S18_EUlS17_E_NS1_11comp_targetILNS1_3genE3ELNS1_11target_archE908ELNS1_3gpuE7ELNS1_3repE0EEENS1_30default_config_static_selectorELNS0_4arch9wavefront6targetE0EEEvT1_
		.amdhsa_group_segment_fixed_size 0
		.amdhsa_private_segment_fixed_size 0
		.amdhsa_kernarg_size 120
		.amdhsa_user_sgpr_count 15
		.amdhsa_user_sgpr_dispatch_ptr 0
		.amdhsa_user_sgpr_queue_ptr 0
		.amdhsa_user_sgpr_kernarg_segment_ptr 1
		.amdhsa_user_sgpr_dispatch_id 0
		.amdhsa_user_sgpr_private_segment_size 0
		.amdhsa_wavefront_size32 1
		.amdhsa_uses_dynamic_stack 0
		.amdhsa_enable_private_segment 0
		.amdhsa_system_sgpr_workgroup_id_x 1
		.amdhsa_system_sgpr_workgroup_id_y 0
		.amdhsa_system_sgpr_workgroup_id_z 0
		.amdhsa_system_sgpr_workgroup_info 0
		.amdhsa_system_vgpr_workitem_id 0
		.amdhsa_next_free_vgpr 1
		.amdhsa_next_free_sgpr 1
		.amdhsa_reserve_vcc 0
		.amdhsa_float_round_mode_32 0
		.amdhsa_float_round_mode_16_64 0
		.amdhsa_float_denorm_mode_32 3
		.amdhsa_float_denorm_mode_16_64 3
		.amdhsa_dx10_clamp 1
		.amdhsa_ieee_mode 1
		.amdhsa_fp16_overflow 0
		.amdhsa_workgroup_processor_mode 1
		.amdhsa_memory_ordered 1
		.amdhsa_forward_progress 0
		.amdhsa_shared_vgpr_count 0
		.amdhsa_exception_fp_ieee_invalid_op 0
		.amdhsa_exception_fp_denorm_src 0
		.amdhsa_exception_fp_ieee_div_zero 0
		.amdhsa_exception_fp_ieee_overflow 0
		.amdhsa_exception_fp_ieee_underflow 0
		.amdhsa_exception_fp_ieee_inexact 0
		.amdhsa_exception_int_div_zero 0
	.end_amdhsa_kernel
	.section	.text._ZN7rocprim17ROCPRIM_400000_NS6detail17trampoline_kernelINS0_14default_configENS1_25partition_config_selectorILNS1_17partition_subalgoE9EllbEEZZNS1_14partition_implILS5_9ELb0ES3_jPlS8_PNS0_10empty_typeENS0_5tupleIJS8_S9_EEENSB_IJS8_SA_EEENS0_18inequality_wrapperIZN2at6native12_GLOBAL__N_124unique_dim_cuda_templateIN3c108BFloat16EEESt5tupleIJNSF_6TensorESM_SM_EERKSM_lbbbEUlllE0_EEPmJS9_EEE10hipError_tPvRmT3_T4_T5_T6_T7_T9_mT8_P12ihipStream_tbDpT10_ENKUlT_T0_E_clISt17integral_constantIbLb1EES1B_IbLb0EEEEDaS17_S18_EUlS17_E_NS1_11comp_targetILNS1_3genE3ELNS1_11target_archE908ELNS1_3gpuE7ELNS1_3repE0EEENS1_30default_config_static_selectorELNS0_4arch9wavefront6targetE0EEEvT1_,"axG",@progbits,_ZN7rocprim17ROCPRIM_400000_NS6detail17trampoline_kernelINS0_14default_configENS1_25partition_config_selectorILNS1_17partition_subalgoE9EllbEEZZNS1_14partition_implILS5_9ELb0ES3_jPlS8_PNS0_10empty_typeENS0_5tupleIJS8_S9_EEENSB_IJS8_SA_EEENS0_18inequality_wrapperIZN2at6native12_GLOBAL__N_124unique_dim_cuda_templateIN3c108BFloat16EEESt5tupleIJNSF_6TensorESM_SM_EERKSM_lbbbEUlllE0_EEPmJS9_EEE10hipError_tPvRmT3_T4_T5_T6_T7_T9_mT8_P12ihipStream_tbDpT10_ENKUlT_T0_E_clISt17integral_constantIbLb1EES1B_IbLb0EEEEDaS17_S18_EUlS17_E_NS1_11comp_targetILNS1_3genE3ELNS1_11target_archE908ELNS1_3gpuE7ELNS1_3repE0EEENS1_30default_config_static_selectorELNS0_4arch9wavefront6targetE0EEEvT1_,comdat
.Lfunc_end1224:
	.size	_ZN7rocprim17ROCPRIM_400000_NS6detail17trampoline_kernelINS0_14default_configENS1_25partition_config_selectorILNS1_17partition_subalgoE9EllbEEZZNS1_14partition_implILS5_9ELb0ES3_jPlS8_PNS0_10empty_typeENS0_5tupleIJS8_S9_EEENSB_IJS8_SA_EEENS0_18inequality_wrapperIZN2at6native12_GLOBAL__N_124unique_dim_cuda_templateIN3c108BFloat16EEESt5tupleIJNSF_6TensorESM_SM_EERKSM_lbbbEUlllE0_EEPmJS9_EEE10hipError_tPvRmT3_T4_T5_T6_T7_T9_mT8_P12ihipStream_tbDpT10_ENKUlT_T0_E_clISt17integral_constantIbLb1EES1B_IbLb0EEEEDaS17_S18_EUlS17_E_NS1_11comp_targetILNS1_3genE3ELNS1_11target_archE908ELNS1_3gpuE7ELNS1_3repE0EEENS1_30default_config_static_selectorELNS0_4arch9wavefront6targetE0EEEvT1_, .Lfunc_end1224-_ZN7rocprim17ROCPRIM_400000_NS6detail17trampoline_kernelINS0_14default_configENS1_25partition_config_selectorILNS1_17partition_subalgoE9EllbEEZZNS1_14partition_implILS5_9ELb0ES3_jPlS8_PNS0_10empty_typeENS0_5tupleIJS8_S9_EEENSB_IJS8_SA_EEENS0_18inequality_wrapperIZN2at6native12_GLOBAL__N_124unique_dim_cuda_templateIN3c108BFloat16EEESt5tupleIJNSF_6TensorESM_SM_EERKSM_lbbbEUlllE0_EEPmJS9_EEE10hipError_tPvRmT3_T4_T5_T6_T7_T9_mT8_P12ihipStream_tbDpT10_ENKUlT_T0_E_clISt17integral_constantIbLb1EES1B_IbLb0EEEEDaS17_S18_EUlS17_E_NS1_11comp_targetILNS1_3genE3ELNS1_11target_archE908ELNS1_3gpuE7ELNS1_3repE0EEENS1_30default_config_static_selectorELNS0_4arch9wavefront6targetE0EEEvT1_
                                        ; -- End function
	.section	.AMDGPU.csdata,"",@progbits
; Kernel info:
; codeLenInByte = 0
; NumSgprs: 0
; NumVgprs: 0
; ScratchSize: 0
; MemoryBound: 0
; FloatMode: 240
; IeeeMode: 1
; LDSByteSize: 0 bytes/workgroup (compile time only)
; SGPRBlocks: 0
; VGPRBlocks: 0
; NumSGPRsForWavesPerEU: 1
; NumVGPRsForWavesPerEU: 1
; Occupancy: 16
; WaveLimiterHint : 0
; COMPUTE_PGM_RSRC2:SCRATCH_EN: 0
; COMPUTE_PGM_RSRC2:USER_SGPR: 15
; COMPUTE_PGM_RSRC2:TRAP_HANDLER: 0
; COMPUTE_PGM_RSRC2:TGID_X_EN: 1
; COMPUTE_PGM_RSRC2:TGID_Y_EN: 0
; COMPUTE_PGM_RSRC2:TGID_Z_EN: 0
; COMPUTE_PGM_RSRC2:TIDIG_COMP_CNT: 0
	.section	.text._ZN7rocprim17ROCPRIM_400000_NS6detail17trampoline_kernelINS0_14default_configENS1_25partition_config_selectorILNS1_17partition_subalgoE9EllbEEZZNS1_14partition_implILS5_9ELb0ES3_jPlS8_PNS0_10empty_typeENS0_5tupleIJS8_S9_EEENSB_IJS8_SA_EEENS0_18inequality_wrapperIZN2at6native12_GLOBAL__N_124unique_dim_cuda_templateIN3c108BFloat16EEESt5tupleIJNSF_6TensorESM_SM_EERKSM_lbbbEUlllE0_EEPmJS9_EEE10hipError_tPvRmT3_T4_T5_T6_T7_T9_mT8_P12ihipStream_tbDpT10_ENKUlT_T0_E_clISt17integral_constantIbLb1EES1B_IbLb0EEEEDaS17_S18_EUlS17_E_NS1_11comp_targetILNS1_3genE2ELNS1_11target_archE906ELNS1_3gpuE6ELNS1_3repE0EEENS1_30default_config_static_selectorELNS0_4arch9wavefront6targetE0EEEvT1_,"axG",@progbits,_ZN7rocprim17ROCPRIM_400000_NS6detail17trampoline_kernelINS0_14default_configENS1_25partition_config_selectorILNS1_17partition_subalgoE9EllbEEZZNS1_14partition_implILS5_9ELb0ES3_jPlS8_PNS0_10empty_typeENS0_5tupleIJS8_S9_EEENSB_IJS8_SA_EEENS0_18inequality_wrapperIZN2at6native12_GLOBAL__N_124unique_dim_cuda_templateIN3c108BFloat16EEESt5tupleIJNSF_6TensorESM_SM_EERKSM_lbbbEUlllE0_EEPmJS9_EEE10hipError_tPvRmT3_T4_T5_T6_T7_T9_mT8_P12ihipStream_tbDpT10_ENKUlT_T0_E_clISt17integral_constantIbLb1EES1B_IbLb0EEEEDaS17_S18_EUlS17_E_NS1_11comp_targetILNS1_3genE2ELNS1_11target_archE906ELNS1_3gpuE6ELNS1_3repE0EEENS1_30default_config_static_selectorELNS0_4arch9wavefront6targetE0EEEvT1_,comdat
	.globl	_ZN7rocprim17ROCPRIM_400000_NS6detail17trampoline_kernelINS0_14default_configENS1_25partition_config_selectorILNS1_17partition_subalgoE9EllbEEZZNS1_14partition_implILS5_9ELb0ES3_jPlS8_PNS0_10empty_typeENS0_5tupleIJS8_S9_EEENSB_IJS8_SA_EEENS0_18inequality_wrapperIZN2at6native12_GLOBAL__N_124unique_dim_cuda_templateIN3c108BFloat16EEESt5tupleIJNSF_6TensorESM_SM_EERKSM_lbbbEUlllE0_EEPmJS9_EEE10hipError_tPvRmT3_T4_T5_T6_T7_T9_mT8_P12ihipStream_tbDpT10_ENKUlT_T0_E_clISt17integral_constantIbLb1EES1B_IbLb0EEEEDaS17_S18_EUlS17_E_NS1_11comp_targetILNS1_3genE2ELNS1_11target_archE906ELNS1_3gpuE6ELNS1_3repE0EEENS1_30default_config_static_selectorELNS0_4arch9wavefront6targetE0EEEvT1_ ; -- Begin function _ZN7rocprim17ROCPRIM_400000_NS6detail17trampoline_kernelINS0_14default_configENS1_25partition_config_selectorILNS1_17partition_subalgoE9EllbEEZZNS1_14partition_implILS5_9ELb0ES3_jPlS8_PNS0_10empty_typeENS0_5tupleIJS8_S9_EEENSB_IJS8_SA_EEENS0_18inequality_wrapperIZN2at6native12_GLOBAL__N_124unique_dim_cuda_templateIN3c108BFloat16EEESt5tupleIJNSF_6TensorESM_SM_EERKSM_lbbbEUlllE0_EEPmJS9_EEE10hipError_tPvRmT3_T4_T5_T6_T7_T9_mT8_P12ihipStream_tbDpT10_ENKUlT_T0_E_clISt17integral_constantIbLb1EES1B_IbLb0EEEEDaS17_S18_EUlS17_E_NS1_11comp_targetILNS1_3genE2ELNS1_11target_archE906ELNS1_3gpuE6ELNS1_3repE0EEENS1_30default_config_static_selectorELNS0_4arch9wavefront6targetE0EEEvT1_
	.p2align	8
	.type	_ZN7rocprim17ROCPRIM_400000_NS6detail17trampoline_kernelINS0_14default_configENS1_25partition_config_selectorILNS1_17partition_subalgoE9EllbEEZZNS1_14partition_implILS5_9ELb0ES3_jPlS8_PNS0_10empty_typeENS0_5tupleIJS8_S9_EEENSB_IJS8_SA_EEENS0_18inequality_wrapperIZN2at6native12_GLOBAL__N_124unique_dim_cuda_templateIN3c108BFloat16EEESt5tupleIJNSF_6TensorESM_SM_EERKSM_lbbbEUlllE0_EEPmJS9_EEE10hipError_tPvRmT3_T4_T5_T6_T7_T9_mT8_P12ihipStream_tbDpT10_ENKUlT_T0_E_clISt17integral_constantIbLb1EES1B_IbLb0EEEEDaS17_S18_EUlS17_E_NS1_11comp_targetILNS1_3genE2ELNS1_11target_archE906ELNS1_3gpuE6ELNS1_3repE0EEENS1_30default_config_static_selectorELNS0_4arch9wavefront6targetE0EEEvT1_,@function
_ZN7rocprim17ROCPRIM_400000_NS6detail17trampoline_kernelINS0_14default_configENS1_25partition_config_selectorILNS1_17partition_subalgoE9EllbEEZZNS1_14partition_implILS5_9ELb0ES3_jPlS8_PNS0_10empty_typeENS0_5tupleIJS8_S9_EEENSB_IJS8_SA_EEENS0_18inequality_wrapperIZN2at6native12_GLOBAL__N_124unique_dim_cuda_templateIN3c108BFloat16EEESt5tupleIJNSF_6TensorESM_SM_EERKSM_lbbbEUlllE0_EEPmJS9_EEE10hipError_tPvRmT3_T4_T5_T6_T7_T9_mT8_P12ihipStream_tbDpT10_ENKUlT_T0_E_clISt17integral_constantIbLb1EES1B_IbLb0EEEEDaS17_S18_EUlS17_E_NS1_11comp_targetILNS1_3genE2ELNS1_11target_archE906ELNS1_3gpuE6ELNS1_3repE0EEENS1_30default_config_static_selectorELNS0_4arch9wavefront6targetE0EEEvT1_: ; @_ZN7rocprim17ROCPRIM_400000_NS6detail17trampoline_kernelINS0_14default_configENS1_25partition_config_selectorILNS1_17partition_subalgoE9EllbEEZZNS1_14partition_implILS5_9ELb0ES3_jPlS8_PNS0_10empty_typeENS0_5tupleIJS8_S9_EEENSB_IJS8_SA_EEENS0_18inequality_wrapperIZN2at6native12_GLOBAL__N_124unique_dim_cuda_templateIN3c108BFloat16EEESt5tupleIJNSF_6TensorESM_SM_EERKSM_lbbbEUlllE0_EEPmJS9_EEE10hipError_tPvRmT3_T4_T5_T6_T7_T9_mT8_P12ihipStream_tbDpT10_ENKUlT_T0_E_clISt17integral_constantIbLb1EES1B_IbLb0EEEEDaS17_S18_EUlS17_E_NS1_11comp_targetILNS1_3genE2ELNS1_11target_archE906ELNS1_3gpuE6ELNS1_3repE0EEENS1_30default_config_static_selectorELNS0_4arch9wavefront6targetE0EEEvT1_
; %bb.0:
	.section	.rodata,"a",@progbits
	.p2align	6, 0x0
	.amdhsa_kernel _ZN7rocprim17ROCPRIM_400000_NS6detail17trampoline_kernelINS0_14default_configENS1_25partition_config_selectorILNS1_17partition_subalgoE9EllbEEZZNS1_14partition_implILS5_9ELb0ES3_jPlS8_PNS0_10empty_typeENS0_5tupleIJS8_S9_EEENSB_IJS8_SA_EEENS0_18inequality_wrapperIZN2at6native12_GLOBAL__N_124unique_dim_cuda_templateIN3c108BFloat16EEESt5tupleIJNSF_6TensorESM_SM_EERKSM_lbbbEUlllE0_EEPmJS9_EEE10hipError_tPvRmT3_T4_T5_T6_T7_T9_mT8_P12ihipStream_tbDpT10_ENKUlT_T0_E_clISt17integral_constantIbLb1EES1B_IbLb0EEEEDaS17_S18_EUlS17_E_NS1_11comp_targetILNS1_3genE2ELNS1_11target_archE906ELNS1_3gpuE6ELNS1_3repE0EEENS1_30default_config_static_selectorELNS0_4arch9wavefront6targetE0EEEvT1_
		.amdhsa_group_segment_fixed_size 0
		.amdhsa_private_segment_fixed_size 0
		.amdhsa_kernarg_size 120
		.amdhsa_user_sgpr_count 15
		.amdhsa_user_sgpr_dispatch_ptr 0
		.amdhsa_user_sgpr_queue_ptr 0
		.amdhsa_user_sgpr_kernarg_segment_ptr 1
		.amdhsa_user_sgpr_dispatch_id 0
		.amdhsa_user_sgpr_private_segment_size 0
		.amdhsa_wavefront_size32 1
		.amdhsa_uses_dynamic_stack 0
		.amdhsa_enable_private_segment 0
		.amdhsa_system_sgpr_workgroup_id_x 1
		.amdhsa_system_sgpr_workgroup_id_y 0
		.amdhsa_system_sgpr_workgroup_id_z 0
		.amdhsa_system_sgpr_workgroup_info 0
		.amdhsa_system_vgpr_workitem_id 0
		.amdhsa_next_free_vgpr 1
		.amdhsa_next_free_sgpr 1
		.amdhsa_reserve_vcc 0
		.amdhsa_float_round_mode_32 0
		.amdhsa_float_round_mode_16_64 0
		.amdhsa_float_denorm_mode_32 3
		.amdhsa_float_denorm_mode_16_64 3
		.amdhsa_dx10_clamp 1
		.amdhsa_ieee_mode 1
		.amdhsa_fp16_overflow 0
		.amdhsa_workgroup_processor_mode 1
		.amdhsa_memory_ordered 1
		.amdhsa_forward_progress 0
		.amdhsa_shared_vgpr_count 0
		.amdhsa_exception_fp_ieee_invalid_op 0
		.amdhsa_exception_fp_denorm_src 0
		.amdhsa_exception_fp_ieee_div_zero 0
		.amdhsa_exception_fp_ieee_overflow 0
		.amdhsa_exception_fp_ieee_underflow 0
		.amdhsa_exception_fp_ieee_inexact 0
		.amdhsa_exception_int_div_zero 0
	.end_amdhsa_kernel
	.section	.text._ZN7rocprim17ROCPRIM_400000_NS6detail17trampoline_kernelINS0_14default_configENS1_25partition_config_selectorILNS1_17partition_subalgoE9EllbEEZZNS1_14partition_implILS5_9ELb0ES3_jPlS8_PNS0_10empty_typeENS0_5tupleIJS8_S9_EEENSB_IJS8_SA_EEENS0_18inequality_wrapperIZN2at6native12_GLOBAL__N_124unique_dim_cuda_templateIN3c108BFloat16EEESt5tupleIJNSF_6TensorESM_SM_EERKSM_lbbbEUlllE0_EEPmJS9_EEE10hipError_tPvRmT3_T4_T5_T6_T7_T9_mT8_P12ihipStream_tbDpT10_ENKUlT_T0_E_clISt17integral_constantIbLb1EES1B_IbLb0EEEEDaS17_S18_EUlS17_E_NS1_11comp_targetILNS1_3genE2ELNS1_11target_archE906ELNS1_3gpuE6ELNS1_3repE0EEENS1_30default_config_static_selectorELNS0_4arch9wavefront6targetE0EEEvT1_,"axG",@progbits,_ZN7rocprim17ROCPRIM_400000_NS6detail17trampoline_kernelINS0_14default_configENS1_25partition_config_selectorILNS1_17partition_subalgoE9EllbEEZZNS1_14partition_implILS5_9ELb0ES3_jPlS8_PNS0_10empty_typeENS0_5tupleIJS8_S9_EEENSB_IJS8_SA_EEENS0_18inequality_wrapperIZN2at6native12_GLOBAL__N_124unique_dim_cuda_templateIN3c108BFloat16EEESt5tupleIJNSF_6TensorESM_SM_EERKSM_lbbbEUlllE0_EEPmJS9_EEE10hipError_tPvRmT3_T4_T5_T6_T7_T9_mT8_P12ihipStream_tbDpT10_ENKUlT_T0_E_clISt17integral_constantIbLb1EES1B_IbLb0EEEEDaS17_S18_EUlS17_E_NS1_11comp_targetILNS1_3genE2ELNS1_11target_archE906ELNS1_3gpuE6ELNS1_3repE0EEENS1_30default_config_static_selectorELNS0_4arch9wavefront6targetE0EEEvT1_,comdat
.Lfunc_end1225:
	.size	_ZN7rocprim17ROCPRIM_400000_NS6detail17trampoline_kernelINS0_14default_configENS1_25partition_config_selectorILNS1_17partition_subalgoE9EllbEEZZNS1_14partition_implILS5_9ELb0ES3_jPlS8_PNS0_10empty_typeENS0_5tupleIJS8_S9_EEENSB_IJS8_SA_EEENS0_18inequality_wrapperIZN2at6native12_GLOBAL__N_124unique_dim_cuda_templateIN3c108BFloat16EEESt5tupleIJNSF_6TensorESM_SM_EERKSM_lbbbEUlllE0_EEPmJS9_EEE10hipError_tPvRmT3_T4_T5_T6_T7_T9_mT8_P12ihipStream_tbDpT10_ENKUlT_T0_E_clISt17integral_constantIbLb1EES1B_IbLb0EEEEDaS17_S18_EUlS17_E_NS1_11comp_targetILNS1_3genE2ELNS1_11target_archE906ELNS1_3gpuE6ELNS1_3repE0EEENS1_30default_config_static_selectorELNS0_4arch9wavefront6targetE0EEEvT1_, .Lfunc_end1225-_ZN7rocprim17ROCPRIM_400000_NS6detail17trampoline_kernelINS0_14default_configENS1_25partition_config_selectorILNS1_17partition_subalgoE9EllbEEZZNS1_14partition_implILS5_9ELb0ES3_jPlS8_PNS0_10empty_typeENS0_5tupleIJS8_S9_EEENSB_IJS8_SA_EEENS0_18inequality_wrapperIZN2at6native12_GLOBAL__N_124unique_dim_cuda_templateIN3c108BFloat16EEESt5tupleIJNSF_6TensorESM_SM_EERKSM_lbbbEUlllE0_EEPmJS9_EEE10hipError_tPvRmT3_T4_T5_T6_T7_T9_mT8_P12ihipStream_tbDpT10_ENKUlT_T0_E_clISt17integral_constantIbLb1EES1B_IbLb0EEEEDaS17_S18_EUlS17_E_NS1_11comp_targetILNS1_3genE2ELNS1_11target_archE906ELNS1_3gpuE6ELNS1_3repE0EEENS1_30default_config_static_selectorELNS0_4arch9wavefront6targetE0EEEvT1_
                                        ; -- End function
	.section	.AMDGPU.csdata,"",@progbits
; Kernel info:
; codeLenInByte = 0
; NumSgprs: 0
; NumVgprs: 0
; ScratchSize: 0
; MemoryBound: 0
; FloatMode: 240
; IeeeMode: 1
; LDSByteSize: 0 bytes/workgroup (compile time only)
; SGPRBlocks: 0
; VGPRBlocks: 0
; NumSGPRsForWavesPerEU: 1
; NumVGPRsForWavesPerEU: 1
; Occupancy: 15
; WaveLimiterHint : 0
; COMPUTE_PGM_RSRC2:SCRATCH_EN: 0
; COMPUTE_PGM_RSRC2:USER_SGPR: 15
; COMPUTE_PGM_RSRC2:TRAP_HANDLER: 0
; COMPUTE_PGM_RSRC2:TGID_X_EN: 1
; COMPUTE_PGM_RSRC2:TGID_Y_EN: 0
; COMPUTE_PGM_RSRC2:TGID_Z_EN: 0
; COMPUTE_PGM_RSRC2:TIDIG_COMP_CNT: 0
	.section	.text._ZN7rocprim17ROCPRIM_400000_NS6detail17trampoline_kernelINS0_14default_configENS1_25partition_config_selectorILNS1_17partition_subalgoE9EllbEEZZNS1_14partition_implILS5_9ELb0ES3_jPlS8_PNS0_10empty_typeENS0_5tupleIJS8_S9_EEENSB_IJS8_SA_EEENS0_18inequality_wrapperIZN2at6native12_GLOBAL__N_124unique_dim_cuda_templateIN3c108BFloat16EEESt5tupleIJNSF_6TensorESM_SM_EERKSM_lbbbEUlllE0_EEPmJS9_EEE10hipError_tPvRmT3_T4_T5_T6_T7_T9_mT8_P12ihipStream_tbDpT10_ENKUlT_T0_E_clISt17integral_constantIbLb1EES1B_IbLb0EEEEDaS17_S18_EUlS17_E_NS1_11comp_targetILNS1_3genE10ELNS1_11target_archE1200ELNS1_3gpuE4ELNS1_3repE0EEENS1_30default_config_static_selectorELNS0_4arch9wavefront6targetE0EEEvT1_,"axG",@progbits,_ZN7rocprim17ROCPRIM_400000_NS6detail17trampoline_kernelINS0_14default_configENS1_25partition_config_selectorILNS1_17partition_subalgoE9EllbEEZZNS1_14partition_implILS5_9ELb0ES3_jPlS8_PNS0_10empty_typeENS0_5tupleIJS8_S9_EEENSB_IJS8_SA_EEENS0_18inequality_wrapperIZN2at6native12_GLOBAL__N_124unique_dim_cuda_templateIN3c108BFloat16EEESt5tupleIJNSF_6TensorESM_SM_EERKSM_lbbbEUlllE0_EEPmJS9_EEE10hipError_tPvRmT3_T4_T5_T6_T7_T9_mT8_P12ihipStream_tbDpT10_ENKUlT_T0_E_clISt17integral_constantIbLb1EES1B_IbLb0EEEEDaS17_S18_EUlS17_E_NS1_11comp_targetILNS1_3genE10ELNS1_11target_archE1200ELNS1_3gpuE4ELNS1_3repE0EEENS1_30default_config_static_selectorELNS0_4arch9wavefront6targetE0EEEvT1_,comdat
	.globl	_ZN7rocprim17ROCPRIM_400000_NS6detail17trampoline_kernelINS0_14default_configENS1_25partition_config_selectorILNS1_17partition_subalgoE9EllbEEZZNS1_14partition_implILS5_9ELb0ES3_jPlS8_PNS0_10empty_typeENS0_5tupleIJS8_S9_EEENSB_IJS8_SA_EEENS0_18inequality_wrapperIZN2at6native12_GLOBAL__N_124unique_dim_cuda_templateIN3c108BFloat16EEESt5tupleIJNSF_6TensorESM_SM_EERKSM_lbbbEUlllE0_EEPmJS9_EEE10hipError_tPvRmT3_T4_T5_T6_T7_T9_mT8_P12ihipStream_tbDpT10_ENKUlT_T0_E_clISt17integral_constantIbLb1EES1B_IbLb0EEEEDaS17_S18_EUlS17_E_NS1_11comp_targetILNS1_3genE10ELNS1_11target_archE1200ELNS1_3gpuE4ELNS1_3repE0EEENS1_30default_config_static_selectorELNS0_4arch9wavefront6targetE0EEEvT1_ ; -- Begin function _ZN7rocprim17ROCPRIM_400000_NS6detail17trampoline_kernelINS0_14default_configENS1_25partition_config_selectorILNS1_17partition_subalgoE9EllbEEZZNS1_14partition_implILS5_9ELb0ES3_jPlS8_PNS0_10empty_typeENS0_5tupleIJS8_S9_EEENSB_IJS8_SA_EEENS0_18inequality_wrapperIZN2at6native12_GLOBAL__N_124unique_dim_cuda_templateIN3c108BFloat16EEESt5tupleIJNSF_6TensorESM_SM_EERKSM_lbbbEUlllE0_EEPmJS9_EEE10hipError_tPvRmT3_T4_T5_T6_T7_T9_mT8_P12ihipStream_tbDpT10_ENKUlT_T0_E_clISt17integral_constantIbLb1EES1B_IbLb0EEEEDaS17_S18_EUlS17_E_NS1_11comp_targetILNS1_3genE10ELNS1_11target_archE1200ELNS1_3gpuE4ELNS1_3repE0EEENS1_30default_config_static_selectorELNS0_4arch9wavefront6targetE0EEEvT1_
	.p2align	8
	.type	_ZN7rocprim17ROCPRIM_400000_NS6detail17trampoline_kernelINS0_14default_configENS1_25partition_config_selectorILNS1_17partition_subalgoE9EllbEEZZNS1_14partition_implILS5_9ELb0ES3_jPlS8_PNS0_10empty_typeENS0_5tupleIJS8_S9_EEENSB_IJS8_SA_EEENS0_18inequality_wrapperIZN2at6native12_GLOBAL__N_124unique_dim_cuda_templateIN3c108BFloat16EEESt5tupleIJNSF_6TensorESM_SM_EERKSM_lbbbEUlllE0_EEPmJS9_EEE10hipError_tPvRmT3_T4_T5_T6_T7_T9_mT8_P12ihipStream_tbDpT10_ENKUlT_T0_E_clISt17integral_constantIbLb1EES1B_IbLb0EEEEDaS17_S18_EUlS17_E_NS1_11comp_targetILNS1_3genE10ELNS1_11target_archE1200ELNS1_3gpuE4ELNS1_3repE0EEENS1_30default_config_static_selectorELNS0_4arch9wavefront6targetE0EEEvT1_,@function
_ZN7rocprim17ROCPRIM_400000_NS6detail17trampoline_kernelINS0_14default_configENS1_25partition_config_selectorILNS1_17partition_subalgoE9EllbEEZZNS1_14partition_implILS5_9ELb0ES3_jPlS8_PNS0_10empty_typeENS0_5tupleIJS8_S9_EEENSB_IJS8_SA_EEENS0_18inequality_wrapperIZN2at6native12_GLOBAL__N_124unique_dim_cuda_templateIN3c108BFloat16EEESt5tupleIJNSF_6TensorESM_SM_EERKSM_lbbbEUlllE0_EEPmJS9_EEE10hipError_tPvRmT3_T4_T5_T6_T7_T9_mT8_P12ihipStream_tbDpT10_ENKUlT_T0_E_clISt17integral_constantIbLb1EES1B_IbLb0EEEEDaS17_S18_EUlS17_E_NS1_11comp_targetILNS1_3genE10ELNS1_11target_archE1200ELNS1_3gpuE4ELNS1_3repE0EEENS1_30default_config_static_selectorELNS0_4arch9wavefront6targetE0EEEvT1_: ; @_ZN7rocprim17ROCPRIM_400000_NS6detail17trampoline_kernelINS0_14default_configENS1_25partition_config_selectorILNS1_17partition_subalgoE9EllbEEZZNS1_14partition_implILS5_9ELb0ES3_jPlS8_PNS0_10empty_typeENS0_5tupleIJS8_S9_EEENSB_IJS8_SA_EEENS0_18inequality_wrapperIZN2at6native12_GLOBAL__N_124unique_dim_cuda_templateIN3c108BFloat16EEESt5tupleIJNSF_6TensorESM_SM_EERKSM_lbbbEUlllE0_EEPmJS9_EEE10hipError_tPvRmT3_T4_T5_T6_T7_T9_mT8_P12ihipStream_tbDpT10_ENKUlT_T0_E_clISt17integral_constantIbLb1EES1B_IbLb0EEEEDaS17_S18_EUlS17_E_NS1_11comp_targetILNS1_3genE10ELNS1_11target_archE1200ELNS1_3gpuE4ELNS1_3repE0EEENS1_30default_config_static_selectorELNS0_4arch9wavefront6targetE0EEEvT1_
; %bb.0:
	.section	.rodata,"a",@progbits
	.p2align	6, 0x0
	.amdhsa_kernel _ZN7rocprim17ROCPRIM_400000_NS6detail17trampoline_kernelINS0_14default_configENS1_25partition_config_selectorILNS1_17partition_subalgoE9EllbEEZZNS1_14partition_implILS5_9ELb0ES3_jPlS8_PNS0_10empty_typeENS0_5tupleIJS8_S9_EEENSB_IJS8_SA_EEENS0_18inequality_wrapperIZN2at6native12_GLOBAL__N_124unique_dim_cuda_templateIN3c108BFloat16EEESt5tupleIJNSF_6TensorESM_SM_EERKSM_lbbbEUlllE0_EEPmJS9_EEE10hipError_tPvRmT3_T4_T5_T6_T7_T9_mT8_P12ihipStream_tbDpT10_ENKUlT_T0_E_clISt17integral_constantIbLb1EES1B_IbLb0EEEEDaS17_S18_EUlS17_E_NS1_11comp_targetILNS1_3genE10ELNS1_11target_archE1200ELNS1_3gpuE4ELNS1_3repE0EEENS1_30default_config_static_selectorELNS0_4arch9wavefront6targetE0EEEvT1_
		.amdhsa_group_segment_fixed_size 0
		.amdhsa_private_segment_fixed_size 0
		.amdhsa_kernarg_size 120
		.amdhsa_user_sgpr_count 15
		.amdhsa_user_sgpr_dispatch_ptr 0
		.amdhsa_user_sgpr_queue_ptr 0
		.amdhsa_user_sgpr_kernarg_segment_ptr 1
		.amdhsa_user_sgpr_dispatch_id 0
		.amdhsa_user_sgpr_private_segment_size 0
		.amdhsa_wavefront_size32 1
		.amdhsa_uses_dynamic_stack 0
		.amdhsa_enable_private_segment 0
		.amdhsa_system_sgpr_workgroup_id_x 1
		.amdhsa_system_sgpr_workgroup_id_y 0
		.amdhsa_system_sgpr_workgroup_id_z 0
		.amdhsa_system_sgpr_workgroup_info 0
		.amdhsa_system_vgpr_workitem_id 0
		.amdhsa_next_free_vgpr 1
		.amdhsa_next_free_sgpr 1
		.amdhsa_reserve_vcc 0
		.amdhsa_float_round_mode_32 0
		.amdhsa_float_round_mode_16_64 0
		.amdhsa_float_denorm_mode_32 3
		.amdhsa_float_denorm_mode_16_64 3
		.amdhsa_dx10_clamp 1
		.amdhsa_ieee_mode 1
		.amdhsa_fp16_overflow 0
		.amdhsa_workgroup_processor_mode 1
		.amdhsa_memory_ordered 1
		.amdhsa_forward_progress 0
		.amdhsa_shared_vgpr_count 0
		.amdhsa_exception_fp_ieee_invalid_op 0
		.amdhsa_exception_fp_denorm_src 0
		.amdhsa_exception_fp_ieee_div_zero 0
		.amdhsa_exception_fp_ieee_overflow 0
		.amdhsa_exception_fp_ieee_underflow 0
		.amdhsa_exception_fp_ieee_inexact 0
		.amdhsa_exception_int_div_zero 0
	.end_amdhsa_kernel
	.section	.text._ZN7rocprim17ROCPRIM_400000_NS6detail17trampoline_kernelINS0_14default_configENS1_25partition_config_selectorILNS1_17partition_subalgoE9EllbEEZZNS1_14partition_implILS5_9ELb0ES3_jPlS8_PNS0_10empty_typeENS0_5tupleIJS8_S9_EEENSB_IJS8_SA_EEENS0_18inequality_wrapperIZN2at6native12_GLOBAL__N_124unique_dim_cuda_templateIN3c108BFloat16EEESt5tupleIJNSF_6TensorESM_SM_EERKSM_lbbbEUlllE0_EEPmJS9_EEE10hipError_tPvRmT3_T4_T5_T6_T7_T9_mT8_P12ihipStream_tbDpT10_ENKUlT_T0_E_clISt17integral_constantIbLb1EES1B_IbLb0EEEEDaS17_S18_EUlS17_E_NS1_11comp_targetILNS1_3genE10ELNS1_11target_archE1200ELNS1_3gpuE4ELNS1_3repE0EEENS1_30default_config_static_selectorELNS0_4arch9wavefront6targetE0EEEvT1_,"axG",@progbits,_ZN7rocprim17ROCPRIM_400000_NS6detail17trampoline_kernelINS0_14default_configENS1_25partition_config_selectorILNS1_17partition_subalgoE9EllbEEZZNS1_14partition_implILS5_9ELb0ES3_jPlS8_PNS0_10empty_typeENS0_5tupleIJS8_S9_EEENSB_IJS8_SA_EEENS0_18inequality_wrapperIZN2at6native12_GLOBAL__N_124unique_dim_cuda_templateIN3c108BFloat16EEESt5tupleIJNSF_6TensorESM_SM_EERKSM_lbbbEUlllE0_EEPmJS9_EEE10hipError_tPvRmT3_T4_T5_T6_T7_T9_mT8_P12ihipStream_tbDpT10_ENKUlT_T0_E_clISt17integral_constantIbLb1EES1B_IbLb0EEEEDaS17_S18_EUlS17_E_NS1_11comp_targetILNS1_3genE10ELNS1_11target_archE1200ELNS1_3gpuE4ELNS1_3repE0EEENS1_30default_config_static_selectorELNS0_4arch9wavefront6targetE0EEEvT1_,comdat
.Lfunc_end1226:
	.size	_ZN7rocprim17ROCPRIM_400000_NS6detail17trampoline_kernelINS0_14default_configENS1_25partition_config_selectorILNS1_17partition_subalgoE9EllbEEZZNS1_14partition_implILS5_9ELb0ES3_jPlS8_PNS0_10empty_typeENS0_5tupleIJS8_S9_EEENSB_IJS8_SA_EEENS0_18inequality_wrapperIZN2at6native12_GLOBAL__N_124unique_dim_cuda_templateIN3c108BFloat16EEESt5tupleIJNSF_6TensorESM_SM_EERKSM_lbbbEUlllE0_EEPmJS9_EEE10hipError_tPvRmT3_T4_T5_T6_T7_T9_mT8_P12ihipStream_tbDpT10_ENKUlT_T0_E_clISt17integral_constantIbLb1EES1B_IbLb0EEEEDaS17_S18_EUlS17_E_NS1_11comp_targetILNS1_3genE10ELNS1_11target_archE1200ELNS1_3gpuE4ELNS1_3repE0EEENS1_30default_config_static_selectorELNS0_4arch9wavefront6targetE0EEEvT1_, .Lfunc_end1226-_ZN7rocprim17ROCPRIM_400000_NS6detail17trampoline_kernelINS0_14default_configENS1_25partition_config_selectorILNS1_17partition_subalgoE9EllbEEZZNS1_14partition_implILS5_9ELb0ES3_jPlS8_PNS0_10empty_typeENS0_5tupleIJS8_S9_EEENSB_IJS8_SA_EEENS0_18inequality_wrapperIZN2at6native12_GLOBAL__N_124unique_dim_cuda_templateIN3c108BFloat16EEESt5tupleIJNSF_6TensorESM_SM_EERKSM_lbbbEUlllE0_EEPmJS9_EEE10hipError_tPvRmT3_T4_T5_T6_T7_T9_mT8_P12ihipStream_tbDpT10_ENKUlT_T0_E_clISt17integral_constantIbLb1EES1B_IbLb0EEEEDaS17_S18_EUlS17_E_NS1_11comp_targetILNS1_3genE10ELNS1_11target_archE1200ELNS1_3gpuE4ELNS1_3repE0EEENS1_30default_config_static_selectorELNS0_4arch9wavefront6targetE0EEEvT1_
                                        ; -- End function
	.section	.AMDGPU.csdata,"",@progbits
; Kernel info:
; codeLenInByte = 0
; NumSgprs: 0
; NumVgprs: 0
; ScratchSize: 0
; MemoryBound: 0
; FloatMode: 240
; IeeeMode: 1
; LDSByteSize: 0 bytes/workgroup (compile time only)
; SGPRBlocks: 0
; VGPRBlocks: 0
; NumSGPRsForWavesPerEU: 1
; NumVGPRsForWavesPerEU: 1
; Occupancy: 15
; WaveLimiterHint : 0
; COMPUTE_PGM_RSRC2:SCRATCH_EN: 0
; COMPUTE_PGM_RSRC2:USER_SGPR: 15
; COMPUTE_PGM_RSRC2:TRAP_HANDLER: 0
; COMPUTE_PGM_RSRC2:TGID_X_EN: 1
; COMPUTE_PGM_RSRC2:TGID_Y_EN: 0
; COMPUTE_PGM_RSRC2:TGID_Z_EN: 0
; COMPUTE_PGM_RSRC2:TIDIG_COMP_CNT: 0
	.section	.text._ZN7rocprim17ROCPRIM_400000_NS6detail17trampoline_kernelINS0_14default_configENS1_25partition_config_selectorILNS1_17partition_subalgoE9EllbEEZZNS1_14partition_implILS5_9ELb0ES3_jPlS8_PNS0_10empty_typeENS0_5tupleIJS8_S9_EEENSB_IJS8_SA_EEENS0_18inequality_wrapperIZN2at6native12_GLOBAL__N_124unique_dim_cuda_templateIN3c108BFloat16EEESt5tupleIJNSF_6TensorESM_SM_EERKSM_lbbbEUlllE0_EEPmJS9_EEE10hipError_tPvRmT3_T4_T5_T6_T7_T9_mT8_P12ihipStream_tbDpT10_ENKUlT_T0_E_clISt17integral_constantIbLb1EES1B_IbLb0EEEEDaS17_S18_EUlS17_E_NS1_11comp_targetILNS1_3genE9ELNS1_11target_archE1100ELNS1_3gpuE3ELNS1_3repE0EEENS1_30default_config_static_selectorELNS0_4arch9wavefront6targetE0EEEvT1_,"axG",@progbits,_ZN7rocprim17ROCPRIM_400000_NS6detail17trampoline_kernelINS0_14default_configENS1_25partition_config_selectorILNS1_17partition_subalgoE9EllbEEZZNS1_14partition_implILS5_9ELb0ES3_jPlS8_PNS0_10empty_typeENS0_5tupleIJS8_S9_EEENSB_IJS8_SA_EEENS0_18inequality_wrapperIZN2at6native12_GLOBAL__N_124unique_dim_cuda_templateIN3c108BFloat16EEESt5tupleIJNSF_6TensorESM_SM_EERKSM_lbbbEUlllE0_EEPmJS9_EEE10hipError_tPvRmT3_T4_T5_T6_T7_T9_mT8_P12ihipStream_tbDpT10_ENKUlT_T0_E_clISt17integral_constantIbLb1EES1B_IbLb0EEEEDaS17_S18_EUlS17_E_NS1_11comp_targetILNS1_3genE9ELNS1_11target_archE1100ELNS1_3gpuE3ELNS1_3repE0EEENS1_30default_config_static_selectorELNS0_4arch9wavefront6targetE0EEEvT1_,comdat
	.globl	_ZN7rocprim17ROCPRIM_400000_NS6detail17trampoline_kernelINS0_14default_configENS1_25partition_config_selectorILNS1_17partition_subalgoE9EllbEEZZNS1_14partition_implILS5_9ELb0ES3_jPlS8_PNS0_10empty_typeENS0_5tupleIJS8_S9_EEENSB_IJS8_SA_EEENS0_18inequality_wrapperIZN2at6native12_GLOBAL__N_124unique_dim_cuda_templateIN3c108BFloat16EEESt5tupleIJNSF_6TensorESM_SM_EERKSM_lbbbEUlllE0_EEPmJS9_EEE10hipError_tPvRmT3_T4_T5_T6_T7_T9_mT8_P12ihipStream_tbDpT10_ENKUlT_T0_E_clISt17integral_constantIbLb1EES1B_IbLb0EEEEDaS17_S18_EUlS17_E_NS1_11comp_targetILNS1_3genE9ELNS1_11target_archE1100ELNS1_3gpuE3ELNS1_3repE0EEENS1_30default_config_static_selectorELNS0_4arch9wavefront6targetE0EEEvT1_ ; -- Begin function _ZN7rocprim17ROCPRIM_400000_NS6detail17trampoline_kernelINS0_14default_configENS1_25partition_config_selectorILNS1_17partition_subalgoE9EllbEEZZNS1_14partition_implILS5_9ELb0ES3_jPlS8_PNS0_10empty_typeENS0_5tupleIJS8_S9_EEENSB_IJS8_SA_EEENS0_18inequality_wrapperIZN2at6native12_GLOBAL__N_124unique_dim_cuda_templateIN3c108BFloat16EEESt5tupleIJNSF_6TensorESM_SM_EERKSM_lbbbEUlllE0_EEPmJS9_EEE10hipError_tPvRmT3_T4_T5_T6_T7_T9_mT8_P12ihipStream_tbDpT10_ENKUlT_T0_E_clISt17integral_constantIbLb1EES1B_IbLb0EEEEDaS17_S18_EUlS17_E_NS1_11comp_targetILNS1_3genE9ELNS1_11target_archE1100ELNS1_3gpuE3ELNS1_3repE0EEENS1_30default_config_static_selectorELNS0_4arch9wavefront6targetE0EEEvT1_
	.p2align	8
	.type	_ZN7rocprim17ROCPRIM_400000_NS6detail17trampoline_kernelINS0_14default_configENS1_25partition_config_selectorILNS1_17partition_subalgoE9EllbEEZZNS1_14partition_implILS5_9ELb0ES3_jPlS8_PNS0_10empty_typeENS0_5tupleIJS8_S9_EEENSB_IJS8_SA_EEENS0_18inequality_wrapperIZN2at6native12_GLOBAL__N_124unique_dim_cuda_templateIN3c108BFloat16EEESt5tupleIJNSF_6TensorESM_SM_EERKSM_lbbbEUlllE0_EEPmJS9_EEE10hipError_tPvRmT3_T4_T5_T6_T7_T9_mT8_P12ihipStream_tbDpT10_ENKUlT_T0_E_clISt17integral_constantIbLb1EES1B_IbLb0EEEEDaS17_S18_EUlS17_E_NS1_11comp_targetILNS1_3genE9ELNS1_11target_archE1100ELNS1_3gpuE3ELNS1_3repE0EEENS1_30default_config_static_selectorELNS0_4arch9wavefront6targetE0EEEvT1_,@function
_ZN7rocprim17ROCPRIM_400000_NS6detail17trampoline_kernelINS0_14default_configENS1_25partition_config_selectorILNS1_17partition_subalgoE9EllbEEZZNS1_14partition_implILS5_9ELb0ES3_jPlS8_PNS0_10empty_typeENS0_5tupleIJS8_S9_EEENSB_IJS8_SA_EEENS0_18inequality_wrapperIZN2at6native12_GLOBAL__N_124unique_dim_cuda_templateIN3c108BFloat16EEESt5tupleIJNSF_6TensorESM_SM_EERKSM_lbbbEUlllE0_EEPmJS9_EEE10hipError_tPvRmT3_T4_T5_T6_T7_T9_mT8_P12ihipStream_tbDpT10_ENKUlT_T0_E_clISt17integral_constantIbLb1EES1B_IbLb0EEEEDaS17_S18_EUlS17_E_NS1_11comp_targetILNS1_3genE9ELNS1_11target_archE1100ELNS1_3gpuE3ELNS1_3repE0EEENS1_30default_config_static_selectorELNS0_4arch9wavefront6targetE0EEEvT1_: ; @_ZN7rocprim17ROCPRIM_400000_NS6detail17trampoline_kernelINS0_14default_configENS1_25partition_config_selectorILNS1_17partition_subalgoE9EllbEEZZNS1_14partition_implILS5_9ELb0ES3_jPlS8_PNS0_10empty_typeENS0_5tupleIJS8_S9_EEENSB_IJS8_SA_EEENS0_18inequality_wrapperIZN2at6native12_GLOBAL__N_124unique_dim_cuda_templateIN3c108BFloat16EEESt5tupleIJNSF_6TensorESM_SM_EERKSM_lbbbEUlllE0_EEPmJS9_EEE10hipError_tPvRmT3_T4_T5_T6_T7_T9_mT8_P12ihipStream_tbDpT10_ENKUlT_T0_E_clISt17integral_constantIbLb1EES1B_IbLb0EEEEDaS17_S18_EUlS17_E_NS1_11comp_targetILNS1_3genE9ELNS1_11target_archE1100ELNS1_3gpuE3ELNS1_3repE0EEENS1_30default_config_static_selectorELNS0_4arch9wavefront6targetE0EEEvT1_
; %bb.0:
	s_clause 0x3
	s_load_b128 s[4:7], s[0:1], 0x8
	s_load_b32 s8, s[0:1], 0x70
	s_load_b256 s[16:23], s[0:1], 0x40
	s_load_b64 s[24:25], s[0:1], 0x18
	s_mov_b32 s3, 0
	v_lshlrev_b32_e32 v55, 3, v0
	v_lshrrev_b32_e32 v33, 2, v0
	v_or_b32_e32 v38, 0x200, v0
	v_or_b32_e32 v36, 0x400, v0
	;; [unrolled: 1-line block ×7, first 2 shown]
	s_waitcnt lgkmcnt(0)
	s_lshl_b64 s[26:27], s[6:7], 3
	s_delay_alu instid0(SALU_CYCLE_1)
	s_add_u32 s9, s4, s26
	s_addc_u32 s10, s5, s27
	s_add_i32 s11, s8, -1
	s_load_b64 s[12:13], s[18:19], 0x0
	s_lshl_b32 s4, s11, 12
	s_lshl_b32 s5, s8, 12
	s_add_i32 s4, s6, s4
	s_lshl_b32 s2, s15, 12
	s_sub_i32 s28, s20, s4
	s_add_u32 s4, s6, s5
	s_addc_u32 s5, s7, 0
	s_cmp_eq_u32 s15, s11
	v_cmp_ge_u64_e64 s4, s[4:5], s[20:21]
	s_cselect_b32 s14, -1, 0
	s_lshl_b64 s[18:19], s[2:3], 3
	s_mov_b32 s3, -1
	s_delay_alu instid0(VALU_DEP_1) | instskip(NEXT) | instid1(SALU_CYCLE_1)
	s_and_b32 s21, s14, s4
	s_xor_b32 s20, s21, -1
	s_add_u32 s4, s9, s18
	s_addc_u32 s5, s10, s19
	s_and_b32 vcc_lo, exec_lo, s20
	s_cbranch_vccz .LBB1227_2
; %bb.1:
	v_add_co_u32 v9, s2, s4, v55
	s_delay_alu instid0(VALU_DEP_1)
	v_add_co_ci_u32_e64 v10, null, s5, 0, s2
	global_load_b64 v[1:2], v55, s[4:5]
	v_add_co_u32 v3, vcc_lo, v9, 0x2000
	v_add_co_ci_u32_e32 v4, vcc_lo, 0, v10, vcc_lo
	v_add_co_u32 v5, vcc_lo, v9, 0x4000
	v_add_co_ci_u32_e32 v6, vcc_lo, 0, v10, vcc_lo
	;; [unrolled: 2-line block ×4, first 2 shown]
	s_clause 0x6
	global_load_b64 v[11:12], v[3:4], off offset:-4096
	global_load_b64 v[3:4], v[3:4], off
	global_load_b64 v[13:14], v[5:6], off offset:-4096
	global_load_b64 v[5:6], v[5:6], off
	;; [unrolled: 2-line block ×3, first 2 shown]
	global_load_b64 v[9:10], v[9:10], off
	v_lshrrev_b32_e32 v18, 2, v38
	v_lshrrev_b32_e32 v19, 2, v36
	;; [unrolled: 1-line block ×4, first 2 shown]
	v_and_b32_e32 v17, 0x78, v33
	v_lshrrev_b32_e32 v22, 2, v37
	v_lshrrev_b32_e32 v23, 2, v34
	;; [unrolled: 1-line block ×3, first 2 shown]
	v_and_b32_e32 v18, 0xf8, v18
	v_and_b32_e32 v19, 0x178, v19
	;; [unrolled: 1-line block ×4, first 2 shown]
	v_add_nc_u32_e32 v17, v17, v55
	v_and_b32_e32 v22, 0x2f8, v22
	v_and_b32_e32 v23, 0x378, v23
	;; [unrolled: 1-line block ×3, first 2 shown]
	v_add_nc_u32_e32 v18, v18, v55
	v_add_nc_u32_e32 v19, v19, v55
	;; [unrolled: 1-line block ×4, first 2 shown]
	s_mov_b32 s3, 0
	v_add_nc_u32_e32 v22, v22, v55
	v_add_nc_u32_e32 v23, v23, v55
	;; [unrolled: 1-line block ×3, first 2 shown]
	s_waitcnt vmcnt(7)
	ds_store_b64 v17, v[1:2]
	s_waitcnt vmcnt(6)
	ds_store_b64 v18, v[11:12] offset:4096
	s_waitcnt vmcnt(5)
	ds_store_b64 v19, v[3:4] offset:8192
	;; [unrolled: 2-line block ×7, first 2 shown]
	s_waitcnt lgkmcnt(0)
	s_barrier
.LBB1227_2:
	s_load_b128 s[8:11], s[0:1], 0x60
	v_cmp_gt_u32_e64 s2, s28, v0
	s_and_not1_b32 vcc_lo, exec_lo, s3
	s_cbranch_vccnz .LBB1227_20
; %bb.3:
                                        ; implicit-def: $vgpr1_vgpr2_vgpr3_vgpr4_vgpr5_vgpr6_vgpr7_vgpr8_vgpr9_vgpr10_vgpr11_vgpr12_vgpr13_vgpr14_vgpr15_vgpr16
	s_delay_alu instid0(VALU_DEP_1)
	s_and_saveexec_b32 s3, s2
	s_cbranch_execz .LBB1227_11
; %bb.4:
	global_load_b64 v[1:2], v55, s[4:5]
	s_or_b32 exec_lo, exec_lo, s3
	s_delay_alu instid0(SALU_CYCLE_1)
	s_mov_b32 s2, exec_lo
	v_cmpx_gt_u32_e64 s28, v38
	s_cbranch_execnz .LBB1227_12
.LBB1227_5:
	s_or_b32 exec_lo, exec_lo, s2
	s_delay_alu instid0(SALU_CYCLE_1)
	s_mov_b32 s2, exec_lo
	v_cmpx_gt_u32_e64 s28, v36
	s_cbranch_execz .LBB1227_13
.LBB1227_6:
	v_lshlrev_b32_e32 v5, 3, v36
	global_load_b64 v[5:6], v5, s[4:5]
	s_or_b32 exec_lo, exec_lo, s2
	s_delay_alu instid0(SALU_CYCLE_1)
	s_mov_b32 s2, exec_lo
	v_cmpx_gt_u32_e64 s28, v40
	s_cbranch_execnz .LBB1227_14
.LBB1227_7:
	s_or_b32 exec_lo, exec_lo, s2
	s_delay_alu instid0(SALU_CYCLE_1)
	s_mov_b32 s2, exec_lo
	v_cmpx_gt_u32_e64 s28, v39
	s_cbranch_execz .LBB1227_15
.LBB1227_8:
	v_lshlrev_b32_e32 v9, 3, v39
	global_load_b64 v[9:10], v9, s[4:5]
	s_or_b32 exec_lo, exec_lo, s2
	s_delay_alu instid0(SALU_CYCLE_1)
	s_mov_b32 s2, exec_lo
	v_cmpx_gt_u32_e64 s28, v37
	s_cbranch_execnz .LBB1227_16
.LBB1227_9:
	s_or_b32 exec_lo, exec_lo, s2
	s_delay_alu instid0(SALU_CYCLE_1)
	s_mov_b32 s2, exec_lo
	v_cmpx_gt_u32_e64 s28, v34
	s_cbranch_execz .LBB1227_17
.LBB1227_10:
	v_lshlrev_b32_e32 v13, 3, v34
	global_load_b64 v[13:14], v13, s[4:5]
	s_or_b32 exec_lo, exec_lo, s2
	s_delay_alu instid0(SALU_CYCLE_1)
	s_mov_b32 s2, exec_lo
	v_cmpx_gt_u32_e64 s28, v35
	s_cbranch_execnz .LBB1227_18
	s_branch .LBB1227_19
.LBB1227_11:
	s_or_b32 exec_lo, exec_lo, s3
	s_delay_alu instid0(SALU_CYCLE_1)
	s_mov_b32 s2, exec_lo
	v_cmpx_gt_u32_e64 s28, v38
	s_cbranch_execz .LBB1227_5
.LBB1227_12:
	v_lshlrev_b32_e32 v3, 3, v38
	global_load_b64 v[3:4], v3, s[4:5]
	s_or_b32 exec_lo, exec_lo, s2
	s_delay_alu instid0(SALU_CYCLE_1)
	s_mov_b32 s2, exec_lo
	v_cmpx_gt_u32_e64 s28, v36
	s_cbranch_execnz .LBB1227_6
.LBB1227_13:
	s_or_b32 exec_lo, exec_lo, s2
	s_delay_alu instid0(SALU_CYCLE_1)
	s_mov_b32 s2, exec_lo
	v_cmpx_gt_u32_e64 s28, v40
	s_cbranch_execz .LBB1227_7
.LBB1227_14:
	v_lshlrev_b32_e32 v7, 3, v40
	global_load_b64 v[7:8], v7, s[4:5]
	s_or_b32 exec_lo, exec_lo, s2
	s_delay_alu instid0(SALU_CYCLE_1)
	s_mov_b32 s2, exec_lo
	v_cmpx_gt_u32_e64 s28, v39
	s_cbranch_execnz .LBB1227_8
.LBB1227_15:
	s_or_b32 exec_lo, exec_lo, s2
	s_delay_alu instid0(SALU_CYCLE_1)
	s_mov_b32 s2, exec_lo
	v_cmpx_gt_u32_e64 s28, v37
	s_cbranch_execz .LBB1227_9
.LBB1227_16:
	v_lshlrev_b32_e32 v11, 3, v37
	global_load_b64 v[11:12], v11, s[4:5]
	s_or_b32 exec_lo, exec_lo, s2
	s_delay_alu instid0(SALU_CYCLE_1)
	s_mov_b32 s2, exec_lo
	v_cmpx_gt_u32_e64 s28, v34
	s_cbranch_execnz .LBB1227_10
.LBB1227_17:
	s_or_b32 exec_lo, exec_lo, s2
	s_delay_alu instid0(SALU_CYCLE_1)
	s_mov_b32 s2, exec_lo
	v_cmpx_gt_u32_e64 s28, v35
	s_cbranch_execz .LBB1227_19
.LBB1227_18:
	v_lshlrev_b32_e32 v15, 3, v35
	global_load_b64 v[15:16], v15, s[4:5]
.LBB1227_19:
	s_or_b32 exec_lo, exec_lo, s2
	v_lshrrev_b32_e32 v17, 2, v38
	v_lshrrev_b32_e32 v18, 2, v36
	;; [unrolled: 1-line block ×4, first 2 shown]
	v_and_b32_e32 v19, 0x78, v33
	v_lshrrev_b32_e32 v22, 2, v37
	v_lshrrev_b32_e32 v23, 2, v34
	;; [unrolled: 1-line block ×3, first 2 shown]
	v_and_b32_e32 v17, 0xf8, v17
	v_and_b32_e32 v18, 0x1f8, v18
	;; [unrolled: 1-line block ×4, first 2 shown]
	v_add_nc_u32_e32 v19, v19, v55
	v_and_b32_e32 v22, 0x3f8, v22
	v_and_b32_e32 v23, 0x3f8, v23
	;; [unrolled: 1-line block ×3, first 2 shown]
	v_add_nc_u32_e32 v17, v17, v55
	v_add_nc_u32_e32 v18, v18, v55
	;; [unrolled: 1-line block ×7, first 2 shown]
	s_waitcnt vmcnt(0)
	ds_store_b64 v19, v[1:2]
	ds_store_b64 v17, v[3:4] offset:4096
	ds_store_b64 v18, v[5:6] offset:8192
	;; [unrolled: 1-line block ×7, first 2 shown]
	s_waitcnt lgkmcnt(0)
	s_barrier
.LBB1227_20:
	v_add_lshl_u32 v41, v33, v55, 3
	s_waitcnt lgkmcnt(0)
	buffer_gl0_inv
	s_add_u32 s2, s24, s26
	s_addc_u32 s3, s25, s27
	s_add_u32 s2, s2, s18
	ds_load_2addr_b64 v[29:32], v41 offset1:1
	ds_load_2addr_b64 v[25:28], v41 offset0:2 offset1:3
	ds_load_2addr_b64 v[21:24], v41 offset0:4 offset1:5
	;; [unrolled: 1-line block ×3, first 2 shown]
	s_addc_u32 s3, s3, s19
	s_and_b32 vcc_lo, exec_lo, s20
	s_mov_b32 s18, -1
	s_waitcnt lgkmcnt(0)
	s_barrier
	buffer_gl0_inv
	s_cbranch_vccz .LBB1227_22
; %bb.21:
	v_add_co_u32 v9, s18, s2, v55
	s_delay_alu instid0(VALU_DEP_1)
	v_add_co_ci_u32_e64 v10, null, s3, 0, s18
	global_load_b64 v[1:2], v55, s[2:3]
	v_add_co_u32 v3, vcc_lo, v9, 0x2000
	v_add_co_ci_u32_e32 v4, vcc_lo, 0, v10, vcc_lo
	v_add_co_u32 v5, vcc_lo, v9, 0x4000
	v_add_co_ci_u32_e32 v6, vcc_lo, 0, v10, vcc_lo
	;; [unrolled: 2-line block ×4, first 2 shown]
	s_clause 0x6
	global_load_b64 v[11:12], v[3:4], off offset:-4096
	global_load_b64 v[3:4], v[3:4], off
	global_load_b64 v[13:14], v[5:6], off offset:-4096
	global_load_b64 v[5:6], v[5:6], off
	;; [unrolled: 2-line block ×3, first 2 shown]
	global_load_b64 v[9:10], v[9:10], off
	v_lshrrev_b32_e32 v43, 2, v38
	v_lshrrev_b32_e32 v44, 2, v36
	;; [unrolled: 1-line block ×4, first 2 shown]
	v_and_b32_e32 v42, 0x78, v33
	v_lshrrev_b32_e32 v47, 2, v37
	v_lshrrev_b32_e32 v48, 2, v34
	;; [unrolled: 1-line block ×3, first 2 shown]
	v_and_b32_e32 v43, 0xf8, v43
	v_and_b32_e32 v44, 0x178, v44
	;; [unrolled: 1-line block ×4, first 2 shown]
	v_add_nc_u32_e32 v42, v42, v55
	v_and_b32_e32 v47, 0x2f8, v47
	v_and_b32_e32 v48, 0x378, v48
	;; [unrolled: 1-line block ×3, first 2 shown]
	v_add_nc_u32_e32 v43, v43, v55
	v_add_nc_u32_e32 v44, v44, v55
	;; [unrolled: 1-line block ×4, first 2 shown]
	s_mov_b32 s18, 0
	v_add_nc_u32_e32 v47, v47, v55
	v_add_nc_u32_e32 v48, v48, v55
	;; [unrolled: 1-line block ×3, first 2 shown]
	s_waitcnt vmcnt(7)
	ds_store_b64 v42, v[1:2]
	s_waitcnt vmcnt(6)
	ds_store_b64 v43, v[11:12] offset:4096
	s_waitcnt vmcnt(5)
	ds_store_b64 v44, v[3:4] offset:8192
	;; [unrolled: 2-line block ×7, first 2 shown]
	s_waitcnt lgkmcnt(0)
	s_barrier
.LBB1227_22:
	s_and_not1_b32 vcc_lo, exec_lo, s18
	s_cbranch_vccnz .LBB1227_40
; %bb.23:
	s_mov_b32 s18, exec_lo
                                        ; implicit-def: $vgpr1_vgpr2
	v_cmpx_gt_u32_e64 s28, v0
	s_cbranch_execz .LBB1227_25
; %bb.24:
	global_load_b64 v[1:2], v55, s[2:3]
.LBB1227_25:
	s_or_b32 exec_lo, exec_lo, s18
	s_delay_alu instid0(SALU_CYCLE_1)
	s_mov_b32 s18, exec_lo
                                        ; implicit-def: $vgpr3_vgpr4
	v_cmpx_gt_u32_e64 s28, v38
	s_cbranch_execz .LBB1227_27
; %bb.26:
	v_lshlrev_b32_e32 v3, 3, v38
	global_load_b64 v[3:4], v3, s[2:3]
.LBB1227_27:
	s_or_b32 exec_lo, exec_lo, s18
	s_delay_alu instid0(SALU_CYCLE_1)
	s_mov_b32 s18, exec_lo
                                        ; implicit-def: $vgpr5_vgpr6
	v_cmpx_gt_u32_e64 s28, v36
	s_cbranch_execz .LBB1227_29
; %bb.28:
	v_lshlrev_b32_e32 v5, 3, v36
	global_load_b64 v[5:6], v5, s[2:3]
.LBB1227_29:
	s_or_b32 exec_lo, exec_lo, s18
	s_delay_alu instid0(SALU_CYCLE_1)
	s_mov_b32 s18, exec_lo
                                        ; implicit-def: $vgpr7_vgpr8
	v_cmpx_gt_u32_e64 s28, v40
	s_cbranch_execz .LBB1227_31
; %bb.30:
	v_lshlrev_b32_e32 v7, 3, v40
	global_load_b64 v[7:8], v7, s[2:3]
.LBB1227_31:
	s_or_b32 exec_lo, exec_lo, s18
	s_delay_alu instid0(SALU_CYCLE_1)
	s_mov_b32 s18, exec_lo
                                        ; implicit-def: $vgpr9_vgpr10
	v_cmpx_gt_u32_e64 s28, v39
	s_cbranch_execz .LBB1227_33
; %bb.32:
	v_lshlrev_b32_e32 v9, 3, v39
	global_load_b64 v[9:10], v9, s[2:3]
.LBB1227_33:
	s_or_b32 exec_lo, exec_lo, s18
	s_delay_alu instid0(SALU_CYCLE_1)
	s_mov_b32 s18, exec_lo
                                        ; implicit-def: $vgpr11_vgpr12
	v_cmpx_gt_u32_e64 s28, v37
	s_cbranch_execz .LBB1227_35
; %bb.34:
	v_lshlrev_b32_e32 v11, 3, v37
	global_load_b64 v[11:12], v11, s[2:3]
.LBB1227_35:
	s_or_b32 exec_lo, exec_lo, s18
	s_delay_alu instid0(SALU_CYCLE_1)
	s_mov_b32 s18, exec_lo
                                        ; implicit-def: $vgpr13_vgpr14
	v_cmpx_gt_u32_e64 s28, v34
	s_cbranch_execz .LBB1227_37
; %bb.36:
	v_lshlrev_b32_e32 v13, 3, v34
	global_load_b64 v[13:14], v13, s[2:3]
.LBB1227_37:
	s_or_b32 exec_lo, exec_lo, s18
	s_delay_alu instid0(SALU_CYCLE_1)
	s_mov_b32 s18, exec_lo
                                        ; implicit-def: $vgpr15_vgpr16
	v_cmpx_gt_u32_e64 s28, v35
	s_cbranch_execz .LBB1227_39
; %bb.38:
	v_lshlrev_b32_e32 v15, 3, v35
	global_load_b64 v[15:16], v15, s[2:3]
.LBB1227_39:
	s_or_b32 exec_lo, exec_lo, s18
	v_lshrrev_b32_e32 v38, 2, v38
	v_lshrrev_b32_e32 v36, 2, v36
	;; [unrolled: 1-line block ×4, first 2 shown]
	v_and_b32_e32 v33, 0x78, v33
	v_lshrrev_b32_e32 v37, 2, v37
	v_lshrrev_b32_e32 v34, 2, v34
	;; [unrolled: 1-line block ×3, first 2 shown]
	v_and_b32_e32 v38, 0xf8, v38
	v_and_b32_e32 v36, 0x1f8, v36
	;; [unrolled: 1-line block ×4, first 2 shown]
	v_add_nc_u32_e32 v33, v33, v55
	v_and_b32_e32 v37, 0x3f8, v37
	v_and_b32_e32 v34, 0x3f8, v34
	v_and_b32_e32 v35, 0x3f8, v35
	v_add_nc_u32_e32 v38, v38, v55
	v_add_nc_u32_e32 v36, v36, v55
	v_add_nc_u32_e32 v40, v40, v55
	v_add_nc_u32_e32 v39, v39, v55
	v_add_nc_u32_e32 v37, v37, v55
	v_add_nc_u32_e32 v34, v34, v55
	v_add_nc_u32_e32 v35, v35, v55
	s_waitcnt vmcnt(0)
	ds_store_b64 v33, v[1:2]
	ds_store_b64 v38, v[3:4] offset:4096
	ds_store_b64 v36, v[5:6] offset:8192
	;; [unrolled: 1-line block ×7, first 2 shown]
	s_waitcnt lgkmcnt(0)
	s_barrier
.LBB1227_40:
	buffer_gl0_inv
	ds_load_2addr_b64 v[13:16], v41 offset1:1
	ds_load_2addr_b64 v[9:12], v41 offset0:2 offset1:3
	ds_load_2addr_b64 v[5:8], v41 offset0:4 offset1:5
	;; [unrolled: 1-line block ×3, first 2 shown]
	s_cmp_lg_u32 s15, 0
	v_cmp_gt_i64_e64 s25, s[22:23], 0
	s_cselect_b32 s24, -1, 0
	s_cmp_lg_u64 s[6:7], 0
	s_mov_b32 s3, 0
	s_cselect_b32 s2, -1, 0
	s_waitcnt lgkmcnt(0)
	s_or_b32 s2, s24, s2
	s_barrier
	s_and_b32 vcc_lo, exec_lo, s2
	buffer_gl0_inv
	s_cbranch_vccz .LBB1227_49
; %bb.41:
	s_add_u32 s2, s4, -8
	s_addc_u32 s3, s5, -1
	v_cndmask_b32_e64 v41, 0, 1, s25
	s_load_b64 s[4:5], s[2:3], 0x0
	s_and_b32 vcc_lo, exec_lo, s20
	ds_store_b64 v55, v[19:20]
	v_cmp_ne_u32_e64 s2, 1, v41
	s_cbranch_vccz .LBB1227_50
; %bb.42:
	v_mul_lo_u32 v35, v18, s22
	v_mul_lo_u32 v36, v17, s23
	v_mad_u64_u32 v[33:34], null, v17, s22, 0
	s_mov_b32 s3, 0
	s_and_b32 vcc_lo, exec_lo, s2
	s_mov_b32 s26, 0
	s_delay_alu instid0(VALU_DEP_1) | instskip(NEXT) | instid1(VALU_DEP_1)
	v_add3_u32 v34, v34, v36, v35
	v_lshlrev_b64 v[33:34], 1, v[33:34]
	s_cbranch_vccnz .LBB1227_53
; %bb.43:
	v_mul_lo_u32 v37, v20, s22
	v_mul_lo_u32 v38, v19, s23
	v_mad_u64_u32 v[35:36], null, v19, s22, 0
	s_mov_b32 s26, -1
	s_mov_b32 s27, exec_lo
	s_delay_alu instid0(VALU_DEP_1) | instskip(NEXT) | instid1(VALU_DEP_1)
	v_add3_u32 v36, v36, v38, v37
	v_lshlrev_b64 v[35:36], 1, v[35:36]
	s_delay_alu instid0(VALU_DEP_1) | instskip(NEXT) | instid1(VALU_DEP_2)
	v_add_co_u32 v35, vcc_lo, s8, v35
	v_add_co_ci_u32_e32 v36, vcc_lo, s9, v36, vcc_lo
	v_add_co_u32 v37, vcc_lo, s8, v33
	v_add_co_ci_u32_e32 v38, vcc_lo, s9, v34, vcc_lo
	s_clause 0x1
	global_load_u16 v39, v[35:36], off
	global_load_u16 v40, v[37:38], off
	s_waitcnt vmcnt(1)
	v_lshlrev_b32_e32 v39, 16, v39
	s_waitcnt vmcnt(0)
	v_lshlrev_b32_e32 v40, 16, v40
	s_delay_alu instid0(VALU_DEP_1)
	v_cmpx_eq_f32_e32 v40, v39
	s_cbranch_execz .LBB1227_52
; %bb.44:
	v_add_co_u32 v35, vcc_lo, v35, 2
	v_add_co_ci_u32_e32 v36, vcc_lo, 0, v36, vcc_lo
	v_add_co_u32 v37, vcc_lo, v37, 2
	v_add_co_ci_u32_e32 v38, vcc_lo, 0, v38, vcc_lo
	s_add_u32 s6, s22, -1
	s_addc_u32 s7, s23, -1
	s_mov_b64 s[18:19], 0
	s_mov_b32 s26, 0
                                        ; implicit-def: $sgpr29
	s_set_inst_prefetch_distance 0x1
	s_branch .LBB1227_47
	.p2align	6
.LBB1227_45:                            ;   in Loop: Header=BB1227_47 Depth=1
	global_load_u16 v39, v[35:36], off
	global_load_u16 v40, v[37:38], off
	v_add_co_u32 v35, vcc_lo, v35, 2
	v_add_co_ci_u32_e32 v36, vcc_lo, 0, v36, vcc_lo
	v_add_co_u32 v37, s2, v37, 2
	s_delay_alu instid0(VALU_DEP_1)
	v_add_co_ci_u32_e64 v38, s2, 0, v38, s2
	s_add_u32 s18, s18, 1
	s_addc_u32 s19, s19, 0
	s_and_not1_b32 s2, s29, exec_lo
	s_waitcnt vmcnt(1)
	v_lshlrev_b32_e32 v39, 16, v39
	s_waitcnt vmcnt(0)
	v_lshlrev_b32_e32 v40, 16, v40
	s_delay_alu instid0(VALU_DEP_1) | instskip(SKIP_1) | instid1(SALU_CYCLE_1)
	v_cmp_neq_f32_e32 vcc_lo, v40, v39
	s_and_b32 s29, vcc_lo, exec_lo
	s_or_b32 s29, s2, s29
.LBB1227_46:                            ;   in Loop: Header=BB1227_47 Depth=1
	v_dual_mov_b32 v40, s19 :: v_dual_mov_b32 v39, s18
	s_and_b32 s2, exec_lo, s29
	s_delay_alu instid0(SALU_CYCLE_1) | instskip(NEXT) | instid1(SALU_CYCLE_1)
	s_or_b32 s26, s2, s26
	s_and_not1_b32 exec_lo, exec_lo, s26
	s_cbranch_execz .LBB1227_51
.LBB1227_47:                            ; =>This Inner Loop Header: Depth=1
	s_or_b32 s29, s29, exec_lo
	s_cmp_eq_u64 s[6:7], s[18:19]
	s_cbranch_scc0 .LBB1227_45
; %bb.48:                               ;   in Loop: Header=BB1227_47 Depth=1
	s_mov_b64 s[18:19], s[22:23]
                                        ; implicit-def: $vgpr35_vgpr36
                                        ; implicit-def: $vgpr37_vgpr38
	s_branch .LBB1227_46
.LBB1227_49:
                                        ; implicit-def: $sgpr2
                                        ; implicit-def: $vgpr34
	s_branch .LBB1227_211
.LBB1227_50:
                                        ; implicit-def: $sgpr2
                                        ; implicit-def: $vgpr34
	s_cbranch_execnz .LBB1227_119
	s_branch .LBB1227_210
.LBB1227_51:
	s_set_inst_prefetch_distance 0x2
	s_or_b32 exec_lo, exec_lo, s26
	v_cmp_gt_i64_e32 vcc_lo, s[22:23], v[39:40]
	s_or_not1_b32 s26, vcc_lo, exec_lo
.LBB1227_52:
	s_or_b32 exec_lo, exec_lo, s27
.LBB1227_53:
	v_mul_lo_u32 v37, v24, s22
	v_mul_lo_u32 v38, v23, s23
	v_mad_u64_u32 v[35:36], null, v23, s22, 0
	s_and_not1_b32 vcc_lo, exec_lo, s25
	s_delay_alu instid0(VALU_DEP_1) | instskip(NEXT) | instid1(VALU_DEP_1)
	v_add3_u32 v36, v36, v38, v37
	v_lshlrev_b64 v[35:36], 1, v[35:36]
	s_cbranch_vccnz .LBB1227_62
; %bb.54:
	v_add_co_u32 v33, vcc_lo, s8, v33
	v_add_co_ci_u32_e32 v34, vcc_lo, s9, v34, vcc_lo
	s_delay_alu instid0(VALU_DEP_3) | instskip(NEXT) | instid1(VALU_DEP_4)
	v_add_co_u32 v37, vcc_lo, s8, v35
	v_add_co_ci_u32_e32 v38, vcc_lo, s9, v36, vcc_lo
	s_mov_b32 s3, -1
	s_clause 0x1
	global_load_u16 v39, v[33:34], off
	global_load_u16 v40, v[37:38], off
	s_mov_b32 s27, exec_lo
	s_waitcnt vmcnt(1)
	v_lshlrev_b32_e32 v39, 16, v39
	s_waitcnt vmcnt(0)
	v_lshlrev_b32_e32 v40, 16, v40
	s_delay_alu instid0(VALU_DEP_1)
	v_cmpx_eq_f32_e32 v40, v39
	s_cbranch_execz .LBB1227_61
; %bb.55:
	v_add_co_u32 v33, vcc_lo, v33, 2
	v_add_co_ci_u32_e32 v34, vcc_lo, 0, v34, vcc_lo
	v_add_co_u32 v37, vcc_lo, v37, 2
	v_add_co_ci_u32_e32 v38, vcc_lo, 0, v38, vcc_lo
	s_add_u32 s6, s22, -1
	s_addc_u32 s7, s23, -1
	s_mov_b64 s[18:19], 0
	s_mov_b32 s3, 0
                                        ; implicit-def: $sgpr29
	s_set_inst_prefetch_distance 0x1
	s_branch .LBB1227_58
	.p2align	6
.LBB1227_56:                            ;   in Loop: Header=BB1227_58 Depth=1
	global_load_u16 v39, v[33:34], off
	global_load_u16 v40, v[37:38], off
	v_add_co_u32 v33, vcc_lo, v33, 2
	v_add_co_ci_u32_e32 v34, vcc_lo, 0, v34, vcc_lo
	v_add_co_u32 v37, s2, v37, 2
	s_delay_alu instid0(VALU_DEP_1)
	v_add_co_ci_u32_e64 v38, s2, 0, v38, s2
	s_add_u32 s18, s18, 1
	s_addc_u32 s19, s19, 0
	s_and_not1_b32 s2, s29, exec_lo
	s_waitcnt vmcnt(1)
	v_lshlrev_b32_e32 v39, 16, v39
	s_waitcnt vmcnt(0)
	v_lshlrev_b32_e32 v40, 16, v40
	s_delay_alu instid0(VALU_DEP_1) | instskip(SKIP_1) | instid1(SALU_CYCLE_1)
	v_cmp_neq_f32_e32 vcc_lo, v40, v39
	s_and_b32 s29, vcc_lo, exec_lo
	s_or_b32 s29, s2, s29
.LBB1227_57:                            ;   in Loop: Header=BB1227_58 Depth=1
	v_dual_mov_b32 v40, s19 :: v_dual_mov_b32 v39, s18
	s_and_b32 s2, exec_lo, s29
	s_delay_alu instid0(SALU_CYCLE_1) | instskip(NEXT) | instid1(SALU_CYCLE_1)
	s_or_b32 s3, s2, s3
	s_and_not1_b32 exec_lo, exec_lo, s3
	s_cbranch_execz .LBB1227_60
.LBB1227_58:                            ; =>This Inner Loop Header: Depth=1
	s_or_b32 s29, s29, exec_lo
	s_cmp_eq_u64 s[6:7], s[18:19]
	s_cbranch_scc0 .LBB1227_56
; %bb.59:                               ;   in Loop: Header=BB1227_58 Depth=1
	s_mov_b64 s[18:19], s[22:23]
                                        ; implicit-def: $vgpr33_vgpr34
                                        ; implicit-def: $vgpr37_vgpr38
	s_branch .LBB1227_57
.LBB1227_60:
	s_set_inst_prefetch_distance 0x2
	s_or_b32 exec_lo, exec_lo, s3
	v_cmp_gt_i64_e32 vcc_lo, s[22:23], v[39:40]
	s_or_not1_b32 s3, vcc_lo, exec_lo
.LBB1227_61:
	s_or_b32 exec_lo, exec_lo, s27
.LBB1227_62:
	v_mul_lo_u32 v37, v22, s22
	v_mul_lo_u32 v38, v21, s23
	v_mad_u64_u32 v[33:34], null, v21, s22, 0
	s_mov_b32 s27, 0
	s_and_not1_b32 vcc_lo, exec_lo, s25
	s_mov_b32 s29, 0
	s_delay_alu instid0(VALU_DEP_1) | instskip(NEXT) | instid1(VALU_DEP_1)
	v_add3_u32 v34, v34, v38, v37
	v_lshlrev_b64 v[37:38], 1, v[33:34]
	s_cbranch_vccnz .LBB1227_71
; %bb.63:
	v_add_co_u32 v33, vcc_lo, s8, v35
	v_add_co_ci_u32_e32 v34, vcc_lo, s9, v36, vcc_lo
	s_delay_alu instid0(VALU_DEP_3) | instskip(NEXT) | instid1(VALU_DEP_4)
	v_add_co_u32 v35, vcc_lo, s8, v37
	v_add_co_ci_u32_e32 v36, vcc_lo, s9, v38, vcc_lo
	s_mov_b32 s29, -1
	s_clause 0x1
	global_load_u16 v39, v[33:34], off
	global_load_u16 v40, v[35:36], off
	s_mov_b32 s30, exec_lo
	s_waitcnt vmcnt(1)
	v_lshlrev_b32_e32 v39, 16, v39
	s_waitcnt vmcnt(0)
	v_lshlrev_b32_e32 v40, 16, v40
	s_delay_alu instid0(VALU_DEP_1)
	v_cmpx_eq_f32_e32 v40, v39
	s_cbranch_execz .LBB1227_70
; %bb.64:
	v_add_co_u32 v33, vcc_lo, v33, 2
	v_add_co_ci_u32_e32 v34, vcc_lo, 0, v34, vcc_lo
	v_add_co_u32 v35, vcc_lo, v35, 2
	v_add_co_ci_u32_e32 v36, vcc_lo, 0, v36, vcc_lo
	s_add_u32 s6, s22, -1
	s_addc_u32 s7, s23, -1
	s_mov_b64 s[18:19], 0
	s_mov_b32 s29, 0
                                        ; implicit-def: $sgpr31
	s_set_inst_prefetch_distance 0x1
	s_branch .LBB1227_67
	.p2align	6
.LBB1227_65:                            ;   in Loop: Header=BB1227_67 Depth=1
	global_load_u16 v39, v[33:34], off
	global_load_u16 v40, v[35:36], off
	v_add_co_u32 v33, vcc_lo, v33, 2
	v_add_co_ci_u32_e32 v34, vcc_lo, 0, v34, vcc_lo
	v_add_co_u32 v35, s2, v35, 2
	s_delay_alu instid0(VALU_DEP_1)
	v_add_co_ci_u32_e64 v36, s2, 0, v36, s2
	s_add_u32 s18, s18, 1
	s_addc_u32 s19, s19, 0
	s_and_not1_b32 s2, s31, exec_lo
	s_waitcnt vmcnt(1)
	v_lshlrev_b32_e32 v39, 16, v39
	s_waitcnt vmcnt(0)
	v_lshlrev_b32_e32 v40, 16, v40
	s_delay_alu instid0(VALU_DEP_1) | instskip(SKIP_1) | instid1(SALU_CYCLE_1)
	v_cmp_neq_f32_e32 vcc_lo, v40, v39
	s_and_b32 s31, vcc_lo, exec_lo
	s_or_b32 s31, s2, s31
.LBB1227_66:                            ;   in Loop: Header=BB1227_67 Depth=1
	v_dual_mov_b32 v40, s19 :: v_dual_mov_b32 v39, s18
	s_and_b32 s2, exec_lo, s31
	s_delay_alu instid0(SALU_CYCLE_1) | instskip(NEXT) | instid1(SALU_CYCLE_1)
	s_or_b32 s29, s2, s29
	s_and_not1_b32 exec_lo, exec_lo, s29
	s_cbranch_execz .LBB1227_69
.LBB1227_67:                            ; =>This Inner Loop Header: Depth=1
	s_or_b32 s31, s31, exec_lo
	s_cmp_eq_u64 s[6:7], s[18:19]
	s_cbranch_scc0 .LBB1227_65
; %bb.68:                               ;   in Loop: Header=BB1227_67 Depth=1
	s_mov_b64 s[18:19], s[22:23]
                                        ; implicit-def: $vgpr33_vgpr34
                                        ; implicit-def: $vgpr35_vgpr36
	s_branch .LBB1227_66
.LBB1227_69:
	s_set_inst_prefetch_distance 0x2
	s_or_b32 exec_lo, exec_lo, s29
	v_cmp_gt_i64_e32 vcc_lo, s[22:23], v[39:40]
	s_or_not1_b32 s29, vcc_lo, exec_lo
.LBB1227_70:
	s_or_b32 exec_lo, exec_lo, s30
.LBB1227_71:
	v_mul_lo_u32 v35, v28, s22
	v_mul_lo_u32 v36, v27, s23
	v_mad_u64_u32 v[33:34], null, v27, s22, 0
	s_and_not1_b32 vcc_lo, exec_lo, s25
	s_delay_alu instid0(VALU_DEP_1) | instskip(NEXT) | instid1(VALU_DEP_1)
	v_add3_u32 v34, v34, v36, v35
	v_lshlrev_b64 v[33:34], 1, v[33:34]
	s_cbranch_vccnz .LBB1227_80
; %bb.72:
	v_add_co_u32 v35, vcc_lo, s8, v37
	v_add_co_ci_u32_e32 v36, vcc_lo, s9, v38, vcc_lo
	s_delay_alu instid0(VALU_DEP_3) | instskip(NEXT) | instid1(VALU_DEP_4)
	v_add_co_u32 v37, vcc_lo, s8, v33
	v_add_co_ci_u32_e32 v38, vcc_lo, s9, v34, vcc_lo
	s_mov_b32 s27, -1
	s_clause 0x1
	global_load_u16 v39, v[35:36], off
	global_load_u16 v40, v[37:38], off
	s_mov_b32 s30, exec_lo
	s_waitcnt vmcnt(1)
	v_lshlrev_b32_e32 v39, 16, v39
	s_waitcnt vmcnt(0)
	v_lshlrev_b32_e32 v40, 16, v40
	s_delay_alu instid0(VALU_DEP_1)
	v_cmpx_eq_f32_e32 v40, v39
	s_cbranch_execz .LBB1227_79
; %bb.73:
	v_add_co_u32 v35, vcc_lo, v35, 2
	v_add_co_ci_u32_e32 v36, vcc_lo, 0, v36, vcc_lo
	v_add_co_u32 v37, vcc_lo, v37, 2
	v_add_co_ci_u32_e32 v38, vcc_lo, 0, v38, vcc_lo
	s_add_u32 s6, s22, -1
	s_addc_u32 s7, s23, -1
	s_mov_b64 s[18:19], 0
	s_mov_b32 s27, 0
                                        ; implicit-def: $sgpr31
	s_set_inst_prefetch_distance 0x1
	s_branch .LBB1227_76
	.p2align	6
.LBB1227_74:                            ;   in Loop: Header=BB1227_76 Depth=1
	global_load_u16 v39, v[35:36], off
	global_load_u16 v40, v[37:38], off
	v_add_co_u32 v35, vcc_lo, v35, 2
	v_add_co_ci_u32_e32 v36, vcc_lo, 0, v36, vcc_lo
	v_add_co_u32 v37, s2, v37, 2
	s_delay_alu instid0(VALU_DEP_1)
	v_add_co_ci_u32_e64 v38, s2, 0, v38, s2
	s_add_u32 s18, s18, 1
	s_addc_u32 s19, s19, 0
	s_and_not1_b32 s2, s31, exec_lo
	s_waitcnt vmcnt(1)
	v_lshlrev_b32_e32 v39, 16, v39
	s_waitcnt vmcnt(0)
	v_lshlrev_b32_e32 v40, 16, v40
	s_delay_alu instid0(VALU_DEP_1) | instskip(SKIP_1) | instid1(SALU_CYCLE_1)
	v_cmp_neq_f32_e32 vcc_lo, v40, v39
	s_and_b32 s31, vcc_lo, exec_lo
	s_or_b32 s31, s2, s31
.LBB1227_75:                            ;   in Loop: Header=BB1227_76 Depth=1
	v_dual_mov_b32 v40, s19 :: v_dual_mov_b32 v39, s18
	s_and_b32 s2, exec_lo, s31
	s_delay_alu instid0(SALU_CYCLE_1) | instskip(NEXT) | instid1(SALU_CYCLE_1)
	s_or_b32 s27, s2, s27
	s_and_not1_b32 exec_lo, exec_lo, s27
	s_cbranch_execz .LBB1227_78
.LBB1227_76:                            ; =>This Inner Loop Header: Depth=1
	s_or_b32 s31, s31, exec_lo
	s_cmp_eq_u64 s[6:7], s[18:19]
	s_cbranch_scc0 .LBB1227_74
; %bb.77:                               ;   in Loop: Header=BB1227_76 Depth=1
	s_mov_b64 s[18:19], s[22:23]
                                        ; implicit-def: $vgpr35_vgpr36
                                        ; implicit-def: $vgpr37_vgpr38
	s_branch .LBB1227_75
.LBB1227_78:
	s_set_inst_prefetch_distance 0x2
	s_or_b32 exec_lo, exec_lo, s27
	v_cmp_gt_i64_e32 vcc_lo, s[22:23], v[39:40]
	s_or_not1_b32 s27, vcc_lo, exec_lo
.LBB1227_79:
	s_or_b32 exec_lo, exec_lo, s30
.LBB1227_80:
	v_mul_lo_u32 v37, v26, s22
	v_mul_lo_u32 v38, v25, s23
	v_mad_u64_u32 v[35:36], null, v25, s22, 0
	s_mov_b32 s30, 0
	s_and_not1_b32 vcc_lo, exec_lo, s25
	s_mov_b32 s31, 0
	s_delay_alu instid0(VALU_DEP_1) | instskip(NEXT) | instid1(VALU_DEP_1)
	v_add3_u32 v36, v36, v38, v37
	v_lshlrev_b64 v[37:38], 1, v[35:36]
	s_cbranch_vccnz .LBB1227_89
; %bb.81:
	v_add_co_u32 v33, vcc_lo, s8, v33
	v_add_co_ci_u32_e32 v34, vcc_lo, s9, v34, vcc_lo
	s_delay_alu instid0(VALU_DEP_3) | instskip(NEXT) | instid1(VALU_DEP_4)
	v_add_co_u32 v35, vcc_lo, s8, v37
	v_add_co_ci_u32_e32 v36, vcc_lo, s9, v38, vcc_lo
	s_mov_b32 s31, -1
	s_clause 0x1
	global_load_u16 v39, v[33:34], off
	global_load_u16 v40, v[35:36], off
	s_mov_b32 s33, exec_lo
	s_waitcnt vmcnt(1)
	v_lshlrev_b32_e32 v39, 16, v39
	s_waitcnt vmcnt(0)
	v_lshlrev_b32_e32 v40, 16, v40
	s_delay_alu instid0(VALU_DEP_1)
	v_cmpx_eq_f32_e32 v40, v39
	s_cbranch_execz .LBB1227_88
; %bb.82:
	v_add_co_u32 v33, vcc_lo, v33, 2
	v_add_co_ci_u32_e32 v34, vcc_lo, 0, v34, vcc_lo
	v_add_co_u32 v35, vcc_lo, v35, 2
	v_add_co_ci_u32_e32 v36, vcc_lo, 0, v36, vcc_lo
	s_add_u32 s6, s22, -1
	s_addc_u32 s7, s23, -1
	s_mov_b64 s[18:19], 0
	s_mov_b32 s31, 0
                                        ; implicit-def: $sgpr34
	s_set_inst_prefetch_distance 0x1
	s_branch .LBB1227_85
	.p2align	6
.LBB1227_83:                            ;   in Loop: Header=BB1227_85 Depth=1
	global_load_u16 v39, v[33:34], off
	global_load_u16 v40, v[35:36], off
	v_add_co_u32 v33, vcc_lo, v33, 2
	v_add_co_ci_u32_e32 v34, vcc_lo, 0, v34, vcc_lo
	v_add_co_u32 v35, s2, v35, 2
	s_delay_alu instid0(VALU_DEP_1)
	v_add_co_ci_u32_e64 v36, s2, 0, v36, s2
	s_add_u32 s18, s18, 1
	s_addc_u32 s19, s19, 0
	s_and_not1_b32 s2, s34, exec_lo
	s_waitcnt vmcnt(1)
	v_lshlrev_b32_e32 v39, 16, v39
	s_waitcnt vmcnt(0)
	v_lshlrev_b32_e32 v40, 16, v40
	s_delay_alu instid0(VALU_DEP_1) | instskip(SKIP_1) | instid1(SALU_CYCLE_1)
	v_cmp_neq_f32_e32 vcc_lo, v40, v39
	s_and_b32 s34, vcc_lo, exec_lo
	s_or_b32 s34, s2, s34
.LBB1227_84:                            ;   in Loop: Header=BB1227_85 Depth=1
	v_dual_mov_b32 v40, s19 :: v_dual_mov_b32 v39, s18
	s_and_b32 s2, exec_lo, s34
	s_delay_alu instid0(SALU_CYCLE_1) | instskip(NEXT) | instid1(SALU_CYCLE_1)
	s_or_b32 s31, s2, s31
	s_and_not1_b32 exec_lo, exec_lo, s31
	s_cbranch_execz .LBB1227_87
.LBB1227_85:                            ; =>This Inner Loop Header: Depth=1
	s_or_b32 s34, s34, exec_lo
	s_cmp_eq_u64 s[6:7], s[18:19]
	s_cbranch_scc0 .LBB1227_83
; %bb.86:                               ;   in Loop: Header=BB1227_85 Depth=1
	s_mov_b64 s[18:19], s[22:23]
                                        ; implicit-def: $vgpr33_vgpr34
                                        ; implicit-def: $vgpr35_vgpr36
	s_branch .LBB1227_84
.LBB1227_87:
	s_set_inst_prefetch_distance 0x2
	s_or_b32 exec_lo, exec_lo, s31
	v_cmp_gt_i64_e32 vcc_lo, s[22:23], v[39:40]
	s_or_not1_b32 s31, vcc_lo, exec_lo
.LBB1227_88:
	s_or_b32 exec_lo, exec_lo, s33
.LBB1227_89:
	v_mul_lo_u32 v35, v32, s22
	v_mul_lo_u32 v36, v31, s23
	v_mad_u64_u32 v[33:34], null, v31, s22, 0
	s_and_not1_b32 vcc_lo, exec_lo, s25
	s_delay_alu instid0(VALU_DEP_1) | instskip(NEXT) | instid1(VALU_DEP_1)
	v_add3_u32 v34, v34, v36, v35
	v_lshlrev_b64 v[35:36], 1, v[33:34]
	s_cbranch_vccnz .LBB1227_98
; %bb.90:
	v_add_co_u32 v33, vcc_lo, s8, v37
	v_add_co_ci_u32_e32 v34, vcc_lo, s9, v38, vcc_lo
	s_delay_alu instid0(VALU_DEP_3) | instskip(NEXT) | instid1(VALU_DEP_4)
	v_add_co_u32 v37, vcc_lo, s8, v35
	v_add_co_ci_u32_e32 v38, vcc_lo, s9, v36, vcc_lo
	s_mov_b32 s30, -1
	s_clause 0x1
	global_load_u16 v39, v[33:34], off
	global_load_u16 v40, v[37:38], off
	s_mov_b32 s33, exec_lo
	s_waitcnt vmcnt(1)
	v_lshlrev_b32_e32 v39, 16, v39
	s_waitcnt vmcnt(0)
	v_lshlrev_b32_e32 v40, 16, v40
	s_delay_alu instid0(VALU_DEP_1)
	v_cmpx_eq_f32_e32 v40, v39
	s_cbranch_execz .LBB1227_97
; %bb.91:
	v_add_co_u32 v33, vcc_lo, v33, 2
	v_add_co_ci_u32_e32 v34, vcc_lo, 0, v34, vcc_lo
	v_add_co_u32 v37, vcc_lo, v37, 2
	v_add_co_ci_u32_e32 v38, vcc_lo, 0, v38, vcc_lo
	s_add_u32 s6, s22, -1
	s_addc_u32 s7, s23, -1
	s_mov_b64 s[18:19], 0
	s_mov_b32 s30, 0
                                        ; implicit-def: $sgpr34
	s_set_inst_prefetch_distance 0x1
	s_branch .LBB1227_94
	.p2align	6
.LBB1227_92:                            ;   in Loop: Header=BB1227_94 Depth=1
	global_load_u16 v39, v[33:34], off
	global_load_u16 v40, v[37:38], off
	v_add_co_u32 v33, vcc_lo, v33, 2
	v_add_co_ci_u32_e32 v34, vcc_lo, 0, v34, vcc_lo
	v_add_co_u32 v37, s2, v37, 2
	s_delay_alu instid0(VALU_DEP_1)
	v_add_co_ci_u32_e64 v38, s2, 0, v38, s2
	s_add_u32 s18, s18, 1
	s_addc_u32 s19, s19, 0
	s_and_not1_b32 s2, s34, exec_lo
	s_waitcnt vmcnt(1)
	v_lshlrev_b32_e32 v39, 16, v39
	s_waitcnt vmcnt(0)
	v_lshlrev_b32_e32 v40, 16, v40
	s_delay_alu instid0(VALU_DEP_1) | instskip(SKIP_1) | instid1(SALU_CYCLE_1)
	v_cmp_neq_f32_e32 vcc_lo, v40, v39
	s_and_b32 s34, vcc_lo, exec_lo
	s_or_b32 s34, s2, s34
.LBB1227_93:                            ;   in Loop: Header=BB1227_94 Depth=1
	v_dual_mov_b32 v40, s19 :: v_dual_mov_b32 v39, s18
	s_and_b32 s2, exec_lo, s34
	s_delay_alu instid0(SALU_CYCLE_1) | instskip(NEXT) | instid1(SALU_CYCLE_1)
	s_or_b32 s30, s2, s30
	s_and_not1_b32 exec_lo, exec_lo, s30
	s_cbranch_execz .LBB1227_96
.LBB1227_94:                            ; =>This Inner Loop Header: Depth=1
	s_or_b32 s34, s34, exec_lo
	s_cmp_eq_u64 s[6:7], s[18:19]
	s_cbranch_scc0 .LBB1227_92
; %bb.95:                               ;   in Loop: Header=BB1227_94 Depth=1
	s_mov_b64 s[18:19], s[22:23]
                                        ; implicit-def: $vgpr33_vgpr34
                                        ; implicit-def: $vgpr37_vgpr38
	s_branch .LBB1227_93
.LBB1227_96:
	s_set_inst_prefetch_distance 0x2
	s_or_b32 exec_lo, exec_lo, s30
	v_cmp_gt_i64_e32 vcc_lo, s[22:23], v[39:40]
	s_or_not1_b32 s30, vcc_lo, exec_lo
.LBB1227_97:
	s_or_b32 exec_lo, exec_lo, s33
.LBB1227_98:
	v_mul_lo_u32 v37, v30, s22
	v_mul_lo_u32 v38, v29, s23
	v_mad_u64_u32 v[33:34], null, v29, s22, 0
	s_and_not1_b32 vcc_lo, exec_lo, s25
	s_mov_b32 s2, 0
	s_delay_alu instid0(VALU_DEP_1) | instskip(NEXT) | instid1(VALU_DEP_1)
	v_add3_u32 v34, v34, v38, v37
	v_lshlrev_b64 v[33:34], 1, v[33:34]
	s_cbranch_vccnz .LBB1227_107
; %bb.99:
	v_add_co_u32 v35, vcc_lo, s8, v35
	v_add_co_ci_u32_e32 v36, vcc_lo, s9, v36, vcc_lo
	s_delay_alu instid0(VALU_DEP_3) | instskip(NEXT) | instid1(VALU_DEP_4)
	v_add_co_u32 v37, vcc_lo, s8, v33
	v_add_co_ci_u32_e32 v38, vcc_lo, s9, v34, vcc_lo
	s_mov_b32 s2, -1
	s_clause 0x1
	global_load_u16 v39, v[35:36], off
	global_load_u16 v40, v[37:38], off
	s_mov_b32 s33, exec_lo
	s_waitcnt vmcnt(1)
	v_lshlrev_b32_e32 v39, 16, v39
	s_waitcnt vmcnt(0)
	v_lshlrev_b32_e32 v40, 16, v40
	s_delay_alu instid0(VALU_DEP_1)
	v_cmpx_eq_f32_e32 v40, v39
	s_cbranch_execz .LBB1227_106
; %bb.100:
	v_add_co_u32 v35, vcc_lo, v35, 2
	v_add_co_ci_u32_e32 v36, vcc_lo, 0, v36, vcc_lo
	v_add_co_u32 v37, vcc_lo, v37, 2
	v_add_co_ci_u32_e32 v38, vcc_lo, 0, v38, vcc_lo
	s_add_u32 s6, s22, -1
	s_addc_u32 s7, s23, -1
	s_mov_b64 s[18:19], 0
	s_mov_b32 s34, 0
                                        ; implicit-def: $sgpr35
	s_set_inst_prefetch_distance 0x1
	s_branch .LBB1227_103
	.p2align	6
.LBB1227_101:                           ;   in Loop: Header=BB1227_103 Depth=1
	global_load_u16 v39, v[35:36], off
	global_load_u16 v40, v[37:38], off
	v_add_co_u32 v35, vcc_lo, v35, 2
	v_add_co_ci_u32_e32 v36, vcc_lo, 0, v36, vcc_lo
	v_add_co_u32 v37, s2, v37, 2
	s_delay_alu instid0(VALU_DEP_1)
	v_add_co_ci_u32_e64 v38, s2, 0, v38, s2
	s_add_u32 s18, s18, 1
	s_addc_u32 s19, s19, 0
	s_and_not1_b32 s2, s35, exec_lo
	s_waitcnt vmcnt(1)
	v_lshlrev_b32_e32 v39, 16, v39
	s_waitcnt vmcnt(0)
	v_lshlrev_b32_e32 v40, 16, v40
	s_delay_alu instid0(VALU_DEP_1) | instskip(SKIP_1) | instid1(SALU_CYCLE_1)
	v_cmp_neq_f32_e32 vcc_lo, v40, v39
	s_and_b32 s35, vcc_lo, exec_lo
	s_or_b32 s35, s2, s35
.LBB1227_102:                           ;   in Loop: Header=BB1227_103 Depth=1
	v_dual_mov_b32 v40, s19 :: v_dual_mov_b32 v39, s18
	s_and_b32 s2, exec_lo, s35
	s_delay_alu instid0(SALU_CYCLE_1) | instskip(NEXT) | instid1(SALU_CYCLE_1)
	s_or_b32 s34, s2, s34
	s_and_not1_b32 exec_lo, exec_lo, s34
	s_cbranch_execz .LBB1227_105
.LBB1227_103:                           ; =>This Inner Loop Header: Depth=1
	s_or_b32 s35, s35, exec_lo
	s_cmp_eq_u64 s[6:7], s[18:19]
	s_cbranch_scc0 .LBB1227_101
; %bb.104:                              ;   in Loop: Header=BB1227_103 Depth=1
	s_mov_b64 s[18:19], s[22:23]
                                        ; implicit-def: $vgpr35_vgpr36
                                        ; implicit-def: $vgpr37_vgpr38
	s_branch .LBB1227_102
.LBB1227_105:
	s_set_inst_prefetch_distance 0x2
	s_or_b32 exec_lo, exec_lo, s34
	v_cmp_gt_i64_e32 vcc_lo, s[22:23], v[39:40]
	s_or_not1_b32 s2, vcc_lo, exec_lo
.LBB1227_106:
	s_or_b32 exec_lo, exec_lo, s33
.LBB1227_107:
	s_waitcnt lgkmcnt(0)
	v_dual_mov_b32 v36, s5 :: v_dual_mov_b32 v35, s4
	s_mov_b32 s6, exec_lo
	s_barrier
	buffer_gl0_inv
	v_cmpx_ne_u32_e32 0, v0
	s_cbranch_execz .LBB1227_109
; %bb.108:
	v_add_nc_u32_e32 v35, -8, v55
	ds_load_b64 v[35:36], v35
.LBB1227_109:
	s_or_b32 exec_lo, exec_lo, s6
	v_cndmask_b32_e64 v38, 0, 1, s31
	v_cndmask_b32_e64 v40, 0, 1, s29
	;; [unrolled: 1-line block ×7, first 2 shown]
	v_lshlrev_b16 v38, 8, v38
	v_lshlrev_b16 v40, 8, v40
	;; [unrolled: 1-line block ×4, first 2 shown]
	s_mov_b32 s3, 0
	v_or_b32_e32 v37, v37, v38
	v_or_b32_e32 v38, v39, v40
	;; [unrolled: 1-line block ×3, first 2 shown]
	v_and_b32_e32 v39, 0xffff, v43
	s_and_not1_b32 vcc_lo, exec_lo, s25
	v_lshlrev_b32_e32 v40, 16, v37
	v_and_b32_e32 v42, 0xffff, v38
	v_lshlrev_b32_e32 v43, 16, v44
	s_mov_b32 s2, 0
	s_cbranch_vccnz .LBB1227_118
; %bb.110:
	s_waitcnt lgkmcnt(0)
	v_mul_lo_u32 v38, v36, s22
	v_mul_lo_u32 v44, v35, s23
	v_mad_u64_u32 v[36:37], null, v35, s22, 0
	s_mov_b32 s2, -1
	s_mov_b32 s26, exec_lo
	s_delay_alu instid0(VALU_DEP_1) | instskip(NEXT) | instid1(VALU_DEP_1)
	v_add3_u32 v37, v37, v44, v38
	v_lshlrev_b64 v[35:36], 1, v[36:37]
	s_delay_alu instid0(VALU_DEP_1) | instskip(NEXT) | instid1(VALU_DEP_2)
	v_add_co_u32 v35, vcc_lo, s8, v35
	v_add_co_ci_u32_e32 v36, vcc_lo, s9, v36, vcc_lo
	v_add_co_u32 v33, vcc_lo, s8, v33
	v_add_co_ci_u32_e32 v34, vcc_lo, s9, v34, vcc_lo
	s_clause 0x1
	global_load_u16 v37, v[35:36], off
	global_load_u16 v38, v[33:34], off
	s_waitcnt vmcnt(1)
	v_lshlrev_b32_e32 v37, 16, v37
	s_waitcnt vmcnt(0)
	v_lshlrev_b32_e32 v38, 16, v38
	s_delay_alu instid0(VALU_DEP_1)
	v_cmpx_eq_f32_e32 v37, v38
	s_cbranch_execz .LBB1227_117
; %bb.111:
	v_add_co_u32 v33, vcc_lo, v33, 2
	v_add_co_ci_u32_e32 v34, vcc_lo, 0, v34, vcc_lo
	v_add_co_u32 v35, vcc_lo, v35, 2
	v_add_co_ci_u32_e32 v36, vcc_lo, 0, v36, vcc_lo
	s_add_u32 s6, s22, -1
	s_addc_u32 s7, s23, -1
	s_mov_b64 s[18:19], 0
	s_mov_b32 s27, 0
                                        ; implicit-def: $sgpr29
	s_set_inst_prefetch_distance 0x1
	s_branch .LBB1227_114
	.p2align	6
.LBB1227_112:                           ;   in Loop: Header=BB1227_114 Depth=1
	global_load_u16 v37, v[33:34], off
	global_load_u16 v38, v[35:36], off
	v_add_co_u32 v33, vcc_lo, v33, 2
	v_add_co_ci_u32_e32 v34, vcc_lo, 0, v34, vcc_lo
	v_add_co_u32 v35, s2, v35, 2
	s_delay_alu instid0(VALU_DEP_1)
	v_add_co_ci_u32_e64 v36, s2, 0, v36, s2
	s_add_u32 s18, s18, 1
	s_addc_u32 s19, s19, 0
	s_and_not1_b32 s2, s29, exec_lo
	s_waitcnt vmcnt(1)
	v_lshlrev_b32_e32 v37, 16, v37
	s_waitcnt vmcnt(0)
	v_lshlrev_b32_e32 v38, 16, v38
	s_delay_alu instid0(VALU_DEP_1) | instskip(SKIP_1) | instid1(SALU_CYCLE_1)
	v_cmp_neq_f32_e32 vcc_lo, v38, v37
	s_and_b32 s29, vcc_lo, exec_lo
	s_or_b32 s29, s2, s29
.LBB1227_113:                           ;   in Loop: Header=BB1227_114 Depth=1
	v_dual_mov_b32 v38, s19 :: v_dual_mov_b32 v37, s18
	s_and_b32 s2, exec_lo, s29
	s_delay_alu instid0(SALU_CYCLE_1) | instskip(NEXT) | instid1(SALU_CYCLE_1)
	s_or_b32 s27, s2, s27
	s_and_not1_b32 exec_lo, exec_lo, s27
	s_cbranch_execz .LBB1227_116
.LBB1227_114:                           ; =>This Inner Loop Header: Depth=1
	s_or_b32 s29, s29, exec_lo
	s_cmp_eq_u64 s[6:7], s[18:19]
	s_cbranch_scc0 .LBB1227_112
; %bb.115:                              ;   in Loop: Header=BB1227_114 Depth=1
	s_mov_b64 s[18:19], s[22:23]
                                        ; implicit-def: $vgpr33_vgpr34
                                        ; implicit-def: $vgpr35_vgpr36
	s_branch .LBB1227_113
.LBB1227_116:
	s_set_inst_prefetch_distance 0x2
	s_or_b32 exec_lo, exec_lo, s27
	v_cmp_gt_i64_e32 vcc_lo, s[22:23], v[37:38]
	s_or_not1_b32 s2, vcc_lo, exec_lo
.LBB1227_117:
	s_or_b32 exec_lo, exec_lo, s26
.LBB1227_118:
	v_or_b32_e32 v33, v39, v40
	s_delay_alu instid0(VALU_DEP_2)
	v_or_b32_e32 v34, v42, v43
	s_and_b32 vcc_lo, exec_lo, s3
	s_cbranch_vccz .LBB1227_210
.LBB1227_119:
	v_or_b32_e32 v33, 7, v55
	s_mov_b32 s3, 0
	s_mov_b32 s26, 0
	s_mov_b32 s27, exec_lo
	s_delay_alu instid0(VALU_DEP_1)
	v_cmpx_gt_u32_e64 s28, v33
	s_cbranch_execz .LBB1227_130
; %bb.120:
	s_and_not1_b32 vcc_lo, exec_lo, s25
	s_mov_b32 s2, 0
	s_cbranch_vccnz .LBB1227_129
; %bb.121:
	v_mul_lo_u32 v37, v20, s22
	v_mul_lo_u32 v38, v19, s23
	v_mad_u64_u32 v[33:34], null, v19, s22, 0
	v_mul_lo_u32 v39, v18, s22
	v_mul_lo_u32 v40, v17, s23
	s_waitcnt lgkmcnt(0)
	v_mad_u64_u32 v[35:36], null, v17, s22, 0
	s_mov_b32 s2, -1
	s_mov_b32 s25, exec_lo
	s_delay_alu instid0(VALU_DEP_4) | instskip(NEXT) | instid1(VALU_DEP_2)
	v_add3_u32 v34, v34, v38, v37
	v_add3_u32 v36, v36, v40, v39
	s_delay_alu instid0(VALU_DEP_2) | instskip(NEXT) | instid1(VALU_DEP_2)
	v_lshlrev_b64 v[33:34], 1, v[33:34]
	v_lshlrev_b64 v[35:36], 1, v[35:36]
	s_delay_alu instid0(VALU_DEP_2) | instskip(NEXT) | instid1(VALU_DEP_3)
	v_add_co_u32 v33, vcc_lo, s8, v33
	v_add_co_ci_u32_e32 v34, vcc_lo, s9, v34, vcc_lo
	s_delay_alu instid0(VALU_DEP_3) | instskip(NEXT) | instid1(VALU_DEP_4)
	v_add_co_u32 v35, vcc_lo, s8, v35
	v_add_co_ci_u32_e32 v36, vcc_lo, s9, v36, vcc_lo
	s_clause 0x1
	global_load_u16 v37, v[33:34], off
	global_load_u16 v38, v[35:36], off
	s_waitcnt vmcnt(1)
	v_lshlrev_b32_e32 v37, 16, v37
	s_waitcnt vmcnt(0)
	v_lshlrev_b32_e32 v38, 16, v38
	s_delay_alu instid0(VALU_DEP_1)
	v_cmpx_eq_f32_e32 v38, v37
	s_cbranch_execz .LBB1227_128
; %bb.122:
	v_add_co_u32 v33, vcc_lo, v33, 2
	v_add_co_ci_u32_e32 v34, vcc_lo, 0, v34, vcc_lo
	v_add_co_u32 v35, vcc_lo, v35, 2
	v_add_co_ci_u32_e32 v36, vcc_lo, 0, v36, vcc_lo
	s_add_u32 s6, s22, -1
	s_addc_u32 s7, s23, -1
	s_mov_b64 s[18:19], 0
                                        ; implicit-def: $sgpr29
	s_set_inst_prefetch_distance 0x1
	s_branch .LBB1227_125
	.p2align	6
.LBB1227_123:                           ;   in Loop: Header=BB1227_125 Depth=1
	global_load_u16 v37, v[33:34], off
	global_load_u16 v38, v[35:36], off
	v_add_co_u32 v33, vcc_lo, v33, 2
	v_add_co_ci_u32_e32 v34, vcc_lo, 0, v34, vcc_lo
	v_add_co_u32 v35, s2, v35, 2
	s_delay_alu instid0(VALU_DEP_1)
	v_add_co_ci_u32_e64 v36, s2, 0, v36, s2
	s_add_u32 s18, s18, 1
	s_addc_u32 s19, s19, 0
	s_and_not1_b32 s2, s29, exec_lo
	s_waitcnt vmcnt(1)
	v_lshlrev_b32_e32 v37, 16, v37
	s_waitcnt vmcnt(0)
	v_lshlrev_b32_e32 v38, 16, v38
	s_delay_alu instid0(VALU_DEP_1) | instskip(SKIP_1) | instid1(SALU_CYCLE_1)
	v_cmp_neq_f32_e32 vcc_lo, v38, v37
	s_and_b32 s29, vcc_lo, exec_lo
	s_or_b32 s29, s2, s29
.LBB1227_124:                           ;   in Loop: Header=BB1227_125 Depth=1
	v_dual_mov_b32 v38, s19 :: v_dual_mov_b32 v37, s18
	s_and_b32 s2, exec_lo, s29
	s_delay_alu instid0(SALU_CYCLE_1) | instskip(NEXT) | instid1(SALU_CYCLE_1)
	s_or_b32 s26, s2, s26
	s_and_not1_b32 exec_lo, exec_lo, s26
	s_cbranch_execz .LBB1227_127
.LBB1227_125:                           ; =>This Inner Loop Header: Depth=1
	s_or_b32 s29, s29, exec_lo
	s_cmp_eq_u64 s[6:7], s[18:19]
	s_cbranch_scc0 .LBB1227_123
; %bb.126:                              ;   in Loop: Header=BB1227_125 Depth=1
	s_mov_b64 s[18:19], s[22:23]
                                        ; implicit-def: $vgpr33_vgpr34
                                        ; implicit-def: $vgpr35_vgpr36
	s_branch .LBB1227_124
.LBB1227_127:
	s_set_inst_prefetch_distance 0x2
	s_or_b32 exec_lo, exec_lo, s26
	v_cmp_gt_i64_e32 vcc_lo, s[22:23], v[37:38]
	s_or_not1_b32 s2, vcc_lo, exec_lo
.LBB1227_128:
	s_or_b32 exec_lo, exec_lo, s25
.LBB1227_129:
	s_delay_alu instid0(SALU_CYCLE_1)
	s_and_b32 s26, s2, exec_lo
.LBB1227_130:
	s_or_b32 exec_lo, exec_lo, s27
	v_or_b32_e32 v33, 6, v55
	s_mov_b32 s25, exec_lo
	s_delay_alu instid0(VALU_DEP_1)
	v_cmpx_gt_u32_e64 s28, v33
	s_cbranch_execz .LBB1227_141
; %bb.131:
	v_cmp_ne_u32_e32 vcc_lo, 1, v41
	s_mov_b32 s2, 0
	s_cbranch_vccnz .LBB1227_140
; %bb.132:
	v_mul_lo_u32 v37, v18, s22
	v_mul_lo_u32 v38, v17, s23
	v_mad_u64_u32 v[33:34], null, v17, s22, 0
	v_mul_lo_u32 v39, v24, s22
	v_mul_lo_u32 v40, v23, s23
	s_waitcnt lgkmcnt(0)
	v_mad_u64_u32 v[35:36], null, v23, s22, 0
	s_mov_b32 s2, -1
	s_mov_b32 s3, exec_lo
	s_delay_alu instid0(VALU_DEP_4) | instskip(NEXT) | instid1(VALU_DEP_2)
	v_add3_u32 v34, v34, v38, v37
	v_add3_u32 v36, v36, v40, v39
	s_delay_alu instid0(VALU_DEP_2) | instskip(NEXT) | instid1(VALU_DEP_2)
	v_lshlrev_b64 v[33:34], 1, v[33:34]
	v_lshlrev_b64 v[35:36], 1, v[35:36]
	s_delay_alu instid0(VALU_DEP_2) | instskip(NEXT) | instid1(VALU_DEP_3)
	v_add_co_u32 v33, vcc_lo, s8, v33
	v_add_co_ci_u32_e32 v34, vcc_lo, s9, v34, vcc_lo
	s_delay_alu instid0(VALU_DEP_3) | instskip(NEXT) | instid1(VALU_DEP_4)
	v_add_co_u32 v35, vcc_lo, s8, v35
	v_add_co_ci_u32_e32 v36, vcc_lo, s9, v36, vcc_lo
	s_clause 0x1
	global_load_u16 v37, v[33:34], off
	global_load_u16 v38, v[35:36], off
	s_waitcnt vmcnt(1)
	v_lshlrev_b32_e32 v37, 16, v37
	s_waitcnt vmcnt(0)
	v_lshlrev_b32_e32 v38, 16, v38
	s_delay_alu instid0(VALU_DEP_1)
	v_cmpx_eq_f32_e32 v38, v37
	s_cbranch_execz .LBB1227_139
; %bb.133:
	v_add_co_u32 v33, vcc_lo, v33, 2
	v_add_co_ci_u32_e32 v34, vcc_lo, 0, v34, vcc_lo
	v_add_co_u32 v35, vcc_lo, v35, 2
	v_add_co_ci_u32_e32 v36, vcc_lo, 0, v36, vcc_lo
	s_add_u32 s6, s22, -1
	s_addc_u32 s7, s23, -1
	s_mov_b64 s[18:19], 0
	s_mov_b32 s27, 0
                                        ; implicit-def: $sgpr29
	s_set_inst_prefetch_distance 0x1
	s_branch .LBB1227_136
	.p2align	6
.LBB1227_134:                           ;   in Loop: Header=BB1227_136 Depth=1
	global_load_u16 v37, v[33:34], off
	global_load_u16 v38, v[35:36], off
	v_add_co_u32 v33, vcc_lo, v33, 2
	v_add_co_ci_u32_e32 v34, vcc_lo, 0, v34, vcc_lo
	v_add_co_u32 v35, s2, v35, 2
	s_delay_alu instid0(VALU_DEP_1)
	v_add_co_ci_u32_e64 v36, s2, 0, v36, s2
	s_add_u32 s18, s18, 1
	s_addc_u32 s19, s19, 0
	s_and_not1_b32 s2, s29, exec_lo
	s_waitcnt vmcnt(1)
	v_lshlrev_b32_e32 v37, 16, v37
	s_waitcnt vmcnt(0)
	v_lshlrev_b32_e32 v38, 16, v38
	s_delay_alu instid0(VALU_DEP_1) | instskip(SKIP_1) | instid1(SALU_CYCLE_1)
	v_cmp_neq_f32_e32 vcc_lo, v38, v37
	s_and_b32 s29, vcc_lo, exec_lo
	s_or_b32 s29, s2, s29
.LBB1227_135:                           ;   in Loop: Header=BB1227_136 Depth=1
	v_dual_mov_b32 v38, s19 :: v_dual_mov_b32 v37, s18
	s_and_b32 s2, exec_lo, s29
	s_delay_alu instid0(SALU_CYCLE_1) | instskip(NEXT) | instid1(SALU_CYCLE_1)
	s_or_b32 s27, s2, s27
	s_and_not1_b32 exec_lo, exec_lo, s27
	s_cbranch_execz .LBB1227_138
.LBB1227_136:                           ; =>This Inner Loop Header: Depth=1
	s_or_b32 s29, s29, exec_lo
	s_cmp_eq_u64 s[6:7], s[18:19]
	s_cbranch_scc0 .LBB1227_134
; %bb.137:                              ;   in Loop: Header=BB1227_136 Depth=1
	s_mov_b64 s[18:19], s[22:23]
                                        ; implicit-def: $vgpr33_vgpr34
                                        ; implicit-def: $vgpr35_vgpr36
	s_branch .LBB1227_135
.LBB1227_138:
	s_set_inst_prefetch_distance 0x2
	s_or_b32 exec_lo, exec_lo, s27
	v_cmp_gt_i64_e32 vcc_lo, s[22:23], v[37:38]
	s_or_not1_b32 s2, vcc_lo, exec_lo
.LBB1227_139:
	s_or_b32 exec_lo, exec_lo, s3
.LBB1227_140:
	s_delay_alu instid0(SALU_CYCLE_1)
	s_and_b32 s3, s2, exec_lo
.LBB1227_141:
	s_or_b32 exec_lo, exec_lo, s25
	v_or_b32_e32 v33, 5, v55
	s_mov_b32 s27, 0
	s_mov_b32 s25, 0
	s_mov_b32 s29, exec_lo
	s_delay_alu instid0(VALU_DEP_1)
	v_cmpx_gt_u32_e64 s28, v33
	s_cbranch_execz .LBB1227_152
; %bb.142:
	v_cmp_ne_u32_e32 vcc_lo, 1, v41
	s_mov_b32 s2, 0
	s_cbranch_vccnz .LBB1227_151
; %bb.143:
	v_mul_lo_u32 v37, v24, s22
	v_mul_lo_u32 v38, v23, s23
	v_mad_u64_u32 v[33:34], null, v23, s22, 0
	v_mul_lo_u32 v39, v22, s22
	v_mul_lo_u32 v40, v21, s23
	s_waitcnt lgkmcnt(0)
	v_mad_u64_u32 v[35:36], null, v21, s22, 0
	s_mov_b32 s2, -1
	s_mov_b32 s25, exec_lo
	s_delay_alu instid0(VALU_DEP_4) | instskip(NEXT) | instid1(VALU_DEP_2)
	v_add3_u32 v34, v34, v38, v37
	v_add3_u32 v36, v36, v40, v39
	s_delay_alu instid0(VALU_DEP_2) | instskip(NEXT) | instid1(VALU_DEP_2)
	v_lshlrev_b64 v[33:34], 1, v[33:34]
	v_lshlrev_b64 v[35:36], 1, v[35:36]
	s_delay_alu instid0(VALU_DEP_2) | instskip(NEXT) | instid1(VALU_DEP_3)
	v_add_co_u32 v33, vcc_lo, s8, v33
	v_add_co_ci_u32_e32 v34, vcc_lo, s9, v34, vcc_lo
	s_delay_alu instid0(VALU_DEP_3) | instskip(NEXT) | instid1(VALU_DEP_4)
	v_add_co_u32 v35, vcc_lo, s8, v35
	v_add_co_ci_u32_e32 v36, vcc_lo, s9, v36, vcc_lo
	s_clause 0x1
	global_load_u16 v37, v[33:34], off
	global_load_u16 v38, v[35:36], off
	s_waitcnt vmcnt(1)
	v_lshlrev_b32_e32 v37, 16, v37
	s_waitcnt vmcnt(0)
	v_lshlrev_b32_e32 v38, 16, v38
	s_delay_alu instid0(VALU_DEP_1)
	v_cmpx_eq_f32_e32 v38, v37
	s_cbranch_execz .LBB1227_150
; %bb.144:
	v_add_co_u32 v33, vcc_lo, v33, 2
	v_add_co_ci_u32_e32 v34, vcc_lo, 0, v34, vcc_lo
	v_add_co_u32 v35, vcc_lo, v35, 2
	v_add_co_ci_u32_e32 v36, vcc_lo, 0, v36, vcc_lo
	s_add_u32 s6, s22, -1
	s_addc_u32 s7, s23, -1
	s_mov_b64 s[18:19], 0
	s_mov_b32 s30, 0
                                        ; implicit-def: $sgpr31
	s_set_inst_prefetch_distance 0x1
	s_branch .LBB1227_147
	.p2align	6
.LBB1227_145:                           ;   in Loop: Header=BB1227_147 Depth=1
	global_load_u16 v37, v[33:34], off
	global_load_u16 v38, v[35:36], off
	v_add_co_u32 v33, vcc_lo, v33, 2
	v_add_co_ci_u32_e32 v34, vcc_lo, 0, v34, vcc_lo
	v_add_co_u32 v35, s2, v35, 2
	s_delay_alu instid0(VALU_DEP_1)
	v_add_co_ci_u32_e64 v36, s2, 0, v36, s2
	s_add_u32 s18, s18, 1
	s_addc_u32 s19, s19, 0
	s_and_not1_b32 s2, s31, exec_lo
	s_waitcnt vmcnt(1)
	v_lshlrev_b32_e32 v37, 16, v37
	s_waitcnt vmcnt(0)
	v_lshlrev_b32_e32 v38, 16, v38
	s_delay_alu instid0(VALU_DEP_1) | instskip(SKIP_1) | instid1(SALU_CYCLE_1)
	v_cmp_neq_f32_e32 vcc_lo, v38, v37
	s_and_b32 s31, vcc_lo, exec_lo
	s_or_b32 s31, s2, s31
.LBB1227_146:                           ;   in Loop: Header=BB1227_147 Depth=1
	v_dual_mov_b32 v38, s19 :: v_dual_mov_b32 v37, s18
	s_and_b32 s2, exec_lo, s31
	s_delay_alu instid0(SALU_CYCLE_1) | instskip(NEXT) | instid1(SALU_CYCLE_1)
	s_or_b32 s30, s2, s30
	s_and_not1_b32 exec_lo, exec_lo, s30
	s_cbranch_execz .LBB1227_149
.LBB1227_147:                           ; =>This Inner Loop Header: Depth=1
	s_or_b32 s31, s31, exec_lo
	s_cmp_eq_u64 s[6:7], s[18:19]
	s_cbranch_scc0 .LBB1227_145
; %bb.148:                              ;   in Loop: Header=BB1227_147 Depth=1
	s_mov_b64 s[18:19], s[22:23]
                                        ; implicit-def: $vgpr33_vgpr34
                                        ; implicit-def: $vgpr35_vgpr36
	s_branch .LBB1227_146
.LBB1227_149:
	s_set_inst_prefetch_distance 0x2
	s_or_b32 exec_lo, exec_lo, s30
	v_cmp_gt_i64_e32 vcc_lo, s[22:23], v[37:38]
	s_or_not1_b32 s2, vcc_lo, exec_lo
.LBB1227_150:
	s_or_b32 exec_lo, exec_lo, s25
.LBB1227_151:
	s_delay_alu instid0(SALU_CYCLE_1)
	s_and_b32 s25, s2, exec_lo
.LBB1227_152:
	s_or_b32 exec_lo, exec_lo, s29
	v_or_b32_e32 v33, 4, v55
	s_mov_b32 s29, exec_lo
	s_delay_alu instid0(VALU_DEP_1)
	v_cmpx_gt_u32_e64 s28, v33
	s_cbranch_execz .LBB1227_163
; %bb.153:
	v_cmp_ne_u32_e32 vcc_lo, 1, v41
	s_mov_b32 s2, 0
	s_cbranch_vccnz .LBB1227_162
; %bb.154:
	v_mul_lo_u32 v37, v22, s22
	v_mul_lo_u32 v38, v21, s23
	v_mad_u64_u32 v[33:34], null, v21, s22, 0
	v_mul_lo_u32 v39, v28, s22
	v_mul_lo_u32 v40, v27, s23
	s_waitcnt lgkmcnt(0)
	v_mad_u64_u32 v[35:36], null, v27, s22, 0
	s_mov_b32 s2, -1
	s_mov_b32 s27, exec_lo
	s_delay_alu instid0(VALU_DEP_4) | instskip(NEXT) | instid1(VALU_DEP_2)
	v_add3_u32 v34, v34, v38, v37
	v_add3_u32 v36, v36, v40, v39
	s_delay_alu instid0(VALU_DEP_2) | instskip(NEXT) | instid1(VALU_DEP_2)
	v_lshlrev_b64 v[33:34], 1, v[33:34]
	v_lshlrev_b64 v[35:36], 1, v[35:36]
	s_delay_alu instid0(VALU_DEP_2) | instskip(NEXT) | instid1(VALU_DEP_3)
	v_add_co_u32 v33, vcc_lo, s8, v33
	v_add_co_ci_u32_e32 v34, vcc_lo, s9, v34, vcc_lo
	s_delay_alu instid0(VALU_DEP_3) | instskip(NEXT) | instid1(VALU_DEP_4)
	v_add_co_u32 v35, vcc_lo, s8, v35
	v_add_co_ci_u32_e32 v36, vcc_lo, s9, v36, vcc_lo
	s_clause 0x1
	global_load_u16 v37, v[33:34], off
	global_load_u16 v38, v[35:36], off
	s_waitcnt vmcnt(1)
	v_lshlrev_b32_e32 v37, 16, v37
	s_waitcnt vmcnt(0)
	v_lshlrev_b32_e32 v38, 16, v38
	s_delay_alu instid0(VALU_DEP_1)
	v_cmpx_eq_f32_e32 v38, v37
	s_cbranch_execz .LBB1227_161
; %bb.155:
	v_add_co_u32 v33, vcc_lo, v33, 2
	v_add_co_ci_u32_e32 v34, vcc_lo, 0, v34, vcc_lo
	v_add_co_u32 v35, vcc_lo, v35, 2
	v_add_co_ci_u32_e32 v36, vcc_lo, 0, v36, vcc_lo
	s_add_u32 s6, s22, -1
	s_addc_u32 s7, s23, -1
	s_mov_b64 s[18:19], 0
	s_mov_b32 s30, 0
                                        ; implicit-def: $sgpr31
	s_set_inst_prefetch_distance 0x1
	s_branch .LBB1227_158
	.p2align	6
.LBB1227_156:                           ;   in Loop: Header=BB1227_158 Depth=1
	global_load_u16 v37, v[33:34], off
	global_load_u16 v38, v[35:36], off
	v_add_co_u32 v33, vcc_lo, v33, 2
	v_add_co_ci_u32_e32 v34, vcc_lo, 0, v34, vcc_lo
	v_add_co_u32 v35, s2, v35, 2
	s_delay_alu instid0(VALU_DEP_1)
	v_add_co_ci_u32_e64 v36, s2, 0, v36, s2
	s_add_u32 s18, s18, 1
	s_addc_u32 s19, s19, 0
	s_and_not1_b32 s2, s31, exec_lo
	s_waitcnt vmcnt(1)
	v_lshlrev_b32_e32 v37, 16, v37
	s_waitcnt vmcnt(0)
	v_lshlrev_b32_e32 v38, 16, v38
	s_delay_alu instid0(VALU_DEP_1) | instskip(SKIP_1) | instid1(SALU_CYCLE_1)
	v_cmp_neq_f32_e32 vcc_lo, v38, v37
	s_and_b32 s31, vcc_lo, exec_lo
	s_or_b32 s31, s2, s31
.LBB1227_157:                           ;   in Loop: Header=BB1227_158 Depth=1
	v_dual_mov_b32 v38, s19 :: v_dual_mov_b32 v37, s18
	s_and_b32 s2, exec_lo, s31
	s_delay_alu instid0(SALU_CYCLE_1) | instskip(NEXT) | instid1(SALU_CYCLE_1)
	s_or_b32 s30, s2, s30
	s_and_not1_b32 exec_lo, exec_lo, s30
	s_cbranch_execz .LBB1227_160
.LBB1227_158:                           ; =>This Inner Loop Header: Depth=1
	s_or_b32 s31, s31, exec_lo
	s_cmp_eq_u64 s[6:7], s[18:19]
	s_cbranch_scc0 .LBB1227_156
; %bb.159:                              ;   in Loop: Header=BB1227_158 Depth=1
	s_mov_b64 s[18:19], s[22:23]
                                        ; implicit-def: $vgpr33_vgpr34
                                        ; implicit-def: $vgpr35_vgpr36
	s_branch .LBB1227_157
.LBB1227_160:
	s_set_inst_prefetch_distance 0x2
	s_or_b32 exec_lo, exec_lo, s30
	v_cmp_gt_i64_e32 vcc_lo, s[22:23], v[37:38]
	s_or_not1_b32 s2, vcc_lo, exec_lo
.LBB1227_161:
	s_or_b32 exec_lo, exec_lo, s27
.LBB1227_162:
	s_delay_alu instid0(SALU_CYCLE_1)
	s_and_b32 s27, s2, exec_lo
.LBB1227_163:
	s_or_b32 exec_lo, exec_lo, s29
	v_or_b32_e32 v33, 3, v55
	s_mov_b32 s30, 0
	s_mov_b32 s29, 0
	s_mov_b32 s31, exec_lo
	s_delay_alu instid0(VALU_DEP_1)
	v_cmpx_gt_u32_e64 s28, v33
	s_cbranch_execz .LBB1227_174
; %bb.164:
	v_cmp_ne_u32_e32 vcc_lo, 1, v41
	s_mov_b32 s2, 0
	s_cbranch_vccnz .LBB1227_173
; %bb.165:
	v_mul_lo_u32 v37, v28, s22
	v_mul_lo_u32 v38, v27, s23
	v_mad_u64_u32 v[33:34], null, v27, s22, 0
	v_mul_lo_u32 v39, v26, s22
	v_mul_lo_u32 v40, v25, s23
	s_waitcnt lgkmcnt(0)
	v_mad_u64_u32 v[35:36], null, v25, s22, 0
	s_mov_b32 s2, -1
	s_mov_b32 s29, exec_lo
	s_delay_alu instid0(VALU_DEP_4) | instskip(NEXT) | instid1(VALU_DEP_2)
	v_add3_u32 v34, v34, v38, v37
	v_add3_u32 v36, v36, v40, v39
	s_delay_alu instid0(VALU_DEP_2) | instskip(NEXT) | instid1(VALU_DEP_2)
	v_lshlrev_b64 v[33:34], 1, v[33:34]
	v_lshlrev_b64 v[35:36], 1, v[35:36]
	s_delay_alu instid0(VALU_DEP_2) | instskip(NEXT) | instid1(VALU_DEP_3)
	v_add_co_u32 v33, vcc_lo, s8, v33
	v_add_co_ci_u32_e32 v34, vcc_lo, s9, v34, vcc_lo
	s_delay_alu instid0(VALU_DEP_3) | instskip(NEXT) | instid1(VALU_DEP_4)
	v_add_co_u32 v35, vcc_lo, s8, v35
	v_add_co_ci_u32_e32 v36, vcc_lo, s9, v36, vcc_lo
	s_clause 0x1
	global_load_u16 v37, v[33:34], off
	global_load_u16 v38, v[35:36], off
	s_waitcnt vmcnt(1)
	v_lshlrev_b32_e32 v37, 16, v37
	s_waitcnt vmcnt(0)
	v_lshlrev_b32_e32 v38, 16, v38
	s_delay_alu instid0(VALU_DEP_1)
	v_cmpx_eq_f32_e32 v38, v37
	s_cbranch_execz .LBB1227_172
; %bb.166:
	v_add_co_u32 v33, vcc_lo, v33, 2
	v_add_co_ci_u32_e32 v34, vcc_lo, 0, v34, vcc_lo
	v_add_co_u32 v35, vcc_lo, v35, 2
	v_add_co_ci_u32_e32 v36, vcc_lo, 0, v36, vcc_lo
	s_add_u32 s6, s22, -1
	s_addc_u32 s7, s23, -1
	s_mov_b64 s[18:19], 0
	s_mov_b32 s33, 0
                                        ; implicit-def: $sgpr34
	s_set_inst_prefetch_distance 0x1
	s_branch .LBB1227_169
	.p2align	6
.LBB1227_167:                           ;   in Loop: Header=BB1227_169 Depth=1
	global_load_u16 v37, v[33:34], off
	global_load_u16 v38, v[35:36], off
	v_add_co_u32 v33, vcc_lo, v33, 2
	v_add_co_ci_u32_e32 v34, vcc_lo, 0, v34, vcc_lo
	v_add_co_u32 v35, s2, v35, 2
	s_delay_alu instid0(VALU_DEP_1)
	v_add_co_ci_u32_e64 v36, s2, 0, v36, s2
	s_add_u32 s18, s18, 1
	s_addc_u32 s19, s19, 0
	s_and_not1_b32 s2, s34, exec_lo
	s_waitcnt vmcnt(1)
	v_lshlrev_b32_e32 v37, 16, v37
	s_waitcnt vmcnt(0)
	v_lshlrev_b32_e32 v38, 16, v38
	s_delay_alu instid0(VALU_DEP_1) | instskip(SKIP_1) | instid1(SALU_CYCLE_1)
	v_cmp_neq_f32_e32 vcc_lo, v38, v37
	s_and_b32 s34, vcc_lo, exec_lo
	s_or_b32 s34, s2, s34
.LBB1227_168:                           ;   in Loop: Header=BB1227_169 Depth=1
	v_dual_mov_b32 v38, s19 :: v_dual_mov_b32 v37, s18
	s_and_b32 s2, exec_lo, s34
	s_delay_alu instid0(SALU_CYCLE_1) | instskip(NEXT) | instid1(SALU_CYCLE_1)
	s_or_b32 s33, s2, s33
	s_and_not1_b32 exec_lo, exec_lo, s33
	s_cbranch_execz .LBB1227_171
.LBB1227_169:                           ; =>This Inner Loop Header: Depth=1
	s_or_b32 s34, s34, exec_lo
	s_cmp_eq_u64 s[6:7], s[18:19]
	s_cbranch_scc0 .LBB1227_167
; %bb.170:                              ;   in Loop: Header=BB1227_169 Depth=1
	s_mov_b64 s[18:19], s[22:23]
                                        ; implicit-def: $vgpr33_vgpr34
                                        ; implicit-def: $vgpr35_vgpr36
	s_branch .LBB1227_168
.LBB1227_171:
	s_set_inst_prefetch_distance 0x2
	s_or_b32 exec_lo, exec_lo, s33
	v_cmp_gt_i64_e32 vcc_lo, s[22:23], v[37:38]
	s_or_not1_b32 s2, vcc_lo, exec_lo
.LBB1227_172:
	s_or_b32 exec_lo, exec_lo, s29
.LBB1227_173:
	s_delay_alu instid0(SALU_CYCLE_1)
	s_and_b32 s29, s2, exec_lo
.LBB1227_174:
	s_or_b32 exec_lo, exec_lo, s31
	v_or_b32_e32 v33, 2, v55
	s_mov_b32 s31, exec_lo
	s_delay_alu instid0(VALU_DEP_1)
	v_cmpx_gt_u32_e64 s28, v33
	s_cbranch_execz .LBB1227_185
; %bb.175:
	v_cmp_ne_u32_e32 vcc_lo, 1, v41
	s_mov_b32 s2, 0
	s_cbranch_vccnz .LBB1227_184
; %bb.176:
	v_mul_lo_u32 v37, v26, s22
	v_mul_lo_u32 v38, v25, s23
	v_mad_u64_u32 v[33:34], null, v25, s22, 0
	v_mul_lo_u32 v39, v32, s22
	v_mul_lo_u32 v40, v31, s23
	s_waitcnt lgkmcnt(0)
	v_mad_u64_u32 v[35:36], null, v31, s22, 0
	s_mov_b32 s2, -1
	s_mov_b32 s30, exec_lo
	s_delay_alu instid0(VALU_DEP_4) | instskip(NEXT) | instid1(VALU_DEP_2)
	v_add3_u32 v34, v34, v38, v37
	v_add3_u32 v36, v36, v40, v39
	s_delay_alu instid0(VALU_DEP_2) | instskip(NEXT) | instid1(VALU_DEP_2)
	v_lshlrev_b64 v[33:34], 1, v[33:34]
	v_lshlrev_b64 v[35:36], 1, v[35:36]
	s_delay_alu instid0(VALU_DEP_2) | instskip(NEXT) | instid1(VALU_DEP_3)
	v_add_co_u32 v33, vcc_lo, s8, v33
	v_add_co_ci_u32_e32 v34, vcc_lo, s9, v34, vcc_lo
	s_delay_alu instid0(VALU_DEP_3) | instskip(NEXT) | instid1(VALU_DEP_4)
	v_add_co_u32 v35, vcc_lo, s8, v35
	v_add_co_ci_u32_e32 v36, vcc_lo, s9, v36, vcc_lo
	s_clause 0x1
	global_load_u16 v37, v[33:34], off
	global_load_u16 v38, v[35:36], off
	s_waitcnt vmcnt(1)
	v_lshlrev_b32_e32 v37, 16, v37
	s_waitcnt vmcnt(0)
	v_lshlrev_b32_e32 v38, 16, v38
	s_delay_alu instid0(VALU_DEP_1)
	v_cmpx_eq_f32_e32 v38, v37
	s_cbranch_execz .LBB1227_183
; %bb.177:
	v_add_co_u32 v33, vcc_lo, v33, 2
	v_add_co_ci_u32_e32 v34, vcc_lo, 0, v34, vcc_lo
	v_add_co_u32 v35, vcc_lo, v35, 2
	v_add_co_ci_u32_e32 v36, vcc_lo, 0, v36, vcc_lo
	s_add_u32 s6, s22, -1
	s_addc_u32 s7, s23, -1
	s_mov_b64 s[18:19], 0
	s_mov_b32 s33, 0
                                        ; implicit-def: $sgpr34
	s_set_inst_prefetch_distance 0x1
	s_branch .LBB1227_180
	.p2align	6
.LBB1227_178:                           ;   in Loop: Header=BB1227_180 Depth=1
	global_load_u16 v37, v[33:34], off
	global_load_u16 v38, v[35:36], off
	v_add_co_u32 v33, vcc_lo, v33, 2
	v_add_co_ci_u32_e32 v34, vcc_lo, 0, v34, vcc_lo
	v_add_co_u32 v35, s2, v35, 2
	s_delay_alu instid0(VALU_DEP_1)
	v_add_co_ci_u32_e64 v36, s2, 0, v36, s2
	s_add_u32 s18, s18, 1
	s_addc_u32 s19, s19, 0
	s_and_not1_b32 s2, s34, exec_lo
	s_waitcnt vmcnt(1)
	v_lshlrev_b32_e32 v37, 16, v37
	s_waitcnt vmcnt(0)
	v_lshlrev_b32_e32 v38, 16, v38
	s_delay_alu instid0(VALU_DEP_1) | instskip(SKIP_1) | instid1(SALU_CYCLE_1)
	v_cmp_neq_f32_e32 vcc_lo, v38, v37
	s_and_b32 s34, vcc_lo, exec_lo
	s_or_b32 s34, s2, s34
.LBB1227_179:                           ;   in Loop: Header=BB1227_180 Depth=1
	v_dual_mov_b32 v38, s19 :: v_dual_mov_b32 v37, s18
	s_and_b32 s2, exec_lo, s34
	s_delay_alu instid0(SALU_CYCLE_1) | instskip(NEXT) | instid1(SALU_CYCLE_1)
	s_or_b32 s33, s2, s33
	s_and_not1_b32 exec_lo, exec_lo, s33
	s_cbranch_execz .LBB1227_182
.LBB1227_180:                           ; =>This Inner Loop Header: Depth=1
	s_or_b32 s34, s34, exec_lo
	s_cmp_eq_u64 s[6:7], s[18:19]
	s_cbranch_scc0 .LBB1227_178
; %bb.181:                              ;   in Loop: Header=BB1227_180 Depth=1
	s_mov_b64 s[18:19], s[22:23]
                                        ; implicit-def: $vgpr33_vgpr34
                                        ; implicit-def: $vgpr35_vgpr36
	s_branch .LBB1227_179
.LBB1227_182:
	s_set_inst_prefetch_distance 0x2
	s_or_b32 exec_lo, exec_lo, s33
	v_cmp_gt_i64_e32 vcc_lo, s[22:23], v[37:38]
	s_or_not1_b32 s2, vcc_lo, exec_lo
.LBB1227_183:
	s_or_b32 exec_lo, exec_lo, s30
.LBB1227_184:
	s_delay_alu instid0(SALU_CYCLE_1)
	s_and_b32 s30, s2, exec_lo
.LBB1227_185:
	s_or_b32 exec_lo, exec_lo, s31
	v_or_b32_e32 v33, 1, v55
	s_mov_b32 s2, 0
	s_mov_b32 s31, exec_lo
	s_delay_alu instid0(VALU_DEP_1)
	v_cmpx_gt_u32_e64 s28, v33
	s_cbranch_execz .LBB1227_196
; %bb.186:
	v_cmp_ne_u32_e32 vcc_lo, 1, v41
	s_cbranch_vccnz .LBB1227_195
; %bb.187:
	v_mul_lo_u32 v37, v32, s22
	v_mul_lo_u32 v38, v31, s23
	v_mad_u64_u32 v[33:34], null, v31, s22, 0
	v_mul_lo_u32 v39, v30, s22
	v_mul_lo_u32 v40, v29, s23
	s_waitcnt lgkmcnt(0)
	v_mad_u64_u32 v[35:36], null, v29, s22, 0
	s_mov_b32 s2, -1
	s_mov_b32 s33, exec_lo
	s_delay_alu instid0(VALU_DEP_4) | instskip(NEXT) | instid1(VALU_DEP_2)
	v_add3_u32 v34, v34, v38, v37
	v_add3_u32 v36, v36, v40, v39
	s_delay_alu instid0(VALU_DEP_2) | instskip(NEXT) | instid1(VALU_DEP_2)
	v_lshlrev_b64 v[33:34], 1, v[33:34]
	v_lshlrev_b64 v[35:36], 1, v[35:36]
	s_delay_alu instid0(VALU_DEP_2) | instskip(NEXT) | instid1(VALU_DEP_3)
	v_add_co_u32 v33, vcc_lo, s8, v33
	v_add_co_ci_u32_e32 v34, vcc_lo, s9, v34, vcc_lo
	s_delay_alu instid0(VALU_DEP_3) | instskip(NEXT) | instid1(VALU_DEP_4)
	v_add_co_u32 v35, vcc_lo, s8, v35
	v_add_co_ci_u32_e32 v36, vcc_lo, s9, v36, vcc_lo
	s_clause 0x1
	global_load_u16 v37, v[33:34], off
	global_load_u16 v38, v[35:36], off
	s_waitcnt vmcnt(1)
	v_lshlrev_b32_e32 v37, 16, v37
	s_waitcnt vmcnt(0)
	v_lshlrev_b32_e32 v38, 16, v38
	s_delay_alu instid0(VALU_DEP_1)
	v_cmpx_eq_f32_e32 v38, v37
	s_cbranch_execz .LBB1227_194
; %bb.188:
	v_add_co_u32 v33, vcc_lo, v33, 2
	v_add_co_ci_u32_e32 v34, vcc_lo, 0, v34, vcc_lo
	v_add_co_u32 v35, vcc_lo, v35, 2
	v_add_co_ci_u32_e32 v36, vcc_lo, 0, v36, vcc_lo
	s_add_u32 s6, s22, -1
	s_addc_u32 s7, s23, -1
	s_mov_b64 s[18:19], 0
	s_mov_b32 s34, 0
                                        ; implicit-def: $sgpr35
	s_set_inst_prefetch_distance 0x1
	s_branch .LBB1227_191
	.p2align	6
.LBB1227_189:                           ;   in Loop: Header=BB1227_191 Depth=1
	global_load_u16 v37, v[33:34], off
	global_load_u16 v38, v[35:36], off
	v_add_co_u32 v33, vcc_lo, v33, 2
	v_add_co_ci_u32_e32 v34, vcc_lo, 0, v34, vcc_lo
	v_add_co_u32 v35, s2, v35, 2
	s_delay_alu instid0(VALU_DEP_1)
	v_add_co_ci_u32_e64 v36, s2, 0, v36, s2
	s_add_u32 s18, s18, 1
	s_addc_u32 s19, s19, 0
	s_and_not1_b32 s2, s35, exec_lo
	s_waitcnt vmcnt(1)
	v_lshlrev_b32_e32 v37, 16, v37
	s_waitcnt vmcnt(0)
	v_lshlrev_b32_e32 v38, 16, v38
	s_delay_alu instid0(VALU_DEP_1) | instskip(SKIP_1) | instid1(SALU_CYCLE_1)
	v_cmp_neq_f32_e32 vcc_lo, v38, v37
	s_and_b32 s35, vcc_lo, exec_lo
	s_or_b32 s35, s2, s35
.LBB1227_190:                           ;   in Loop: Header=BB1227_191 Depth=1
	v_dual_mov_b32 v38, s19 :: v_dual_mov_b32 v37, s18
	s_and_b32 s2, exec_lo, s35
	s_delay_alu instid0(SALU_CYCLE_1) | instskip(NEXT) | instid1(SALU_CYCLE_1)
	s_or_b32 s34, s2, s34
	s_and_not1_b32 exec_lo, exec_lo, s34
	s_cbranch_execz .LBB1227_193
.LBB1227_191:                           ; =>This Inner Loop Header: Depth=1
	s_or_b32 s35, s35, exec_lo
	s_cmp_eq_u64 s[6:7], s[18:19]
	s_cbranch_scc0 .LBB1227_189
; %bb.192:                              ;   in Loop: Header=BB1227_191 Depth=1
	s_mov_b64 s[18:19], s[22:23]
                                        ; implicit-def: $vgpr33_vgpr34
                                        ; implicit-def: $vgpr35_vgpr36
	s_branch .LBB1227_190
.LBB1227_193:
	s_set_inst_prefetch_distance 0x2
	s_or_b32 exec_lo, exec_lo, s34
	v_cmp_gt_i64_e32 vcc_lo, s[22:23], v[37:38]
	s_or_not1_b32 s2, vcc_lo, exec_lo
.LBB1227_194:
	s_or_b32 exec_lo, exec_lo, s33
.LBB1227_195:
	s_delay_alu instid0(SALU_CYCLE_1)
	s_and_b32 s2, s2, exec_lo
.LBB1227_196:
	s_or_b32 exec_lo, exec_lo, s31
	s_waitcnt lgkmcnt(0)
	v_dual_mov_b32 v34, s5 :: v_dual_mov_b32 v33, s4
	s_mov_b32 s4, exec_lo
	s_barrier
	buffer_gl0_inv
	v_cmpx_ne_u32_e32 0, v0
	s_cbranch_execz .LBB1227_198
; %bb.197:
	v_add_nc_u32_e32 v33, -8, v55
	ds_load_b64 v[33:34], v33
.LBB1227_198:
	s_or_b32 exec_lo, exec_lo, s4
	v_cndmask_b32_e64 v36, 0, 1, s29
	v_cndmask_b32_e64 v38, 0, 1, s25
	;; [unrolled: 1-line block ×7, first 2 shown]
	v_lshlrev_b16 v36, 8, v36
	v_lshlrev_b16 v38, 8, v38
	;; [unrolled: 1-line block ×3, first 2 shown]
	s_mov_b32 s2, 0
	v_lshlrev_b16 v42, 8, v42
	v_or_b32_e32 v35, v35, v36
	v_or_b32_e32 v36, v37, v38
	;; [unrolled: 1-line block ×3, first 2 shown]
	s_mov_b32 s3, exec_lo
	v_and_b32_e32 v39, 0xffff, v42
	v_lshlrev_b32_e32 v40, 16, v35
	v_and_b32_e32 v42, 0xffff, v36
	v_lshlrev_b32_e32 v43, 16, v37
	v_cmpx_gt_u32_e64 s28, v55
	s_cbranch_execz .LBB1227_209
; %bb.199:
	v_cmp_ne_u32_e32 vcc_lo, 1, v41
	s_cbranch_vccnz .LBB1227_208
; %bb.200:
	v_mul_lo_u32 v41, v30, s22
	v_mul_lo_u32 v44, v29, s23
	v_mad_u64_u32 v[35:36], null, v29, s22, 0
	s_waitcnt lgkmcnt(0)
	v_mul_lo_u32 v34, v34, s22
	v_mul_lo_u32 v45, v33, s23
	v_mad_u64_u32 v[37:38], null, v33, s22, 0
	s_mov_b32 s2, -1
	s_mov_b32 s18, exec_lo
	s_delay_alu instid0(VALU_DEP_4) | instskip(NEXT) | instid1(VALU_DEP_2)
	v_add3_u32 v36, v36, v44, v41
	v_add3_u32 v38, v38, v45, v34
	s_delay_alu instid0(VALU_DEP_2) | instskip(NEXT) | instid1(VALU_DEP_2)
	v_lshlrev_b64 v[33:34], 1, v[35:36]
	v_lshlrev_b64 v[35:36], 1, v[37:38]
	s_delay_alu instid0(VALU_DEP_2) | instskip(NEXT) | instid1(VALU_DEP_3)
	v_add_co_u32 v33, vcc_lo, s8, v33
	v_add_co_ci_u32_e32 v34, vcc_lo, s9, v34, vcc_lo
	s_delay_alu instid0(VALU_DEP_3) | instskip(NEXT) | instid1(VALU_DEP_4)
	v_add_co_u32 v35, vcc_lo, s8, v35
	v_add_co_ci_u32_e32 v36, vcc_lo, s9, v36, vcc_lo
	s_clause 0x1
	global_load_u16 v37, v[33:34], off
	global_load_u16 v38, v[35:36], off
	s_waitcnt vmcnt(1)
	v_lshlrev_b32_e32 v37, 16, v37
	s_waitcnt vmcnt(0)
	v_lshlrev_b32_e32 v38, 16, v38
	s_delay_alu instid0(VALU_DEP_1)
	v_cmpx_eq_f32_e32 v38, v37
	s_cbranch_execz .LBB1227_207
; %bb.201:
	v_add_co_u32 v33, vcc_lo, v33, 2
	v_add_co_ci_u32_e32 v34, vcc_lo, 0, v34, vcc_lo
	v_add_co_u32 v35, vcc_lo, v35, 2
	v_add_co_ci_u32_e32 v36, vcc_lo, 0, v36, vcc_lo
	s_add_u32 s4, s22, -1
	s_addc_u32 s5, s23, -1
	s_mov_b64 s[6:7], 0
	s_mov_b32 s19, 0
                                        ; implicit-def: $sgpr25
	s_set_inst_prefetch_distance 0x1
	s_branch .LBB1227_204
	.p2align	6
.LBB1227_202:                           ;   in Loop: Header=BB1227_204 Depth=1
	global_load_u16 v37, v[33:34], off
	global_load_u16 v38, v[35:36], off
	v_add_co_u32 v33, vcc_lo, v33, 2
	v_add_co_ci_u32_e32 v34, vcc_lo, 0, v34, vcc_lo
	v_add_co_u32 v35, s2, v35, 2
	s_delay_alu instid0(VALU_DEP_1)
	v_add_co_ci_u32_e64 v36, s2, 0, v36, s2
	s_add_u32 s6, s6, 1
	s_addc_u32 s7, s7, 0
	s_and_not1_b32 s2, s25, exec_lo
	s_waitcnt vmcnt(1)
	v_lshlrev_b32_e32 v37, 16, v37
	s_waitcnt vmcnt(0)
	v_lshlrev_b32_e32 v38, 16, v38
	s_delay_alu instid0(VALU_DEP_1) | instskip(SKIP_1) | instid1(SALU_CYCLE_1)
	v_cmp_neq_f32_e32 vcc_lo, v38, v37
	s_and_b32 s25, vcc_lo, exec_lo
	s_or_b32 s25, s2, s25
.LBB1227_203:                           ;   in Loop: Header=BB1227_204 Depth=1
	v_dual_mov_b32 v38, s7 :: v_dual_mov_b32 v37, s6
	s_and_b32 s2, exec_lo, s25
	s_delay_alu instid0(SALU_CYCLE_1) | instskip(NEXT) | instid1(SALU_CYCLE_1)
	s_or_b32 s19, s2, s19
	s_and_not1_b32 exec_lo, exec_lo, s19
	s_cbranch_execz .LBB1227_206
.LBB1227_204:                           ; =>This Inner Loop Header: Depth=1
	s_or_b32 s25, s25, exec_lo
	s_cmp_eq_u64 s[4:5], s[6:7]
	s_cbranch_scc0 .LBB1227_202
; %bb.205:                              ;   in Loop: Header=BB1227_204 Depth=1
	s_mov_b64 s[6:7], s[22:23]
                                        ; implicit-def: $vgpr33_vgpr34
                                        ; implicit-def: $vgpr35_vgpr36
	s_branch .LBB1227_203
.LBB1227_206:
	s_set_inst_prefetch_distance 0x2
	s_or_b32 exec_lo, exec_lo, s19
	v_cmp_gt_i64_e32 vcc_lo, s[22:23], v[37:38]
	s_or_not1_b32 s2, vcc_lo, exec_lo
.LBB1227_207:
	s_or_b32 exec_lo, exec_lo, s18
.LBB1227_208:
	s_delay_alu instid0(SALU_CYCLE_1)
	s_and_b32 s2, s2, exec_lo
.LBB1227_209:
	s_or_b32 exec_lo, exec_lo, s3
	s_waitcnt lgkmcnt(0)
	v_or_b32_e32 v33, v39, v40
	v_or_b32_e32 v34, v42, v43
.LBB1227_210:
	s_waitcnt lgkmcnt(0)
	s_mov_b32 s3, -1
	s_cbranch_execnz .LBB1227_379
.LBB1227_211:
	v_cmp_gt_i64_e64 s18, s[22:23], 0
	s_and_b32 vcc_lo, exec_lo, s20
	ds_store_b64 v55, v[19:20]
	s_cbranch_vccz .LBB1227_219
; %bb.212:
	v_mul_lo_u32 v35, v18, s22
	v_mul_lo_u32 v36, v17, s23
	v_mad_u64_u32 v[33:34], null, v17, s22, 0
	s_mov_b32 s19, 0
	s_and_not1_b32 vcc_lo, exec_lo, s18
	s_mov_b32 s25, 0
	s_delay_alu instid0(VALU_DEP_1) | instskip(NEXT) | instid1(VALU_DEP_1)
	v_add3_u32 v34, v34, v36, v35
	v_lshlrev_b64 v[33:34], 1, v[33:34]
	s_cbranch_vccnz .LBB1227_222
; %bb.213:
	v_mul_lo_u32 v37, v20, s22
	v_mul_lo_u32 v38, v19, s23
	v_mad_u64_u32 v[35:36], null, v19, s22, 0
	s_mov_b32 s25, -1
	s_mov_b32 s26, exec_lo
	s_delay_alu instid0(VALU_DEP_1) | instskip(NEXT) | instid1(VALU_DEP_1)
	v_add3_u32 v36, v36, v38, v37
	v_lshlrev_b64 v[35:36], 1, v[35:36]
	s_delay_alu instid0(VALU_DEP_1) | instskip(NEXT) | instid1(VALU_DEP_2)
	v_add_co_u32 v35, vcc_lo, s8, v35
	v_add_co_ci_u32_e32 v36, vcc_lo, s9, v36, vcc_lo
	v_add_co_u32 v37, vcc_lo, s8, v33
	v_add_co_ci_u32_e32 v38, vcc_lo, s9, v34, vcc_lo
	s_clause 0x1
	global_load_u16 v39, v[35:36], off
	global_load_u16 v40, v[37:38], off
	s_waitcnt vmcnt(1)
	v_lshlrev_b32_e32 v39, 16, v39
	s_waitcnt vmcnt(0)
	v_lshlrev_b32_e32 v40, 16, v40
	s_delay_alu instid0(VALU_DEP_1)
	v_cmpx_eq_f32_e32 v40, v39
	s_cbranch_execz .LBB1227_221
; %bb.214:
	v_add_co_u32 v35, vcc_lo, v35, 2
	v_add_co_ci_u32_e32 v36, vcc_lo, 0, v36, vcc_lo
	v_add_co_u32 v37, vcc_lo, v37, 2
	v_add_co_ci_u32_e32 v38, vcc_lo, 0, v38, vcc_lo
	s_add_u32 s4, s22, -1
	s_addc_u32 s5, s23, -1
	s_mov_b64 s[6:7], 0
	s_mov_b32 s25, 0
                                        ; implicit-def: $sgpr27
	s_set_inst_prefetch_distance 0x1
	s_branch .LBB1227_217
	.p2align	6
.LBB1227_215:                           ;   in Loop: Header=BB1227_217 Depth=1
	global_load_u16 v39, v[35:36], off
	global_load_u16 v40, v[37:38], off
	v_add_co_u32 v35, vcc_lo, v35, 2
	v_add_co_ci_u32_e32 v36, vcc_lo, 0, v36, vcc_lo
	v_add_co_u32 v37, s2, v37, 2
	s_delay_alu instid0(VALU_DEP_1)
	v_add_co_ci_u32_e64 v38, s2, 0, v38, s2
	s_add_u32 s6, s6, 1
	s_addc_u32 s7, s7, 0
	s_and_not1_b32 s2, s27, exec_lo
	s_waitcnt vmcnt(1)
	v_lshlrev_b32_e32 v39, 16, v39
	s_waitcnt vmcnt(0)
	v_lshlrev_b32_e32 v40, 16, v40
	s_delay_alu instid0(VALU_DEP_1) | instskip(SKIP_1) | instid1(SALU_CYCLE_1)
	v_cmp_neq_f32_e32 vcc_lo, v40, v39
	s_and_b32 s27, vcc_lo, exec_lo
	s_or_b32 s27, s2, s27
.LBB1227_216:                           ;   in Loop: Header=BB1227_217 Depth=1
	v_dual_mov_b32 v40, s7 :: v_dual_mov_b32 v39, s6
	s_and_b32 s2, exec_lo, s27
	s_delay_alu instid0(SALU_CYCLE_1) | instskip(NEXT) | instid1(SALU_CYCLE_1)
	s_or_b32 s25, s2, s25
	s_and_not1_b32 exec_lo, exec_lo, s25
	s_cbranch_execz .LBB1227_220
.LBB1227_217:                           ; =>This Inner Loop Header: Depth=1
	s_or_b32 s27, s27, exec_lo
	s_cmp_eq_u64 s[4:5], s[6:7]
	s_cbranch_scc0 .LBB1227_215
; %bb.218:                              ;   in Loop: Header=BB1227_217 Depth=1
	s_mov_b64 s[6:7], s[22:23]
                                        ; implicit-def: $vgpr35_vgpr36
                                        ; implicit-def: $vgpr37_vgpr38
	s_branch .LBB1227_216
.LBB1227_219:
                                        ; implicit-def: $sgpr2
                                        ; implicit-def: $vgpr34
	s_cbranch_execnz .LBB1227_288
	s_branch .LBB1227_379
.LBB1227_220:
	s_set_inst_prefetch_distance 0x2
	s_or_b32 exec_lo, exec_lo, s25
	v_cmp_gt_i64_e32 vcc_lo, s[22:23], v[39:40]
	s_or_not1_b32 s25, vcc_lo, exec_lo
.LBB1227_221:
	s_or_b32 exec_lo, exec_lo, s26
.LBB1227_222:
	v_mul_lo_u32 v37, v24, s22
	v_mul_lo_u32 v38, v23, s23
	v_mad_u64_u32 v[35:36], null, v23, s22, 0
	s_and_not1_b32 vcc_lo, exec_lo, s18
	s_delay_alu instid0(VALU_DEP_1) | instskip(NEXT) | instid1(VALU_DEP_1)
	v_add3_u32 v36, v36, v38, v37
	v_lshlrev_b64 v[35:36], 1, v[35:36]
	s_cbranch_vccnz .LBB1227_231
; %bb.223:
	v_add_co_u32 v33, vcc_lo, s8, v33
	v_add_co_ci_u32_e32 v34, vcc_lo, s9, v34, vcc_lo
	s_delay_alu instid0(VALU_DEP_3) | instskip(NEXT) | instid1(VALU_DEP_4)
	v_add_co_u32 v37, vcc_lo, s8, v35
	v_add_co_ci_u32_e32 v38, vcc_lo, s9, v36, vcc_lo
	s_mov_b32 s19, -1
	s_clause 0x1
	global_load_u16 v39, v[33:34], off
	global_load_u16 v40, v[37:38], off
	s_mov_b32 s26, exec_lo
	s_waitcnt vmcnt(1)
	v_lshlrev_b32_e32 v39, 16, v39
	s_waitcnt vmcnt(0)
	v_lshlrev_b32_e32 v40, 16, v40
	s_delay_alu instid0(VALU_DEP_1)
	v_cmpx_eq_f32_e32 v40, v39
	s_cbranch_execz .LBB1227_230
; %bb.224:
	v_add_co_u32 v33, vcc_lo, v33, 2
	v_add_co_ci_u32_e32 v34, vcc_lo, 0, v34, vcc_lo
	v_add_co_u32 v37, vcc_lo, v37, 2
	v_add_co_ci_u32_e32 v38, vcc_lo, 0, v38, vcc_lo
	s_add_u32 s4, s22, -1
	s_addc_u32 s5, s23, -1
	s_mov_b64 s[6:7], 0
	s_mov_b32 s19, 0
                                        ; implicit-def: $sgpr27
	s_set_inst_prefetch_distance 0x1
	s_branch .LBB1227_227
	.p2align	6
.LBB1227_225:                           ;   in Loop: Header=BB1227_227 Depth=1
	global_load_u16 v39, v[33:34], off
	global_load_u16 v40, v[37:38], off
	v_add_co_u32 v33, vcc_lo, v33, 2
	v_add_co_ci_u32_e32 v34, vcc_lo, 0, v34, vcc_lo
	v_add_co_u32 v37, s2, v37, 2
	s_delay_alu instid0(VALU_DEP_1)
	v_add_co_ci_u32_e64 v38, s2, 0, v38, s2
	s_add_u32 s6, s6, 1
	s_addc_u32 s7, s7, 0
	s_and_not1_b32 s2, s27, exec_lo
	s_waitcnt vmcnt(1)
	v_lshlrev_b32_e32 v39, 16, v39
	s_waitcnt vmcnt(0)
	v_lshlrev_b32_e32 v40, 16, v40
	s_delay_alu instid0(VALU_DEP_1) | instskip(SKIP_1) | instid1(SALU_CYCLE_1)
	v_cmp_neq_f32_e32 vcc_lo, v40, v39
	s_and_b32 s27, vcc_lo, exec_lo
	s_or_b32 s27, s2, s27
.LBB1227_226:                           ;   in Loop: Header=BB1227_227 Depth=1
	v_dual_mov_b32 v40, s7 :: v_dual_mov_b32 v39, s6
	s_and_b32 s2, exec_lo, s27
	s_delay_alu instid0(SALU_CYCLE_1) | instskip(NEXT) | instid1(SALU_CYCLE_1)
	s_or_b32 s19, s2, s19
	s_and_not1_b32 exec_lo, exec_lo, s19
	s_cbranch_execz .LBB1227_229
.LBB1227_227:                           ; =>This Inner Loop Header: Depth=1
	s_or_b32 s27, s27, exec_lo
	s_cmp_eq_u64 s[4:5], s[6:7]
	s_cbranch_scc0 .LBB1227_225
; %bb.228:                              ;   in Loop: Header=BB1227_227 Depth=1
	s_mov_b64 s[6:7], s[22:23]
                                        ; implicit-def: $vgpr33_vgpr34
                                        ; implicit-def: $vgpr37_vgpr38
	s_branch .LBB1227_226
.LBB1227_229:
	s_set_inst_prefetch_distance 0x2
	s_or_b32 exec_lo, exec_lo, s19
	v_cmp_gt_i64_e32 vcc_lo, s[22:23], v[39:40]
	s_or_not1_b32 s19, vcc_lo, exec_lo
.LBB1227_230:
	s_or_b32 exec_lo, exec_lo, s26
.LBB1227_231:
	v_mul_lo_u32 v37, v22, s22
	v_mul_lo_u32 v38, v21, s23
	v_mad_u64_u32 v[33:34], null, v21, s22, 0
	s_mov_b32 s26, 0
	s_and_not1_b32 vcc_lo, exec_lo, s18
	s_mov_b32 s27, 0
	s_delay_alu instid0(VALU_DEP_1) | instskip(NEXT) | instid1(VALU_DEP_1)
	v_add3_u32 v34, v34, v38, v37
	v_lshlrev_b64 v[37:38], 1, v[33:34]
	s_cbranch_vccnz .LBB1227_240
; %bb.232:
	v_add_co_u32 v33, vcc_lo, s8, v35
	v_add_co_ci_u32_e32 v34, vcc_lo, s9, v36, vcc_lo
	s_delay_alu instid0(VALU_DEP_3) | instskip(NEXT) | instid1(VALU_DEP_4)
	v_add_co_u32 v35, vcc_lo, s8, v37
	v_add_co_ci_u32_e32 v36, vcc_lo, s9, v38, vcc_lo
	s_mov_b32 s27, -1
	s_clause 0x1
	global_load_u16 v39, v[33:34], off
	global_load_u16 v40, v[35:36], off
	s_mov_b32 s29, exec_lo
	s_waitcnt vmcnt(1)
	v_lshlrev_b32_e32 v39, 16, v39
	s_waitcnt vmcnt(0)
	v_lshlrev_b32_e32 v40, 16, v40
	s_delay_alu instid0(VALU_DEP_1)
	v_cmpx_eq_f32_e32 v40, v39
	s_cbranch_execz .LBB1227_239
; %bb.233:
	v_add_co_u32 v33, vcc_lo, v33, 2
	v_add_co_ci_u32_e32 v34, vcc_lo, 0, v34, vcc_lo
	v_add_co_u32 v35, vcc_lo, v35, 2
	v_add_co_ci_u32_e32 v36, vcc_lo, 0, v36, vcc_lo
	s_add_u32 s4, s22, -1
	s_addc_u32 s5, s23, -1
	s_mov_b64 s[6:7], 0
	s_mov_b32 s27, 0
                                        ; implicit-def: $sgpr30
	s_set_inst_prefetch_distance 0x1
	s_branch .LBB1227_236
	.p2align	6
.LBB1227_234:                           ;   in Loop: Header=BB1227_236 Depth=1
	global_load_u16 v39, v[33:34], off
	global_load_u16 v40, v[35:36], off
	v_add_co_u32 v33, vcc_lo, v33, 2
	v_add_co_ci_u32_e32 v34, vcc_lo, 0, v34, vcc_lo
	v_add_co_u32 v35, s2, v35, 2
	s_delay_alu instid0(VALU_DEP_1)
	v_add_co_ci_u32_e64 v36, s2, 0, v36, s2
	s_add_u32 s6, s6, 1
	s_addc_u32 s7, s7, 0
	s_and_not1_b32 s2, s30, exec_lo
	s_waitcnt vmcnt(1)
	v_lshlrev_b32_e32 v39, 16, v39
	s_waitcnt vmcnt(0)
	v_lshlrev_b32_e32 v40, 16, v40
	s_delay_alu instid0(VALU_DEP_1) | instskip(SKIP_1) | instid1(SALU_CYCLE_1)
	v_cmp_neq_f32_e32 vcc_lo, v40, v39
	s_and_b32 s30, vcc_lo, exec_lo
	s_or_b32 s30, s2, s30
.LBB1227_235:                           ;   in Loop: Header=BB1227_236 Depth=1
	v_dual_mov_b32 v40, s7 :: v_dual_mov_b32 v39, s6
	s_and_b32 s2, exec_lo, s30
	s_delay_alu instid0(SALU_CYCLE_1) | instskip(NEXT) | instid1(SALU_CYCLE_1)
	s_or_b32 s27, s2, s27
	s_and_not1_b32 exec_lo, exec_lo, s27
	s_cbranch_execz .LBB1227_238
.LBB1227_236:                           ; =>This Inner Loop Header: Depth=1
	s_or_b32 s30, s30, exec_lo
	s_cmp_eq_u64 s[4:5], s[6:7]
	s_cbranch_scc0 .LBB1227_234
; %bb.237:                              ;   in Loop: Header=BB1227_236 Depth=1
	s_mov_b64 s[6:7], s[22:23]
                                        ; implicit-def: $vgpr33_vgpr34
                                        ; implicit-def: $vgpr35_vgpr36
	s_branch .LBB1227_235
.LBB1227_238:
	s_set_inst_prefetch_distance 0x2
	s_or_b32 exec_lo, exec_lo, s27
	v_cmp_gt_i64_e32 vcc_lo, s[22:23], v[39:40]
	s_or_not1_b32 s27, vcc_lo, exec_lo
.LBB1227_239:
	s_or_b32 exec_lo, exec_lo, s29
.LBB1227_240:
	v_mul_lo_u32 v35, v28, s22
	v_mul_lo_u32 v36, v27, s23
	v_mad_u64_u32 v[33:34], null, v27, s22, 0
	s_and_not1_b32 vcc_lo, exec_lo, s18
	s_delay_alu instid0(VALU_DEP_1) | instskip(NEXT) | instid1(VALU_DEP_1)
	v_add3_u32 v34, v34, v36, v35
	v_lshlrev_b64 v[33:34], 1, v[33:34]
	s_cbranch_vccnz .LBB1227_249
; %bb.241:
	v_add_co_u32 v35, vcc_lo, s8, v37
	v_add_co_ci_u32_e32 v36, vcc_lo, s9, v38, vcc_lo
	s_delay_alu instid0(VALU_DEP_3) | instskip(NEXT) | instid1(VALU_DEP_4)
	v_add_co_u32 v37, vcc_lo, s8, v33
	v_add_co_ci_u32_e32 v38, vcc_lo, s9, v34, vcc_lo
	s_mov_b32 s26, -1
	s_clause 0x1
	global_load_u16 v39, v[35:36], off
	global_load_u16 v40, v[37:38], off
	s_mov_b32 s29, exec_lo
	s_waitcnt vmcnt(1)
	v_lshlrev_b32_e32 v39, 16, v39
	s_waitcnt vmcnt(0)
	v_lshlrev_b32_e32 v40, 16, v40
	s_delay_alu instid0(VALU_DEP_1)
	v_cmpx_eq_f32_e32 v40, v39
	s_cbranch_execz .LBB1227_248
; %bb.242:
	v_add_co_u32 v35, vcc_lo, v35, 2
	v_add_co_ci_u32_e32 v36, vcc_lo, 0, v36, vcc_lo
	v_add_co_u32 v37, vcc_lo, v37, 2
	v_add_co_ci_u32_e32 v38, vcc_lo, 0, v38, vcc_lo
	s_add_u32 s4, s22, -1
	s_addc_u32 s5, s23, -1
	s_mov_b64 s[6:7], 0
	s_mov_b32 s26, 0
                                        ; implicit-def: $sgpr30
	s_set_inst_prefetch_distance 0x1
	s_branch .LBB1227_245
	.p2align	6
.LBB1227_243:                           ;   in Loop: Header=BB1227_245 Depth=1
	global_load_u16 v39, v[35:36], off
	global_load_u16 v40, v[37:38], off
	v_add_co_u32 v35, vcc_lo, v35, 2
	v_add_co_ci_u32_e32 v36, vcc_lo, 0, v36, vcc_lo
	v_add_co_u32 v37, s2, v37, 2
	s_delay_alu instid0(VALU_DEP_1)
	v_add_co_ci_u32_e64 v38, s2, 0, v38, s2
	s_add_u32 s6, s6, 1
	s_addc_u32 s7, s7, 0
	s_and_not1_b32 s2, s30, exec_lo
	s_waitcnt vmcnt(1)
	v_lshlrev_b32_e32 v39, 16, v39
	s_waitcnt vmcnt(0)
	v_lshlrev_b32_e32 v40, 16, v40
	s_delay_alu instid0(VALU_DEP_1) | instskip(SKIP_1) | instid1(SALU_CYCLE_1)
	v_cmp_neq_f32_e32 vcc_lo, v40, v39
	s_and_b32 s30, vcc_lo, exec_lo
	s_or_b32 s30, s2, s30
.LBB1227_244:                           ;   in Loop: Header=BB1227_245 Depth=1
	v_dual_mov_b32 v40, s7 :: v_dual_mov_b32 v39, s6
	s_and_b32 s2, exec_lo, s30
	s_delay_alu instid0(SALU_CYCLE_1) | instskip(NEXT) | instid1(SALU_CYCLE_1)
	s_or_b32 s26, s2, s26
	s_and_not1_b32 exec_lo, exec_lo, s26
	s_cbranch_execz .LBB1227_247
.LBB1227_245:                           ; =>This Inner Loop Header: Depth=1
	s_or_b32 s30, s30, exec_lo
	s_cmp_eq_u64 s[4:5], s[6:7]
	s_cbranch_scc0 .LBB1227_243
; %bb.246:                              ;   in Loop: Header=BB1227_245 Depth=1
	s_mov_b64 s[6:7], s[22:23]
                                        ; implicit-def: $vgpr35_vgpr36
                                        ; implicit-def: $vgpr37_vgpr38
	s_branch .LBB1227_244
.LBB1227_247:
	s_set_inst_prefetch_distance 0x2
	s_or_b32 exec_lo, exec_lo, s26
	v_cmp_gt_i64_e32 vcc_lo, s[22:23], v[39:40]
	s_or_not1_b32 s26, vcc_lo, exec_lo
.LBB1227_248:
	s_or_b32 exec_lo, exec_lo, s29
.LBB1227_249:
	v_mul_lo_u32 v37, v26, s22
	v_mul_lo_u32 v38, v25, s23
	v_mad_u64_u32 v[35:36], null, v25, s22, 0
	s_mov_b32 s29, 0
	s_and_not1_b32 vcc_lo, exec_lo, s18
	s_mov_b32 s30, 0
	s_delay_alu instid0(VALU_DEP_1) | instskip(NEXT) | instid1(VALU_DEP_1)
	v_add3_u32 v36, v36, v38, v37
	v_lshlrev_b64 v[35:36], 1, v[35:36]
	s_cbranch_vccnz .LBB1227_258
; %bb.250:
	v_add_co_u32 v33, vcc_lo, s8, v33
	v_add_co_ci_u32_e32 v34, vcc_lo, s9, v34, vcc_lo
	s_delay_alu instid0(VALU_DEP_3) | instskip(NEXT) | instid1(VALU_DEP_4)
	v_add_co_u32 v37, vcc_lo, s8, v35
	v_add_co_ci_u32_e32 v38, vcc_lo, s9, v36, vcc_lo
	s_mov_b32 s30, -1
	s_clause 0x1
	global_load_u16 v39, v[33:34], off
	global_load_u16 v40, v[37:38], off
	s_mov_b32 s31, exec_lo
	s_waitcnt vmcnt(1)
	v_lshlrev_b32_e32 v39, 16, v39
	s_waitcnt vmcnt(0)
	v_lshlrev_b32_e32 v40, 16, v40
	s_delay_alu instid0(VALU_DEP_1)
	v_cmpx_eq_f32_e32 v40, v39
	s_cbranch_execz .LBB1227_257
; %bb.251:
	v_add_co_u32 v33, vcc_lo, v33, 2
	v_add_co_ci_u32_e32 v34, vcc_lo, 0, v34, vcc_lo
	v_add_co_u32 v37, vcc_lo, v37, 2
	v_add_co_ci_u32_e32 v38, vcc_lo, 0, v38, vcc_lo
	s_add_u32 s4, s22, -1
	s_addc_u32 s5, s23, -1
	s_mov_b64 s[6:7], 0
	s_mov_b32 s30, 0
                                        ; implicit-def: $sgpr33
	s_set_inst_prefetch_distance 0x1
	s_branch .LBB1227_254
	.p2align	6
.LBB1227_252:                           ;   in Loop: Header=BB1227_254 Depth=1
	global_load_u16 v39, v[33:34], off
	global_load_u16 v40, v[37:38], off
	v_add_co_u32 v33, vcc_lo, v33, 2
	v_add_co_ci_u32_e32 v34, vcc_lo, 0, v34, vcc_lo
	v_add_co_u32 v37, s2, v37, 2
	s_delay_alu instid0(VALU_DEP_1)
	v_add_co_ci_u32_e64 v38, s2, 0, v38, s2
	s_add_u32 s6, s6, 1
	s_addc_u32 s7, s7, 0
	s_and_not1_b32 s2, s33, exec_lo
	s_waitcnt vmcnt(1)
	v_lshlrev_b32_e32 v39, 16, v39
	s_waitcnt vmcnt(0)
	v_lshlrev_b32_e32 v40, 16, v40
	s_delay_alu instid0(VALU_DEP_1) | instskip(SKIP_1) | instid1(SALU_CYCLE_1)
	v_cmp_neq_f32_e32 vcc_lo, v40, v39
	s_and_b32 s33, vcc_lo, exec_lo
	s_or_b32 s33, s2, s33
.LBB1227_253:                           ;   in Loop: Header=BB1227_254 Depth=1
	v_dual_mov_b32 v40, s7 :: v_dual_mov_b32 v39, s6
	s_and_b32 s2, exec_lo, s33
	s_delay_alu instid0(SALU_CYCLE_1) | instskip(NEXT) | instid1(SALU_CYCLE_1)
	s_or_b32 s30, s2, s30
	s_and_not1_b32 exec_lo, exec_lo, s30
	s_cbranch_execz .LBB1227_256
.LBB1227_254:                           ; =>This Inner Loop Header: Depth=1
	s_or_b32 s33, s33, exec_lo
	s_cmp_eq_u64 s[4:5], s[6:7]
	s_cbranch_scc0 .LBB1227_252
; %bb.255:                              ;   in Loop: Header=BB1227_254 Depth=1
	s_mov_b64 s[6:7], s[22:23]
                                        ; implicit-def: $vgpr33_vgpr34
                                        ; implicit-def: $vgpr37_vgpr38
	s_branch .LBB1227_253
.LBB1227_256:
	s_set_inst_prefetch_distance 0x2
	s_or_b32 exec_lo, exec_lo, s30
	v_cmp_gt_i64_e32 vcc_lo, s[22:23], v[39:40]
	s_or_not1_b32 s30, vcc_lo, exec_lo
.LBB1227_257:
	s_or_b32 exec_lo, exec_lo, s31
.LBB1227_258:
	v_mul_lo_u32 v37, v32, s22
	v_mul_lo_u32 v38, v31, s23
	v_mad_u64_u32 v[33:34], null, v31, s22, 0
	s_and_not1_b32 vcc_lo, exec_lo, s18
	s_delay_alu instid0(VALU_DEP_1) | instskip(NEXT) | instid1(VALU_DEP_1)
	v_add3_u32 v34, v34, v38, v37
	v_lshlrev_b64 v[33:34], 1, v[33:34]
	s_cbranch_vccnz .LBB1227_267
; %bb.259:
	v_add_co_u32 v35, vcc_lo, s8, v35
	v_add_co_ci_u32_e32 v36, vcc_lo, s9, v36, vcc_lo
	s_delay_alu instid0(VALU_DEP_3) | instskip(NEXT) | instid1(VALU_DEP_4)
	v_add_co_u32 v37, vcc_lo, s8, v33
	v_add_co_ci_u32_e32 v38, vcc_lo, s9, v34, vcc_lo
	s_mov_b32 s29, -1
	s_clause 0x1
	global_load_u16 v39, v[35:36], off
	global_load_u16 v40, v[37:38], off
	s_mov_b32 s31, exec_lo
	s_waitcnt vmcnt(1)
	v_lshlrev_b32_e32 v39, 16, v39
	s_waitcnt vmcnt(0)
	v_lshlrev_b32_e32 v40, 16, v40
	s_delay_alu instid0(VALU_DEP_1)
	v_cmpx_eq_f32_e32 v40, v39
	s_cbranch_execz .LBB1227_266
; %bb.260:
	v_add_co_u32 v35, vcc_lo, v35, 2
	v_add_co_ci_u32_e32 v36, vcc_lo, 0, v36, vcc_lo
	v_add_co_u32 v37, vcc_lo, v37, 2
	v_add_co_ci_u32_e32 v38, vcc_lo, 0, v38, vcc_lo
	s_add_u32 s4, s22, -1
	s_addc_u32 s5, s23, -1
	s_mov_b64 s[6:7], 0
	s_mov_b32 s29, 0
                                        ; implicit-def: $sgpr33
	s_set_inst_prefetch_distance 0x1
	s_branch .LBB1227_263
	.p2align	6
.LBB1227_261:                           ;   in Loop: Header=BB1227_263 Depth=1
	global_load_u16 v39, v[35:36], off
	global_load_u16 v40, v[37:38], off
	v_add_co_u32 v35, vcc_lo, v35, 2
	v_add_co_ci_u32_e32 v36, vcc_lo, 0, v36, vcc_lo
	v_add_co_u32 v37, s2, v37, 2
	s_delay_alu instid0(VALU_DEP_1)
	v_add_co_ci_u32_e64 v38, s2, 0, v38, s2
	s_add_u32 s6, s6, 1
	s_addc_u32 s7, s7, 0
	s_and_not1_b32 s2, s33, exec_lo
	s_waitcnt vmcnt(1)
	v_lshlrev_b32_e32 v39, 16, v39
	s_waitcnt vmcnt(0)
	v_lshlrev_b32_e32 v40, 16, v40
	s_delay_alu instid0(VALU_DEP_1) | instskip(SKIP_1) | instid1(SALU_CYCLE_1)
	v_cmp_neq_f32_e32 vcc_lo, v40, v39
	s_and_b32 s33, vcc_lo, exec_lo
	s_or_b32 s33, s2, s33
.LBB1227_262:                           ;   in Loop: Header=BB1227_263 Depth=1
	v_dual_mov_b32 v40, s7 :: v_dual_mov_b32 v39, s6
	s_and_b32 s2, exec_lo, s33
	s_delay_alu instid0(SALU_CYCLE_1) | instskip(NEXT) | instid1(SALU_CYCLE_1)
	s_or_b32 s29, s2, s29
	s_and_not1_b32 exec_lo, exec_lo, s29
	s_cbranch_execz .LBB1227_265
.LBB1227_263:                           ; =>This Inner Loop Header: Depth=1
	s_or_b32 s33, s33, exec_lo
	s_cmp_eq_u64 s[4:5], s[6:7]
	s_cbranch_scc0 .LBB1227_261
; %bb.264:                              ;   in Loop: Header=BB1227_263 Depth=1
	s_mov_b64 s[6:7], s[22:23]
                                        ; implicit-def: $vgpr35_vgpr36
                                        ; implicit-def: $vgpr37_vgpr38
	s_branch .LBB1227_262
.LBB1227_265:
	s_set_inst_prefetch_distance 0x2
	s_or_b32 exec_lo, exec_lo, s29
	v_cmp_gt_i64_e32 vcc_lo, s[22:23], v[39:40]
	s_or_not1_b32 s29, vcc_lo, exec_lo
.LBB1227_266:
	s_or_b32 exec_lo, exec_lo, s31
.LBB1227_267:
	v_mul_lo_u32 v37, v30, s22
	v_mul_lo_u32 v38, v29, s23
	v_mad_u64_u32 v[35:36], null, v29, s22, 0
	s_and_not1_b32 vcc_lo, exec_lo, s18
	s_mov_b32 s2, 0
	s_delay_alu instid0(VALU_DEP_1)
	v_add3_u32 v36, v36, v38, v37
	s_cbranch_vccnz .LBB1227_276
; %bb.268:
	s_delay_alu instid0(VALU_DEP_1) | instskip(SKIP_3) | instid1(VALU_DEP_3)
	v_lshlrev_b64 v[37:38], 1, v[35:36]
	v_add_co_u32 v33, vcc_lo, s8, v33
	v_add_co_ci_u32_e32 v34, vcc_lo, s9, v34, vcc_lo
	s_mov_b32 s2, -1
	v_add_co_u32 v37, vcc_lo, s8, v37
	s_delay_alu instid0(VALU_DEP_4)
	v_add_co_ci_u32_e32 v38, vcc_lo, s9, v38, vcc_lo
	s_mov_b32 s31, exec_lo
	s_clause 0x1
	global_load_u16 v39, v[33:34], off
	global_load_u16 v40, v[37:38], off
	s_waitcnt vmcnt(1)
	v_lshlrev_b32_e32 v39, 16, v39
	s_waitcnt vmcnt(0)
	v_lshlrev_b32_e32 v40, 16, v40
	s_delay_alu instid0(VALU_DEP_1)
	v_cmpx_eq_f32_e32 v40, v39
	s_cbranch_execz .LBB1227_275
; %bb.269:
	v_add_co_u32 v33, vcc_lo, v33, 2
	v_add_co_ci_u32_e32 v34, vcc_lo, 0, v34, vcc_lo
	v_add_co_u32 v37, vcc_lo, v37, 2
	v_add_co_ci_u32_e32 v38, vcc_lo, 0, v38, vcc_lo
	s_add_u32 s4, s22, -1
	s_addc_u32 s5, s23, -1
	s_mov_b64 s[6:7], 0
	s_mov_b32 s33, 0
                                        ; implicit-def: $sgpr34
	s_set_inst_prefetch_distance 0x1
	s_branch .LBB1227_272
	.p2align	6
.LBB1227_270:                           ;   in Loop: Header=BB1227_272 Depth=1
	global_load_u16 v39, v[33:34], off
	global_load_u16 v40, v[37:38], off
	v_add_co_u32 v33, vcc_lo, v33, 2
	v_add_co_ci_u32_e32 v34, vcc_lo, 0, v34, vcc_lo
	v_add_co_u32 v37, s2, v37, 2
	s_delay_alu instid0(VALU_DEP_1)
	v_add_co_ci_u32_e64 v38, s2, 0, v38, s2
	s_add_u32 s6, s6, 1
	s_addc_u32 s7, s7, 0
	s_and_not1_b32 s2, s34, exec_lo
	s_waitcnt vmcnt(1)
	v_lshlrev_b32_e32 v39, 16, v39
	s_waitcnt vmcnt(0)
	v_lshlrev_b32_e32 v40, 16, v40
	s_delay_alu instid0(VALU_DEP_1) | instskip(SKIP_1) | instid1(SALU_CYCLE_1)
	v_cmp_neq_f32_e32 vcc_lo, v40, v39
	s_and_b32 s34, vcc_lo, exec_lo
	s_or_b32 s34, s2, s34
.LBB1227_271:                           ;   in Loop: Header=BB1227_272 Depth=1
	v_dual_mov_b32 v40, s7 :: v_dual_mov_b32 v39, s6
	s_and_b32 s2, exec_lo, s34
	s_delay_alu instid0(SALU_CYCLE_1) | instskip(NEXT) | instid1(SALU_CYCLE_1)
	s_or_b32 s33, s2, s33
	s_and_not1_b32 exec_lo, exec_lo, s33
	s_cbranch_execz .LBB1227_274
.LBB1227_272:                           ; =>This Inner Loop Header: Depth=1
	s_or_b32 s34, s34, exec_lo
	s_cmp_eq_u64 s[4:5], s[6:7]
	s_cbranch_scc0 .LBB1227_270
; %bb.273:                              ;   in Loop: Header=BB1227_272 Depth=1
	s_mov_b64 s[6:7], s[22:23]
                                        ; implicit-def: $vgpr33_vgpr34
                                        ; implicit-def: $vgpr37_vgpr38
	s_branch .LBB1227_271
.LBB1227_274:
	s_set_inst_prefetch_distance 0x2
	s_or_b32 exec_lo, exec_lo, s33
	v_cmp_gt_i64_e32 vcc_lo, s[22:23], v[39:40]
	s_or_not1_b32 s2, vcc_lo, exec_lo
.LBB1227_275:
	s_or_b32 exec_lo, exec_lo, s31
.LBB1227_276:
	v_cndmask_b32_e64 v34, 0, 1, s30
	v_cndmask_b32_e64 v37, 0, 1, s27
	;; [unrolled: 1-line block ×7, first 2 shown]
	v_lshlrev_b16 v37, 8, v37
	v_lshlrev_b16 v38, 8, v38
	;; [unrolled: 1-line block ×4, first 2 shown]
	s_waitcnt lgkmcnt(0)
	v_or_b32_e32 v37, v40, v37
	v_or_b32_e32 v38, v41, v38
	;; [unrolled: 1-line block ×4, first 2 shown]
	s_barrier
	v_and_b32_e32 v34, 0xffff, v37
	v_lshlrev_b32_e32 v37, 16, v38
	v_and_b32_e32 v38, 0xffff, v39
	v_lshlrev_b32_e32 v33, 16, v33
	buffer_gl0_inv
                                        ; implicit-def: $sgpr2
	s_mov_b32 s4, exec_lo
	v_or_b32_e32 v34, v34, v37
	v_or_b32_e32 v33, v38, v33
	v_cmpx_ne_u32_e32 0, v0
	s_xor_b32 s19, exec_lo, s4
	s_cbranch_execz .LBB1227_287
; %bb.277:
	s_and_not1_b32 vcc_lo, exec_lo, s18
	s_mov_b32 s2, 0
	s_cbranch_vccnz .LBB1227_286
; %bb.278:
	v_add_nc_u32_e32 v37, -8, v55
	v_lshlrev_b64 v[35:36], 1, v[35:36]
	s_mov_b32 s2, -1
	s_mov_b32 s25, exec_lo
	ds_load_b64 v[37:38], v37
	s_waitcnt lgkmcnt(0)
	v_mul_lo_u32 v40, v38, s22
	v_mul_lo_u32 v41, v37, s23
	v_mad_u64_u32 v[38:39], null, v37, s22, 0
	s_delay_alu instid0(VALU_DEP_1) | instskip(NEXT) | instid1(VALU_DEP_1)
	v_add3_u32 v39, v39, v41, v40
	v_lshlrev_b64 v[37:38], 1, v[38:39]
	s_delay_alu instid0(VALU_DEP_1) | instskip(NEXT) | instid1(VALU_DEP_2)
	v_add_co_u32 v37, vcc_lo, s8, v37
	v_add_co_ci_u32_e32 v38, vcc_lo, s9, v38, vcc_lo
	v_add_co_u32 v35, vcc_lo, s8, v35
	v_add_co_ci_u32_e32 v36, vcc_lo, s9, v36, vcc_lo
	s_clause 0x1
	global_load_u16 v39, v[37:38], off
	global_load_u16 v40, v[35:36], off
	s_waitcnt vmcnt(1)
	v_lshlrev_b32_e32 v39, 16, v39
	s_waitcnt vmcnt(0)
	v_lshlrev_b32_e32 v40, 16, v40
	s_delay_alu instid0(VALU_DEP_1)
	v_cmpx_eq_f32_e32 v39, v40
	s_cbranch_execz .LBB1227_285
; %bb.279:
	v_add_co_u32 v35, vcc_lo, v35, 2
	v_add_co_ci_u32_e32 v36, vcc_lo, 0, v36, vcc_lo
	v_add_co_u32 v37, vcc_lo, v37, 2
	v_add_co_ci_u32_e32 v38, vcc_lo, 0, v38, vcc_lo
	s_add_u32 s4, s22, -1
	s_addc_u32 s5, s23, -1
	s_mov_b64 s[6:7], 0
	s_mov_b32 s26, 0
                                        ; implicit-def: $sgpr27
	s_set_inst_prefetch_distance 0x1
	s_branch .LBB1227_282
	.p2align	6
.LBB1227_280:                           ;   in Loop: Header=BB1227_282 Depth=1
	global_load_u16 v39, v[35:36], off
	global_load_u16 v40, v[37:38], off
	v_add_co_u32 v35, vcc_lo, v35, 2
	v_add_co_ci_u32_e32 v36, vcc_lo, 0, v36, vcc_lo
	v_add_co_u32 v37, s2, v37, 2
	s_delay_alu instid0(VALU_DEP_1)
	v_add_co_ci_u32_e64 v38, s2, 0, v38, s2
	s_add_u32 s6, s6, 1
	s_addc_u32 s7, s7, 0
	s_and_not1_b32 s2, s27, exec_lo
	s_waitcnt vmcnt(1)
	v_lshlrev_b32_e32 v39, 16, v39
	s_waitcnt vmcnt(0)
	v_lshlrev_b32_e32 v40, 16, v40
	s_delay_alu instid0(VALU_DEP_1) | instskip(SKIP_1) | instid1(SALU_CYCLE_1)
	v_cmp_neq_f32_e32 vcc_lo, v40, v39
	s_and_b32 s27, vcc_lo, exec_lo
	s_or_b32 s27, s2, s27
.LBB1227_281:                           ;   in Loop: Header=BB1227_282 Depth=1
	v_dual_mov_b32 v40, s7 :: v_dual_mov_b32 v39, s6
	s_and_b32 s2, exec_lo, s27
	s_delay_alu instid0(SALU_CYCLE_1) | instskip(NEXT) | instid1(SALU_CYCLE_1)
	s_or_b32 s26, s2, s26
	s_and_not1_b32 exec_lo, exec_lo, s26
	s_cbranch_execz .LBB1227_284
.LBB1227_282:                           ; =>This Inner Loop Header: Depth=1
	s_or_b32 s27, s27, exec_lo
	s_cmp_eq_u64 s[4:5], s[6:7]
	s_cbranch_scc0 .LBB1227_280
; %bb.283:                              ;   in Loop: Header=BB1227_282 Depth=1
	s_mov_b64 s[6:7], s[22:23]
                                        ; implicit-def: $vgpr35_vgpr36
                                        ; implicit-def: $vgpr37_vgpr38
	s_branch .LBB1227_281
.LBB1227_284:
	s_set_inst_prefetch_distance 0x2
	s_or_b32 exec_lo, exec_lo, s26
	v_cmp_gt_i64_e32 vcc_lo, s[22:23], v[39:40]
	s_or_not1_b32 s2, vcc_lo, exec_lo
.LBB1227_285:
	s_or_b32 exec_lo, exec_lo, s25
.LBB1227_286:
	s_delay_alu instid0(SALU_CYCLE_1)
	s_and_b32 s2, s2, exec_lo
	s_or_b32 s3, s3, exec_lo
.LBB1227_287:
	s_or_b32 exec_lo, exec_lo, s19
	s_branch .LBB1227_379
.LBB1227_288:
	v_or_b32_e32 v33, 7, v55
	s_mov_b32 s19, 0
	s_mov_b32 s25, 0
	s_mov_b32 s26, exec_lo
	s_delay_alu instid0(VALU_DEP_1)
	v_cmpx_gt_u32_e64 s28, v33
	s_cbranch_execz .LBB1227_299
; %bb.289:
	s_and_not1_b32 vcc_lo, exec_lo, s18
	s_mov_b32 s2, 0
	s_cbranch_vccnz .LBB1227_298
; %bb.290:
	v_mul_lo_u32 v37, v20, s22
	v_mul_lo_u32 v38, v19, s23
	v_mad_u64_u32 v[33:34], null, v19, s22, 0
	v_mul_lo_u32 v39, v18, s22
	v_mul_lo_u32 v40, v17, s23
	v_mad_u64_u32 v[35:36], null, v17, s22, 0
	s_mov_b32 s2, -1
	s_mov_b32 s25, exec_lo
	s_delay_alu instid0(VALU_DEP_4) | instskip(NEXT) | instid1(VALU_DEP_2)
	v_add3_u32 v34, v34, v38, v37
	v_add3_u32 v36, v36, v40, v39
	s_delay_alu instid0(VALU_DEP_2) | instskip(NEXT) | instid1(VALU_DEP_2)
	v_lshlrev_b64 v[33:34], 1, v[33:34]
	v_lshlrev_b64 v[35:36], 1, v[35:36]
	s_delay_alu instid0(VALU_DEP_2) | instskip(NEXT) | instid1(VALU_DEP_3)
	v_add_co_u32 v33, vcc_lo, s8, v33
	v_add_co_ci_u32_e32 v34, vcc_lo, s9, v34, vcc_lo
	s_delay_alu instid0(VALU_DEP_3) | instskip(NEXT) | instid1(VALU_DEP_4)
	v_add_co_u32 v35, vcc_lo, s8, v35
	v_add_co_ci_u32_e32 v36, vcc_lo, s9, v36, vcc_lo
	s_clause 0x1
	global_load_u16 v37, v[33:34], off
	global_load_u16 v38, v[35:36], off
	s_waitcnt vmcnt(1)
	v_lshlrev_b32_e32 v37, 16, v37
	s_waitcnt vmcnt(0)
	v_lshlrev_b32_e32 v38, 16, v38
	s_delay_alu instid0(VALU_DEP_1)
	v_cmpx_eq_f32_e32 v38, v37
	s_cbranch_execz .LBB1227_297
; %bb.291:
	v_add_co_u32 v33, vcc_lo, v33, 2
	v_add_co_ci_u32_e32 v34, vcc_lo, 0, v34, vcc_lo
	v_add_co_u32 v35, vcc_lo, v35, 2
	v_add_co_ci_u32_e32 v36, vcc_lo, 0, v36, vcc_lo
	s_add_u32 s4, s22, -1
	s_addc_u32 s5, s23, -1
	s_mov_b64 s[6:7], 0
	s_mov_b32 s27, 0
                                        ; implicit-def: $sgpr29
	s_set_inst_prefetch_distance 0x1
	s_branch .LBB1227_294
	.p2align	6
.LBB1227_292:                           ;   in Loop: Header=BB1227_294 Depth=1
	global_load_u16 v37, v[33:34], off
	global_load_u16 v38, v[35:36], off
	v_add_co_u32 v33, vcc_lo, v33, 2
	v_add_co_ci_u32_e32 v34, vcc_lo, 0, v34, vcc_lo
	v_add_co_u32 v35, s2, v35, 2
	s_delay_alu instid0(VALU_DEP_1)
	v_add_co_ci_u32_e64 v36, s2, 0, v36, s2
	s_add_u32 s6, s6, 1
	s_addc_u32 s7, s7, 0
	s_and_not1_b32 s2, s29, exec_lo
	s_waitcnt vmcnt(1)
	v_lshlrev_b32_e32 v37, 16, v37
	s_waitcnt vmcnt(0)
	v_lshlrev_b32_e32 v38, 16, v38
	s_delay_alu instid0(VALU_DEP_1) | instskip(SKIP_1) | instid1(SALU_CYCLE_1)
	v_cmp_neq_f32_e32 vcc_lo, v38, v37
	s_and_b32 s29, vcc_lo, exec_lo
	s_or_b32 s29, s2, s29
.LBB1227_293:                           ;   in Loop: Header=BB1227_294 Depth=1
	v_dual_mov_b32 v38, s7 :: v_dual_mov_b32 v37, s6
	s_and_b32 s2, exec_lo, s29
	s_delay_alu instid0(SALU_CYCLE_1) | instskip(NEXT) | instid1(SALU_CYCLE_1)
	s_or_b32 s27, s2, s27
	s_and_not1_b32 exec_lo, exec_lo, s27
	s_cbranch_execz .LBB1227_296
.LBB1227_294:                           ; =>This Inner Loop Header: Depth=1
	s_or_b32 s29, s29, exec_lo
	s_cmp_eq_u64 s[4:5], s[6:7]
	s_cbranch_scc0 .LBB1227_292
; %bb.295:                              ;   in Loop: Header=BB1227_294 Depth=1
	s_mov_b64 s[6:7], s[22:23]
                                        ; implicit-def: $vgpr33_vgpr34
                                        ; implicit-def: $vgpr35_vgpr36
	s_branch .LBB1227_293
.LBB1227_296:
	s_set_inst_prefetch_distance 0x2
	s_or_b32 exec_lo, exec_lo, s27
	v_cmp_gt_i64_e32 vcc_lo, s[22:23], v[37:38]
	s_or_not1_b32 s2, vcc_lo, exec_lo
.LBB1227_297:
	s_or_b32 exec_lo, exec_lo, s25
.LBB1227_298:
	s_delay_alu instid0(SALU_CYCLE_1)
	s_and_b32 s25, s2, exec_lo
.LBB1227_299:
	s_or_b32 exec_lo, exec_lo, s26
	v_or_b32_e32 v33, 6, v55
	s_mov_b32 s26, exec_lo
	s_delay_alu instid0(VALU_DEP_1)
	v_cmpx_gt_u32_e64 s28, v33
	s_cbranch_execz .LBB1227_310
; %bb.300:
	s_and_not1_b32 vcc_lo, exec_lo, s18
	s_mov_b32 s2, 0
	s_cbranch_vccnz .LBB1227_309
; %bb.301:
	v_mul_lo_u32 v37, v18, s22
	v_mul_lo_u32 v38, v17, s23
	v_mad_u64_u32 v[33:34], null, v17, s22, 0
	v_mul_lo_u32 v39, v24, s22
	v_mul_lo_u32 v40, v23, s23
	v_mad_u64_u32 v[35:36], null, v23, s22, 0
	s_mov_b32 s2, -1
	s_mov_b32 s19, exec_lo
	s_delay_alu instid0(VALU_DEP_4) | instskip(NEXT) | instid1(VALU_DEP_2)
	v_add3_u32 v34, v34, v38, v37
	v_add3_u32 v36, v36, v40, v39
	s_delay_alu instid0(VALU_DEP_2) | instskip(NEXT) | instid1(VALU_DEP_2)
	v_lshlrev_b64 v[33:34], 1, v[33:34]
	v_lshlrev_b64 v[35:36], 1, v[35:36]
	s_delay_alu instid0(VALU_DEP_2) | instskip(NEXT) | instid1(VALU_DEP_3)
	v_add_co_u32 v33, vcc_lo, s8, v33
	v_add_co_ci_u32_e32 v34, vcc_lo, s9, v34, vcc_lo
	s_delay_alu instid0(VALU_DEP_3) | instskip(NEXT) | instid1(VALU_DEP_4)
	v_add_co_u32 v35, vcc_lo, s8, v35
	v_add_co_ci_u32_e32 v36, vcc_lo, s9, v36, vcc_lo
	s_clause 0x1
	global_load_u16 v37, v[33:34], off
	global_load_u16 v38, v[35:36], off
	s_waitcnt vmcnt(1)
	v_lshlrev_b32_e32 v37, 16, v37
	s_waitcnt vmcnt(0)
	v_lshlrev_b32_e32 v38, 16, v38
	s_delay_alu instid0(VALU_DEP_1)
	v_cmpx_eq_f32_e32 v38, v37
	s_cbranch_execz .LBB1227_308
; %bb.302:
	v_add_co_u32 v33, vcc_lo, v33, 2
	v_add_co_ci_u32_e32 v34, vcc_lo, 0, v34, vcc_lo
	v_add_co_u32 v35, vcc_lo, v35, 2
	v_add_co_ci_u32_e32 v36, vcc_lo, 0, v36, vcc_lo
	s_add_u32 s4, s22, -1
	s_addc_u32 s5, s23, -1
	s_mov_b64 s[6:7], 0
	s_mov_b32 s27, 0
                                        ; implicit-def: $sgpr29
	s_set_inst_prefetch_distance 0x1
	s_branch .LBB1227_305
	.p2align	6
.LBB1227_303:                           ;   in Loop: Header=BB1227_305 Depth=1
	global_load_u16 v37, v[33:34], off
	global_load_u16 v38, v[35:36], off
	v_add_co_u32 v33, vcc_lo, v33, 2
	v_add_co_ci_u32_e32 v34, vcc_lo, 0, v34, vcc_lo
	v_add_co_u32 v35, s2, v35, 2
	s_delay_alu instid0(VALU_DEP_1)
	v_add_co_ci_u32_e64 v36, s2, 0, v36, s2
	s_add_u32 s6, s6, 1
	s_addc_u32 s7, s7, 0
	s_and_not1_b32 s2, s29, exec_lo
	s_waitcnt vmcnt(1)
	v_lshlrev_b32_e32 v37, 16, v37
	s_waitcnt vmcnt(0)
	v_lshlrev_b32_e32 v38, 16, v38
	s_delay_alu instid0(VALU_DEP_1) | instskip(SKIP_1) | instid1(SALU_CYCLE_1)
	v_cmp_neq_f32_e32 vcc_lo, v38, v37
	s_and_b32 s29, vcc_lo, exec_lo
	s_or_b32 s29, s2, s29
.LBB1227_304:                           ;   in Loop: Header=BB1227_305 Depth=1
	v_dual_mov_b32 v38, s7 :: v_dual_mov_b32 v37, s6
	s_and_b32 s2, exec_lo, s29
	s_delay_alu instid0(SALU_CYCLE_1) | instskip(NEXT) | instid1(SALU_CYCLE_1)
	s_or_b32 s27, s2, s27
	s_and_not1_b32 exec_lo, exec_lo, s27
	s_cbranch_execz .LBB1227_307
.LBB1227_305:                           ; =>This Inner Loop Header: Depth=1
	s_or_b32 s29, s29, exec_lo
	s_cmp_eq_u64 s[4:5], s[6:7]
	s_cbranch_scc0 .LBB1227_303
; %bb.306:                              ;   in Loop: Header=BB1227_305 Depth=1
	s_mov_b64 s[6:7], s[22:23]
                                        ; implicit-def: $vgpr33_vgpr34
                                        ; implicit-def: $vgpr35_vgpr36
	s_branch .LBB1227_304
.LBB1227_307:
	s_set_inst_prefetch_distance 0x2
	s_or_b32 exec_lo, exec_lo, s27
	v_cmp_gt_i64_e32 vcc_lo, s[22:23], v[37:38]
	s_or_not1_b32 s2, vcc_lo, exec_lo
.LBB1227_308:
	s_or_b32 exec_lo, exec_lo, s19
.LBB1227_309:
	s_delay_alu instid0(SALU_CYCLE_1)
	s_and_b32 s19, s2, exec_lo
.LBB1227_310:
	s_or_b32 exec_lo, exec_lo, s26
	v_or_b32_e32 v33, 5, v55
	s_mov_b32 s26, 0
	s_mov_b32 s27, 0
	s_mov_b32 s29, exec_lo
	s_delay_alu instid0(VALU_DEP_1)
	v_cmpx_gt_u32_e64 s28, v33
	s_cbranch_execz .LBB1227_321
; %bb.311:
	s_and_not1_b32 vcc_lo, exec_lo, s18
	s_mov_b32 s2, 0
	s_cbranch_vccnz .LBB1227_320
; %bb.312:
	v_mul_lo_u32 v37, v24, s22
	v_mul_lo_u32 v38, v23, s23
	v_mad_u64_u32 v[33:34], null, v23, s22, 0
	v_mul_lo_u32 v39, v22, s22
	v_mul_lo_u32 v40, v21, s23
	v_mad_u64_u32 v[35:36], null, v21, s22, 0
	s_mov_b32 s2, -1
	s_mov_b32 s27, exec_lo
	s_delay_alu instid0(VALU_DEP_4) | instskip(NEXT) | instid1(VALU_DEP_2)
	v_add3_u32 v34, v34, v38, v37
	v_add3_u32 v36, v36, v40, v39
	s_delay_alu instid0(VALU_DEP_2) | instskip(NEXT) | instid1(VALU_DEP_2)
	v_lshlrev_b64 v[33:34], 1, v[33:34]
	v_lshlrev_b64 v[35:36], 1, v[35:36]
	s_delay_alu instid0(VALU_DEP_2) | instskip(NEXT) | instid1(VALU_DEP_3)
	v_add_co_u32 v33, vcc_lo, s8, v33
	v_add_co_ci_u32_e32 v34, vcc_lo, s9, v34, vcc_lo
	s_delay_alu instid0(VALU_DEP_3) | instskip(NEXT) | instid1(VALU_DEP_4)
	v_add_co_u32 v35, vcc_lo, s8, v35
	v_add_co_ci_u32_e32 v36, vcc_lo, s9, v36, vcc_lo
	s_clause 0x1
	global_load_u16 v37, v[33:34], off
	global_load_u16 v38, v[35:36], off
	s_waitcnt vmcnt(1)
	v_lshlrev_b32_e32 v37, 16, v37
	s_waitcnt vmcnt(0)
	v_lshlrev_b32_e32 v38, 16, v38
	s_delay_alu instid0(VALU_DEP_1)
	v_cmpx_eq_f32_e32 v38, v37
	s_cbranch_execz .LBB1227_319
; %bb.313:
	v_add_co_u32 v33, vcc_lo, v33, 2
	v_add_co_ci_u32_e32 v34, vcc_lo, 0, v34, vcc_lo
	v_add_co_u32 v35, vcc_lo, v35, 2
	v_add_co_ci_u32_e32 v36, vcc_lo, 0, v36, vcc_lo
	s_add_u32 s4, s22, -1
	s_addc_u32 s5, s23, -1
	s_mov_b64 s[6:7], 0
	s_mov_b32 s30, 0
                                        ; implicit-def: $sgpr31
	s_set_inst_prefetch_distance 0x1
	s_branch .LBB1227_316
	.p2align	6
.LBB1227_314:                           ;   in Loop: Header=BB1227_316 Depth=1
	global_load_u16 v37, v[33:34], off
	global_load_u16 v38, v[35:36], off
	v_add_co_u32 v33, vcc_lo, v33, 2
	v_add_co_ci_u32_e32 v34, vcc_lo, 0, v34, vcc_lo
	v_add_co_u32 v35, s2, v35, 2
	s_delay_alu instid0(VALU_DEP_1)
	v_add_co_ci_u32_e64 v36, s2, 0, v36, s2
	s_add_u32 s6, s6, 1
	s_addc_u32 s7, s7, 0
	s_and_not1_b32 s2, s31, exec_lo
	s_waitcnt vmcnt(1)
	v_lshlrev_b32_e32 v37, 16, v37
	s_waitcnt vmcnt(0)
	v_lshlrev_b32_e32 v38, 16, v38
	s_delay_alu instid0(VALU_DEP_1) | instskip(SKIP_1) | instid1(SALU_CYCLE_1)
	v_cmp_neq_f32_e32 vcc_lo, v38, v37
	s_and_b32 s31, vcc_lo, exec_lo
	s_or_b32 s31, s2, s31
.LBB1227_315:                           ;   in Loop: Header=BB1227_316 Depth=1
	v_dual_mov_b32 v38, s7 :: v_dual_mov_b32 v37, s6
	s_and_b32 s2, exec_lo, s31
	s_delay_alu instid0(SALU_CYCLE_1) | instskip(NEXT) | instid1(SALU_CYCLE_1)
	s_or_b32 s30, s2, s30
	s_and_not1_b32 exec_lo, exec_lo, s30
	s_cbranch_execz .LBB1227_318
.LBB1227_316:                           ; =>This Inner Loop Header: Depth=1
	s_or_b32 s31, s31, exec_lo
	s_cmp_eq_u64 s[4:5], s[6:7]
	s_cbranch_scc0 .LBB1227_314
; %bb.317:                              ;   in Loop: Header=BB1227_316 Depth=1
	s_mov_b64 s[6:7], s[22:23]
                                        ; implicit-def: $vgpr33_vgpr34
                                        ; implicit-def: $vgpr35_vgpr36
	s_branch .LBB1227_315
.LBB1227_318:
	s_set_inst_prefetch_distance 0x2
	s_or_b32 exec_lo, exec_lo, s30
	v_cmp_gt_i64_e32 vcc_lo, s[22:23], v[37:38]
	s_or_not1_b32 s2, vcc_lo, exec_lo
.LBB1227_319:
	s_or_b32 exec_lo, exec_lo, s27
.LBB1227_320:
	s_delay_alu instid0(SALU_CYCLE_1)
	s_and_b32 s27, s2, exec_lo
.LBB1227_321:
	s_or_b32 exec_lo, exec_lo, s29
	v_or_b32_e32 v33, 4, v55
	s_mov_b32 s29, exec_lo
	s_delay_alu instid0(VALU_DEP_1)
	v_cmpx_gt_u32_e64 s28, v33
	s_cbranch_execz .LBB1227_332
; %bb.322:
	s_and_not1_b32 vcc_lo, exec_lo, s18
	s_mov_b32 s2, 0
	s_cbranch_vccnz .LBB1227_331
; %bb.323:
	v_mul_lo_u32 v37, v22, s22
	v_mul_lo_u32 v38, v21, s23
	v_mad_u64_u32 v[33:34], null, v21, s22, 0
	v_mul_lo_u32 v39, v28, s22
	v_mul_lo_u32 v40, v27, s23
	v_mad_u64_u32 v[35:36], null, v27, s22, 0
	s_mov_b32 s2, -1
	s_mov_b32 s26, exec_lo
	s_delay_alu instid0(VALU_DEP_4) | instskip(NEXT) | instid1(VALU_DEP_2)
	v_add3_u32 v34, v34, v38, v37
	v_add3_u32 v36, v36, v40, v39
	s_delay_alu instid0(VALU_DEP_2) | instskip(NEXT) | instid1(VALU_DEP_2)
	v_lshlrev_b64 v[33:34], 1, v[33:34]
	v_lshlrev_b64 v[35:36], 1, v[35:36]
	s_delay_alu instid0(VALU_DEP_2) | instskip(NEXT) | instid1(VALU_DEP_3)
	v_add_co_u32 v33, vcc_lo, s8, v33
	v_add_co_ci_u32_e32 v34, vcc_lo, s9, v34, vcc_lo
	s_delay_alu instid0(VALU_DEP_3) | instskip(NEXT) | instid1(VALU_DEP_4)
	v_add_co_u32 v35, vcc_lo, s8, v35
	v_add_co_ci_u32_e32 v36, vcc_lo, s9, v36, vcc_lo
	s_clause 0x1
	global_load_u16 v37, v[33:34], off
	global_load_u16 v38, v[35:36], off
	s_waitcnt vmcnt(1)
	v_lshlrev_b32_e32 v37, 16, v37
	s_waitcnt vmcnt(0)
	v_lshlrev_b32_e32 v38, 16, v38
	s_delay_alu instid0(VALU_DEP_1)
	v_cmpx_eq_f32_e32 v38, v37
	s_cbranch_execz .LBB1227_330
; %bb.324:
	v_add_co_u32 v33, vcc_lo, v33, 2
	v_add_co_ci_u32_e32 v34, vcc_lo, 0, v34, vcc_lo
	v_add_co_u32 v35, vcc_lo, v35, 2
	v_add_co_ci_u32_e32 v36, vcc_lo, 0, v36, vcc_lo
	s_add_u32 s4, s22, -1
	s_addc_u32 s5, s23, -1
	s_mov_b64 s[6:7], 0
	s_mov_b32 s30, 0
                                        ; implicit-def: $sgpr31
	s_set_inst_prefetch_distance 0x1
	s_branch .LBB1227_327
	.p2align	6
.LBB1227_325:                           ;   in Loop: Header=BB1227_327 Depth=1
	global_load_u16 v37, v[33:34], off
	global_load_u16 v38, v[35:36], off
	v_add_co_u32 v33, vcc_lo, v33, 2
	v_add_co_ci_u32_e32 v34, vcc_lo, 0, v34, vcc_lo
	v_add_co_u32 v35, s2, v35, 2
	s_delay_alu instid0(VALU_DEP_1)
	v_add_co_ci_u32_e64 v36, s2, 0, v36, s2
	s_add_u32 s6, s6, 1
	s_addc_u32 s7, s7, 0
	s_and_not1_b32 s2, s31, exec_lo
	s_waitcnt vmcnt(1)
	v_lshlrev_b32_e32 v37, 16, v37
	s_waitcnt vmcnt(0)
	v_lshlrev_b32_e32 v38, 16, v38
	s_delay_alu instid0(VALU_DEP_1) | instskip(SKIP_1) | instid1(SALU_CYCLE_1)
	v_cmp_neq_f32_e32 vcc_lo, v38, v37
	s_and_b32 s31, vcc_lo, exec_lo
	s_or_b32 s31, s2, s31
.LBB1227_326:                           ;   in Loop: Header=BB1227_327 Depth=1
	v_dual_mov_b32 v38, s7 :: v_dual_mov_b32 v37, s6
	s_and_b32 s2, exec_lo, s31
	s_delay_alu instid0(SALU_CYCLE_1) | instskip(NEXT) | instid1(SALU_CYCLE_1)
	s_or_b32 s30, s2, s30
	s_and_not1_b32 exec_lo, exec_lo, s30
	s_cbranch_execz .LBB1227_329
.LBB1227_327:                           ; =>This Inner Loop Header: Depth=1
	s_or_b32 s31, s31, exec_lo
	s_cmp_eq_u64 s[4:5], s[6:7]
	s_cbranch_scc0 .LBB1227_325
; %bb.328:                              ;   in Loop: Header=BB1227_327 Depth=1
	s_mov_b64 s[6:7], s[22:23]
                                        ; implicit-def: $vgpr33_vgpr34
                                        ; implicit-def: $vgpr35_vgpr36
	s_branch .LBB1227_326
.LBB1227_329:
	s_set_inst_prefetch_distance 0x2
	s_or_b32 exec_lo, exec_lo, s30
	v_cmp_gt_i64_e32 vcc_lo, s[22:23], v[37:38]
	s_or_not1_b32 s2, vcc_lo, exec_lo
.LBB1227_330:
	s_or_b32 exec_lo, exec_lo, s26
.LBB1227_331:
	s_delay_alu instid0(SALU_CYCLE_1)
	s_and_b32 s26, s2, exec_lo
.LBB1227_332:
	s_or_b32 exec_lo, exec_lo, s29
	v_or_b32_e32 v33, 3, v55
	s_mov_b32 s30, 0
	s_mov_b32 s29, 0
	s_mov_b32 s31, exec_lo
	s_delay_alu instid0(VALU_DEP_1)
	v_cmpx_gt_u32_e64 s28, v33
	s_cbranch_execz .LBB1227_343
; %bb.333:
	s_and_not1_b32 vcc_lo, exec_lo, s18
	s_mov_b32 s2, 0
	s_cbranch_vccnz .LBB1227_342
; %bb.334:
	v_mul_lo_u32 v37, v28, s22
	v_mul_lo_u32 v38, v27, s23
	v_mad_u64_u32 v[33:34], null, v27, s22, 0
	v_mul_lo_u32 v39, v26, s22
	v_mul_lo_u32 v40, v25, s23
	v_mad_u64_u32 v[35:36], null, v25, s22, 0
	s_mov_b32 s2, -1
	s_mov_b32 s29, exec_lo
	s_delay_alu instid0(VALU_DEP_4) | instskip(NEXT) | instid1(VALU_DEP_2)
	v_add3_u32 v34, v34, v38, v37
	v_add3_u32 v36, v36, v40, v39
	s_delay_alu instid0(VALU_DEP_2) | instskip(NEXT) | instid1(VALU_DEP_2)
	v_lshlrev_b64 v[33:34], 1, v[33:34]
	v_lshlrev_b64 v[35:36], 1, v[35:36]
	s_delay_alu instid0(VALU_DEP_2) | instskip(NEXT) | instid1(VALU_DEP_3)
	v_add_co_u32 v33, vcc_lo, s8, v33
	v_add_co_ci_u32_e32 v34, vcc_lo, s9, v34, vcc_lo
	s_delay_alu instid0(VALU_DEP_3) | instskip(NEXT) | instid1(VALU_DEP_4)
	v_add_co_u32 v35, vcc_lo, s8, v35
	v_add_co_ci_u32_e32 v36, vcc_lo, s9, v36, vcc_lo
	s_clause 0x1
	global_load_u16 v37, v[33:34], off
	global_load_u16 v38, v[35:36], off
	s_waitcnt vmcnt(1)
	v_lshlrev_b32_e32 v37, 16, v37
	s_waitcnt vmcnt(0)
	v_lshlrev_b32_e32 v38, 16, v38
	s_delay_alu instid0(VALU_DEP_1)
	v_cmpx_eq_f32_e32 v38, v37
	s_cbranch_execz .LBB1227_341
; %bb.335:
	v_add_co_u32 v33, vcc_lo, v33, 2
	v_add_co_ci_u32_e32 v34, vcc_lo, 0, v34, vcc_lo
	v_add_co_u32 v35, vcc_lo, v35, 2
	v_add_co_ci_u32_e32 v36, vcc_lo, 0, v36, vcc_lo
	s_add_u32 s4, s22, -1
	s_addc_u32 s5, s23, -1
	s_mov_b64 s[6:7], 0
	s_mov_b32 s33, 0
                                        ; implicit-def: $sgpr34
	s_set_inst_prefetch_distance 0x1
	s_branch .LBB1227_338
	.p2align	6
.LBB1227_336:                           ;   in Loop: Header=BB1227_338 Depth=1
	global_load_u16 v37, v[33:34], off
	global_load_u16 v38, v[35:36], off
	v_add_co_u32 v33, vcc_lo, v33, 2
	v_add_co_ci_u32_e32 v34, vcc_lo, 0, v34, vcc_lo
	v_add_co_u32 v35, s2, v35, 2
	s_delay_alu instid0(VALU_DEP_1)
	v_add_co_ci_u32_e64 v36, s2, 0, v36, s2
	s_add_u32 s6, s6, 1
	s_addc_u32 s7, s7, 0
	s_and_not1_b32 s2, s34, exec_lo
	s_waitcnt vmcnt(1)
	v_lshlrev_b32_e32 v37, 16, v37
	s_waitcnt vmcnt(0)
	v_lshlrev_b32_e32 v38, 16, v38
	s_delay_alu instid0(VALU_DEP_1) | instskip(SKIP_1) | instid1(SALU_CYCLE_1)
	v_cmp_neq_f32_e32 vcc_lo, v38, v37
	s_and_b32 s34, vcc_lo, exec_lo
	s_or_b32 s34, s2, s34
.LBB1227_337:                           ;   in Loop: Header=BB1227_338 Depth=1
	v_dual_mov_b32 v38, s7 :: v_dual_mov_b32 v37, s6
	s_and_b32 s2, exec_lo, s34
	s_delay_alu instid0(SALU_CYCLE_1) | instskip(NEXT) | instid1(SALU_CYCLE_1)
	s_or_b32 s33, s2, s33
	s_and_not1_b32 exec_lo, exec_lo, s33
	s_cbranch_execz .LBB1227_340
.LBB1227_338:                           ; =>This Inner Loop Header: Depth=1
	s_or_b32 s34, s34, exec_lo
	s_cmp_eq_u64 s[4:5], s[6:7]
	s_cbranch_scc0 .LBB1227_336
; %bb.339:                              ;   in Loop: Header=BB1227_338 Depth=1
	s_mov_b64 s[6:7], s[22:23]
                                        ; implicit-def: $vgpr33_vgpr34
                                        ; implicit-def: $vgpr35_vgpr36
	s_branch .LBB1227_337
.LBB1227_340:
	s_set_inst_prefetch_distance 0x2
	s_or_b32 exec_lo, exec_lo, s33
	v_cmp_gt_i64_e32 vcc_lo, s[22:23], v[37:38]
	s_or_not1_b32 s2, vcc_lo, exec_lo
.LBB1227_341:
	s_or_b32 exec_lo, exec_lo, s29
.LBB1227_342:
	s_delay_alu instid0(SALU_CYCLE_1)
	s_and_b32 s29, s2, exec_lo
.LBB1227_343:
	s_or_b32 exec_lo, exec_lo, s31
	v_or_b32_e32 v33, 2, v55
	s_mov_b32 s31, exec_lo
	s_delay_alu instid0(VALU_DEP_1)
	v_cmpx_gt_u32_e64 s28, v33
	s_cbranch_execz .LBB1227_354
; %bb.344:
	s_and_not1_b32 vcc_lo, exec_lo, s18
	s_mov_b32 s2, 0
	s_cbranch_vccnz .LBB1227_353
; %bb.345:
	v_mul_lo_u32 v37, v26, s22
	v_mul_lo_u32 v38, v25, s23
	v_mad_u64_u32 v[33:34], null, v25, s22, 0
	v_mul_lo_u32 v39, v32, s22
	v_mul_lo_u32 v40, v31, s23
	v_mad_u64_u32 v[35:36], null, v31, s22, 0
	s_mov_b32 s2, -1
	s_mov_b32 s30, exec_lo
	s_delay_alu instid0(VALU_DEP_4) | instskip(NEXT) | instid1(VALU_DEP_2)
	v_add3_u32 v34, v34, v38, v37
	v_add3_u32 v36, v36, v40, v39
	s_delay_alu instid0(VALU_DEP_2) | instskip(NEXT) | instid1(VALU_DEP_2)
	v_lshlrev_b64 v[33:34], 1, v[33:34]
	v_lshlrev_b64 v[35:36], 1, v[35:36]
	s_delay_alu instid0(VALU_DEP_2) | instskip(NEXT) | instid1(VALU_DEP_3)
	v_add_co_u32 v33, vcc_lo, s8, v33
	v_add_co_ci_u32_e32 v34, vcc_lo, s9, v34, vcc_lo
	s_delay_alu instid0(VALU_DEP_3) | instskip(NEXT) | instid1(VALU_DEP_4)
	v_add_co_u32 v35, vcc_lo, s8, v35
	v_add_co_ci_u32_e32 v36, vcc_lo, s9, v36, vcc_lo
	s_clause 0x1
	global_load_u16 v37, v[33:34], off
	global_load_u16 v38, v[35:36], off
	s_waitcnt vmcnt(1)
	v_lshlrev_b32_e32 v37, 16, v37
	s_waitcnt vmcnt(0)
	v_lshlrev_b32_e32 v38, 16, v38
	s_delay_alu instid0(VALU_DEP_1)
	v_cmpx_eq_f32_e32 v38, v37
	s_cbranch_execz .LBB1227_352
; %bb.346:
	v_add_co_u32 v33, vcc_lo, v33, 2
	v_add_co_ci_u32_e32 v34, vcc_lo, 0, v34, vcc_lo
	v_add_co_u32 v35, vcc_lo, v35, 2
	v_add_co_ci_u32_e32 v36, vcc_lo, 0, v36, vcc_lo
	s_add_u32 s4, s22, -1
	s_addc_u32 s5, s23, -1
	s_mov_b64 s[6:7], 0
	s_mov_b32 s33, 0
                                        ; implicit-def: $sgpr34
	s_set_inst_prefetch_distance 0x1
	s_branch .LBB1227_349
	.p2align	6
.LBB1227_347:                           ;   in Loop: Header=BB1227_349 Depth=1
	global_load_u16 v37, v[33:34], off
	global_load_u16 v38, v[35:36], off
	v_add_co_u32 v33, vcc_lo, v33, 2
	v_add_co_ci_u32_e32 v34, vcc_lo, 0, v34, vcc_lo
	v_add_co_u32 v35, s2, v35, 2
	s_delay_alu instid0(VALU_DEP_1)
	v_add_co_ci_u32_e64 v36, s2, 0, v36, s2
	s_add_u32 s6, s6, 1
	s_addc_u32 s7, s7, 0
	s_and_not1_b32 s2, s34, exec_lo
	s_waitcnt vmcnt(1)
	v_lshlrev_b32_e32 v37, 16, v37
	s_waitcnt vmcnt(0)
	v_lshlrev_b32_e32 v38, 16, v38
	s_delay_alu instid0(VALU_DEP_1) | instskip(SKIP_1) | instid1(SALU_CYCLE_1)
	v_cmp_neq_f32_e32 vcc_lo, v38, v37
	s_and_b32 s34, vcc_lo, exec_lo
	s_or_b32 s34, s2, s34
.LBB1227_348:                           ;   in Loop: Header=BB1227_349 Depth=1
	v_dual_mov_b32 v38, s7 :: v_dual_mov_b32 v37, s6
	s_and_b32 s2, exec_lo, s34
	s_delay_alu instid0(SALU_CYCLE_1) | instskip(NEXT) | instid1(SALU_CYCLE_1)
	s_or_b32 s33, s2, s33
	s_and_not1_b32 exec_lo, exec_lo, s33
	s_cbranch_execz .LBB1227_351
.LBB1227_349:                           ; =>This Inner Loop Header: Depth=1
	s_or_b32 s34, s34, exec_lo
	s_cmp_eq_u64 s[4:5], s[6:7]
	s_cbranch_scc0 .LBB1227_347
; %bb.350:                              ;   in Loop: Header=BB1227_349 Depth=1
	s_mov_b64 s[6:7], s[22:23]
                                        ; implicit-def: $vgpr33_vgpr34
                                        ; implicit-def: $vgpr35_vgpr36
	s_branch .LBB1227_348
.LBB1227_351:
	s_set_inst_prefetch_distance 0x2
	s_or_b32 exec_lo, exec_lo, s33
	v_cmp_gt_i64_e32 vcc_lo, s[22:23], v[37:38]
	s_or_not1_b32 s2, vcc_lo, exec_lo
.LBB1227_352:
	s_or_b32 exec_lo, exec_lo, s30
.LBB1227_353:
	s_delay_alu instid0(SALU_CYCLE_1)
	s_and_b32 s30, s2, exec_lo
.LBB1227_354:
	s_or_b32 exec_lo, exec_lo, s31
	v_or_b32_e32 v33, 1, v55
	s_mov_b32 s2, 0
	s_mov_b32 s31, exec_lo
	s_delay_alu instid0(VALU_DEP_1)
	v_cmpx_gt_u32_e64 s28, v33
	s_cbranch_execz .LBB1227_365
; %bb.355:
	s_and_not1_b32 vcc_lo, exec_lo, s18
	s_cbranch_vccnz .LBB1227_364
; %bb.356:
	v_mul_lo_u32 v37, v32, s22
	v_mul_lo_u32 v38, v31, s23
	v_mad_u64_u32 v[33:34], null, v31, s22, 0
	v_mul_lo_u32 v39, v30, s22
	v_mul_lo_u32 v40, v29, s23
	v_mad_u64_u32 v[35:36], null, v29, s22, 0
	s_mov_b32 s2, -1
	s_mov_b32 s33, exec_lo
	s_delay_alu instid0(VALU_DEP_4) | instskip(NEXT) | instid1(VALU_DEP_2)
	v_add3_u32 v34, v34, v38, v37
	v_add3_u32 v36, v36, v40, v39
	s_delay_alu instid0(VALU_DEP_2) | instskip(NEXT) | instid1(VALU_DEP_2)
	v_lshlrev_b64 v[33:34], 1, v[33:34]
	v_lshlrev_b64 v[35:36], 1, v[35:36]
	s_delay_alu instid0(VALU_DEP_2) | instskip(NEXT) | instid1(VALU_DEP_3)
	v_add_co_u32 v33, vcc_lo, s8, v33
	v_add_co_ci_u32_e32 v34, vcc_lo, s9, v34, vcc_lo
	s_delay_alu instid0(VALU_DEP_3) | instskip(NEXT) | instid1(VALU_DEP_4)
	v_add_co_u32 v35, vcc_lo, s8, v35
	v_add_co_ci_u32_e32 v36, vcc_lo, s9, v36, vcc_lo
	s_clause 0x1
	global_load_u16 v37, v[33:34], off
	global_load_u16 v38, v[35:36], off
	s_waitcnt vmcnt(1)
	v_lshlrev_b32_e32 v37, 16, v37
	s_waitcnt vmcnt(0)
	v_lshlrev_b32_e32 v38, 16, v38
	s_delay_alu instid0(VALU_DEP_1)
	v_cmpx_eq_f32_e32 v38, v37
	s_cbranch_execz .LBB1227_363
; %bb.357:
	v_add_co_u32 v33, vcc_lo, v33, 2
	v_add_co_ci_u32_e32 v34, vcc_lo, 0, v34, vcc_lo
	v_add_co_u32 v35, vcc_lo, v35, 2
	v_add_co_ci_u32_e32 v36, vcc_lo, 0, v36, vcc_lo
	s_add_u32 s4, s22, -1
	s_addc_u32 s5, s23, -1
	s_mov_b64 s[6:7], 0
	s_mov_b32 s34, 0
                                        ; implicit-def: $sgpr35
	s_set_inst_prefetch_distance 0x1
	s_branch .LBB1227_360
	.p2align	6
.LBB1227_358:                           ;   in Loop: Header=BB1227_360 Depth=1
	global_load_u16 v37, v[33:34], off
	global_load_u16 v38, v[35:36], off
	v_add_co_u32 v33, vcc_lo, v33, 2
	v_add_co_ci_u32_e32 v34, vcc_lo, 0, v34, vcc_lo
	v_add_co_u32 v35, s2, v35, 2
	s_delay_alu instid0(VALU_DEP_1)
	v_add_co_ci_u32_e64 v36, s2, 0, v36, s2
	s_add_u32 s6, s6, 1
	s_addc_u32 s7, s7, 0
	s_and_not1_b32 s2, s35, exec_lo
	s_waitcnt vmcnt(1)
	v_lshlrev_b32_e32 v37, 16, v37
	s_waitcnt vmcnt(0)
	v_lshlrev_b32_e32 v38, 16, v38
	s_delay_alu instid0(VALU_DEP_1) | instskip(SKIP_1) | instid1(SALU_CYCLE_1)
	v_cmp_neq_f32_e32 vcc_lo, v38, v37
	s_and_b32 s35, vcc_lo, exec_lo
	s_or_b32 s35, s2, s35
.LBB1227_359:                           ;   in Loop: Header=BB1227_360 Depth=1
	v_dual_mov_b32 v38, s7 :: v_dual_mov_b32 v37, s6
	s_and_b32 s2, exec_lo, s35
	s_delay_alu instid0(SALU_CYCLE_1) | instskip(NEXT) | instid1(SALU_CYCLE_1)
	s_or_b32 s34, s2, s34
	s_and_not1_b32 exec_lo, exec_lo, s34
	s_cbranch_execz .LBB1227_362
.LBB1227_360:                           ; =>This Inner Loop Header: Depth=1
	s_or_b32 s35, s35, exec_lo
	s_cmp_eq_u64 s[4:5], s[6:7]
	s_cbranch_scc0 .LBB1227_358
; %bb.361:                              ;   in Loop: Header=BB1227_360 Depth=1
	s_mov_b64 s[6:7], s[22:23]
                                        ; implicit-def: $vgpr33_vgpr34
                                        ; implicit-def: $vgpr35_vgpr36
	s_branch .LBB1227_359
.LBB1227_362:
	s_set_inst_prefetch_distance 0x2
	s_or_b32 exec_lo, exec_lo, s34
	v_cmp_gt_i64_e32 vcc_lo, s[22:23], v[37:38]
	s_or_not1_b32 s2, vcc_lo, exec_lo
.LBB1227_363:
	s_or_b32 exec_lo, exec_lo, s33
.LBB1227_364:
	s_delay_alu instid0(SALU_CYCLE_1)
	s_and_b32 s2, s2, exec_lo
.LBB1227_365:
	s_or_b32 exec_lo, exec_lo, s31
	v_cndmask_b32_e64 v34, 0, 1, s29
	v_cndmask_b32_e64 v35, 0, 1, s27
	;; [unrolled: 1-line block ×7, first 2 shown]
	v_lshlrev_b16 v35, 8, v35
	v_lshlrev_b16 v36, 8, v36
	;; [unrolled: 1-line block ×4, first 2 shown]
	s_mov_b32 s19, exec_lo
	v_or_b32_e32 v35, v38, v35
	v_or_b32_e32 v36, v39, v36
	;; [unrolled: 1-line block ×4, first 2 shown]
	s_waitcnt lgkmcnt(0)
	v_and_b32_e32 v34, 0xffff, v35
	v_lshlrev_b32_e32 v35, 16, v36
	v_and_b32_e32 v36, 0xffff, v37
	v_lshlrev_b32_e32 v33, 16, v33
	s_barrier
	buffer_gl0_inv
	v_or_b32_e32 v34, v34, v35
                                        ; implicit-def: $sgpr2
	v_or_b32_e32 v33, v36, v33
	v_cmpx_ne_u32_e32 0, v0
	s_cbranch_execz .LBB1227_378
; %bb.366:
	s_mov_b32 s2, 0
	s_mov_b32 s25, exec_lo
	v_cmpx_gt_u32_e64 s28, v55
	s_cbranch_execz .LBB1227_377
; %bb.367:
	s_and_not1_b32 vcc_lo, exec_lo, s18
	s_cbranch_vccnz .LBB1227_376
; %bb.368:
	v_add_nc_u32_e32 v35, -8, v55
	v_mul_lo_u32 v41, v30, s22
	v_mul_lo_u32 v42, v29, s23
	v_mad_u64_u32 v[37:38], null, v29, s22, 0
	ds_load_b64 v[35:36], v35
	s_mov_b32 s2, -1
	v_add3_u32 v38, v38, v42, v41
	s_waitcnt lgkmcnt(0)
	v_mul_lo_u32 v36, v36, s22
	v_mul_lo_u32 v43, v35, s23
	v_mad_u64_u32 v[39:40], null, v35, s22, 0
	s_delay_alu instid0(VALU_DEP_1) | instskip(SKIP_1) | instid1(VALU_DEP_2)
	v_add3_u32 v40, v40, v43, v36
	v_lshlrev_b64 v[35:36], 1, v[37:38]
	v_lshlrev_b64 v[37:38], 1, v[39:40]
	s_delay_alu instid0(VALU_DEP_2) | instskip(NEXT) | instid1(VALU_DEP_3)
	v_add_co_u32 v35, vcc_lo, s8, v35
	v_add_co_ci_u32_e32 v36, vcc_lo, s9, v36, vcc_lo
	s_delay_alu instid0(VALU_DEP_3) | instskip(NEXT) | instid1(VALU_DEP_4)
	v_add_co_u32 v37, vcc_lo, s8, v37
	v_add_co_ci_u32_e32 v38, vcc_lo, s9, v38, vcc_lo
	s_clause 0x1
	global_load_u16 v39, v[35:36], off
	global_load_u16 v40, v[37:38], off
	s_mov_b32 s8, exec_lo
	s_waitcnt vmcnt(1)
	v_lshlrev_b32_e32 v39, 16, v39
	s_waitcnt vmcnt(0)
	v_lshlrev_b32_e32 v40, 16, v40
	s_delay_alu instid0(VALU_DEP_1)
	v_cmpx_eq_f32_e32 v40, v39
	s_cbranch_execz .LBB1227_375
; %bb.369:
	v_add_co_u32 v35, vcc_lo, v35, 2
	v_add_co_ci_u32_e32 v36, vcc_lo, 0, v36, vcc_lo
	v_add_co_u32 v37, vcc_lo, v37, 2
	v_add_co_ci_u32_e32 v38, vcc_lo, 0, v38, vcc_lo
	s_add_u32 s4, s22, -1
	s_addc_u32 s5, s23, -1
	s_mov_b64 s[6:7], 0
	s_mov_b32 s9, 0
                                        ; implicit-def: $sgpr18
	s_set_inst_prefetch_distance 0x1
	s_branch .LBB1227_372
	.p2align	6
.LBB1227_370:                           ;   in Loop: Header=BB1227_372 Depth=1
	global_load_u16 v39, v[35:36], off
	global_load_u16 v40, v[37:38], off
	v_add_co_u32 v35, vcc_lo, v35, 2
	v_add_co_ci_u32_e32 v36, vcc_lo, 0, v36, vcc_lo
	v_add_co_u32 v37, s2, v37, 2
	s_delay_alu instid0(VALU_DEP_1)
	v_add_co_ci_u32_e64 v38, s2, 0, v38, s2
	s_add_u32 s6, s6, 1
	s_addc_u32 s7, s7, 0
	s_and_not1_b32 s2, s18, exec_lo
	s_waitcnt vmcnt(1)
	v_lshlrev_b32_e32 v39, 16, v39
	s_waitcnt vmcnt(0)
	v_lshlrev_b32_e32 v40, 16, v40
	s_delay_alu instid0(VALU_DEP_1) | instskip(SKIP_1) | instid1(SALU_CYCLE_1)
	v_cmp_neq_f32_e32 vcc_lo, v40, v39
	s_and_b32 s18, vcc_lo, exec_lo
	s_or_b32 s18, s2, s18
.LBB1227_371:                           ;   in Loop: Header=BB1227_372 Depth=1
	v_dual_mov_b32 v40, s7 :: v_dual_mov_b32 v39, s6
	s_and_b32 s2, exec_lo, s18
	s_delay_alu instid0(SALU_CYCLE_1) | instskip(NEXT) | instid1(SALU_CYCLE_1)
	s_or_b32 s9, s2, s9
	s_and_not1_b32 exec_lo, exec_lo, s9
	s_cbranch_execz .LBB1227_374
.LBB1227_372:                           ; =>This Inner Loop Header: Depth=1
	s_or_b32 s18, s18, exec_lo
	s_cmp_eq_u64 s[4:5], s[6:7]
	s_cbranch_scc0 .LBB1227_370
; %bb.373:                              ;   in Loop: Header=BB1227_372 Depth=1
	s_mov_b64 s[6:7], s[22:23]
                                        ; implicit-def: $vgpr35_vgpr36
                                        ; implicit-def: $vgpr37_vgpr38
	s_branch .LBB1227_371
.LBB1227_374:
	s_set_inst_prefetch_distance 0x2
	s_or_b32 exec_lo, exec_lo, s9
	v_cmp_gt_i64_e32 vcc_lo, s[22:23], v[39:40]
	s_or_not1_b32 s2, vcc_lo, exec_lo
.LBB1227_375:
	s_or_b32 exec_lo, exec_lo, s8
.LBB1227_376:
	s_delay_alu instid0(SALU_CYCLE_1)
	s_and_b32 s2, s2, exec_lo
.LBB1227_377:
	s_or_b32 exec_lo, exec_lo, s25
	s_delay_alu instid0(SALU_CYCLE_1)
	s_and_b32 s2, s2, exec_lo
	s_or_b32 s3, s3, exec_lo
.LBB1227_378:
	s_or_b32 exec_lo, exec_lo, s19
.LBB1227_379:
	s_and_saveexec_b32 s4, s3
; %bb.380:
	v_and_b32_e32 v35, 0xffffff00, v33
	v_cndmask_b32_e64 v36, 0, 1, s2
	s_delay_alu instid0(VALU_DEP_1) | instskip(NEXT) | instid1(VALU_DEP_1)
	v_or_b32_e32 v35, v36, v35
	v_and_b32_e32 v35, 0xffff, v35
	s_delay_alu instid0(VALU_DEP_1)
	v_and_or_b32 v33, 0xffff0000, v33, v35
; %bb.381:
	s_or_b32 exec_lo, exec_lo, s4
	s_delay_alu instid0(SALU_CYCLE_1)
	s_and_not1_b32 vcc_lo, exec_lo, s21
	s_cbranch_vccnz .LBB1227_383
; %bb.382:
	v_cmp_gt_u32_e32 vcc_lo, s28, v55
	v_or_b32_e32 v36, 1, v55
	v_and_b32_e32 v37, 0xffffff00, v34
	v_or_b32_e32 v38, 2, v55
	v_cndmask_b32_e32 v35, 0, v33, vcc_lo
	s_delay_alu instid0(VALU_DEP_4) | instskip(SKIP_1) | instid1(VALU_DEP_4)
	v_cmp_gt_u32_e32 vcc_lo, s28, v36
	v_or_b32_e32 v36, 4, v55
	v_cmp_gt_u32_e64 s2, s28, v38
	v_or_b32_e32 v38, 3, v55
	v_and_b32_e32 v35, 0xff, v35
	s_delay_alu instid0(VALU_DEP_2) | instskip(NEXT) | instid1(VALU_DEP_2)
	v_cmp_gt_u32_e64 s3, s28, v38
	v_cndmask_b32_e32 v35, v35, v33, vcc_lo
	v_cmp_gt_u32_e32 vcc_lo, s28, v36
	v_cndmask_b32_e32 v36, v37, v34, vcc_lo
	v_or_b32_e32 v37, 5, v55
	s_delay_alu instid0(VALU_DEP_2) | instskip(SKIP_1) | instid1(VALU_DEP_1)
	v_and_b32_e32 v36, 0xffff00ff, v36
	v_and_b32_e32 v35, 0xffff, v35
	v_cndmask_b32_e64 v35, v35, v33, s2
	s_delay_alu instid0(VALU_DEP_4) | instskip(SKIP_1) | instid1(VALU_DEP_3)
	v_cmp_gt_u32_e64 s2, s28, v37
	v_or_b32_e32 v37, 6, v55
	v_and_b32_e32 v35, 0xffffff, v35
	s_delay_alu instid0(VALU_DEP_3) | instskip(NEXT) | instid1(VALU_DEP_2)
	v_cndmask_b32_e64 v36, v36, v34, s2
	v_cndmask_b32_e64 v35, v35, v33, s3
	s_delay_alu instid0(VALU_DEP_1) | instskip(SKIP_2) | instid1(VALU_DEP_3)
	v_dual_cndmask_b32 v35, v35, v33 :: v_dual_and_b32 v36, 0xff00ffff, v36
	v_cmp_gt_u32_e32 vcc_lo, s28, v37
	v_or_b32_e32 v37, 7, v55
	v_cndmask_b32_e64 v35, v35, v33, s2
	s_delay_alu instid0(VALU_DEP_1) | instskip(NEXT) | instid1(VALU_DEP_1)
	v_dual_cndmask_b32 v36, v36, v34 :: v_dual_cndmask_b32 v35, v35, v33
	v_and_b32_e32 v36, 0xffffff, v36
	s_delay_alu instid0(VALU_DEP_4) | instskip(NEXT) | instid1(VALU_DEP_2)
	v_cmp_gt_u32_e32 vcc_lo, s28, v37
	v_dual_cndmask_b32 v34, v36, v34 :: v_dual_cndmask_b32 v33, v35, v33
.LBB1227_383:
	s_delay_alu instid0(VALU_DEP_1) | instskip(NEXT) | instid1(VALU_DEP_2)
	v_and_b32_e32 v42, 0xff, v33
	v_alignbit_b32 v35, v34, v33, 24
	v_bfe_u32 v44, v33, 8, 8
	v_bfe_u32 v46, v33, 16, 8
	v_and_b32_e32 v50, 0xff, v34
	v_bfe_u32 v52, v34, 8, 8
	v_and_b32_e32 v48, 0xff, v35
	v_add_nc_u32_e32 v35, v44, v42
	v_mbcnt_lo_u32_b32 v57, -1, 0
	v_bfe_u32 v54, v34, 16, 8
	v_lshrrev_b32_e32 v56, 24, v34
	v_lshrrev_b32_e32 v58, 5, v0
	v_add3_u32 v35, v35, v46, v48
	v_and_b32_e32 v36, 15, v57
	v_and_b32_e32 v37, 16, v57
	s_and_b32 vcc_lo, exec_lo, s24
	s_mov_b32 s9, -1
	v_add3_u32 v35, v35, v50, v52
	v_cmp_eq_u32_e64 s4, 0, v36
	v_cmp_lt_u32_e64 s2, 1, v36
	v_cmp_lt_u32_e64 s5, 3, v36
	;; [unrolled: 1-line block ×3, first 2 shown]
	v_add3_u32 v59, v35, v54, v56
	v_or_b32_e32 v35, 31, v0
	v_cmp_eq_u32_e64 s7, 0, v37
	s_waitcnt lgkmcnt(0)
	s_barrier
	buffer_gl0_inv
	v_cmp_eq_u32_e64 s6, v35, v0
	s_cbranch_vccz .LBB1227_414
; %bb.384:
	v_mov_b32_dpp v35, v59 row_shr:1 row_mask:0xf bank_mask:0xf
	s_delay_alu instid0(VALU_DEP_1) | instskip(NEXT) | instid1(VALU_DEP_1)
	v_cndmask_b32_e64 v35, v35, 0, s4
	v_add_nc_u32_e32 v35, v35, v59
	s_delay_alu instid0(VALU_DEP_1) | instskip(NEXT) | instid1(VALU_DEP_1)
	v_mov_b32_dpp v36, v35 row_shr:2 row_mask:0xf bank_mask:0xf
	v_cndmask_b32_e64 v36, 0, v36, s2
	s_delay_alu instid0(VALU_DEP_1) | instskip(NEXT) | instid1(VALU_DEP_1)
	v_add_nc_u32_e32 v35, v35, v36
	v_mov_b32_dpp v36, v35 row_shr:4 row_mask:0xf bank_mask:0xf
	s_delay_alu instid0(VALU_DEP_1) | instskip(NEXT) | instid1(VALU_DEP_1)
	v_cndmask_b32_e64 v36, 0, v36, s5
	v_add_nc_u32_e32 v35, v35, v36
	s_delay_alu instid0(VALU_DEP_1) | instskip(NEXT) | instid1(VALU_DEP_1)
	v_mov_b32_dpp v36, v35 row_shr:8 row_mask:0xf bank_mask:0xf
	v_cndmask_b32_e64 v36, 0, v36, s3
	s_delay_alu instid0(VALU_DEP_1) | instskip(SKIP_3) | instid1(VALU_DEP_1)
	v_add_nc_u32_e32 v35, v35, v36
	ds_swizzle_b32 v36, v35 offset:swizzle(BROADCAST,32,15)
	s_waitcnt lgkmcnt(0)
	v_cndmask_b32_e64 v36, v36, 0, s7
	v_add_nc_u32_e32 v35, v35, v36
	s_and_saveexec_b32 s8, s6
	s_cbranch_execz .LBB1227_386
; %bb.385:
	v_lshlrev_b32_e32 v36, 2, v58
	ds_store_b32 v36, v35
.LBB1227_386:
	s_or_b32 exec_lo, exec_lo, s8
	s_delay_alu instid0(SALU_CYCLE_1)
	s_mov_b32 s8, exec_lo
	s_waitcnt lgkmcnt(0)
	s_barrier
	buffer_gl0_inv
	v_cmpx_gt_u32_e32 16, v0
	s_cbranch_execz .LBB1227_388
; %bb.387:
	v_lshlrev_b32_e32 v36, 2, v0
	ds_load_b32 v37, v36
	s_waitcnt lgkmcnt(0)
	v_mov_b32_dpp v38, v37 row_shr:1 row_mask:0xf bank_mask:0xf
	s_delay_alu instid0(VALU_DEP_1) | instskip(NEXT) | instid1(VALU_DEP_1)
	v_cndmask_b32_e64 v38, v38, 0, s4
	v_add_nc_u32_e32 v37, v38, v37
	s_delay_alu instid0(VALU_DEP_1) | instskip(NEXT) | instid1(VALU_DEP_1)
	v_mov_b32_dpp v38, v37 row_shr:2 row_mask:0xf bank_mask:0xf
	v_cndmask_b32_e64 v38, 0, v38, s2
	s_delay_alu instid0(VALU_DEP_1) | instskip(NEXT) | instid1(VALU_DEP_1)
	v_add_nc_u32_e32 v37, v37, v38
	v_mov_b32_dpp v38, v37 row_shr:4 row_mask:0xf bank_mask:0xf
	s_delay_alu instid0(VALU_DEP_1) | instskip(NEXT) | instid1(VALU_DEP_1)
	v_cndmask_b32_e64 v38, 0, v38, s5
	v_add_nc_u32_e32 v37, v37, v38
	s_delay_alu instid0(VALU_DEP_1) | instskip(NEXT) | instid1(VALU_DEP_1)
	v_mov_b32_dpp v38, v37 row_shr:8 row_mask:0xf bank_mask:0xf
	v_cndmask_b32_e64 v38, 0, v38, s3
	s_delay_alu instid0(VALU_DEP_1)
	v_add_nc_u32_e32 v37, v37, v38
	ds_store_b32 v36, v37
.LBB1227_388:
	s_or_b32 exec_lo, exec_lo, s8
	v_cmp_gt_u32_e32 vcc_lo, 32, v0
	s_mov_b32 s9, exec_lo
	s_waitcnt lgkmcnt(0)
	s_barrier
	buffer_gl0_inv
                                        ; implicit-def: $vgpr43
	v_cmpx_lt_u32_e32 31, v0
	s_cbranch_execz .LBB1227_390
; %bb.389:
	v_lshl_add_u32 v36, v58, 2, -4
	ds_load_b32 v43, v36
	s_waitcnt lgkmcnt(0)
	v_add_nc_u32_e32 v35, v43, v35
.LBB1227_390:
	s_or_b32 exec_lo, exec_lo, s9
	v_add_nc_u32_e32 v36, -1, v57
	s_delay_alu instid0(VALU_DEP_1) | instskip(NEXT) | instid1(VALU_DEP_1)
	v_cmp_gt_i32_e64 s8, 0, v36
	v_cndmask_b32_e64 v36, v36, v57, s8
	v_cmp_eq_u32_e64 s8, 0, v57
	s_delay_alu instid0(VALU_DEP_2)
	v_lshlrev_b32_e32 v36, 2, v36
	ds_bpermute_b32 v45, v36, v35
	s_and_saveexec_b32 s9, vcc_lo
	s_cbranch_execz .LBB1227_413
; %bb.391:
	v_mov_b32_e32 v38, 0
	ds_load_b32 v35, v38 offset:60
	s_and_saveexec_b32 s18, s8
	s_cbranch_execz .LBB1227_393
; %bb.392:
	s_add_i32 s22, s15, 32
	s_mov_b32 s23, 0
	v_mov_b32_e32 v36, 1
	s_lshl_b64 s[22:23], s[22:23], 3
	s_delay_alu instid0(SALU_CYCLE_1)
	s_add_u32 s22, s10, s22
	s_addc_u32 s23, s11, s23
	s_waitcnt lgkmcnt(0)
	global_store_b64 v38, v[35:36], s[22:23]
.LBB1227_393:
	s_or_b32 exec_lo, exec_lo, s18
	v_xad_u32 v36, v57, -1, s15
	s_mov_b32 s19, 0
	s_mov_b32 s18, exec_lo
	s_delay_alu instid0(VALU_DEP_1) | instskip(NEXT) | instid1(VALU_DEP_1)
	v_add_nc_u32_e32 v37, 32, v36
	v_lshlrev_b64 v[37:38], 3, v[37:38]
	s_delay_alu instid0(VALU_DEP_1) | instskip(NEXT) | instid1(VALU_DEP_2)
	v_add_co_u32 v40, vcc_lo, s10, v37
	v_add_co_ci_u32_e32 v41, vcc_lo, s11, v38, vcc_lo
	global_load_b64 v[38:39], v[40:41], off glc
	s_waitcnt vmcnt(0)
	v_and_b32_e32 v37, 0xff, v39
	s_delay_alu instid0(VALU_DEP_1)
	v_cmpx_eq_u16_e32 0, v37
	s_cbranch_execz .LBB1227_399
; %bb.394:
	s_mov_b32 s21, 1
	.p2align	6
.LBB1227_395:                           ; =>This Loop Header: Depth=1
                                        ;     Child Loop BB1227_396 Depth 2
	s_delay_alu instid0(SALU_CYCLE_1)
	s_max_u32 s22, s21, 1
.LBB1227_396:                           ;   Parent Loop BB1227_395 Depth=1
                                        ; =>  This Inner Loop Header: Depth=2
	s_delay_alu instid0(SALU_CYCLE_1)
	s_add_i32 s22, s22, -1
	s_sleep 1
	s_cmp_eq_u32 s22, 0
	s_cbranch_scc0 .LBB1227_396
; %bb.397:                              ;   in Loop: Header=BB1227_395 Depth=1
	global_load_b64 v[38:39], v[40:41], off glc
	s_cmp_lt_u32 s21, 32
	s_cselect_b32 s22, -1, 0
	s_delay_alu instid0(SALU_CYCLE_1) | instskip(SKIP_3) | instid1(VALU_DEP_1)
	s_cmp_lg_u32 s22, 0
	s_addc_u32 s21, s21, 0
	s_waitcnt vmcnt(0)
	v_and_b32_e32 v37, 0xff, v39
	v_cmp_ne_u16_e32 vcc_lo, 0, v37
	s_or_b32 s19, vcc_lo, s19
	s_delay_alu instid0(SALU_CYCLE_1)
	s_and_not1_b32 exec_lo, exec_lo, s19
	s_cbranch_execnz .LBB1227_395
; %bb.398:
	s_or_b32 exec_lo, exec_lo, s19
.LBB1227_399:
	s_delay_alu instid0(SALU_CYCLE_1)
	s_or_b32 exec_lo, exec_lo, s18
	v_cmp_ne_u32_e32 vcc_lo, 31, v57
	v_lshlrev_b32_e64 v49, v57, -1
	v_add_nc_u32_e32 v53, 2, v57
	v_add_nc_u32_e32 v62, 4, v57
	;; [unrolled: 1-line block ×3, first 2 shown]
	v_add_co_ci_u32_e32 v37, vcc_lo, 0, v57, vcc_lo
	v_add_nc_u32_e32 v66, 16, v57
	s_delay_alu instid0(VALU_DEP_2)
	v_lshlrev_b32_e32 v47, 2, v37
	v_and_b32_e32 v37, 0xff, v39
	ds_bpermute_b32 v40, v47, v38
	v_cmp_eq_u16_e32 vcc_lo, 2, v37
	v_and_or_b32 v37, vcc_lo, v49, 0x80000000
	v_cmp_gt_u32_e32 vcc_lo, 30, v57
	s_delay_alu instid0(VALU_DEP_2) | instskip(SKIP_1) | instid1(VALU_DEP_2)
	v_ctz_i32_b32_e32 v37, v37
	v_cndmask_b32_e64 v41, 0, 1, vcc_lo
	v_cmp_lt_u32_e32 vcc_lo, v57, v37
	s_waitcnt lgkmcnt(0)
	s_delay_alu instid0(VALU_DEP_2) | instskip(NEXT) | instid1(VALU_DEP_1)
	v_dual_cndmask_b32 v40, 0, v40 :: v_dual_lshlrev_b32 v41, 1, v41
	v_add_lshl_u32 v51, v41, v57, 2
	v_cmp_gt_u32_e32 vcc_lo, 28, v57
	s_delay_alu instid0(VALU_DEP_3) | instskip(SKIP_4) | instid1(VALU_DEP_1)
	v_add_nc_u32_e32 v38, v40, v38
	v_cndmask_b32_e64 v41, 0, 1, vcc_lo
	v_cmp_le_u32_e32 vcc_lo, v53, v37
	ds_bpermute_b32 v40, v51, v38
	v_lshlrev_b32_e32 v41, 2, v41
	v_add_lshl_u32 v60, v41, v57, 2
	s_waitcnt lgkmcnt(0)
	v_cndmask_b32_e32 v40, 0, v40, vcc_lo
	v_cmp_gt_u32_e32 vcc_lo, 24, v57
	s_delay_alu instid0(VALU_DEP_2) | instskip(SKIP_4) | instid1(VALU_DEP_1)
	v_add_nc_u32_e32 v38, v38, v40
	v_cndmask_b32_e64 v41, 0, 1, vcc_lo
	v_cmp_le_u32_e32 vcc_lo, v62, v37
	ds_bpermute_b32 v40, v60, v38
	v_lshlrev_b32_e32 v41, 3, v41
	v_add_lshl_u32 v63, v41, v57, 2
	s_waitcnt lgkmcnt(0)
	v_cndmask_b32_e32 v40, 0, v40, vcc_lo
	v_cmp_gt_u32_e32 vcc_lo, 16, v57
	s_delay_alu instid0(VALU_DEP_2) | instskip(SKIP_4) | instid1(VALU_DEP_1)
	v_add_nc_u32_e32 v38, v38, v40
	v_cndmask_b32_e64 v41, 0, 1, vcc_lo
	v_cmp_le_u32_e32 vcc_lo, v64, v37
	ds_bpermute_b32 v40, v63, v38
	v_lshlrev_b32_e32 v41, 4, v41
	v_add_lshl_u32 v65, v41, v57, 2
	s_waitcnt lgkmcnt(0)
	v_cndmask_b32_e32 v40, 0, v40, vcc_lo
	v_cmp_le_u32_e32 vcc_lo, v66, v37
	s_delay_alu instid0(VALU_DEP_2) | instskip(SKIP_3) | instid1(VALU_DEP_1)
	v_add_nc_u32_e32 v38, v38, v40
	ds_bpermute_b32 v40, v65, v38
	s_waitcnt lgkmcnt(0)
	v_cndmask_b32_e32 v37, 0, v40, vcc_lo
	v_dual_mov_b32 v37, 0 :: v_dual_add_nc_u32 v38, v38, v37
	s_branch .LBB1227_401
.LBB1227_400:                           ;   in Loop: Header=BB1227_401 Depth=1
	s_or_b32 exec_lo, exec_lo, s18
	ds_bpermute_b32 v41, v47, v38
	v_and_b32_e32 v40, 0xff, v39
	v_subrev_nc_u32_e32 v36, 32, v36
	s_delay_alu instid0(VALU_DEP_2) | instskip(SKIP_1) | instid1(VALU_DEP_1)
	v_cmp_eq_u16_e32 vcc_lo, 2, v40
	v_and_or_b32 v40, vcc_lo, v49, 0x80000000
	v_ctz_i32_b32_e32 v40, v40
	s_delay_alu instid0(VALU_DEP_1) | instskip(SKIP_3) | instid1(VALU_DEP_2)
	v_cmp_lt_u32_e32 vcc_lo, v57, v40
	s_waitcnt lgkmcnt(0)
	v_cndmask_b32_e32 v41, 0, v41, vcc_lo
	v_cmp_le_u32_e32 vcc_lo, v53, v40
	v_add_nc_u32_e32 v38, v41, v38
	ds_bpermute_b32 v41, v51, v38
	s_waitcnt lgkmcnt(0)
	v_cndmask_b32_e32 v41, 0, v41, vcc_lo
	v_cmp_le_u32_e32 vcc_lo, v62, v40
	s_delay_alu instid0(VALU_DEP_2) | instskip(SKIP_4) | instid1(VALU_DEP_2)
	v_add_nc_u32_e32 v38, v38, v41
	ds_bpermute_b32 v41, v60, v38
	s_waitcnt lgkmcnt(0)
	v_cndmask_b32_e32 v41, 0, v41, vcc_lo
	v_cmp_le_u32_e32 vcc_lo, v64, v40
	v_add_nc_u32_e32 v38, v38, v41
	ds_bpermute_b32 v41, v63, v38
	s_waitcnt lgkmcnt(0)
	v_cndmask_b32_e32 v41, 0, v41, vcc_lo
	v_cmp_le_u32_e32 vcc_lo, v66, v40
	s_delay_alu instid0(VALU_DEP_2) | instskip(SKIP_3) | instid1(VALU_DEP_1)
	v_add_nc_u32_e32 v38, v38, v41
	ds_bpermute_b32 v41, v65, v38
	s_waitcnt lgkmcnt(0)
	v_cndmask_b32_e32 v40, 0, v41, vcc_lo
	v_add3_u32 v38, v40, v61, v38
.LBB1227_401:                           ; =>This Loop Header: Depth=1
                                        ;     Child Loop BB1227_404 Depth 2
                                        ;       Child Loop BB1227_405 Depth 3
	v_and_b32_e32 v39, 0xff, v39
	s_delay_alu instid0(VALU_DEP_2) | instskip(NEXT) | instid1(VALU_DEP_2)
	v_mov_b32_e32 v61, v38
	v_cmp_ne_u16_e32 vcc_lo, 2, v39
	v_cndmask_b32_e64 v39, 0, 1, vcc_lo
	;;#ASMSTART
	;;#ASMEND
	s_delay_alu instid0(VALU_DEP_1)
	v_cmp_ne_u32_e32 vcc_lo, 0, v39
	s_cmp_lg_u32 vcc_lo, exec_lo
	s_cbranch_scc1 .LBB1227_408
; %bb.402:                              ;   in Loop: Header=BB1227_401 Depth=1
	v_lshlrev_b64 v[38:39], 3, v[36:37]
	s_mov_b32 s18, exec_lo
	s_delay_alu instid0(VALU_DEP_1) | instskip(NEXT) | instid1(VALU_DEP_2)
	v_add_co_u32 v40, vcc_lo, s10, v38
	v_add_co_ci_u32_e32 v41, vcc_lo, s11, v39, vcc_lo
	global_load_b64 v[38:39], v[40:41], off glc
	s_waitcnt vmcnt(0)
	v_and_b32_e32 v67, 0xff, v39
	s_delay_alu instid0(VALU_DEP_1)
	v_cmpx_eq_u16_e32 0, v67
	s_cbranch_execz .LBB1227_400
; %bb.403:                              ;   in Loop: Header=BB1227_401 Depth=1
	s_mov_b32 s21, 1
	s_mov_b32 s19, 0
	.p2align	6
.LBB1227_404:                           ;   Parent Loop BB1227_401 Depth=1
                                        ; =>  This Loop Header: Depth=2
                                        ;       Child Loop BB1227_405 Depth 3
	s_max_u32 s22, s21, 1
.LBB1227_405:                           ;   Parent Loop BB1227_401 Depth=1
                                        ;     Parent Loop BB1227_404 Depth=2
                                        ; =>    This Inner Loop Header: Depth=3
	s_delay_alu instid0(SALU_CYCLE_1)
	s_add_i32 s22, s22, -1
	s_sleep 1
	s_cmp_eq_u32 s22, 0
	s_cbranch_scc0 .LBB1227_405
; %bb.406:                              ;   in Loop: Header=BB1227_404 Depth=2
	global_load_b64 v[38:39], v[40:41], off glc
	s_cmp_lt_u32 s21, 32
	s_cselect_b32 s22, -1, 0
	s_delay_alu instid0(SALU_CYCLE_1) | instskip(SKIP_3) | instid1(VALU_DEP_1)
	s_cmp_lg_u32 s22, 0
	s_addc_u32 s21, s21, 0
	s_waitcnt vmcnt(0)
	v_and_b32_e32 v67, 0xff, v39
	v_cmp_ne_u16_e32 vcc_lo, 0, v67
	s_or_b32 s19, vcc_lo, s19
	s_delay_alu instid0(SALU_CYCLE_1)
	s_and_not1_b32 exec_lo, exec_lo, s19
	s_cbranch_execnz .LBB1227_404
; %bb.407:                              ;   in Loop: Header=BB1227_401 Depth=1
	s_or_b32 exec_lo, exec_lo, s19
	s_branch .LBB1227_400
.LBB1227_408:                           ;   in Loop: Header=BB1227_401 Depth=1
                                        ; implicit-def: $vgpr38
                                        ; implicit-def: $vgpr39
	s_cbranch_execz .LBB1227_401
; %bb.409:
	s_and_saveexec_b32 s18, s8
	s_cbranch_execz .LBB1227_411
; %bb.410:
	s_add_i32 s22, s15, 32
	s_mov_b32 s23, 0
	v_dual_mov_b32 v37, 2 :: v_dual_add_nc_u32 v36, v61, v35
	s_lshl_b64 s[22:23], s[22:23], 3
	v_mov_b32_e32 v38, 0
	v_add_nc_u32_e64 v39, 0x8400, 0
	s_add_u32 s22, s10, s22
	s_addc_u32 s23, s11, s23
	global_store_b64 v38, v[36:37], s[22:23]
	ds_store_2addr_b32 v39, v35, v61 offset1:2
.LBB1227_411:
	s_or_b32 exec_lo, exec_lo, s18
	v_cmp_eq_u32_e32 vcc_lo, 0, v0
	s_and_b32 exec_lo, exec_lo, vcc_lo
	s_cbranch_execz .LBB1227_413
; %bb.412:
	v_mov_b32_e32 v35, 0
	ds_store_b32 v35, v61 offset:60
.LBB1227_413:
	s_or_b32 exec_lo, exec_lo, s9
	s_waitcnt lgkmcnt(0)
	v_cndmask_b32_e64 v36, v45, v43, s8
	v_cmp_ne_u32_e32 vcc_lo, 0, v0
	v_mov_b32_e32 v35, 0
	s_waitcnt_vscnt null, 0x0
	s_barrier
	buffer_gl0_inv
	v_cndmask_b32_e32 v36, 0, v36, vcc_lo
	ds_load_b32 v35, v35 offset:60
	s_waitcnt lgkmcnt(0)
	s_barrier
	buffer_gl0_inv
	v_add_nc_u32_e32 v53, v35, v36
	v_add_nc_u32_e64 v35, 0x8400, 0
	s_delay_alu instid0(VALU_DEP_2) | instskip(SKIP_2) | instid1(VALU_DEP_1)
	v_add_nc_u32_e32 v51, v53, v42
	ds_load_2addr_b32 v[35:36], v35 offset1:2
	v_add_nc_u32_e32 v49, v51, v44
	v_add_nc_u32_e32 v47, v49, v46
	s_delay_alu instid0(VALU_DEP_1) | instskip(NEXT) | instid1(VALU_DEP_1)
	v_add_nc_u32_e32 v45, v47, v48
	v_add_nc_u32_e32 v43, v45, v50
	s_waitcnt lgkmcnt(0)
	v_readfirstlane_b32 s8, v36
	s_delay_alu instid0(VALU_DEP_2) | instskip(NEXT) | instid1(VALU_DEP_1)
	v_add_nc_u32_e32 v41, v43, v52
	v_add_nc_u32_e32 v39, v41, v54
	v_lshrrev_b64 v[37:38], 24, v[33:34]
	s_branch .LBB1227_424
.LBB1227_414:
                                        ; implicit-def: $vgpr39
                                        ; implicit-def: $vgpr41
                                        ; implicit-def: $vgpr43
                                        ; implicit-def: $vgpr45
                                        ; implicit-def: $vgpr47
                                        ; implicit-def: $vgpr49
                                        ; implicit-def: $vgpr51
                                        ; implicit-def: $vgpr53
                                        ; implicit-def: $sgpr8
                                        ; implicit-def: $vgpr35
	v_lshrrev_b64 v[37:38], 24, v[33:34]
	s_and_b32 vcc_lo, exec_lo, s9
	s_cbranch_vccz .LBB1227_424
; %bb.415:
	v_mov_b32_dpp v35, v59 row_shr:1 row_mask:0xf bank_mask:0xf
	s_delay_alu instid0(VALU_DEP_1) | instskip(NEXT) | instid1(VALU_DEP_1)
	v_cndmask_b32_e64 v35, v35, 0, s4
	v_add_nc_u32_e32 v35, v35, v59
	s_delay_alu instid0(VALU_DEP_1) | instskip(NEXT) | instid1(VALU_DEP_1)
	v_mov_b32_dpp v36, v35 row_shr:2 row_mask:0xf bank_mask:0xf
	v_cndmask_b32_e64 v36, 0, v36, s2
	s_delay_alu instid0(VALU_DEP_1) | instskip(NEXT) | instid1(VALU_DEP_1)
	v_add_nc_u32_e32 v35, v35, v36
	v_mov_b32_dpp v36, v35 row_shr:4 row_mask:0xf bank_mask:0xf
	s_delay_alu instid0(VALU_DEP_1) | instskip(NEXT) | instid1(VALU_DEP_1)
	v_cndmask_b32_e64 v36, 0, v36, s5
	v_add_nc_u32_e32 v35, v35, v36
	s_delay_alu instid0(VALU_DEP_1) | instskip(NEXT) | instid1(VALU_DEP_1)
	v_mov_b32_dpp v36, v35 row_shr:8 row_mask:0xf bank_mask:0xf
	v_cndmask_b32_e64 v36, 0, v36, s3
	s_delay_alu instid0(VALU_DEP_1) | instskip(SKIP_3) | instid1(VALU_DEP_1)
	v_add_nc_u32_e32 v35, v35, v36
	ds_swizzle_b32 v36, v35 offset:swizzle(BROADCAST,32,15)
	s_waitcnt lgkmcnt(0)
	v_cndmask_b32_e64 v36, v36, 0, s7
	v_add_nc_u32_e32 v35, v35, v36
	s_and_saveexec_b32 s7, s6
	s_cbranch_execz .LBB1227_417
; %bb.416:
	v_lshlrev_b32_e32 v36, 2, v58
	ds_store_b32 v36, v35
.LBB1227_417:
	s_or_b32 exec_lo, exec_lo, s7
	s_delay_alu instid0(SALU_CYCLE_1)
	s_mov_b32 s6, exec_lo
	s_waitcnt lgkmcnt(0)
	s_barrier
	buffer_gl0_inv
	v_cmpx_gt_u32_e32 16, v0
	s_cbranch_execz .LBB1227_419
; %bb.418:
	v_lshlrev_b32_e32 v36, 2, v0
	ds_load_b32 v38, v36
	s_waitcnt lgkmcnt(0)
	v_mov_b32_dpp v39, v38 row_shr:1 row_mask:0xf bank_mask:0xf
	s_delay_alu instid0(VALU_DEP_1) | instskip(NEXT) | instid1(VALU_DEP_1)
	v_cndmask_b32_e64 v39, v39, 0, s4
	v_add_nc_u32_e32 v38, v39, v38
	s_delay_alu instid0(VALU_DEP_1) | instskip(NEXT) | instid1(VALU_DEP_1)
	v_mov_b32_dpp v39, v38 row_shr:2 row_mask:0xf bank_mask:0xf
	v_cndmask_b32_e64 v39, 0, v39, s2
	s_delay_alu instid0(VALU_DEP_1) | instskip(NEXT) | instid1(VALU_DEP_1)
	v_add_nc_u32_e32 v38, v38, v39
	v_mov_b32_dpp v39, v38 row_shr:4 row_mask:0xf bank_mask:0xf
	s_delay_alu instid0(VALU_DEP_1) | instskip(NEXT) | instid1(VALU_DEP_1)
	v_cndmask_b32_e64 v39, 0, v39, s5
	v_add_nc_u32_e32 v38, v38, v39
	s_delay_alu instid0(VALU_DEP_1) | instskip(NEXT) | instid1(VALU_DEP_1)
	v_mov_b32_dpp v39, v38 row_shr:8 row_mask:0xf bank_mask:0xf
	v_cndmask_b32_e64 v39, 0, v39, s3
	s_delay_alu instid0(VALU_DEP_1)
	v_add_nc_u32_e32 v38, v38, v39
	ds_store_b32 v36, v38
.LBB1227_419:
	s_or_b32 exec_lo, exec_lo, s6
	v_mov_b32_e32 v36, 0
	v_mov_b32_e32 v38, 0
	s_mov_b32 s2, exec_lo
	s_waitcnt lgkmcnt(0)
	s_barrier
	buffer_gl0_inv
	v_cmpx_lt_u32_e32 31, v0
	s_cbranch_execz .LBB1227_421
; %bb.420:
	v_lshl_add_u32 v38, v58, 2, -4
	ds_load_b32 v38, v38
.LBB1227_421:
	s_or_b32 exec_lo, exec_lo, s2
	v_add_nc_u32_e32 v39, -1, v57
	s_waitcnt lgkmcnt(0)
	v_add_nc_u32_e32 v35, v38, v35
	s_mov_b32 s8, 0
	s_delay_alu instid0(VALU_DEP_2) | instskip(SKIP_2) | instid1(VALU_DEP_2)
	v_cmp_gt_i32_e32 vcc_lo, 0, v39
	v_cndmask_b32_e32 v39, v39, v57, vcc_lo
	v_cmp_eq_u32_e32 vcc_lo, 0, v0
	v_lshlrev_b32_e32 v39, 2, v39
	ds_bpermute_b32 v39, v39, v35
	ds_load_b32 v35, v36 offset:60
	s_and_saveexec_b32 s2, vcc_lo
	s_cbranch_execz .LBB1227_423
; %bb.422:
	v_mov_b32_e32 v40, 0
	v_mov_b32_e32 v36, 2
	s_waitcnt lgkmcnt(0)
	global_store_b64 v40, v[35:36], s[10:11] offset:256
.LBB1227_423:
	s_or_b32 exec_lo, exec_lo, s2
	v_cmp_eq_u32_e64 s2, 0, v57
	s_waitcnt lgkmcnt(0)
	s_waitcnt_vscnt null, 0x0
	s_barrier
	buffer_gl0_inv
	v_cndmask_b32_e64 v36, v39, v38, s2
	s_delay_alu instid0(VALU_DEP_1) | instskip(NEXT) | instid1(VALU_DEP_1)
	v_cndmask_b32_e64 v53, v36, 0, vcc_lo
	v_add_nc_u32_e32 v51, v53, v42
	s_delay_alu instid0(VALU_DEP_1) | instskip(NEXT) | instid1(VALU_DEP_1)
	v_add_nc_u32_e32 v49, v51, v44
	v_add_nc_u32_e32 v47, v49, v46
	s_delay_alu instid0(VALU_DEP_1) | instskip(NEXT) | instid1(VALU_DEP_1)
	v_add_nc_u32_e32 v45, v47, v48
	;; [unrolled: 3-line block ×3, first 2 shown]
	v_add_nc_u32_e32 v39, v41, v54
.LBB1227_424:
	s_load_b128 s[4:7], s[0:1], 0x28
	v_add_nc_u32_e32 v59, s8, v35
	v_cmp_gt_u32_e64 s0, 0x201, v35
	v_lshrrev_b32_e32 v58, 8, v33
	v_lshrrev_b32_e32 v57, 16, v33
	;; [unrolled: 1-line block ×4, first 2 shown]
	v_cmp_lt_u32_e64 s1, v53, v59
	s_and_b32 vcc_lo, exec_lo, s0
	s_mov_b32 s2, -1
	s_cbranch_vccz .LBB1227_450
; %bb.425:
	s_delay_alu instid0(VALU_DEP_1) | instskip(NEXT) | instid1(SALU_CYCLE_1)
	s_or_b32 s2, s20, s1
	s_and_saveexec_b32 s1, s2
	s_cbranch_execz .LBB1227_428
; %bb.426:
	v_and_b32_e32 v40, 1, v33
	s_delay_alu instid0(VALU_DEP_1)
	v_cmp_eq_u32_e32 vcc_lo, 1, v40
	s_and_b32 exec_lo, exec_lo, vcc_lo
	s_cbranch_execz .LBB1227_428
; %bb.427:
	v_mov_b32_e32 v54, 0
	s_lshl_b64 s[2:3], s[12:13], 3
	s_waitcnt lgkmcnt(0)
	s_add_u32 s2, s4, s2
	s_addc_u32 s3, s5, s3
	v_lshlrev_b64 v[60:61], 3, v[53:54]
	s_delay_alu instid0(VALU_DEP_1) | instskip(NEXT) | instid1(VALU_DEP_2)
	v_add_co_u32 v60, vcc_lo, s2, v60
	v_add_co_ci_u32_e32 v61, vcc_lo, s3, v61, vcc_lo
	global_store_b64 v[60:61], v[29:30], off
.LBB1227_428:
	s_or_b32 exec_lo, exec_lo, s1
	v_cmp_lt_u32_e32 vcc_lo, v51, v59
	s_or_b32 s2, s20, vcc_lo
	s_delay_alu instid0(SALU_CYCLE_1)
	s_and_saveexec_b32 s1, s2
	s_cbranch_execz .LBB1227_431
; %bb.429:
	v_and_b32_e32 v40, 1, v58
	s_delay_alu instid0(VALU_DEP_1)
	v_cmp_eq_u32_e32 vcc_lo, 1, v40
	s_and_b32 exec_lo, exec_lo, vcc_lo
	s_cbranch_execz .LBB1227_431
; %bb.430:
	v_mov_b32_e32 v52, 0
	s_lshl_b64 s[2:3], s[12:13], 3
	s_waitcnt lgkmcnt(0)
	s_add_u32 s2, s4, s2
	s_addc_u32 s3, s5, s3
	v_lshlrev_b64 v[60:61], 3, v[51:52]
	s_delay_alu instid0(VALU_DEP_1) | instskip(NEXT) | instid1(VALU_DEP_2)
	v_add_co_u32 v60, vcc_lo, s2, v60
	v_add_co_ci_u32_e32 v61, vcc_lo, s3, v61, vcc_lo
	global_store_b64 v[60:61], v[31:32], off
.LBB1227_431:
	s_or_b32 exec_lo, exec_lo, s1
	v_cmp_lt_u32_e32 vcc_lo, v49, v59
	s_or_b32 s2, s20, vcc_lo
	s_delay_alu instid0(SALU_CYCLE_1)
	;; [unrolled: 24-line block ×7, first 2 shown]
	s_and_saveexec_b32 s1, s2
	s_cbranch_execz .LBB1227_449
; %bb.447:
	v_and_b32_e32 v40, 1, v56
	s_delay_alu instid0(VALU_DEP_1)
	v_cmp_eq_u32_e32 vcc_lo, 1, v40
	s_and_b32 exec_lo, exec_lo, vcc_lo
	s_cbranch_execz .LBB1227_449
; %bb.448:
	v_mov_b32_e32 v40, 0
	s_lshl_b64 s[2:3], s[12:13], 3
	s_waitcnt lgkmcnt(0)
	s_add_u32 s2, s4, s2
	s_addc_u32 s3, s5, s3
	v_lshlrev_b64 v[60:61], 3, v[39:40]
	s_delay_alu instid0(VALU_DEP_1) | instskip(NEXT) | instid1(VALU_DEP_2)
	v_add_co_u32 v60, vcc_lo, s2, v60
	v_add_co_ci_u32_e32 v61, vcc_lo, s3, v61, vcc_lo
	global_store_b64 v[60:61], v[19:20], off
.LBB1227_449:
	s_or_b32 exec_lo, exec_lo, s1
	s_mov_b32 s2, 0
.LBB1227_450:
	v_and_b32_e32 v33, 1, v33
	s_and_b32 vcc_lo, exec_lo, s2
	s_delay_alu instid0(VALU_DEP_1)
	v_cmp_eq_u32_e64 s1, 1, v33
	s_cbranch_vccz .LBB1227_471
; %bb.451:
	s_delay_alu instid0(VALU_DEP_1)
	s_and_saveexec_b32 s2, s1
	s_cbranch_execz .LBB1227_453
; %bb.452:
	v_subrev_nc_u32_e32 v40, s8, v53
	s_delay_alu instid0(VALU_DEP_1)
	v_lshlrev_b32_e32 v40, 3, v40
	ds_store_b64 v40, v[29:30]
.LBB1227_453:
	s_or_b32 exec_lo, exec_lo, s2
	v_and_b32_e32 v29, 1, v58
	s_mov_b32 s1, exec_lo
	s_delay_alu instid0(VALU_DEP_1)
	v_cmpx_eq_u32_e32 1, v29
	s_cbranch_execz .LBB1227_455
; %bb.454:
	v_subrev_nc_u32_e32 v29, s8, v51
	s_delay_alu instid0(VALU_DEP_1)
	v_lshlrev_b32_e32 v29, 3, v29
	ds_store_b64 v29, v[31:32]
.LBB1227_455:
	s_or_b32 exec_lo, exec_lo, s1
	v_and_b32_e32 v29, 1, v57
	s_mov_b32 s1, exec_lo
	s_delay_alu instid0(VALU_DEP_1)
	v_cmpx_eq_u32_e32 1, v29
	;; [unrolled: 12-line block ×7, first 2 shown]
	s_cbranch_execz .LBB1227_467
; %bb.466:
	v_subrev_nc_u32_e32 v17, s8, v39
	s_delay_alu instid0(VALU_DEP_1)
	v_lshlrev_b32_e32 v17, 3, v17
	ds_store_b64 v17, v[19:20]
.LBB1227_467:
	s_or_b32 exec_lo, exec_lo, s1
	s_delay_alu instid0(SALU_CYCLE_1)
	s_mov_b32 s2, exec_lo
	s_waitcnt lgkmcnt(0)
	s_waitcnt_vscnt null, 0x0
	s_barrier
	buffer_gl0_inv
	v_cmpx_lt_u32_e64 v0, v35
	s_cbranch_execz .LBB1227_470
; %bb.468:
	s_mov_b32 s9, 0
	s_lshl_b64 s[10:11], s[12:13], 3
	s_lshl_b64 s[18:19], s[8:9], 3
	v_dual_mov_b32 v19, v55 :: v_dual_mov_b32 v20, v0
	s_add_u32 s1, s10, s18
	s_addc_u32 s3, s11, s19
	s_add_u32 s1, s4, s1
	s_addc_u32 s3, s5, s3
	v_add_co_u32 v17, s1, s1, v55
	s_delay_alu instid0(VALU_DEP_1)
	v_add_co_ci_u32_e64 v18, null, s3, 0, s1
	.p2align	6
.LBB1227_469:                           ; =>This Inner Loop Header: Depth=1
	ds_load_b64 v[21:22], v19
	v_add_nc_u32_e32 v20, 0x200, v20
	v_add_nc_u32_e32 v19, 0x1000, v19
	s_delay_alu instid0(VALU_DEP_2) | instskip(SKIP_4) | instid1(VALU_DEP_1)
	v_cmp_ge_u32_e32 vcc_lo, v20, v35
	s_or_b32 s9, vcc_lo, s9
	s_waitcnt lgkmcnt(0)
	global_store_b64 v[17:18], v[21:22], off
	v_add_co_u32 v17, s1, 0x1000, v17
	v_add_co_ci_u32_e64 v18, s1, 0, v18, s1
	s_and_not1_b32 exec_lo, exec_lo, s9
	s_cbranch_execnz .LBB1227_469
.LBB1227_470:
	s_or_b32 exec_lo, exec_lo, s2
.LBB1227_471:
	s_delay_alu instid0(SALU_CYCLE_1)
	s_and_b32 vcc_lo, exec_lo, s0
	s_mov_b32 s0, -1
	s_waitcnt lgkmcnt(0)
	s_waitcnt_vscnt null, 0x0
	s_barrier
	buffer_gl0_inv
	s_cbranch_vccz .LBB1227_499
; %bb.472:
	v_cmp_lt_u32_e32 vcc_lo, v53, v59
	s_or_b32 s1, s20, vcc_lo
	s_delay_alu instid0(SALU_CYCLE_1)
	s_and_saveexec_b32 s0, s1
	s_cbranch_execz .LBB1227_475
; %bb.473:
	v_cmp_eq_u32_e32 vcc_lo, 1, v33
	s_and_b32 exec_lo, exec_lo, vcc_lo
	s_cbranch_execz .LBB1227_475
; %bb.474:
	v_mov_b32_e32 v54, 0
	s_lshl_b64 s[2:3], s[12:13], 3
	s_delay_alu instid0(SALU_CYCLE_1) | instskip(SKIP_1) | instid1(VALU_DEP_1)
	s_add_u32 s1, s6, s2
	s_addc_u32 s2, s7, s3
	v_lshlrev_b64 v[17:18], 3, v[53:54]
	s_delay_alu instid0(VALU_DEP_1) | instskip(NEXT) | instid1(VALU_DEP_2)
	v_add_co_u32 v17, vcc_lo, s1, v17
	v_add_co_ci_u32_e32 v18, vcc_lo, s2, v18, vcc_lo
	global_store_b64 v[17:18], v[13:14], off
.LBB1227_475:
	s_or_b32 exec_lo, exec_lo, s0
	v_cmp_lt_u32_e32 vcc_lo, v51, v59
	s_or_b32 s1, s20, vcc_lo
	s_delay_alu instid0(SALU_CYCLE_1)
	s_and_saveexec_b32 s0, s1
	s_cbranch_execz .LBB1227_478
; %bb.476:
	v_and_b32_e32 v17, 1, v58
	s_delay_alu instid0(VALU_DEP_1)
	v_cmp_eq_u32_e32 vcc_lo, 1, v17
	s_and_b32 exec_lo, exec_lo, vcc_lo
	s_cbranch_execz .LBB1227_478
; %bb.477:
	v_mov_b32_e32 v52, 0
	s_lshl_b64 s[2:3], s[12:13], 3
	s_delay_alu instid0(SALU_CYCLE_1) | instskip(SKIP_1) | instid1(VALU_DEP_1)
	s_add_u32 s1, s6, s2
	s_addc_u32 s2, s7, s3
	v_lshlrev_b64 v[17:18], 3, v[51:52]
	s_delay_alu instid0(VALU_DEP_1) | instskip(NEXT) | instid1(VALU_DEP_2)
	v_add_co_u32 v17, vcc_lo, s1, v17
	v_add_co_ci_u32_e32 v18, vcc_lo, s2, v18, vcc_lo
	global_store_b64 v[17:18], v[15:16], off
.LBB1227_478:
	s_or_b32 exec_lo, exec_lo, s0
	v_cmp_lt_u32_e32 vcc_lo, v49, v59
	s_or_b32 s1, s20, vcc_lo
	s_delay_alu instid0(SALU_CYCLE_1)
	s_and_saveexec_b32 s0, s1
	s_cbranch_execz .LBB1227_481
; %bb.479:
	v_and_b32_e32 v17, 1, v57
	s_delay_alu instid0(VALU_DEP_1)
	v_cmp_eq_u32_e32 vcc_lo, 1, v17
	s_and_b32 exec_lo, exec_lo, vcc_lo
	s_cbranch_execz .LBB1227_481
; %bb.480:
	v_mov_b32_e32 v50, 0
	s_lshl_b64 s[2:3], s[12:13], 3
	s_delay_alu instid0(SALU_CYCLE_1) | instskip(SKIP_1) | instid1(VALU_DEP_1)
	s_add_u32 s1, s6, s2
	s_addc_u32 s2, s7, s3
	v_lshlrev_b64 v[17:18], 3, v[49:50]
	s_delay_alu instid0(VALU_DEP_1) | instskip(NEXT) | instid1(VALU_DEP_2)
	v_add_co_u32 v17, vcc_lo, s1, v17
	v_add_co_ci_u32_e32 v18, vcc_lo, s2, v18, vcc_lo
	global_store_b64 v[17:18], v[9:10], off
.LBB1227_481:
	;; [unrolled: 24-line block ×7, first 2 shown]
	s_or_b32 exec_lo, exec_lo, s0
.LBB1227_497:
	v_cmp_eq_u32_e32 vcc_lo, 0, v0
	s_and_b32 s0, vcc_lo, s14
	s_delay_alu instid0(SALU_CYCLE_1)
	s_and_saveexec_b32 s1, s0
	s_cbranch_execz .LBB1227_520
.LBB1227_498:
	v_add_co_u32 v0, s0, s12, v35
	s_delay_alu instid0(VALU_DEP_1) | instskip(SKIP_1) | instid1(VALU_DEP_3)
	v_add_co_ci_u32_e64 v1, null, s13, 0, s0
	v_mov_b32_e32 v2, 0
	v_add_co_u32 v0, vcc_lo, v0, s8
	s_delay_alu instid0(VALU_DEP_3)
	v_add_co_ci_u32_e32 v1, vcc_lo, 0, v1, vcc_lo
	global_store_b64 v2, v[0:1], s[16:17]
	s_nop 0
	s_sendmsg sendmsg(MSG_DEALLOC_VGPRS)
	s_endpgm
.LBB1227_499:
	s_and_b32 vcc_lo, exec_lo, s0
	s_cbranch_vccz .LBB1227_497
; %bb.500:
	s_mov_b32 s0, exec_lo
	v_cmpx_eq_u32_e32 1, v33
	s_cbranch_execz .LBB1227_502
; %bb.501:
	v_subrev_nc_u32_e32 v17, s8, v53
	s_delay_alu instid0(VALU_DEP_1)
	v_lshlrev_b32_e32 v17, 3, v17
	ds_store_b64 v17, v[13:14]
.LBB1227_502:
	s_or_b32 exec_lo, exec_lo, s0
	v_and_b32_e32 v13, 1, v58
	s_mov_b32 s0, exec_lo
	s_delay_alu instid0(VALU_DEP_1)
	v_cmpx_eq_u32_e32 1, v13
	s_cbranch_execz .LBB1227_504
; %bb.503:
	v_subrev_nc_u32_e32 v13, s8, v51
	s_delay_alu instid0(VALU_DEP_1)
	v_lshlrev_b32_e32 v13, 3, v13
	ds_store_b64 v13, v[15:16]
.LBB1227_504:
	s_or_b32 exec_lo, exec_lo, s0
	v_and_b32_e32 v13, 1, v57
	s_mov_b32 s0, exec_lo
	s_delay_alu instid0(VALU_DEP_1)
	;; [unrolled: 12-line block ×7, first 2 shown]
	v_cmpx_eq_u32_e32 1, v1
	s_cbranch_execz .LBB1227_516
; %bb.515:
	v_subrev_nc_u32_e32 v1, s8, v39
	s_delay_alu instid0(VALU_DEP_1)
	v_lshlrev_b32_e32 v1, 3, v1
	ds_store_b64 v1, v[3:4]
.LBB1227_516:
	s_or_b32 exec_lo, exec_lo, s0
	s_delay_alu instid0(SALU_CYCLE_1)
	s_mov_b32 s1, exec_lo
	s_waitcnt lgkmcnt(0)
	s_waitcnt_vscnt null, 0x0
	s_barrier
	buffer_gl0_inv
	v_cmpx_lt_u32_e64 v0, v35
	s_cbranch_execz .LBB1227_519
; %bb.517:
	s_mov_b32 s9, 0
	s_lshl_b64 s[2:3], s[12:13], 3
	s_lshl_b64 s[4:5], s[8:9], 3
	v_mov_b32_e32 v3, v0
	s_add_u32 s0, s2, s4
	s_addc_u32 s2, s3, s5
	s_add_u32 s0, s6, s0
	s_addc_u32 s2, s7, s2
	v_add_co_u32 v1, s0, s0, v55
	s_delay_alu instid0(VALU_DEP_1)
	v_add_co_ci_u32_e64 v2, null, s2, 0, s0
	.p2align	6
.LBB1227_518:                           ; =>This Inner Loop Header: Depth=1
	ds_load_b64 v[4:5], v55
	v_add_nc_u32_e32 v3, 0x200, v3
	v_add_nc_u32_e32 v55, 0x1000, v55
	s_delay_alu instid0(VALU_DEP_2) | instskip(SKIP_4) | instid1(VALU_DEP_1)
	v_cmp_ge_u32_e32 vcc_lo, v3, v35
	s_or_b32 s9, vcc_lo, s9
	s_waitcnt lgkmcnt(0)
	global_store_b64 v[1:2], v[4:5], off
	v_add_co_u32 v1, s0, 0x1000, v1
	v_add_co_ci_u32_e64 v2, s0, 0, v2, s0
	s_and_not1_b32 exec_lo, exec_lo, s9
	s_cbranch_execnz .LBB1227_518
.LBB1227_519:
	s_or_b32 exec_lo, exec_lo, s1
	v_cmp_eq_u32_e32 vcc_lo, 0, v0
	s_and_b32 s0, vcc_lo, s14
	s_delay_alu instid0(SALU_CYCLE_1)
	s_and_saveexec_b32 s1, s0
	s_cbranch_execnz .LBB1227_498
.LBB1227_520:
	s_nop 0
	s_sendmsg sendmsg(MSG_DEALLOC_VGPRS)
	s_endpgm
	.section	.rodata,"a",@progbits
	.p2align	6, 0x0
	.amdhsa_kernel _ZN7rocprim17ROCPRIM_400000_NS6detail17trampoline_kernelINS0_14default_configENS1_25partition_config_selectorILNS1_17partition_subalgoE9EllbEEZZNS1_14partition_implILS5_9ELb0ES3_jPlS8_PNS0_10empty_typeENS0_5tupleIJS8_S9_EEENSB_IJS8_SA_EEENS0_18inequality_wrapperIZN2at6native12_GLOBAL__N_124unique_dim_cuda_templateIN3c108BFloat16EEESt5tupleIJNSF_6TensorESM_SM_EERKSM_lbbbEUlllE0_EEPmJS9_EEE10hipError_tPvRmT3_T4_T5_T6_T7_T9_mT8_P12ihipStream_tbDpT10_ENKUlT_T0_E_clISt17integral_constantIbLb1EES1B_IbLb0EEEEDaS17_S18_EUlS17_E_NS1_11comp_targetILNS1_3genE9ELNS1_11target_archE1100ELNS1_3gpuE3ELNS1_3repE0EEENS1_30default_config_static_selectorELNS0_4arch9wavefront6targetE0EEEvT1_
		.amdhsa_group_segment_fixed_size 33804
		.amdhsa_private_segment_fixed_size 0
		.amdhsa_kernarg_size 120
		.amdhsa_user_sgpr_count 15
		.amdhsa_user_sgpr_dispatch_ptr 0
		.amdhsa_user_sgpr_queue_ptr 0
		.amdhsa_user_sgpr_kernarg_segment_ptr 1
		.amdhsa_user_sgpr_dispatch_id 0
		.amdhsa_user_sgpr_private_segment_size 0
		.amdhsa_wavefront_size32 1
		.amdhsa_uses_dynamic_stack 0
		.amdhsa_enable_private_segment 0
		.amdhsa_system_sgpr_workgroup_id_x 1
		.amdhsa_system_sgpr_workgroup_id_y 0
		.amdhsa_system_sgpr_workgroup_id_z 0
		.amdhsa_system_sgpr_workgroup_info 0
		.amdhsa_system_vgpr_workitem_id 0
		.amdhsa_next_free_vgpr 68
		.amdhsa_next_free_sgpr 36
		.amdhsa_reserve_vcc 1
		.amdhsa_float_round_mode_32 0
		.amdhsa_float_round_mode_16_64 0
		.amdhsa_float_denorm_mode_32 3
		.amdhsa_float_denorm_mode_16_64 3
		.amdhsa_dx10_clamp 1
		.amdhsa_ieee_mode 1
		.amdhsa_fp16_overflow 0
		.amdhsa_workgroup_processor_mode 1
		.amdhsa_memory_ordered 1
		.amdhsa_forward_progress 0
		.amdhsa_shared_vgpr_count 0
		.amdhsa_exception_fp_ieee_invalid_op 0
		.amdhsa_exception_fp_denorm_src 0
		.amdhsa_exception_fp_ieee_div_zero 0
		.amdhsa_exception_fp_ieee_overflow 0
		.amdhsa_exception_fp_ieee_underflow 0
		.amdhsa_exception_fp_ieee_inexact 0
		.amdhsa_exception_int_div_zero 0
	.end_amdhsa_kernel
	.section	.text._ZN7rocprim17ROCPRIM_400000_NS6detail17trampoline_kernelINS0_14default_configENS1_25partition_config_selectorILNS1_17partition_subalgoE9EllbEEZZNS1_14partition_implILS5_9ELb0ES3_jPlS8_PNS0_10empty_typeENS0_5tupleIJS8_S9_EEENSB_IJS8_SA_EEENS0_18inequality_wrapperIZN2at6native12_GLOBAL__N_124unique_dim_cuda_templateIN3c108BFloat16EEESt5tupleIJNSF_6TensorESM_SM_EERKSM_lbbbEUlllE0_EEPmJS9_EEE10hipError_tPvRmT3_T4_T5_T6_T7_T9_mT8_P12ihipStream_tbDpT10_ENKUlT_T0_E_clISt17integral_constantIbLb1EES1B_IbLb0EEEEDaS17_S18_EUlS17_E_NS1_11comp_targetILNS1_3genE9ELNS1_11target_archE1100ELNS1_3gpuE3ELNS1_3repE0EEENS1_30default_config_static_selectorELNS0_4arch9wavefront6targetE0EEEvT1_,"axG",@progbits,_ZN7rocprim17ROCPRIM_400000_NS6detail17trampoline_kernelINS0_14default_configENS1_25partition_config_selectorILNS1_17partition_subalgoE9EllbEEZZNS1_14partition_implILS5_9ELb0ES3_jPlS8_PNS0_10empty_typeENS0_5tupleIJS8_S9_EEENSB_IJS8_SA_EEENS0_18inequality_wrapperIZN2at6native12_GLOBAL__N_124unique_dim_cuda_templateIN3c108BFloat16EEESt5tupleIJNSF_6TensorESM_SM_EERKSM_lbbbEUlllE0_EEPmJS9_EEE10hipError_tPvRmT3_T4_T5_T6_T7_T9_mT8_P12ihipStream_tbDpT10_ENKUlT_T0_E_clISt17integral_constantIbLb1EES1B_IbLb0EEEEDaS17_S18_EUlS17_E_NS1_11comp_targetILNS1_3genE9ELNS1_11target_archE1100ELNS1_3gpuE3ELNS1_3repE0EEENS1_30default_config_static_selectorELNS0_4arch9wavefront6targetE0EEEvT1_,comdat
.Lfunc_end1227:
	.size	_ZN7rocprim17ROCPRIM_400000_NS6detail17trampoline_kernelINS0_14default_configENS1_25partition_config_selectorILNS1_17partition_subalgoE9EllbEEZZNS1_14partition_implILS5_9ELb0ES3_jPlS8_PNS0_10empty_typeENS0_5tupleIJS8_S9_EEENSB_IJS8_SA_EEENS0_18inequality_wrapperIZN2at6native12_GLOBAL__N_124unique_dim_cuda_templateIN3c108BFloat16EEESt5tupleIJNSF_6TensorESM_SM_EERKSM_lbbbEUlllE0_EEPmJS9_EEE10hipError_tPvRmT3_T4_T5_T6_T7_T9_mT8_P12ihipStream_tbDpT10_ENKUlT_T0_E_clISt17integral_constantIbLb1EES1B_IbLb0EEEEDaS17_S18_EUlS17_E_NS1_11comp_targetILNS1_3genE9ELNS1_11target_archE1100ELNS1_3gpuE3ELNS1_3repE0EEENS1_30default_config_static_selectorELNS0_4arch9wavefront6targetE0EEEvT1_, .Lfunc_end1227-_ZN7rocprim17ROCPRIM_400000_NS6detail17trampoline_kernelINS0_14default_configENS1_25partition_config_selectorILNS1_17partition_subalgoE9EllbEEZZNS1_14partition_implILS5_9ELb0ES3_jPlS8_PNS0_10empty_typeENS0_5tupleIJS8_S9_EEENSB_IJS8_SA_EEENS0_18inequality_wrapperIZN2at6native12_GLOBAL__N_124unique_dim_cuda_templateIN3c108BFloat16EEESt5tupleIJNSF_6TensorESM_SM_EERKSM_lbbbEUlllE0_EEPmJS9_EEE10hipError_tPvRmT3_T4_T5_T6_T7_T9_mT8_P12ihipStream_tbDpT10_ENKUlT_T0_E_clISt17integral_constantIbLb1EES1B_IbLb0EEEEDaS17_S18_EUlS17_E_NS1_11comp_targetILNS1_3genE9ELNS1_11target_archE1100ELNS1_3gpuE3ELNS1_3repE0EEENS1_30default_config_static_selectorELNS0_4arch9wavefront6targetE0EEEvT1_
                                        ; -- End function
	.section	.AMDGPU.csdata,"",@progbits
; Kernel info:
; codeLenInByte = 21352
; NumSgprs: 38
; NumVgprs: 68
; ScratchSize: 0
; MemoryBound: 0
; FloatMode: 240
; IeeeMode: 1
; LDSByteSize: 33804 bytes/workgroup (compile time only)
; SGPRBlocks: 4
; VGPRBlocks: 8
; NumSGPRsForWavesPerEU: 38
; NumVGPRsForWavesPerEU: 68
; Occupancy: 12
; WaveLimiterHint : 1
; COMPUTE_PGM_RSRC2:SCRATCH_EN: 0
; COMPUTE_PGM_RSRC2:USER_SGPR: 15
; COMPUTE_PGM_RSRC2:TRAP_HANDLER: 0
; COMPUTE_PGM_RSRC2:TGID_X_EN: 1
; COMPUTE_PGM_RSRC2:TGID_Y_EN: 0
; COMPUTE_PGM_RSRC2:TGID_Z_EN: 0
; COMPUTE_PGM_RSRC2:TIDIG_COMP_CNT: 0
	.section	.text._ZN7rocprim17ROCPRIM_400000_NS6detail17trampoline_kernelINS0_14default_configENS1_25partition_config_selectorILNS1_17partition_subalgoE9EllbEEZZNS1_14partition_implILS5_9ELb0ES3_jPlS8_PNS0_10empty_typeENS0_5tupleIJS8_S9_EEENSB_IJS8_SA_EEENS0_18inequality_wrapperIZN2at6native12_GLOBAL__N_124unique_dim_cuda_templateIN3c108BFloat16EEESt5tupleIJNSF_6TensorESM_SM_EERKSM_lbbbEUlllE0_EEPmJS9_EEE10hipError_tPvRmT3_T4_T5_T6_T7_T9_mT8_P12ihipStream_tbDpT10_ENKUlT_T0_E_clISt17integral_constantIbLb1EES1B_IbLb0EEEEDaS17_S18_EUlS17_E_NS1_11comp_targetILNS1_3genE8ELNS1_11target_archE1030ELNS1_3gpuE2ELNS1_3repE0EEENS1_30default_config_static_selectorELNS0_4arch9wavefront6targetE0EEEvT1_,"axG",@progbits,_ZN7rocprim17ROCPRIM_400000_NS6detail17trampoline_kernelINS0_14default_configENS1_25partition_config_selectorILNS1_17partition_subalgoE9EllbEEZZNS1_14partition_implILS5_9ELb0ES3_jPlS8_PNS0_10empty_typeENS0_5tupleIJS8_S9_EEENSB_IJS8_SA_EEENS0_18inequality_wrapperIZN2at6native12_GLOBAL__N_124unique_dim_cuda_templateIN3c108BFloat16EEESt5tupleIJNSF_6TensorESM_SM_EERKSM_lbbbEUlllE0_EEPmJS9_EEE10hipError_tPvRmT3_T4_T5_T6_T7_T9_mT8_P12ihipStream_tbDpT10_ENKUlT_T0_E_clISt17integral_constantIbLb1EES1B_IbLb0EEEEDaS17_S18_EUlS17_E_NS1_11comp_targetILNS1_3genE8ELNS1_11target_archE1030ELNS1_3gpuE2ELNS1_3repE0EEENS1_30default_config_static_selectorELNS0_4arch9wavefront6targetE0EEEvT1_,comdat
	.globl	_ZN7rocprim17ROCPRIM_400000_NS6detail17trampoline_kernelINS0_14default_configENS1_25partition_config_selectorILNS1_17partition_subalgoE9EllbEEZZNS1_14partition_implILS5_9ELb0ES3_jPlS8_PNS0_10empty_typeENS0_5tupleIJS8_S9_EEENSB_IJS8_SA_EEENS0_18inequality_wrapperIZN2at6native12_GLOBAL__N_124unique_dim_cuda_templateIN3c108BFloat16EEESt5tupleIJNSF_6TensorESM_SM_EERKSM_lbbbEUlllE0_EEPmJS9_EEE10hipError_tPvRmT3_T4_T5_T6_T7_T9_mT8_P12ihipStream_tbDpT10_ENKUlT_T0_E_clISt17integral_constantIbLb1EES1B_IbLb0EEEEDaS17_S18_EUlS17_E_NS1_11comp_targetILNS1_3genE8ELNS1_11target_archE1030ELNS1_3gpuE2ELNS1_3repE0EEENS1_30default_config_static_selectorELNS0_4arch9wavefront6targetE0EEEvT1_ ; -- Begin function _ZN7rocprim17ROCPRIM_400000_NS6detail17trampoline_kernelINS0_14default_configENS1_25partition_config_selectorILNS1_17partition_subalgoE9EllbEEZZNS1_14partition_implILS5_9ELb0ES3_jPlS8_PNS0_10empty_typeENS0_5tupleIJS8_S9_EEENSB_IJS8_SA_EEENS0_18inequality_wrapperIZN2at6native12_GLOBAL__N_124unique_dim_cuda_templateIN3c108BFloat16EEESt5tupleIJNSF_6TensorESM_SM_EERKSM_lbbbEUlllE0_EEPmJS9_EEE10hipError_tPvRmT3_T4_T5_T6_T7_T9_mT8_P12ihipStream_tbDpT10_ENKUlT_T0_E_clISt17integral_constantIbLb1EES1B_IbLb0EEEEDaS17_S18_EUlS17_E_NS1_11comp_targetILNS1_3genE8ELNS1_11target_archE1030ELNS1_3gpuE2ELNS1_3repE0EEENS1_30default_config_static_selectorELNS0_4arch9wavefront6targetE0EEEvT1_
	.p2align	8
	.type	_ZN7rocprim17ROCPRIM_400000_NS6detail17trampoline_kernelINS0_14default_configENS1_25partition_config_selectorILNS1_17partition_subalgoE9EllbEEZZNS1_14partition_implILS5_9ELb0ES3_jPlS8_PNS0_10empty_typeENS0_5tupleIJS8_S9_EEENSB_IJS8_SA_EEENS0_18inequality_wrapperIZN2at6native12_GLOBAL__N_124unique_dim_cuda_templateIN3c108BFloat16EEESt5tupleIJNSF_6TensorESM_SM_EERKSM_lbbbEUlllE0_EEPmJS9_EEE10hipError_tPvRmT3_T4_T5_T6_T7_T9_mT8_P12ihipStream_tbDpT10_ENKUlT_T0_E_clISt17integral_constantIbLb1EES1B_IbLb0EEEEDaS17_S18_EUlS17_E_NS1_11comp_targetILNS1_3genE8ELNS1_11target_archE1030ELNS1_3gpuE2ELNS1_3repE0EEENS1_30default_config_static_selectorELNS0_4arch9wavefront6targetE0EEEvT1_,@function
_ZN7rocprim17ROCPRIM_400000_NS6detail17trampoline_kernelINS0_14default_configENS1_25partition_config_selectorILNS1_17partition_subalgoE9EllbEEZZNS1_14partition_implILS5_9ELb0ES3_jPlS8_PNS0_10empty_typeENS0_5tupleIJS8_S9_EEENSB_IJS8_SA_EEENS0_18inequality_wrapperIZN2at6native12_GLOBAL__N_124unique_dim_cuda_templateIN3c108BFloat16EEESt5tupleIJNSF_6TensorESM_SM_EERKSM_lbbbEUlllE0_EEPmJS9_EEE10hipError_tPvRmT3_T4_T5_T6_T7_T9_mT8_P12ihipStream_tbDpT10_ENKUlT_T0_E_clISt17integral_constantIbLb1EES1B_IbLb0EEEEDaS17_S18_EUlS17_E_NS1_11comp_targetILNS1_3genE8ELNS1_11target_archE1030ELNS1_3gpuE2ELNS1_3repE0EEENS1_30default_config_static_selectorELNS0_4arch9wavefront6targetE0EEEvT1_: ; @_ZN7rocprim17ROCPRIM_400000_NS6detail17trampoline_kernelINS0_14default_configENS1_25partition_config_selectorILNS1_17partition_subalgoE9EllbEEZZNS1_14partition_implILS5_9ELb0ES3_jPlS8_PNS0_10empty_typeENS0_5tupleIJS8_S9_EEENSB_IJS8_SA_EEENS0_18inequality_wrapperIZN2at6native12_GLOBAL__N_124unique_dim_cuda_templateIN3c108BFloat16EEESt5tupleIJNSF_6TensorESM_SM_EERKSM_lbbbEUlllE0_EEPmJS9_EEE10hipError_tPvRmT3_T4_T5_T6_T7_T9_mT8_P12ihipStream_tbDpT10_ENKUlT_T0_E_clISt17integral_constantIbLb1EES1B_IbLb0EEEEDaS17_S18_EUlS17_E_NS1_11comp_targetILNS1_3genE8ELNS1_11target_archE1030ELNS1_3gpuE2ELNS1_3repE0EEENS1_30default_config_static_selectorELNS0_4arch9wavefront6targetE0EEEvT1_
; %bb.0:
	.section	.rodata,"a",@progbits
	.p2align	6, 0x0
	.amdhsa_kernel _ZN7rocprim17ROCPRIM_400000_NS6detail17trampoline_kernelINS0_14default_configENS1_25partition_config_selectorILNS1_17partition_subalgoE9EllbEEZZNS1_14partition_implILS5_9ELb0ES3_jPlS8_PNS0_10empty_typeENS0_5tupleIJS8_S9_EEENSB_IJS8_SA_EEENS0_18inequality_wrapperIZN2at6native12_GLOBAL__N_124unique_dim_cuda_templateIN3c108BFloat16EEESt5tupleIJNSF_6TensorESM_SM_EERKSM_lbbbEUlllE0_EEPmJS9_EEE10hipError_tPvRmT3_T4_T5_T6_T7_T9_mT8_P12ihipStream_tbDpT10_ENKUlT_T0_E_clISt17integral_constantIbLb1EES1B_IbLb0EEEEDaS17_S18_EUlS17_E_NS1_11comp_targetILNS1_3genE8ELNS1_11target_archE1030ELNS1_3gpuE2ELNS1_3repE0EEENS1_30default_config_static_selectorELNS0_4arch9wavefront6targetE0EEEvT1_
		.amdhsa_group_segment_fixed_size 0
		.amdhsa_private_segment_fixed_size 0
		.amdhsa_kernarg_size 120
		.amdhsa_user_sgpr_count 15
		.amdhsa_user_sgpr_dispatch_ptr 0
		.amdhsa_user_sgpr_queue_ptr 0
		.amdhsa_user_sgpr_kernarg_segment_ptr 1
		.amdhsa_user_sgpr_dispatch_id 0
		.amdhsa_user_sgpr_private_segment_size 0
		.amdhsa_wavefront_size32 1
		.amdhsa_uses_dynamic_stack 0
		.amdhsa_enable_private_segment 0
		.amdhsa_system_sgpr_workgroup_id_x 1
		.amdhsa_system_sgpr_workgroup_id_y 0
		.amdhsa_system_sgpr_workgroup_id_z 0
		.amdhsa_system_sgpr_workgroup_info 0
		.amdhsa_system_vgpr_workitem_id 0
		.amdhsa_next_free_vgpr 1
		.amdhsa_next_free_sgpr 1
		.amdhsa_reserve_vcc 0
		.amdhsa_float_round_mode_32 0
		.amdhsa_float_round_mode_16_64 0
		.amdhsa_float_denorm_mode_32 3
		.amdhsa_float_denorm_mode_16_64 3
		.amdhsa_dx10_clamp 1
		.amdhsa_ieee_mode 1
		.amdhsa_fp16_overflow 0
		.amdhsa_workgroup_processor_mode 1
		.amdhsa_memory_ordered 1
		.amdhsa_forward_progress 0
		.amdhsa_shared_vgpr_count 0
		.amdhsa_exception_fp_ieee_invalid_op 0
		.amdhsa_exception_fp_denorm_src 0
		.amdhsa_exception_fp_ieee_div_zero 0
		.amdhsa_exception_fp_ieee_overflow 0
		.amdhsa_exception_fp_ieee_underflow 0
		.amdhsa_exception_fp_ieee_inexact 0
		.amdhsa_exception_int_div_zero 0
	.end_amdhsa_kernel
	.section	.text._ZN7rocprim17ROCPRIM_400000_NS6detail17trampoline_kernelINS0_14default_configENS1_25partition_config_selectorILNS1_17partition_subalgoE9EllbEEZZNS1_14partition_implILS5_9ELb0ES3_jPlS8_PNS0_10empty_typeENS0_5tupleIJS8_S9_EEENSB_IJS8_SA_EEENS0_18inequality_wrapperIZN2at6native12_GLOBAL__N_124unique_dim_cuda_templateIN3c108BFloat16EEESt5tupleIJNSF_6TensorESM_SM_EERKSM_lbbbEUlllE0_EEPmJS9_EEE10hipError_tPvRmT3_T4_T5_T6_T7_T9_mT8_P12ihipStream_tbDpT10_ENKUlT_T0_E_clISt17integral_constantIbLb1EES1B_IbLb0EEEEDaS17_S18_EUlS17_E_NS1_11comp_targetILNS1_3genE8ELNS1_11target_archE1030ELNS1_3gpuE2ELNS1_3repE0EEENS1_30default_config_static_selectorELNS0_4arch9wavefront6targetE0EEEvT1_,"axG",@progbits,_ZN7rocprim17ROCPRIM_400000_NS6detail17trampoline_kernelINS0_14default_configENS1_25partition_config_selectorILNS1_17partition_subalgoE9EllbEEZZNS1_14partition_implILS5_9ELb0ES3_jPlS8_PNS0_10empty_typeENS0_5tupleIJS8_S9_EEENSB_IJS8_SA_EEENS0_18inequality_wrapperIZN2at6native12_GLOBAL__N_124unique_dim_cuda_templateIN3c108BFloat16EEESt5tupleIJNSF_6TensorESM_SM_EERKSM_lbbbEUlllE0_EEPmJS9_EEE10hipError_tPvRmT3_T4_T5_T6_T7_T9_mT8_P12ihipStream_tbDpT10_ENKUlT_T0_E_clISt17integral_constantIbLb1EES1B_IbLb0EEEEDaS17_S18_EUlS17_E_NS1_11comp_targetILNS1_3genE8ELNS1_11target_archE1030ELNS1_3gpuE2ELNS1_3repE0EEENS1_30default_config_static_selectorELNS0_4arch9wavefront6targetE0EEEvT1_,comdat
.Lfunc_end1228:
	.size	_ZN7rocprim17ROCPRIM_400000_NS6detail17trampoline_kernelINS0_14default_configENS1_25partition_config_selectorILNS1_17partition_subalgoE9EllbEEZZNS1_14partition_implILS5_9ELb0ES3_jPlS8_PNS0_10empty_typeENS0_5tupleIJS8_S9_EEENSB_IJS8_SA_EEENS0_18inequality_wrapperIZN2at6native12_GLOBAL__N_124unique_dim_cuda_templateIN3c108BFloat16EEESt5tupleIJNSF_6TensorESM_SM_EERKSM_lbbbEUlllE0_EEPmJS9_EEE10hipError_tPvRmT3_T4_T5_T6_T7_T9_mT8_P12ihipStream_tbDpT10_ENKUlT_T0_E_clISt17integral_constantIbLb1EES1B_IbLb0EEEEDaS17_S18_EUlS17_E_NS1_11comp_targetILNS1_3genE8ELNS1_11target_archE1030ELNS1_3gpuE2ELNS1_3repE0EEENS1_30default_config_static_selectorELNS0_4arch9wavefront6targetE0EEEvT1_, .Lfunc_end1228-_ZN7rocprim17ROCPRIM_400000_NS6detail17trampoline_kernelINS0_14default_configENS1_25partition_config_selectorILNS1_17partition_subalgoE9EllbEEZZNS1_14partition_implILS5_9ELb0ES3_jPlS8_PNS0_10empty_typeENS0_5tupleIJS8_S9_EEENSB_IJS8_SA_EEENS0_18inequality_wrapperIZN2at6native12_GLOBAL__N_124unique_dim_cuda_templateIN3c108BFloat16EEESt5tupleIJNSF_6TensorESM_SM_EERKSM_lbbbEUlllE0_EEPmJS9_EEE10hipError_tPvRmT3_T4_T5_T6_T7_T9_mT8_P12ihipStream_tbDpT10_ENKUlT_T0_E_clISt17integral_constantIbLb1EES1B_IbLb0EEEEDaS17_S18_EUlS17_E_NS1_11comp_targetILNS1_3genE8ELNS1_11target_archE1030ELNS1_3gpuE2ELNS1_3repE0EEENS1_30default_config_static_selectorELNS0_4arch9wavefront6targetE0EEEvT1_
                                        ; -- End function
	.section	.AMDGPU.csdata,"",@progbits
; Kernel info:
; codeLenInByte = 0
; NumSgprs: 0
; NumVgprs: 0
; ScratchSize: 0
; MemoryBound: 0
; FloatMode: 240
; IeeeMode: 1
; LDSByteSize: 0 bytes/workgroup (compile time only)
; SGPRBlocks: 0
; VGPRBlocks: 0
; NumSGPRsForWavesPerEU: 1
; NumVGPRsForWavesPerEU: 1
; Occupancy: 16
; WaveLimiterHint : 0
; COMPUTE_PGM_RSRC2:SCRATCH_EN: 0
; COMPUTE_PGM_RSRC2:USER_SGPR: 15
; COMPUTE_PGM_RSRC2:TRAP_HANDLER: 0
; COMPUTE_PGM_RSRC2:TGID_X_EN: 1
; COMPUTE_PGM_RSRC2:TGID_Y_EN: 0
; COMPUTE_PGM_RSRC2:TGID_Z_EN: 0
; COMPUTE_PGM_RSRC2:TIDIG_COMP_CNT: 0
	.section	.text._ZN7rocprim17ROCPRIM_400000_NS6detail17trampoline_kernelINS0_14default_configENS1_25partition_config_selectorILNS1_17partition_subalgoE9EllbEEZZNS1_14partition_implILS5_9ELb0ES3_jPlS8_PNS0_10empty_typeENS0_5tupleIJS8_S9_EEENSB_IJS8_SA_EEENS0_18inequality_wrapperIZN2at6native12_GLOBAL__N_124unique_dim_cuda_templateIN3c108BFloat16EEESt5tupleIJNSF_6TensorESM_SM_EERKSM_lbbbEUlllE0_EEPmJS9_EEE10hipError_tPvRmT3_T4_T5_T6_T7_T9_mT8_P12ihipStream_tbDpT10_ENKUlT_T0_E_clISt17integral_constantIbLb0EES1B_IbLb1EEEEDaS17_S18_EUlS17_E_NS1_11comp_targetILNS1_3genE0ELNS1_11target_archE4294967295ELNS1_3gpuE0ELNS1_3repE0EEENS1_30default_config_static_selectorELNS0_4arch9wavefront6targetE0EEEvT1_,"axG",@progbits,_ZN7rocprim17ROCPRIM_400000_NS6detail17trampoline_kernelINS0_14default_configENS1_25partition_config_selectorILNS1_17partition_subalgoE9EllbEEZZNS1_14partition_implILS5_9ELb0ES3_jPlS8_PNS0_10empty_typeENS0_5tupleIJS8_S9_EEENSB_IJS8_SA_EEENS0_18inequality_wrapperIZN2at6native12_GLOBAL__N_124unique_dim_cuda_templateIN3c108BFloat16EEESt5tupleIJNSF_6TensorESM_SM_EERKSM_lbbbEUlllE0_EEPmJS9_EEE10hipError_tPvRmT3_T4_T5_T6_T7_T9_mT8_P12ihipStream_tbDpT10_ENKUlT_T0_E_clISt17integral_constantIbLb0EES1B_IbLb1EEEEDaS17_S18_EUlS17_E_NS1_11comp_targetILNS1_3genE0ELNS1_11target_archE4294967295ELNS1_3gpuE0ELNS1_3repE0EEENS1_30default_config_static_selectorELNS0_4arch9wavefront6targetE0EEEvT1_,comdat
	.globl	_ZN7rocprim17ROCPRIM_400000_NS6detail17trampoline_kernelINS0_14default_configENS1_25partition_config_selectorILNS1_17partition_subalgoE9EllbEEZZNS1_14partition_implILS5_9ELb0ES3_jPlS8_PNS0_10empty_typeENS0_5tupleIJS8_S9_EEENSB_IJS8_SA_EEENS0_18inequality_wrapperIZN2at6native12_GLOBAL__N_124unique_dim_cuda_templateIN3c108BFloat16EEESt5tupleIJNSF_6TensorESM_SM_EERKSM_lbbbEUlllE0_EEPmJS9_EEE10hipError_tPvRmT3_T4_T5_T6_T7_T9_mT8_P12ihipStream_tbDpT10_ENKUlT_T0_E_clISt17integral_constantIbLb0EES1B_IbLb1EEEEDaS17_S18_EUlS17_E_NS1_11comp_targetILNS1_3genE0ELNS1_11target_archE4294967295ELNS1_3gpuE0ELNS1_3repE0EEENS1_30default_config_static_selectorELNS0_4arch9wavefront6targetE0EEEvT1_ ; -- Begin function _ZN7rocprim17ROCPRIM_400000_NS6detail17trampoline_kernelINS0_14default_configENS1_25partition_config_selectorILNS1_17partition_subalgoE9EllbEEZZNS1_14partition_implILS5_9ELb0ES3_jPlS8_PNS0_10empty_typeENS0_5tupleIJS8_S9_EEENSB_IJS8_SA_EEENS0_18inequality_wrapperIZN2at6native12_GLOBAL__N_124unique_dim_cuda_templateIN3c108BFloat16EEESt5tupleIJNSF_6TensorESM_SM_EERKSM_lbbbEUlllE0_EEPmJS9_EEE10hipError_tPvRmT3_T4_T5_T6_T7_T9_mT8_P12ihipStream_tbDpT10_ENKUlT_T0_E_clISt17integral_constantIbLb0EES1B_IbLb1EEEEDaS17_S18_EUlS17_E_NS1_11comp_targetILNS1_3genE0ELNS1_11target_archE4294967295ELNS1_3gpuE0ELNS1_3repE0EEENS1_30default_config_static_selectorELNS0_4arch9wavefront6targetE0EEEvT1_
	.p2align	8
	.type	_ZN7rocprim17ROCPRIM_400000_NS6detail17trampoline_kernelINS0_14default_configENS1_25partition_config_selectorILNS1_17partition_subalgoE9EllbEEZZNS1_14partition_implILS5_9ELb0ES3_jPlS8_PNS0_10empty_typeENS0_5tupleIJS8_S9_EEENSB_IJS8_SA_EEENS0_18inequality_wrapperIZN2at6native12_GLOBAL__N_124unique_dim_cuda_templateIN3c108BFloat16EEESt5tupleIJNSF_6TensorESM_SM_EERKSM_lbbbEUlllE0_EEPmJS9_EEE10hipError_tPvRmT3_T4_T5_T6_T7_T9_mT8_P12ihipStream_tbDpT10_ENKUlT_T0_E_clISt17integral_constantIbLb0EES1B_IbLb1EEEEDaS17_S18_EUlS17_E_NS1_11comp_targetILNS1_3genE0ELNS1_11target_archE4294967295ELNS1_3gpuE0ELNS1_3repE0EEENS1_30default_config_static_selectorELNS0_4arch9wavefront6targetE0EEEvT1_,@function
_ZN7rocprim17ROCPRIM_400000_NS6detail17trampoline_kernelINS0_14default_configENS1_25partition_config_selectorILNS1_17partition_subalgoE9EllbEEZZNS1_14partition_implILS5_9ELb0ES3_jPlS8_PNS0_10empty_typeENS0_5tupleIJS8_S9_EEENSB_IJS8_SA_EEENS0_18inequality_wrapperIZN2at6native12_GLOBAL__N_124unique_dim_cuda_templateIN3c108BFloat16EEESt5tupleIJNSF_6TensorESM_SM_EERKSM_lbbbEUlllE0_EEPmJS9_EEE10hipError_tPvRmT3_T4_T5_T6_T7_T9_mT8_P12ihipStream_tbDpT10_ENKUlT_T0_E_clISt17integral_constantIbLb0EES1B_IbLb1EEEEDaS17_S18_EUlS17_E_NS1_11comp_targetILNS1_3genE0ELNS1_11target_archE4294967295ELNS1_3gpuE0ELNS1_3repE0EEENS1_30default_config_static_selectorELNS0_4arch9wavefront6targetE0EEEvT1_: ; @_ZN7rocprim17ROCPRIM_400000_NS6detail17trampoline_kernelINS0_14default_configENS1_25partition_config_selectorILNS1_17partition_subalgoE9EllbEEZZNS1_14partition_implILS5_9ELb0ES3_jPlS8_PNS0_10empty_typeENS0_5tupleIJS8_S9_EEENSB_IJS8_SA_EEENS0_18inequality_wrapperIZN2at6native12_GLOBAL__N_124unique_dim_cuda_templateIN3c108BFloat16EEESt5tupleIJNSF_6TensorESM_SM_EERKSM_lbbbEUlllE0_EEPmJS9_EEE10hipError_tPvRmT3_T4_T5_T6_T7_T9_mT8_P12ihipStream_tbDpT10_ENKUlT_T0_E_clISt17integral_constantIbLb0EES1B_IbLb1EEEEDaS17_S18_EUlS17_E_NS1_11comp_targetILNS1_3genE0ELNS1_11target_archE4294967295ELNS1_3gpuE0ELNS1_3repE0EEENS1_30default_config_static_selectorELNS0_4arch9wavefront6targetE0EEEvT1_
; %bb.0:
	.section	.rodata,"a",@progbits
	.p2align	6, 0x0
	.amdhsa_kernel _ZN7rocprim17ROCPRIM_400000_NS6detail17trampoline_kernelINS0_14default_configENS1_25partition_config_selectorILNS1_17partition_subalgoE9EllbEEZZNS1_14partition_implILS5_9ELb0ES3_jPlS8_PNS0_10empty_typeENS0_5tupleIJS8_S9_EEENSB_IJS8_SA_EEENS0_18inequality_wrapperIZN2at6native12_GLOBAL__N_124unique_dim_cuda_templateIN3c108BFloat16EEESt5tupleIJNSF_6TensorESM_SM_EERKSM_lbbbEUlllE0_EEPmJS9_EEE10hipError_tPvRmT3_T4_T5_T6_T7_T9_mT8_P12ihipStream_tbDpT10_ENKUlT_T0_E_clISt17integral_constantIbLb0EES1B_IbLb1EEEEDaS17_S18_EUlS17_E_NS1_11comp_targetILNS1_3genE0ELNS1_11target_archE4294967295ELNS1_3gpuE0ELNS1_3repE0EEENS1_30default_config_static_selectorELNS0_4arch9wavefront6targetE0EEEvT1_
		.amdhsa_group_segment_fixed_size 0
		.amdhsa_private_segment_fixed_size 0
		.amdhsa_kernarg_size 136
		.amdhsa_user_sgpr_count 15
		.amdhsa_user_sgpr_dispatch_ptr 0
		.amdhsa_user_sgpr_queue_ptr 0
		.amdhsa_user_sgpr_kernarg_segment_ptr 1
		.amdhsa_user_sgpr_dispatch_id 0
		.amdhsa_user_sgpr_private_segment_size 0
		.amdhsa_wavefront_size32 1
		.amdhsa_uses_dynamic_stack 0
		.amdhsa_enable_private_segment 0
		.amdhsa_system_sgpr_workgroup_id_x 1
		.amdhsa_system_sgpr_workgroup_id_y 0
		.amdhsa_system_sgpr_workgroup_id_z 0
		.amdhsa_system_sgpr_workgroup_info 0
		.amdhsa_system_vgpr_workitem_id 0
		.amdhsa_next_free_vgpr 1
		.amdhsa_next_free_sgpr 1
		.amdhsa_reserve_vcc 0
		.amdhsa_float_round_mode_32 0
		.amdhsa_float_round_mode_16_64 0
		.amdhsa_float_denorm_mode_32 3
		.amdhsa_float_denorm_mode_16_64 3
		.amdhsa_dx10_clamp 1
		.amdhsa_ieee_mode 1
		.amdhsa_fp16_overflow 0
		.amdhsa_workgroup_processor_mode 1
		.amdhsa_memory_ordered 1
		.amdhsa_forward_progress 0
		.amdhsa_shared_vgpr_count 0
		.amdhsa_exception_fp_ieee_invalid_op 0
		.amdhsa_exception_fp_denorm_src 0
		.amdhsa_exception_fp_ieee_div_zero 0
		.amdhsa_exception_fp_ieee_overflow 0
		.amdhsa_exception_fp_ieee_underflow 0
		.amdhsa_exception_fp_ieee_inexact 0
		.amdhsa_exception_int_div_zero 0
	.end_amdhsa_kernel
	.section	.text._ZN7rocprim17ROCPRIM_400000_NS6detail17trampoline_kernelINS0_14default_configENS1_25partition_config_selectorILNS1_17partition_subalgoE9EllbEEZZNS1_14partition_implILS5_9ELb0ES3_jPlS8_PNS0_10empty_typeENS0_5tupleIJS8_S9_EEENSB_IJS8_SA_EEENS0_18inequality_wrapperIZN2at6native12_GLOBAL__N_124unique_dim_cuda_templateIN3c108BFloat16EEESt5tupleIJNSF_6TensorESM_SM_EERKSM_lbbbEUlllE0_EEPmJS9_EEE10hipError_tPvRmT3_T4_T5_T6_T7_T9_mT8_P12ihipStream_tbDpT10_ENKUlT_T0_E_clISt17integral_constantIbLb0EES1B_IbLb1EEEEDaS17_S18_EUlS17_E_NS1_11comp_targetILNS1_3genE0ELNS1_11target_archE4294967295ELNS1_3gpuE0ELNS1_3repE0EEENS1_30default_config_static_selectorELNS0_4arch9wavefront6targetE0EEEvT1_,"axG",@progbits,_ZN7rocprim17ROCPRIM_400000_NS6detail17trampoline_kernelINS0_14default_configENS1_25partition_config_selectorILNS1_17partition_subalgoE9EllbEEZZNS1_14partition_implILS5_9ELb0ES3_jPlS8_PNS0_10empty_typeENS0_5tupleIJS8_S9_EEENSB_IJS8_SA_EEENS0_18inequality_wrapperIZN2at6native12_GLOBAL__N_124unique_dim_cuda_templateIN3c108BFloat16EEESt5tupleIJNSF_6TensorESM_SM_EERKSM_lbbbEUlllE0_EEPmJS9_EEE10hipError_tPvRmT3_T4_T5_T6_T7_T9_mT8_P12ihipStream_tbDpT10_ENKUlT_T0_E_clISt17integral_constantIbLb0EES1B_IbLb1EEEEDaS17_S18_EUlS17_E_NS1_11comp_targetILNS1_3genE0ELNS1_11target_archE4294967295ELNS1_3gpuE0ELNS1_3repE0EEENS1_30default_config_static_selectorELNS0_4arch9wavefront6targetE0EEEvT1_,comdat
.Lfunc_end1229:
	.size	_ZN7rocprim17ROCPRIM_400000_NS6detail17trampoline_kernelINS0_14default_configENS1_25partition_config_selectorILNS1_17partition_subalgoE9EllbEEZZNS1_14partition_implILS5_9ELb0ES3_jPlS8_PNS0_10empty_typeENS0_5tupleIJS8_S9_EEENSB_IJS8_SA_EEENS0_18inequality_wrapperIZN2at6native12_GLOBAL__N_124unique_dim_cuda_templateIN3c108BFloat16EEESt5tupleIJNSF_6TensorESM_SM_EERKSM_lbbbEUlllE0_EEPmJS9_EEE10hipError_tPvRmT3_T4_T5_T6_T7_T9_mT8_P12ihipStream_tbDpT10_ENKUlT_T0_E_clISt17integral_constantIbLb0EES1B_IbLb1EEEEDaS17_S18_EUlS17_E_NS1_11comp_targetILNS1_3genE0ELNS1_11target_archE4294967295ELNS1_3gpuE0ELNS1_3repE0EEENS1_30default_config_static_selectorELNS0_4arch9wavefront6targetE0EEEvT1_, .Lfunc_end1229-_ZN7rocprim17ROCPRIM_400000_NS6detail17trampoline_kernelINS0_14default_configENS1_25partition_config_selectorILNS1_17partition_subalgoE9EllbEEZZNS1_14partition_implILS5_9ELb0ES3_jPlS8_PNS0_10empty_typeENS0_5tupleIJS8_S9_EEENSB_IJS8_SA_EEENS0_18inequality_wrapperIZN2at6native12_GLOBAL__N_124unique_dim_cuda_templateIN3c108BFloat16EEESt5tupleIJNSF_6TensorESM_SM_EERKSM_lbbbEUlllE0_EEPmJS9_EEE10hipError_tPvRmT3_T4_T5_T6_T7_T9_mT8_P12ihipStream_tbDpT10_ENKUlT_T0_E_clISt17integral_constantIbLb0EES1B_IbLb1EEEEDaS17_S18_EUlS17_E_NS1_11comp_targetILNS1_3genE0ELNS1_11target_archE4294967295ELNS1_3gpuE0ELNS1_3repE0EEENS1_30default_config_static_selectorELNS0_4arch9wavefront6targetE0EEEvT1_
                                        ; -- End function
	.section	.AMDGPU.csdata,"",@progbits
; Kernel info:
; codeLenInByte = 0
; NumSgprs: 0
; NumVgprs: 0
; ScratchSize: 0
; MemoryBound: 0
; FloatMode: 240
; IeeeMode: 1
; LDSByteSize: 0 bytes/workgroup (compile time only)
; SGPRBlocks: 0
; VGPRBlocks: 0
; NumSGPRsForWavesPerEU: 1
; NumVGPRsForWavesPerEU: 1
; Occupancy: 16
; WaveLimiterHint : 0
; COMPUTE_PGM_RSRC2:SCRATCH_EN: 0
; COMPUTE_PGM_RSRC2:USER_SGPR: 15
; COMPUTE_PGM_RSRC2:TRAP_HANDLER: 0
; COMPUTE_PGM_RSRC2:TGID_X_EN: 1
; COMPUTE_PGM_RSRC2:TGID_Y_EN: 0
; COMPUTE_PGM_RSRC2:TGID_Z_EN: 0
; COMPUTE_PGM_RSRC2:TIDIG_COMP_CNT: 0
	.section	.text._ZN7rocprim17ROCPRIM_400000_NS6detail17trampoline_kernelINS0_14default_configENS1_25partition_config_selectorILNS1_17partition_subalgoE9EllbEEZZNS1_14partition_implILS5_9ELb0ES3_jPlS8_PNS0_10empty_typeENS0_5tupleIJS8_S9_EEENSB_IJS8_SA_EEENS0_18inequality_wrapperIZN2at6native12_GLOBAL__N_124unique_dim_cuda_templateIN3c108BFloat16EEESt5tupleIJNSF_6TensorESM_SM_EERKSM_lbbbEUlllE0_EEPmJS9_EEE10hipError_tPvRmT3_T4_T5_T6_T7_T9_mT8_P12ihipStream_tbDpT10_ENKUlT_T0_E_clISt17integral_constantIbLb0EES1B_IbLb1EEEEDaS17_S18_EUlS17_E_NS1_11comp_targetILNS1_3genE5ELNS1_11target_archE942ELNS1_3gpuE9ELNS1_3repE0EEENS1_30default_config_static_selectorELNS0_4arch9wavefront6targetE0EEEvT1_,"axG",@progbits,_ZN7rocprim17ROCPRIM_400000_NS6detail17trampoline_kernelINS0_14default_configENS1_25partition_config_selectorILNS1_17partition_subalgoE9EllbEEZZNS1_14partition_implILS5_9ELb0ES3_jPlS8_PNS0_10empty_typeENS0_5tupleIJS8_S9_EEENSB_IJS8_SA_EEENS0_18inequality_wrapperIZN2at6native12_GLOBAL__N_124unique_dim_cuda_templateIN3c108BFloat16EEESt5tupleIJNSF_6TensorESM_SM_EERKSM_lbbbEUlllE0_EEPmJS9_EEE10hipError_tPvRmT3_T4_T5_T6_T7_T9_mT8_P12ihipStream_tbDpT10_ENKUlT_T0_E_clISt17integral_constantIbLb0EES1B_IbLb1EEEEDaS17_S18_EUlS17_E_NS1_11comp_targetILNS1_3genE5ELNS1_11target_archE942ELNS1_3gpuE9ELNS1_3repE0EEENS1_30default_config_static_selectorELNS0_4arch9wavefront6targetE0EEEvT1_,comdat
	.globl	_ZN7rocprim17ROCPRIM_400000_NS6detail17trampoline_kernelINS0_14default_configENS1_25partition_config_selectorILNS1_17partition_subalgoE9EllbEEZZNS1_14partition_implILS5_9ELb0ES3_jPlS8_PNS0_10empty_typeENS0_5tupleIJS8_S9_EEENSB_IJS8_SA_EEENS0_18inequality_wrapperIZN2at6native12_GLOBAL__N_124unique_dim_cuda_templateIN3c108BFloat16EEESt5tupleIJNSF_6TensorESM_SM_EERKSM_lbbbEUlllE0_EEPmJS9_EEE10hipError_tPvRmT3_T4_T5_T6_T7_T9_mT8_P12ihipStream_tbDpT10_ENKUlT_T0_E_clISt17integral_constantIbLb0EES1B_IbLb1EEEEDaS17_S18_EUlS17_E_NS1_11comp_targetILNS1_3genE5ELNS1_11target_archE942ELNS1_3gpuE9ELNS1_3repE0EEENS1_30default_config_static_selectorELNS0_4arch9wavefront6targetE0EEEvT1_ ; -- Begin function _ZN7rocprim17ROCPRIM_400000_NS6detail17trampoline_kernelINS0_14default_configENS1_25partition_config_selectorILNS1_17partition_subalgoE9EllbEEZZNS1_14partition_implILS5_9ELb0ES3_jPlS8_PNS0_10empty_typeENS0_5tupleIJS8_S9_EEENSB_IJS8_SA_EEENS0_18inequality_wrapperIZN2at6native12_GLOBAL__N_124unique_dim_cuda_templateIN3c108BFloat16EEESt5tupleIJNSF_6TensorESM_SM_EERKSM_lbbbEUlllE0_EEPmJS9_EEE10hipError_tPvRmT3_T4_T5_T6_T7_T9_mT8_P12ihipStream_tbDpT10_ENKUlT_T0_E_clISt17integral_constantIbLb0EES1B_IbLb1EEEEDaS17_S18_EUlS17_E_NS1_11comp_targetILNS1_3genE5ELNS1_11target_archE942ELNS1_3gpuE9ELNS1_3repE0EEENS1_30default_config_static_selectorELNS0_4arch9wavefront6targetE0EEEvT1_
	.p2align	8
	.type	_ZN7rocprim17ROCPRIM_400000_NS6detail17trampoline_kernelINS0_14default_configENS1_25partition_config_selectorILNS1_17partition_subalgoE9EllbEEZZNS1_14partition_implILS5_9ELb0ES3_jPlS8_PNS0_10empty_typeENS0_5tupleIJS8_S9_EEENSB_IJS8_SA_EEENS0_18inequality_wrapperIZN2at6native12_GLOBAL__N_124unique_dim_cuda_templateIN3c108BFloat16EEESt5tupleIJNSF_6TensorESM_SM_EERKSM_lbbbEUlllE0_EEPmJS9_EEE10hipError_tPvRmT3_T4_T5_T6_T7_T9_mT8_P12ihipStream_tbDpT10_ENKUlT_T0_E_clISt17integral_constantIbLb0EES1B_IbLb1EEEEDaS17_S18_EUlS17_E_NS1_11comp_targetILNS1_3genE5ELNS1_11target_archE942ELNS1_3gpuE9ELNS1_3repE0EEENS1_30default_config_static_selectorELNS0_4arch9wavefront6targetE0EEEvT1_,@function
_ZN7rocprim17ROCPRIM_400000_NS6detail17trampoline_kernelINS0_14default_configENS1_25partition_config_selectorILNS1_17partition_subalgoE9EllbEEZZNS1_14partition_implILS5_9ELb0ES3_jPlS8_PNS0_10empty_typeENS0_5tupleIJS8_S9_EEENSB_IJS8_SA_EEENS0_18inequality_wrapperIZN2at6native12_GLOBAL__N_124unique_dim_cuda_templateIN3c108BFloat16EEESt5tupleIJNSF_6TensorESM_SM_EERKSM_lbbbEUlllE0_EEPmJS9_EEE10hipError_tPvRmT3_T4_T5_T6_T7_T9_mT8_P12ihipStream_tbDpT10_ENKUlT_T0_E_clISt17integral_constantIbLb0EES1B_IbLb1EEEEDaS17_S18_EUlS17_E_NS1_11comp_targetILNS1_3genE5ELNS1_11target_archE942ELNS1_3gpuE9ELNS1_3repE0EEENS1_30default_config_static_selectorELNS0_4arch9wavefront6targetE0EEEvT1_: ; @_ZN7rocprim17ROCPRIM_400000_NS6detail17trampoline_kernelINS0_14default_configENS1_25partition_config_selectorILNS1_17partition_subalgoE9EllbEEZZNS1_14partition_implILS5_9ELb0ES3_jPlS8_PNS0_10empty_typeENS0_5tupleIJS8_S9_EEENSB_IJS8_SA_EEENS0_18inequality_wrapperIZN2at6native12_GLOBAL__N_124unique_dim_cuda_templateIN3c108BFloat16EEESt5tupleIJNSF_6TensorESM_SM_EERKSM_lbbbEUlllE0_EEPmJS9_EEE10hipError_tPvRmT3_T4_T5_T6_T7_T9_mT8_P12ihipStream_tbDpT10_ENKUlT_T0_E_clISt17integral_constantIbLb0EES1B_IbLb1EEEEDaS17_S18_EUlS17_E_NS1_11comp_targetILNS1_3genE5ELNS1_11target_archE942ELNS1_3gpuE9ELNS1_3repE0EEENS1_30default_config_static_selectorELNS0_4arch9wavefront6targetE0EEEvT1_
; %bb.0:
	.section	.rodata,"a",@progbits
	.p2align	6, 0x0
	.amdhsa_kernel _ZN7rocprim17ROCPRIM_400000_NS6detail17trampoline_kernelINS0_14default_configENS1_25partition_config_selectorILNS1_17partition_subalgoE9EllbEEZZNS1_14partition_implILS5_9ELb0ES3_jPlS8_PNS0_10empty_typeENS0_5tupleIJS8_S9_EEENSB_IJS8_SA_EEENS0_18inequality_wrapperIZN2at6native12_GLOBAL__N_124unique_dim_cuda_templateIN3c108BFloat16EEESt5tupleIJNSF_6TensorESM_SM_EERKSM_lbbbEUlllE0_EEPmJS9_EEE10hipError_tPvRmT3_T4_T5_T6_T7_T9_mT8_P12ihipStream_tbDpT10_ENKUlT_T0_E_clISt17integral_constantIbLb0EES1B_IbLb1EEEEDaS17_S18_EUlS17_E_NS1_11comp_targetILNS1_3genE5ELNS1_11target_archE942ELNS1_3gpuE9ELNS1_3repE0EEENS1_30default_config_static_selectorELNS0_4arch9wavefront6targetE0EEEvT1_
		.amdhsa_group_segment_fixed_size 0
		.amdhsa_private_segment_fixed_size 0
		.amdhsa_kernarg_size 136
		.amdhsa_user_sgpr_count 15
		.amdhsa_user_sgpr_dispatch_ptr 0
		.amdhsa_user_sgpr_queue_ptr 0
		.amdhsa_user_sgpr_kernarg_segment_ptr 1
		.amdhsa_user_sgpr_dispatch_id 0
		.amdhsa_user_sgpr_private_segment_size 0
		.amdhsa_wavefront_size32 1
		.amdhsa_uses_dynamic_stack 0
		.amdhsa_enable_private_segment 0
		.amdhsa_system_sgpr_workgroup_id_x 1
		.amdhsa_system_sgpr_workgroup_id_y 0
		.amdhsa_system_sgpr_workgroup_id_z 0
		.amdhsa_system_sgpr_workgroup_info 0
		.amdhsa_system_vgpr_workitem_id 0
		.amdhsa_next_free_vgpr 1
		.amdhsa_next_free_sgpr 1
		.amdhsa_reserve_vcc 0
		.amdhsa_float_round_mode_32 0
		.amdhsa_float_round_mode_16_64 0
		.amdhsa_float_denorm_mode_32 3
		.amdhsa_float_denorm_mode_16_64 3
		.amdhsa_dx10_clamp 1
		.amdhsa_ieee_mode 1
		.amdhsa_fp16_overflow 0
		.amdhsa_workgroup_processor_mode 1
		.amdhsa_memory_ordered 1
		.amdhsa_forward_progress 0
		.amdhsa_shared_vgpr_count 0
		.amdhsa_exception_fp_ieee_invalid_op 0
		.amdhsa_exception_fp_denorm_src 0
		.amdhsa_exception_fp_ieee_div_zero 0
		.amdhsa_exception_fp_ieee_overflow 0
		.amdhsa_exception_fp_ieee_underflow 0
		.amdhsa_exception_fp_ieee_inexact 0
		.amdhsa_exception_int_div_zero 0
	.end_amdhsa_kernel
	.section	.text._ZN7rocprim17ROCPRIM_400000_NS6detail17trampoline_kernelINS0_14default_configENS1_25partition_config_selectorILNS1_17partition_subalgoE9EllbEEZZNS1_14partition_implILS5_9ELb0ES3_jPlS8_PNS0_10empty_typeENS0_5tupleIJS8_S9_EEENSB_IJS8_SA_EEENS0_18inequality_wrapperIZN2at6native12_GLOBAL__N_124unique_dim_cuda_templateIN3c108BFloat16EEESt5tupleIJNSF_6TensorESM_SM_EERKSM_lbbbEUlllE0_EEPmJS9_EEE10hipError_tPvRmT3_T4_T5_T6_T7_T9_mT8_P12ihipStream_tbDpT10_ENKUlT_T0_E_clISt17integral_constantIbLb0EES1B_IbLb1EEEEDaS17_S18_EUlS17_E_NS1_11comp_targetILNS1_3genE5ELNS1_11target_archE942ELNS1_3gpuE9ELNS1_3repE0EEENS1_30default_config_static_selectorELNS0_4arch9wavefront6targetE0EEEvT1_,"axG",@progbits,_ZN7rocprim17ROCPRIM_400000_NS6detail17trampoline_kernelINS0_14default_configENS1_25partition_config_selectorILNS1_17partition_subalgoE9EllbEEZZNS1_14partition_implILS5_9ELb0ES3_jPlS8_PNS0_10empty_typeENS0_5tupleIJS8_S9_EEENSB_IJS8_SA_EEENS0_18inequality_wrapperIZN2at6native12_GLOBAL__N_124unique_dim_cuda_templateIN3c108BFloat16EEESt5tupleIJNSF_6TensorESM_SM_EERKSM_lbbbEUlllE0_EEPmJS9_EEE10hipError_tPvRmT3_T4_T5_T6_T7_T9_mT8_P12ihipStream_tbDpT10_ENKUlT_T0_E_clISt17integral_constantIbLb0EES1B_IbLb1EEEEDaS17_S18_EUlS17_E_NS1_11comp_targetILNS1_3genE5ELNS1_11target_archE942ELNS1_3gpuE9ELNS1_3repE0EEENS1_30default_config_static_selectorELNS0_4arch9wavefront6targetE0EEEvT1_,comdat
.Lfunc_end1230:
	.size	_ZN7rocprim17ROCPRIM_400000_NS6detail17trampoline_kernelINS0_14default_configENS1_25partition_config_selectorILNS1_17partition_subalgoE9EllbEEZZNS1_14partition_implILS5_9ELb0ES3_jPlS8_PNS0_10empty_typeENS0_5tupleIJS8_S9_EEENSB_IJS8_SA_EEENS0_18inequality_wrapperIZN2at6native12_GLOBAL__N_124unique_dim_cuda_templateIN3c108BFloat16EEESt5tupleIJNSF_6TensorESM_SM_EERKSM_lbbbEUlllE0_EEPmJS9_EEE10hipError_tPvRmT3_T4_T5_T6_T7_T9_mT8_P12ihipStream_tbDpT10_ENKUlT_T0_E_clISt17integral_constantIbLb0EES1B_IbLb1EEEEDaS17_S18_EUlS17_E_NS1_11comp_targetILNS1_3genE5ELNS1_11target_archE942ELNS1_3gpuE9ELNS1_3repE0EEENS1_30default_config_static_selectorELNS0_4arch9wavefront6targetE0EEEvT1_, .Lfunc_end1230-_ZN7rocprim17ROCPRIM_400000_NS6detail17trampoline_kernelINS0_14default_configENS1_25partition_config_selectorILNS1_17partition_subalgoE9EllbEEZZNS1_14partition_implILS5_9ELb0ES3_jPlS8_PNS0_10empty_typeENS0_5tupleIJS8_S9_EEENSB_IJS8_SA_EEENS0_18inequality_wrapperIZN2at6native12_GLOBAL__N_124unique_dim_cuda_templateIN3c108BFloat16EEESt5tupleIJNSF_6TensorESM_SM_EERKSM_lbbbEUlllE0_EEPmJS9_EEE10hipError_tPvRmT3_T4_T5_T6_T7_T9_mT8_P12ihipStream_tbDpT10_ENKUlT_T0_E_clISt17integral_constantIbLb0EES1B_IbLb1EEEEDaS17_S18_EUlS17_E_NS1_11comp_targetILNS1_3genE5ELNS1_11target_archE942ELNS1_3gpuE9ELNS1_3repE0EEENS1_30default_config_static_selectorELNS0_4arch9wavefront6targetE0EEEvT1_
                                        ; -- End function
	.section	.AMDGPU.csdata,"",@progbits
; Kernel info:
; codeLenInByte = 0
; NumSgprs: 0
; NumVgprs: 0
; ScratchSize: 0
; MemoryBound: 0
; FloatMode: 240
; IeeeMode: 1
; LDSByteSize: 0 bytes/workgroup (compile time only)
; SGPRBlocks: 0
; VGPRBlocks: 0
; NumSGPRsForWavesPerEU: 1
; NumVGPRsForWavesPerEU: 1
; Occupancy: 16
; WaveLimiterHint : 0
; COMPUTE_PGM_RSRC2:SCRATCH_EN: 0
; COMPUTE_PGM_RSRC2:USER_SGPR: 15
; COMPUTE_PGM_RSRC2:TRAP_HANDLER: 0
; COMPUTE_PGM_RSRC2:TGID_X_EN: 1
; COMPUTE_PGM_RSRC2:TGID_Y_EN: 0
; COMPUTE_PGM_RSRC2:TGID_Z_EN: 0
; COMPUTE_PGM_RSRC2:TIDIG_COMP_CNT: 0
	.section	.text._ZN7rocprim17ROCPRIM_400000_NS6detail17trampoline_kernelINS0_14default_configENS1_25partition_config_selectorILNS1_17partition_subalgoE9EllbEEZZNS1_14partition_implILS5_9ELb0ES3_jPlS8_PNS0_10empty_typeENS0_5tupleIJS8_S9_EEENSB_IJS8_SA_EEENS0_18inequality_wrapperIZN2at6native12_GLOBAL__N_124unique_dim_cuda_templateIN3c108BFloat16EEESt5tupleIJNSF_6TensorESM_SM_EERKSM_lbbbEUlllE0_EEPmJS9_EEE10hipError_tPvRmT3_T4_T5_T6_T7_T9_mT8_P12ihipStream_tbDpT10_ENKUlT_T0_E_clISt17integral_constantIbLb0EES1B_IbLb1EEEEDaS17_S18_EUlS17_E_NS1_11comp_targetILNS1_3genE4ELNS1_11target_archE910ELNS1_3gpuE8ELNS1_3repE0EEENS1_30default_config_static_selectorELNS0_4arch9wavefront6targetE0EEEvT1_,"axG",@progbits,_ZN7rocprim17ROCPRIM_400000_NS6detail17trampoline_kernelINS0_14default_configENS1_25partition_config_selectorILNS1_17partition_subalgoE9EllbEEZZNS1_14partition_implILS5_9ELb0ES3_jPlS8_PNS0_10empty_typeENS0_5tupleIJS8_S9_EEENSB_IJS8_SA_EEENS0_18inequality_wrapperIZN2at6native12_GLOBAL__N_124unique_dim_cuda_templateIN3c108BFloat16EEESt5tupleIJNSF_6TensorESM_SM_EERKSM_lbbbEUlllE0_EEPmJS9_EEE10hipError_tPvRmT3_T4_T5_T6_T7_T9_mT8_P12ihipStream_tbDpT10_ENKUlT_T0_E_clISt17integral_constantIbLb0EES1B_IbLb1EEEEDaS17_S18_EUlS17_E_NS1_11comp_targetILNS1_3genE4ELNS1_11target_archE910ELNS1_3gpuE8ELNS1_3repE0EEENS1_30default_config_static_selectorELNS0_4arch9wavefront6targetE0EEEvT1_,comdat
	.globl	_ZN7rocprim17ROCPRIM_400000_NS6detail17trampoline_kernelINS0_14default_configENS1_25partition_config_selectorILNS1_17partition_subalgoE9EllbEEZZNS1_14partition_implILS5_9ELb0ES3_jPlS8_PNS0_10empty_typeENS0_5tupleIJS8_S9_EEENSB_IJS8_SA_EEENS0_18inequality_wrapperIZN2at6native12_GLOBAL__N_124unique_dim_cuda_templateIN3c108BFloat16EEESt5tupleIJNSF_6TensorESM_SM_EERKSM_lbbbEUlllE0_EEPmJS9_EEE10hipError_tPvRmT3_T4_T5_T6_T7_T9_mT8_P12ihipStream_tbDpT10_ENKUlT_T0_E_clISt17integral_constantIbLb0EES1B_IbLb1EEEEDaS17_S18_EUlS17_E_NS1_11comp_targetILNS1_3genE4ELNS1_11target_archE910ELNS1_3gpuE8ELNS1_3repE0EEENS1_30default_config_static_selectorELNS0_4arch9wavefront6targetE0EEEvT1_ ; -- Begin function _ZN7rocprim17ROCPRIM_400000_NS6detail17trampoline_kernelINS0_14default_configENS1_25partition_config_selectorILNS1_17partition_subalgoE9EllbEEZZNS1_14partition_implILS5_9ELb0ES3_jPlS8_PNS0_10empty_typeENS0_5tupleIJS8_S9_EEENSB_IJS8_SA_EEENS0_18inequality_wrapperIZN2at6native12_GLOBAL__N_124unique_dim_cuda_templateIN3c108BFloat16EEESt5tupleIJNSF_6TensorESM_SM_EERKSM_lbbbEUlllE0_EEPmJS9_EEE10hipError_tPvRmT3_T4_T5_T6_T7_T9_mT8_P12ihipStream_tbDpT10_ENKUlT_T0_E_clISt17integral_constantIbLb0EES1B_IbLb1EEEEDaS17_S18_EUlS17_E_NS1_11comp_targetILNS1_3genE4ELNS1_11target_archE910ELNS1_3gpuE8ELNS1_3repE0EEENS1_30default_config_static_selectorELNS0_4arch9wavefront6targetE0EEEvT1_
	.p2align	8
	.type	_ZN7rocprim17ROCPRIM_400000_NS6detail17trampoline_kernelINS0_14default_configENS1_25partition_config_selectorILNS1_17partition_subalgoE9EllbEEZZNS1_14partition_implILS5_9ELb0ES3_jPlS8_PNS0_10empty_typeENS0_5tupleIJS8_S9_EEENSB_IJS8_SA_EEENS0_18inequality_wrapperIZN2at6native12_GLOBAL__N_124unique_dim_cuda_templateIN3c108BFloat16EEESt5tupleIJNSF_6TensorESM_SM_EERKSM_lbbbEUlllE0_EEPmJS9_EEE10hipError_tPvRmT3_T4_T5_T6_T7_T9_mT8_P12ihipStream_tbDpT10_ENKUlT_T0_E_clISt17integral_constantIbLb0EES1B_IbLb1EEEEDaS17_S18_EUlS17_E_NS1_11comp_targetILNS1_3genE4ELNS1_11target_archE910ELNS1_3gpuE8ELNS1_3repE0EEENS1_30default_config_static_selectorELNS0_4arch9wavefront6targetE0EEEvT1_,@function
_ZN7rocprim17ROCPRIM_400000_NS6detail17trampoline_kernelINS0_14default_configENS1_25partition_config_selectorILNS1_17partition_subalgoE9EllbEEZZNS1_14partition_implILS5_9ELb0ES3_jPlS8_PNS0_10empty_typeENS0_5tupleIJS8_S9_EEENSB_IJS8_SA_EEENS0_18inequality_wrapperIZN2at6native12_GLOBAL__N_124unique_dim_cuda_templateIN3c108BFloat16EEESt5tupleIJNSF_6TensorESM_SM_EERKSM_lbbbEUlllE0_EEPmJS9_EEE10hipError_tPvRmT3_T4_T5_T6_T7_T9_mT8_P12ihipStream_tbDpT10_ENKUlT_T0_E_clISt17integral_constantIbLb0EES1B_IbLb1EEEEDaS17_S18_EUlS17_E_NS1_11comp_targetILNS1_3genE4ELNS1_11target_archE910ELNS1_3gpuE8ELNS1_3repE0EEENS1_30default_config_static_selectorELNS0_4arch9wavefront6targetE0EEEvT1_: ; @_ZN7rocprim17ROCPRIM_400000_NS6detail17trampoline_kernelINS0_14default_configENS1_25partition_config_selectorILNS1_17partition_subalgoE9EllbEEZZNS1_14partition_implILS5_9ELb0ES3_jPlS8_PNS0_10empty_typeENS0_5tupleIJS8_S9_EEENSB_IJS8_SA_EEENS0_18inequality_wrapperIZN2at6native12_GLOBAL__N_124unique_dim_cuda_templateIN3c108BFloat16EEESt5tupleIJNSF_6TensorESM_SM_EERKSM_lbbbEUlllE0_EEPmJS9_EEE10hipError_tPvRmT3_T4_T5_T6_T7_T9_mT8_P12ihipStream_tbDpT10_ENKUlT_T0_E_clISt17integral_constantIbLb0EES1B_IbLb1EEEEDaS17_S18_EUlS17_E_NS1_11comp_targetILNS1_3genE4ELNS1_11target_archE910ELNS1_3gpuE8ELNS1_3repE0EEENS1_30default_config_static_selectorELNS0_4arch9wavefront6targetE0EEEvT1_
; %bb.0:
	.section	.rodata,"a",@progbits
	.p2align	6, 0x0
	.amdhsa_kernel _ZN7rocprim17ROCPRIM_400000_NS6detail17trampoline_kernelINS0_14default_configENS1_25partition_config_selectorILNS1_17partition_subalgoE9EllbEEZZNS1_14partition_implILS5_9ELb0ES3_jPlS8_PNS0_10empty_typeENS0_5tupleIJS8_S9_EEENSB_IJS8_SA_EEENS0_18inequality_wrapperIZN2at6native12_GLOBAL__N_124unique_dim_cuda_templateIN3c108BFloat16EEESt5tupleIJNSF_6TensorESM_SM_EERKSM_lbbbEUlllE0_EEPmJS9_EEE10hipError_tPvRmT3_T4_T5_T6_T7_T9_mT8_P12ihipStream_tbDpT10_ENKUlT_T0_E_clISt17integral_constantIbLb0EES1B_IbLb1EEEEDaS17_S18_EUlS17_E_NS1_11comp_targetILNS1_3genE4ELNS1_11target_archE910ELNS1_3gpuE8ELNS1_3repE0EEENS1_30default_config_static_selectorELNS0_4arch9wavefront6targetE0EEEvT1_
		.amdhsa_group_segment_fixed_size 0
		.amdhsa_private_segment_fixed_size 0
		.amdhsa_kernarg_size 136
		.amdhsa_user_sgpr_count 15
		.amdhsa_user_sgpr_dispatch_ptr 0
		.amdhsa_user_sgpr_queue_ptr 0
		.amdhsa_user_sgpr_kernarg_segment_ptr 1
		.amdhsa_user_sgpr_dispatch_id 0
		.amdhsa_user_sgpr_private_segment_size 0
		.amdhsa_wavefront_size32 1
		.amdhsa_uses_dynamic_stack 0
		.amdhsa_enable_private_segment 0
		.amdhsa_system_sgpr_workgroup_id_x 1
		.amdhsa_system_sgpr_workgroup_id_y 0
		.amdhsa_system_sgpr_workgroup_id_z 0
		.amdhsa_system_sgpr_workgroup_info 0
		.amdhsa_system_vgpr_workitem_id 0
		.amdhsa_next_free_vgpr 1
		.amdhsa_next_free_sgpr 1
		.amdhsa_reserve_vcc 0
		.amdhsa_float_round_mode_32 0
		.amdhsa_float_round_mode_16_64 0
		.amdhsa_float_denorm_mode_32 3
		.amdhsa_float_denorm_mode_16_64 3
		.amdhsa_dx10_clamp 1
		.amdhsa_ieee_mode 1
		.amdhsa_fp16_overflow 0
		.amdhsa_workgroup_processor_mode 1
		.amdhsa_memory_ordered 1
		.amdhsa_forward_progress 0
		.amdhsa_shared_vgpr_count 0
		.amdhsa_exception_fp_ieee_invalid_op 0
		.amdhsa_exception_fp_denorm_src 0
		.amdhsa_exception_fp_ieee_div_zero 0
		.amdhsa_exception_fp_ieee_overflow 0
		.amdhsa_exception_fp_ieee_underflow 0
		.amdhsa_exception_fp_ieee_inexact 0
		.amdhsa_exception_int_div_zero 0
	.end_amdhsa_kernel
	.section	.text._ZN7rocprim17ROCPRIM_400000_NS6detail17trampoline_kernelINS0_14default_configENS1_25partition_config_selectorILNS1_17partition_subalgoE9EllbEEZZNS1_14partition_implILS5_9ELb0ES3_jPlS8_PNS0_10empty_typeENS0_5tupleIJS8_S9_EEENSB_IJS8_SA_EEENS0_18inequality_wrapperIZN2at6native12_GLOBAL__N_124unique_dim_cuda_templateIN3c108BFloat16EEESt5tupleIJNSF_6TensorESM_SM_EERKSM_lbbbEUlllE0_EEPmJS9_EEE10hipError_tPvRmT3_T4_T5_T6_T7_T9_mT8_P12ihipStream_tbDpT10_ENKUlT_T0_E_clISt17integral_constantIbLb0EES1B_IbLb1EEEEDaS17_S18_EUlS17_E_NS1_11comp_targetILNS1_3genE4ELNS1_11target_archE910ELNS1_3gpuE8ELNS1_3repE0EEENS1_30default_config_static_selectorELNS0_4arch9wavefront6targetE0EEEvT1_,"axG",@progbits,_ZN7rocprim17ROCPRIM_400000_NS6detail17trampoline_kernelINS0_14default_configENS1_25partition_config_selectorILNS1_17partition_subalgoE9EllbEEZZNS1_14partition_implILS5_9ELb0ES3_jPlS8_PNS0_10empty_typeENS0_5tupleIJS8_S9_EEENSB_IJS8_SA_EEENS0_18inequality_wrapperIZN2at6native12_GLOBAL__N_124unique_dim_cuda_templateIN3c108BFloat16EEESt5tupleIJNSF_6TensorESM_SM_EERKSM_lbbbEUlllE0_EEPmJS9_EEE10hipError_tPvRmT3_T4_T5_T6_T7_T9_mT8_P12ihipStream_tbDpT10_ENKUlT_T0_E_clISt17integral_constantIbLb0EES1B_IbLb1EEEEDaS17_S18_EUlS17_E_NS1_11comp_targetILNS1_3genE4ELNS1_11target_archE910ELNS1_3gpuE8ELNS1_3repE0EEENS1_30default_config_static_selectorELNS0_4arch9wavefront6targetE0EEEvT1_,comdat
.Lfunc_end1231:
	.size	_ZN7rocprim17ROCPRIM_400000_NS6detail17trampoline_kernelINS0_14default_configENS1_25partition_config_selectorILNS1_17partition_subalgoE9EllbEEZZNS1_14partition_implILS5_9ELb0ES3_jPlS8_PNS0_10empty_typeENS0_5tupleIJS8_S9_EEENSB_IJS8_SA_EEENS0_18inequality_wrapperIZN2at6native12_GLOBAL__N_124unique_dim_cuda_templateIN3c108BFloat16EEESt5tupleIJNSF_6TensorESM_SM_EERKSM_lbbbEUlllE0_EEPmJS9_EEE10hipError_tPvRmT3_T4_T5_T6_T7_T9_mT8_P12ihipStream_tbDpT10_ENKUlT_T0_E_clISt17integral_constantIbLb0EES1B_IbLb1EEEEDaS17_S18_EUlS17_E_NS1_11comp_targetILNS1_3genE4ELNS1_11target_archE910ELNS1_3gpuE8ELNS1_3repE0EEENS1_30default_config_static_selectorELNS0_4arch9wavefront6targetE0EEEvT1_, .Lfunc_end1231-_ZN7rocprim17ROCPRIM_400000_NS6detail17trampoline_kernelINS0_14default_configENS1_25partition_config_selectorILNS1_17partition_subalgoE9EllbEEZZNS1_14partition_implILS5_9ELb0ES3_jPlS8_PNS0_10empty_typeENS0_5tupleIJS8_S9_EEENSB_IJS8_SA_EEENS0_18inequality_wrapperIZN2at6native12_GLOBAL__N_124unique_dim_cuda_templateIN3c108BFloat16EEESt5tupleIJNSF_6TensorESM_SM_EERKSM_lbbbEUlllE0_EEPmJS9_EEE10hipError_tPvRmT3_T4_T5_T6_T7_T9_mT8_P12ihipStream_tbDpT10_ENKUlT_T0_E_clISt17integral_constantIbLb0EES1B_IbLb1EEEEDaS17_S18_EUlS17_E_NS1_11comp_targetILNS1_3genE4ELNS1_11target_archE910ELNS1_3gpuE8ELNS1_3repE0EEENS1_30default_config_static_selectorELNS0_4arch9wavefront6targetE0EEEvT1_
                                        ; -- End function
	.section	.AMDGPU.csdata,"",@progbits
; Kernel info:
; codeLenInByte = 0
; NumSgprs: 0
; NumVgprs: 0
; ScratchSize: 0
; MemoryBound: 0
; FloatMode: 240
; IeeeMode: 1
; LDSByteSize: 0 bytes/workgroup (compile time only)
; SGPRBlocks: 0
; VGPRBlocks: 0
; NumSGPRsForWavesPerEU: 1
; NumVGPRsForWavesPerEU: 1
; Occupancy: 16
; WaveLimiterHint : 0
; COMPUTE_PGM_RSRC2:SCRATCH_EN: 0
; COMPUTE_PGM_RSRC2:USER_SGPR: 15
; COMPUTE_PGM_RSRC2:TRAP_HANDLER: 0
; COMPUTE_PGM_RSRC2:TGID_X_EN: 1
; COMPUTE_PGM_RSRC2:TGID_Y_EN: 0
; COMPUTE_PGM_RSRC2:TGID_Z_EN: 0
; COMPUTE_PGM_RSRC2:TIDIG_COMP_CNT: 0
	.section	.text._ZN7rocprim17ROCPRIM_400000_NS6detail17trampoline_kernelINS0_14default_configENS1_25partition_config_selectorILNS1_17partition_subalgoE9EllbEEZZNS1_14partition_implILS5_9ELb0ES3_jPlS8_PNS0_10empty_typeENS0_5tupleIJS8_S9_EEENSB_IJS8_SA_EEENS0_18inequality_wrapperIZN2at6native12_GLOBAL__N_124unique_dim_cuda_templateIN3c108BFloat16EEESt5tupleIJNSF_6TensorESM_SM_EERKSM_lbbbEUlllE0_EEPmJS9_EEE10hipError_tPvRmT3_T4_T5_T6_T7_T9_mT8_P12ihipStream_tbDpT10_ENKUlT_T0_E_clISt17integral_constantIbLb0EES1B_IbLb1EEEEDaS17_S18_EUlS17_E_NS1_11comp_targetILNS1_3genE3ELNS1_11target_archE908ELNS1_3gpuE7ELNS1_3repE0EEENS1_30default_config_static_selectorELNS0_4arch9wavefront6targetE0EEEvT1_,"axG",@progbits,_ZN7rocprim17ROCPRIM_400000_NS6detail17trampoline_kernelINS0_14default_configENS1_25partition_config_selectorILNS1_17partition_subalgoE9EllbEEZZNS1_14partition_implILS5_9ELb0ES3_jPlS8_PNS0_10empty_typeENS0_5tupleIJS8_S9_EEENSB_IJS8_SA_EEENS0_18inequality_wrapperIZN2at6native12_GLOBAL__N_124unique_dim_cuda_templateIN3c108BFloat16EEESt5tupleIJNSF_6TensorESM_SM_EERKSM_lbbbEUlllE0_EEPmJS9_EEE10hipError_tPvRmT3_T4_T5_T6_T7_T9_mT8_P12ihipStream_tbDpT10_ENKUlT_T0_E_clISt17integral_constantIbLb0EES1B_IbLb1EEEEDaS17_S18_EUlS17_E_NS1_11comp_targetILNS1_3genE3ELNS1_11target_archE908ELNS1_3gpuE7ELNS1_3repE0EEENS1_30default_config_static_selectorELNS0_4arch9wavefront6targetE0EEEvT1_,comdat
	.globl	_ZN7rocprim17ROCPRIM_400000_NS6detail17trampoline_kernelINS0_14default_configENS1_25partition_config_selectorILNS1_17partition_subalgoE9EllbEEZZNS1_14partition_implILS5_9ELb0ES3_jPlS8_PNS0_10empty_typeENS0_5tupleIJS8_S9_EEENSB_IJS8_SA_EEENS0_18inequality_wrapperIZN2at6native12_GLOBAL__N_124unique_dim_cuda_templateIN3c108BFloat16EEESt5tupleIJNSF_6TensorESM_SM_EERKSM_lbbbEUlllE0_EEPmJS9_EEE10hipError_tPvRmT3_T4_T5_T6_T7_T9_mT8_P12ihipStream_tbDpT10_ENKUlT_T0_E_clISt17integral_constantIbLb0EES1B_IbLb1EEEEDaS17_S18_EUlS17_E_NS1_11comp_targetILNS1_3genE3ELNS1_11target_archE908ELNS1_3gpuE7ELNS1_3repE0EEENS1_30default_config_static_selectorELNS0_4arch9wavefront6targetE0EEEvT1_ ; -- Begin function _ZN7rocprim17ROCPRIM_400000_NS6detail17trampoline_kernelINS0_14default_configENS1_25partition_config_selectorILNS1_17partition_subalgoE9EllbEEZZNS1_14partition_implILS5_9ELb0ES3_jPlS8_PNS0_10empty_typeENS0_5tupleIJS8_S9_EEENSB_IJS8_SA_EEENS0_18inequality_wrapperIZN2at6native12_GLOBAL__N_124unique_dim_cuda_templateIN3c108BFloat16EEESt5tupleIJNSF_6TensorESM_SM_EERKSM_lbbbEUlllE0_EEPmJS9_EEE10hipError_tPvRmT3_T4_T5_T6_T7_T9_mT8_P12ihipStream_tbDpT10_ENKUlT_T0_E_clISt17integral_constantIbLb0EES1B_IbLb1EEEEDaS17_S18_EUlS17_E_NS1_11comp_targetILNS1_3genE3ELNS1_11target_archE908ELNS1_3gpuE7ELNS1_3repE0EEENS1_30default_config_static_selectorELNS0_4arch9wavefront6targetE0EEEvT1_
	.p2align	8
	.type	_ZN7rocprim17ROCPRIM_400000_NS6detail17trampoline_kernelINS0_14default_configENS1_25partition_config_selectorILNS1_17partition_subalgoE9EllbEEZZNS1_14partition_implILS5_9ELb0ES3_jPlS8_PNS0_10empty_typeENS0_5tupleIJS8_S9_EEENSB_IJS8_SA_EEENS0_18inequality_wrapperIZN2at6native12_GLOBAL__N_124unique_dim_cuda_templateIN3c108BFloat16EEESt5tupleIJNSF_6TensorESM_SM_EERKSM_lbbbEUlllE0_EEPmJS9_EEE10hipError_tPvRmT3_T4_T5_T6_T7_T9_mT8_P12ihipStream_tbDpT10_ENKUlT_T0_E_clISt17integral_constantIbLb0EES1B_IbLb1EEEEDaS17_S18_EUlS17_E_NS1_11comp_targetILNS1_3genE3ELNS1_11target_archE908ELNS1_3gpuE7ELNS1_3repE0EEENS1_30default_config_static_selectorELNS0_4arch9wavefront6targetE0EEEvT1_,@function
_ZN7rocprim17ROCPRIM_400000_NS6detail17trampoline_kernelINS0_14default_configENS1_25partition_config_selectorILNS1_17partition_subalgoE9EllbEEZZNS1_14partition_implILS5_9ELb0ES3_jPlS8_PNS0_10empty_typeENS0_5tupleIJS8_S9_EEENSB_IJS8_SA_EEENS0_18inequality_wrapperIZN2at6native12_GLOBAL__N_124unique_dim_cuda_templateIN3c108BFloat16EEESt5tupleIJNSF_6TensorESM_SM_EERKSM_lbbbEUlllE0_EEPmJS9_EEE10hipError_tPvRmT3_T4_T5_T6_T7_T9_mT8_P12ihipStream_tbDpT10_ENKUlT_T0_E_clISt17integral_constantIbLb0EES1B_IbLb1EEEEDaS17_S18_EUlS17_E_NS1_11comp_targetILNS1_3genE3ELNS1_11target_archE908ELNS1_3gpuE7ELNS1_3repE0EEENS1_30default_config_static_selectorELNS0_4arch9wavefront6targetE0EEEvT1_: ; @_ZN7rocprim17ROCPRIM_400000_NS6detail17trampoline_kernelINS0_14default_configENS1_25partition_config_selectorILNS1_17partition_subalgoE9EllbEEZZNS1_14partition_implILS5_9ELb0ES3_jPlS8_PNS0_10empty_typeENS0_5tupleIJS8_S9_EEENSB_IJS8_SA_EEENS0_18inequality_wrapperIZN2at6native12_GLOBAL__N_124unique_dim_cuda_templateIN3c108BFloat16EEESt5tupleIJNSF_6TensorESM_SM_EERKSM_lbbbEUlllE0_EEPmJS9_EEE10hipError_tPvRmT3_T4_T5_T6_T7_T9_mT8_P12ihipStream_tbDpT10_ENKUlT_T0_E_clISt17integral_constantIbLb0EES1B_IbLb1EEEEDaS17_S18_EUlS17_E_NS1_11comp_targetILNS1_3genE3ELNS1_11target_archE908ELNS1_3gpuE7ELNS1_3repE0EEENS1_30default_config_static_selectorELNS0_4arch9wavefront6targetE0EEEvT1_
; %bb.0:
	.section	.rodata,"a",@progbits
	.p2align	6, 0x0
	.amdhsa_kernel _ZN7rocprim17ROCPRIM_400000_NS6detail17trampoline_kernelINS0_14default_configENS1_25partition_config_selectorILNS1_17partition_subalgoE9EllbEEZZNS1_14partition_implILS5_9ELb0ES3_jPlS8_PNS0_10empty_typeENS0_5tupleIJS8_S9_EEENSB_IJS8_SA_EEENS0_18inequality_wrapperIZN2at6native12_GLOBAL__N_124unique_dim_cuda_templateIN3c108BFloat16EEESt5tupleIJNSF_6TensorESM_SM_EERKSM_lbbbEUlllE0_EEPmJS9_EEE10hipError_tPvRmT3_T4_T5_T6_T7_T9_mT8_P12ihipStream_tbDpT10_ENKUlT_T0_E_clISt17integral_constantIbLb0EES1B_IbLb1EEEEDaS17_S18_EUlS17_E_NS1_11comp_targetILNS1_3genE3ELNS1_11target_archE908ELNS1_3gpuE7ELNS1_3repE0EEENS1_30default_config_static_selectorELNS0_4arch9wavefront6targetE0EEEvT1_
		.amdhsa_group_segment_fixed_size 0
		.amdhsa_private_segment_fixed_size 0
		.amdhsa_kernarg_size 136
		.amdhsa_user_sgpr_count 15
		.amdhsa_user_sgpr_dispatch_ptr 0
		.amdhsa_user_sgpr_queue_ptr 0
		.amdhsa_user_sgpr_kernarg_segment_ptr 1
		.amdhsa_user_sgpr_dispatch_id 0
		.amdhsa_user_sgpr_private_segment_size 0
		.amdhsa_wavefront_size32 1
		.amdhsa_uses_dynamic_stack 0
		.amdhsa_enable_private_segment 0
		.amdhsa_system_sgpr_workgroup_id_x 1
		.amdhsa_system_sgpr_workgroup_id_y 0
		.amdhsa_system_sgpr_workgroup_id_z 0
		.amdhsa_system_sgpr_workgroup_info 0
		.amdhsa_system_vgpr_workitem_id 0
		.amdhsa_next_free_vgpr 1
		.amdhsa_next_free_sgpr 1
		.amdhsa_reserve_vcc 0
		.amdhsa_float_round_mode_32 0
		.amdhsa_float_round_mode_16_64 0
		.amdhsa_float_denorm_mode_32 3
		.amdhsa_float_denorm_mode_16_64 3
		.amdhsa_dx10_clamp 1
		.amdhsa_ieee_mode 1
		.amdhsa_fp16_overflow 0
		.amdhsa_workgroup_processor_mode 1
		.amdhsa_memory_ordered 1
		.amdhsa_forward_progress 0
		.amdhsa_shared_vgpr_count 0
		.amdhsa_exception_fp_ieee_invalid_op 0
		.amdhsa_exception_fp_denorm_src 0
		.amdhsa_exception_fp_ieee_div_zero 0
		.amdhsa_exception_fp_ieee_overflow 0
		.amdhsa_exception_fp_ieee_underflow 0
		.amdhsa_exception_fp_ieee_inexact 0
		.amdhsa_exception_int_div_zero 0
	.end_amdhsa_kernel
	.section	.text._ZN7rocprim17ROCPRIM_400000_NS6detail17trampoline_kernelINS0_14default_configENS1_25partition_config_selectorILNS1_17partition_subalgoE9EllbEEZZNS1_14partition_implILS5_9ELb0ES3_jPlS8_PNS0_10empty_typeENS0_5tupleIJS8_S9_EEENSB_IJS8_SA_EEENS0_18inequality_wrapperIZN2at6native12_GLOBAL__N_124unique_dim_cuda_templateIN3c108BFloat16EEESt5tupleIJNSF_6TensorESM_SM_EERKSM_lbbbEUlllE0_EEPmJS9_EEE10hipError_tPvRmT3_T4_T5_T6_T7_T9_mT8_P12ihipStream_tbDpT10_ENKUlT_T0_E_clISt17integral_constantIbLb0EES1B_IbLb1EEEEDaS17_S18_EUlS17_E_NS1_11comp_targetILNS1_3genE3ELNS1_11target_archE908ELNS1_3gpuE7ELNS1_3repE0EEENS1_30default_config_static_selectorELNS0_4arch9wavefront6targetE0EEEvT1_,"axG",@progbits,_ZN7rocprim17ROCPRIM_400000_NS6detail17trampoline_kernelINS0_14default_configENS1_25partition_config_selectorILNS1_17partition_subalgoE9EllbEEZZNS1_14partition_implILS5_9ELb0ES3_jPlS8_PNS0_10empty_typeENS0_5tupleIJS8_S9_EEENSB_IJS8_SA_EEENS0_18inequality_wrapperIZN2at6native12_GLOBAL__N_124unique_dim_cuda_templateIN3c108BFloat16EEESt5tupleIJNSF_6TensorESM_SM_EERKSM_lbbbEUlllE0_EEPmJS9_EEE10hipError_tPvRmT3_T4_T5_T6_T7_T9_mT8_P12ihipStream_tbDpT10_ENKUlT_T0_E_clISt17integral_constantIbLb0EES1B_IbLb1EEEEDaS17_S18_EUlS17_E_NS1_11comp_targetILNS1_3genE3ELNS1_11target_archE908ELNS1_3gpuE7ELNS1_3repE0EEENS1_30default_config_static_selectorELNS0_4arch9wavefront6targetE0EEEvT1_,comdat
.Lfunc_end1232:
	.size	_ZN7rocprim17ROCPRIM_400000_NS6detail17trampoline_kernelINS0_14default_configENS1_25partition_config_selectorILNS1_17partition_subalgoE9EllbEEZZNS1_14partition_implILS5_9ELb0ES3_jPlS8_PNS0_10empty_typeENS0_5tupleIJS8_S9_EEENSB_IJS8_SA_EEENS0_18inequality_wrapperIZN2at6native12_GLOBAL__N_124unique_dim_cuda_templateIN3c108BFloat16EEESt5tupleIJNSF_6TensorESM_SM_EERKSM_lbbbEUlllE0_EEPmJS9_EEE10hipError_tPvRmT3_T4_T5_T6_T7_T9_mT8_P12ihipStream_tbDpT10_ENKUlT_T0_E_clISt17integral_constantIbLb0EES1B_IbLb1EEEEDaS17_S18_EUlS17_E_NS1_11comp_targetILNS1_3genE3ELNS1_11target_archE908ELNS1_3gpuE7ELNS1_3repE0EEENS1_30default_config_static_selectorELNS0_4arch9wavefront6targetE0EEEvT1_, .Lfunc_end1232-_ZN7rocprim17ROCPRIM_400000_NS6detail17trampoline_kernelINS0_14default_configENS1_25partition_config_selectorILNS1_17partition_subalgoE9EllbEEZZNS1_14partition_implILS5_9ELb0ES3_jPlS8_PNS0_10empty_typeENS0_5tupleIJS8_S9_EEENSB_IJS8_SA_EEENS0_18inequality_wrapperIZN2at6native12_GLOBAL__N_124unique_dim_cuda_templateIN3c108BFloat16EEESt5tupleIJNSF_6TensorESM_SM_EERKSM_lbbbEUlllE0_EEPmJS9_EEE10hipError_tPvRmT3_T4_T5_T6_T7_T9_mT8_P12ihipStream_tbDpT10_ENKUlT_T0_E_clISt17integral_constantIbLb0EES1B_IbLb1EEEEDaS17_S18_EUlS17_E_NS1_11comp_targetILNS1_3genE3ELNS1_11target_archE908ELNS1_3gpuE7ELNS1_3repE0EEENS1_30default_config_static_selectorELNS0_4arch9wavefront6targetE0EEEvT1_
                                        ; -- End function
	.section	.AMDGPU.csdata,"",@progbits
; Kernel info:
; codeLenInByte = 0
; NumSgprs: 0
; NumVgprs: 0
; ScratchSize: 0
; MemoryBound: 0
; FloatMode: 240
; IeeeMode: 1
; LDSByteSize: 0 bytes/workgroup (compile time only)
; SGPRBlocks: 0
; VGPRBlocks: 0
; NumSGPRsForWavesPerEU: 1
; NumVGPRsForWavesPerEU: 1
; Occupancy: 16
; WaveLimiterHint : 0
; COMPUTE_PGM_RSRC2:SCRATCH_EN: 0
; COMPUTE_PGM_RSRC2:USER_SGPR: 15
; COMPUTE_PGM_RSRC2:TRAP_HANDLER: 0
; COMPUTE_PGM_RSRC2:TGID_X_EN: 1
; COMPUTE_PGM_RSRC2:TGID_Y_EN: 0
; COMPUTE_PGM_RSRC2:TGID_Z_EN: 0
; COMPUTE_PGM_RSRC2:TIDIG_COMP_CNT: 0
	.section	.text._ZN7rocprim17ROCPRIM_400000_NS6detail17trampoline_kernelINS0_14default_configENS1_25partition_config_selectorILNS1_17partition_subalgoE9EllbEEZZNS1_14partition_implILS5_9ELb0ES3_jPlS8_PNS0_10empty_typeENS0_5tupleIJS8_S9_EEENSB_IJS8_SA_EEENS0_18inequality_wrapperIZN2at6native12_GLOBAL__N_124unique_dim_cuda_templateIN3c108BFloat16EEESt5tupleIJNSF_6TensorESM_SM_EERKSM_lbbbEUlllE0_EEPmJS9_EEE10hipError_tPvRmT3_T4_T5_T6_T7_T9_mT8_P12ihipStream_tbDpT10_ENKUlT_T0_E_clISt17integral_constantIbLb0EES1B_IbLb1EEEEDaS17_S18_EUlS17_E_NS1_11comp_targetILNS1_3genE2ELNS1_11target_archE906ELNS1_3gpuE6ELNS1_3repE0EEENS1_30default_config_static_selectorELNS0_4arch9wavefront6targetE0EEEvT1_,"axG",@progbits,_ZN7rocprim17ROCPRIM_400000_NS6detail17trampoline_kernelINS0_14default_configENS1_25partition_config_selectorILNS1_17partition_subalgoE9EllbEEZZNS1_14partition_implILS5_9ELb0ES3_jPlS8_PNS0_10empty_typeENS0_5tupleIJS8_S9_EEENSB_IJS8_SA_EEENS0_18inequality_wrapperIZN2at6native12_GLOBAL__N_124unique_dim_cuda_templateIN3c108BFloat16EEESt5tupleIJNSF_6TensorESM_SM_EERKSM_lbbbEUlllE0_EEPmJS9_EEE10hipError_tPvRmT3_T4_T5_T6_T7_T9_mT8_P12ihipStream_tbDpT10_ENKUlT_T0_E_clISt17integral_constantIbLb0EES1B_IbLb1EEEEDaS17_S18_EUlS17_E_NS1_11comp_targetILNS1_3genE2ELNS1_11target_archE906ELNS1_3gpuE6ELNS1_3repE0EEENS1_30default_config_static_selectorELNS0_4arch9wavefront6targetE0EEEvT1_,comdat
	.globl	_ZN7rocprim17ROCPRIM_400000_NS6detail17trampoline_kernelINS0_14default_configENS1_25partition_config_selectorILNS1_17partition_subalgoE9EllbEEZZNS1_14partition_implILS5_9ELb0ES3_jPlS8_PNS0_10empty_typeENS0_5tupleIJS8_S9_EEENSB_IJS8_SA_EEENS0_18inequality_wrapperIZN2at6native12_GLOBAL__N_124unique_dim_cuda_templateIN3c108BFloat16EEESt5tupleIJNSF_6TensorESM_SM_EERKSM_lbbbEUlllE0_EEPmJS9_EEE10hipError_tPvRmT3_T4_T5_T6_T7_T9_mT8_P12ihipStream_tbDpT10_ENKUlT_T0_E_clISt17integral_constantIbLb0EES1B_IbLb1EEEEDaS17_S18_EUlS17_E_NS1_11comp_targetILNS1_3genE2ELNS1_11target_archE906ELNS1_3gpuE6ELNS1_3repE0EEENS1_30default_config_static_selectorELNS0_4arch9wavefront6targetE0EEEvT1_ ; -- Begin function _ZN7rocprim17ROCPRIM_400000_NS6detail17trampoline_kernelINS0_14default_configENS1_25partition_config_selectorILNS1_17partition_subalgoE9EllbEEZZNS1_14partition_implILS5_9ELb0ES3_jPlS8_PNS0_10empty_typeENS0_5tupleIJS8_S9_EEENSB_IJS8_SA_EEENS0_18inequality_wrapperIZN2at6native12_GLOBAL__N_124unique_dim_cuda_templateIN3c108BFloat16EEESt5tupleIJNSF_6TensorESM_SM_EERKSM_lbbbEUlllE0_EEPmJS9_EEE10hipError_tPvRmT3_T4_T5_T6_T7_T9_mT8_P12ihipStream_tbDpT10_ENKUlT_T0_E_clISt17integral_constantIbLb0EES1B_IbLb1EEEEDaS17_S18_EUlS17_E_NS1_11comp_targetILNS1_3genE2ELNS1_11target_archE906ELNS1_3gpuE6ELNS1_3repE0EEENS1_30default_config_static_selectorELNS0_4arch9wavefront6targetE0EEEvT1_
	.p2align	8
	.type	_ZN7rocprim17ROCPRIM_400000_NS6detail17trampoline_kernelINS0_14default_configENS1_25partition_config_selectorILNS1_17partition_subalgoE9EllbEEZZNS1_14partition_implILS5_9ELb0ES3_jPlS8_PNS0_10empty_typeENS0_5tupleIJS8_S9_EEENSB_IJS8_SA_EEENS0_18inequality_wrapperIZN2at6native12_GLOBAL__N_124unique_dim_cuda_templateIN3c108BFloat16EEESt5tupleIJNSF_6TensorESM_SM_EERKSM_lbbbEUlllE0_EEPmJS9_EEE10hipError_tPvRmT3_T4_T5_T6_T7_T9_mT8_P12ihipStream_tbDpT10_ENKUlT_T0_E_clISt17integral_constantIbLb0EES1B_IbLb1EEEEDaS17_S18_EUlS17_E_NS1_11comp_targetILNS1_3genE2ELNS1_11target_archE906ELNS1_3gpuE6ELNS1_3repE0EEENS1_30default_config_static_selectorELNS0_4arch9wavefront6targetE0EEEvT1_,@function
_ZN7rocprim17ROCPRIM_400000_NS6detail17trampoline_kernelINS0_14default_configENS1_25partition_config_selectorILNS1_17partition_subalgoE9EllbEEZZNS1_14partition_implILS5_9ELb0ES3_jPlS8_PNS0_10empty_typeENS0_5tupleIJS8_S9_EEENSB_IJS8_SA_EEENS0_18inequality_wrapperIZN2at6native12_GLOBAL__N_124unique_dim_cuda_templateIN3c108BFloat16EEESt5tupleIJNSF_6TensorESM_SM_EERKSM_lbbbEUlllE0_EEPmJS9_EEE10hipError_tPvRmT3_T4_T5_T6_T7_T9_mT8_P12ihipStream_tbDpT10_ENKUlT_T0_E_clISt17integral_constantIbLb0EES1B_IbLb1EEEEDaS17_S18_EUlS17_E_NS1_11comp_targetILNS1_3genE2ELNS1_11target_archE906ELNS1_3gpuE6ELNS1_3repE0EEENS1_30default_config_static_selectorELNS0_4arch9wavefront6targetE0EEEvT1_: ; @_ZN7rocprim17ROCPRIM_400000_NS6detail17trampoline_kernelINS0_14default_configENS1_25partition_config_selectorILNS1_17partition_subalgoE9EllbEEZZNS1_14partition_implILS5_9ELb0ES3_jPlS8_PNS0_10empty_typeENS0_5tupleIJS8_S9_EEENSB_IJS8_SA_EEENS0_18inequality_wrapperIZN2at6native12_GLOBAL__N_124unique_dim_cuda_templateIN3c108BFloat16EEESt5tupleIJNSF_6TensorESM_SM_EERKSM_lbbbEUlllE0_EEPmJS9_EEE10hipError_tPvRmT3_T4_T5_T6_T7_T9_mT8_P12ihipStream_tbDpT10_ENKUlT_T0_E_clISt17integral_constantIbLb0EES1B_IbLb1EEEEDaS17_S18_EUlS17_E_NS1_11comp_targetILNS1_3genE2ELNS1_11target_archE906ELNS1_3gpuE6ELNS1_3repE0EEENS1_30default_config_static_selectorELNS0_4arch9wavefront6targetE0EEEvT1_
; %bb.0:
	.section	.rodata,"a",@progbits
	.p2align	6, 0x0
	.amdhsa_kernel _ZN7rocprim17ROCPRIM_400000_NS6detail17trampoline_kernelINS0_14default_configENS1_25partition_config_selectorILNS1_17partition_subalgoE9EllbEEZZNS1_14partition_implILS5_9ELb0ES3_jPlS8_PNS0_10empty_typeENS0_5tupleIJS8_S9_EEENSB_IJS8_SA_EEENS0_18inequality_wrapperIZN2at6native12_GLOBAL__N_124unique_dim_cuda_templateIN3c108BFloat16EEESt5tupleIJNSF_6TensorESM_SM_EERKSM_lbbbEUlllE0_EEPmJS9_EEE10hipError_tPvRmT3_T4_T5_T6_T7_T9_mT8_P12ihipStream_tbDpT10_ENKUlT_T0_E_clISt17integral_constantIbLb0EES1B_IbLb1EEEEDaS17_S18_EUlS17_E_NS1_11comp_targetILNS1_3genE2ELNS1_11target_archE906ELNS1_3gpuE6ELNS1_3repE0EEENS1_30default_config_static_selectorELNS0_4arch9wavefront6targetE0EEEvT1_
		.amdhsa_group_segment_fixed_size 0
		.amdhsa_private_segment_fixed_size 0
		.amdhsa_kernarg_size 136
		.amdhsa_user_sgpr_count 15
		.amdhsa_user_sgpr_dispatch_ptr 0
		.amdhsa_user_sgpr_queue_ptr 0
		.amdhsa_user_sgpr_kernarg_segment_ptr 1
		.amdhsa_user_sgpr_dispatch_id 0
		.amdhsa_user_sgpr_private_segment_size 0
		.amdhsa_wavefront_size32 1
		.amdhsa_uses_dynamic_stack 0
		.amdhsa_enable_private_segment 0
		.amdhsa_system_sgpr_workgroup_id_x 1
		.amdhsa_system_sgpr_workgroup_id_y 0
		.amdhsa_system_sgpr_workgroup_id_z 0
		.amdhsa_system_sgpr_workgroup_info 0
		.amdhsa_system_vgpr_workitem_id 0
		.amdhsa_next_free_vgpr 1
		.amdhsa_next_free_sgpr 1
		.amdhsa_reserve_vcc 0
		.amdhsa_float_round_mode_32 0
		.amdhsa_float_round_mode_16_64 0
		.amdhsa_float_denorm_mode_32 3
		.amdhsa_float_denorm_mode_16_64 3
		.amdhsa_dx10_clamp 1
		.amdhsa_ieee_mode 1
		.amdhsa_fp16_overflow 0
		.amdhsa_workgroup_processor_mode 1
		.amdhsa_memory_ordered 1
		.amdhsa_forward_progress 0
		.amdhsa_shared_vgpr_count 0
		.amdhsa_exception_fp_ieee_invalid_op 0
		.amdhsa_exception_fp_denorm_src 0
		.amdhsa_exception_fp_ieee_div_zero 0
		.amdhsa_exception_fp_ieee_overflow 0
		.amdhsa_exception_fp_ieee_underflow 0
		.amdhsa_exception_fp_ieee_inexact 0
		.amdhsa_exception_int_div_zero 0
	.end_amdhsa_kernel
	.section	.text._ZN7rocprim17ROCPRIM_400000_NS6detail17trampoline_kernelINS0_14default_configENS1_25partition_config_selectorILNS1_17partition_subalgoE9EllbEEZZNS1_14partition_implILS5_9ELb0ES3_jPlS8_PNS0_10empty_typeENS0_5tupleIJS8_S9_EEENSB_IJS8_SA_EEENS0_18inequality_wrapperIZN2at6native12_GLOBAL__N_124unique_dim_cuda_templateIN3c108BFloat16EEESt5tupleIJNSF_6TensorESM_SM_EERKSM_lbbbEUlllE0_EEPmJS9_EEE10hipError_tPvRmT3_T4_T5_T6_T7_T9_mT8_P12ihipStream_tbDpT10_ENKUlT_T0_E_clISt17integral_constantIbLb0EES1B_IbLb1EEEEDaS17_S18_EUlS17_E_NS1_11comp_targetILNS1_3genE2ELNS1_11target_archE906ELNS1_3gpuE6ELNS1_3repE0EEENS1_30default_config_static_selectorELNS0_4arch9wavefront6targetE0EEEvT1_,"axG",@progbits,_ZN7rocprim17ROCPRIM_400000_NS6detail17trampoline_kernelINS0_14default_configENS1_25partition_config_selectorILNS1_17partition_subalgoE9EllbEEZZNS1_14partition_implILS5_9ELb0ES3_jPlS8_PNS0_10empty_typeENS0_5tupleIJS8_S9_EEENSB_IJS8_SA_EEENS0_18inequality_wrapperIZN2at6native12_GLOBAL__N_124unique_dim_cuda_templateIN3c108BFloat16EEESt5tupleIJNSF_6TensorESM_SM_EERKSM_lbbbEUlllE0_EEPmJS9_EEE10hipError_tPvRmT3_T4_T5_T6_T7_T9_mT8_P12ihipStream_tbDpT10_ENKUlT_T0_E_clISt17integral_constantIbLb0EES1B_IbLb1EEEEDaS17_S18_EUlS17_E_NS1_11comp_targetILNS1_3genE2ELNS1_11target_archE906ELNS1_3gpuE6ELNS1_3repE0EEENS1_30default_config_static_selectorELNS0_4arch9wavefront6targetE0EEEvT1_,comdat
.Lfunc_end1233:
	.size	_ZN7rocprim17ROCPRIM_400000_NS6detail17trampoline_kernelINS0_14default_configENS1_25partition_config_selectorILNS1_17partition_subalgoE9EllbEEZZNS1_14partition_implILS5_9ELb0ES3_jPlS8_PNS0_10empty_typeENS0_5tupleIJS8_S9_EEENSB_IJS8_SA_EEENS0_18inequality_wrapperIZN2at6native12_GLOBAL__N_124unique_dim_cuda_templateIN3c108BFloat16EEESt5tupleIJNSF_6TensorESM_SM_EERKSM_lbbbEUlllE0_EEPmJS9_EEE10hipError_tPvRmT3_T4_T5_T6_T7_T9_mT8_P12ihipStream_tbDpT10_ENKUlT_T0_E_clISt17integral_constantIbLb0EES1B_IbLb1EEEEDaS17_S18_EUlS17_E_NS1_11comp_targetILNS1_3genE2ELNS1_11target_archE906ELNS1_3gpuE6ELNS1_3repE0EEENS1_30default_config_static_selectorELNS0_4arch9wavefront6targetE0EEEvT1_, .Lfunc_end1233-_ZN7rocprim17ROCPRIM_400000_NS6detail17trampoline_kernelINS0_14default_configENS1_25partition_config_selectorILNS1_17partition_subalgoE9EllbEEZZNS1_14partition_implILS5_9ELb0ES3_jPlS8_PNS0_10empty_typeENS0_5tupleIJS8_S9_EEENSB_IJS8_SA_EEENS0_18inequality_wrapperIZN2at6native12_GLOBAL__N_124unique_dim_cuda_templateIN3c108BFloat16EEESt5tupleIJNSF_6TensorESM_SM_EERKSM_lbbbEUlllE0_EEPmJS9_EEE10hipError_tPvRmT3_T4_T5_T6_T7_T9_mT8_P12ihipStream_tbDpT10_ENKUlT_T0_E_clISt17integral_constantIbLb0EES1B_IbLb1EEEEDaS17_S18_EUlS17_E_NS1_11comp_targetILNS1_3genE2ELNS1_11target_archE906ELNS1_3gpuE6ELNS1_3repE0EEENS1_30default_config_static_selectorELNS0_4arch9wavefront6targetE0EEEvT1_
                                        ; -- End function
	.section	.AMDGPU.csdata,"",@progbits
; Kernel info:
; codeLenInByte = 0
; NumSgprs: 0
; NumVgprs: 0
; ScratchSize: 0
; MemoryBound: 0
; FloatMode: 240
; IeeeMode: 1
; LDSByteSize: 0 bytes/workgroup (compile time only)
; SGPRBlocks: 0
; VGPRBlocks: 0
; NumSGPRsForWavesPerEU: 1
; NumVGPRsForWavesPerEU: 1
; Occupancy: 15
; WaveLimiterHint : 0
; COMPUTE_PGM_RSRC2:SCRATCH_EN: 0
; COMPUTE_PGM_RSRC2:USER_SGPR: 15
; COMPUTE_PGM_RSRC2:TRAP_HANDLER: 0
; COMPUTE_PGM_RSRC2:TGID_X_EN: 1
; COMPUTE_PGM_RSRC2:TGID_Y_EN: 0
; COMPUTE_PGM_RSRC2:TGID_Z_EN: 0
; COMPUTE_PGM_RSRC2:TIDIG_COMP_CNT: 0
	.section	.text._ZN7rocprim17ROCPRIM_400000_NS6detail17trampoline_kernelINS0_14default_configENS1_25partition_config_selectorILNS1_17partition_subalgoE9EllbEEZZNS1_14partition_implILS5_9ELb0ES3_jPlS8_PNS0_10empty_typeENS0_5tupleIJS8_S9_EEENSB_IJS8_SA_EEENS0_18inequality_wrapperIZN2at6native12_GLOBAL__N_124unique_dim_cuda_templateIN3c108BFloat16EEESt5tupleIJNSF_6TensorESM_SM_EERKSM_lbbbEUlllE0_EEPmJS9_EEE10hipError_tPvRmT3_T4_T5_T6_T7_T9_mT8_P12ihipStream_tbDpT10_ENKUlT_T0_E_clISt17integral_constantIbLb0EES1B_IbLb1EEEEDaS17_S18_EUlS17_E_NS1_11comp_targetILNS1_3genE10ELNS1_11target_archE1200ELNS1_3gpuE4ELNS1_3repE0EEENS1_30default_config_static_selectorELNS0_4arch9wavefront6targetE0EEEvT1_,"axG",@progbits,_ZN7rocprim17ROCPRIM_400000_NS6detail17trampoline_kernelINS0_14default_configENS1_25partition_config_selectorILNS1_17partition_subalgoE9EllbEEZZNS1_14partition_implILS5_9ELb0ES3_jPlS8_PNS0_10empty_typeENS0_5tupleIJS8_S9_EEENSB_IJS8_SA_EEENS0_18inequality_wrapperIZN2at6native12_GLOBAL__N_124unique_dim_cuda_templateIN3c108BFloat16EEESt5tupleIJNSF_6TensorESM_SM_EERKSM_lbbbEUlllE0_EEPmJS9_EEE10hipError_tPvRmT3_T4_T5_T6_T7_T9_mT8_P12ihipStream_tbDpT10_ENKUlT_T0_E_clISt17integral_constantIbLb0EES1B_IbLb1EEEEDaS17_S18_EUlS17_E_NS1_11comp_targetILNS1_3genE10ELNS1_11target_archE1200ELNS1_3gpuE4ELNS1_3repE0EEENS1_30default_config_static_selectorELNS0_4arch9wavefront6targetE0EEEvT1_,comdat
	.globl	_ZN7rocprim17ROCPRIM_400000_NS6detail17trampoline_kernelINS0_14default_configENS1_25partition_config_selectorILNS1_17partition_subalgoE9EllbEEZZNS1_14partition_implILS5_9ELb0ES3_jPlS8_PNS0_10empty_typeENS0_5tupleIJS8_S9_EEENSB_IJS8_SA_EEENS0_18inequality_wrapperIZN2at6native12_GLOBAL__N_124unique_dim_cuda_templateIN3c108BFloat16EEESt5tupleIJNSF_6TensorESM_SM_EERKSM_lbbbEUlllE0_EEPmJS9_EEE10hipError_tPvRmT3_T4_T5_T6_T7_T9_mT8_P12ihipStream_tbDpT10_ENKUlT_T0_E_clISt17integral_constantIbLb0EES1B_IbLb1EEEEDaS17_S18_EUlS17_E_NS1_11comp_targetILNS1_3genE10ELNS1_11target_archE1200ELNS1_3gpuE4ELNS1_3repE0EEENS1_30default_config_static_selectorELNS0_4arch9wavefront6targetE0EEEvT1_ ; -- Begin function _ZN7rocprim17ROCPRIM_400000_NS6detail17trampoline_kernelINS0_14default_configENS1_25partition_config_selectorILNS1_17partition_subalgoE9EllbEEZZNS1_14partition_implILS5_9ELb0ES3_jPlS8_PNS0_10empty_typeENS0_5tupleIJS8_S9_EEENSB_IJS8_SA_EEENS0_18inequality_wrapperIZN2at6native12_GLOBAL__N_124unique_dim_cuda_templateIN3c108BFloat16EEESt5tupleIJNSF_6TensorESM_SM_EERKSM_lbbbEUlllE0_EEPmJS9_EEE10hipError_tPvRmT3_T4_T5_T6_T7_T9_mT8_P12ihipStream_tbDpT10_ENKUlT_T0_E_clISt17integral_constantIbLb0EES1B_IbLb1EEEEDaS17_S18_EUlS17_E_NS1_11comp_targetILNS1_3genE10ELNS1_11target_archE1200ELNS1_3gpuE4ELNS1_3repE0EEENS1_30default_config_static_selectorELNS0_4arch9wavefront6targetE0EEEvT1_
	.p2align	8
	.type	_ZN7rocprim17ROCPRIM_400000_NS6detail17trampoline_kernelINS0_14default_configENS1_25partition_config_selectorILNS1_17partition_subalgoE9EllbEEZZNS1_14partition_implILS5_9ELb0ES3_jPlS8_PNS0_10empty_typeENS0_5tupleIJS8_S9_EEENSB_IJS8_SA_EEENS0_18inequality_wrapperIZN2at6native12_GLOBAL__N_124unique_dim_cuda_templateIN3c108BFloat16EEESt5tupleIJNSF_6TensorESM_SM_EERKSM_lbbbEUlllE0_EEPmJS9_EEE10hipError_tPvRmT3_T4_T5_T6_T7_T9_mT8_P12ihipStream_tbDpT10_ENKUlT_T0_E_clISt17integral_constantIbLb0EES1B_IbLb1EEEEDaS17_S18_EUlS17_E_NS1_11comp_targetILNS1_3genE10ELNS1_11target_archE1200ELNS1_3gpuE4ELNS1_3repE0EEENS1_30default_config_static_selectorELNS0_4arch9wavefront6targetE0EEEvT1_,@function
_ZN7rocprim17ROCPRIM_400000_NS6detail17trampoline_kernelINS0_14default_configENS1_25partition_config_selectorILNS1_17partition_subalgoE9EllbEEZZNS1_14partition_implILS5_9ELb0ES3_jPlS8_PNS0_10empty_typeENS0_5tupleIJS8_S9_EEENSB_IJS8_SA_EEENS0_18inequality_wrapperIZN2at6native12_GLOBAL__N_124unique_dim_cuda_templateIN3c108BFloat16EEESt5tupleIJNSF_6TensorESM_SM_EERKSM_lbbbEUlllE0_EEPmJS9_EEE10hipError_tPvRmT3_T4_T5_T6_T7_T9_mT8_P12ihipStream_tbDpT10_ENKUlT_T0_E_clISt17integral_constantIbLb0EES1B_IbLb1EEEEDaS17_S18_EUlS17_E_NS1_11comp_targetILNS1_3genE10ELNS1_11target_archE1200ELNS1_3gpuE4ELNS1_3repE0EEENS1_30default_config_static_selectorELNS0_4arch9wavefront6targetE0EEEvT1_: ; @_ZN7rocprim17ROCPRIM_400000_NS6detail17trampoline_kernelINS0_14default_configENS1_25partition_config_selectorILNS1_17partition_subalgoE9EllbEEZZNS1_14partition_implILS5_9ELb0ES3_jPlS8_PNS0_10empty_typeENS0_5tupleIJS8_S9_EEENSB_IJS8_SA_EEENS0_18inequality_wrapperIZN2at6native12_GLOBAL__N_124unique_dim_cuda_templateIN3c108BFloat16EEESt5tupleIJNSF_6TensorESM_SM_EERKSM_lbbbEUlllE0_EEPmJS9_EEE10hipError_tPvRmT3_T4_T5_T6_T7_T9_mT8_P12ihipStream_tbDpT10_ENKUlT_T0_E_clISt17integral_constantIbLb0EES1B_IbLb1EEEEDaS17_S18_EUlS17_E_NS1_11comp_targetILNS1_3genE10ELNS1_11target_archE1200ELNS1_3gpuE4ELNS1_3repE0EEENS1_30default_config_static_selectorELNS0_4arch9wavefront6targetE0EEEvT1_
; %bb.0:
	.section	.rodata,"a",@progbits
	.p2align	6, 0x0
	.amdhsa_kernel _ZN7rocprim17ROCPRIM_400000_NS6detail17trampoline_kernelINS0_14default_configENS1_25partition_config_selectorILNS1_17partition_subalgoE9EllbEEZZNS1_14partition_implILS5_9ELb0ES3_jPlS8_PNS0_10empty_typeENS0_5tupleIJS8_S9_EEENSB_IJS8_SA_EEENS0_18inequality_wrapperIZN2at6native12_GLOBAL__N_124unique_dim_cuda_templateIN3c108BFloat16EEESt5tupleIJNSF_6TensorESM_SM_EERKSM_lbbbEUlllE0_EEPmJS9_EEE10hipError_tPvRmT3_T4_T5_T6_T7_T9_mT8_P12ihipStream_tbDpT10_ENKUlT_T0_E_clISt17integral_constantIbLb0EES1B_IbLb1EEEEDaS17_S18_EUlS17_E_NS1_11comp_targetILNS1_3genE10ELNS1_11target_archE1200ELNS1_3gpuE4ELNS1_3repE0EEENS1_30default_config_static_selectorELNS0_4arch9wavefront6targetE0EEEvT1_
		.amdhsa_group_segment_fixed_size 0
		.amdhsa_private_segment_fixed_size 0
		.amdhsa_kernarg_size 136
		.amdhsa_user_sgpr_count 15
		.amdhsa_user_sgpr_dispatch_ptr 0
		.amdhsa_user_sgpr_queue_ptr 0
		.amdhsa_user_sgpr_kernarg_segment_ptr 1
		.amdhsa_user_sgpr_dispatch_id 0
		.amdhsa_user_sgpr_private_segment_size 0
		.amdhsa_wavefront_size32 1
		.amdhsa_uses_dynamic_stack 0
		.amdhsa_enable_private_segment 0
		.amdhsa_system_sgpr_workgroup_id_x 1
		.amdhsa_system_sgpr_workgroup_id_y 0
		.amdhsa_system_sgpr_workgroup_id_z 0
		.amdhsa_system_sgpr_workgroup_info 0
		.amdhsa_system_vgpr_workitem_id 0
		.amdhsa_next_free_vgpr 1
		.amdhsa_next_free_sgpr 1
		.amdhsa_reserve_vcc 0
		.amdhsa_float_round_mode_32 0
		.amdhsa_float_round_mode_16_64 0
		.amdhsa_float_denorm_mode_32 3
		.amdhsa_float_denorm_mode_16_64 3
		.amdhsa_dx10_clamp 1
		.amdhsa_ieee_mode 1
		.amdhsa_fp16_overflow 0
		.amdhsa_workgroup_processor_mode 1
		.amdhsa_memory_ordered 1
		.amdhsa_forward_progress 0
		.amdhsa_shared_vgpr_count 0
		.amdhsa_exception_fp_ieee_invalid_op 0
		.amdhsa_exception_fp_denorm_src 0
		.amdhsa_exception_fp_ieee_div_zero 0
		.amdhsa_exception_fp_ieee_overflow 0
		.amdhsa_exception_fp_ieee_underflow 0
		.amdhsa_exception_fp_ieee_inexact 0
		.amdhsa_exception_int_div_zero 0
	.end_amdhsa_kernel
	.section	.text._ZN7rocprim17ROCPRIM_400000_NS6detail17trampoline_kernelINS0_14default_configENS1_25partition_config_selectorILNS1_17partition_subalgoE9EllbEEZZNS1_14partition_implILS5_9ELb0ES3_jPlS8_PNS0_10empty_typeENS0_5tupleIJS8_S9_EEENSB_IJS8_SA_EEENS0_18inequality_wrapperIZN2at6native12_GLOBAL__N_124unique_dim_cuda_templateIN3c108BFloat16EEESt5tupleIJNSF_6TensorESM_SM_EERKSM_lbbbEUlllE0_EEPmJS9_EEE10hipError_tPvRmT3_T4_T5_T6_T7_T9_mT8_P12ihipStream_tbDpT10_ENKUlT_T0_E_clISt17integral_constantIbLb0EES1B_IbLb1EEEEDaS17_S18_EUlS17_E_NS1_11comp_targetILNS1_3genE10ELNS1_11target_archE1200ELNS1_3gpuE4ELNS1_3repE0EEENS1_30default_config_static_selectorELNS0_4arch9wavefront6targetE0EEEvT1_,"axG",@progbits,_ZN7rocprim17ROCPRIM_400000_NS6detail17trampoline_kernelINS0_14default_configENS1_25partition_config_selectorILNS1_17partition_subalgoE9EllbEEZZNS1_14partition_implILS5_9ELb0ES3_jPlS8_PNS0_10empty_typeENS0_5tupleIJS8_S9_EEENSB_IJS8_SA_EEENS0_18inequality_wrapperIZN2at6native12_GLOBAL__N_124unique_dim_cuda_templateIN3c108BFloat16EEESt5tupleIJNSF_6TensorESM_SM_EERKSM_lbbbEUlllE0_EEPmJS9_EEE10hipError_tPvRmT3_T4_T5_T6_T7_T9_mT8_P12ihipStream_tbDpT10_ENKUlT_T0_E_clISt17integral_constantIbLb0EES1B_IbLb1EEEEDaS17_S18_EUlS17_E_NS1_11comp_targetILNS1_3genE10ELNS1_11target_archE1200ELNS1_3gpuE4ELNS1_3repE0EEENS1_30default_config_static_selectorELNS0_4arch9wavefront6targetE0EEEvT1_,comdat
.Lfunc_end1234:
	.size	_ZN7rocprim17ROCPRIM_400000_NS6detail17trampoline_kernelINS0_14default_configENS1_25partition_config_selectorILNS1_17partition_subalgoE9EllbEEZZNS1_14partition_implILS5_9ELb0ES3_jPlS8_PNS0_10empty_typeENS0_5tupleIJS8_S9_EEENSB_IJS8_SA_EEENS0_18inequality_wrapperIZN2at6native12_GLOBAL__N_124unique_dim_cuda_templateIN3c108BFloat16EEESt5tupleIJNSF_6TensorESM_SM_EERKSM_lbbbEUlllE0_EEPmJS9_EEE10hipError_tPvRmT3_T4_T5_T6_T7_T9_mT8_P12ihipStream_tbDpT10_ENKUlT_T0_E_clISt17integral_constantIbLb0EES1B_IbLb1EEEEDaS17_S18_EUlS17_E_NS1_11comp_targetILNS1_3genE10ELNS1_11target_archE1200ELNS1_3gpuE4ELNS1_3repE0EEENS1_30default_config_static_selectorELNS0_4arch9wavefront6targetE0EEEvT1_, .Lfunc_end1234-_ZN7rocprim17ROCPRIM_400000_NS6detail17trampoline_kernelINS0_14default_configENS1_25partition_config_selectorILNS1_17partition_subalgoE9EllbEEZZNS1_14partition_implILS5_9ELb0ES3_jPlS8_PNS0_10empty_typeENS0_5tupleIJS8_S9_EEENSB_IJS8_SA_EEENS0_18inequality_wrapperIZN2at6native12_GLOBAL__N_124unique_dim_cuda_templateIN3c108BFloat16EEESt5tupleIJNSF_6TensorESM_SM_EERKSM_lbbbEUlllE0_EEPmJS9_EEE10hipError_tPvRmT3_T4_T5_T6_T7_T9_mT8_P12ihipStream_tbDpT10_ENKUlT_T0_E_clISt17integral_constantIbLb0EES1B_IbLb1EEEEDaS17_S18_EUlS17_E_NS1_11comp_targetILNS1_3genE10ELNS1_11target_archE1200ELNS1_3gpuE4ELNS1_3repE0EEENS1_30default_config_static_selectorELNS0_4arch9wavefront6targetE0EEEvT1_
                                        ; -- End function
	.section	.AMDGPU.csdata,"",@progbits
; Kernel info:
; codeLenInByte = 0
; NumSgprs: 0
; NumVgprs: 0
; ScratchSize: 0
; MemoryBound: 0
; FloatMode: 240
; IeeeMode: 1
; LDSByteSize: 0 bytes/workgroup (compile time only)
; SGPRBlocks: 0
; VGPRBlocks: 0
; NumSGPRsForWavesPerEU: 1
; NumVGPRsForWavesPerEU: 1
; Occupancy: 15
; WaveLimiterHint : 0
; COMPUTE_PGM_RSRC2:SCRATCH_EN: 0
; COMPUTE_PGM_RSRC2:USER_SGPR: 15
; COMPUTE_PGM_RSRC2:TRAP_HANDLER: 0
; COMPUTE_PGM_RSRC2:TGID_X_EN: 1
; COMPUTE_PGM_RSRC2:TGID_Y_EN: 0
; COMPUTE_PGM_RSRC2:TGID_Z_EN: 0
; COMPUTE_PGM_RSRC2:TIDIG_COMP_CNT: 0
	.section	.text._ZN7rocprim17ROCPRIM_400000_NS6detail17trampoline_kernelINS0_14default_configENS1_25partition_config_selectorILNS1_17partition_subalgoE9EllbEEZZNS1_14partition_implILS5_9ELb0ES3_jPlS8_PNS0_10empty_typeENS0_5tupleIJS8_S9_EEENSB_IJS8_SA_EEENS0_18inequality_wrapperIZN2at6native12_GLOBAL__N_124unique_dim_cuda_templateIN3c108BFloat16EEESt5tupleIJNSF_6TensorESM_SM_EERKSM_lbbbEUlllE0_EEPmJS9_EEE10hipError_tPvRmT3_T4_T5_T6_T7_T9_mT8_P12ihipStream_tbDpT10_ENKUlT_T0_E_clISt17integral_constantIbLb0EES1B_IbLb1EEEEDaS17_S18_EUlS17_E_NS1_11comp_targetILNS1_3genE9ELNS1_11target_archE1100ELNS1_3gpuE3ELNS1_3repE0EEENS1_30default_config_static_selectorELNS0_4arch9wavefront6targetE0EEEvT1_,"axG",@progbits,_ZN7rocprim17ROCPRIM_400000_NS6detail17trampoline_kernelINS0_14default_configENS1_25partition_config_selectorILNS1_17partition_subalgoE9EllbEEZZNS1_14partition_implILS5_9ELb0ES3_jPlS8_PNS0_10empty_typeENS0_5tupleIJS8_S9_EEENSB_IJS8_SA_EEENS0_18inequality_wrapperIZN2at6native12_GLOBAL__N_124unique_dim_cuda_templateIN3c108BFloat16EEESt5tupleIJNSF_6TensorESM_SM_EERKSM_lbbbEUlllE0_EEPmJS9_EEE10hipError_tPvRmT3_T4_T5_T6_T7_T9_mT8_P12ihipStream_tbDpT10_ENKUlT_T0_E_clISt17integral_constantIbLb0EES1B_IbLb1EEEEDaS17_S18_EUlS17_E_NS1_11comp_targetILNS1_3genE9ELNS1_11target_archE1100ELNS1_3gpuE3ELNS1_3repE0EEENS1_30default_config_static_selectorELNS0_4arch9wavefront6targetE0EEEvT1_,comdat
	.globl	_ZN7rocprim17ROCPRIM_400000_NS6detail17trampoline_kernelINS0_14default_configENS1_25partition_config_selectorILNS1_17partition_subalgoE9EllbEEZZNS1_14partition_implILS5_9ELb0ES3_jPlS8_PNS0_10empty_typeENS0_5tupleIJS8_S9_EEENSB_IJS8_SA_EEENS0_18inequality_wrapperIZN2at6native12_GLOBAL__N_124unique_dim_cuda_templateIN3c108BFloat16EEESt5tupleIJNSF_6TensorESM_SM_EERKSM_lbbbEUlllE0_EEPmJS9_EEE10hipError_tPvRmT3_T4_T5_T6_T7_T9_mT8_P12ihipStream_tbDpT10_ENKUlT_T0_E_clISt17integral_constantIbLb0EES1B_IbLb1EEEEDaS17_S18_EUlS17_E_NS1_11comp_targetILNS1_3genE9ELNS1_11target_archE1100ELNS1_3gpuE3ELNS1_3repE0EEENS1_30default_config_static_selectorELNS0_4arch9wavefront6targetE0EEEvT1_ ; -- Begin function _ZN7rocprim17ROCPRIM_400000_NS6detail17trampoline_kernelINS0_14default_configENS1_25partition_config_selectorILNS1_17partition_subalgoE9EllbEEZZNS1_14partition_implILS5_9ELb0ES3_jPlS8_PNS0_10empty_typeENS0_5tupleIJS8_S9_EEENSB_IJS8_SA_EEENS0_18inequality_wrapperIZN2at6native12_GLOBAL__N_124unique_dim_cuda_templateIN3c108BFloat16EEESt5tupleIJNSF_6TensorESM_SM_EERKSM_lbbbEUlllE0_EEPmJS9_EEE10hipError_tPvRmT3_T4_T5_T6_T7_T9_mT8_P12ihipStream_tbDpT10_ENKUlT_T0_E_clISt17integral_constantIbLb0EES1B_IbLb1EEEEDaS17_S18_EUlS17_E_NS1_11comp_targetILNS1_3genE9ELNS1_11target_archE1100ELNS1_3gpuE3ELNS1_3repE0EEENS1_30default_config_static_selectorELNS0_4arch9wavefront6targetE0EEEvT1_
	.p2align	8
	.type	_ZN7rocprim17ROCPRIM_400000_NS6detail17trampoline_kernelINS0_14default_configENS1_25partition_config_selectorILNS1_17partition_subalgoE9EllbEEZZNS1_14partition_implILS5_9ELb0ES3_jPlS8_PNS0_10empty_typeENS0_5tupleIJS8_S9_EEENSB_IJS8_SA_EEENS0_18inequality_wrapperIZN2at6native12_GLOBAL__N_124unique_dim_cuda_templateIN3c108BFloat16EEESt5tupleIJNSF_6TensorESM_SM_EERKSM_lbbbEUlllE0_EEPmJS9_EEE10hipError_tPvRmT3_T4_T5_T6_T7_T9_mT8_P12ihipStream_tbDpT10_ENKUlT_T0_E_clISt17integral_constantIbLb0EES1B_IbLb1EEEEDaS17_S18_EUlS17_E_NS1_11comp_targetILNS1_3genE9ELNS1_11target_archE1100ELNS1_3gpuE3ELNS1_3repE0EEENS1_30default_config_static_selectorELNS0_4arch9wavefront6targetE0EEEvT1_,@function
_ZN7rocprim17ROCPRIM_400000_NS6detail17trampoline_kernelINS0_14default_configENS1_25partition_config_selectorILNS1_17partition_subalgoE9EllbEEZZNS1_14partition_implILS5_9ELb0ES3_jPlS8_PNS0_10empty_typeENS0_5tupleIJS8_S9_EEENSB_IJS8_SA_EEENS0_18inequality_wrapperIZN2at6native12_GLOBAL__N_124unique_dim_cuda_templateIN3c108BFloat16EEESt5tupleIJNSF_6TensorESM_SM_EERKSM_lbbbEUlllE0_EEPmJS9_EEE10hipError_tPvRmT3_T4_T5_T6_T7_T9_mT8_P12ihipStream_tbDpT10_ENKUlT_T0_E_clISt17integral_constantIbLb0EES1B_IbLb1EEEEDaS17_S18_EUlS17_E_NS1_11comp_targetILNS1_3genE9ELNS1_11target_archE1100ELNS1_3gpuE3ELNS1_3repE0EEENS1_30default_config_static_selectorELNS0_4arch9wavefront6targetE0EEEvT1_: ; @_ZN7rocprim17ROCPRIM_400000_NS6detail17trampoline_kernelINS0_14default_configENS1_25partition_config_selectorILNS1_17partition_subalgoE9EllbEEZZNS1_14partition_implILS5_9ELb0ES3_jPlS8_PNS0_10empty_typeENS0_5tupleIJS8_S9_EEENSB_IJS8_SA_EEENS0_18inequality_wrapperIZN2at6native12_GLOBAL__N_124unique_dim_cuda_templateIN3c108BFloat16EEESt5tupleIJNSF_6TensorESM_SM_EERKSM_lbbbEUlllE0_EEPmJS9_EEE10hipError_tPvRmT3_T4_T5_T6_T7_T9_mT8_P12ihipStream_tbDpT10_ENKUlT_T0_E_clISt17integral_constantIbLb0EES1B_IbLb1EEEEDaS17_S18_EUlS17_E_NS1_11comp_targetILNS1_3genE9ELNS1_11target_archE1100ELNS1_3gpuE3ELNS1_3repE0EEENS1_30default_config_static_selectorELNS0_4arch9wavefront6targetE0EEEvT1_
; %bb.0:
	s_clause 0x3
	s_load_b128 s[4:7], s[0:1], 0x8
	s_load_b64 s[24:25], s[0:1], 0x18
	s_load_b256 s[8:15], s[0:1], 0x40
	s_load_b128 s[20:23], s[0:1], 0x60
	v_cmp_ne_u32_e64 s3, 0, v0
	v_cmp_eq_u32_e64 s2, 0, v0
	s_delay_alu instid0(VALU_DEP_1)
	s_and_saveexec_b32 s16, s2
	s_cbranch_execz .LBB1235_4
; %bb.1:
	s_mov_b32 s18, exec_lo
	s_mov_b32 s17, exec_lo
	v_mbcnt_lo_u32_b32 v1, s18, 0
                                        ; implicit-def: $vgpr2
	s_delay_alu instid0(VALU_DEP_1)
	v_cmpx_eq_u32_e32 0, v1
	s_cbranch_execz .LBB1235_3
; %bb.2:
	s_load_b64 s[26:27], s[0:1], 0x78
	s_bcnt1_i32_b32 s18, s18
	s_delay_alu instid0(SALU_CYCLE_1)
	v_dual_mov_b32 v2, 0 :: v_dual_mov_b32 v3, s18
	s_waitcnt lgkmcnt(0)
	global_atomic_add_u32 v2, v2, v3, s[26:27] glc
.LBB1235_3:
	s_or_b32 exec_lo, exec_lo, s17
	s_waitcnt vmcnt(0)
	v_readfirstlane_b32 s17, v2
	s_delay_alu instid0(VALU_DEP_1)
	v_dual_mov_b32 v2, 0 :: v_dual_add_nc_u32 v1, s17, v1
	ds_store_b32 v2, v1
.LBB1235_4:
	s_or_b32 exec_lo, exec_lo, s16
	v_mov_b32_e32 v1, 0
	s_clause 0x1
	s_load_b128 s[16:19], s[0:1], 0x28
	s_load_b32 s0, s[0:1], 0x70
	s_waitcnt lgkmcnt(0)
	s_barrier
	buffer_gl0_inv
	ds_load_b32 v3, v1
	s_waitcnt lgkmcnt(0)
	s_barrier
	buffer_gl0_inv
	global_load_b64 v[1:2], v1, s[10:11]
	s_lshl_b64 s[26:27], s[6:7], 3
	s_mov_b32 s1, 0
	s_add_u32 s10, s4, s26
	s_addc_u32 s11, s5, s27
	v_lshlrev_b32_e32 v55, 3, v0
	v_lshrrev_b32_e32 v34, 2, v0
	v_or_b32_e32 v39, 0x200, v0
	v_or_b32_e32 v38, 0x400, v0
	;; [unrolled: 1-line block ×5, first 2 shown]
	s_add_i32 s28, s0, -1
	s_lshl_b32 s5, s0, 12
	s_lshl_b32 s4, s28, 12
	v_or_b32_e32 v33, 0xc00, v0
	v_readfirstlane_b32 s30, v3
	s_add_i32 s4, s6, s4
	v_or_b32_e32 v36, 0xe00, v0
	s_sub_i32 s31, s12, s4
	s_delay_alu instid0(VALU_DEP_2)
	s_lshl_b32 s0, s30, 12
	s_add_u32 s4, s6, s5
	s_addc_u32 s5, s7, 0
	s_cmp_eq_u32 s30, s28
	v_cmp_ge_u64_e64 s4, s[4:5], s[12:13]
	s_cselect_b32 s28, -1, 0
	s_lshl_b64 s[12:13], s[0:1], 3
	s_mov_b32 s1, -1
	s_delay_alu instid0(VALU_DEP_1) | instskip(NEXT) | instid1(SALU_CYCLE_1)
	s_and_b32 s33, s4, s28
	s_xor_b32 s29, s33, -1
	s_add_u32 s4, s10, s12
	s_addc_u32 s5, s11, s13
	s_and_b32 vcc_lo, exec_lo, s29
	s_waitcnt vmcnt(0)
	v_readfirstlane_b32 s10, v1
	v_readfirstlane_b32 s11, v2
	s_cbranch_vccz .LBB1235_6
; %bb.5:
	v_add_co_u32 v9, s0, s4, v55
	s_delay_alu instid0(VALU_DEP_1)
	v_add_co_ci_u32_e64 v10, null, s5, 0, s0
	global_load_b64 v[1:2], v55, s[4:5]
	v_add_co_u32 v3, vcc_lo, v9, 0x2000
	v_add_co_ci_u32_e32 v4, vcc_lo, 0, v10, vcc_lo
	v_add_co_u32 v5, vcc_lo, v9, 0x4000
	v_add_co_ci_u32_e32 v6, vcc_lo, 0, v10, vcc_lo
	;; [unrolled: 2-line block ×4, first 2 shown]
	s_clause 0x6
	global_load_b64 v[11:12], v[3:4], off offset:-4096
	global_load_b64 v[3:4], v[3:4], off
	global_load_b64 v[13:14], v[5:6], off offset:-4096
	global_load_b64 v[5:6], v[5:6], off
	;; [unrolled: 2-line block ×3, first 2 shown]
	global_load_b64 v[9:10], v[9:10], off
	v_lshrrev_b32_e32 v18, 2, v39
	v_lshrrev_b32_e32 v19, 2, v38
	v_lshrrev_b32_e32 v20, 2, v40
	v_lshrrev_b32_e32 v21, 2, v37
	v_and_b32_e32 v17, 0x78, v34
	v_lshrrev_b32_e32 v22, 2, v35
	v_lshrrev_b32_e32 v23, 2, v33
	;; [unrolled: 1-line block ×3, first 2 shown]
	v_and_b32_e32 v18, 0xf8, v18
	v_and_b32_e32 v19, 0x178, v19
	;; [unrolled: 1-line block ×4, first 2 shown]
	v_add_nc_u32_e32 v17, v17, v55
	v_and_b32_e32 v22, 0x2f8, v22
	v_and_b32_e32 v23, 0x378, v23
	;; [unrolled: 1-line block ×3, first 2 shown]
	v_add_nc_u32_e32 v18, v18, v55
	v_add_nc_u32_e32 v19, v19, v55
	v_add_nc_u32_e32 v20, v20, v55
	v_add_nc_u32_e32 v21, v21, v55
	s_mov_b32 s1, 0
	v_add_nc_u32_e32 v22, v22, v55
	v_add_nc_u32_e32 v23, v23, v55
	;; [unrolled: 1-line block ×3, first 2 shown]
	s_waitcnt vmcnt(7)
	ds_store_b64 v17, v[1:2]
	s_waitcnt vmcnt(6)
	ds_store_b64 v18, v[11:12] offset:4096
	s_waitcnt vmcnt(5)
	ds_store_b64 v19, v[3:4] offset:8192
	;; [unrolled: 2-line block ×7, first 2 shown]
	s_waitcnt lgkmcnt(0)
	s_barrier
.LBB1235_6:
	v_cmp_gt_u32_e64 s0, s31, v0
	s_and_not1_b32 vcc_lo, exec_lo, s1
	s_cbranch_vccnz .LBB1235_24
; %bb.7:
                                        ; implicit-def: $vgpr1_vgpr2_vgpr3_vgpr4_vgpr5_vgpr6_vgpr7_vgpr8_vgpr9_vgpr10_vgpr11_vgpr12_vgpr13_vgpr14_vgpr15_vgpr16
	s_delay_alu instid0(VALU_DEP_1)
	s_and_saveexec_b32 s1, s0
	s_cbranch_execz .LBB1235_15
; %bb.8:
	global_load_b64 v[1:2], v55, s[4:5]
	s_or_b32 exec_lo, exec_lo, s1
	s_delay_alu instid0(SALU_CYCLE_1)
	s_mov_b32 s0, exec_lo
	v_cmpx_gt_u32_e64 s31, v39
	s_cbranch_execnz .LBB1235_16
.LBB1235_9:
	s_or_b32 exec_lo, exec_lo, s0
	s_delay_alu instid0(SALU_CYCLE_1)
	s_mov_b32 s0, exec_lo
	v_cmpx_gt_u32_e64 s31, v38
	s_cbranch_execz .LBB1235_17
.LBB1235_10:
	v_lshlrev_b32_e32 v5, 3, v38
	global_load_b64 v[5:6], v5, s[4:5]
	s_or_b32 exec_lo, exec_lo, s0
	s_delay_alu instid0(SALU_CYCLE_1)
	s_mov_b32 s0, exec_lo
	v_cmpx_gt_u32_e64 s31, v40
	s_cbranch_execnz .LBB1235_18
.LBB1235_11:
	s_or_b32 exec_lo, exec_lo, s0
	s_delay_alu instid0(SALU_CYCLE_1)
	s_mov_b32 s0, exec_lo
	v_cmpx_gt_u32_e64 s31, v37
	s_cbranch_execz .LBB1235_19
.LBB1235_12:
	v_lshlrev_b32_e32 v9, 3, v37
	global_load_b64 v[9:10], v9, s[4:5]
	s_or_b32 exec_lo, exec_lo, s0
	s_delay_alu instid0(SALU_CYCLE_1)
	s_mov_b32 s0, exec_lo
	v_cmpx_gt_u32_e64 s31, v35
	s_cbranch_execnz .LBB1235_20
.LBB1235_13:
	s_or_b32 exec_lo, exec_lo, s0
	s_delay_alu instid0(SALU_CYCLE_1)
	s_mov_b32 s0, exec_lo
	v_cmpx_gt_u32_e64 s31, v33
	s_cbranch_execz .LBB1235_21
.LBB1235_14:
	v_lshlrev_b32_e32 v13, 3, v33
	global_load_b64 v[13:14], v13, s[4:5]
	s_or_b32 exec_lo, exec_lo, s0
	s_delay_alu instid0(SALU_CYCLE_1)
	s_mov_b32 s0, exec_lo
	v_cmpx_gt_u32_e64 s31, v36
	s_cbranch_execnz .LBB1235_22
	s_branch .LBB1235_23
.LBB1235_15:
	s_or_b32 exec_lo, exec_lo, s1
	s_delay_alu instid0(SALU_CYCLE_1)
	s_mov_b32 s0, exec_lo
	v_cmpx_gt_u32_e64 s31, v39
	s_cbranch_execz .LBB1235_9
.LBB1235_16:
	v_lshlrev_b32_e32 v3, 3, v39
	global_load_b64 v[3:4], v3, s[4:5]
	s_or_b32 exec_lo, exec_lo, s0
	s_delay_alu instid0(SALU_CYCLE_1)
	s_mov_b32 s0, exec_lo
	v_cmpx_gt_u32_e64 s31, v38
	s_cbranch_execnz .LBB1235_10
.LBB1235_17:
	s_or_b32 exec_lo, exec_lo, s0
	s_delay_alu instid0(SALU_CYCLE_1)
	s_mov_b32 s0, exec_lo
	v_cmpx_gt_u32_e64 s31, v40
	s_cbranch_execz .LBB1235_11
.LBB1235_18:
	v_lshlrev_b32_e32 v7, 3, v40
	global_load_b64 v[7:8], v7, s[4:5]
	s_or_b32 exec_lo, exec_lo, s0
	s_delay_alu instid0(SALU_CYCLE_1)
	s_mov_b32 s0, exec_lo
	v_cmpx_gt_u32_e64 s31, v37
	s_cbranch_execnz .LBB1235_12
.LBB1235_19:
	s_or_b32 exec_lo, exec_lo, s0
	s_delay_alu instid0(SALU_CYCLE_1)
	s_mov_b32 s0, exec_lo
	v_cmpx_gt_u32_e64 s31, v35
	s_cbranch_execz .LBB1235_13
.LBB1235_20:
	v_lshlrev_b32_e32 v11, 3, v35
	global_load_b64 v[11:12], v11, s[4:5]
	s_or_b32 exec_lo, exec_lo, s0
	s_delay_alu instid0(SALU_CYCLE_1)
	s_mov_b32 s0, exec_lo
	v_cmpx_gt_u32_e64 s31, v33
	s_cbranch_execnz .LBB1235_14
.LBB1235_21:
	s_or_b32 exec_lo, exec_lo, s0
	s_delay_alu instid0(SALU_CYCLE_1)
	s_mov_b32 s0, exec_lo
	v_cmpx_gt_u32_e64 s31, v36
	s_cbranch_execz .LBB1235_23
.LBB1235_22:
	v_lshlrev_b32_e32 v15, 3, v36
	global_load_b64 v[15:16], v15, s[4:5]
.LBB1235_23:
	s_or_b32 exec_lo, exec_lo, s0
	v_lshrrev_b32_e32 v17, 2, v39
	v_lshrrev_b32_e32 v18, 2, v38
	;; [unrolled: 1-line block ×4, first 2 shown]
	v_and_b32_e32 v19, 0x78, v34
	v_lshrrev_b32_e32 v22, 2, v35
	v_lshrrev_b32_e32 v23, 2, v33
	;; [unrolled: 1-line block ×3, first 2 shown]
	v_and_b32_e32 v17, 0xf8, v17
	v_and_b32_e32 v18, 0x1f8, v18
	;; [unrolled: 1-line block ×4, first 2 shown]
	v_add_nc_u32_e32 v19, v19, v55
	v_and_b32_e32 v22, 0x3f8, v22
	v_and_b32_e32 v23, 0x3f8, v23
	;; [unrolled: 1-line block ×3, first 2 shown]
	v_add_nc_u32_e32 v17, v17, v55
	v_add_nc_u32_e32 v18, v18, v55
	;; [unrolled: 1-line block ×7, first 2 shown]
	s_waitcnt vmcnt(0)
	ds_store_b64 v19, v[1:2]
	ds_store_b64 v17, v[3:4] offset:4096
	ds_store_b64 v18, v[5:6] offset:8192
	;; [unrolled: 1-line block ×7, first 2 shown]
	s_waitcnt lgkmcnt(0)
	s_barrier
.LBB1235_24:
	v_add_lshl_u32 v41, v34, v55, 3
	buffer_gl0_inv
	s_add_u32 s0, s24, s26
	s_addc_u32 s1, s25, s27
	s_add_u32 s0, s0, s12
	ds_load_2addr_b64 v[29:32], v41 offset1:1
	ds_load_2addr_b64 v[25:28], v41 offset0:2 offset1:3
	ds_load_2addr_b64 v[21:24], v41 offset0:4 offset1:5
	;; [unrolled: 1-line block ×3, first 2 shown]
	s_addc_u32 s1, s1, s13
	s_and_b32 vcc_lo, exec_lo, s29
	s_mov_b32 s12, -1
	s_waitcnt lgkmcnt(0)
	s_barrier
	buffer_gl0_inv
	s_cbranch_vccz .LBB1235_26
; %bb.25:
	v_add_co_u32 v9, s12, s0, v55
	s_delay_alu instid0(VALU_DEP_1)
	v_add_co_ci_u32_e64 v10, null, s1, 0, s12
	global_load_b64 v[1:2], v55, s[0:1]
	v_add_co_u32 v3, vcc_lo, v9, 0x2000
	v_add_co_ci_u32_e32 v4, vcc_lo, 0, v10, vcc_lo
	v_add_co_u32 v5, vcc_lo, v9, 0x4000
	v_add_co_ci_u32_e32 v6, vcc_lo, 0, v10, vcc_lo
	;; [unrolled: 2-line block ×4, first 2 shown]
	s_clause 0x6
	global_load_b64 v[11:12], v[3:4], off offset:-4096
	global_load_b64 v[3:4], v[3:4], off
	global_load_b64 v[13:14], v[5:6], off offset:-4096
	global_load_b64 v[5:6], v[5:6], off
	;; [unrolled: 2-line block ×3, first 2 shown]
	global_load_b64 v[9:10], v[9:10], off
	v_lshrrev_b32_e32 v43, 2, v39
	v_lshrrev_b32_e32 v44, 2, v38
	;; [unrolled: 1-line block ×4, first 2 shown]
	v_and_b32_e32 v42, 0x78, v34
	v_lshrrev_b32_e32 v47, 2, v35
	v_lshrrev_b32_e32 v48, 2, v33
	;; [unrolled: 1-line block ×3, first 2 shown]
	v_and_b32_e32 v43, 0xf8, v43
	v_and_b32_e32 v44, 0x178, v44
	;; [unrolled: 1-line block ×4, first 2 shown]
	v_add_nc_u32_e32 v42, v42, v55
	v_and_b32_e32 v47, 0x2f8, v47
	v_and_b32_e32 v48, 0x378, v48
	;; [unrolled: 1-line block ×3, first 2 shown]
	v_add_nc_u32_e32 v43, v43, v55
	v_add_nc_u32_e32 v44, v44, v55
	;; [unrolled: 1-line block ×4, first 2 shown]
	s_mov_b32 s12, 0
	v_add_nc_u32_e32 v47, v47, v55
	v_add_nc_u32_e32 v48, v48, v55
	;; [unrolled: 1-line block ×3, first 2 shown]
	s_waitcnt vmcnt(7)
	ds_store_b64 v42, v[1:2]
	s_waitcnt vmcnt(6)
	ds_store_b64 v43, v[11:12] offset:4096
	s_waitcnt vmcnt(5)
	ds_store_b64 v44, v[3:4] offset:8192
	;; [unrolled: 2-line block ×7, first 2 shown]
	s_waitcnt lgkmcnt(0)
	s_barrier
.LBB1235_26:
	s_and_not1_b32 vcc_lo, exec_lo, s12
	s_cbranch_vccnz .LBB1235_44
; %bb.27:
	s_mov_b32 s12, exec_lo
                                        ; implicit-def: $vgpr1_vgpr2
	v_cmpx_gt_u32_e64 s31, v0
	s_cbranch_execz .LBB1235_29
; %bb.28:
	global_load_b64 v[1:2], v55, s[0:1]
.LBB1235_29:
	s_or_b32 exec_lo, exec_lo, s12
	s_delay_alu instid0(SALU_CYCLE_1)
	s_mov_b32 s12, exec_lo
                                        ; implicit-def: $vgpr3_vgpr4
	v_cmpx_gt_u32_e64 s31, v39
	s_cbranch_execz .LBB1235_31
; %bb.30:
	v_lshlrev_b32_e32 v3, 3, v39
	global_load_b64 v[3:4], v3, s[0:1]
.LBB1235_31:
	s_or_b32 exec_lo, exec_lo, s12
	s_delay_alu instid0(SALU_CYCLE_1)
	s_mov_b32 s12, exec_lo
                                        ; implicit-def: $vgpr5_vgpr6
	v_cmpx_gt_u32_e64 s31, v38
	s_cbranch_execz .LBB1235_33
; %bb.32:
	v_lshlrev_b32_e32 v5, 3, v38
	global_load_b64 v[5:6], v5, s[0:1]
.LBB1235_33:
	s_or_b32 exec_lo, exec_lo, s12
	s_delay_alu instid0(SALU_CYCLE_1)
	s_mov_b32 s12, exec_lo
                                        ; implicit-def: $vgpr7_vgpr8
	v_cmpx_gt_u32_e64 s31, v40
	s_cbranch_execz .LBB1235_35
; %bb.34:
	v_lshlrev_b32_e32 v7, 3, v40
	global_load_b64 v[7:8], v7, s[0:1]
.LBB1235_35:
	s_or_b32 exec_lo, exec_lo, s12
	s_delay_alu instid0(SALU_CYCLE_1)
	s_mov_b32 s12, exec_lo
                                        ; implicit-def: $vgpr9_vgpr10
	v_cmpx_gt_u32_e64 s31, v37
	s_cbranch_execz .LBB1235_37
; %bb.36:
	v_lshlrev_b32_e32 v9, 3, v37
	global_load_b64 v[9:10], v9, s[0:1]
.LBB1235_37:
	s_or_b32 exec_lo, exec_lo, s12
	s_delay_alu instid0(SALU_CYCLE_1)
	s_mov_b32 s12, exec_lo
                                        ; implicit-def: $vgpr11_vgpr12
	v_cmpx_gt_u32_e64 s31, v35
	s_cbranch_execz .LBB1235_39
; %bb.38:
	v_lshlrev_b32_e32 v11, 3, v35
	global_load_b64 v[11:12], v11, s[0:1]
.LBB1235_39:
	s_or_b32 exec_lo, exec_lo, s12
	s_delay_alu instid0(SALU_CYCLE_1)
	s_mov_b32 s12, exec_lo
                                        ; implicit-def: $vgpr13_vgpr14
	v_cmpx_gt_u32_e64 s31, v33
	s_cbranch_execz .LBB1235_41
; %bb.40:
	v_lshlrev_b32_e32 v13, 3, v33
	global_load_b64 v[13:14], v13, s[0:1]
.LBB1235_41:
	s_or_b32 exec_lo, exec_lo, s12
	s_delay_alu instid0(SALU_CYCLE_1)
	s_mov_b32 s12, exec_lo
                                        ; implicit-def: $vgpr15_vgpr16
	v_cmpx_gt_u32_e64 s31, v36
	s_cbranch_execz .LBB1235_43
; %bb.42:
	v_lshlrev_b32_e32 v15, 3, v36
	global_load_b64 v[15:16], v15, s[0:1]
.LBB1235_43:
	s_or_b32 exec_lo, exec_lo, s12
	v_lshrrev_b32_e32 v39, 2, v39
	v_lshrrev_b32_e32 v38, 2, v38
	;; [unrolled: 1-line block ×4, first 2 shown]
	v_and_b32_e32 v34, 0x78, v34
	v_lshrrev_b32_e32 v35, 2, v35
	v_lshrrev_b32_e32 v33, 2, v33
	;; [unrolled: 1-line block ×3, first 2 shown]
	v_and_b32_e32 v39, 0xf8, v39
	v_and_b32_e32 v38, 0x1f8, v38
	v_and_b32_e32 v40, 0x1f8, v40
	v_and_b32_e32 v37, 0x3f8, v37
	v_add_nc_u32_e32 v34, v34, v55
	v_and_b32_e32 v35, 0x3f8, v35
	v_and_b32_e32 v33, 0x3f8, v33
	v_and_b32_e32 v36, 0x3f8, v36
	v_add_nc_u32_e32 v39, v39, v55
	v_add_nc_u32_e32 v38, v38, v55
	;; [unrolled: 1-line block ×7, first 2 shown]
	s_waitcnt vmcnt(0)
	ds_store_b64 v34, v[1:2]
	ds_store_b64 v39, v[3:4] offset:4096
	ds_store_b64 v38, v[5:6] offset:8192
	;; [unrolled: 1-line block ×7, first 2 shown]
	s_waitcnt lgkmcnt(0)
	s_barrier
.LBB1235_44:
	buffer_gl0_inv
	ds_load_2addr_b64 v[13:16], v41 offset1:1
	ds_load_2addr_b64 v[9:12], v41 offset0:2 offset1:3
	ds_load_2addr_b64 v[5:8], v41 offset0:4 offset1:5
	;; [unrolled: 1-line block ×3, first 2 shown]
	s_cmp_lg_u32 s30, 0
	v_cmp_gt_i64_e64 s13, s[14:15], 0
	s_cselect_b32 s12, -1, 0
	s_cmp_lg_u64 s[6:7], 0
	s_mov_b32 s1, 0
	s_cselect_b32 s0, -1, 0
	s_waitcnt lgkmcnt(0)
	s_or_b32 s0, s0, s12
	s_barrier
	s_and_b32 vcc_lo, exec_lo, s0
	buffer_gl0_inv
	s_cbranch_vccz .LBB1235_53
; %bb.45:
	v_mov_b32_e32 v33, 0
	v_cndmask_b32_e64 v43, 0, 1, s13
	s_and_b32 vcc_lo, exec_lo, s29
	ds_store_b64 v55, v[19:20]
	global_load_b64 v[33:34], v33, s[4:5] offset:-8
	v_cmp_ne_u32_e64 s0, 1, v43
	s_cbranch_vccz .LBB1235_54
; %bb.46:
	v_mul_lo_u32 v37, v18, s14
	v_mul_lo_u32 v38, v17, s15
	v_mad_u64_u32 v[35:36], null, v17, s14, 0
	s_and_b32 vcc_lo, exec_lo, s0
	s_mov_b32 s24, 0
	s_delay_alu instid0(VALU_DEP_1) | instskip(NEXT) | instid1(VALU_DEP_1)
	v_add3_u32 v36, v36, v38, v37
	v_lshlrev_b64 v[35:36], 1, v[35:36]
	s_cbranch_vccnz .LBB1235_57
; %bb.47:
	v_mul_lo_u32 v39, v20, s14
	v_mul_lo_u32 v40, v19, s15
	v_mad_u64_u32 v[37:38], null, v19, s14, 0
	s_mov_b32 s24, -1
	s_mov_b32 s25, exec_lo
	s_delay_alu instid0(VALU_DEP_1) | instskip(NEXT) | instid1(VALU_DEP_1)
	v_add3_u32 v38, v38, v40, v39
	v_lshlrev_b64 v[37:38], 1, v[37:38]
	s_delay_alu instid0(VALU_DEP_1) | instskip(NEXT) | instid1(VALU_DEP_2)
	v_add_co_u32 v37, vcc_lo, s20, v37
	v_add_co_ci_u32_e32 v38, vcc_lo, s21, v38, vcc_lo
	v_add_co_u32 v39, vcc_lo, s20, v35
	v_add_co_ci_u32_e32 v40, vcc_lo, s21, v36, vcc_lo
	s_clause 0x1
	global_load_u16 v41, v[37:38], off
	global_load_u16 v42, v[39:40], off
	s_waitcnt vmcnt(1)
	v_lshlrev_b32_e32 v41, 16, v41
	s_waitcnt vmcnt(0)
	v_lshlrev_b32_e32 v42, 16, v42
	s_delay_alu instid0(VALU_DEP_1)
	v_cmpx_eq_f32_e32 v42, v41
	s_cbranch_execz .LBB1235_56
; %bb.48:
	v_add_co_u32 v37, vcc_lo, v37, 2
	v_add_co_ci_u32_e32 v38, vcc_lo, 0, v38, vcc_lo
	v_add_co_u32 v39, vcc_lo, v39, 2
	v_add_co_ci_u32_e32 v40, vcc_lo, 0, v40, vcc_lo
	s_add_u32 s4, s14, -1
	s_addc_u32 s5, s15, -1
	s_mov_b64 s[6:7], 0
	s_mov_b32 s24, 0
                                        ; implicit-def: $sgpr26
	s_set_inst_prefetch_distance 0x1
	s_branch .LBB1235_51
	.p2align	6
.LBB1235_49:                            ;   in Loop: Header=BB1235_51 Depth=1
	global_load_u16 v41, v[37:38], off
	global_load_u16 v42, v[39:40], off
	v_add_co_u32 v37, vcc_lo, v37, 2
	v_add_co_ci_u32_e32 v38, vcc_lo, 0, v38, vcc_lo
	v_add_co_u32 v39, s0, v39, 2
	s_delay_alu instid0(VALU_DEP_1)
	v_add_co_ci_u32_e64 v40, s0, 0, v40, s0
	s_add_u32 s6, s6, 1
	s_addc_u32 s7, s7, 0
	s_and_not1_b32 s0, s26, exec_lo
	s_waitcnt vmcnt(1)
	v_lshlrev_b32_e32 v41, 16, v41
	s_waitcnt vmcnt(0)
	v_lshlrev_b32_e32 v42, 16, v42
	s_delay_alu instid0(VALU_DEP_1) | instskip(SKIP_1) | instid1(SALU_CYCLE_1)
	v_cmp_neq_f32_e32 vcc_lo, v42, v41
	s_and_b32 s26, vcc_lo, exec_lo
	s_or_b32 s26, s0, s26
.LBB1235_50:                            ;   in Loop: Header=BB1235_51 Depth=1
	v_dual_mov_b32 v42, s7 :: v_dual_mov_b32 v41, s6
	s_and_b32 s0, exec_lo, s26
	s_delay_alu instid0(SALU_CYCLE_1) | instskip(NEXT) | instid1(SALU_CYCLE_1)
	s_or_b32 s24, s0, s24
	s_and_not1_b32 exec_lo, exec_lo, s24
	s_cbranch_execz .LBB1235_55
.LBB1235_51:                            ; =>This Inner Loop Header: Depth=1
	s_or_b32 s26, s26, exec_lo
	s_cmp_eq_u64 s[4:5], s[6:7]
	s_cbranch_scc0 .LBB1235_49
; %bb.52:                               ;   in Loop: Header=BB1235_51 Depth=1
	s_mov_b64 s[6:7], s[14:15]
                                        ; implicit-def: $vgpr37_vgpr38
                                        ; implicit-def: $vgpr39_vgpr40
	s_branch .LBB1235_50
.LBB1235_53:
                                        ; implicit-def: $sgpr0
                                        ; implicit-def: $vgpr36
	s_branch .LBB1235_215
.LBB1235_54:
                                        ; implicit-def: $sgpr0
                                        ; implicit-def: $vgpr36
	s_cbranch_execnz .LBB1235_123
	s_branch .LBB1235_214
.LBB1235_55:
	s_set_inst_prefetch_distance 0x2
	s_or_b32 exec_lo, exec_lo, s24
	v_cmp_gt_i64_e32 vcc_lo, s[14:15], v[41:42]
	s_or_not1_b32 s24, vcc_lo, exec_lo
.LBB1235_56:
	s_or_b32 exec_lo, exec_lo, s25
.LBB1235_57:
	v_mul_lo_u32 v39, v24, s14
	v_mul_lo_u32 v40, v23, s15
	v_mad_u64_u32 v[37:38], null, v23, s14, 0
	s_and_not1_b32 vcc_lo, exec_lo, s13
	s_delay_alu instid0(VALU_DEP_1) | instskip(NEXT) | instid1(VALU_DEP_1)
	v_add3_u32 v38, v38, v40, v39
	v_lshlrev_b64 v[37:38], 1, v[37:38]
	s_cbranch_vccnz .LBB1235_66
; %bb.58:
	v_add_co_u32 v35, vcc_lo, s20, v35
	v_add_co_ci_u32_e32 v36, vcc_lo, s21, v36, vcc_lo
	s_delay_alu instid0(VALU_DEP_3) | instskip(NEXT) | instid1(VALU_DEP_4)
	v_add_co_u32 v39, vcc_lo, s20, v37
	v_add_co_ci_u32_e32 v40, vcc_lo, s21, v38, vcc_lo
	s_mov_b32 s1, -1
	s_clause 0x1
	global_load_u16 v41, v[35:36], off
	global_load_u16 v42, v[39:40], off
	s_mov_b32 s25, exec_lo
	s_waitcnt vmcnt(1)
	v_lshlrev_b32_e32 v41, 16, v41
	s_waitcnt vmcnt(0)
	v_lshlrev_b32_e32 v42, 16, v42
	s_delay_alu instid0(VALU_DEP_1)
	v_cmpx_eq_f32_e32 v42, v41
	s_cbranch_execz .LBB1235_65
; %bb.59:
	v_add_co_u32 v35, vcc_lo, v35, 2
	v_add_co_ci_u32_e32 v36, vcc_lo, 0, v36, vcc_lo
	v_add_co_u32 v39, vcc_lo, v39, 2
	v_add_co_ci_u32_e32 v40, vcc_lo, 0, v40, vcc_lo
	s_add_u32 s4, s14, -1
	s_addc_u32 s5, s15, -1
	s_mov_b64 s[6:7], 0
	s_mov_b32 s1, 0
                                        ; implicit-def: $sgpr26
	s_set_inst_prefetch_distance 0x1
	s_branch .LBB1235_62
	.p2align	6
.LBB1235_60:                            ;   in Loop: Header=BB1235_62 Depth=1
	global_load_u16 v41, v[35:36], off
	global_load_u16 v42, v[39:40], off
	v_add_co_u32 v35, vcc_lo, v35, 2
	v_add_co_ci_u32_e32 v36, vcc_lo, 0, v36, vcc_lo
	v_add_co_u32 v39, s0, v39, 2
	s_delay_alu instid0(VALU_DEP_1)
	v_add_co_ci_u32_e64 v40, s0, 0, v40, s0
	s_add_u32 s6, s6, 1
	s_addc_u32 s7, s7, 0
	s_and_not1_b32 s0, s26, exec_lo
	s_waitcnt vmcnt(1)
	v_lshlrev_b32_e32 v41, 16, v41
	s_waitcnt vmcnt(0)
	v_lshlrev_b32_e32 v42, 16, v42
	s_delay_alu instid0(VALU_DEP_1) | instskip(SKIP_1) | instid1(SALU_CYCLE_1)
	v_cmp_neq_f32_e32 vcc_lo, v42, v41
	s_and_b32 s26, vcc_lo, exec_lo
	s_or_b32 s26, s0, s26
.LBB1235_61:                            ;   in Loop: Header=BB1235_62 Depth=1
	v_dual_mov_b32 v42, s7 :: v_dual_mov_b32 v41, s6
	s_and_b32 s0, exec_lo, s26
	s_delay_alu instid0(SALU_CYCLE_1) | instskip(NEXT) | instid1(SALU_CYCLE_1)
	s_or_b32 s1, s0, s1
	s_and_not1_b32 exec_lo, exec_lo, s1
	s_cbranch_execz .LBB1235_64
.LBB1235_62:                            ; =>This Inner Loop Header: Depth=1
	s_or_b32 s26, s26, exec_lo
	s_cmp_eq_u64 s[4:5], s[6:7]
	s_cbranch_scc0 .LBB1235_60
; %bb.63:                               ;   in Loop: Header=BB1235_62 Depth=1
	s_mov_b64 s[6:7], s[14:15]
                                        ; implicit-def: $vgpr35_vgpr36
                                        ; implicit-def: $vgpr39_vgpr40
	s_branch .LBB1235_61
.LBB1235_64:
	s_set_inst_prefetch_distance 0x2
	s_or_b32 exec_lo, exec_lo, s1
	v_cmp_gt_i64_e32 vcc_lo, s[14:15], v[41:42]
	s_or_not1_b32 s1, vcc_lo, exec_lo
.LBB1235_65:
	s_or_b32 exec_lo, exec_lo, s25
.LBB1235_66:
	v_mul_lo_u32 v39, v22, s14
	v_mul_lo_u32 v40, v21, s15
	v_mad_u64_u32 v[35:36], null, v21, s14, 0
	s_mov_b32 s25, 0
	s_and_not1_b32 vcc_lo, exec_lo, s13
	s_mov_b32 s26, 0
	s_delay_alu instid0(VALU_DEP_1) | instskip(NEXT) | instid1(VALU_DEP_1)
	v_add3_u32 v36, v36, v40, v39
	v_lshlrev_b64 v[39:40], 1, v[35:36]
	s_cbranch_vccnz .LBB1235_75
; %bb.67:
	v_add_co_u32 v35, vcc_lo, s20, v37
	v_add_co_ci_u32_e32 v36, vcc_lo, s21, v38, vcc_lo
	s_delay_alu instid0(VALU_DEP_3) | instskip(NEXT) | instid1(VALU_DEP_4)
	v_add_co_u32 v37, vcc_lo, s20, v39
	v_add_co_ci_u32_e32 v38, vcc_lo, s21, v40, vcc_lo
	s_mov_b32 s26, -1
	s_clause 0x1
	global_load_u16 v41, v[35:36], off
	global_load_u16 v42, v[37:38], off
	s_mov_b32 s27, exec_lo
	s_waitcnt vmcnt(1)
	v_lshlrev_b32_e32 v41, 16, v41
	s_waitcnt vmcnt(0)
	v_lshlrev_b32_e32 v42, 16, v42
	s_delay_alu instid0(VALU_DEP_1)
	v_cmpx_eq_f32_e32 v42, v41
	s_cbranch_execz .LBB1235_74
; %bb.68:
	v_add_co_u32 v35, vcc_lo, v35, 2
	v_add_co_ci_u32_e32 v36, vcc_lo, 0, v36, vcc_lo
	v_add_co_u32 v37, vcc_lo, v37, 2
	v_add_co_ci_u32_e32 v38, vcc_lo, 0, v38, vcc_lo
	s_add_u32 s4, s14, -1
	s_addc_u32 s5, s15, -1
	s_mov_b64 s[6:7], 0
	s_mov_b32 s26, 0
                                        ; implicit-def: $sgpr34
	s_set_inst_prefetch_distance 0x1
	s_branch .LBB1235_71
	.p2align	6
.LBB1235_69:                            ;   in Loop: Header=BB1235_71 Depth=1
	global_load_u16 v41, v[35:36], off
	global_load_u16 v42, v[37:38], off
	v_add_co_u32 v35, vcc_lo, v35, 2
	v_add_co_ci_u32_e32 v36, vcc_lo, 0, v36, vcc_lo
	v_add_co_u32 v37, s0, v37, 2
	s_delay_alu instid0(VALU_DEP_1)
	v_add_co_ci_u32_e64 v38, s0, 0, v38, s0
	s_add_u32 s6, s6, 1
	s_addc_u32 s7, s7, 0
	s_and_not1_b32 s0, s34, exec_lo
	s_waitcnt vmcnt(1)
	v_lshlrev_b32_e32 v41, 16, v41
	s_waitcnt vmcnt(0)
	v_lshlrev_b32_e32 v42, 16, v42
	s_delay_alu instid0(VALU_DEP_1) | instskip(SKIP_1) | instid1(SALU_CYCLE_1)
	v_cmp_neq_f32_e32 vcc_lo, v42, v41
	s_and_b32 s34, vcc_lo, exec_lo
	s_or_b32 s34, s0, s34
.LBB1235_70:                            ;   in Loop: Header=BB1235_71 Depth=1
	v_dual_mov_b32 v42, s7 :: v_dual_mov_b32 v41, s6
	s_and_b32 s0, exec_lo, s34
	s_delay_alu instid0(SALU_CYCLE_1) | instskip(NEXT) | instid1(SALU_CYCLE_1)
	s_or_b32 s26, s0, s26
	s_and_not1_b32 exec_lo, exec_lo, s26
	s_cbranch_execz .LBB1235_73
.LBB1235_71:                            ; =>This Inner Loop Header: Depth=1
	s_or_b32 s34, s34, exec_lo
	s_cmp_eq_u64 s[4:5], s[6:7]
	s_cbranch_scc0 .LBB1235_69
; %bb.72:                               ;   in Loop: Header=BB1235_71 Depth=1
	s_mov_b64 s[6:7], s[14:15]
                                        ; implicit-def: $vgpr35_vgpr36
                                        ; implicit-def: $vgpr37_vgpr38
	s_branch .LBB1235_70
.LBB1235_73:
	s_set_inst_prefetch_distance 0x2
	s_or_b32 exec_lo, exec_lo, s26
	v_cmp_gt_i64_e32 vcc_lo, s[14:15], v[41:42]
	s_or_not1_b32 s26, vcc_lo, exec_lo
.LBB1235_74:
	s_or_b32 exec_lo, exec_lo, s27
.LBB1235_75:
	v_mul_lo_u32 v37, v28, s14
	v_mul_lo_u32 v38, v27, s15
	v_mad_u64_u32 v[35:36], null, v27, s14, 0
	s_and_not1_b32 vcc_lo, exec_lo, s13
	s_delay_alu instid0(VALU_DEP_1) | instskip(NEXT) | instid1(VALU_DEP_1)
	v_add3_u32 v36, v36, v38, v37
	v_lshlrev_b64 v[35:36], 1, v[35:36]
	s_cbranch_vccnz .LBB1235_84
; %bb.76:
	v_add_co_u32 v37, vcc_lo, s20, v39
	v_add_co_ci_u32_e32 v38, vcc_lo, s21, v40, vcc_lo
	s_delay_alu instid0(VALU_DEP_3) | instskip(NEXT) | instid1(VALU_DEP_4)
	v_add_co_u32 v39, vcc_lo, s20, v35
	v_add_co_ci_u32_e32 v40, vcc_lo, s21, v36, vcc_lo
	s_mov_b32 s25, -1
	s_clause 0x1
	global_load_u16 v41, v[37:38], off
	global_load_u16 v42, v[39:40], off
	s_mov_b32 s27, exec_lo
	s_waitcnt vmcnt(1)
	v_lshlrev_b32_e32 v41, 16, v41
	s_waitcnt vmcnt(0)
	v_lshlrev_b32_e32 v42, 16, v42
	s_delay_alu instid0(VALU_DEP_1)
	v_cmpx_eq_f32_e32 v42, v41
	s_cbranch_execz .LBB1235_83
; %bb.77:
	v_add_co_u32 v37, vcc_lo, v37, 2
	v_add_co_ci_u32_e32 v38, vcc_lo, 0, v38, vcc_lo
	v_add_co_u32 v39, vcc_lo, v39, 2
	v_add_co_ci_u32_e32 v40, vcc_lo, 0, v40, vcc_lo
	s_add_u32 s4, s14, -1
	s_addc_u32 s5, s15, -1
	s_mov_b64 s[6:7], 0
	s_mov_b32 s25, 0
                                        ; implicit-def: $sgpr34
	s_set_inst_prefetch_distance 0x1
	s_branch .LBB1235_80
	.p2align	6
.LBB1235_78:                            ;   in Loop: Header=BB1235_80 Depth=1
	global_load_u16 v41, v[37:38], off
	global_load_u16 v42, v[39:40], off
	v_add_co_u32 v37, vcc_lo, v37, 2
	v_add_co_ci_u32_e32 v38, vcc_lo, 0, v38, vcc_lo
	v_add_co_u32 v39, s0, v39, 2
	s_delay_alu instid0(VALU_DEP_1)
	v_add_co_ci_u32_e64 v40, s0, 0, v40, s0
	s_add_u32 s6, s6, 1
	s_addc_u32 s7, s7, 0
	s_and_not1_b32 s0, s34, exec_lo
	s_waitcnt vmcnt(1)
	v_lshlrev_b32_e32 v41, 16, v41
	s_waitcnt vmcnt(0)
	v_lshlrev_b32_e32 v42, 16, v42
	s_delay_alu instid0(VALU_DEP_1) | instskip(SKIP_1) | instid1(SALU_CYCLE_1)
	v_cmp_neq_f32_e32 vcc_lo, v42, v41
	s_and_b32 s34, vcc_lo, exec_lo
	s_or_b32 s34, s0, s34
.LBB1235_79:                            ;   in Loop: Header=BB1235_80 Depth=1
	v_dual_mov_b32 v42, s7 :: v_dual_mov_b32 v41, s6
	s_and_b32 s0, exec_lo, s34
	s_delay_alu instid0(SALU_CYCLE_1) | instskip(NEXT) | instid1(SALU_CYCLE_1)
	s_or_b32 s25, s0, s25
	s_and_not1_b32 exec_lo, exec_lo, s25
	s_cbranch_execz .LBB1235_82
.LBB1235_80:                            ; =>This Inner Loop Header: Depth=1
	s_or_b32 s34, s34, exec_lo
	s_cmp_eq_u64 s[4:5], s[6:7]
	s_cbranch_scc0 .LBB1235_78
; %bb.81:                               ;   in Loop: Header=BB1235_80 Depth=1
	s_mov_b64 s[6:7], s[14:15]
                                        ; implicit-def: $vgpr37_vgpr38
                                        ; implicit-def: $vgpr39_vgpr40
	s_branch .LBB1235_79
.LBB1235_82:
	s_set_inst_prefetch_distance 0x2
	s_or_b32 exec_lo, exec_lo, s25
	v_cmp_gt_i64_e32 vcc_lo, s[14:15], v[41:42]
	s_or_not1_b32 s25, vcc_lo, exec_lo
.LBB1235_83:
	s_or_b32 exec_lo, exec_lo, s27
.LBB1235_84:
	v_mul_lo_u32 v39, v26, s14
	v_mul_lo_u32 v40, v25, s15
	v_mad_u64_u32 v[37:38], null, v25, s14, 0
	s_mov_b32 s27, 0
	s_and_not1_b32 vcc_lo, exec_lo, s13
	s_mov_b32 s34, 0
	s_delay_alu instid0(VALU_DEP_1) | instskip(NEXT) | instid1(VALU_DEP_1)
	v_add3_u32 v38, v38, v40, v39
	v_lshlrev_b64 v[39:40], 1, v[37:38]
	s_cbranch_vccnz .LBB1235_93
; %bb.85:
	v_add_co_u32 v35, vcc_lo, s20, v35
	v_add_co_ci_u32_e32 v36, vcc_lo, s21, v36, vcc_lo
	s_delay_alu instid0(VALU_DEP_3) | instskip(NEXT) | instid1(VALU_DEP_4)
	v_add_co_u32 v37, vcc_lo, s20, v39
	v_add_co_ci_u32_e32 v38, vcc_lo, s21, v40, vcc_lo
	s_mov_b32 s34, -1
	s_clause 0x1
	global_load_u16 v41, v[35:36], off
	global_load_u16 v42, v[37:38], off
	s_mov_b32 s35, exec_lo
	s_waitcnt vmcnt(1)
	v_lshlrev_b32_e32 v41, 16, v41
	s_waitcnt vmcnt(0)
	v_lshlrev_b32_e32 v42, 16, v42
	s_delay_alu instid0(VALU_DEP_1)
	v_cmpx_eq_f32_e32 v42, v41
	s_cbranch_execz .LBB1235_92
; %bb.86:
	v_add_co_u32 v35, vcc_lo, v35, 2
	v_add_co_ci_u32_e32 v36, vcc_lo, 0, v36, vcc_lo
	v_add_co_u32 v37, vcc_lo, v37, 2
	v_add_co_ci_u32_e32 v38, vcc_lo, 0, v38, vcc_lo
	s_add_u32 s4, s14, -1
	s_addc_u32 s5, s15, -1
	s_mov_b64 s[6:7], 0
	s_mov_b32 s34, 0
                                        ; implicit-def: $sgpr36
	s_set_inst_prefetch_distance 0x1
	s_branch .LBB1235_89
	.p2align	6
.LBB1235_87:                            ;   in Loop: Header=BB1235_89 Depth=1
	global_load_u16 v41, v[35:36], off
	global_load_u16 v42, v[37:38], off
	v_add_co_u32 v35, vcc_lo, v35, 2
	v_add_co_ci_u32_e32 v36, vcc_lo, 0, v36, vcc_lo
	v_add_co_u32 v37, s0, v37, 2
	s_delay_alu instid0(VALU_DEP_1)
	v_add_co_ci_u32_e64 v38, s0, 0, v38, s0
	s_add_u32 s6, s6, 1
	s_addc_u32 s7, s7, 0
	s_and_not1_b32 s0, s36, exec_lo
	s_waitcnt vmcnt(1)
	v_lshlrev_b32_e32 v41, 16, v41
	s_waitcnt vmcnt(0)
	v_lshlrev_b32_e32 v42, 16, v42
	s_delay_alu instid0(VALU_DEP_1) | instskip(SKIP_1) | instid1(SALU_CYCLE_1)
	v_cmp_neq_f32_e32 vcc_lo, v42, v41
	s_and_b32 s36, vcc_lo, exec_lo
	s_or_b32 s36, s0, s36
.LBB1235_88:                            ;   in Loop: Header=BB1235_89 Depth=1
	v_dual_mov_b32 v42, s7 :: v_dual_mov_b32 v41, s6
	s_and_b32 s0, exec_lo, s36
	s_delay_alu instid0(SALU_CYCLE_1) | instskip(NEXT) | instid1(SALU_CYCLE_1)
	s_or_b32 s34, s0, s34
	s_and_not1_b32 exec_lo, exec_lo, s34
	s_cbranch_execz .LBB1235_91
.LBB1235_89:                            ; =>This Inner Loop Header: Depth=1
	s_or_b32 s36, s36, exec_lo
	s_cmp_eq_u64 s[4:5], s[6:7]
	s_cbranch_scc0 .LBB1235_87
; %bb.90:                               ;   in Loop: Header=BB1235_89 Depth=1
	s_mov_b64 s[6:7], s[14:15]
                                        ; implicit-def: $vgpr35_vgpr36
                                        ; implicit-def: $vgpr37_vgpr38
	s_branch .LBB1235_88
.LBB1235_91:
	s_set_inst_prefetch_distance 0x2
	s_or_b32 exec_lo, exec_lo, s34
	v_cmp_gt_i64_e32 vcc_lo, s[14:15], v[41:42]
	s_or_not1_b32 s34, vcc_lo, exec_lo
.LBB1235_92:
	s_or_b32 exec_lo, exec_lo, s35
.LBB1235_93:
	v_mul_lo_u32 v37, v32, s14
	v_mul_lo_u32 v38, v31, s15
	v_mad_u64_u32 v[35:36], null, v31, s14, 0
	s_and_not1_b32 vcc_lo, exec_lo, s13
	s_delay_alu instid0(VALU_DEP_1) | instskip(NEXT) | instid1(VALU_DEP_1)
	v_add3_u32 v36, v36, v38, v37
	v_lshlrev_b64 v[37:38], 1, v[35:36]
	s_cbranch_vccnz .LBB1235_102
; %bb.94:
	v_add_co_u32 v35, vcc_lo, s20, v39
	v_add_co_ci_u32_e32 v36, vcc_lo, s21, v40, vcc_lo
	s_delay_alu instid0(VALU_DEP_3) | instskip(NEXT) | instid1(VALU_DEP_4)
	v_add_co_u32 v39, vcc_lo, s20, v37
	v_add_co_ci_u32_e32 v40, vcc_lo, s21, v38, vcc_lo
	s_mov_b32 s27, -1
	s_clause 0x1
	global_load_u16 v41, v[35:36], off
	global_load_u16 v42, v[39:40], off
	s_mov_b32 s35, exec_lo
	s_waitcnt vmcnt(1)
	v_lshlrev_b32_e32 v41, 16, v41
	s_waitcnt vmcnt(0)
	v_lshlrev_b32_e32 v42, 16, v42
	s_delay_alu instid0(VALU_DEP_1)
	v_cmpx_eq_f32_e32 v42, v41
	s_cbranch_execz .LBB1235_101
; %bb.95:
	v_add_co_u32 v35, vcc_lo, v35, 2
	v_add_co_ci_u32_e32 v36, vcc_lo, 0, v36, vcc_lo
	v_add_co_u32 v39, vcc_lo, v39, 2
	v_add_co_ci_u32_e32 v40, vcc_lo, 0, v40, vcc_lo
	s_add_u32 s4, s14, -1
	s_addc_u32 s5, s15, -1
	s_mov_b64 s[6:7], 0
	s_mov_b32 s27, 0
                                        ; implicit-def: $sgpr36
	s_set_inst_prefetch_distance 0x1
	s_branch .LBB1235_98
	.p2align	6
.LBB1235_96:                            ;   in Loop: Header=BB1235_98 Depth=1
	global_load_u16 v41, v[35:36], off
	global_load_u16 v42, v[39:40], off
	v_add_co_u32 v35, vcc_lo, v35, 2
	v_add_co_ci_u32_e32 v36, vcc_lo, 0, v36, vcc_lo
	v_add_co_u32 v39, s0, v39, 2
	s_delay_alu instid0(VALU_DEP_1)
	v_add_co_ci_u32_e64 v40, s0, 0, v40, s0
	s_add_u32 s6, s6, 1
	s_addc_u32 s7, s7, 0
	s_and_not1_b32 s0, s36, exec_lo
	s_waitcnt vmcnt(1)
	v_lshlrev_b32_e32 v41, 16, v41
	s_waitcnt vmcnt(0)
	v_lshlrev_b32_e32 v42, 16, v42
	s_delay_alu instid0(VALU_DEP_1) | instskip(SKIP_1) | instid1(SALU_CYCLE_1)
	v_cmp_neq_f32_e32 vcc_lo, v42, v41
	s_and_b32 s36, vcc_lo, exec_lo
	s_or_b32 s36, s0, s36
.LBB1235_97:                            ;   in Loop: Header=BB1235_98 Depth=1
	v_dual_mov_b32 v42, s7 :: v_dual_mov_b32 v41, s6
	s_and_b32 s0, exec_lo, s36
	s_delay_alu instid0(SALU_CYCLE_1) | instskip(NEXT) | instid1(SALU_CYCLE_1)
	s_or_b32 s27, s0, s27
	s_and_not1_b32 exec_lo, exec_lo, s27
	s_cbranch_execz .LBB1235_100
.LBB1235_98:                            ; =>This Inner Loop Header: Depth=1
	s_or_b32 s36, s36, exec_lo
	s_cmp_eq_u64 s[4:5], s[6:7]
	s_cbranch_scc0 .LBB1235_96
; %bb.99:                               ;   in Loop: Header=BB1235_98 Depth=1
	s_mov_b64 s[6:7], s[14:15]
                                        ; implicit-def: $vgpr35_vgpr36
                                        ; implicit-def: $vgpr39_vgpr40
	s_branch .LBB1235_97
.LBB1235_100:
	s_set_inst_prefetch_distance 0x2
	s_or_b32 exec_lo, exec_lo, s27
	v_cmp_gt_i64_e32 vcc_lo, s[14:15], v[41:42]
	s_or_not1_b32 s27, vcc_lo, exec_lo
.LBB1235_101:
	s_or_b32 exec_lo, exec_lo, s35
.LBB1235_102:
	v_mul_lo_u32 v39, v30, s14
	v_mul_lo_u32 v40, v29, s15
	v_mad_u64_u32 v[35:36], null, v29, s14, 0
	s_and_not1_b32 vcc_lo, exec_lo, s13
	s_mov_b32 s0, 0
	s_delay_alu instid0(VALU_DEP_1) | instskip(NEXT) | instid1(VALU_DEP_1)
	v_add3_u32 v36, v36, v40, v39
	v_lshlrev_b64 v[35:36], 1, v[35:36]
	s_cbranch_vccnz .LBB1235_111
; %bb.103:
	v_add_co_u32 v37, vcc_lo, s20, v37
	v_add_co_ci_u32_e32 v38, vcc_lo, s21, v38, vcc_lo
	s_delay_alu instid0(VALU_DEP_3) | instskip(NEXT) | instid1(VALU_DEP_4)
	v_add_co_u32 v39, vcc_lo, s20, v35
	v_add_co_ci_u32_e32 v40, vcc_lo, s21, v36, vcc_lo
	s_mov_b32 s0, -1
	s_clause 0x1
	global_load_u16 v41, v[37:38], off
	global_load_u16 v42, v[39:40], off
	s_mov_b32 s35, exec_lo
	s_waitcnt vmcnt(1)
	v_lshlrev_b32_e32 v41, 16, v41
	s_waitcnt vmcnt(0)
	v_lshlrev_b32_e32 v42, 16, v42
	s_delay_alu instid0(VALU_DEP_1)
	v_cmpx_eq_f32_e32 v42, v41
	s_cbranch_execz .LBB1235_110
; %bb.104:
	v_add_co_u32 v37, vcc_lo, v37, 2
	v_add_co_ci_u32_e32 v38, vcc_lo, 0, v38, vcc_lo
	v_add_co_u32 v39, vcc_lo, v39, 2
	v_add_co_ci_u32_e32 v40, vcc_lo, 0, v40, vcc_lo
	s_add_u32 s4, s14, -1
	s_addc_u32 s5, s15, -1
	s_mov_b64 s[6:7], 0
	s_mov_b32 s36, 0
                                        ; implicit-def: $sgpr37
	s_set_inst_prefetch_distance 0x1
	s_branch .LBB1235_107
	.p2align	6
.LBB1235_105:                           ;   in Loop: Header=BB1235_107 Depth=1
	global_load_u16 v41, v[37:38], off
	global_load_u16 v42, v[39:40], off
	v_add_co_u32 v37, vcc_lo, v37, 2
	v_add_co_ci_u32_e32 v38, vcc_lo, 0, v38, vcc_lo
	v_add_co_u32 v39, s0, v39, 2
	s_delay_alu instid0(VALU_DEP_1)
	v_add_co_ci_u32_e64 v40, s0, 0, v40, s0
	s_add_u32 s6, s6, 1
	s_addc_u32 s7, s7, 0
	s_and_not1_b32 s0, s37, exec_lo
	s_waitcnt vmcnt(1)
	v_lshlrev_b32_e32 v41, 16, v41
	s_waitcnt vmcnt(0)
	v_lshlrev_b32_e32 v42, 16, v42
	s_delay_alu instid0(VALU_DEP_1) | instskip(SKIP_1) | instid1(SALU_CYCLE_1)
	v_cmp_neq_f32_e32 vcc_lo, v42, v41
	s_and_b32 s37, vcc_lo, exec_lo
	s_or_b32 s37, s0, s37
.LBB1235_106:                           ;   in Loop: Header=BB1235_107 Depth=1
	v_dual_mov_b32 v42, s7 :: v_dual_mov_b32 v41, s6
	s_and_b32 s0, exec_lo, s37
	s_delay_alu instid0(SALU_CYCLE_1) | instskip(NEXT) | instid1(SALU_CYCLE_1)
	s_or_b32 s36, s0, s36
	s_and_not1_b32 exec_lo, exec_lo, s36
	s_cbranch_execz .LBB1235_109
.LBB1235_107:                           ; =>This Inner Loop Header: Depth=1
	s_or_b32 s37, s37, exec_lo
	s_cmp_eq_u64 s[4:5], s[6:7]
	s_cbranch_scc0 .LBB1235_105
; %bb.108:                              ;   in Loop: Header=BB1235_107 Depth=1
	s_mov_b64 s[6:7], s[14:15]
                                        ; implicit-def: $vgpr37_vgpr38
                                        ; implicit-def: $vgpr39_vgpr40
	s_branch .LBB1235_106
.LBB1235_109:
	s_set_inst_prefetch_distance 0x2
	s_or_b32 exec_lo, exec_lo, s36
	v_cmp_gt_i64_e32 vcc_lo, s[14:15], v[41:42]
	s_or_not1_b32 s0, vcc_lo, exec_lo
.LBB1235_110:
	s_or_b32 exec_lo, exec_lo, s35
.LBB1235_111:
	s_waitcnt vmcnt(0)
	v_dual_mov_b32 v38, v34 :: v_dual_mov_b32 v37, v33
	s_waitcnt lgkmcnt(0)
	s_barrier
	buffer_gl0_inv
	s_and_saveexec_b32 s4, s3
	s_cbranch_execz .LBB1235_113
; %bb.112:
	v_add_nc_u32_e32 v37, -8, v55
	ds_load_b64 v[37:38], v37
.LBB1235_113:
	s_or_b32 exec_lo, exec_lo, s4
	v_cndmask_b32_e64 v40, 0, 1, s34
	v_cndmask_b32_e64 v42, 0, 1, s26
	;; [unrolled: 1-line block ×7, first 2 shown]
	v_lshlrev_b16 v40, 8, v40
	v_lshlrev_b16 v42, 8, v42
	;; [unrolled: 1-line block ×4, first 2 shown]
	s_mov_b32 s1, 0
	v_or_b32_e32 v39, v39, v40
	v_or_b32_e32 v40, v41, v42
	;; [unrolled: 1-line block ×3, first 2 shown]
	v_and_b32_e32 v41, 0xffff, v45
	s_and_not1_b32 vcc_lo, exec_lo, s13
	v_lshlrev_b32_e32 v42, 16, v39
	v_and_b32_e32 v44, 0xffff, v40
	v_lshlrev_b32_e32 v45, 16, v46
	s_mov_b32 s0, 0
	s_cbranch_vccnz .LBB1235_122
; %bb.114:
	s_waitcnt lgkmcnt(0)
	v_mul_lo_u32 v40, v38, s14
	v_mul_lo_u32 v46, v37, s15
	v_mad_u64_u32 v[38:39], null, v37, s14, 0
	s_mov_b32 s0, -1
	s_mov_b32 s24, exec_lo
	s_delay_alu instid0(VALU_DEP_1) | instskip(NEXT) | instid1(VALU_DEP_1)
	v_add3_u32 v39, v39, v46, v40
	v_lshlrev_b64 v[37:38], 1, v[38:39]
	s_delay_alu instid0(VALU_DEP_1) | instskip(NEXT) | instid1(VALU_DEP_2)
	v_add_co_u32 v37, vcc_lo, s20, v37
	v_add_co_ci_u32_e32 v38, vcc_lo, s21, v38, vcc_lo
	v_add_co_u32 v35, vcc_lo, s20, v35
	v_add_co_ci_u32_e32 v36, vcc_lo, s21, v36, vcc_lo
	s_clause 0x1
	global_load_u16 v39, v[37:38], off
	global_load_u16 v40, v[35:36], off
	s_waitcnt vmcnt(1)
	v_lshlrev_b32_e32 v39, 16, v39
	s_waitcnt vmcnt(0)
	v_lshlrev_b32_e32 v40, 16, v40
	s_delay_alu instid0(VALU_DEP_1)
	v_cmpx_eq_f32_e32 v39, v40
	s_cbranch_execz .LBB1235_121
; %bb.115:
	v_add_co_u32 v35, vcc_lo, v35, 2
	v_add_co_ci_u32_e32 v36, vcc_lo, 0, v36, vcc_lo
	v_add_co_u32 v37, vcc_lo, v37, 2
	v_add_co_ci_u32_e32 v38, vcc_lo, 0, v38, vcc_lo
	s_add_u32 s4, s14, -1
	s_addc_u32 s5, s15, -1
	s_mov_b64 s[6:7], 0
	s_mov_b32 s25, 0
                                        ; implicit-def: $sgpr26
	s_set_inst_prefetch_distance 0x1
	s_branch .LBB1235_118
	.p2align	6
.LBB1235_116:                           ;   in Loop: Header=BB1235_118 Depth=1
	global_load_u16 v39, v[35:36], off
	global_load_u16 v40, v[37:38], off
	v_add_co_u32 v35, vcc_lo, v35, 2
	v_add_co_ci_u32_e32 v36, vcc_lo, 0, v36, vcc_lo
	v_add_co_u32 v37, s0, v37, 2
	s_delay_alu instid0(VALU_DEP_1)
	v_add_co_ci_u32_e64 v38, s0, 0, v38, s0
	s_add_u32 s6, s6, 1
	s_addc_u32 s7, s7, 0
	s_and_not1_b32 s0, s26, exec_lo
	s_waitcnt vmcnt(1)
	v_lshlrev_b32_e32 v39, 16, v39
	s_waitcnt vmcnt(0)
	v_lshlrev_b32_e32 v40, 16, v40
	s_delay_alu instid0(VALU_DEP_1) | instskip(SKIP_1) | instid1(SALU_CYCLE_1)
	v_cmp_neq_f32_e32 vcc_lo, v40, v39
	s_and_b32 s26, vcc_lo, exec_lo
	s_or_b32 s26, s0, s26
.LBB1235_117:                           ;   in Loop: Header=BB1235_118 Depth=1
	v_dual_mov_b32 v40, s7 :: v_dual_mov_b32 v39, s6
	s_and_b32 s0, exec_lo, s26
	s_delay_alu instid0(SALU_CYCLE_1) | instskip(NEXT) | instid1(SALU_CYCLE_1)
	s_or_b32 s25, s0, s25
	s_and_not1_b32 exec_lo, exec_lo, s25
	s_cbranch_execz .LBB1235_120
.LBB1235_118:                           ; =>This Inner Loop Header: Depth=1
	s_or_b32 s26, s26, exec_lo
	s_cmp_eq_u64 s[4:5], s[6:7]
	s_cbranch_scc0 .LBB1235_116
; %bb.119:                              ;   in Loop: Header=BB1235_118 Depth=1
	s_mov_b64 s[6:7], s[14:15]
                                        ; implicit-def: $vgpr35_vgpr36
                                        ; implicit-def: $vgpr37_vgpr38
	s_branch .LBB1235_117
.LBB1235_120:
	s_set_inst_prefetch_distance 0x2
	s_or_b32 exec_lo, exec_lo, s25
	v_cmp_gt_i64_e32 vcc_lo, s[14:15], v[39:40]
	s_or_not1_b32 s0, vcc_lo, exec_lo
.LBB1235_121:
	s_or_b32 exec_lo, exec_lo, s24
.LBB1235_122:
	v_or_b32_e32 v35, v41, v42
	s_delay_alu instid0(VALU_DEP_2)
	v_or_b32_e32 v36, v44, v45
	s_and_b32 vcc_lo, exec_lo, s1
	s_cbranch_vccz .LBB1235_214
.LBB1235_123:
	v_or_b32_e32 v35, 7, v55
	s_mov_b32 s1, 0
	s_mov_b32 s24, 0
	s_mov_b32 s25, exec_lo
	s_delay_alu instid0(VALU_DEP_1)
	v_cmpx_gt_u32_e64 s31, v35
	s_cbranch_execz .LBB1235_134
; %bb.124:
	s_and_not1_b32 vcc_lo, exec_lo, s13
	s_mov_b32 s0, 0
	s_cbranch_vccnz .LBB1235_133
; %bb.125:
	v_mul_lo_u32 v39, v20, s14
	v_mul_lo_u32 v40, v19, s15
	v_mad_u64_u32 v[35:36], null, v19, s14, 0
	v_mul_lo_u32 v41, v18, s14
	v_mul_lo_u32 v42, v17, s15
	s_waitcnt lgkmcnt(0)
	v_mad_u64_u32 v[37:38], null, v17, s14, 0
	s_mov_b32 s0, -1
	s_mov_b32 s13, exec_lo
	s_delay_alu instid0(VALU_DEP_4) | instskip(NEXT) | instid1(VALU_DEP_2)
	v_add3_u32 v36, v36, v40, v39
	v_add3_u32 v38, v38, v42, v41
	s_delay_alu instid0(VALU_DEP_2) | instskip(NEXT) | instid1(VALU_DEP_2)
	v_lshlrev_b64 v[35:36], 1, v[35:36]
	v_lshlrev_b64 v[37:38], 1, v[37:38]
	s_delay_alu instid0(VALU_DEP_2) | instskip(NEXT) | instid1(VALU_DEP_3)
	v_add_co_u32 v35, vcc_lo, s20, v35
	v_add_co_ci_u32_e32 v36, vcc_lo, s21, v36, vcc_lo
	s_delay_alu instid0(VALU_DEP_3) | instskip(NEXT) | instid1(VALU_DEP_4)
	v_add_co_u32 v37, vcc_lo, s20, v37
	v_add_co_ci_u32_e32 v38, vcc_lo, s21, v38, vcc_lo
	s_clause 0x1
	global_load_u16 v39, v[35:36], off
	global_load_u16 v40, v[37:38], off
	s_waitcnt vmcnt(1)
	v_lshlrev_b32_e32 v39, 16, v39
	s_waitcnt vmcnt(0)
	v_lshlrev_b32_e32 v40, 16, v40
	s_delay_alu instid0(VALU_DEP_1)
	v_cmpx_eq_f32_e32 v40, v39
	s_cbranch_execz .LBB1235_132
; %bb.126:
	v_add_co_u32 v35, vcc_lo, v35, 2
	v_add_co_ci_u32_e32 v36, vcc_lo, 0, v36, vcc_lo
	v_add_co_u32 v37, vcc_lo, v37, 2
	v_add_co_ci_u32_e32 v38, vcc_lo, 0, v38, vcc_lo
	s_add_u32 s4, s14, -1
	s_addc_u32 s5, s15, -1
	s_mov_b64 s[6:7], 0
                                        ; implicit-def: $sgpr26
	s_set_inst_prefetch_distance 0x1
	s_branch .LBB1235_129
	.p2align	6
.LBB1235_127:                           ;   in Loop: Header=BB1235_129 Depth=1
	global_load_u16 v39, v[35:36], off
	global_load_u16 v40, v[37:38], off
	v_add_co_u32 v35, vcc_lo, v35, 2
	v_add_co_ci_u32_e32 v36, vcc_lo, 0, v36, vcc_lo
	v_add_co_u32 v37, s0, v37, 2
	s_delay_alu instid0(VALU_DEP_1)
	v_add_co_ci_u32_e64 v38, s0, 0, v38, s0
	s_add_u32 s6, s6, 1
	s_addc_u32 s7, s7, 0
	s_and_not1_b32 s0, s26, exec_lo
	s_waitcnt vmcnt(1)
	v_lshlrev_b32_e32 v39, 16, v39
	s_waitcnt vmcnt(0)
	v_lshlrev_b32_e32 v40, 16, v40
	s_delay_alu instid0(VALU_DEP_1) | instskip(SKIP_1) | instid1(SALU_CYCLE_1)
	v_cmp_neq_f32_e32 vcc_lo, v40, v39
	s_and_b32 s26, vcc_lo, exec_lo
	s_or_b32 s26, s0, s26
.LBB1235_128:                           ;   in Loop: Header=BB1235_129 Depth=1
	v_dual_mov_b32 v40, s7 :: v_dual_mov_b32 v39, s6
	s_and_b32 s0, exec_lo, s26
	s_delay_alu instid0(SALU_CYCLE_1) | instskip(NEXT) | instid1(SALU_CYCLE_1)
	s_or_b32 s24, s0, s24
	s_and_not1_b32 exec_lo, exec_lo, s24
	s_cbranch_execz .LBB1235_131
.LBB1235_129:                           ; =>This Inner Loop Header: Depth=1
	s_or_b32 s26, s26, exec_lo
	s_cmp_eq_u64 s[4:5], s[6:7]
	s_cbranch_scc0 .LBB1235_127
; %bb.130:                              ;   in Loop: Header=BB1235_129 Depth=1
	s_mov_b64 s[6:7], s[14:15]
                                        ; implicit-def: $vgpr35_vgpr36
                                        ; implicit-def: $vgpr37_vgpr38
	s_branch .LBB1235_128
.LBB1235_131:
	s_set_inst_prefetch_distance 0x2
	s_or_b32 exec_lo, exec_lo, s24
	v_cmp_gt_i64_e32 vcc_lo, s[14:15], v[39:40]
	s_or_not1_b32 s0, vcc_lo, exec_lo
.LBB1235_132:
	s_or_b32 exec_lo, exec_lo, s13
.LBB1235_133:
	s_delay_alu instid0(SALU_CYCLE_1)
	s_and_b32 s24, s0, exec_lo
.LBB1235_134:
	s_or_b32 exec_lo, exec_lo, s25
	v_or_b32_e32 v35, 6, v55
	s_mov_b32 s13, exec_lo
	s_delay_alu instid0(VALU_DEP_1)
	v_cmpx_gt_u32_e64 s31, v35
	s_cbranch_execz .LBB1235_145
; %bb.135:
	v_cmp_ne_u32_e32 vcc_lo, 1, v43
	s_mov_b32 s0, 0
	s_cbranch_vccnz .LBB1235_144
; %bb.136:
	v_mul_lo_u32 v39, v18, s14
	v_mul_lo_u32 v40, v17, s15
	v_mad_u64_u32 v[35:36], null, v17, s14, 0
	v_mul_lo_u32 v41, v24, s14
	v_mul_lo_u32 v42, v23, s15
	s_waitcnt lgkmcnt(0)
	v_mad_u64_u32 v[37:38], null, v23, s14, 0
	s_mov_b32 s0, -1
	s_mov_b32 s1, exec_lo
	s_delay_alu instid0(VALU_DEP_4) | instskip(NEXT) | instid1(VALU_DEP_2)
	v_add3_u32 v36, v36, v40, v39
	v_add3_u32 v38, v38, v42, v41
	s_delay_alu instid0(VALU_DEP_2) | instskip(NEXT) | instid1(VALU_DEP_2)
	v_lshlrev_b64 v[35:36], 1, v[35:36]
	v_lshlrev_b64 v[37:38], 1, v[37:38]
	s_delay_alu instid0(VALU_DEP_2) | instskip(NEXT) | instid1(VALU_DEP_3)
	v_add_co_u32 v35, vcc_lo, s20, v35
	v_add_co_ci_u32_e32 v36, vcc_lo, s21, v36, vcc_lo
	s_delay_alu instid0(VALU_DEP_3) | instskip(NEXT) | instid1(VALU_DEP_4)
	v_add_co_u32 v37, vcc_lo, s20, v37
	v_add_co_ci_u32_e32 v38, vcc_lo, s21, v38, vcc_lo
	s_clause 0x1
	global_load_u16 v39, v[35:36], off
	global_load_u16 v40, v[37:38], off
	s_waitcnt vmcnt(1)
	v_lshlrev_b32_e32 v39, 16, v39
	s_waitcnt vmcnt(0)
	v_lshlrev_b32_e32 v40, 16, v40
	s_delay_alu instid0(VALU_DEP_1)
	v_cmpx_eq_f32_e32 v40, v39
	s_cbranch_execz .LBB1235_143
; %bb.137:
	v_add_co_u32 v35, vcc_lo, v35, 2
	v_add_co_ci_u32_e32 v36, vcc_lo, 0, v36, vcc_lo
	v_add_co_u32 v37, vcc_lo, v37, 2
	v_add_co_ci_u32_e32 v38, vcc_lo, 0, v38, vcc_lo
	s_add_u32 s4, s14, -1
	s_addc_u32 s5, s15, -1
	s_mov_b64 s[6:7], 0
	s_mov_b32 s25, 0
                                        ; implicit-def: $sgpr26
	s_set_inst_prefetch_distance 0x1
	s_branch .LBB1235_140
	.p2align	6
.LBB1235_138:                           ;   in Loop: Header=BB1235_140 Depth=1
	global_load_u16 v39, v[35:36], off
	global_load_u16 v40, v[37:38], off
	v_add_co_u32 v35, vcc_lo, v35, 2
	v_add_co_ci_u32_e32 v36, vcc_lo, 0, v36, vcc_lo
	v_add_co_u32 v37, s0, v37, 2
	s_delay_alu instid0(VALU_DEP_1)
	v_add_co_ci_u32_e64 v38, s0, 0, v38, s0
	s_add_u32 s6, s6, 1
	s_addc_u32 s7, s7, 0
	s_and_not1_b32 s0, s26, exec_lo
	s_waitcnt vmcnt(1)
	v_lshlrev_b32_e32 v39, 16, v39
	s_waitcnt vmcnt(0)
	v_lshlrev_b32_e32 v40, 16, v40
	s_delay_alu instid0(VALU_DEP_1) | instskip(SKIP_1) | instid1(SALU_CYCLE_1)
	v_cmp_neq_f32_e32 vcc_lo, v40, v39
	s_and_b32 s26, vcc_lo, exec_lo
	s_or_b32 s26, s0, s26
.LBB1235_139:                           ;   in Loop: Header=BB1235_140 Depth=1
	v_dual_mov_b32 v40, s7 :: v_dual_mov_b32 v39, s6
	s_and_b32 s0, exec_lo, s26
	s_delay_alu instid0(SALU_CYCLE_1) | instskip(NEXT) | instid1(SALU_CYCLE_1)
	s_or_b32 s25, s0, s25
	s_and_not1_b32 exec_lo, exec_lo, s25
	s_cbranch_execz .LBB1235_142
.LBB1235_140:                           ; =>This Inner Loop Header: Depth=1
	s_or_b32 s26, s26, exec_lo
	s_cmp_eq_u64 s[4:5], s[6:7]
	s_cbranch_scc0 .LBB1235_138
; %bb.141:                              ;   in Loop: Header=BB1235_140 Depth=1
	s_mov_b64 s[6:7], s[14:15]
                                        ; implicit-def: $vgpr35_vgpr36
                                        ; implicit-def: $vgpr37_vgpr38
	s_branch .LBB1235_139
.LBB1235_142:
	s_set_inst_prefetch_distance 0x2
	s_or_b32 exec_lo, exec_lo, s25
	v_cmp_gt_i64_e32 vcc_lo, s[14:15], v[39:40]
	s_or_not1_b32 s0, vcc_lo, exec_lo
.LBB1235_143:
	s_or_b32 exec_lo, exec_lo, s1
.LBB1235_144:
	s_delay_alu instid0(SALU_CYCLE_1)
	s_and_b32 s1, s0, exec_lo
.LBB1235_145:
	s_or_b32 exec_lo, exec_lo, s13
	v_or_b32_e32 v35, 5, v55
	s_mov_b32 s25, 0
	s_mov_b32 s13, 0
	s_mov_b32 s26, exec_lo
	s_delay_alu instid0(VALU_DEP_1)
	v_cmpx_gt_u32_e64 s31, v35
	s_cbranch_execz .LBB1235_156
; %bb.146:
	v_cmp_ne_u32_e32 vcc_lo, 1, v43
	s_mov_b32 s0, 0
	s_cbranch_vccnz .LBB1235_155
; %bb.147:
	v_mul_lo_u32 v39, v24, s14
	v_mul_lo_u32 v40, v23, s15
	v_mad_u64_u32 v[35:36], null, v23, s14, 0
	v_mul_lo_u32 v41, v22, s14
	v_mul_lo_u32 v42, v21, s15
	s_waitcnt lgkmcnt(0)
	v_mad_u64_u32 v[37:38], null, v21, s14, 0
	s_mov_b32 s0, -1
	s_mov_b32 s13, exec_lo
	s_delay_alu instid0(VALU_DEP_4) | instskip(NEXT) | instid1(VALU_DEP_2)
	v_add3_u32 v36, v36, v40, v39
	v_add3_u32 v38, v38, v42, v41
	s_delay_alu instid0(VALU_DEP_2) | instskip(NEXT) | instid1(VALU_DEP_2)
	v_lshlrev_b64 v[35:36], 1, v[35:36]
	v_lshlrev_b64 v[37:38], 1, v[37:38]
	s_delay_alu instid0(VALU_DEP_2) | instskip(NEXT) | instid1(VALU_DEP_3)
	v_add_co_u32 v35, vcc_lo, s20, v35
	v_add_co_ci_u32_e32 v36, vcc_lo, s21, v36, vcc_lo
	s_delay_alu instid0(VALU_DEP_3) | instskip(NEXT) | instid1(VALU_DEP_4)
	v_add_co_u32 v37, vcc_lo, s20, v37
	v_add_co_ci_u32_e32 v38, vcc_lo, s21, v38, vcc_lo
	s_clause 0x1
	global_load_u16 v39, v[35:36], off
	global_load_u16 v40, v[37:38], off
	s_waitcnt vmcnt(1)
	v_lshlrev_b32_e32 v39, 16, v39
	s_waitcnt vmcnt(0)
	v_lshlrev_b32_e32 v40, 16, v40
	s_delay_alu instid0(VALU_DEP_1)
	v_cmpx_eq_f32_e32 v40, v39
	s_cbranch_execz .LBB1235_154
; %bb.148:
	v_add_co_u32 v35, vcc_lo, v35, 2
	v_add_co_ci_u32_e32 v36, vcc_lo, 0, v36, vcc_lo
	v_add_co_u32 v37, vcc_lo, v37, 2
	v_add_co_ci_u32_e32 v38, vcc_lo, 0, v38, vcc_lo
	s_add_u32 s4, s14, -1
	s_addc_u32 s5, s15, -1
	s_mov_b64 s[6:7], 0
	s_mov_b32 s27, 0
                                        ; implicit-def: $sgpr34
	s_set_inst_prefetch_distance 0x1
	s_branch .LBB1235_151
	.p2align	6
.LBB1235_149:                           ;   in Loop: Header=BB1235_151 Depth=1
	global_load_u16 v39, v[35:36], off
	global_load_u16 v40, v[37:38], off
	v_add_co_u32 v35, vcc_lo, v35, 2
	v_add_co_ci_u32_e32 v36, vcc_lo, 0, v36, vcc_lo
	v_add_co_u32 v37, s0, v37, 2
	s_delay_alu instid0(VALU_DEP_1)
	v_add_co_ci_u32_e64 v38, s0, 0, v38, s0
	s_add_u32 s6, s6, 1
	s_addc_u32 s7, s7, 0
	s_and_not1_b32 s0, s34, exec_lo
	s_waitcnt vmcnt(1)
	v_lshlrev_b32_e32 v39, 16, v39
	s_waitcnt vmcnt(0)
	v_lshlrev_b32_e32 v40, 16, v40
	s_delay_alu instid0(VALU_DEP_1) | instskip(SKIP_1) | instid1(SALU_CYCLE_1)
	v_cmp_neq_f32_e32 vcc_lo, v40, v39
	s_and_b32 s34, vcc_lo, exec_lo
	s_or_b32 s34, s0, s34
.LBB1235_150:                           ;   in Loop: Header=BB1235_151 Depth=1
	v_dual_mov_b32 v40, s7 :: v_dual_mov_b32 v39, s6
	s_and_b32 s0, exec_lo, s34
	s_delay_alu instid0(SALU_CYCLE_1) | instskip(NEXT) | instid1(SALU_CYCLE_1)
	s_or_b32 s27, s0, s27
	s_and_not1_b32 exec_lo, exec_lo, s27
	s_cbranch_execz .LBB1235_153
.LBB1235_151:                           ; =>This Inner Loop Header: Depth=1
	s_or_b32 s34, s34, exec_lo
	s_cmp_eq_u64 s[4:5], s[6:7]
	s_cbranch_scc0 .LBB1235_149
; %bb.152:                              ;   in Loop: Header=BB1235_151 Depth=1
	s_mov_b64 s[6:7], s[14:15]
                                        ; implicit-def: $vgpr35_vgpr36
                                        ; implicit-def: $vgpr37_vgpr38
	s_branch .LBB1235_150
.LBB1235_153:
	s_set_inst_prefetch_distance 0x2
	s_or_b32 exec_lo, exec_lo, s27
	v_cmp_gt_i64_e32 vcc_lo, s[14:15], v[39:40]
	s_or_not1_b32 s0, vcc_lo, exec_lo
.LBB1235_154:
	s_or_b32 exec_lo, exec_lo, s13
.LBB1235_155:
	s_delay_alu instid0(SALU_CYCLE_1)
	s_and_b32 s13, s0, exec_lo
.LBB1235_156:
	s_or_b32 exec_lo, exec_lo, s26
	v_or_b32_e32 v35, 4, v55
	s_mov_b32 s26, exec_lo
	s_delay_alu instid0(VALU_DEP_1)
	v_cmpx_gt_u32_e64 s31, v35
	s_cbranch_execz .LBB1235_167
; %bb.157:
	v_cmp_ne_u32_e32 vcc_lo, 1, v43
	s_mov_b32 s0, 0
	s_cbranch_vccnz .LBB1235_166
; %bb.158:
	v_mul_lo_u32 v39, v22, s14
	v_mul_lo_u32 v40, v21, s15
	v_mad_u64_u32 v[35:36], null, v21, s14, 0
	v_mul_lo_u32 v41, v28, s14
	v_mul_lo_u32 v42, v27, s15
	s_waitcnt lgkmcnt(0)
	v_mad_u64_u32 v[37:38], null, v27, s14, 0
	s_mov_b32 s0, -1
	s_mov_b32 s25, exec_lo
	s_delay_alu instid0(VALU_DEP_4) | instskip(NEXT) | instid1(VALU_DEP_2)
	v_add3_u32 v36, v36, v40, v39
	v_add3_u32 v38, v38, v42, v41
	s_delay_alu instid0(VALU_DEP_2) | instskip(NEXT) | instid1(VALU_DEP_2)
	v_lshlrev_b64 v[35:36], 1, v[35:36]
	v_lshlrev_b64 v[37:38], 1, v[37:38]
	s_delay_alu instid0(VALU_DEP_2) | instskip(NEXT) | instid1(VALU_DEP_3)
	v_add_co_u32 v35, vcc_lo, s20, v35
	v_add_co_ci_u32_e32 v36, vcc_lo, s21, v36, vcc_lo
	s_delay_alu instid0(VALU_DEP_3) | instskip(NEXT) | instid1(VALU_DEP_4)
	v_add_co_u32 v37, vcc_lo, s20, v37
	v_add_co_ci_u32_e32 v38, vcc_lo, s21, v38, vcc_lo
	s_clause 0x1
	global_load_u16 v39, v[35:36], off
	global_load_u16 v40, v[37:38], off
	s_waitcnt vmcnt(1)
	v_lshlrev_b32_e32 v39, 16, v39
	s_waitcnt vmcnt(0)
	v_lshlrev_b32_e32 v40, 16, v40
	s_delay_alu instid0(VALU_DEP_1)
	v_cmpx_eq_f32_e32 v40, v39
	s_cbranch_execz .LBB1235_165
; %bb.159:
	v_add_co_u32 v35, vcc_lo, v35, 2
	v_add_co_ci_u32_e32 v36, vcc_lo, 0, v36, vcc_lo
	v_add_co_u32 v37, vcc_lo, v37, 2
	v_add_co_ci_u32_e32 v38, vcc_lo, 0, v38, vcc_lo
	s_add_u32 s4, s14, -1
	s_addc_u32 s5, s15, -1
	s_mov_b64 s[6:7], 0
	s_mov_b32 s27, 0
                                        ; implicit-def: $sgpr34
	s_set_inst_prefetch_distance 0x1
	s_branch .LBB1235_162
	.p2align	6
.LBB1235_160:                           ;   in Loop: Header=BB1235_162 Depth=1
	global_load_u16 v39, v[35:36], off
	global_load_u16 v40, v[37:38], off
	v_add_co_u32 v35, vcc_lo, v35, 2
	v_add_co_ci_u32_e32 v36, vcc_lo, 0, v36, vcc_lo
	v_add_co_u32 v37, s0, v37, 2
	s_delay_alu instid0(VALU_DEP_1)
	v_add_co_ci_u32_e64 v38, s0, 0, v38, s0
	s_add_u32 s6, s6, 1
	s_addc_u32 s7, s7, 0
	s_and_not1_b32 s0, s34, exec_lo
	s_waitcnt vmcnt(1)
	v_lshlrev_b32_e32 v39, 16, v39
	s_waitcnt vmcnt(0)
	v_lshlrev_b32_e32 v40, 16, v40
	s_delay_alu instid0(VALU_DEP_1) | instskip(SKIP_1) | instid1(SALU_CYCLE_1)
	v_cmp_neq_f32_e32 vcc_lo, v40, v39
	s_and_b32 s34, vcc_lo, exec_lo
	s_or_b32 s34, s0, s34
.LBB1235_161:                           ;   in Loop: Header=BB1235_162 Depth=1
	v_dual_mov_b32 v40, s7 :: v_dual_mov_b32 v39, s6
	s_and_b32 s0, exec_lo, s34
	s_delay_alu instid0(SALU_CYCLE_1) | instskip(NEXT) | instid1(SALU_CYCLE_1)
	s_or_b32 s27, s0, s27
	s_and_not1_b32 exec_lo, exec_lo, s27
	s_cbranch_execz .LBB1235_164
.LBB1235_162:                           ; =>This Inner Loop Header: Depth=1
	s_or_b32 s34, s34, exec_lo
	s_cmp_eq_u64 s[4:5], s[6:7]
	s_cbranch_scc0 .LBB1235_160
; %bb.163:                              ;   in Loop: Header=BB1235_162 Depth=1
	s_mov_b64 s[6:7], s[14:15]
                                        ; implicit-def: $vgpr35_vgpr36
                                        ; implicit-def: $vgpr37_vgpr38
	s_branch .LBB1235_161
.LBB1235_164:
	s_set_inst_prefetch_distance 0x2
	s_or_b32 exec_lo, exec_lo, s27
	v_cmp_gt_i64_e32 vcc_lo, s[14:15], v[39:40]
	s_or_not1_b32 s0, vcc_lo, exec_lo
.LBB1235_165:
	s_or_b32 exec_lo, exec_lo, s25
.LBB1235_166:
	s_delay_alu instid0(SALU_CYCLE_1)
	s_and_b32 s25, s0, exec_lo
.LBB1235_167:
	s_or_b32 exec_lo, exec_lo, s26
	v_or_b32_e32 v35, 3, v55
	s_mov_b32 s27, 0
	s_mov_b32 s26, 0
	s_mov_b32 s34, exec_lo
	s_delay_alu instid0(VALU_DEP_1)
	v_cmpx_gt_u32_e64 s31, v35
	s_cbranch_execz .LBB1235_178
; %bb.168:
	v_cmp_ne_u32_e32 vcc_lo, 1, v43
	s_mov_b32 s0, 0
	s_cbranch_vccnz .LBB1235_177
; %bb.169:
	v_mul_lo_u32 v39, v28, s14
	v_mul_lo_u32 v40, v27, s15
	v_mad_u64_u32 v[35:36], null, v27, s14, 0
	v_mul_lo_u32 v41, v26, s14
	v_mul_lo_u32 v42, v25, s15
	s_waitcnt lgkmcnt(0)
	v_mad_u64_u32 v[37:38], null, v25, s14, 0
	s_mov_b32 s0, -1
	s_mov_b32 s26, exec_lo
	s_delay_alu instid0(VALU_DEP_4) | instskip(NEXT) | instid1(VALU_DEP_2)
	v_add3_u32 v36, v36, v40, v39
	v_add3_u32 v38, v38, v42, v41
	s_delay_alu instid0(VALU_DEP_2) | instskip(NEXT) | instid1(VALU_DEP_2)
	v_lshlrev_b64 v[35:36], 1, v[35:36]
	v_lshlrev_b64 v[37:38], 1, v[37:38]
	s_delay_alu instid0(VALU_DEP_2) | instskip(NEXT) | instid1(VALU_DEP_3)
	v_add_co_u32 v35, vcc_lo, s20, v35
	v_add_co_ci_u32_e32 v36, vcc_lo, s21, v36, vcc_lo
	s_delay_alu instid0(VALU_DEP_3) | instskip(NEXT) | instid1(VALU_DEP_4)
	v_add_co_u32 v37, vcc_lo, s20, v37
	v_add_co_ci_u32_e32 v38, vcc_lo, s21, v38, vcc_lo
	s_clause 0x1
	global_load_u16 v39, v[35:36], off
	global_load_u16 v40, v[37:38], off
	s_waitcnt vmcnt(1)
	v_lshlrev_b32_e32 v39, 16, v39
	s_waitcnt vmcnt(0)
	v_lshlrev_b32_e32 v40, 16, v40
	s_delay_alu instid0(VALU_DEP_1)
	v_cmpx_eq_f32_e32 v40, v39
	s_cbranch_execz .LBB1235_176
; %bb.170:
	v_add_co_u32 v35, vcc_lo, v35, 2
	v_add_co_ci_u32_e32 v36, vcc_lo, 0, v36, vcc_lo
	v_add_co_u32 v37, vcc_lo, v37, 2
	v_add_co_ci_u32_e32 v38, vcc_lo, 0, v38, vcc_lo
	s_add_u32 s4, s14, -1
	s_addc_u32 s5, s15, -1
	s_mov_b64 s[6:7], 0
	s_mov_b32 s35, 0
                                        ; implicit-def: $sgpr36
	s_set_inst_prefetch_distance 0x1
	s_branch .LBB1235_173
	.p2align	6
.LBB1235_171:                           ;   in Loop: Header=BB1235_173 Depth=1
	global_load_u16 v39, v[35:36], off
	global_load_u16 v40, v[37:38], off
	v_add_co_u32 v35, vcc_lo, v35, 2
	v_add_co_ci_u32_e32 v36, vcc_lo, 0, v36, vcc_lo
	v_add_co_u32 v37, s0, v37, 2
	s_delay_alu instid0(VALU_DEP_1)
	v_add_co_ci_u32_e64 v38, s0, 0, v38, s0
	s_add_u32 s6, s6, 1
	s_addc_u32 s7, s7, 0
	s_and_not1_b32 s0, s36, exec_lo
	s_waitcnt vmcnt(1)
	v_lshlrev_b32_e32 v39, 16, v39
	s_waitcnt vmcnt(0)
	v_lshlrev_b32_e32 v40, 16, v40
	s_delay_alu instid0(VALU_DEP_1) | instskip(SKIP_1) | instid1(SALU_CYCLE_1)
	v_cmp_neq_f32_e32 vcc_lo, v40, v39
	s_and_b32 s36, vcc_lo, exec_lo
	s_or_b32 s36, s0, s36
.LBB1235_172:                           ;   in Loop: Header=BB1235_173 Depth=1
	v_dual_mov_b32 v40, s7 :: v_dual_mov_b32 v39, s6
	s_and_b32 s0, exec_lo, s36
	s_delay_alu instid0(SALU_CYCLE_1) | instskip(NEXT) | instid1(SALU_CYCLE_1)
	s_or_b32 s35, s0, s35
	s_and_not1_b32 exec_lo, exec_lo, s35
	s_cbranch_execz .LBB1235_175
.LBB1235_173:                           ; =>This Inner Loop Header: Depth=1
	s_or_b32 s36, s36, exec_lo
	s_cmp_eq_u64 s[4:5], s[6:7]
	s_cbranch_scc0 .LBB1235_171
; %bb.174:                              ;   in Loop: Header=BB1235_173 Depth=1
	s_mov_b64 s[6:7], s[14:15]
                                        ; implicit-def: $vgpr35_vgpr36
                                        ; implicit-def: $vgpr37_vgpr38
	s_branch .LBB1235_172
.LBB1235_175:
	s_set_inst_prefetch_distance 0x2
	s_or_b32 exec_lo, exec_lo, s35
	v_cmp_gt_i64_e32 vcc_lo, s[14:15], v[39:40]
	s_or_not1_b32 s0, vcc_lo, exec_lo
.LBB1235_176:
	s_or_b32 exec_lo, exec_lo, s26
.LBB1235_177:
	s_delay_alu instid0(SALU_CYCLE_1)
	s_and_b32 s26, s0, exec_lo
.LBB1235_178:
	s_or_b32 exec_lo, exec_lo, s34
	v_or_b32_e32 v35, 2, v55
	s_mov_b32 s34, exec_lo
	s_delay_alu instid0(VALU_DEP_1)
	v_cmpx_gt_u32_e64 s31, v35
	s_cbranch_execz .LBB1235_189
; %bb.179:
	v_cmp_ne_u32_e32 vcc_lo, 1, v43
	s_mov_b32 s0, 0
	s_cbranch_vccnz .LBB1235_188
; %bb.180:
	v_mul_lo_u32 v39, v26, s14
	v_mul_lo_u32 v40, v25, s15
	v_mad_u64_u32 v[35:36], null, v25, s14, 0
	v_mul_lo_u32 v41, v32, s14
	v_mul_lo_u32 v42, v31, s15
	s_waitcnt lgkmcnt(0)
	v_mad_u64_u32 v[37:38], null, v31, s14, 0
	s_mov_b32 s0, -1
	s_mov_b32 s27, exec_lo
	s_delay_alu instid0(VALU_DEP_4) | instskip(NEXT) | instid1(VALU_DEP_2)
	v_add3_u32 v36, v36, v40, v39
	v_add3_u32 v38, v38, v42, v41
	s_delay_alu instid0(VALU_DEP_2) | instskip(NEXT) | instid1(VALU_DEP_2)
	v_lshlrev_b64 v[35:36], 1, v[35:36]
	v_lshlrev_b64 v[37:38], 1, v[37:38]
	s_delay_alu instid0(VALU_DEP_2) | instskip(NEXT) | instid1(VALU_DEP_3)
	v_add_co_u32 v35, vcc_lo, s20, v35
	v_add_co_ci_u32_e32 v36, vcc_lo, s21, v36, vcc_lo
	s_delay_alu instid0(VALU_DEP_3) | instskip(NEXT) | instid1(VALU_DEP_4)
	v_add_co_u32 v37, vcc_lo, s20, v37
	v_add_co_ci_u32_e32 v38, vcc_lo, s21, v38, vcc_lo
	s_clause 0x1
	global_load_u16 v39, v[35:36], off
	global_load_u16 v40, v[37:38], off
	s_waitcnt vmcnt(1)
	v_lshlrev_b32_e32 v39, 16, v39
	s_waitcnt vmcnt(0)
	v_lshlrev_b32_e32 v40, 16, v40
	s_delay_alu instid0(VALU_DEP_1)
	v_cmpx_eq_f32_e32 v40, v39
	s_cbranch_execz .LBB1235_187
; %bb.181:
	v_add_co_u32 v35, vcc_lo, v35, 2
	v_add_co_ci_u32_e32 v36, vcc_lo, 0, v36, vcc_lo
	v_add_co_u32 v37, vcc_lo, v37, 2
	v_add_co_ci_u32_e32 v38, vcc_lo, 0, v38, vcc_lo
	s_add_u32 s4, s14, -1
	s_addc_u32 s5, s15, -1
	s_mov_b64 s[6:7], 0
	s_mov_b32 s35, 0
                                        ; implicit-def: $sgpr36
	s_set_inst_prefetch_distance 0x1
	s_branch .LBB1235_184
	.p2align	6
.LBB1235_182:                           ;   in Loop: Header=BB1235_184 Depth=1
	global_load_u16 v39, v[35:36], off
	global_load_u16 v40, v[37:38], off
	v_add_co_u32 v35, vcc_lo, v35, 2
	v_add_co_ci_u32_e32 v36, vcc_lo, 0, v36, vcc_lo
	v_add_co_u32 v37, s0, v37, 2
	s_delay_alu instid0(VALU_DEP_1)
	v_add_co_ci_u32_e64 v38, s0, 0, v38, s0
	s_add_u32 s6, s6, 1
	s_addc_u32 s7, s7, 0
	s_and_not1_b32 s0, s36, exec_lo
	s_waitcnt vmcnt(1)
	v_lshlrev_b32_e32 v39, 16, v39
	s_waitcnt vmcnt(0)
	v_lshlrev_b32_e32 v40, 16, v40
	s_delay_alu instid0(VALU_DEP_1) | instskip(SKIP_1) | instid1(SALU_CYCLE_1)
	v_cmp_neq_f32_e32 vcc_lo, v40, v39
	s_and_b32 s36, vcc_lo, exec_lo
	s_or_b32 s36, s0, s36
.LBB1235_183:                           ;   in Loop: Header=BB1235_184 Depth=1
	v_dual_mov_b32 v40, s7 :: v_dual_mov_b32 v39, s6
	s_and_b32 s0, exec_lo, s36
	s_delay_alu instid0(SALU_CYCLE_1) | instskip(NEXT) | instid1(SALU_CYCLE_1)
	s_or_b32 s35, s0, s35
	s_and_not1_b32 exec_lo, exec_lo, s35
	s_cbranch_execz .LBB1235_186
.LBB1235_184:                           ; =>This Inner Loop Header: Depth=1
	s_or_b32 s36, s36, exec_lo
	s_cmp_eq_u64 s[4:5], s[6:7]
	s_cbranch_scc0 .LBB1235_182
; %bb.185:                              ;   in Loop: Header=BB1235_184 Depth=1
	s_mov_b64 s[6:7], s[14:15]
                                        ; implicit-def: $vgpr35_vgpr36
                                        ; implicit-def: $vgpr37_vgpr38
	s_branch .LBB1235_183
.LBB1235_186:
	s_set_inst_prefetch_distance 0x2
	s_or_b32 exec_lo, exec_lo, s35
	v_cmp_gt_i64_e32 vcc_lo, s[14:15], v[39:40]
	s_or_not1_b32 s0, vcc_lo, exec_lo
.LBB1235_187:
	s_or_b32 exec_lo, exec_lo, s27
.LBB1235_188:
	s_delay_alu instid0(SALU_CYCLE_1)
	s_and_b32 s27, s0, exec_lo
.LBB1235_189:
	s_or_b32 exec_lo, exec_lo, s34
	v_or_b32_e32 v35, 1, v55
	s_mov_b32 s0, 0
	s_mov_b32 s34, exec_lo
	s_delay_alu instid0(VALU_DEP_1)
	v_cmpx_gt_u32_e64 s31, v35
	s_cbranch_execz .LBB1235_200
; %bb.190:
	v_cmp_ne_u32_e32 vcc_lo, 1, v43
	s_cbranch_vccnz .LBB1235_199
; %bb.191:
	v_mul_lo_u32 v39, v32, s14
	v_mul_lo_u32 v40, v31, s15
	v_mad_u64_u32 v[35:36], null, v31, s14, 0
	v_mul_lo_u32 v41, v30, s14
	v_mul_lo_u32 v42, v29, s15
	s_waitcnt lgkmcnt(0)
	v_mad_u64_u32 v[37:38], null, v29, s14, 0
	s_mov_b32 s0, -1
	s_mov_b32 s35, exec_lo
	s_delay_alu instid0(VALU_DEP_4) | instskip(NEXT) | instid1(VALU_DEP_2)
	v_add3_u32 v36, v36, v40, v39
	v_add3_u32 v38, v38, v42, v41
	s_delay_alu instid0(VALU_DEP_2) | instskip(NEXT) | instid1(VALU_DEP_2)
	v_lshlrev_b64 v[35:36], 1, v[35:36]
	v_lshlrev_b64 v[37:38], 1, v[37:38]
	s_delay_alu instid0(VALU_DEP_2) | instskip(NEXT) | instid1(VALU_DEP_3)
	v_add_co_u32 v35, vcc_lo, s20, v35
	v_add_co_ci_u32_e32 v36, vcc_lo, s21, v36, vcc_lo
	s_delay_alu instid0(VALU_DEP_3) | instskip(NEXT) | instid1(VALU_DEP_4)
	v_add_co_u32 v37, vcc_lo, s20, v37
	v_add_co_ci_u32_e32 v38, vcc_lo, s21, v38, vcc_lo
	s_clause 0x1
	global_load_u16 v39, v[35:36], off
	global_load_u16 v40, v[37:38], off
	s_waitcnt vmcnt(1)
	v_lshlrev_b32_e32 v39, 16, v39
	s_waitcnt vmcnt(0)
	v_lshlrev_b32_e32 v40, 16, v40
	s_delay_alu instid0(VALU_DEP_1)
	v_cmpx_eq_f32_e32 v40, v39
	s_cbranch_execz .LBB1235_198
; %bb.192:
	v_add_co_u32 v35, vcc_lo, v35, 2
	v_add_co_ci_u32_e32 v36, vcc_lo, 0, v36, vcc_lo
	v_add_co_u32 v37, vcc_lo, v37, 2
	v_add_co_ci_u32_e32 v38, vcc_lo, 0, v38, vcc_lo
	s_add_u32 s4, s14, -1
	s_addc_u32 s5, s15, -1
	s_mov_b64 s[6:7], 0
	s_mov_b32 s36, 0
                                        ; implicit-def: $sgpr37
	s_set_inst_prefetch_distance 0x1
	s_branch .LBB1235_195
	.p2align	6
.LBB1235_193:                           ;   in Loop: Header=BB1235_195 Depth=1
	global_load_u16 v39, v[35:36], off
	global_load_u16 v40, v[37:38], off
	v_add_co_u32 v35, vcc_lo, v35, 2
	v_add_co_ci_u32_e32 v36, vcc_lo, 0, v36, vcc_lo
	v_add_co_u32 v37, s0, v37, 2
	s_delay_alu instid0(VALU_DEP_1)
	v_add_co_ci_u32_e64 v38, s0, 0, v38, s0
	s_add_u32 s6, s6, 1
	s_addc_u32 s7, s7, 0
	s_and_not1_b32 s0, s37, exec_lo
	s_waitcnt vmcnt(1)
	v_lshlrev_b32_e32 v39, 16, v39
	s_waitcnt vmcnt(0)
	v_lshlrev_b32_e32 v40, 16, v40
	s_delay_alu instid0(VALU_DEP_1) | instskip(SKIP_1) | instid1(SALU_CYCLE_1)
	v_cmp_neq_f32_e32 vcc_lo, v40, v39
	s_and_b32 s37, vcc_lo, exec_lo
	s_or_b32 s37, s0, s37
.LBB1235_194:                           ;   in Loop: Header=BB1235_195 Depth=1
	v_dual_mov_b32 v40, s7 :: v_dual_mov_b32 v39, s6
	s_and_b32 s0, exec_lo, s37
	s_delay_alu instid0(SALU_CYCLE_1) | instskip(NEXT) | instid1(SALU_CYCLE_1)
	s_or_b32 s36, s0, s36
	s_and_not1_b32 exec_lo, exec_lo, s36
	s_cbranch_execz .LBB1235_197
.LBB1235_195:                           ; =>This Inner Loop Header: Depth=1
	s_or_b32 s37, s37, exec_lo
	s_cmp_eq_u64 s[4:5], s[6:7]
	s_cbranch_scc0 .LBB1235_193
; %bb.196:                              ;   in Loop: Header=BB1235_195 Depth=1
	s_mov_b64 s[6:7], s[14:15]
                                        ; implicit-def: $vgpr35_vgpr36
                                        ; implicit-def: $vgpr37_vgpr38
	s_branch .LBB1235_194
.LBB1235_197:
	s_set_inst_prefetch_distance 0x2
	s_or_b32 exec_lo, exec_lo, s36
	v_cmp_gt_i64_e32 vcc_lo, s[14:15], v[39:40]
	s_or_not1_b32 s0, vcc_lo, exec_lo
.LBB1235_198:
	s_or_b32 exec_lo, exec_lo, s35
.LBB1235_199:
	s_delay_alu instid0(SALU_CYCLE_1)
	s_and_b32 s0, s0, exec_lo
.LBB1235_200:
	s_or_b32 exec_lo, exec_lo, s34
	s_waitcnt vmcnt(0) lgkmcnt(0)
	s_barrier
	buffer_gl0_inv
	s_and_saveexec_b32 s4, s3
	s_cbranch_execz .LBB1235_202
; %bb.201:
	v_add_nc_u32_e32 v33, -8, v55
	ds_load_b64 v[33:34], v33
.LBB1235_202:
	s_or_b32 exec_lo, exec_lo, s4
	v_cndmask_b32_e64 v36, 0, 1, s26
	v_cndmask_b32_e64 v38, 0, 1, s13
	v_cndmask_b32_e64 v39, 0, 1, s24
	v_cndmask_b32_e64 v35, 0, 1, s27
	v_cndmask_b32_e64 v37, 0, 1, s25
	v_cndmask_b32_e64 v40, 0, 1, s1
	v_cndmask_b32_e64 v41, 0, 1, s0
	v_lshlrev_b16 v36, 8, v36
	v_lshlrev_b16 v38, 8, v38
	;; [unrolled: 1-line block ×3, first 2 shown]
	s_mov_b32 s0, 0
	v_lshlrev_b16 v41, 8, v41
	v_or_b32_e32 v35, v35, v36
	v_or_b32_e32 v36, v37, v38
	;; [unrolled: 1-line block ×3, first 2 shown]
	s_mov_b32 s1, exec_lo
	v_and_b32_e32 v39, 0xffff, v41
	v_lshlrev_b32_e32 v40, 16, v35
	v_and_b32_e32 v41, 0xffff, v36
	v_lshlrev_b32_e32 v42, 16, v37
	v_cmpx_gt_u32_e64 s31, v55
	s_cbranch_execz .LBB1235_213
; %bb.203:
	v_cmp_ne_u32_e32 vcc_lo, 1, v43
	s_cbranch_vccnz .LBB1235_212
; %bb.204:
	v_mul_lo_u32 v43, v30, s14
	v_mul_lo_u32 v44, v29, s15
	v_mad_u64_u32 v[35:36], null, v29, s14, 0
	s_waitcnt lgkmcnt(0)
	v_mul_lo_u32 v34, v34, s14
	v_mul_lo_u32 v45, v33, s15
	v_mad_u64_u32 v[37:38], null, v33, s14, 0
	s_mov_b32 s0, -1
	s_mov_b32 s13, exec_lo
	s_delay_alu instid0(VALU_DEP_4) | instskip(NEXT) | instid1(VALU_DEP_2)
	v_add3_u32 v36, v36, v44, v43
	v_add3_u32 v38, v38, v45, v34
	s_delay_alu instid0(VALU_DEP_2) | instskip(NEXT) | instid1(VALU_DEP_2)
	v_lshlrev_b64 v[33:34], 1, v[35:36]
	v_lshlrev_b64 v[35:36], 1, v[37:38]
	s_delay_alu instid0(VALU_DEP_2) | instskip(NEXT) | instid1(VALU_DEP_3)
	v_add_co_u32 v33, vcc_lo, s20, v33
	v_add_co_ci_u32_e32 v34, vcc_lo, s21, v34, vcc_lo
	s_delay_alu instid0(VALU_DEP_3) | instskip(NEXT) | instid1(VALU_DEP_4)
	v_add_co_u32 v35, vcc_lo, s20, v35
	v_add_co_ci_u32_e32 v36, vcc_lo, s21, v36, vcc_lo
	s_clause 0x1
	global_load_u16 v37, v[33:34], off
	global_load_u16 v38, v[35:36], off
	s_waitcnt vmcnt(1)
	v_lshlrev_b32_e32 v37, 16, v37
	s_waitcnt vmcnt(0)
	v_lshlrev_b32_e32 v38, 16, v38
	s_delay_alu instid0(VALU_DEP_1)
	v_cmpx_eq_f32_e32 v38, v37
	s_cbranch_execz .LBB1235_211
; %bb.205:
	v_add_co_u32 v33, vcc_lo, v33, 2
	v_add_co_ci_u32_e32 v34, vcc_lo, 0, v34, vcc_lo
	v_add_co_u32 v35, vcc_lo, v35, 2
	v_add_co_ci_u32_e32 v36, vcc_lo, 0, v36, vcc_lo
	s_add_u32 s4, s14, -1
	s_addc_u32 s5, s15, -1
	s_mov_b64 s[6:7], 0
	s_mov_b32 s24, 0
                                        ; implicit-def: $sgpr25
	s_set_inst_prefetch_distance 0x1
	s_branch .LBB1235_208
	.p2align	6
.LBB1235_206:                           ;   in Loop: Header=BB1235_208 Depth=1
	global_load_u16 v37, v[33:34], off
	global_load_u16 v38, v[35:36], off
	v_add_co_u32 v33, vcc_lo, v33, 2
	v_add_co_ci_u32_e32 v34, vcc_lo, 0, v34, vcc_lo
	v_add_co_u32 v35, s0, v35, 2
	s_delay_alu instid0(VALU_DEP_1)
	v_add_co_ci_u32_e64 v36, s0, 0, v36, s0
	s_add_u32 s6, s6, 1
	s_addc_u32 s7, s7, 0
	s_and_not1_b32 s0, s25, exec_lo
	s_waitcnt vmcnt(1)
	v_lshlrev_b32_e32 v37, 16, v37
	s_waitcnt vmcnt(0)
	v_lshlrev_b32_e32 v38, 16, v38
	s_delay_alu instid0(VALU_DEP_1) | instskip(SKIP_1) | instid1(SALU_CYCLE_1)
	v_cmp_neq_f32_e32 vcc_lo, v38, v37
	s_and_b32 s25, vcc_lo, exec_lo
	s_or_b32 s25, s0, s25
.LBB1235_207:                           ;   in Loop: Header=BB1235_208 Depth=1
	v_dual_mov_b32 v38, s7 :: v_dual_mov_b32 v37, s6
	s_and_b32 s0, exec_lo, s25
	s_delay_alu instid0(SALU_CYCLE_1) | instskip(NEXT) | instid1(SALU_CYCLE_1)
	s_or_b32 s24, s0, s24
	s_and_not1_b32 exec_lo, exec_lo, s24
	s_cbranch_execz .LBB1235_210
.LBB1235_208:                           ; =>This Inner Loop Header: Depth=1
	s_or_b32 s25, s25, exec_lo
	s_cmp_eq_u64 s[4:5], s[6:7]
	s_cbranch_scc0 .LBB1235_206
; %bb.209:                              ;   in Loop: Header=BB1235_208 Depth=1
	s_mov_b64 s[6:7], s[14:15]
                                        ; implicit-def: $vgpr33_vgpr34
                                        ; implicit-def: $vgpr35_vgpr36
	s_branch .LBB1235_207
.LBB1235_210:
	s_set_inst_prefetch_distance 0x2
	s_or_b32 exec_lo, exec_lo, s24
	v_cmp_gt_i64_e32 vcc_lo, s[14:15], v[37:38]
	s_or_not1_b32 s0, vcc_lo, exec_lo
.LBB1235_211:
	s_or_b32 exec_lo, exec_lo, s13
.LBB1235_212:
	s_delay_alu instid0(SALU_CYCLE_1)
	s_and_b32 s0, s0, exec_lo
.LBB1235_213:
	s_or_b32 exec_lo, exec_lo, s1
	v_or_b32_e32 v35, v39, v40
	v_or_b32_e32 v36, v41, v42
.LBB1235_214:
	s_mov_b32 s1, -1
	s_cbranch_execnz .LBB1235_383
.LBB1235_215:
	v_cmp_gt_i64_e64 s13, s[14:15], 0
	s_and_b32 vcc_lo, exec_lo, s29
	ds_store_b64 v55, v[19:20]
	s_cbranch_vccz .LBB1235_223
; %bb.216:
	v_mul_lo_u32 v35, v18, s14
	v_mul_lo_u32 v36, v17, s15
	s_waitcnt vmcnt(0) lgkmcnt(1)
	v_mad_u64_u32 v[33:34], null, v17, s14, 0
	s_mov_b32 s24, 0
	s_and_not1_b32 vcc_lo, exec_lo, s13
	s_mov_b32 s25, 0
	s_delay_alu instid0(VALU_DEP_1) | instskip(NEXT) | instid1(VALU_DEP_1)
	v_add3_u32 v34, v34, v36, v35
	v_lshlrev_b64 v[33:34], 1, v[33:34]
	s_cbranch_vccnz .LBB1235_226
; %bb.217:
	v_mul_lo_u32 v37, v20, s14
	v_mul_lo_u32 v38, v19, s15
	v_mad_u64_u32 v[35:36], null, v19, s14, 0
	s_mov_b32 s25, -1
	s_mov_b32 s26, exec_lo
	s_delay_alu instid0(VALU_DEP_1) | instskip(NEXT) | instid1(VALU_DEP_1)
	v_add3_u32 v36, v36, v38, v37
	v_lshlrev_b64 v[35:36], 1, v[35:36]
	s_delay_alu instid0(VALU_DEP_1) | instskip(NEXT) | instid1(VALU_DEP_2)
	v_add_co_u32 v35, vcc_lo, s20, v35
	v_add_co_ci_u32_e32 v36, vcc_lo, s21, v36, vcc_lo
	v_add_co_u32 v37, vcc_lo, s20, v33
	v_add_co_ci_u32_e32 v38, vcc_lo, s21, v34, vcc_lo
	s_clause 0x1
	global_load_u16 v39, v[35:36], off
	global_load_u16 v40, v[37:38], off
	s_waitcnt vmcnt(1)
	v_lshlrev_b32_e32 v39, 16, v39
	s_waitcnt vmcnt(0)
	v_lshlrev_b32_e32 v40, 16, v40
	s_delay_alu instid0(VALU_DEP_1)
	v_cmpx_eq_f32_e32 v40, v39
	s_cbranch_execz .LBB1235_225
; %bb.218:
	v_add_co_u32 v35, vcc_lo, v35, 2
	v_add_co_ci_u32_e32 v36, vcc_lo, 0, v36, vcc_lo
	v_add_co_u32 v37, vcc_lo, v37, 2
	v_add_co_ci_u32_e32 v38, vcc_lo, 0, v38, vcc_lo
	s_add_u32 s4, s14, -1
	s_addc_u32 s5, s15, -1
	s_mov_b64 s[6:7], 0
	s_mov_b32 s25, 0
                                        ; implicit-def: $sgpr27
	s_set_inst_prefetch_distance 0x1
	s_branch .LBB1235_221
	.p2align	6
.LBB1235_219:                           ;   in Loop: Header=BB1235_221 Depth=1
	global_load_u16 v39, v[35:36], off
	global_load_u16 v40, v[37:38], off
	v_add_co_u32 v35, vcc_lo, v35, 2
	v_add_co_ci_u32_e32 v36, vcc_lo, 0, v36, vcc_lo
	v_add_co_u32 v37, s0, v37, 2
	s_delay_alu instid0(VALU_DEP_1)
	v_add_co_ci_u32_e64 v38, s0, 0, v38, s0
	s_add_u32 s6, s6, 1
	s_addc_u32 s7, s7, 0
	s_and_not1_b32 s0, s27, exec_lo
	s_waitcnt vmcnt(1)
	v_lshlrev_b32_e32 v39, 16, v39
	s_waitcnt vmcnt(0)
	v_lshlrev_b32_e32 v40, 16, v40
	s_delay_alu instid0(VALU_DEP_1) | instskip(SKIP_1) | instid1(SALU_CYCLE_1)
	v_cmp_neq_f32_e32 vcc_lo, v40, v39
	s_and_b32 s27, vcc_lo, exec_lo
	s_or_b32 s27, s0, s27
.LBB1235_220:                           ;   in Loop: Header=BB1235_221 Depth=1
	v_dual_mov_b32 v40, s7 :: v_dual_mov_b32 v39, s6
	s_and_b32 s0, exec_lo, s27
	s_delay_alu instid0(SALU_CYCLE_1) | instskip(NEXT) | instid1(SALU_CYCLE_1)
	s_or_b32 s25, s0, s25
	s_and_not1_b32 exec_lo, exec_lo, s25
	s_cbranch_execz .LBB1235_224
.LBB1235_221:                           ; =>This Inner Loop Header: Depth=1
	s_or_b32 s27, s27, exec_lo
	s_cmp_eq_u64 s[4:5], s[6:7]
	s_cbranch_scc0 .LBB1235_219
; %bb.222:                              ;   in Loop: Header=BB1235_221 Depth=1
	s_mov_b64 s[6:7], s[14:15]
                                        ; implicit-def: $vgpr35_vgpr36
                                        ; implicit-def: $vgpr37_vgpr38
	s_branch .LBB1235_220
.LBB1235_223:
                                        ; implicit-def: $sgpr0
                                        ; implicit-def: $vgpr36
	s_cbranch_execnz .LBB1235_292
	s_branch .LBB1235_383
.LBB1235_224:
	s_set_inst_prefetch_distance 0x2
	s_or_b32 exec_lo, exec_lo, s25
	v_cmp_gt_i64_e32 vcc_lo, s[14:15], v[39:40]
	s_or_not1_b32 s25, vcc_lo, exec_lo
.LBB1235_225:
	s_or_b32 exec_lo, exec_lo, s26
.LBB1235_226:
	v_mul_lo_u32 v37, v24, s14
	v_mul_lo_u32 v38, v23, s15
	v_mad_u64_u32 v[35:36], null, v23, s14, 0
	s_and_not1_b32 vcc_lo, exec_lo, s13
	s_delay_alu instid0(VALU_DEP_1) | instskip(NEXT) | instid1(VALU_DEP_1)
	v_add3_u32 v36, v36, v38, v37
	v_lshlrev_b64 v[35:36], 1, v[35:36]
	s_cbranch_vccnz .LBB1235_235
; %bb.227:
	v_add_co_u32 v33, vcc_lo, s20, v33
	v_add_co_ci_u32_e32 v34, vcc_lo, s21, v34, vcc_lo
	s_delay_alu instid0(VALU_DEP_3) | instskip(NEXT) | instid1(VALU_DEP_4)
	v_add_co_u32 v37, vcc_lo, s20, v35
	v_add_co_ci_u32_e32 v38, vcc_lo, s21, v36, vcc_lo
	s_mov_b32 s24, -1
	s_clause 0x1
	global_load_u16 v39, v[33:34], off
	global_load_u16 v40, v[37:38], off
	s_mov_b32 s26, exec_lo
	s_waitcnt vmcnt(1)
	v_lshlrev_b32_e32 v39, 16, v39
	s_waitcnt vmcnt(0)
	v_lshlrev_b32_e32 v40, 16, v40
	s_delay_alu instid0(VALU_DEP_1)
	v_cmpx_eq_f32_e32 v40, v39
	s_cbranch_execz .LBB1235_234
; %bb.228:
	v_add_co_u32 v33, vcc_lo, v33, 2
	v_add_co_ci_u32_e32 v34, vcc_lo, 0, v34, vcc_lo
	v_add_co_u32 v37, vcc_lo, v37, 2
	v_add_co_ci_u32_e32 v38, vcc_lo, 0, v38, vcc_lo
	s_add_u32 s4, s14, -1
	s_addc_u32 s5, s15, -1
	s_mov_b64 s[6:7], 0
	s_mov_b32 s24, 0
                                        ; implicit-def: $sgpr27
	s_set_inst_prefetch_distance 0x1
	s_branch .LBB1235_231
	.p2align	6
.LBB1235_229:                           ;   in Loop: Header=BB1235_231 Depth=1
	global_load_u16 v39, v[33:34], off
	global_load_u16 v40, v[37:38], off
	v_add_co_u32 v33, vcc_lo, v33, 2
	v_add_co_ci_u32_e32 v34, vcc_lo, 0, v34, vcc_lo
	v_add_co_u32 v37, s0, v37, 2
	s_delay_alu instid0(VALU_DEP_1)
	v_add_co_ci_u32_e64 v38, s0, 0, v38, s0
	s_add_u32 s6, s6, 1
	s_addc_u32 s7, s7, 0
	s_and_not1_b32 s0, s27, exec_lo
	s_waitcnt vmcnt(1)
	v_lshlrev_b32_e32 v39, 16, v39
	s_waitcnt vmcnt(0)
	v_lshlrev_b32_e32 v40, 16, v40
	s_delay_alu instid0(VALU_DEP_1) | instskip(SKIP_1) | instid1(SALU_CYCLE_1)
	v_cmp_neq_f32_e32 vcc_lo, v40, v39
	s_and_b32 s27, vcc_lo, exec_lo
	s_or_b32 s27, s0, s27
.LBB1235_230:                           ;   in Loop: Header=BB1235_231 Depth=1
	v_dual_mov_b32 v40, s7 :: v_dual_mov_b32 v39, s6
	s_and_b32 s0, exec_lo, s27
	s_delay_alu instid0(SALU_CYCLE_1) | instskip(NEXT) | instid1(SALU_CYCLE_1)
	s_or_b32 s24, s0, s24
	s_and_not1_b32 exec_lo, exec_lo, s24
	s_cbranch_execz .LBB1235_233
.LBB1235_231:                           ; =>This Inner Loop Header: Depth=1
	s_or_b32 s27, s27, exec_lo
	s_cmp_eq_u64 s[4:5], s[6:7]
	s_cbranch_scc0 .LBB1235_229
; %bb.232:                              ;   in Loop: Header=BB1235_231 Depth=1
	s_mov_b64 s[6:7], s[14:15]
                                        ; implicit-def: $vgpr33_vgpr34
                                        ; implicit-def: $vgpr37_vgpr38
	s_branch .LBB1235_230
.LBB1235_233:
	s_set_inst_prefetch_distance 0x2
	s_or_b32 exec_lo, exec_lo, s24
	v_cmp_gt_i64_e32 vcc_lo, s[14:15], v[39:40]
	s_or_not1_b32 s24, vcc_lo, exec_lo
.LBB1235_234:
	s_or_b32 exec_lo, exec_lo, s26
.LBB1235_235:
	v_mul_lo_u32 v37, v22, s14
	v_mul_lo_u32 v38, v21, s15
	v_mad_u64_u32 v[33:34], null, v21, s14, 0
	s_mov_b32 s26, 0
	s_and_not1_b32 vcc_lo, exec_lo, s13
	s_mov_b32 s27, 0
	s_delay_alu instid0(VALU_DEP_1) | instskip(NEXT) | instid1(VALU_DEP_1)
	v_add3_u32 v34, v34, v38, v37
	v_lshlrev_b64 v[37:38], 1, v[33:34]
	s_cbranch_vccnz .LBB1235_244
; %bb.236:
	v_add_co_u32 v33, vcc_lo, s20, v35
	v_add_co_ci_u32_e32 v34, vcc_lo, s21, v36, vcc_lo
	s_delay_alu instid0(VALU_DEP_3) | instskip(NEXT) | instid1(VALU_DEP_4)
	v_add_co_u32 v35, vcc_lo, s20, v37
	v_add_co_ci_u32_e32 v36, vcc_lo, s21, v38, vcc_lo
	s_mov_b32 s27, -1
	s_clause 0x1
	global_load_u16 v39, v[33:34], off
	global_load_u16 v40, v[35:36], off
	s_mov_b32 s34, exec_lo
	s_waitcnt vmcnt(1)
	v_lshlrev_b32_e32 v39, 16, v39
	s_waitcnt vmcnt(0)
	v_lshlrev_b32_e32 v40, 16, v40
	s_delay_alu instid0(VALU_DEP_1)
	v_cmpx_eq_f32_e32 v40, v39
	s_cbranch_execz .LBB1235_243
; %bb.237:
	v_add_co_u32 v33, vcc_lo, v33, 2
	v_add_co_ci_u32_e32 v34, vcc_lo, 0, v34, vcc_lo
	v_add_co_u32 v35, vcc_lo, v35, 2
	v_add_co_ci_u32_e32 v36, vcc_lo, 0, v36, vcc_lo
	s_add_u32 s4, s14, -1
	s_addc_u32 s5, s15, -1
	s_mov_b64 s[6:7], 0
	s_mov_b32 s27, 0
                                        ; implicit-def: $sgpr35
	s_set_inst_prefetch_distance 0x1
	s_branch .LBB1235_240
	.p2align	6
.LBB1235_238:                           ;   in Loop: Header=BB1235_240 Depth=1
	global_load_u16 v39, v[33:34], off
	global_load_u16 v40, v[35:36], off
	v_add_co_u32 v33, vcc_lo, v33, 2
	v_add_co_ci_u32_e32 v34, vcc_lo, 0, v34, vcc_lo
	v_add_co_u32 v35, s0, v35, 2
	s_delay_alu instid0(VALU_DEP_1)
	v_add_co_ci_u32_e64 v36, s0, 0, v36, s0
	s_add_u32 s6, s6, 1
	s_addc_u32 s7, s7, 0
	s_and_not1_b32 s0, s35, exec_lo
	s_waitcnt vmcnt(1)
	v_lshlrev_b32_e32 v39, 16, v39
	s_waitcnt vmcnt(0)
	v_lshlrev_b32_e32 v40, 16, v40
	s_delay_alu instid0(VALU_DEP_1) | instskip(SKIP_1) | instid1(SALU_CYCLE_1)
	v_cmp_neq_f32_e32 vcc_lo, v40, v39
	s_and_b32 s35, vcc_lo, exec_lo
	s_or_b32 s35, s0, s35
.LBB1235_239:                           ;   in Loop: Header=BB1235_240 Depth=1
	v_dual_mov_b32 v40, s7 :: v_dual_mov_b32 v39, s6
	s_and_b32 s0, exec_lo, s35
	s_delay_alu instid0(SALU_CYCLE_1) | instskip(NEXT) | instid1(SALU_CYCLE_1)
	s_or_b32 s27, s0, s27
	s_and_not1_b32 exec_lo, exec_lo, s27
	s_cbranch_execz .LBB1235_242
.LBB1235_240:                           ; =>This Inner Loop Header: Depth=1
	s_or_b32 s35, s35, exec_lo
	s_cmp_eq_u64 s[4:5], s[6:7]
	s_cbranch_scc0 .LBB1235_238
; %bb.241:                              ;   in Loop: Header=BB1235_240 Depth=1
	s_mov_b64 s[6:7], s[14:15]
                                        ; implicit-def: $vgpr33_vgpr34
                                        ; implicit-def: $vgpr35_vgpr36
	s_branch .LBB1235_239
.LBB1235_242:
	s_set_inst_prefetch_distance 0x2
	s_or_b32 exec_lo, exec_lo, s27
	v_cmp_gt_i64_e32 vcc_lo, s[14:15], v[39:40]
	s_or_not1_b32 s27, vcc_lo, exec_lo
.LBB1235_243:
	s_or_b32 exec_lo, exec_lo, s34
.LBB1235_244:
	v_mul_lo_u32 v35, v28, s14
	v_mul_lo_u32 v36, v27, s15
	v_mad_u64_u32 v[33:34], null, v27, s14, 0
	s_and_not1_b32 vcc_lo, exec_lo, s13
	s_delay_alu instid0(VALU_DEP_1) | instskip(NEXT) | instid1(VALU_DEP_1)
	v_add3_u32 v34, v34, v36, v35
	v_lshlrev_b64 v[33:34], 1, v[33:34]
	s_cbranch_vccnz .LBB1235_253
; %bb.245:
	v_add_co_u32 v35, vcc_lo, s20, v37
	v_add_co_ci_u32_e32 v36, vcc_lo, s21, v38, vcc_lo
	s_delay_alu instid0(VALU_DEP_3) | instskip(NEXT) | instid1(VALU_DEP_4)
	v_add_co_u32 v37, vcc_lo, s20, v33
	v_add_co_ci_u32_e32 v38, vcc_lo, s21, v34, vcc_lo
	s_mov_b32 s26, -1
	s_clause 0x1
	global_load_u16 v39, v[35:36], off
	global_load_u16 v40, v[37:38], off
	s_mov_b32 s34, exec_lo
	s_waitcnt vmcnt(1)
	v_lshlrev_b32_e32 v39, 16, v39
	s_waitcnt vmcnt(0)
	v_lshlrev_b32_e32 v40, 16, v40
	s_delay_alu instid0(VALU_DEP_1)
	v_cmpx_eq_f32_e32 v40, v39
	s_cbranch_execz .LBB1235_252
; %bb.246:
	v_add_co_u32 v35, vcc_lo, v35, 2
	v_add_co_ci_u32_e32 v36, vcc_lo, 0, v36, vcc_lo
	v_add_co_u32 v37, vcc_lo, v37, 2
	v_add_co_ci_u32_e32 v38, vcc_lo, 0, v38, vcc_lo
	s_add_u32 s4, s14, -1
	s_addc_u32 s5, s15, -1
	s_mov_b64 s[6:7], 0
	s_mov_b32 s26, 0
                                        ; implicit-def: $sgpr35
	s_set_inst_prefetch_distance 0x1
	s_branch .LBB1235_249
	.p2align	6
.LBB1235_247:                           ;   in Loop: Header=BB1235_249 Depth=1
	global_load_u16 v39, v[35:36], off
	global_load_u16 v40, v[37:38], off
	v_add_co_u32 v35, vcc_lo, v35, 2
	v_add_co_ci_u32_e32 v36, vcc_lo, 0, v36, vcc_lo
	v_add_co_u32 v37, s0, v37, 2
	s_delay_alu instid0(VALU_DEP_1)
	v_add_co_ci_u32_e64 v38, s0, 0, v38, s0
	s_add_u32 s6, s6, 1
	s_addc_u32 s7, s7, 0
	s_and_not1_b32 s0, s35, exec_lo
	s_waitcnt vmcnt(1)
	v_lshlrev_b32_e32 v39, 16, v39
	s_waitcnt vmcnt(0)
	v_lshlrev_b32_e32 v40, 16, v40
	s_delay_alu instid0(VALU_DEP_1) | instskip(SKIP_1) | instid1(SALU_CYCLE_1)
	v_cmp_neq_f32_e32 vcc_lo, v40, v39
	s_and_b32 s35, vcc_lo, exec_lo
	s_or_b32 s35, s0, s35
.LBB1235_248:                           ;   in Loop: Header=BB1235_249 Depth=1
	v_dual_mov_b32 v40, s7 :: v_dual_mov_b32 v39, s6
	s_and_b32 s0, exec_lo, s35
	s_delay_alu instid0(SALU_CYCLE_1) | instskip(NEXT) | instid1(SALU_CYCLE_1)
	s_or_b32 s26, s0, s26
	s_and_not1_b32 exec_lo, exec_lo, s26
	s_cbranch_execz .LBB1235_251
.LBB1235_249:                           ; =>This Inner Loop Header: Depth=1
	s_or_b32 s35, s35, exec_lo
	s_cmp_eq_u64 s[4:5], s[6:7]
	s_cbranch_scc0 .LBB1235_247
; %bb.250:                              ;   in Loop: Header=BB1235_249 Depth=1
	s_mov_b64 s[6:7], s[14:15]
                                        ; implicit-def: $vgpr35_vgpr36
                                        ; implicit-def: $vgpr37_vgpr38
	s_branch .LBB1235_248
.LBB1235_251:
	s_set_inst_prefetch_distance 0x2
	s_or_b32 exec_lo, exec_lo, s26
	v_cmp_gt_i64_e32 vcc_lo, s[14:15], v[39:40]
	s_or_not1_b32 s26, vcc_lo, exec_lo
.LBB1235_252:
	s_or_b32 exec_lo, exec_lo, s34
.LBB1235_253:
	v_mul_lo_u32 v37, v26, s14
	v_mul_lo_u32 v38, v25, s15
	v_mad_u64_u32 v[35:36], null, v25, s14, 0
	s_mov_b32 s34, 0
	s_and_not1_b32 vcc_lo, exec_lo, s13
	s_mov_b32 s35, 0
	s_delay_alu instid0(VALU_DEP_1) | instskip(NEXT) | instid1(VALU_DEP_1)
	v_add3_u32 v36, v36, v38, v37
	v_lshlrev_b64 v[37:38], 1, v[35:36]
	s_cbranch_vccnz .LBB1235_262
; %bb.254:
	v_add_co_u32 v33, vcc_lo, s20, v33
	v_add_co_ci_u32_e32 v34, vcc_lo, s21, v34, vcc_lo
	s_delay_alu instid0(VALU_DEP_3) | instskip(NEXT) | instid1(VALU_DEP_4)
	v_add_co_u32 v35, vcc_lo, s20, v37
	v_add_co_ci_u32_e32 v36, vcc_lo, s21, v38, vcc_lo
	s_mov_b32 s35, -1
	s_clause 0x1
	global_load_u16 v39, v[33:34], off
	global_load_u16 v40, v[35:36], off
	s_mov_b32 s36, exec_lo
	s_waitcnt vmcnt(1)
	v_lshlrev_b32_e32 v39, 16, v39
	s_waitcnt vmcnt(0)
	v_lshlrev_b32_e32 v40, 16, v40
	s_delay_alu instid0(VALU_DEP_1)
	v_cmpx_eq_f32_e32 v40, v39
	s_cbranch_execz .LBB1235_261
; %bb.255:
	v_add_co_u32 v33, vcc_lo, v33, 2
	v_add_co_ci_u32_e32 v34, vcc_lo, 0, v34, vcc_lo
	v_add_co_u32 v35, vcc_lo, v35, 2
	v_add_co_ci_u32_e32 v36, vcc_lo, 0, v36, vcc_lo
	s_add_u32 s4, s14, -1
	s_addc_u32 s5, s15, -1
	s_mov_b64 s[6:7], 0
	s_mov_b32 s35, 0
                                        ; implicit-def: $sgpr37
	s_set_inst_prefetch_distance 0x1
	s_branch .LBB1235_258
	.p2align	6
.LBB1235_256:                           ;   in Loop: Header=BB1235_258 Depth=1
	global_load_u16 v39, v[33:34], off
	global_load_u16 v40, v[35:36], off
	v_add_co_u32 v33, vcc_lo, v33, 2
	v_add_co_ci_u32_e32 v34, vcc_lo, 0, v34, vcc_lo
	v_add_co_u32 v35, s0, v35, 2
	s_delay_alu instid0(VALU_DEP_1)
	v_add_co_ci_u32_e64 v36, s0, 0, v36, s0
	s_add_u32 s6, s6, 1
	s_addc_u32 s7, s7, 0
	s_and_not1_b32 s0, s37, exec_lo
	s_waitcnt vmcnt(1)
	v_lshlrev_b32_e32 v39, 16, v39
	s_waitcnt vmcnt(0)
	v_lshlrev_b32_e32 v40, 16, v40
	s_delay_alu instid0(VALU_DEP_1) | instskip(SKIP_1) | instid1(SALU_CYCLE_1)
	v_cmp_neq_f32_e32 vcc_lo, v40, v39
	s_and_b32 s37, vcc_lo, exec_lo
	s_or_b32 s37, s0, s37
.LBB1235_257:                           ;   in Loop: Header=BB1235_258 Depth=1
	v_dual_mov_b32 v40, s7 :: v_dual_mov_b32 v39, s6
	s_and_b32 s0, exec_lo, s37
	s_delay_alu instid0(SALU_CYCLE_1) | instskip(NEXT) | instid1(SALU_CYCLE_1)
	s_or_b32 s35, s0, s35
	s_and_not1_b32 exec_lo, exec_lo, s35
	s_cbranch_execz .LBB1235_260
.LBB1235_258:                           ; =>This Inner Loop Header: Depth=1
	s_or_b32 s37, s37, exec_lo
	s_cmp_eq_u64 s[4:5], s[6:7]
	s_cbranch_scc0 .LBB1235_256
; %bb.259:                              ;   in Loop: Header=BB1235_258 Depth=1
	s_mov_b64 s[6:7], s[14:15]
                                        ; implicit-def: $vgpr33_vgpr34
                                        ; implicit-def: $vgpr35_vgpr36
	s_branch .LBB1235_257
.LBB1235_260:
	s_set_inst_prefetch_distance 0x2
	s_or_b32 exec_lo, exec_lo, s35
	v_cmp_gt_i64_e32 vcc_lo, s[14:15], v[39:40]
	s_or_not1_b32 s35, vcc_lo, exec_lo
.LBB1235_261:
	s_or_b32 exec_lo, exec_lo, s36
.LBB1235_262:
	v_mul_lo_u32 v35, v32, s14
	v_mul_lo_u32 v36, v31, s15
	v_mad_u64_u32 v[33:34], null, v31, s14, 0
	s_and_not1_b32 vcc_lo, exec_lo, s13
	s_delay_alu instid0(VALU_DEP_1) | instskip(NEXT) | instid1(VALU_DEP_1)
	v_add3_u32 v34, v34, v36, v35
	v_lshlrev_b64 v[35:36], 1, v[33:34]
	s_cbranch_vccnz .LBB1235_271
; %bb.263:
	v_add_co_u32 v33, vcc_lo, s20, v37
	v_add_co_ci_u32_e32 v34, vcc_lo, s21, v38, vcc_lo
	s_delay_alu instid0(VALU_DEP_3) | instskip(NEXT) | instid1(VALU_DEP_4)
	v_add_co_u32 v37, vcc_lo, s20, v35
	v_add_co_ci_u32_e32 v38, vcc_lo, s21, v36, vcc_lo
	s_mov_b32 s34, -1
	s_clause 0x1
	global_load_u16 v39, v[33:34], off
	global_load_u16 v40, v[37:38], off
	s_mov_b32 s36, exec_lo
	s_waitcnt vmcnt(1)
	v_lshlrev_b32_e32 v39, 16, v39
	s_waitcnt vmcnt(0)
	v_lshlrev_b32_e32 v40, 16, v40
	s_delay_alu instid0(VALU_DEP_1)
	v_cmpx_eq_f32_e32 v40, v39
	s_cbranch_execz .LBB1235_270
; %bb.264:
	v_add_co_u32 v33, vcc_lo, v33, 2
	v_add_co_ci_u32_e32 v34, vcc_lo, 0, v34, vcc_lo
	v_add_co_u32 v37, vcc_lo, v37, 2
	v_add_co_ci_u32_e32 v38, vcc_lo, 0, v38, vcc_lo
	s_add_u32 s4, s14, -1
	s_addc_u32 s5, s15, -1
	s_mov_b64 s[6:7], 0
	s_mov_b32 s34, 0
                                        ; implicit-def: $sgpr37
	s_set_inst_prefetch_distance 0x1
	s_branch .LBB1235_267
	.p2align	6
.LBB1235_265:                           ;   in Loop: Header=BB1235_267 Depth=1
	global_load_u16 v39, v[33:34], off
	global_load_u16 v40, v[37:38], off
	v_add_co_u32 v33, vcc_lo, v33, 2
	v_add_co_ci_u32_e32 v34, vcc_lo, 0, v34, vcc_lo
	v_add_co_u32 v37, s0, v37, 2
	s_delay_alu instid0(VALU_DEP_1)
	v_add_co_ci_u32_e64 v38, s0, 0, v38, s0
	s_add_u32 s6, s6, 1
	s_addc_u32 s7, s7, 0
	s_and_not1_b32 s0, s37, exec_lo
	s_waitcnt vmcnt(1)
	v_lshlrev_b32_e32 v39, 16, v39
	s_waitcnt vmcnt(0)
	v_lshlrev_b32_e32 v40, 16, v40
	s_delay_alu instid0(VALU_DEP_1) | instskip(SKIP_1) | instid1(SALU_CYCLE_1)
	v_cmp_neq_f32_e32 vcc_lo, v40, v39
	s_and_b32 s37, vcc_lo, exec_lo
	s_or_b32 s37, s0, s37
.LBB1235_266:                           ;   in Loop: Header=BB1235_267 Depth=1
	v_dual_mov_b32 v40, s7 :: v_dual_mov_b32 v39, s6
	s_and_b32 s0, exec_lo, s37
	s_delay_alu instid0(SALU_CYCLE_1) | instskip(NEXT) | instid1(SALU_CYCLE_1)
	s_or_b32 s34, s0, s34
	s_and_not1_b32 exec_lo, exec_lo, s34
	s_cbranch_execz .LBB1235_269
.LBB1235_267:                           ; =>This Inner Loop Header: Depth=1
	s_or_b32 s37, s37, exec_lo
	s_cmp_eq_u64 s[4:5], s[6:7]
	s_cbranch_scc0 .LBB1235_265
; %bb.268:                              ;   in Loop: Header=BB1235_267 Depth=1
	s_mov_b64 s[6:7], s[14:15]
                                        ; implicit-def: $vgpr33_vgpr34
                                        ; implicit-def: $vgpr37_vgpr38
	s_branch .LBB1235_266
.LBB1235_269:
	s_set_inst_prefetch_distance 0x2
	s_or_b32 exec_lo, exec_lo, s34
	v_cmp_gt_i64_e32 vcc_lo, s[14:15], v[39:40]
	s_or_not1_b32 s34, vcc_lo, exec_lo
.LBB1235_270:
	s_or_b32 exec_lo, exec_lo, s36
.LBB1235_271:
	v_mul_lo_u32 v37, v30, s14
	v_mul_lo_u32 v38, v29, s15
	v_mad_u64_u32 v[33:34], null, v29, s14, 0
	s_and_not1_b32 vcc_lo, exec_lo, s13
	s_mov_b32 s0, 0
	s_delay_alu instid0(VALU_DEP_1)
	v_add3_u32 v34, v34, v38, v37
	s_cbranch_vccnz .LBB1235_280
; %bb.272:
	s_delay_alu instid0(VALU_DEP_1) | instskip(SKIP_3) | instid1(VALU_DEP_3)
	v_lshlrev_b64 v[37:38], 1, v[33:34]
	v_add_co_u32 v35, vcc_lo, s20, v35
	v_add_co_ci_u32_e32 v36, vcc_lo, s21, v36, vcc_lo
	s_mov_b32 s0, -1
	v_add_co_u32 v37, vcc_lo, s20, v37
	s_delay_alu instid0(VALU_DEP_4)
	v_add_co_ci_u32_e32 v38, vcc_lo, s21, v38, vcc_lo
	s_mov_b32 s36, exec_lo
	s_clause 0x1
	global_load_u16 v39, v[35:36], off
	global_load_u16 v40, v[37:38], off
	s_waitcnt vmcnt(1)
	v_lshlrev_b32_e32 v39, 16, v39
	s_waitcnt vmcnt(0)
	v_lshlrev_b32_e32 v40, 16, v40
	s_delay_alu instid0(VALU_DEP_1)
	v_cmpx_eq_f32_e32 v40, v39
	s_cbranch_execz .LBB1235_279
; %bb.273:
	v_add_co_u32 v35, vcc_lo, v35, 2
	v_add_co_ci_u32_e32 v36, vcc_lo, 0, v36, vcc_lo
	v_add_co_u32 v37, vcc_lo, v37, 2
	v_add_co_ci_u32_e32 v38, vcc_lo, 0, v38, vcc_lo
	s_add_u32 s4, s14, -1
	s_addc_u32 s5, s15, -1
	s_mov_b64 s[6:7], 0
	s_mov_b32 s37, 0
                                        ; implicit-def: $sgpr38
	s_set_inst_prefetch_distance 0x1
	s_branch .LBB1235_276
	.p2align	6
.LBB1235_274:                           ;   in Loop: Header=BB1235_276 Depth=1
	global_load_u16 v39, v[35:36], off
	global_load_u16 v40, v[37:38], off
	v_add_co_u32 v35, vcc_lo, v35, 2
	v_add_co_ci_u32_e32 v36, vcc_lo, 0, v36, vcc_lo
	v_add_co_u32 v37, s0, v37, 2
	s_delay_alu instid0(VALU_DEP_1)
	v_add_co_ci_u32_e64 v38, s0, 0, v38, s0
	s_add_u32 s6, s6, 1
	s_addc_u32 s7, s7, 0
	s_and_not1_b32 s0, s38, exec_lo
	s_waitcnt vmcnt(1)
	v_lshlrev_b32_e32 v39, 16, v39
	s_waitcnt vmcnt(0)
	v_lshlrev_b32_e32 v40, 16, v40
	s_delay_alu instid0(VALU_DEP_1) | instskip(SKIP_1) | instid1(SALU_CYCLE_1)
	v_cmp_neq_f32_e32 vcc_lo, v40, v39
	s_and_b32 s38, vcc_lo, exec_lo
	s_or_b32 s38, s0, s38
.LBB1235_275:                           ;   in Loop: Header=BB1235_276 Depth=1
	v_dual_mov_b32 v40, s7 :: v_dual_mov_b32 v39, s6
	s_and_b32 s0, exec_lo, s38
	s_delay_alu instid0(SALU_CYCLE_1) | instskip(NEXT) | instid1(SALU_CYCLE_1)
	s_or_b32 s37, s0, s37
	s_and_not1_b32 exec_lo, exec_lo, s37
	s_cbranch_execz .LBB1235_278
.LBB1235_276:                           ; =>This Inner Loop Header: Depth=1
	s_or_b32 s38, s38, exec_lo
	s_cmp_eq_u64 s[4:5], s[6:7]
	s_cbranch_scc0 .LBB1235_274
; %bb.277:                              ;   in Loop: Header=BB1235_276 Depth=1
	s_mov_b64 s[6:7], s[14:15]
                                        ; implicit-def: $vgpr35_vgpr36
                                        ; implicit-def: $vgpr37_vgpr38
	s_branch .LBB1235_275
.LBB1235_278:
	s_set_inst_prefetch_distance 0x2
	s_or_b32 exec_lo, exec_lo, s37
	v_cmp_gt_i64_e32 vcc_lo, s[14:15], v[39:40]
	s_or_not1_b32 s0, vcc_lo, exec_lo
.LBB1235_279:
	s_or_b32 exec_lo, exec_lo, s36
.LBB1235_280:
	v_cndmask_b32_e64 v36, 0, 1, s35
	v_cndmask_b32_e64 v37, 0, 1, s27
	;; [unrolled: 1-line block ×7, first 2 shown]
	v_lshlrev_b16 v37, 8, v37
	v_lshlrev_b16 v38, 8, v38
	;; [unrolled: 1-line block ×4, first 2 shown]
	s_waitcnt lgkmcnt(0)
	v_or_b32_e32 v37, v40, v37
	v_or_b32_e32 v38, v41, v38
	;; [unrolled: 1-line block ×4, first 2 shown]
	s_barrier
	v_and_b32_e32 v36, 0xffff, v37
	v_lshlrev_b32_e32 v37, 16, v38
	v_and_b32_e32 v38, 0xffff, v39
	v_lshlrev_b32_e32 v35, 16, v35
	buffer_gl0_inv
                                        ; implicit-def: $sgpr0
	v_or_b32_e32 v36, v36, v37
	v_or_b32_e32 v35, v38, v35
	s_and_saveexec_b32 s4, s3
	s_delay_alu instid0(SALU_CYCLE_1)
	s_xor_b32 s24, exec_lo, s4
	s_cbranch_execz .LBB1235_291
; %bb.281:
	s_and_not1_b32 vcc_lo, exec_lo, s13
	s_mov_b32 s0, 0
	s_cbranch_vccnz .LBB1235_290
; %bb.282:
	v_add_nc_u32_e32 v37, -8, v55
	v_lshlrev_b64 v[33:34], 1, v[33:34]
	s_mov_b32 s0, -1
	s_mov_b32 s25, exec_lo
	ds_load_b64 v[37:38], v37
	s_waitcnt lgkmcnt(0)
	v_mul_lo_u32 v40, v38, s14
	v_mul_lo_u32 v41, v37, s15
	v_mad_u64_u32 v[38:39], null, v37, s14, 0
	s_delay_alu instid0(VALU_DEP_1) | instskip(NEXT) | instid1(VALU_DEP_1)
	v_add3_u32 v39, v39, v41, v40
	v_lshlrev_b64 v[37:38], 1, v[38:39]
	s_delay_alu instid0(VALU_DEP_1) | instskip(NEXT) | instid1(VALU_DEP_2)
	v_add_co_u32 v37, vcc_lo, s20, v37
	v_add_co_ci_u32_e32 v38, vcc_lo, s21, v38, vcc_lo
	v_add_co_u32 v33, vcc_lo, s20, v33
	v_add_co_ci_u32_e32 v34, vcc_lo, s21, v34, vcc_lo
	s_clause 0x1
	global_load_u16 v39, v[37:38], off
	global_load_u16 v40, v[33:34], off
	s_waitcnt vmcnt(1)
	v_lshlrev_b32_e32 v39, 16, v39
	s_waitcnt vmcnt(0)
	v_lshlrev_b32_e32 v40, 16, v40
	s_delay_alu instid0(VALU_DEP_1)
	v_cmpx_eq_f32_e32 v39, v40
	s_cbranch_execz .LBB1235_289
; %bb.283:
	v_add_co_u32 v33, vcc_lo, v33, 2
	v_add_co_ci_u32_e32 v34, vcc_lo, 0, v34, vcc_lo
	v_add_co_u32 v37, vcc_lo, v37, 2
	v_add_co_ci_u32_e32 v38, vcc_lo, 0, v38, vcc_lo
	s_add_u32 s4, s14, -1
	s_addc_u32 s5, s15, -1
	s_mov_b64 s[6:7], 0
	s_mov_b32 s26, 0
                                        ; implicit-def: $sgpr27
	s_set_inst_prefetch_distance 0x1
	s_branch .LBB1235_286
	.p2align	6
.LBB1235_284:                           ;   in Loop: Header=BB1235_286 Depth=1
	global_load_u16 v39, v[33:34], off
	global_load_u16 v40, v[37:38], off
	v_add_co_u32 v33, vcc_lo, v33, 2
	v_add_co_ci_u32_e32 v34, vcc_lo, 0, v34, vcc_lo
	v_add_co_u32 v37, s0, v37, 2
	s_delay_alu instid0(VALU_DEP_1)
	v_add_co_ci_u32_e64 v38, s0, 0, v38, s0
	s_add_u32 s6, s6, 1
	s_addc_u32 s7, s7, 0
	s_and_not1_b32 s0, s27, exec_lo
	s_waitcnt vmcnt(1)
	v_lshlrev_b32_e32 v39, 16, v39
	s_waitcnt vmcnt(0)
	v_lshlrev_b32_e32 v40, 16, v40
	s_delay_alu instid0(VALU_DEP_1) | instskip(SKIP_1) | instid1(SALU_CYCLE_1)
	v_cmp_neq_f32_e32 vcc_lo, v40, v39
	s_and_b32 s27, vcc_lo, exec_lo
	s_or_b32 s27, s0, s27
.LBB1235_285:                           ;   in Loop: Header=BB1235_286 Depth=1
	v_dual_mov_b32 v40, s7 :: v_dual_mov_b32 v39, s6
	s_and_b32 s0, exec_lo, s27
	s_delay_alu instid0(SALU_CYCLE_1) | instskip(NEXT) | instid1(SALU_CYCLE_1)
	s_or_b32 s26, s0, s26
	s_and_not1_b32 exec_lo, exec_lo, s26
	s_cbranch_execz .LBB1235_288
.LBB1235_286:                           ; =>This Inner Loop Header: Depth=1
	s_or_b32 s27, s27, exec_lo
	s_cmp_eq_u64 s[4:5], s[6:7]
	s_cbranch_scc0 .LBB1235_284
; %bb.287:                              ;   in Loop: Header=BB1235_286 Depth=1
	s_mov_b64 s[6:7], s[14:15]
                                        ; implicit-def: $vgpr33_vgpr34
                                        ; implicit-def: $vgpr37_vgpr38
	s_branch .LBB1235_285
.LBB1235_288:
	s_set_inst_prefetch_distance 0x2
	s_or_b32 exec_lo, exec_lo, s26
	v_cmp_gt_i64_e32 vcc_lo, s[14:15], v[39:40]
	s_or_not1_b32 s0, vcc_lo, exec_lo
.LBB1235_289:
	s_or_b32 exec_lo, exec_lo, s25
.LBB1235_290:
	s_delay_alu instid0(SALU_CYCLE_1)
	s_and_b32 s0, s0, exec_lo
	s_or_b32 s1, s1, exec_lo
.LBB1235_291:
	s_or_b32 exec_lo, exec_lo, s24
	s_branch .LBB1235_383
.LBB1235_292:
	s_waitcnt vmcnt(0) lgkmcnt(1)
	v_or_b32_e32 v33, 7, v55
	s_mov_b32 s24, 0
	s_mov_b32 s25, 0
	s_mov_b32 s26, exec_lo
	s_delay_alu instid0(VALU_DEP_1)
	v_cmpx_gt_u32_e64 s31, v33
	s_cbranch_execz .LBB1235_303
; %bb.293:
	s_and_not1_b32 vcc_lo, exec_lo, s13
	s_mov_b32 s0, 0
	s_cbranch_vccnz .LBB1235_302
; %bb.294:
	v_mul_lo_u32 v37, v20, s14
	v_mul_lo_u32 v38, v19, s15
	v_mad_u64_u32 v[33:34], null, v19, s14, 0
	v_mul_lo_u32 v39, v18, s14
	v_mul_lo_u32 v40, v17, s15
	v_mad_u64_u32 v[35:36], null, v17, s14, 0
	s_mov_b32 s0, -1
	s_mov_b32 s25, exec_lo
	s_delay_alu instid0(VALU_DEP_4) | instskip(NEXT) | instid1(VALU_DEP_2)
	v_add3_u32 v34, v34, v38, v37
	v_add3_u32 v36, v36, v40, v39
	s_delay_alu instid0(VALU_DEP_2) | instskip(NEXT) | instid1(VALU_DEP_2)
	v_lshlrev_b64 v[33:34], 1, v[33:34]
	v_lshlrev_b64 v[35:36], 1, v[35:36]
	s_delay_alu instid0(VALU_DEP_2) | instskip(NEXT) | instid1(VALU_DEP_3)
	v_add_co_u32 v33, vcc_lo, s20, v33
	v_add_co_ci_u32_e32 v34, vcc_lo, s21, v34, vcc_lo
	s_delay_alu instid0(VALU_DEP_3) | instskip(NEXT) | instid1(VALU_DEP_4)
	v_add_co_u32 v35, vcc_lo, s20, v35
	v_add_co_ci_u32_e32 v36, vcc_lo, s21, v36, vcc_lo
	s_clause 0x1
	global_load_u16 v37, v[33:34], off
	global_load_u16 v38, v[35:36], off
	s_waitcnt vmcnt(1)
	v_lshlrev_b32_e32 v37, 16, v37
	s_waitcnt vmcnt(0)
	v_lshlrev_b32_e32 v38, 16, v38
	s_delay_alu instid0(VALU_DEP_1)
	v_cmpx_eq_f32_e32 v38, v37
	s_cbranch_execz .LBB1235_301
; %bb.295:
	v_add_co_u32 v33, vcc_lo, v33, 2
	v_add_co_ci_u32_e32 v34, vcc_lo, 0, v34, vcc_lo
	v_add_co_u32 v35, vcc_lo, v35, 2
	v_add_co_ci_u32_e32 v36, vcc_lo, 0, v36, vcc_lo
	s_add_u32 s4, s14, -1
	s_addc_u32 s5, s15, -1
	s_mov_b64 s[6:7], 0
	s_mov_b32 s27, 0
                                        ; implicit-def: $sgpr34
	s_set_inst_prefetch_distance 0x1
	s_branch .LBB1235_298
	.p2align	6
.LBB1235_296:                           ;   in Loop: Header=BB1235_298 Depth=1
	global_load_u16 v37, v[33:34], off
	global_load_u16 v38, v[35:36], off
	v_add_co_u32 v33, vcc_lo, v33, 2
	v_add_co_ci_u32_e32 v34, vcc_lo, 0, v34, vcc_lo
	v_add_co_u32 v35, s0, v35, 2
	s_delay_alu instid0(VALU_DEP_1)
	v_add_co_ci_u32_e64 v36, s0, 0, v36, s0
	s_add_u32 s6, s6, 1
	s_addc_u32 s7, s7, 0
	s_and_not1_b32 s0, s34, exec_lo
	s_waitcnt vmcnt(1)
	v_lshlrev_b32_e32 v37, 16, v37
	s_waitcnt vmcnt(0)
	v_lshlrev_b32_e32 v38, 16, v38
	s_delay_alu instid0(VALU_DEP_1) | instskip(SKIP_1) | instid1(SALU_CYCLE_1)
	v_cmp_neq_f32_e32 vcc_lo, v38, v37
	s_and_b32 s34, vcc_lo, exec_lo
	s_or_b32 s34, s0, s34
.LBB1235_297:                           ;   in Loop: Header=BB1235_298 Depth=1
	v_dual_mov_b32 v38, s7 :: v_dual_mov_b32 v37, s6
	s_and_b32 s0, exec_lo, s34
	s_delay_alu instid0(SALU_CYCLE_1) | instskip(NEXT) | instid1(SALU_CYCLE_1)
	s_or_b32 s27, s0, s27
	s_and_not1_b32 exec_lo, exec_lo, s27
	s_cbranch_execz .LBB1235_300
.LBB1235_298:                           ; =>This Inner Loop Header: Depth=1
	s_or_b32 s34, s34, exec_lo
	s_cmp_eq_u64 s[4:5], s[6:7]
	s_cbranch_scc0 .LBB1235_296
; %bb.299:                              ;   in Loop: Header=BB1235_298 Depth=1
	s_mov_b64 s[6:7], s[14:15]
                                        ; implicit-def: $vgpr33_vgpr34
                                        ; implicit-def: $vgpr35_vgpr36
	s_branch .LBB1235_297
.LBB1235_300:
	s_set_inst_prefetch_distance 0x2
	s_or_b32 exec_lo, exec_lo, s27
	v_cmp_gt_i64_e32 vcc_lo, s[14:15], v[37:38]
	s_or_not1_b32 s0, vcc_lo, exec_lo
.LBB1235_301:
	s_or_b32 exec_lo, exec_lo, s25
.LBB1235_302:
	s_delay_alu instid0(SALU_CYCLE_1)
	s_and_b32 s25, s0, exec_lo
.LBB1235_303:
	s_or_b32 exec_lo, exec_lo, s26
	v_or_b32_e32 v33, 6, v55
	s_mov_b32 s26, exec_lo
	s_delay_alu instid0(VALU_DEP_1)
	v_cmpx_gt_u32_e64 s31, v33
	s_cbranch_execz .LBB1235_314
; %bb.304:
	s_and_not1_b32 vcc_lo, exec_lo, s13
	s_mov_b32 s0, 0
	s_cbranch_vccnz .LBB1235_313
; %bb.305:
	v_mul_lo_u32 v37, v18, s14
	v_mul_lo_u32 v38, v17, s15
	v_mad_u64_u32 v[33:34], null, v17, s14, 0
	v_mul_lo_u32 v39, v24, s14
	v_mul_lo_u32 v40, v23, s15
	v_mad_u64_u32 v[35:36], null, v23, s14, 0
	s_mov_b32 s0, -1
	s_mov_b32 s24, exec_lo
	s_delay_alu instid0(VALU_DEP_4) | instskip(NEXT) | instid1(VALU_DEP_2)
	v_add3_u32 v34, v34, v38, v37
	v_add3_u32 v36, v36, v40, v39
	s_delay_alu instid0(VALU_DEP_2) | instskip(NEXT) | instid1(VALU_DEP_2)
	v_lshlrev_b64 v[33:34], 1, v[33:34]
	v_lshlrev_b64 v[35:36], 1, v[35:36]
	s_delay_alu instid0(VALU_DEP_2) | instskip(NEXT) | instid1(VALU_DEP_3)
	v_add_co_u32 v33, vcc_lo, s20, v33
	v_add_co_ci_u32_e32 v34, vcc_lo, s21, v34, vcc_lo
	s_delay_alu instid0(VALU_DEP_3) | instskip(NEXT) | instid1(VALU_DEP_4)
	v_add_co_u32 v35, vcc_lo, s20, v35
	v_add_co_ci_u32_e32 v36, vcc_lo, s21, v36, vcc_lo
	s_clause 0x1
	global_load_u16 v37, v[33:34], off
	global_load_u16 v38, v[35:36], off
	s_waitcnt vmcnt(1)
	v_lshlrev_b32_e32 v37, 16, v37
	s_waitcnt vmcnt(0)
	v_lshlrev_b32_e32 v38, 16, v38
	s_delay_alu instid0(VALU_DEP_1)
	v_cmpx_eq_f32_e32 v38, v37
	s_cbranch_execz .LBB1235_312
; %bb.306:
	v_add_co_u32 v33, vcc_lo, v33, 2
	v_add_co_ci_u32_e32 v34, vcc_lo, 0, v34, vcc_lo
	v_add_co_u32 v35, vcc_lo, v35, 2
	v_add_co_ci_u32_e32 v36, vcc_lo, 0, v36, vcc_lo
	s_add_u32 s4, s14, -1
	s_addc_u32 s5, s15, -1
	s_mov_b64 s[6:7], 0
	s_mov_b32 s27, 0
                                        ; implicit-def: $sgpr34
	s_set_inst_prefetch_distance 0x1
	s_branch .LBB1235_309
	.p2align	6
.LBB1235_307:                           ;   in Loop: Header=BB1235_309 Depth=1
	global_load_u16 v37, v[33:34], off
	global_load_u16 v38, v[35:36], off
	v_add_co_u32 v33, vcc_lo, v33, 2
	v_add_co_ci_u32_e32 v34, vcc_lo, 0, v34, vcc_lo
	v_add_co_u32 v35, s0, v35, 2
	s_delay_alu instid0(VALU_DEP_1)
	v_add_co_ci_u32_e64 v36, s0, 0, v36, s0
	s_add_u32 s6, s6, 1
	s_addc_u32 s7, s7, 0
	s_and_not1_b32 s0, s34, exec_lo
	s_waitcnt vmcnt(1)
	v_lshlrev_b32_e32 v37, 16, v37
	s_waitcnt vmcnt(0)
	v_lshlrev_b32_e32 v38, 16, v38
	s_delay_alu instid0(VALU_DEP_1) | instskip(SKIP_1) | instid1(SALU_CYCLE_1)
	v_cmp_neq_f32_e32 vcc_lo, v38, v37
	s_and_b32 s34, vcc_lo, exec_lo
	s_or_b32 s34, s0, s34
.LBB1235_308:                           ;   in Loop: Header=BB1235_309 Depth=1
	v_dual_mov_b32 v38, s7 :: v_dual_mov_b32 v37, s6
	s_and_b32 s0, exec_lo, s34
	s_delay_alu instid0(SALU_CYCLE_1) | instskip(NEXT) | instid1(SALU_CYCLE_1)
	s_or_b32 s27, s0, s27
	s_and_not1_b32 exec_lo, exec_lo, s27
	s_cbranch_execz .LBB1235_311
.LBB1235_309:                           ; =>This Inner Loop Header: Depth=1
	s_or_b32 s34, s34, exec_lo
	s_cmp_eq_u64 s[4:5], s[6:7]
	s_cbranch_scc0 .LBB1235_307
; %bb.310:                              ;   in Loop: Header=BB1235_309 Depth=1
	s_mov_b64 s[6:7], s[14:15]
                                        ; implicit-def: $vgpr33_vgpr34
                                        ; implicit-def: $vgpr35_vgpr36
	s_branch .LBB1235_308
.LBB1235_311:
	s_set_inst_prefetch_distance 0x2
	s_or_b32 exec_lo, exec_lo, s27
	v_cmp_gt_i64_e32 vcc_lo, s[14:15], v[37:38]
	s_or_not1_b32 s0, vcc_lo, exec_lo
.LBB1235_312:
	s_or_b32 exec_lo, exec_lo, s24
.LBB1235_313:
	s_delay_alu instid0(SALU_CYCLE_1)
	s_and_b32 s24, s0, exec_lo
.LBB1235_314:
	s_or_b32 exec_lo, exec_lo, s26
	v_or_b32_e32 v33, 5, v55
	s_mov_b32 s26, 0
	s_mov_b32 s27, 0
	s_mov_b32 s34, exec_lo
	s_delay_alu instid0(VALU_DEP_1)
	v_cmpx_gt_u32_e64 s31, v33
	s_cbranch_execz .LBB1235_325
; %bb.315:
	s_and_not1_b32 vcc_lo, exec_lo, s13
	s_mov_b32 s0, 0
	s_cbranch_vccnz .LBB1235_324
; %bb.316:
	v_mul_lo_u32 v37, v24, s14
	v_mul_lo_u32 v38, v23, s15
	v_mad_u64_u32 v[33:34], null, v23, s14, 0
	v_mul_lo_u32 v39, v22, s14
	v_mul_lo_u32 v40, v21, s15
	v_mad_u64_u32 v[35:36], null, v21, s14, 0
	s_mov_b32 s0, -1
	s_mov_b32 s27, exec_lo
	s_delay_alu instid0(VALU_DEP_4) | instskip(NEXT) | instid1(VALU_DEP_2)
	v_add3_u32 v34, v34, v38, v37
	v_add3_u32 v36, v36, v40, v39
	s_delay_alu instid0(VALU_DEP_2) | instskip(NEXT) | instid1(VALU_DEP_2)
	v_lshlrev_b64 v[33:34], 1, v[33:34]
	v_lshlrev_b64 v[35:36], 1, v[35:36]
	s_delay_alu instid0(VALU_DEP_2) | instskip(NEXT) | instid1(VALU_DEP_3)
	v_add_co_u32 v33, vcc_lo, s20, v33
	v_add_co_ci_u32_e32 v34, vcc_lo, s21, v34, vcc_lo
	s_delay_alu instid0(VALU_DEP_3) | instskip(NEXT) | instid1(VALU_DEP_4)
	v_add_co_u32 v35, vcc_lo, s20, v35
	v_add_co_ci_u32_e32 v36, vcc_lo, s21, v36, vcc_lo
	s_clause 0x1
	global_load_u16 v37, v[33:34], off
	global_load_u16 v38, v[35:36], off
	s_waitcnt vmcnt(1)
	v_lshlrev_b32_e32 v37, 16, v37
	s_waitcnt vmcnt(0)
	v_lshlrev_b32_e32 v38, 16, v38
	s_delay_alu instid0(VALU_DEP_1)
	v_cmpx_eq_f32_e32 v38, v37
	s_cbranch_execz .LBB1235_323
; %bb.317:
	v_add_co_u32 v33, vcc_lo, v33, 2
	v_add_co_ci_u32_e32 v34, vcc_lo, 0, v34, vcc_lo
	v_add_co_u32 v35, vcc_lo, v35, 2
	v_add_co_ci_u32_e32 v36, vcc_lo, 0, v36, vcc_lo
	s_add_u32 s4, s14, -1
	s_addc_u32 s5, s15, -1
	s_mov_b64 s[6:7], 0
	s_mov_b32 s35, 0
                                        ; implicit-def: $sgpr36
	s_set_inst_prefetch_distance 0x1
	s_branch .LBB1235_320
	.p2align	6
.LBB1235_318:                           ;   in Loop: Header=BB1235_320 Depth=1
	global_load_u16 v37, v[33:34], off
	global_load_u16 v38, v[35:36], off
	v_add_co_u32 v33, vcc_lo, v33, 2
	v_add_co_ci_u32_e32 v34, vcc_lo, 0, v34, vcc_lo
	v_add_co_u32 v35, s0, v35, 2
	s_delay_alu instid0(VALU_DEP_1)
	v_add_co_ci_u32_e64 v36, s0, 0, v36, s0
	s_add_u32 s6, s6, 1
	s_addc_u32 s7, s7, 0
	s_and_not1_b32 s0, s36, exec_lo
	s_waitcnt vmcnt(1)
	v_lshlrev_b32_e32 v37, 16, v37
	s_waitcnt vmcnt(0)
	v_lshlrev_b32_e32 v38, 16, v38
	s_delay_alu instid0(VALU_DEP_1) | instskip(SKIP_1) | instid1(SALU_CYCLE_1)
	v_cmp_neq_f32_e32 vcc_lo, v38, v37
	s_and_b32 s36, vcc_lo, exec_lo
	s_or_b32 s36, s0, s36
.LBB1235_319:                           ;   in Loop: Header=BB1235_320 Depth=1
	v_dual_mov_b32 v38, s7 :: v_dual_mov_b32 v37, s6
	s_and_b32 s0, exec_lo, s36
	s_delay_alu instid0(SALU_CYCLE_1) | instskip(NEXT) | instid1(SALU_CYCLE_1)
	s_or_b32 s35, s0, s35
	s_and_not1_b32 exec_lo, exec_lo, s35
	s_cbranch_execz .LBB1235_322
.LBB1235_320:                           ; =>This Inner Loop Header: Depth=1
	s_or_b32 s36, s36, exec_lo
	s_cmp_eq_u64 s[4:5], s[6:7]
	s_cbranch_scc0 .LBB1235_318
; %bb.321:                              ;   in Loop: Header=BB1235_320 Depth=1
	s_mov_b64 s[6:7], s[14:15]
                                        ; implicit-def: $vgpr33_vgpr34
                                        ; implicit-def: $vgpr35_vgpr36
	s_branch .LBB1235_319
.LBB1235_322:
	s_set_inst_prefetch_distance 0x2
	s_or_b32 exec_lo, exec_lo, s35
	v_cmp_gt_i64_e32 vcc_lo, s[14:15], v[37:38]
	s_or_not1_b32 s0, vcc_lo, exec_lo
.LBB1235_323:
	s_or_b32 exec_lo, exec_lo, s27
.LBB1235_324:
	s_delay_alu instid0(SALU_CYCLE_1)
	s_and_b32 s27, s0, exec_lo
.LBB1235_325:
	s_or_b32 exec_lo, exec_lo, s34
	v_or_b32_e32 v33, 4, v55
	s_mov_b32 s34, exec_lo
	s_delay_alu instid0(VALU_DEP_1)
	v_cmpx_gt_u32_e64 s31, v33
	s_cbranch_execz .LBB1235_336
; %bb.326:
	s_and_not1_b32 vcc_lo, exec_lo, s13
	s_mov_b32 s0, 0
	s_cbranch_vccnz .LBB1235_335
; %bb.327:
	v_mul_lo_u32 v37, v22, s14
	v_mul_lo_u32 v38, v21, s15
	v_mad_u64_u32 v[33:34], null, v21, s14, 0
	v_mul_lo_u32 v39, v28, s14
	v_mul_lo_u32 v40, v27, s15
	v_mad_u64_u32 v[35:36], null, v27, s14, 0
	s_mov_b32 s0, -1
	s_mov_b32 s26, exec_lo
	s_delay_alu instid0(VALU_DEP_4) | instskip(NEXT) | instid1(VALU_DEP_2)
	v_add3_u32 v34, v34, v38, v37
	v_add3_u32 v36, v36, v40, v39
	s_delay_alu instid0(VALU_DEP_2) | instskip(NEXT) | instid1(VALU_DEP_2)
	v_lshlrev_b64 v[33:34], 1, v[33:34]
	v_lshlrev_b64 v[35:36], 1, v[35:36]
	s_delay_alu instid0(VALU_DEP_2) | instskip(NEXT) | instid1(VALU_DEP_3)
	v_add_co_u32 v33, vcc_lo, s20, v33
	v_add_co_ci_u32_e32 v34, vcc_lo, s21, v34, vcc_lo
	s_delay_alu instid0(VALU_DEP_3) | instskip(NEXT) | instid1(VALU_DEP_4)
	v_add_co_u32 v35, vcc_lo, s20, v35
	v_add_co_ci_u32_e32 v36, vcc_lo, s21, v36, vcc_lo
	s_clause 0x1
	global_load_u16 v37, v[33:34], off
	global_load_u16 v38, v[35:36], off
	s_waitcnt vmcnt(1)
	v_lshlrev_b32_e32 v37, 16, v37
	s_waitcnt vmcnt(0)
	v_lshlrev_b32_e32 v38, 16, v38
	s_delay_alu instid0(VALU_DEP_1)
	v_cmpx_eq_f32_e32 v38, v37
	s_cbranch_execz .LBB1235_334
; %bb.328:
	v_add_co_u32 v33, vcc_lo, v33, 2
	v_add_co_ci_u32_e32 v34, vcc_lo, 0, v34, vcc_lo
	v_add_co_u32 v35, vcc_lo, v35, 2
	v_add_co_ci_u32_e32 v36, vcc_lo, 0, v36, vcc_lo
	s_add_u32 s4, s14, -1
	s_addc_u32 s5, s15, -1
	s_mov_b64 s[6:7], 0
	s_mov_b32 s35, 0
                                        ; implicit-def: $sgpr36
	s_set_inst_prefetch_distance 0x1
	s_branch .LBB1235_331
	.p2align	6
.LBB1235_329:                           ;   in Loop: Header=BB1235_331 Depth=1
	global_load_u16 v37, v[33:34], off
	global_load_u16 v38, v[35:36], off
	v_add_co_u32 v33, vcc_lo, v33, 2
	v_add_co_ci_u32_e32 v34, vcc_lo, 0, v34, vcc_lo
	v_add_co_u32 v35, s0, v35, 2
	s_delay_alu instid0(VALU_DEP_1)
	v_add_co_ci_u32_e64 v36, s0, 0, v36, s0
	s_add_u32 s6, s6, 1
	s_addc_u32 s7, s7, 0
	s_and_not1_b32 s0, s36, exec_lo
	s_waitcnt vmcnt(1)
	v_lshlrev_b32_e32 v37, 16, v37
	s_waitcnt vmcnt(0)
	v_lshlrev_b32_e32 v38, 16, v38
	s_delay_alu instid0(VALU_DEP_1) | instskip(SKIP_1) | instid1(SALU_CYCLE_1)
	v_cmp_neq_f32_e32 vcc_lo, v38, v37
	s_and_b32 s36, vcc_lo, exec_lo
	s_or_b32 s36, s0, s36
.LBB1235_330:                           ;   in Loop: Header=BB1235_331 Depth=1
	v_dual_mov_b32 v38, s7 :: v_dual_mov_b32 v37, s6
	s_and_b32 s0, exec_lo, s36
	s_delay_alu instid0(SALU_CYCLE_1) | instskip(NEXT) | instid1(SALU_CYCLE_1)
	s_or_b32 s35, s0, s35
	s_and_not1_b32 exec_lo, exec_lo, s35
	s_cbranch_execz .LBB1235_333
.LBB1235_331:                           ; =>This Inner Loop Header: Depth=1
	s_or_b32 s36, s36, exec_lo
	s_cmp_eq_u64 s[4:5], s[6:7]
	s_cbranch_scc0 .LBB1235_329
; %bb.332:                              ;   in Loop: Header=BB1235_331 Depth=1
	s_mov_b64 s[6:7], s[14:15]
                                        ; implicit-def: $vgpr33_vgpr34
                                        ; implicit-def: $vgpr35_vgpr36
	s_branch .LBB1235_330
.LBB1235_333:
	s_set_inst_prefetch_distance 0x2
	s_or_b32 exec_lo, exec_lo, s35
	v_cmp_gt_i64_e32 vcc_lo, s[14:15], v[37:38]
	s_or_not1_b32 s0, vcc_lo, exec_lo
.LBB1235_334:
	s_or_b32 exec_lo, exec_lo, s26
.LBB1235_335:
	s_delay_alu instid0(SALU_CYCLE_1)
	s_and_b32 s26, s0, exec_lo
.LBB1235_336:
	s_or_b32 exec_lo, exec_lo, s34
	v_or_b32_e32 v33, 3, v55
	s_mov_b32 s35, 0
	s_mov_b32 s34, 0
	s_mov_b32 s36, exec_lo
	s_delay_alu instid0(VALU_DEP_1)
	v_cmpx_gt_u32_e64 s31, v33
	s_cbranch_execz .LBB1235_347
; %bb.337:
	s_and_not1_b32 vcc_lo, exec_lo, s13
	s_mov_b32 s0, 0
	s_cbranch_vccnz .LBB1235_346
; %bb.338:
	v_mul_lo_u32 v37, v28, s14
	v_mul_lo_u32 v38, v27, s15
	v_mad_u64_u32 v[33:34], null, v27, s14, 0
	v_mul_lo_u32 v39, v26, s14
	v_mul_lo_u32 v40, v25, s15
	v_mad_u64_u32 v[35:36], null, v25, s14, 0
	s_mov_b32 s0, -1
	s_mov_b32 s34, exec_lo
	s_delay_alu instid0(VALU_DEP_4) | instskip(NEXT) | instid1(VALU_DEP_2)
	v_add3_u32 v34, v34, v38, v37
	v_add3_u32 v36, v36, v40, v39
	s_delay_alu instid0(VALU_DEP_2) | instskip(NEXT) | instid1(VALU_DEP_2)
	v_lshlrev_b64 v[33:34], 1, v[33:34]
	v_lshlrev_b64 v[35:36], 1, v[35:36]
	s_delay_alu instid0(VALU_DEP_2) | instskip(NEXT) | instid1(VALU_DEP_3)
	v_add_co_u32 v33, vcc_lo, s20, v33
	v_add_co_ci_u32_e32 v34, vcc_lo, s21, v34, vcc_lo
	s_delay_alu instid0(VALU_DEP_3) | instskip(NEXT) | instid1(VALU_DEP_4)
	v_add_co_u32 v35, vcc_lo, s20, v35
	v_add_co_ci_u32_e32 v36, vcc_lo, s21, v36, vcc_lo
	s_clause 0x1
	global_load_u16 v37, v[33:34], off
	global_load_u16 v38, v[35:36], off
	s_waitcnt vmcnt(1)
	v_lshlrev_b32_e32 v37, 16, v37
	s_waitcnt vmcnt(0)
	v_lshlrev_b32_e32 v38, 16, v38
	s_delay_alu instid0(VALU_DEP_1)
	v_cmpx_eq_f32_e32 v38, v37
	s_cbranch_execz .LBB1235_345
; %bb.339:
	v_add_co_u32 v33, vcc_lo, v33, 2
	v_add_co_ci_u32_e32 v34, vcc_lo, 0, v34, vcc_lo
	v_add_co_u32 v35, vcc_lo, v35, 2
	v_add_co_ci_u32_e32 v36, vcc_lo, 0, v36, vcc_lo
	s_add_u32 s4, s14, -1
	s_addc_u32 s5, s15, -1
	s_mov_b64 s[6:7], 0
	s_mov_b32 s37, 0
                                        ; implicit-def: $sgpr38
	s_set_inst_prefetch_distance 0x1
	s_branch .LBB1235_342
	.p2align	6
.LBB1235_340:                           ;   in Loop: Header=BB1235_342 Depth=1
	global_load_u16 v37, v[33:34], off
	global_load_u16 v38, v[35:36], off
	v_add_co_u32 v33, vcc_lo, v33, 2
	v_add_co_ci_u32_e32 v34, vcc_lo, 0, v34, vcc_lo
	v_add_co_u32 v35, s0, v35, 2
	s_delay_alu instid0(VALU_DEP_1)
	v_add_co_ci_u32_e64 v36, s0, 0, v36, s0
	s_add_u32 s6, s6, 1
	s_addc_u32 s7, s7, 0
	s_and_not1_b32 s0, s38, exec_lo
	s_waitcnt vmcnt(1)
	v_lshlrev_b32_e32 v37, 16, v37
	s_waitcnt vmcnt(0)
	v_lshlrev_b32_e32 v38, 16, v38
	s_delay_alu instid0(VALU_DEP_1) | instskip(SKIP_1) | instid1(SALU_CYCLE_1)
	v_cmp_neq_f32_e32 vcc_lo, v38, v37
	s_and_b32 s38, vcc_lo, exec_lo
	s_or_b32 s38, s0, s38
.LBB1235_341:                           ;   in Loop: Header=BB1235_342 Depth=1
	v_dual_mov_b32 v38, s7 :: v_dual_mov_b32 v37, s6
	s_and_b32 s0, exec_lo, s38
	s_delay_alu instid0(SALU_CYCLE_1) | instskip(NEXT) | instid1(SALU_CYCLE_1)
	s_or_b32 s37, s0, s37
	s_and_not1_b32 exec_lo, exec_lo, s37
	s_cbranch_execz .LBB1235_344
.LBB1235_342:                           ; =>This Inner Loop Header: Depth=1
	s_or_b32 s38, s38, exec_lo
	s_cmp_eq_u64 s[4:5], s[6:7]
	s_cbranch_scc0 .LBB1235_340
; %bb.343:                              ;   in Loop: Header=BB1235_342 Depth=1
	s_mov_b64 s[6:7], s[14:15]
                                        ; implicit-def: $vgpr33_vgpr34
                                        ; implicit-def: $vgpr35_vgpr36
	s_branch .LBB1235_341
.LBB1235_344:
	s_set_inst_prefetch_distance 0x2
	s_or_b32 exec_lo, exec_lo, s37
	v_cmp_gt_i64_e32 vcc_lo, s[14:15], v[37:38]
	s_or_not1_b32 s0, vcc_lo, exec_lo
.LBB1235_345:
	s_or_b32 exec_lo, exec_lo, s34
.LBB1235_346:
	s_delay_alu instid0(SALU_CYCLE_1)
	s_and_b32 s34, s0, exec_lo
.LBB1235_347:
	s_or_b32 exec_lo, exec_lo, s36
	v_or_b32_e32 v33, 2, v55
	s_mov_b32 s36, exec_lo
	s_delay_alu instid0(VALU_DEP_1)
	v_cmpx_gt_u32_e64 s31, v33
	s_cbranch_execz .LBB1235_358
; %bb.348:
	s_and_not1_b32 vcc_lo, exec_lo, s13
	s_mov_b32 s0, 0
	s_cbranch_vccnz .LBB1235_357
; %bb.349:
	v_mul_lo_u32 v37, v26, s14
	v_mul_lo_u32 v38, v25, s15
	v_mad_u64_u32 v[33:34], null, v25, s14, 0
	v_mul_lo_u32 v39, v32, s14
	v_mul_lo_u32 v40, v31, s15
	v_mad_u64_u32 v[35:36], null, v31, s14, 0
	s_mov_b32 s0, -1
	s_mov_b32 s35, exec_lo
	s_delay_alu instid0(VALU_DEP_4) | instskip(NEXT) | instid1(VALU_DEP_2)
	v_add3_u32 v34, v34, v38, v37
	v_add3_u32 v36, v36, v40, v39
	s_delay_alu instid0(VALU_DEP_2) | instskip(NEXT) | instid1(VALU_DEP_2)
	v_lshlrev_b64 v[33:34], 1, v[33:34]
	v_lshlrev_b64 v[35:36], 1, v[35:36]
	s_delay_alu instid0(VALU_DEP_2) | instskip(NEXT) | instid1(VALU_DEP_3)
	v_add_co_u32 v33, vcc_lo, s20, v33
	v_add_co_ci_u32_e32 v34, vcc_lo, s21, v34, vcc_lo
	s_delay_alu instid0(VALU_DEP_3) | instskip(NEXT) | instid1(VALU_DEP_4)
	v_add_co_u32 v35, vcc_lo, s20, v35
	v_add_co_ci_u32_e32 v36, vcc_lo, s21, v36, vcc_lo
	s_clause 0x1
	global_load_u16 v37, v[33:34], off
	global_load_u16 v38, v[35:36], off
	s_waitcnt vmcnt(1)
	v_lshlrev_b32_e32 v37, 16, v37
	s_waitcnt vmcnt(0)
	v_lshlrev_b32_e32 v38, 16, v38
	s_delay_alu instid0(VALU_DEP_1)
	v_cmpx_eq_f32_e32 v38, v37
	s_cbranch_execz .LBB1235_356
; %bb.350:
	v_add_co_u32 v33, vcc_lo, v33, 2
	v_add_co_ci_u32_e32 v34, vcc_lo, 0, v34, vcc_lo
	v_add_co_u32 v35, vcc_lo, v35, 2
	v_add_co_ci_u32_e32 v36, vcc_lo, 0, v36, vcc_lo
	s_add_u32 s4, s14, -1
	s_addc_u32 s5, s15, -1
	s_mov_b64 s[6:7], 0
	s_mov_b32 s37, 0
                                        ; implicit-def: $sgpr38
	s_set_inst_prefetch_distance 0x1
	s_branch .LBB1235_353
	.p2align	6
.LBB1235_351:                           ;   in Loop: Header=BB1235_353 Depth=1
	global_load_u16 v37, v[33:34], off
	global_load_u16 v38, v[35:36], off
	v_add_co_u32 v33, vcc_lo, v33, 2
	v_add_co_ci_u32_e32 v34, vcc_lo, 0, v34, vcc_lo
	v_add_co_u32 v35, s0, v35, 2
	s_delay_alu instid0(VALU_DEP_1)
	v_add_co_ci_u32_e64 v36, s0, 0, v36, s0
	s_add_u32 s6, s6, 1
	s_addc_u32 s7, s7, 0
	s_and_not1_b32 s0, s38, exec_lo
	s_waitcnt vmcnt(1)
	v_lshlrev_b32_e32 v37, 16, v37
	s_waitcnt vmcnt(0)
	v_lshlrev_b32_e32 v38, 16, v38
	s_delay_alu instid0(VALU_DEP_1) | instskip(SKIP_1) | instid1(SALU_CYCLE_1)
	v_cmp_neq_f32_e32 vcc_lo, v38, v37
	s_and_b32 s38, vcc_lo, exec_lo
	s_or_b32 s38, s0, s38
.LBB1235_352:                           ;   in Loop: Header=BB1235_353 Depth=1
	v_dual_mov_b32 v38, s7 :: v_dual_mov_b32 v37, s6
	s_and_b32 s0, exec_lo, s38
	s_delay_alu instid0(SALU_CYCLE_1) | instskip(NEXT) | instid1(SALU_CYCLE_1)
	s_or_b32 s37, s0, s37
	s_and_not1_b32 exec_lo, exec_lo, s37
	s_cbranch_execz .LBB1235_355
.LBB1235_353:                           ; =>This Inner Loop Header: Depth=1
	s_or_b32 s38, s38, exec_lo
	s_cmp_eq_u64 s[4:5], s[6:7]
	s_cbranch_scc0 .LBB1235_351
; %bb.354:                              ;   in Loop: Header=BB1235_353 Depth=1
	s_mov_b64 s[6:7], s[14:15]
                                        ; implicit-def: $vgpr33_vgpr34
                                        ; implicit-def: $vgpr35_vgpr36
	s_branch .LBB1235_352
.LBB1235_355:
	s_set_inst_prefetch_distance 0x2
	s_or_b32 exec_lo, exec_lo, s37
	v_cmp_gt_i64_e32 vcc_lo, s[14:15], v[37:38]
	s_or_not1_b32 s0, vcc_lo, exec_lo
.LBB1235_356:
	s_or_b32 exec_lo, exec_lo, s35
.LBB1235_357:
	s_delay_alu instid0(SALU_CYCLE_1)
	s_and_b32 s35, s0, exec_lo
.LBB1235_358:
	s_or_b32 exec_lo, exec_lo, s36
	v_or_b32_e32 v33, 1, v55
	s_mov_b32 s0, 0
	s_mov_b32 s36, exec_lo
	s_delay_alu instid0(VALU_DEP_1)
	v_cmpx_gt_u32_e64 s31, v33
	s_cbranch_execz .LBB1235_369
; %bb.359:
	s_and_not1_b32 vcc_lo, exec_lo, s13
	s_cbranch_vccnz .LBB1235_368
; %bb.360:
	v_mul_lo_u32 v37, v32, s14
	v_mul_lo_u32 v38, v31, s15
	v_mad_u64_u32 v[33:34], null, v31, s14, 0
	v_mul_lo_u32 v39, v30, s14
	v_mul_lo_u32 v40, v29, s15
	v_mad_u64_u32 v[35:36], null, v29, s14, 0
	s_mov_b32 s0, -1
	s_mov_b32 s37, exec_lo
	s_delay_alu instid0(VALU_DEP_4) | instskip(NEXT) | instid1(VALU_DEP_2)
	v_add3_u32 v34, v34, v38, v37
	v_add3_u32 v36, v36, v40, v39
	s_delay_alu instid0(VALU_DEP_2) | instskip(NEXT) | instid1(VALU_DEP_2)
	v_lshlrev_b64 v[33:34], 1, v[33:34]
	v_lshlrev_b64 v[35:36], 1, v[35:36]
	s_delay_alu instid0(VALU_DEP_2) | instskip(NEXT) | instid1(VALU_DEP_3)
	v_add_co_u32 v33, vcc_lo, s20, v33
	v_add_co_ci_u32_e32 v34, vcc_lo, s21, v34, vcc_lo
	s_delay_alu instid0(VALU_DEP_3) | instskip(NEXT) | instid1(VALU_DEP_4)
	v_add_co_u32 v35, vcc_lo, s20, v35
	v_add_co_ci_u32_e32 v36, vcc_lo, s21, v36, vcc_lo
	s_clause 0x1
	global_load_u16 v37, v[33:34], off
	global_load_u16 v38, v[35:36], off
	s_waitcnt vmcnt(1)
	v_lshlrev_b32_e32 v37, 16, v37
	s_waitcnt vmcnt(0)
	v_lshlrev_b32_e32 v38, 16, v38
	s_delay_alu instid0(VALU_DEP_1)
	v_cmpx_eq_f32_e32 v38, v37
	s_cbranch_execz .LBB1235_367
; %bb.361:
	v_add_co_u32 v33, vcc_lo, v33, 2
	v_add_co_ci_u32_e32 v34, vcc_lo, 0, v34, vcc_lo
	v_add_co_u32 v35, vcc_lo, v35, 2
	v_add_co_ci_u32_e32 v36, vcc_lo, 0, v36, vcc_lo
	s_add_u32 s4, s14, -1
	s_addc_u32 s5, s15, -1
	s_mov_b64 s[6:7], 0
	s_mov_b32 s38, 0
                                        ; implicit-def: $sgpr39
	s_set_inst_prefetch_distance 0x1
	s_branch .LBB1235_364
	.p2align	6
.LBB1235_362:                           ;   in Loop: Header=BB1235_364 Depth=1
	global_load_u16 v37, v[33:34], off
	global_load_u16 v38, v[35:36], off
	v_add_co_u32 v33, vcc_lo, v33, 2
	v_add_co_ci_u32_e32 v34, vcc_lo, 0, v34, vcc_lo
	v_add_co_u32 v35, s0, v35, 2
	s_delay_alu instid0(VALU_DEP_1)
	v_add_co_ci_u32_e64 v36, s0, 0, v36, s0
	s_add_u32 s6, s6, 1
	s_addc_u32 s7, s7, 0
	s_and_not1_b32 s0, s39, exec_lo
	s_waitcnt vmcnt(1)
	v_lshlrev_b32_e32 v37, 16, v37
	s_waitcnt vmcnt(0)
	v_lshlrev_b32_e32 v38, 16, v38
	s_delay_alu instid0(VALU_DEP_1) | instskip(SKIP_1) | instid1(SALU_CYCLE_1)
	v_cmp_neq_f32_e32 vcc_lo, v38, v37
	s_and_b32 s39, vcc_lo, exec_lo
	s_or_b32 s39, s0, s39
.LBB1235_363:                           ;   in Loop: Header=BB1235_364 Depth=1
	v_dual_mov_b32 v38, s7 :: v_dual_mov_b32 v37, s6
	s_and_b32 s0, exec_lo, s39
	s_delay_alu instid0(SALU_CYCLE_1) | instskip(NEXT) | instid1(SALU_CYCLE_1)
	s_or_b32 s38, s0, s38
	s_and_not1_b32 exec_lo, exec_lo, s38
	s_cbranch_execz .LBB1235_366
.LBB1235_364:                           ; =>This Inner Loop Header: Depth=1
	s_or_b32 s39, s39, exec_lo
	s_cmp_eq_u64 s[4:5], s[6:7]
	s_cbranch_scc0 .LBB1235_362
; %bb.365:                              ;   in Loop: Header=BB1235_364 Depth=1
	s_mov_b64 s[6:7], s[14:15]
                                        ; implicit-def: $vgpr33_vgpr34
                                        ; implicit-def: $vgpr35_vgpr36
	s_branch .LBB1235_363
.LBB1235_366:
	s_set_inst_prefetch_distance 0x2
	s_or_b32 exec_lo, exec_lo, s38
	v_cmp_gt_i64_e32 vcc_lo, s[14:15], v[37:38]
	s_or_not1_b32 s0, vcc_lo, exec_lo
.LBB1235_367:
	s_or_b32 exec_lo, exec_lo, s37
.LBB1235_368:
	s_delay_alu instid0(SALU_CYCLE_1)
	s_and_b32 s0, s0, exec_lo
.LBB1235_369:
	s_or_b32 exec_lo, exec_lo, s36
	v_cndmask_b32_e64 v34, 0, 1, s34
	v_cndmask_b32_e64 v35, 0, 1, s27
	;; [unrolled: 1-line block ×7, first 2 shown]
	v_lshlrev_b16 v35, 8, v35
	v_lshlrev_b16 v36, 8, v36
	;; [unrolled: 1-line block ×4, first 2 shown]
	s_waitcnt lgkmcnt(0)
	v_or_b32_e32 v35, v38, v35
	v_or_b32_e32 v36, v39, v36
	;; [unrolled: 1-line block ×4, first 2 shown]
	s_barrier
	v_and_b32_e32 v34, 0xffff, v35
	v_lshlrev_b32_e32 v35, 16, v36
	v_and_b32_e32 v37, 0xffff, v37
	v_lshlrev_b32_e32 v33, 16, v33
	buffer_gl0_inv
                                        ; implicit-def: $sgpr0
	v_or_b32_e32 v36, v34, v35
	v_or_b32_e32 v35, v37, v33
	s_and_saveexec_b32 s24, s3
	s_cbranch_execz .LBB1235_382
; %bb.370:
	s_mov_b32 s0, 0
	s_mov_b32 s3, exec_lo
	v_cmpx_gt_u32_e64 s31, v55
	s_cbranch_execz .LBB1235_381
; %bb.371:
	s_and_not1_b32 vcc_lo, exec_lo, s13
	s_cbranch_vccnz .LBB1235_380
; %bb.372:
	v_add_nc_u32_e32 v33, -8, v55
	v_mul_lo_u32 v41, v30, s14
	v_mul_lo_u32 v42, v29, s15
	v_mad_u64_u32 v[37:38], null, v29, s14, 0
	ds_load_b64 v[33:34], v33
	s_mov_b32 s0, -1
	s_mov_b32 s13, exec_lo
	v_add3_u32 v38, v38, v42, v41
	s_waitcnt lgkmcnt(0)
	v_mul_lo_u32 v34, v34, s14
	v_mul_lo_u32 v43, v33, s15
	v_mad_u64_u32 v[39:40], null, v33, s14, 0
	s_delay_alu instid0(VALU_DEP_1) | instskip(SKIP_1) | instid1(VALU_DEP_2)
	v_add3_u32 v40, v40, v43, v34
	v_lshlrev_b64 v[33:34], 1, v[37:38]
	v_lshlrev_b64 v[37:38], 1, v[39:40]
	s_delay_alu instid0(VALU_DEP_2) | instskip(NEXT) | instid1(VALU_DEP_3)
	v_add_co_u32 v33, vcc_lo, s20, v33
	v_add_co_ci_u32_e32 v34, vcc_lo, s21, v34, vcc_lo
	s_delay_alu instid0(VALU_DEP_3) | instskip(NEXT) | instid1(VALU_DEP_4)
	v_add_co_u32 v37, vcc_lo, s20, v37
	v_add_co_ci_u32_e32 v38, vcc_lo, s21, v38, vcc_lo
	s_clause 0x1
	global_load_u16 v39, v[33:34], off
	global_load_u16 v40, v[37:38], off
	s_waitcnt vmcnt(1)
	v_lshlrev_b32_e32 v39, 16, v39
	s_waitcnt vmcnt(0)
	v_lshlrev_b32_e32 v40, 16, v40
	s_delay_alu instid0(VALU_DEP_1)
	v_cmpx_eq_f32_e32 v40, v39
	s_cbranch_execz .LBB1235_379
; %bb.373:
	v_add_co_u32 v33, vcc_lo, v33, 2
	v_add_co_ci_u32_e32 v34, vcc_lo, 0, v34, vcc_lo
	v_add_co_u32 v37, vcc_lo, v37, 2
	v_add_co_ci_u32_e32 v38, vcc_lo, 0, v38, vcc_lo
	s_add_u32 s4, s14, -1
	s_addc_u32 s5, s15, -1
	s_mov_b64 s[6:7], 0
	s_mov_b32 s20, 0
                                        ; implicit-def: $sgpr21
	s_set_inst_prefetch_distance 0x1
	s_branch .LBB1235_376
	.p2align	6
.LBB1235_374:                           ;   in Loop: Header=BB1235_376 Depth=1
	global_load_u16 v39, v[33:34], off
	global_load_u16 v40, v[37:38], off
	v_add_co_u32 v33, vcc_lo, v33, 2
	v_add_co_ci_u32_e32 v34, vcc_lo, 0, v34, vcc_lo
	v_add_co_u32 v37, s0, v37, 2
	s_delay_alu instid0(VALU_DEP_1)
	v_add_co_ci_u32_e64 v38, s0, 0, v38, s0
	s_add_u32 s6, s6, 1
	s_addc_u32 s7, s7, 0
	s_and_not1_b32 s0, s21, exec_lo
	s_waitcnt vmcnt(1)
	v_lshlrev_b32_e32 v39, 16, v39
	s_waitcnt vmcnt(0)
	v_lshlrev_b32_e32 v40, 16, v40
	s_delay_alu instid0(VALU_DEP_1) | instskip(SKIP_1) | instid1(SALU_CYCLE_1)
	v_cmp_neq_f32_e32 vcc_lo, v40, v39
	s_and_b32 s21, vcc_lo, exec_lo
	s_or_b32 s21, s0, s21
.LBB1235_375:                           ;   in Loop: Header=BB1235_376 Depth=1
	v_dual_mov_b32 v40, s7 :: v_dual_mov_b32 v39, s6
	s_and_b32 s0, exec_lo, s21
	s_delay_alu instid0(SALU_CYCLE_1) | instskip(NEXT) | instid1(SALU_CYCLE_1)
	s_or_b32 s20, s0, s20
	s_and_not1_b32 exec_lo, exec_lo, s20
	s_cbranch_execz .LBB1235_378
.LBB1235_376:                           ; =>This Inner Loop Header: Depth=1
	s_or_b32 s21, s21, exec_lo
	s_cmp_eq_u64 s[4:5], s[6:7]
	s_cbranch_scc0 .LBB1235_374
; %bb.377:                              ;   in Loop: Header=BB1235_376 Depth=1
	s_mov_b64 s[6:7], s[14:15]
                                        ; implicit-def: $vgpr33_vgpr34
                                        ; implicit-def: $vgpr37_vgpr38
	s_branch .LBB1235_375
.LBB1235_378:
	s_set_inst_prefetch_distance 0x2
	s_or_b32 exec_lo, exec_lo, s20
	v_cmp_gt_i64_e32 vcc_lo, s[14:15], v[39:40]
	s_or_not1_b32 s0, vcc_lo, exec_lo
.LBB1235_379:
	s_or_b32 exec_lo, exec_lo, s13
.LBB1235_380:
	s_delay_alu instid0(SALU_CYCLE_1)
	s_and_b32 s0, s0, exec_lo
.LBB1235_381:
	s_or_b32 exec_lo, exec_lo, s3
	s_delay_alu instid0(SALU_CYCLE_1)
	s_and_b32 s0, s0, exec_lo
	s_or_b32 s1, s1, exec_lo
.LBB1235_382:
	s_or_b32 exec_lo, exec_lo, s24
.LBB1235_383:
	s_and_saveexec_b32 s3, s1
	s_cbranch_execz .LBB1235_385
; %bb.384:
	s_waitcnt vmcnt(0) lgkmcnt(0)
	v_and_b32_e32 v33, 0xffffff00, v35
	v_cndmask_b32_e64 v34, 0, 1, s0
	s_delay_alu instid0(VALU_DEP_1) | instskip(NEXT) | instid1(VALU_DEP_1)
	v_or_b32_e32 v33, v34, v33
	v_and_b32_e32 v33, 0xffff, v33
	s_delay_alu instid0(VALU_DEP_1)
	v_and_or_b32 v35, 0xffff0000, v35, v33
.LBB1235_385:
	s_or_b32 exec_lo, exec_lo, s3
	s_delay_alu instid0(SALU_CYCLE_1)
	s_and_not1_b32 vcc_lo, exec_lo, s33
	s_cbranch_vccnz .LBB1235_387
; %bb.386:
	v_cmp_gt_u32_e32 vcc_lo, s31, v55
	s_waitcnt vmcnt(0) lgkmcnt(0)
	v_or_b32_e32 v34, 1, v55
	v_and_b32_e32 v37, 0xffffff00, v36
	v_or_b32_e32 v38, 2, v55
	v_cndmask_b32_e32 v33, 0, v35, vcc_lo
	s_delay_alu instid0(VALU_DEP_4) | instskip(SKIP_1) | instid1(VALU_DEP_4)
	v_cmp_gt_u32_e32 vcc_lo, s31, v34
	v_or_b32_e32 v34, 4, v55
	v_cmp_gt_u32_e64 s0, s31, v38
	v_or_b32_e32 v38, 3, v55
	v_and_b32_e32 v33, 0xff, v33
	s_delay_alu instid0(VALU_DEP_2) | instskip(NEXT) | instid1(VALU_DEP_2)
	v_cmp_gt_u32_e64 s1, s31, v38
	v_cndmask_b32_e32 v33, v33, v35, vcc_lo
	v_cmp_gt_u32_e32 vcc_lo, s31, v34
	v_cndmask_b32_e32 v34, v37, v36, vcc_lo
	v_or_b32_e32 v37, 5, v55
	s_delay_alu instid0(VALU_DEP_2) | instskip(SKIP_1) | instid1(VALU_DEP_1)
	v_and_b32_e32 v34, 0xffff00ff, v34
	v_and_b32_e32 v33, 0xffff, v33
	v_cndmask_b32_e64 v33, v33, v35, s0
	s_delay_alu instid0(VALU_DEP_4) | instskip(SKIP_1) | instid1(VALU_DEP_3)
	v_cmp_gt_u32_e64 s0, s31, v37
	v_or_b32_e32 v37, 6, v55
	v_and_b32_e32 v33, 0xffffff, v33
	s_delay_alu instid0(VALU_DEP_3) | instskip(NEXT) | instid1(VALU_DEP_2)
	v_cndmask_b32_e64 v34, v34, v36, s0
	v_cndmask_b32_e64 v33, v33, v35, s1
	s_delay_alu instid0(VALU_DEP_1) | instskip(SKIP_2) | instid1(VALU_DEP_3)
	v_dual_cndmask_b32 v33, v33, v35 :: v_dual_and_b32 v34, 0xff00ffff, v34
	v_cmp_gt_u32_e32 vcc_lo, s31, v37
	v_or_b32_e32 v37, 7, v55
	v_cndmask_b32_e64 v33, v33, v35, s0
	s_delay_alu instid0(VALU_DEP_1) | instskip(NEXT) | instid1(VALU_DEP_1)
	v_dual_cndmask_b32 v34, v34, v36 :: v_dual_cndmask_b32 v33, v33, v35
	v_and_b32_e32 v34, 0xffffff, v34
	s_delay_alu instid0(VALU_DEP_4) | instskip(NEXT) | instid1(VALU_DEP_2)
	v_cmp_gt_u32_e32 vcc_lo, s31, v37
	v_dual_cndmask_b32 v36, v34, v36 :: v_dual_cndmask_b32 v35, v33, v35
.LBB1235_387:
	s_delay_alu instid0(VALU_DEP_1) | instskip(SKIP_1) | instid1(VALU_DEP_2)
	v_and_b32_e32 v44, 0xff, v35
	s_waitcnt vmcnt(0) lgkmcnt(0)
	v_alignbit_b32 v33, v36, v35, 24
	v_bfe_u32 v46, v35, 8, 8
	v_bfe_u32 v48, v35, 16, 8
	v_and_b32_e32 v52, 0xff, v36
	v_bfe_u32 v54, v36, 8, 8
	v_and_b32_e32 v50, 0xff, v33
	v_add_nc_u32_e32 v33, v46, v44
	v_mbcnt_lo_u32_b32 v58, -1, 0
	v_bfe_u32 v57, v36, 16, 8
	v_lshrrev_b32_e32 v56, 24, v36
	v_lshrrev_b32_e32 v59, 5, v0
	v_add3_u32 v33, v33, v48, v50
	v_and_b32_e32 v34, 15, v58
	v_and_b32_e32 v37, 16, v58
	s_and_b32 vcc_lo, exec_lo, s12
	s_mov_b32 s7, -1
	v_add3_u32 v33, v33, v52, v54
	v_cmp_eq_u32_e64 s3, 0, v34
	v_cmp_lt_u32_e64 s0, 1, v34
	v_cmp_lt_u32_e64 s4, 3, v34
	;; [unrolled: 1-line block ×3, first 2 shown]
	v_add3_u32 v60, v33, v57, v56
	v_or_b32_e32 v33, 31, v0
	v_cmp_eq_u32_e64 s6, 0, v37
	s_barrier
	buffer_gl0_inv
	v_cmp_eq_u32_e64 s5, v33, v0
	s_cbranch_vccz .LBB1235_413
; %bb.388:
	v_mov_b32_dpp v33, v60 row_shr:1 row_mask:0xf bank_mask:0xf
	s_delay_alu instid0(VALU_DEP_1) | instskip(NEXT) | instid1(VALU_DEP_1)
	v_cndmask_b32_e64 v33, v33, 0, s3
	v_add_nc_u32_e32 v33, v33, v60
	s_delay_alu instid0(VALU_DEP_1) | instskip(NEXT) | instid1(VALU_DEP_1)
	v_mov_b32_dpp v34, v33 row_shr:2 row_mask:0xf bank_mask:0xf
	v_cndmask_b32_e64 v34, 0, v34, s0
	s_delay_alu instid0(VALU_DEP_1) | instskip(NEXT) | instid1(VALU_DEP_1)
	v_add_nc_u32_e32 v33, v33, v34
	v_mov_b32_dpp v34, v33 row_shr:4 row_mask:0xf bank_mask:0xf
	s_delay_alu instid0(VALU_DEP_1) | instskip(NEXT) | instid1(VALU_DEP_1)
	v_cndmask_b32_e64 v34, 0, v34, s4
	v_add_nc_u32_e32 v33, v33, v34
	s_delay_alu instid0(VALU_DEP_1) | instskip(NEXT) | instid1(VALU_DEP_1)
	v_mov_b32_dpp v34, v33 row_shr:8 row_mask:0xf bank_mask:0xf
	v_cndmask_b32_e64 v34, 0, v34, s1
	s_delay_alu instid0(VALU_DEP_1) | instskip(SKIP_3) | instid1(VALU_DEP_1)
	v_add_nc_u32_e32 v33, v33, v34
	ds_swizzle_b32 v34, v33 offset:swizzle(BROADCAST,32,15)
	s_waitcnt lgkmcnt(0)
	v_cndmask_b32_e64 v34, v34, 0, s6
	v_add_nc_u32_e32 v33, v33, v34
	s_and_saveexec_b32 s7, s5
	s_cbranch_execz .LBB1235_390
; %bb.389:
	v_lshlrev_b32_e32 v34, 2, v59
	ds_store_b32 v34, v33
.LBB1235_390:
	s_or_b32 exec_lo, exec_lo, s7
	s_delay_alu instid0(SALU_CYCLE_1)
	s_mov_b32 s7, exec_lo
	s_waitcnt lgkmcnt(0)
	s_barrier
	buffer_gl0_inv
	v_cmpx_gt_u32_e32 16, v0
	s_cbranch_execz .LBB1235_392
; %bb.391:
	v_lshlrev_b32_e32 v34, 2, v0
	ds_load_b32 v37, v34
	s_waitcnt lgkmcnt(0)
	v_mov_b32_dpp v38, v37 row_shr:1 row_mask:0xf bank_mask:0xf
	s_delay_alu instid0(VALU_DEP_1) | instskip(NEXT) | instid1(VALU_DEP_1)
	v_cndmask_b32_e64 v38, v38, 0, s3
	v_add_nc_u32_e32 v37, v38, v37
	s_delay_alu instid0(VALU_DEP_1) | instskip(NEXT) | instid1(VALU_DEP_1)
	v_mov_b32_dpp v38, v37 row_shr:2 row_mask:0xf bank_mask:0xf
	v_cndmask_b32_e64 v38, 0, v38, s0
	s_delay_alu instid0(VALU_DEP_1) | instskip(NEXT) | instid1(VALU_DEP_1)
	v_add_nc_u32_e32 v37, v37, v38
	v_mov_b32_dpp v38, v37 row_shr:4 row_mask:0xf bank_mask:0xf
	s_delay_alu instid0(VALU_DEP_1) | instskip(NEXT) | instid1(VALU_DEP_1)
	v_cndmask_b32_e64 v38, 0, v38, s4
	v_add_nc_u32_e32 v37, v37, v38
	s_delay_alu instid0(VALU_DEP_1) | instskip(NEXT) | instid1(VALU_DEP_1)
	v_mov_b32_dpp v38, v37 row_shr:8 row_mask:0xf bank_mask:0xf
	v_cndmask_b32_e64 v38, 0, v38, s1
	s_delay_alu instid0(VALU_DEP_1)
	v_add_nc_u32_e32 v37, v37, v38
	ds_store_b32 v34, v37
.LBB1235_392:
	s_or_b32 exec_lo, exec_lo, s7
	v_cmp_gt_u32_e32 vcc_lo, 32, v0
	s_mov_b32 s12, exec_lo
	s_waitcnt lgkmcnt(0)
	s_barrier
	buffer_gl0_inv
                                        ; implicit-def: $vgpr43
	v_cmpx_lt_u32_e32 31, v0
	s_cbranch_execz .LBB1235_394
; %bb.393:
	v_lshl_add_u32 v34, v59, 2, -4
	ds_load_b32 v43, v34
	s_waitcnt lgkmcnt(0)
	v_add_nc_u32_e32 v33, v43, v33
.LBB1235_394:
	s_or_b32 exec_lo, exec_lo, s12
	v_add_nc_u32_e32 v34, -1, v58
	s_delay_alu instid0(VALU_DEP_1) | instskip(NEXT) | instid1(VALU_DEP_1)
	v_cmp_gt_i32_e64 s7, 0, v34
	v_cndmask_b32_e64 v34, v34, v58, s7
	v_cmp_eq_u32_e64 s7, 0, v58
	s_delay_alu instid0(VALU_DEP_2)
	v_lshlrev_b32_e32 v34, 2, v34
	ds_bpermute_b32 v45, v34, v33
	s_and_saveexec_b32 s12, vcc_lo
	s_cbranch_execz .LBB1235_412
; %bb.395:
	v_mov_b32_e32 v39, 0
	ds_load_b32 v33, v39 offset:60
	s_and_saveexec_b32 s13, s7
	s_cbranch_execz .LBB1235_397
; %bb.396:
	s_add_i32 s14, s30, 32
	s_mov_b32 s15, 0
	v_mov_b32_e32 v34, 1
	s_lshl_b64 s[14:15], s[14:15], 3
	s_delay_alu instid0(SALU_CYCLE_1)
	s_add_u32 s14, s22, s14
	s_addc_u32 s15, s23, s15
	s_waitcnt lgkmcnt(0)
	global_store_b64 v39, v[33:34], s[14:15]
.LBB1235_397:
	s_or_b32 exec_lo, exec_lo, s13
	v_xad_u32 v37, v58, -1, s30
	s_mov_b32 s14, 0
	s_mov_b32 s13, exec_lo
	s_delay_alu instid0(VALU_DEP_1) | instskip(NEXT) | instid1(VALU_DEP_1)
	v_add_nc_u32_e32 v38, 32, v37
	v_lshlrev_b64 v[38:39], 3, v[38:39]
	s_delay_alu instid0(VALU_DEP_1) | instskip(NEXT) | instid1(VALU_DEP_2)
	v_add_co_u32 v41, vcc_lo, s22, v38
	v_add_co_ci_u32_e32 v42, vcc_lo, s23, v39, vcc_lo
	global_load_b64 v[39:40], v[41:42], off glc
	s_waitcnt vmcnt(0)
	v_and_b32_e32 v34, 0xff, v40
	s_delay_alu instid0(VALU_DEP_1)
	v_cmpx_eq_u16_e32 0, v34
	s_cbranch_execz .LBB1235_400
.LBB1235_398:                           ; =>This Inner Loop Header: Depth=1
	global_load_b64 v[39:40], v[41:42], off glc
	s_waitcnt vmcnt(0)
	v_and_b32_e32 v34, 0xff, v40
	s_delay_alu instid0(VALU_DEP_1) | instskip(SKIP_1) | instid1(SALU_CYCLE_1)
	v_cmp_ne_u16_e32 vcc_lo, 0, v34
	s_or_b32 s14, vcc_lo, s14
	s_and_not1_b32 exec_lo, exec_lo, s14
	s_cbranch_execnz .LBB1235_398
; %bb.399:
	s_or_b32 exec_lo, exec_lo, s14
.LBB1235_400:
	s_delay_alu instid0(SALU_CYCLE_1)
	s_or_b32 exec_lo, exec_lo, s13
	v_cmp_ne_u32_e32 vcc_lo, 31, v58
	v_and_b32_e32 v38, 0xff, v40
	v_lshlrev_b32_e64 v47, v58, -1
	v_add_nc_u32_e32 v51, 2, v58
	v_add_nc_u32_e32 v61, 4, v58
	v_add_co_ci_u32_e32 v34, vcc_lo, 0, v58, vcc_lo
	v_cmp_eq_u16_e32 vcc_lo, 2, v38
	v_add_nc_u32_e32 v64, 8, v58
	v_add_nc_u32_e32 v66, 16, v58
	v_and_or_b32 v38, vcc_lo, v47, 0x80000000
	v_cmp_gt_u32_e32 vcc_lo, 30, v58
	s_delay_alu instid0(VALU_DEP_2) | instskip(SKIP_1) | instid1(VALU_DEP_2)
	v_ctz_i32_b32_e32 v38, v38
	v_cndmask_b32_e64 v42, 0, 1, vcc_lo
	v_cmp_lt_u32_e32 vcc_lo, v58, v38
	v_lshlrev_b32_e32 v34, 2, v34
	s_delay_alu instid0(VALU_DEP_3)
	v_lshlrev_b32_e32 v42, 1, v42
	ds_bpermute_b32 v41, v34, v39
	v_add_lshl_u32 v49, v42, v58, 2
	s_waitcnt lgkmcnt(0)
	v_cndmask_b32_e32 v41, 0, v41, vcc_lo
	v_cmp_gt_u32_e32 vcc_lo, 28, v58
	s_delay_alu instid0(VALU_DEP_2) | instskip(SKIP_4) | instid1(VALU_DEP_1)
	v_add_nc_u32_e32 v39, v41, v39
	v_cndmask_b32_e64 v42, 0, 1, vcc_lo
	v_cmp_le_u32_e32 vcc_lo, v51, v38
	ds_bpermute_b32 v41, v49, v39
	v_lshlrev_b32_e32 v42, 2, v42
	v_add_lshl_u32 v53, v42, v58, 2
	s_waitcnt lgkmcnt(0)
	v_cndmask_b32_e32 v41, 0, v41, vcc_lo
	v_cmp_gt_u32_e32 vcc_lo, 24, v58
	s_delay_alu instid0(VALU_DEP_2) | instskip(SKIP_4) | instid1(VALU_DEP_1)
	v_add_nc_u32_e32 v39, v39, v41
	v_cndmask_b32_e64 v42, 0, 1, vcc_lo
	v_cmp_le_u32_e32 vcc_lo, v61, v38
	ds_bpermute_b32 v41, v53, v39
	v_lshlrev_b32_e32 v42, 3, v42
	;; [unrolled: 10-line block ×3, first 2 shown]
	v_add_lshl_u32 v65, v42, v58, 2
	s_waitcnt lgkmcnt(0)
	v_cndmask_b32_e32 v41, 0, v41, vcc_lo
	v_cmp_le_u32_e32 vcc_lo, v66, v38
	s_delay_alu instid0(VALU_DEP_2) | instskip(SKIP_3) | instid1(VALU_DEP_1)
	v_add_nc_u32_e32 v39, v39, v41
	ds_bpermute_b32 v41, v65, v39
	s_waitcnt lgkmcnt(0)
	v_cndmask_b32_e32 v38, 0, v41, vcc_lo
	v_dual_mov_b32 v38, 0 :: v_dual_add_nc_u32 v39, v39, v38
	s_branch .LBB1235_402
.LBB1235_401:                           ;   in Loop: Header=BB1235_402 Depth=1
	s_or_b32 exec_lo, exec_lo, s13
	ds_bpermute_b32 v42, v34, v39
	v_and_b32_e32 v41, 0xff, v40
	v_subrev_nc_u32_e32 v37, 32, v37
	s_delay_alu instid0(VALU_DEP_2) | instskip(SKIP_1) | instid1(VALU_DEP_1)
	v_cmp_eq_u16_e32 vcc_lo, 2, v41
	v_and_or_b32 v41, vcc_lo, v47, 0x80000000
	v_ctz_i32_b32_e32 v41, v41
	s_delay_alu instid0(VALU_DEP_1) | instskip(SKIP_3) | instid1(VALU_DEP_2)
	v_cmp_lt_u32_e32 vcc_lo, v58, v41
	s_waitcnt lgkmcnt(0)
	v_cndmask_b32_e32 v42, 0, v42, vcc_lo
	v_cmp_le_u32_e32 vcc_lo, v51, v41
	v_add_nc_u32_e32 v39, v42, v39
	ds_bpermute_b32 v42, v49, v39
	s_waitcnt lgkmcnt(0)
	v_cndmask_b32_e32 v42, 0, v42, vcc_lo
	v_cmp_le_u32_e32 vcc_lo, v61, v41
	s_delay_alu instid0(VALU_DEP_2) | instskip(SKIP_4) | instid1(VALU_DEP_2)
	v_add_nc_u32_e32 v39, v39, v42
	ds_bpermute_b32 v42, v53, v39
	s_waitcnt lgkmcnt(0)
	v_cndmask_b32_e32 v42, 0, v42, vcc_lo
	v_cmp_le_u32_e32 vcc_lo, v64, v41
	v_add_nc_u32_e32 v39, v39, v42
	ds_bpermute_b32 v42, v63, v39
	s_waitcnt lgkmcnt(0)
	v_cndmask_b32_e32 v42, 0, v42, vcc_lo
	v_cmp_le_u32_e32 vcc_lo, v66, v41
	s_delay_alu instid0(VALU_DEP_2) | instskip(SKIP_3) | instid1(VALU_DEP_1)
	v_add_nc_u32_e32 v39, v39, v42
	ds_bpermute_b32 v42, v65, v39
	s_waitcnt lgkmcnt(0)
	v_cndmask_b32_e32 v41, 0, v42, vcc_lo
	v_add3_u32 v39, v41, v62, v39
.LBB1235_402:                           ; =>This Loop Header: Depth=1
                                        ;     Child Loop BB1235_405 Depth 2
	v_and_b32_e32 v40, 0xff, v40
	s_delay_alu instid0(VALU_DEP_2) | instskip(NEXT) | instid1(VALU_DEP_2)
	v_mov_b32_e32 v62, v39
	v_cmp_ne_u16_e32 vcc_lo, 2, v40
	v_cndmask_b32_e64 v40, 0, 1, vcc_lo
	;;#ASMSTART
	;;#ASMEND
	s_delay_alu instid0(VALU_DEP_1)
	v_cmp_ne_u32_e32 vcc_lo, 0, v40
	s_cmp_lg_u32 vcc_lo, exec_lo
	s_cbranch_scc1 .LBB1235_407
; %bb.403:                              ;   in Loop: Header=BB1235_402 Depth=1
	v_lshlrev_b64 v[39:40], 3, v[37:38]
	s_mov_b32 s13, exec_lo
	s_delay_alu instid0(VALU_DEP_1) | instskip(NEXT) | instid1(VALU_DEP_2)
	v_add_co_u32 v41, vcc_lo, s22, v39
	v_add_co_ci_u32_e32 v42, vcc_lo, s23, v40, vcc_lo
	global_load_b64 v[39:40], v[41:42], off glc
	s_waitcnt vmcnt(0)
	v_and_b32_e32 v67, 0xff, v40
	s_delay_alu instid0(VALU_DEP_1)
	v_cmpx_eq_u16_e32 0, v67
	s_cbranch_execz .LBB1235_401
; %bb.404:                              ;   in Loop: Header=BB1235_402 Depth=1
	s_mov_b32 s14, 0
.LBB1235_405:                           ;   Parent Loop BB1235_402 Depth=1
                                        ; =>  This Inner Loop Header: Depth=2
	global_load_b64 v[39:40], v[41:42], off glc
	s_waitcnt vmcnt(0)
	v_and_b32_e32 v67, 0xff, v40
	s_delay_alu instid0(VALU_DEP_1) | instskip(SKIP_1) | instid1(SALU_CYCLE_1)
	v_cmp_ne_u16_e32 vcc_lo, 0, v67
	s_or_b32 s14, vcc_lo, s14
	s_and_not1_b32 exec_lo, exec_lo, s14
	s_cbranch_execnz .LBB1235_405
; %bb.406:                              ;   in Loop: Header=BB1235_402 Depth=1
	s_or_b32 exec_lo, exec_lo, s14
	s_branch .LBB1235_401
.LBB1235_407:                           ;   in Loop: Header=BB1235_402 Depth=1
                                        ; implicit-def: $vgpr39
                                        ; implicit-def: $vgpr40
	s_cbranch_execz .LBB1235_402
; %bb.408:
	s_and_saveexec_b32 s13, s7
	s_cbranch_execz .LBB1235_410
; %bb.409:
	s_add_i32 s14, s30, 32
	s_mov_b32 s15, 0
	v_dual_mov_b32 v38, 2 :: v_dual_add_nc_u32 v37, v62, v33
	s_lshl_b64 s[14:15], s[14:15], 3
	v_mov_b32_e32 v34, 0
	v_add_nc_u32_e64 v39, 0x8400, 0
	s_add_u32 s14, s22, s14
	s_addc_u32 s15, s23, s15
	global_store_b64 v34, v[37:38], s[14:15]
	ds_store_2addr_b32 v39, v33, v62 offset1:2
.LBB1235_410:
	s_or_b32 exec_lo, exec_lo, s13
	s_delay_alu instid0(SALU_CYCLE_1)
	s_and_b32 exec_lo, exec_lo, s2
	s_cbranch_execz .LBB1235_412
; %bb.411:
	v_mov_b32_e32 v33, 0
	ds_store_b32 v33, v62 offset:60
.LBB1235_412:
	s_or_b32 exec_lo, exec_lo, s12
	v_mov_b32_e32 v33, 0
	s_waitcnt lgkmcnt(0)
	s_waitcnt_vscnt null, 0x0
	s_barrier
	buffer_gl0_inv
	v_cndmask_b32_e64 v34, v45, v43, s7
	ds_load_b32 v33, v33 offset:60
	s_waitcnt lgkmcnt(0)
	s_barrier
	buffer_gl0_inv
	v_cndmask_b32_e64 v34, v34, 0, s2
	s_delay_alu instid0(VALU_DEP_1) | instskip(SKIP_1) | instid1(VALU_DEP_2)
	v_add_nc_u32_e32 v53, v33, v34
	v_add_nc_u32_e64 v33, 0x8400, 0
	v_add_nc_u32_e32 v51, v53, v44
	ds_load_2addr_b32 v[33:34], v33 offset1:2
	v_add_nc_u32_e32 v49, v51, v46
	s_delay_alu instid0(VALU_DEP_1) | instskip(NEXT) | instid1(VALU_DEP_1)
	v_add_nc_u32_e32 v47, v49, v48
	v_add_nc_u32_e32 v45, v47, v50
	s_delay_alu instid0(VALU_DEP_1) | instskip(SKIP_2) | instid1(VALU_DEP_2)
	v_add_nc_u32_e32 v43, v45, v52
	s_waitcnt lgkmcnt(0)
	v_readfirstlane_b32 s12, v34
	v_add_nc_u32_e32 v41, v43, v54
	s_delay_alu instid0(VALU_DEP_1)
	v_add_nc_u32_e32 v39, v41, v57
	v_lshrrev_b64 v[37:38], 24, v[35:36]
	s_branch .LBB1235_423
.LBB1235_413:
                                        ; implicit-def: $vgpr39
                                        ; implicit-def: $vgpr41
                                        ; implicit-def: $vgpr43
                                        ; implicit-def: $vgpr45
                                        ; implicit-def: $vgpr47
                                        ; implicit-def: $vgpr49
                                        ; implicit-def: $vgpr51
                                        ; implicit-def: $vgpr53
                                        ; implicit-def: $sgpr12
                                        ; implicit-def: $vgpr33
	v_lshrrev_b64 v[37:38], 24, v[35:36]
	s_and_b32 vcc_lo, exec_lo, s7
	s_cbranch_vccz .LBB1235_423
; %bb.414:
	v_mov_b32_dpp v33, v60 row_shr:1 row_mask:0xf bank_mask:0xf
	s_delay_alu instid0(VALU_DEP_1) | instskip(NEXT) | instid1(VALU_DEP_1)
	v_cndmask_b32_e64 v33, v33, 0, s3
	v_add_nc_u32_e32 v33, v33, v60
	s_delay_alu instid0(VALU_DEP_1) | instskip(NEXT) | instid1(VALU_DEP_1)
	v_mov_b32_dpp v34, v33 row_shr:2 row_mask:0xf bank_mask:0xf
	v_cndmask_b32_e64 v34, 0, v34, s0
	s_delay_alu instid0(VALU_DEP_1) | instskip(NEXT) | instid1(VALU_DEP_1)
	v_add_nc_u32_e32 v33, v33, v34
	v_mov_b32_dpp v34, v33 row_shr:4 row_mask:0xf bank_mask:0xf
	s_delay_alu instid0(VALU_DEP_1) | instskip(NEXT) | instid1(VALU_DEP_1)
	v_cndmask_b32_e64 v34, 0, v34, s4
	v_add_nc_u32_e32 v33, v33, v34
	s_delay_alu instid0(VALU_DEP_1) | instskip(NEXT) | instid1(VALU_DEP_1)
	v_mov_b32_dpp v34, v33 row_shr:8 row_mask:0xf bank_mask:0xf
	v_cndmask_b32_e64 v34, 0, v34, s1
	s_delay_alu instid0(VALU_DEP_1) | instskip(SKIP_3) | instid1(VALU_DEP_1)
	v_add_nc_u32_e32 v33, v33, v34
	ds_swizzle_b32 v34, v33 offset:swizzle(BROADCAST,32,15)
	s_waitcnt lgkmcnt(0)
	v_cndmask_b32_e64 v34, v34, 0, s6
	v_add_nc_u32_e32 v33, v33, v34
	s_and_saveexec_b32 s6, s5
	s_cbranch_execz .LBB1235_416
; %bb.415:
	v_lshlrev_b32_e32 v34, 2, v59
	ds_store_b32 v34, v33
.LBB1235_416:
	s_or_b32 exec_lo, exec_lo, s6
	s_delay_alu instid0(SALU_CYCLE_1)
	s_mov_b32 s5, exec_lo
	s_waitcnt lgkmcnt(0)
	s_barrier
	buffer_gl0_inv
	v_cmpx_gt_u32_e32 16, v0
	s_cbranch_execz .LBB1235_418
; %bb.417:
	v_lshlrev_b32_e32 v34, 2, v0
	ds_load_b32 v38, v34
	s_waitcnt lgkmcnt(0)
	v_mov_b32_dpp v39, v38 row_shr:1 row_mask:0xf bank_mask:0xf
	s_delay_alu instid0(VALU_DEP_1) | instskip(NEXT) | instid1(VALU_DEP_1)
	v_cndmask_b32_e64 v39, v39, 0, s3
	v_add_nc_u32_e32 v38, v39, v38
	s_delay_alu instid0(VALU_DEP_1) | instskip(NEXT) | instid1(VALU_DEP_1)
	v_mov_b32_dpp v39, v38 row_shr:2 row_mask:0xf bank_mask:0xf
	v_cndmask_b32_e64 v39, 0, v39, s0
	s_delay_alu instid0(VALU_DEP_1) | instskip(NEXT) | instid1(VALU_DEP_1)
	v_add_nc_u32_e32 v38, v38, v39
	v_mov_b32_dpp v39, v38 row_shr:4 row_mask:0xf bank_mask:0xf
	s_delay_alu instid0(VALU_DEP_1) | instskip(NEXT) | instid1(VALU_DEP_1)
	v_cndmask_b32_e64 v39, 0, v39, s4
	v_add_nc_u32_e32 v38, v38, v39
	s_delay_alu instid0(VALU_DEP_1) | instskip(NEXT) | instid1(VALU_DEP_1)
	v_mov_b32_dpp v39, v38 row_shr:8 row_mask:0xf bank_mask:0xf
	v_cndmask_b32_e64 v39, 0, v39, s1
	s_delay_alu instid0(VALU_DEP_1)
	v_add_nc_u32_e32 v38, v38, v39
	ds_store_b32 v34, v38
.LBB1235_418:
	s_or_b32 exec_lo, exec_lo, s5
	v_mov_b32_e32 v34, 0
	v_mov_b32_e32 v38, 0
	s_mov_b32 s0, exec_lo
	s_waitcnt lgkmcnt(0)
	s_barrier
	buffer_gl0_inv
	v_cmpx_lt_u32_e32 31, v0
	s_cbranch_execz .LBB1235_420
; %bb.419:
	v_lshl_add_u32 v38, v59, 2, -4
	ds_load_b32 v38, v38
.LBB1235_420:
	s_or_b32 exec_lo, exec_lo, s0
	v_add_nc_u32_e32 v39, -1, v58
	s_waitcnt lgkmcnt(0)
	v_add_nc_u32_e32 v33, v38, v33
	s_mov_b32 s12, 0
	s_delay_alu instid0(VALU_DEP_2) | instskip(SKIP_1) | instid1(VALU_DEP_1)
	v_cmp_gt_i32_e32 vcc_lo, 0, v39
	v_cndmask_b32_e32 v39, v39, v58, vcc_lo
	v_lshlrev_b32_e32 v39, 2, v39
	ds_bpermute_b32 v39, v39, v33
	ds_load_b32 v33, v34 offset:60
	s_and_saveexec_b32 s0, s2
	s_cbranch_execz .LBB1235_422
; %bb.421:
	v_mov_b32_e32 v40, 0
	v_mov_b32_e32 v34, 2
	s_waitcnt lgkmcnt(0)
	global_store_b64 v40, v[33:34], s[22:23] offset:256
.LBB1235_422:
	s_or_b32 exec_lo, exec_lo, s0
	v_cmp_eq_u32_e32 vcc_lo, 0, v58
	s_waitcnt lgkmcnt(0)
	s_waitcnt_vscnt null, 0x0
	s_barrier
	buffer_gl0_inv
	v_cndmask_b32_e32 v34, v39, v38, vcc_lo
	s_delay_alu instid0(VALU_DEP_1) | instskip(NEXT) | instid1(VALU_DEP_1)
	v_cndmask_b32_e64 v53, v34, 0, s2
	v_add_nc_u32_e32 v51, v53, v44
	s_delay_alu instid0(VALU_DEP_1) | instskip(NEXT) | instid1(VALU_DEP_1)
	v_add_nc_u32_e32 v49, v51, v46
	v_add_nc_u32_e32 v47, v49, v48
	s_delay_alu instid0(VALU_DEP_1) | instskip(NEXT) | instid1(VALU_DEP_1)
	v_add_nc_u32_e32 v45, v47, v50
	;; [unrolled: 3-line block ×3, first 2 shown]
	v_add_nc_u32_e32 v39, v41, v57
.LBB1235_423:
	v_add_nc_u32_e32 v59, s12, v33
	v_cmp_gt_u32_e64 s0, 0x201, v33
	v_lshrrev_b32_e32 v58, 8, v35
	v_lshrrev_b32_e32 v57, 16, v35
	;; [unrolled: 1-line block ×4, first 2 shown]
	v_cmp_lt_u32_e64 s1, v53, v59
	s_and_b32 vcc_lo, exec_lo, s0
	s_mov_b32 s3, -1
	s_cbranch_vccz .LBB1235_449
; %bb.424:
	s_delay_alu instid0(VALU_DEP_1) | instskip(NEXT) | instid1(SALU_CYCLE_1)
	s_or_b32 s3, s29, s1
	s_and_saveexec_b32 s1, s3
	s_cbranch_execz .LBB1235_427
; %bb.425:
	v_and_b32_e32 v40, 1, v35
	s_delay_alu instid0(VALU_DEP_1)
	v_cmp_eq_u32_e32 vcc_lo, 1, v40
	s_and_b32 exec_lo, exec_lo, vcc_lo
	s_cbranch_execz .LBB1235_427
; %bb.426:
	v_mov_b32_e32 v54, 0
	s_lshl_b64 s[4:5], s[10:11], 3
	s_delay_alu instid0(SALU_CYCLE_1) | instskip(SKIP_1) | instid1(VALU_DEP_1)
	s_add_u32 s3, s16, s4
	s_addc_u32 s4, s17, s5
	v_lshlrev_b64 v[60:61], 3, v[53:54]
	s_delay_alu instid0(VALU_DEP_1) | instskip(NEXT) | instid1(VALU_DEP_2)
	v_add_co_u32 v60, vcc_lo, s3, v60
	v_add_co_ci_u32_e32 v61, vcc_lo, s4, v61, vcc_lo
	global_store_b64 v[60:61], v[29:30], off
.LBB1235_427:
	s_or_b32 exec_lo, exec_lo, s1
	v_cmp_lt_u32_e32 vcc_lo, v51, v59
	s_or_b32 s3, s29, vcc_lo
	s_delay_alu instid0(SALU_CYCLE_1)
	s_and_saveexec_b32 s1, s3
	s_cbranch_execz .LBB1235_430
; %bb.428:
	v_and_b32_e32 v40, 1, v58
	s_delay_alu instid0(VALU_DEP_1)
	v_cmp_eq_u32_e32 vcc_lo, 1, v40
	s_and_b32 exec_lo, exec_lo, vcc_lo
	s_cbranch_execz .LBB1235_430
; %bb.429:
	v_mov_b32_e32 v52, 0
	s_lshl_b64 s[4:5], s[10:11], 3
	s_delay_alu instid0(SALU_CYCLE_1) | instskip(SKIP_1) | instid1(VALU_DEP_1)
	s_add_u32 s3, s16, s4
	s_addc_u32 s4, s17, s5
	v_lshlrev_b64 v[60:61], 3, v[51:52]
	s_delay_alu instid0(VALU_DEP_1) | instskip(NEXT) | instid1(VALU_DEP_2)
	v_add_co_u32 v60, vcc_lo, s3, v60
	v_add_co_ci_u32_e32 v61, vcc_lo, s4, v61, vcc_lo
	global_store_b64 v[60:61], v[31:32], off
.LBB1235_430:
	s_or_b32 exec_lo, exec_lo, s1
	v_cmp_lt_u32_e32 vcc_lo, v49, v59
	s_or_b32 s3, s29, vcc_lo
	s_delay_alu instid0(SALU_CYCLE_1)
	;; [unrolled: 24-line block ×7, first 2 shown]
	s_and_saveexec_b32 s1, s3
	s_cbranch_execz .LBB1235_448
; %bb.446:
	v_and_b32_e32 v40, 1, v56
	s_delay_alu instid0(VALU_DEP_1)
	v_cmp_eq_u32_e32 vcc_lo, 1, v40
	s_and_b32 exec_lo, exec_lo, vcc_lo
	s_cbranch_execz .LBB1235_448
; %bb.447:
	v_mov_b32_e32 v40, 0
	s_lshl_b64 s[4:5], s[10:11], 3
	s_delay_alu instid0(SALU_CYCLE_1) | instskip(SKIP_1) | instid1(VALU_DEP_1)
	s_add_u32 s3, s16, s4
	s_addc_u32 s4, s17, s5
	v_lshlrev_b64 v[60:61], 3, v[39:40]
	s_delay_alu instid0(VALU_DEP_1) | instskip(NEXT) | instid1(VALU_DEP_2)
	v_add_co_u32 v60, vcc_lo, s3, v60
	v_add_co_ci_u32_e32 v61, vcc_lo, s4, v61, vcc_lo
	global_store_b64 v[60:61], v[19:20], off
.LBB1235_448:
	s_or_b32 exec_lo, exec_lo, s1
	s_mov_b32 s3, 0
.LBB1235_449:
	v_and_b32_e32 v35, 1, v35
	s_and_b32 vcc_lo, exec_lo, s3
	s_delay_alu instid0(VALU_DEP_1)
	v_cmp_eq_u32_e64 s1, 1, v35
	s_cbranch_vccz .LBB1235_470
; %bb.450:
	s_delay_alu instid0(VALU_DEP_1)
	s_and_saveexec_b32 s3, s1
	s_cbranch_execz .LBB1235_452
; %bb.451:
	v_subrev_nc_u32_e32 v40, s12, v53
	s_delay_alu instid0(VALU_DEP_1)
	v_lshlrev_b32_e32 v40, 3, v40
	ds_store_b64 v40, v[29:30]
.LBB1235_452:
	s_or_b32 exec_lo, exec_lo, s3
	v_and_b32_e32 v29, 1, v58
	s_mov_b32 s1, exec_lo
	s_delay_alu instid0(VALU_DEP_1)
	v_cmpx_eq_u32_e32 1, v29
	s_cbranch_execz .LBB1235_454
; %bb.453:
	v_subrev_nc_u32_e32 v29, s12, v51
	s_delay_alu instid0(VALU_DEP_1)
	v_lshlrev_b32_e32 v29, 3, v29
	ds_store_b64 v29, v[31:32]
.LBB1235_454:
	s_or_b32 exec_lo, exec_lo, s1
	v_and_b32_e32 v29, 1, v57
	s_mov_b32 s1, exec_lo
	s_delay_alu instid0(VALU_DEP_1)
	v_cmpx_eq_u32_e32 1, v29
	s_cbranch_execz .LBB1235_456
; %bb.455:
	v_subrev_nc_u32_e32 v29, s12, v49
	s_delay_alu instid0(VALU_DEP_1)
	v_lshlrev_b32_e32 v29, 3, v29
	ds_store_b64 v29, v[25:26]
.LBB1235_456:
	s_or_b32 exec_lo, exec_lo, s1
	v_and_b32_e32 v25, 1, v37
	s_mov_b32 s1, exec_lo
	s_delay_alu instid0(VALU_DEP_1)
	v_cmpx_eq_u32_e32 1, v25
	s_cbranch_execz .LBB1235_458
; %bb.457:
	v_subrev_nc_u32_e32 v25, s12, v47
	s_delay_alu instid0(VALU_DEP_1)
	v_lshlrev_b32_e32 v25, 3, v25
	ds_store_b64 v25, v[27:28]
.LBB1235_458:
	s_or_b32 exec_lo, exec_lo, s1
	v_and_b32_e32 v25, 1, v36
	s_mov_b32 s1, exec_lo
	s_delay_alu instid0(VALU_DEP_1)
	v_cmpx_eq_u32_e32 1, v25
	s_cbranch_execz .LBB1235_460
; %bb.459:
	v_subrev_nc_u32_e32 v25, s12, v45
	s_delay_alu instid0(VALU_DEP_1)
	v_lshlrev_b32_e32 v25, 3, v25
	ds_store_b64 v25, v[21:22]
.LBB1235_460:
	s_or_b32 exec_lo, exec_lo, s1
	v_and_b32_e32 v21, 1, v38
	s_mov_b32 s1, exec_lo
	s_delay_alu instid0(VALU_DEP_1)
	v_cmpx_eq_u32_e32 1, v21
	s_cbranch_execz .LBB1235_462
; %bb.461:
	v_subrev_nc_u32_e32 v21, s12, v43
	s_delay_alu instid0(VALU_DEP_1)
	v_lshlrev_b32_e32 v21, 3, v21
	ds_store_b64 v21, v[23:24]
.LBB1235_462:
	s_or_b32 exec_lo, exec_lo, s1
	v_and_b32_e32 v21, 1, v34
	s_mov_b32 s1, exec_lo
	s_delay_alu instid0(VALU_DEP_1)
	v_cmpx_eq_u32_e32 1, v21
	s_cbranch_execz .LBB1235_464
; %bb.463:
	v_subrev_nc_u32_e32 v21, s12, v41
	s_delay_alu instid0(VALU_DEP_1)
	v_lshlrev_b32_e32 v21, 3, v21
	ds_store_b64 v21, v[17:18]
.LBB1235_464:
	s_or_b32 exec_lo, exec_lo, s1
	v_and_b32_e32 v17, 1, v56
	s_mov_b32 s1, exec_lo
	s_delay_alu instid0(VALU_DEP_1)
	v_cmpx_eq_u32_e32 1, v17
	s_cbranch_execz .LBB1235_466
; %bb.465:
	v_subrev_nc_u32_e32 v17, s12, v39
	s_delay_alu instid0(VALU_DEP_1)
	v_lshlrev_b32_e32 v17, 3, v17
	ds_store_b64 v17, v[19:20]
.LBB1235_466:
	s_or_b32 exec_lo, exec_lo, s1
	s_delay_alu instid0(SALU_CYCLE_1)
	s_mov_b32 s3, exec_lo
	s_waitcnt lgkmcnt(0)
	s_waitcnt_vscnt null, 0x0
	s_barrier
	buffer_gl0_inv
	v_cmpx_lt_u32_e64 v0, v33
	s_cbranch_execz .LBB1235_469
; %bb.467:
	s_mov_b32 s13, 0
	s_lshl_b64 s[4:5], s[10:11], 3
	s_lshl_b64 s[6:7], s[12:13], 3
	v_dual_mov_b32 v19, v55 :: v_dual_mov_b32 v20, v0
	s_add_u32 s1, s4, s6
	s_addc_u32 s4, s5, s7
	s_add_u32 s1, s16, s1
	s_addc_u32 s4, s17, s4
	v_add_co_u32 v17, s1, s1, v55
	s_delay_alu instid0(VALU_DEP_1)
	v_add_co_ci_u32_e64 v18, null, s4, 0, s1
	.p2align	6
.LBB1235_468:                           ; =>This Inner Loop Header: Depth=1
	ds_load_b64 v[21:22], v19
	v_add_nc_u32_e32 v20, 0x200, v20
	v_add_nc_u32_e32 v19, 0x1000, v19
	s_delay_alu instid0(VALU_DEP_2) | instskip(SKIP_4) | instid1(VALU_DEP_1)
	v_cmp_ge_u32_e32 vcc_lo, v20, v33
	s_or_b32 s13, vcc_lo, s13
	s_waitcnt lgkmcnt(0)
	global_store_b64 v[17:18], v[21:22], off
	v_add_co_u32 v17, s1, 0x1000, v17
	v_add_co_ci_u32_e64 v18, s1, 0, v18, s1
	s_and_not1_b32 exec_lo, exec_lo, s13
	s_cbranch_execnz .LBB1235_468
.LBB1235_469:
	s_or_b32 exec_lo, exec_lo, s3
.LBB1235_470:
	s_delay_alu instid0(SALU_CYCLE_1)
	s_and_b32 vcc_lo, exec_lo, s0
	s_mov_b32 s0, -1
	s_waitcnt_vscnt null, 0x0
	s_barrier
	buffer_gl0_inv
	s_cbranch_vccz .LBB1235_498
; %bb.471:
	v_cmp_lt_u32_e32 vcc_lo, v53, v59
	s_or_b32 s1, s29, vcc_lo
	s_delay_alu instid0(SALU_CYCLE_1)
	s_and_saveexec_b32 s0, s1
	s_cbranch_execz .LBB1235_474
; %bb.472:
	v_cmp_eq_u32_e32 vcc_lo, 1, v35
	s_and_b32 exec_lo, exec_lo, vcc_lo
	s_cbranch_execz .LBB1235_474
; %bb.473:
	v_mov_b32_e32 v54, 0
	s_lshl_b64 s[4:5], s[10:11], 3
	s_delay_alu instid0(SALU_CYCLE_1) | instskip(SKIP_1) | instid1(VALU_DEP_1)
	s_add_u32 s1, s18, s4
	s_addc_u32 s3, s19, s5
	v_lshlrev_b64 v[17:18], 3, v[53:54]
	s_delay_alu instid0(VALU_DEP_1) | instskip(NEXT) | instid1(VALU_DEP_2)
	v_add_co_u32 v17, vcc_lo, s1, v17
	v_add_co_ci_u32_e32 v18, vcc_lo, s3, v18, vcc_lo
	global_store_b64 v[17:18], v[13:14], off
.LBB1235_474:
	s_or_b32 exec_lo, exec_lo, s0
	v_cmp_lt_u32_e32 vcc_lo, v51, v59
	s_or_b32 s1, s29, vcc_lo
	s_delay_alu instid0(SALU_CYCLE_1)
	s_and_saveexec_b32 s0, s1
	s_cbranch_execz .LBB1235_477
; %bb.475:
	v_and_b32_e32 v17, 1, v58
	s_delay_alu instid0(VALU_DEP_1)
	v_cmp_eq_u32_e32 vcc_lo, 1, v17
	s_and_b32 exec_lo, exec_lo, vcc_lo
	s_cbranch_execz .LBB1235_477
; %bb.476:
	v_mov_b32_e32 v52, 0
	s_lshl_b64 s[4:5], s[10:11], 3
	s_delay_alu instid0(SALU_CYCLE_1) | instskip(SKIP_1) | instid1(VALU_DEP_1)
	s_add_u32 s1, s18, s4
	s_addc_u32 s3, s19, s5
	v_lshlrev_b64 v[17:18], 3, v[51:52]
	s_delay_alu instid0(VALU_DEP_1) | instskip(NEXT) | instid1(VALU_DEP_2)
	v_add_co_u32 v17, vcc_lo, s1, v17
	v_add_co_ci_u32_e32 v18, vcc_lo, s3, v18, vcc_lo
	global_store_b64 v[17:18], v[15:16], off
.LBB1235_477:
	s_or_b32 exec_lo, exec_lo, s0
	v_cmp_lt_u32_e32 vcc_lo, v49, v59
	s_or_b32 s1, s29, vcc_lo
	s_delay_alu instid0(SALU_CYCLE_1)
	s_and_saveexec_b32 s0, s1
	s_cbranch_execz .LBB1235_480
; %bb.478:
	v_and_b32_e32 v17, 1, v57
	s_delay_alu instid0(VALU_DEP_1)
	v_cmp_eq_u32_e32 vcc_lo, 1, v17
	s_and_b32 exec_lo, exec_lo, vcc_lo
	s_cbranch_execz .LBB1235_480
; %bb.479:
	v_mov_b32_e32 v50, 0
	s_lshl_b64 s[4:5], s[10:11], 3
	s_delay_alu instid0(SALU_CYCLE_1) | instskip(SKIP_1) | instid1(VALU_DEP_1)
	s_add_u32 s1, s18, s4
	s_addc_u32 s3, s19, s5
	v_lshlrev_b64 v[17:18], 3, v[49:50]
	s_delay_alu instid0(VALU_DEP_1) | instskip(NEXT) | instid1(VALU_DEP_2)
	v_add_co_u32 v17, vcc_lo, s1, v17
	v_add_co_ci_u32_e32 v18, vcc_lo, s3, v18, vcc_lo
	global_store_b64 v[17:18], v[9:10], off
.LBB1235_480:
	s_or_b32 exec_lo, exec_lo, s0
	v_cmp_lt_u32_e32 vcc_lo, v47, v59
	s_or_b32 s1, s29, vcc_lo
	s_delay_alu instid0(SALU_CYCLE_1)
	s_and_saveexec_b32 s0, s1
	s_cbranch_execz .LBB1235_483
; %bb.481:
	v_and_b32_e32 v17, 1, v37
	s_delay_alu instid0(VALU_DEP_1)
	v_cmp_eq_u32_e32 vcc_lo, 1, v17
	s_and_b32 exec_lo, exec_lo, vcc_lo
	s_cbranch_execz .LBB1235_483
; %bb.482:
	v_mov_b32_e32 v48, 0
	s_lshl_b64 s[4:5], s[10:11], 3
	s_delay_alu instid0(SALU_CYCLE_1) | instskip(SKIP_1) | instid1(VALU_DEP_1)
	s_add_u32 s1, s18, s4
	s_addc_u32 s3, s19, s5
	v_lshlrev_b64 v[17:18], 3, v[47:48]
	s_delay_alu instid0(VALU_DEP_1) | instskip(NEXT) | instid1(VALU_DEP_2)
	v_add_co_u32 v17, vcc_lo, s1, v17
	v_add_co_ci_u32_e32 v18, vcc_lo, s3, v18, vcc_lo
	global_store_b64 v[17:18], v[11:12], off
.LBB1235_483:
	s_or_b32 exec_lo, exec_lo, s0
	v_cmp_lt_u32_e32 vcc_lo, v45, v59
	s_or_b32 s1, s29, vcc_lo
	s_delay_alu instid0(SALU_CYCLE_1)
	s_and_saveexec_b32 s0, s1
	s_cbranch_execz .LBB1235_486
; %bb.484:
	v_and_b32_e32 v17, 1, v36
	s_delay_alu instid0(VALU_DEP_1)
	v_cmp_eq_u32_e32 vcc_lo, 1, v17
	s_and_b32 exec_lo, exec_lo, vcc_lo
	s_cbranch_execz .LBB1235_486
; %bb.485:
	v_mov_b32_e32 v46, 0
	s_lshl_b64 s[4:5], s[10:11], 3
	s_delay_alu instid0(SALU_CYCLE_1) | instskip(SKIP_1) | instid1(VALU_DEP_1)
	s_add_u32 s1, s18, s4
	s_addc_u32 s3, s19, s5
	v_lshlrev_b64 v[17:18], 3, v[45:46]
	s_delay_alu instid0(VALU_DEP_1) | instskip(NEXT) | instid1(VALU_DEP_2)
	v_add_co_u32 v17, vcc_lo, s1, v17
	v_add_co_ci_u32_e32 v18, vcc_lo, s3, v18, vcc_lo
	global_store_b64 v[17:18], v[5:6], off
.LBB1235_486:
	s_or_b32 exec_lo, exec_lo, s0
	v_cmp_lt_u32_e32 vcc_lo, v43, v59
	s_or_b32 s1, s29, vcc_lo
	s_delay_alu instid0(SALU_CYCLE_1)
	s_and_saveexec_b32 s0, s1
	s_cbranch_execz .LBB1235_489
; %bb.487:
	v_and_b32_e32 v17, 1, v38
	s_delay_alu instid0(VALU_DEP_1)
	v_cmp_eq_u32_e32 vcc_lo, 1, v17
	s_and_b32 exec_lo, exec_lo, vcc_lo
	s_cbranch_execz .LBB1235_489
; %bb.488:
	v_mov_b32_e32 v44, 0
	s_lshl_b64 s[4:5], s[10:11], 3
	s_delay_alu instid0(SALU_CYCLE_1) | instskip(SKIP_1) | instid1(VALU_DEP_1)
	s_add_u32 s1, s18, s4
	s_addc_u32 s3, s19, s5
	v_lshlrev_b64 v[17:18], 3, v[43:44]
	s_delay_alu instid0(VALU_DEP_1) | instskip(NEXT) | instid1(VALU_DEP_2)
	v_add_co_u32 v17, vcc_lo, s1, v17
	v_add_co_ci_u32_e32 v18, vcc_lo, s3, v18, vcc_lo
	global_store_b64 v[17:18], v[7:8], off
.LBB1235_489:
	s_or_b32 exec_lo, exec_lo, s0
	v_cmp_lt_u32_e32 vcc_lo, v41, v59
	s_or_b32 s1, s29, vcc_lo
	s_delay_alu instid0(SALU_CYCLE_1)
	s_and_saveexec_b32 s0, s1
	s_cbranch_execz .LBB1235_492
; %bb.490:
	v_and_b32_e32 v17, 1, v34
	s_delay_alu instid0(VALU_DEP_1)
	v_cmp_eq_u32_e32 vcc_lo, 1, v17
	s_and_b32 exec_lo, exec_lo, vcc_lo
	s_cbranch_execz .LBB1235_492
; %bb.491:
	v_mov_b32_e32 v42, 0
	s_lshl_b64 s[4:5], s[10:11], 3
	s_delay_alu instid0(SALU_CYCLE_1) | instskip(SKIP_1) | instid1(VALU_DEP_1)
	s_add_u32 s1, s18, s4
	s_addc_u32 s3, s19, s5
	v_lshlrev_b64 v[17:18], 3, v[41:42]
	s_delay_alu instid0(VALU_DEP_1) | instskip(NEXT) | instid1(VALU_DEP_2)
	v_add_co_u32 v17, vcc_lo, s1, v17
	v_add_co_ci_u32_e32 v18, vcc_lo, s3, v18, vcc_lo
	global_store_b64 v[17:18], v[1:2], off
.LBB1235_492:
	s_or_b32 exec_lo, exec_lo, s0
	v_cmp_lt_u32_e32 vcc_lo, v39, v59
	s_or_b32 s1, s29, vcc_lo
	s_delay_alu instid0(SALU_CYCLE_1)
	s_and_saveexec_b32 s0, s1
	s_cbranch_execz .LBB1235_495
; %bb.493:
	v_and_b32_e32 v17, 1, v56
	s_delay_alu instid0(VALU_DEP_1)
	v_cmp_eq_u32_e32 vcc_lo, 1, v17
	s_and_b32 exec_lo, exec_lo, vcc_lo
	s_cbranch_execz .LBB1235_495
; %bb.494:
	v_mov_b32_e32 v40, 0
	s_lshl_b64 s[4:5], s[10:11], 3
	s_delay_alu instid0(SALU_CYCLE_1) | instskip(SKIP_1) | instid1(VALU_DEP_1)
	s_add_u32 s1, s18, s4
	s_addc_u32 s3, s19, s5
	v_lshlrev_b64 v[17:18], 3, v[39:40]
	s_delay_alu instid0(VALU_DEP_1) | instskip(NEXT) | instid1(VALU_DEP_2)
	v_add_co_u32 v17, vcc_lo, s1, v17
	v_add_co_ci_u32_e32 v18, vcc_lo, s3, v18, vcc_lo
	global_store_b64 v[17:18], v[3:4], off
.LBB1235_495:
	s_or_b32 exec_lo, exec_lo, s0
.LBB1235_496:
	s_and_b32 s0, s2, s28
	s_delay_alu instid0(SALU_CYCLE_1)
	s_and_saveexec_b32 s1, s0
	s_cbranch_execz .LBB1235_519
.LBB1235_497:
	v_add_co_u32 v0, s0, s10, v33
	s_delay_alu instid0(VALU_DEP_1) | instskip(SKIP_1) | instid1(VALU_DEP_3)
	v_add_co_ci_u32_e64 v1, null, s11, 0, s0
	v_mov_b32_e32 v2, 0
	v_add_co_u32 v0, vcc_lo, v0, s12
	s_delay_alu instid0(VALU_DEP_3)
	v_add_co_ci_u32_e32 v1, vcc_lo, 0, v1, vcc_lo
	global_store_b64 v2, v[0:1], s[8:9]
	s_nop 0
	s_sendmsg sendmsg(MSG_DEALLOC_VGPRS)
	s_endpgm
.LBB1235_498:
	s_and_b32 vcc_lo, exec_lo, s0
	s_cbranch_vccz .LBB1235_496
; %bb.499:
	s_mov_b32 s0, exec_lo
	v_cmpx_eq_u32_e32 1, v35
	s_cbranch_execz .LBB1235_501
; %bb.500:
	v_subrev_nc_u32_e32 v17, s12, v53
	s_delay_alu instid0(VALU_DEP_1)
	v_lshlrev_b32_e32 v17, 3, v17
	ds_store_b64 v17, v[13:14]
.LBB1235_501:
	s_or_b32 exec_lo, exec_lo, s0
	v_and_b32_e32 v13, 1, v58
	s_mov_b32 s0, exec_lo
	s_delay_alu instid0(VALU_DEP_1)
	v_cmpx_eq_u32_e32 1, v13
	s_cbranch_execz .LBB1235_503
; %bb.502:
	v_subrev_nc_u32_e32 v13, s12, v51
	s_delay_alu instid0(VALU_DEP_1)
	v_lshlrev_b32_e32 v13, 3, v13
	ds_store_b64 v13, v[15:16]
.LBB1235_503:
	s_or_b32 exec_lo, exec_lo, s0
	v_and_b32_e32 v13, 1, v57
	s_mov_b32 s0, exec_lo
	s_delay_alu instid0(VALU_DEP_1)
	;; [unrolled: 12-line block ×7, first 2 shown]
	v_cmpx_eq_u32_e32 1, v1
	s_cbranch_execz .LBB1235_515
; %bb.514:
	v_subrev_nc_u32_e32 v1, s12, v39
	s_delay_alu instid0(VALU_DEP_1)
	v_lshlrev_b32_e32 v1, 3, v1
	ds_store_b64 v1, v[3:4]
.LBB1235_515:
	s_or_b32 exec_lo, exec_lo, s0
	s_delay_alu instid0(SALU_CYCLE_1)
	s_mov_b32 s1, exec_lo
	s_waitcnt lgkmcnt(0)
	s_waitcnt_vscnt null, 0x0
	s_barrier
	buffer_gl0_inv
	v_cmpx_lt_u32_e64 v0, v33
	s_cbranch_execz .LBB1235_518
; %bb.516:
	s_mov_b32 s13, 0
	s_lshl_b64 s[4:5], s[10:11], 3
	s_lshl_b64 s[6:7], s[12:13], 3
	s_delay_alu instid0(SALU_CYCLE_1) | instskip(SKIP_4) | instid1(VALU_DEP_1)
	s_add_u32 s0, s4, s6
	s_addc_u32 s3, s5, s7
	s_add_u32 s0, s18, s0
	s_addc_u32 s3, s19, s3
	v_add_co_u32 v1, s0, s0, v55
	v_add_co_ci_u32_e64 v2, null, s3, 0, s0
	.p2align	6
.LBB1235_517:                           ; =>This Inner Loop Header: Depth=1
	ds_load_b64 v[3:4], v55
	v_add_nc_u32_e32 v0, 0x200, v0
	v_add_nc_u32_e32 v55, 0x1000, v55
	s_delay_alu instid0(VALU_DEP_2) | instskip(SKIP_4) | instid1(VALU_DEP_1)
	v_cmp_ge_u32_e32 vcc_lo, v0, v33
	s_or_b32 s13, vcc_lo, s13
	s_waitcnt lgkmcnt(0)
	global_store_b64 v[1:2], v[3:4], off
	v_add_co_u32 v1, s0, 0x1000, v1
	v_add_co_ci_u32_e64 v2, s0, 0, v2, s0
	s_and_not1_b32 exec_lo, exec_lo, s13
	s_cbranch_execnz .LBB1235_517
.LBB1235_518:
	s_or_b32 exec_lo, exec_lo, s1
	s_and_b32 s0, s2, s28
	s_delay_alu instid0(SALU_CYCLE_1)
	s_and_saveexec_b32 s1, s0
	s_cbranch_execnz .LBB1235_497
.LBB1235_519:
	s_nop 0
	s_sendmsg sendmsg(MSG_DEALLOC_VGPRS)
	s_endpgm
	.section	.rodata,"a",@progbits
	.p2align	6, 0x0
	.amdhsa_kernel _ZN7rocprim17ROCPRIM_400000_NS6detail17trampoline_kernelINS0_14default_configENS1_25partition_config_selectorILNS1_17partition_subalgoE9EllbEEZZNS1_14partition_implILS5_9ELb0ES3_jPlS8_PNS0_10empty_typeENS0_5tupleIJS8_S9_EEENSB_IJS8_SA_EEENS0_18inequality_wrapperIZN2at6native12_GLOBAL__N_124unique_dim_cuda_templateIN3c108BFloat16EEESt5tupleIJNSF_6TensorESM_SM_EERKSM_lbbbEUlllE0_EEPmJS9_EEE10hipError_tPvRmT3_T4_T5_T6_T7_T9_mT8_P12ihipStream_tbDpT10_ENKUlT_T0_E_clISt17integral_constantIbLb0EES1B_IbLb1EEEEDaS17_S18_EUlS17_E_NS1_11comp_targetILNS1_3genE9ELNS1_11target_archE1100ELNS1_3gpuE3ELNS1_3repE0EEENS1_30default_config_static_selectorELNS0_4arch9wavefront6targetE0EEEvT1_
		.amdhsa_group_segment_fixed_size 33804
		.amdhsa_private_segment_fixed_size 0
		.amdhsa_kernarg_size 136
		.amdhsa_user_sgpr_count 15
		.amdhsa_user_sgpr_dispatch_ptr 0
		.amdhsa_user_sgpr_queue_ptr 0
		.amdhsa_user_sgpr_kernarg_segment_ptr 1
		.amdhsa_user_sgpr_dispatch_id 0
		.amdhsa_user_sgpr_private_segment_size 0
		.amdhsa_wavefront_size32 1
		.amdhsa_uses_dynamic_stack 0
		.amdhsa_enable_private_segment 0
		.amdhsa_system_sgpr_workgroup_id_x 1
		.amdhsa_system_sgpr_workgroup_id_y 0
		.amdhsa_system_sgpr_workgroup_id_z 0
		.amdhsa_system_sgpr_workgroup_info 0
		.amdhsa_system_vgpr_workitem_id 0
		.amdhsa_next_free_vgpr 68
		.amdhsa_next_free_sgpr 40
		.amdhsa_reserve_vcc 1
		.amdhsa_float_round_mode_32 0
		.amdhsa_float_round_mode_16_64 0
		.amdhsa_float_denorm_mode_32 3
		.amdhsa_float_denorm_mode_16_64 3
		.amdhsa_dx10_clamp 1
		.amdhsa_ieee_mode 1
		.amdhsa_fp16_overflow 0
		.amdhsa_workgroup_processor_mode 1
		.amdhsa_memory_ordered 1
		.amdhsa_forward_progress 0
		.amdhsa_shared_vgpr_count 0
		.amdhsa_exception_fp_ieee_invalid_op 0
		.amdhsa_exception_fp_denorm_src 0
		.amdhsa_exception_fp_ieee_div_zero 0
		.amdhsa_exception_fp_ieee_overflow 0
		.amdhsa_exception_fp_ieee_underflow 0
		.amdhsa_exception_fp_ieee_inexact 0
		.amdhsa_exception_int_div_zero 0
	.end_amdhsa_kernel
	.section	.text._ZN7rocprim17ROCPRIM_400000_NS6detail17trampoline_kernelINS0_14default_configENS1_25partition_config_selectorILNS1_17partition_subalgoE9EllbEEZZNS1_14partition_implILS5_9ELb0ES3_jPlS8_PNS0_10empty_typeENS0_5tupleIJS8_S9_EEENSB_IJS8_SA_EEENS0_18inequality_wrapperIZN2at6native12_GLOBAL__N_124unique_dim_cuda_templateIN3c108BFloat16EEESt5tupleIJNSF_6TensorESM_SM_EERKSM_lbbbEUlllE0_EEPmJS9_EEE10hipError_tPvRmT3_T4_T5_T6_T7_T9_mT8_P12ihipStream_tbDpT10_ENKUlT_T0_E_clISt17integral_constantIbLb0EES1B_IbLb1EEEEDaS17_S18_EUlS17_E_NS1_11comp_targetILNS1_3genE9ELNS1_11target_archE1100ELNS1_3gpuE3ELNS1_3repE0EEENS1_30default_config_static_selectorELNS0_4arch9wavefront6targetE0EEEvT1_,"axG",@progbits,_ZN7rocprim17ROCPRIM_400000_NS6detail17trampoline_kernelINS0_14default_configENS1_25partition_config_selectorILNS1_17partition_subalgoE9EllbEEZZNS1_14partition_implILS5_9ELb0ES3_jPlS8_PNS0_10empty_typeENS0_5tupleIJS8_S9_EEENSB_IJS8_SA_EEENS0_18inequality_wrapperIZN2at6native12_GLOBAL__N_124unique_dim_cuda_templateIN3c108BFloat16EEESt5tupleIJNSF_6TensorESM_SM_EERKSM_lbbbEUlllE0_EEPmJS9_EEE10hipError_tPvRmT3_T4_T5_T6_T7_T9_mT8_P12ihipStream_tbDpT10_ENKUlT_T0_E_clISt17integral_constantIbLb0EES1B_IbLb1EEEEDaS17_S18_EUlS17_E_NS1_11comp_targetILNS1_3genE9ELNS1_11target_archE1100ELNS1_3gpuE3ELNS1_3repE0EEENS1_30default_config_static_selectorELNS0_4arch9wavefront6targetE0EEEvT1_,comdat
.Lfunc_end1235:
	.size	_ZN7rocprim17ROCPRIM_400000_NS6detail17trampoline_kernelINS0_14default_configENS1_25partition_config_selectorILNS1_17partition_subalgoE9EllbEEZZNS1_14partition_implILS5_9ELb0ES3_jPlS8_PNS0_10empty_typeENS0_5tupleIJS8_S9_EEENSB_IJS8_SA_EEENS0_18inequality_wrapperIZN2at6native12_GLOBAL__N_124unique_dim_cuda_templateIN3c108BFloat16EEESt5tupleIJNSF_6TensorESM_SM_EERKSM_lbbbEUlllE0_EEPmJS9_EEE10hipError_tPvRmT3_T4_T5_T6_T7_T9_mT8_P12ihipStream_tbDpT10_ENKUlT_T0_E_clISt17integral_constantIbLb0EES1B_IbLb1EEEEDaS17_S18_EUlS17_E_NS1_11comp_targetILNS1_3genE9ELNS1_11target_archE1100ELNS1_3gpuE3ELNS1_3repE0EEENS1_30default_config_static_selectorELNS0_4arch9wavefront6targetE0EEEvT1_, .Lfunc_end1235-_ZN7rocprim17ROCPRIM_400000_NS6detail17trampoline_kernelINS0_14default_configENS1_25partition_config_selectorILNS1_17partition_subalgoE9EllbEEZZNS1_14partition_implILS5_9ELb0ES3_jPlS8_PNS0_10empty_typeENS0_5tupleIJS8_S9_EEENSB_IJS8_SA_EEENS0_18inequality_wrapperIZN2at6native12_GLOBAL__N_124unique_dim_cuda_templateIN3c108BFloat16EEESt5tupleIJNSF_6TensorESM_SM_EERKSM_lbbbEUlllE0_EEPmJS9_EEE10hipError_tPvRmT3_T4_T5_T6_T7_T9_mT8_P12ihipStream_tbDpT10_ENKUlT_T0_E_clISt17integral_constantIbLb0EES1B_IbLb1EEEEDaS17_S18_EUlS17_E_NS1_11comp_targetILNS1_3genE9ELNS1_11target_archE1100ELNS1_3gpuE3ELNS1_3repE0EEENS1_30default_config_static_selectorELNS0_4arch9wavefront6targetE0EEEvT1_
                                        ; -- End function
	.section	.AMDGPU.csdata,"",@progbits
; Kernel info:
; codeLenInByte = 21396
; NumSgprs: 42
; NumVgprs: 68
; ScratchSize: 0
; MemoryBound: 0
; FloatMode: 240
; IeeeMode: 1
; LDSByteSize: 33804 bytes/workgroup (compile time only)
; SGPRBlocks: 5
; VGPRBlocks: 8
; NumSGPRsForWavesPerEU: 42
; NumVGPRsForWavesPerEU: 68
; Occupancy: 12
; WaveLimiterHint : 1
; COMPUTE_PGM_RSRC2:SCRATCH_EN: 0
; COMPUTE_PGM_RSRC2:USER_SGPR: 15
; COMPUTE_PGM_RSRC2:TRAP_HANDLER: 0
; COMPUTE_PGM_RSRC2:TGID_X_EN: 1
; COMPUTE_PGM_RSRC2:TGID_Y_EN: 0
; COMPUTE_PGM_RSRC2:TGID_Z_EN: 0
; COMPUTE_PGM_RSRC2:TIDIG_COMP_CNT: 0
	.section	.text._ZN7rocprim17ROCPRIM_400000_NS6detail17trampoline_kernelINS0_14default_configENS1_25partition_config_selectorILNS1_17partition_subalgoE9EllbEEZZNS1_14partition_implILS5_9ELb0ES3_jPlS8_PNS0_10empty_typeENS0_5tupleIJS8_S9_EEENSB_IJS8_SA_EEENS0_18inequality_wrapperIZN2at6native12_GLOBAL__N_124unique_dim_cuda_templateIN3c108BFloat16EEESt5tupleIJNSF_6TensorESM_SM_EERKSM_lbbbEUlllE0_EEPmJS9_EEE10hipError_tPvRmT3_T4_T5_T6_T7_T9_mT8_P12ihipStream_tbDpT10_ENKUlT_T0_E_clISt17integral_constantIbLb0EES1B_IbLb1EEEEDaS17_S18_EUlS17_E_NS1_11comp_targetILNS1_3genE8ELNS1_11target_archE1030ELNS1_3gpuE2ELNS1_3repE0EEENS1_30default_config_static_selectorELNS0_4arch9wavefront6targetE0EEEvT1_,"axG",@progbits,_ZN7rocprim17ROCPRIM_400000_NS6detail17trampoline_kernelINS0_14default_configENS1_25partition_config_selectorILNS1_17partition_subalgoE9EllbEEZZNS1_14partition_implILS5_9ELb0ES3_jPlS8_PNS0_10empty_typeENS0_5tupleIJS8_S9_EEENSB_IJS8_SA_EEENS0_18inequality_wrapperIZN2at6native12_GLOBAL__N_124unique_dim_cuda_templateIN3c108BFloat16EEESt5tupleIJNSF_6TensorESM_SM_EERKSM_lbbbEUlllE0_EEPmJS9_EEE10hipError_tPvRmT3_T4_T5_T6_T7_T9_mT8_P12ihipStream_tbDpT10_ENKUlT_T0_E_clISt17integral_constantIbLb0EES1B_IbLb1EEEEDaS17_S18_EUlS17_E_NS1_11comp_targetILNS1_3genE8ELNS1_11target_archE1030ELNS1_3gpuE2ELNS1_3repE0EEENS1_30default_config_static_selectorELNS0_4arch9wavefront6targetE0EEEvT1_,comdat
	.globl	_ZN7rocprim17ROCPRIM_400000_NS6detail17trampoline_kernelINS0_14default_configENS1_25partition_config_selectorILNS1_17partition_subalgoE9EllbEEZZNS1_14partition_implILS5_9ELb0ES3_jPlS8_PNS0_10empty_typeENS0_5tupleIJS8_S9_EEENSB_IJS8_SA_EEENS0_18inequality_wrapperIZN2at6native12_GLOBAL__N_124unique_dim_cuda_templateIN3c108BFloat16EEESt5tupleIJNSF_6TensorESM_SM_EERKSM_lbbbEUlllE0_EEPmJS9_EEE10hipError_tPvRmT3_T4_T5_T6_T7_T9_mT8_P12ihipStream_tbDpT10_ENKUlT_T0_E_clISt17integral_constantIbLb0EES1B_IbLb1EEEEDaS17_S18_EUlS17_E_NS1_11comp_targetILNS1_3genE8ELNS1_11target_archE1030ELNS1_3gpuE2ELNS1_3repE0EEENS1_30default_config_static_selectorELNS0_4arch9wavefront6targetE0EEEvT1_ ; -- Begin function _ZN7rocprim17ROCPRIM_400000_NS6detail17trampoline_kernelINS0_14default_configENS1_25partition_config_selectorILNS1_17partition_subalgoE9EllbEEZZNS1_14partition_implILS5_9ELb0ES3_jPlS8_PNS0_10empty_typeENS0_5tupleIJS8_S9_EEENSB_IJS8_SA_EEENS0_18inequality_wrapperIZN2at6native12_GLOBAL__N_124unique_dim_cuda_templateIN3c108BFloat16EEESt5tupleIJNSF_6TensorESM_SM_EERKSM_lbbbEUlllE0_EEPmJS9_EEE10hipError_tPvRmT3_T4_T5_T6_T7_T9_mT8_P12ihipStream_tbDpT10_ENKUlT_T0_E_clISt17integral_constantIbLb0EES1B_IbLb1EEEEDaS17_S18_EUlS17_E_NS1_11comp_targetILNS1_3genE8ELNS1_11target_archE1030ELNS1_3gpuE2ELNS1_3repE0EEENS1_30default_config_static_selectorELNS0_4arch9wavefront6targetE0EEEvT1_
	.p2align	8
	.type	_ZN7rocprim17ROCPRIM_400000_NS6detail17trampoline_kernelINS0_14default_configENS1_25partition_config_selectorILNS1_17partition_subalgoE9EllbEEZZNS1_14partition_implILS5_9ELb0ES3_jPlS8_PNS0_10empty_typeENS0_5tupleIJS8_S9_EEENSB_IJS8_SA_EEENS0_18inequality_wrapperIZN2at6native12_GLOBAL__N_124unique_dim_cuda_templateIN3c108BFloat16EEESt5tupleIJNSF_6TensorESM_SM_EERKSM_lbbbEUlllE0_EEPmJS9_EEE10hipError_tPvRmT3_T4_T5_T6_T7_T9_mT8_P12ihipStream_tbDpT10_ENKUlT_T0_E_clISt17integral_constantIbLb0EES1B_IbLb1EEEEDaS17_S18_EUlS17_E_NS1_11comp_targetILNS1_3genE8ELNS1_11target_archE1030ELNS1_3gpuE2ELNS1_3repE0EEENS1_30default_config_static_selectorELNS0_4arch9wavefront6targetE0EEEvT1_,@function
_ZN7rocprim17ROCPRIM_400000_NS6detail17trampoline_kernelINS0_14default_configENS1_25partition_config_selectorILNS1_17partition_subalgoE9EllbEEZZNS1_14partition_implILS5_9ELb0ES3_jPlS8_PNS0_10empty_typeENS0_5tupleIJS8_S9_EEENSB_IJS8_SA_EEENS0_18inequality_wrapperIZN2at6native12_GLOBAL__N_124unique_dim_cuda_templateIN3c108BFloat16EEESt5tupleIJNSF_6TensorESM_SM_EERKSM_lbbbEUlllE0_EEPmJS9_EEE10hipError_tPvRmT3_T4_T5_T6_T7_T9_mT8_P12ihipStream_tbDpT10_ENKUlT_T0_E_clISt17integral_constantIbLb0EES1B_IbLb1EEEEDaS17_S18_EUlS17_E_NS1_11comp_targetILNS1_3genE8ELNS1_11target_archE1030ELNS1_3gpuE2ELNS1_3repE0EEENS1_30default_config_static_selectorELNS0_4arch9wavefront6targetE0EEEvT1_: ; @_ZN7rocprim17ROCPRIM_400000_NS6detail17trampoline_kernelINS0_14default_configENS1_25partition_config_selectorILNS1_17partition_subalgoE9EllbEEZZNS1_14partition_implILS5_9ELb0ES3_jPlS8_PNS0_10empty_typeENS0_5tupleIJS8_S9_EEENSB_IJS8_SA_EEENS0_18inequality_wrapperIZN2at6native12_GLOBAL__N_124unique_dim_cuda_templateIN3c108BFloat16EEESt5tupleIJNSF_6TensorESM_SM_EERKSM_lbbbEUlllE0_EEPmJS9_EEE10hipError_tPvRmT3_T4_T5_T6_T7_T9_mT8_P12ihipStream_tbDpT10_ENKUlT_T0_E_clISt17integral_constantIbLb0EES1B_IbLb1EEEEDaS17_S18_EUlS17_E_NS1_11comp_targetILNS1_3genE8ELNS1_11target_archE1030ELNS1_3gpuE2ELNS1_3repE0EEENS1_30default_config_static_selectorELNS0_4arch9wavefront6targetE0EEEvT1_
; %bb.0:
	.section	.rodata,"a",@progbits
	.p2align	6, 0x0
	.amdhsa_kernel _ZN7rocprim17ROCPRIM_400000_NS6detail17trampoline_kernelINS0_14default_configENS1_25partition_config_selectorILNS1_17partition_subalgoE9EllbEEZZNS1_14partition_implILS5_9ELb0ES3_jPlS8_PNS0_10empty_typeENS0_5tupleIJS8_S9_EEENSB_IJS8_SA_EEENS0_18inequality_wrapperIZN2at6native12_GLOBAL__N_124unique_dim_cuda_templateIN3c108BFloat16EEESt5tupleIJNSF_6TensorESM_SM_EERKSM_lbbbEUlllE0_EEPmJS9_EEE10hipError_tPvRmT3_T4_T5_T6_T7_T9_mT8_P12ihipStream_tbDpT10_ENKUlT_T0_E_clISt17integral_constantIbLb0EES1B_IbLb1EEEEDaS17_S18_EUlS17_E_NS1_11comp_targetILNS1_3genE8ELNS1_11target_archE1030ELNS1_3gpuE2ELNS1_3repE0EEENS1_30default_config_static_selectorELNS0_4arch9wavefront6targetE0EEEvT1_
		.amdhsa_group_segment_fixed_size 0
		.amdhsa_private_segment_fixed_size 0
		.amdhsa_kernarg_size 136
		.amdhsa_user_sgpr_count 15
		.amdhsa_user_sgpr_dispatch_ptr 0
		.amdhsa_user_sgpr_queue_ptr 0
		.amdhsa_user_sgpr_kernarg_segment_ptr 1
		.amdhsa_user_sgpr_dispatch_id 0
		.amdhsa_user_sgpr_private_segment_size 0
		.amdhsa_wavefront_size32 1
		.amdhsa_uses_dynamic_stack 0
		.amdhsa_enable_private_segment 0
		.amdhsa_system_sgpr_workgroup_id_x 1
		.amdhsa_system_sgpr_workgroup_id_y 0
		.amdhsa_system_sgpr_workgroup_id_z 0
		.amdhsa_system_sgpr_workgroup_info 0
		.amdhsa_system_vgpr_workitem_id 0
		.amdhsa_next_free_vgpr 1
		.amdhsa_next_free_sgpr 1
		.amdhsa_reserve_vcc 0
		.amdhsa_float_round_mode_32 0
		.amdhsa_float_round_mode_16_64 0
		.amdhsa_float_denorm_mode_32 3
		.amdhsa_float_denorm_mode_16_64 3
		.amdhsa_dx10_clamp 1
		.amdhsa_ieee_mode 1
		.amdhsa_fp16_overflow 0
		.amdhsa_workgroup_processor_mode 1
		.amdhsa_memory_ordered 1
		.amdhsa_forward_progress 0
		.amdhsa_shared_vgpr_count 0
		.amdhsa_exception_fp_ieee_invalid_op 0
		.amdhsa_exception_fp_denorm_src 0
		.amdhsa_exception_fp_ieee_div_zero 0
		.amdhsa_exception_fp_ieee_overflow 0
		.amdhsa_exception_fp_ieee_underflow 0
		.amdhsa_exception_fp_ieee_inexact 0
		.amdhsa_exception_int_div_zero 0
	.end_amdhsa_kernel
	.section	.text._ZN7rocprim17ROCPRIM_400000_NS6detail17trampoline_kernelINS0_14default_configENS1_25partition_config_selectorILNS1_17partition_subalgoE9EllbEEZZNS1_14partition_implILS5_9ELb0ES3_jPlS8_PNS0_10empty_typeENS0_5tupleIJS8_S9_EEENSB_IJS8_SA_EEENS0_18inequality_wrapperIZN2at6native12_GLOBAL__N_124unique_dim_cuda_templateIN3c108BFloat16EEESt5tupleIJNSF_6TensorESM_SM_EERKSM_lbbbEUlllE0_EEPmJS9_EEE10hipError_tPvRmT3_T4_T5_T6_T7_T9_mT8_P12ihipStream_tbDpT10_ENKUlT_T0_E_clISt17integral_constantIbLb0EES1B_IbLb1EEEEDaS17_S18_EUlS17_E_NS1_11comp_targetILNS1_3genE8ELNS1_11target_archE1030ELNS1_3gpuE2ELNS1_3repE0EEENS1_30default_config_static_selectorELNS0_4arch9wavefront6targetE0EEEvT1_,"axG",@progbits,_ZN7rocprim17ROCPRIM_400000_NS6detail17trampoline_kernelINS0_14default_configENS1_25partition_config_selectorILNS1_17partition_subalgoE9EllbEEZZNS1_14partition_implILS5_9ELb0ES3_jPlS8_PNS0_10empty_typeENS0_5tupleIJS8_S9_EEENSB_IJS8_SA_EEENS0_18inequality_wrapperIZN2at6native12_GLOBAL__N_124unique_dim_cuda_templateIN3c108BFloat16EEESt5tupleIJNSF_6TensorESM_SM_EERKSM_lbbbEUlllE0_EEPmJS9_EEE10hipError_tPvRmT3_T4_T5_T6_T7_T9_mT8_P12ihipStream_tbDpT10_ENKUlT_T0_E_clISt17integral_constantIbLb0EES1B_IbLb1EEEEDaS17_S18_EUlS17_E_NS1_11comp_targetILNS1_3genE8ELNS1_11target_archE1030ELNS1_3gpuE2ELNS1_3repE0EEENS1_30default_config_static_selectorELNS0_4arch9wavefront6targetE0EEEvT1_,comdat
.Lfunc_end1236:
	.size	_ZN7rocprim17ROCPRIM_400000_NS6detail17trampoline_kernelINS0_14default_configENS1_25partition_config_selectorILNS1_17partition_subalgoE9EllbEEZZNS1_14partition_implILS5_9ELb0ES3_jPlS8_PNS0_10empty_typeENS0_5tupleIJS8_S9_EEENSB_IJS8_SA_EEENS0_18inequality_wrapperIZN2at6native12_GLOBAL__N_124unique_dim_cuda_templateIN3c108BFloat16EEESt5tupleIJNSF_6TensorESM_SM_EERKSM_lbbbEUlllE0_EEPmJS9_EEE10hipError_tPvRmT3_T4_T5_T6_T7_T9_mT8_P12ihipStream_tbDpT10_ENKUlT_T0_E_clISt17integral_constantIbLb0EES1B_IbLb1EEEEDaS17_S18_EUlS17_E_NS1_11comp_targetILNS1_3genE8ELNS1_11target_archE1030ELNS1_3gpuE2ELNS1_3repE0EEENS1_30default_config_static_selectorELNS0_4arch9wavefront6targetE0EEEvT1_, .Lfunc_end1236-_ZN7rocprim17ROCPRIM_400000_NS6detail17trampoline_kernelINS0_14default_configENS1_25partition_config_selectorILNS1_17partition_subalgoE9EllbEEZZNS1_14partition_implILS5_9ELb0ES3_jPlS8_PNS0_10empty_typeENS0_5tupleIJS8_S9_EEENSB_IJS8_SA_EEENS0_18inequality_wrapperIZN2at6native12_GLOBAL__N_124unique_dim_cuda_templateIN3c108BFloat16EEESt5tupleIJNSF_6TensorESM_SM_EERKSM_lbbbEUlllE0_EEPmJS9_EEE10hipError_tPvRmT3_T4_T5_T6_T7_T9_mT8_P12ihipStream_tbDpT10_ENKUlT_T0_E_clISt17integral_constantIbLb0EES1B_IbLb1EEEEDaS17_S18_EUlS17_E_NS1_11comp_targetILNS1_3genE8ELNS1_11target_archE1030ELNS1_3gpuE2ELNS1_3repE0EEENS1_30default_config_static_selectorELNS0_4arch9wavefront6targetE0EEEvT1_
                                        ; -- End function
	.section	.AMDGPU.csdata,"",@progbits
; Kernel info:
; codeLenInByte = 0
; NumSgprs: 0
; NumVgprs: 0
; ScratchSize: 0
; MemoryBound: 0
; FloatMode: 240
; IeeeMode: 1
; LDSByteSize: 0 bytes/workgroup (compile time only)
; SGPRBlocks: 0
; VGPRBlocks: 0
; NumSGPRsForWavesPerEU: 1
; NumVGPRsForWavesPerEU: 1
; Occupancy: 16
; WaveLimiterHint : 0
; COMPUTE_PGM_RSRC2:SCRATCH_EN: 0
; COMPUTE_PGM_RSRC2:USER_SGPR: 15
; COMPUTE_PGM_RSRC2:TRAP_HANDLER: 0
; COMPUTE_PGM_RSRC2:TGID_X_EN: 1
; COMPUTE_PGM_RSRC2:TGID_Y_EN: 0
; COMPUTE_PGM_RSRC2:TGID_Z_EN: 0
; COMPUTE_PGM_RSRC2:TIDIG_COMP_CNT: 0
	.section	.text._ZN7rocprim17ROCPRIM_400000_NS6detail17trampoline_kernelINS0_14default_configENS1_37merge_sort_block_sort_config_selectorIlNS0_10empty_typeEEEZNS1_21merge_sort_block_sortIS3_PlS8_PS5_S9_ZN2at6native12_GLOBAL__N_124unique_dim_cuda_templateIN3c104HalfEEESt5tupleIJNSA_6TensorESH_SH_EERKSH_lbbbEUlllE_EE10hipError_tT0_T1_T2_T3_mRjT4_P12ihipStream_tbNS1_7vsmem_tEEUlT_E_NS1_11comp_targetILNS1_3genE0ELNS1_11target_archE4294967295ELNS1_3gpuE0ELNS1_3repE0EEENS1_30default_config_static_selectorELNS0_4arch9wavefront6targetE0EEEvSO_,"axG",@progbits,_ZN7rocprim17ROCPRIM_400000_NS6detail17trampoline_kernelINS0_14default_configENS1_37merge_sort_block_sort_config_selectorIlNS0_10empty_typeEEEZNS1_21merge_sort_block_sortIS3_PlS8_PS5_S9_ZN2at6native12_GLOBAL__N_124unique_dim_cuda_templateIN3c104HalfEEESt5tupleIJNSA_6TensorESH_SH_EERKSH_lbbbEUlllE_EE10hipError_tT0_T1_T2_T3_mRjT4_P12ihipStream_tbNS1_7vsmem_tEEUlT_E_NS1_11comp_targetILNS1_3genE0ELNS1_11target_archE4294967295ELNS1_3gpuE0ELNS1_3repE0EEENS1_30default_config_static_selectorELNS0_4arch9wavefront6targetE0EEEvSO_,comdat
	.globl	_ZN7rocprim17ROCPRIM_400000_NS6detail17trampoline_kernelINS0_14default_configENS1_37merge_sort_block_sort_config_selectorIlNS0_10empty_typeEEEZNS1_21merge_sort_block_sortIS3_PlS8_PS5_S9_ZN2at6native12_GLOBAL__N_124unique_dim_cuda_templateIN3c104HalfEEESt5tupleIJNSA_6TensorESH_SH_EERKSH_lbbbEUlllE_EE10hipError_tT0_T1_T2_T3_mRjT4_P12ihipStream_tbNS1_7vsmem_tEEUlT_E_NS1_11comp_targetILNS1_3genE0ELNS1_11target_archE4294967295ELNS1_3gpuE0ELNS1_3repE0EEENS1_30default_config_static_selectorELNS0_4arch9wavefront6targetE0EEEvSO_ ; -- Begin function _ZN7rocprim17ROCPRIM_400000_NS6detail17trampoline_kernelINS0_14default_configENS1_37merge_sort_block_sort_config_selectorIlNS0_10empty_typeEEEZNS1_21merge_sort_block_sortIS3_PlS8_PS5_S9_ZN2at6native12_GLOBAL__N_124unique_dim_cuda_templateIN3c104HalfEEESt5tupleIJNSA_6TensorESH_SH_EERKSH_lbbbEUlllE_EE10hipError_tT0_T1_T2_T3_mRjT4_P12ihipStream_tbNS1_7vsmem_tEEUlT_E_NS1_11comp_targetILNS1_3genE0ELNS1_11target_archE4294967295ELNS1_3gpuE0ELNS1_3repE0EEENS1_30default_config_static_selectorELNS0_4arch9wavefront6targetE0EEEvSO_
	.p2align	8
	.type	_ZN7rocprim17ROCPRIM_400000_NS6detail17trampoline_kernelINS0_14default_configENS1_37merge_sort_block_sort_config_selectorIlNS0_10empty_typeEEEZNS1_21merge_sort_block_sortIS3_PlS8_PS5_S9_ZN2at6native12_GLOBAL__N_124unique_dim_cuda_templateIN3c104HalfEEESt5tupleIJNSA_6TensorESH_SH_EERKSH_lbbbEUlllE_EE10hipError_tT0_T1_T2_T3_mRjT4_P12ihipStream_tbNS1_7vsmem_tEEUlT_E_NS1_11comp_targetILNS1_3genE0ELNS1_11target_archE4294967295ELNS1_3gpuE0ELNS1_3repE0EEENS1_30default_config_static_selectorELNS0_4arch9wavefront6targetE0EEEvSO_,@function
_ZN7rocprim17ROCPRIM_400000_NS6detail17trampoline_kernelINS0_14default_configENS1_37merge_sort_block_sort_config_selectorIlNS0_10empty_typeEEEZNS1_21merge_sort_block_sortIS3_PlS8_PS5_S9_ZN2at6native12_GLOBAL__N_124unique_dim_cuda_templateIN3c104HalfEEESt5tupleIJNSA_6TensorESH_SH_EERKSH_lbbbEUlllE_EE10hipError_tT0_T1_T2_T3_mRjT4_P12ihipStream_tbNS1_7vsmem_tEEUlT_E_NS1_11comp_targetILNS1_3genE0ELNS1_11target_archE4294967295ELNS1_3gpuE0ELNS1_3repE0EEENS1_30default_config_static_selectorELNS0_4arch9wavefront6targetE0EEEvSO_: ; @_ZN7rocprim17ROCPRIM_400000_NS6detail17trampoline_kernelINS0_14default_configENS1_37merge_sort_block_sort_config_selectorIlNS0_10empty_typeEEEZNS1_21merge_sort_block_sortIS3_PlS8_PS5_S9_ZN2at6native12_GLOBAL__N_124unique_dim_cuda_templateIN3c104HalfEEESt5tupleIJNSA_6TensorESH_SH_EERKSH_lbbbEUlllE_EE10hipError_tT0_T1_T2_T3_mRjT4_P12ihipStream_tbNS1_7vsmem_tEEUlT_E_NS1_11comp_targetILNS1_3genE0ELNS1_11target_archE4294967295ELNS1_3gpuE0ELNS1_3repE0EEENS1_30default_config_static_selectorELNS0_4arch9wavefront6targetE0EEEvSO_
; %bb.0:
	.section	.rodata,"a",@progbits
	.p2align	6, 0x0
	.amdhsa_kernel _ZN7rocprim17ROCPRIM_400000_NS6detail17trampoline_kernelINS0_14default_configENS1_37merge_sort_block_sort_config_selectorIlNS0_10empty_typeEEEZNS1_21merge_sort_block_sortIS3_PlS8_PS5_S9_ZN2at6native12_GLOBAL__N_124unique_dim_cuda_templateIN3c104HalfEEESt5tupleIJNSA_6TensorESH_SH_EERKSH_lbbbEUlllE_EE10hipError_tT0_T1_T2_T3_mRjT4_P12ihipStream_tbNS1_7vsmem_tEEUlT_E_NS1_11comp_targetILNS1_3genE0ELNS1_11target_archE4294967295ELNS1_3gpuE0ELNS1_3repE0EEENS1_30default_config_static_selectorELNS0_4arch9wavefront6targetE0EEEvSO_
		.amdhsa_group_segment_fixed_size 0
		.amdhsa_private_segment_fixed_size 0
		.amdhsa_kernarg_size 72
		.amdhsa_user_sgpr_count 15
		.amdhsa_user_sgpr_dispatch_ptr 0
		.amdhsa_user_sgpr_queue_ptr 0
		.amdhsa_user_sgpr_kernarg_segment_ptr 1
		.amdhsa_user_sgpr_dispatch_id 0
		.amdhsa_user_sgpr_private_segment_size 0
		.amdhsa_wavefront_size32 1
		.amdhsa_uses_dynamic_stack 0
		.amdhsa_enable_private_segment 0
		.amdhsa_system_sgpr_workgroup_id_x 1
		.amdhsa_system_sgpr_workgroup_id_y 0
		.amdhsa_system_sgpr_workgroup_id_z 0
		.amdhsa_system_sgpr_workgroup_info 0
		.amdhsa_system_vgpr_workitem_id 0
		.amdhsa_next_free_vgpr 1
		.amdhsa_next_free_sgpr 1
		.amdhsa_reserve_vcc 0
		.amdhsa_float_round_mode_32 0
		.amdhsa_float_round_mode_16_64 0
		.amdhsa_float_denorm_mode_32 3
		.amdhsa_float_denorm_mode_16_64 3
		.amdhsa_dx10_clamp 1
		.amdhsa_ieee_mode 1
		.amdhsa_fp16_overflow 0
		.amdhsa_workgroup_processor_mode 1
		.amdhsa_memory_ordered 1
		.amdhsa_forward_progress 0
		.amdhsa_shared_vgpr_count 0
		.amdhsa_exception_fp_ieee_invalid_op 0
		.amdhsa_exception_fp_denorm_src 0
		.amdhsa_exception_fp_ieee_div_zero 0
		.amdhsa_exception_fp_ieee_overflow 0
		.amdhsa_exception_fp_ieee_underflow 0
		.amdhsa_exception_fp_ieee_inexact 0
		.amdhsa_exception_int_div_zero 0
	.end_amdhsa_kernel
	.section	.text._ZN7rocprim17ROCPRIM_400000_NS6detail17trampoline_kernelINS0_14default_configENS1_37merge_sort_block_sort_config_selectorIlNS0_10empty_typeEEEZNS1_21merge_sort_block_sortIS3_PlS8_PS5_S9_ZN2at6native12_GLOBAL__N_124unique_dim_cuda_templateIN3c104HalfEEESt5tupleIJNSA_6TensorESH_SH_EERKSH_lbbbEUlllE_EE10hipError_tT0_T1_T2_T3_mRjT4_P12ihipStream_tbNS1_7vsmem_tEEUlT_E_NS1_11comp_targetILNS1_3genE0ELNS1_11target_archE4294967295ELNS1_3gpuE0ELNS1_3repE0EEENS1_30default_config_static_selectorELNS0_4arch9wavefront6targetE0EEEvSO_,"axG",@progbits,_ZN7rocprim17ROCPRIM_400000_NS6detail17trampoline_kernelINS0_14default_configENS1_37merge_sort_block_sort_config_selectorIlNS0_10empty_typeEEEZNS1_21merge_sort_block_sortIS3_PlS8_PS5_S9_ZN2at6native12_GLOBAL__N_124unique_dim_cuda_templateIN3c104HalfEEESt5tupleIJNSA_6TensorESH_SH_EERKSH_lbbbEUlllE_EE10hipError_tT0_T1_T2_T3_mRjT4_P12ihipStream_tbNS1_7vsmem_tEEUlT_E_NS1_11comp_targetILNS1_3genE0ELNS1_11target_archE4294967295ELNS1_3gpuE0ELNS1_3repE0EEENS1_30default_config_static_selectorELNS0_4arch9wavefront6targetE0EEEvSO_,comdat
.Lfunc_end1237:
	.size	_ZN7rocprim17ROCPRIM_400000_NS6detail17trampoline_kernelINS0_14default_configENS1_37merge_sort_block_sort_config_selectorIlNS0_10empty_typeEEEZNS1_21merge_sort_block_sortIS3_PlS8_PS5_S9_ZN2at6native12_GLOBAL__N_124unique_dim_cuda_templateIN3c104HalfEEESt5tupleIJNSA_6TensorESH_SH_EERKSH_lbbbEUlllE_EE10hipError_tT0_T1_T2_T3_mRjT4_P12ihipStream_tbNS1_7vsmem_tEEUlT_E_NS1_11comp_targetILNS1_3genE0ELNS1_11target_archE4294967295ELNS1_3gpuE0ELNS1_3repE0EEENS1_30default_config_static_selectorELNS0_4arch9wavefront6targetE0EEEvSO_, .Lfunc_end1237-_ZN7rocprim17ROCPRIM_400000_NS6detail17trampoline_kernelINS0_14default_configENS1_37merge_sort_block_sort_config_selectorIlNS0_10empty_typeEEEZNS1_21merge_sort_block_sortIS3_PlS8_PS5_S9_ZN2at6native12_GLOBAL__N_124unique_dim_cuda_templateIN3c104HalfEEESt5tupleIJNSA_6TensorESH_SH_EERKSH_lbbbEUlllE_EE10hipError_tT0_T1_T2_T3_mRjT4_P12ihipStream_tbNS1_7vsmem_tEEUlT_E_NS1_11comp_targetILNS1_3genE0ELNS1_11target_archE4294967295ELNS1_3gpuE0ELNS1_3repE0EEENS1_30default_config_static_selectorELNS0_4arch9wavefront6targetE0EEEvSO_
                                        ; -- End function
	.section	.AMDGPU.csdata,"",@progbits
; Kernel info:
; codeLenInByte = 0
; NumSgprs: 0
; NumVgprs: 0
; ScratchSize: 0
; MemoryBound: 0
; FloatMode: 240
; IeeeMode: 1
; LDSByteSize: 0 bytes/workgroup (compile time only)
; SGPRBlocks: 0
; VGPRBlocks: 0
; NumSGPRsForWavesPerEU: 1
; NumVGPRsForWavesPerEU: 1
; Occupancy: 16
; WaveLimiterHint : 0
; COMPUTE_PGM_RSRC2:SCRATCH_EN: 0
; COMPUTE_PGM_RSRC2:USER_SGPR: 15
; COMPUTE_PGM_RSRC2:TRAP_HANDLER: 0
; COMPUTE_PGM_RSRC2:TGID_X_EN: 1
; COMPUTE_PGM_RSRC2:TGID_Y_EN: 0
; COMPUTE_PGM_RSRC2:TGID_Z_EN: 0
; COMPUTE_PGM_RSRC2:TIDIG_COMP_CNT: 0
	.section	.text._ZN7rocprim17ROCPRIM_400000_NS6detail17trampoline_kernelINS0_14default_configENS1_37merge_sort_block_sort_config_selectorIlNS0_10empty_typeEEEZNS1_21merge_sort_block_sortIS3_PlS8_PS5_S9_ZN2at6native12_GLOBAL__N_124unique_dim_cuda_templateIN3c104HalfEEESt5tupleIJNSA_6TensorESH_SH_EERKSH_lbbbEUlllE_EE10hipError_tT0_T1_T2_T3_mRjT4_P12ihipStream_tbNS1_7vsmem_tEEUlT_E_NS1_11comp_targetILNS1_3genE5ELNS1_11target_archE942ELNS1_3gpuE9ELNS1_3repE0EEENS1_30default_config_static_selectorELNS0_4arch9wavefront6targetE0EEEvSO_,"axG",@progbits,_ZN7rocprim17ROCPRIM_400000_NS6detail17trampoline_kernelINS0_14default_configENS1_37merge_sort_block_sort_config_selectorIlNS0_10empty_typeEEEZNS1_21merge_sort_block_sortIS3_PlS8_PS5_S9_ZN2at6native12_GLOBAL__N_124unique_dim_cuda_templateIN3c104HalfEEESt5tupleIJNSA_6TensorESH_SH_EERKSH_lbbbEUlllE_EE10hipError_tT0_T1_T2_T3_mRjT4_P12ihipStream_tbNS1_7vsmem_tEEUlT_E_NS1_11comp_targetILNS1_3genE5ELNS1_11target_archE942ELNS1_3gpuE9ELNS1_3repE0EEENS1_30default_config_static_selectorELNS0_4arch9wavefront6targetE0EEEvSO_,comdat
	.globl	_ZN7rocprim17ROCPRIM_400000_NS6detail17trampoline_kernelINS0_14default_configENS1_37merge_sort_block_sort_config_selectorIlNS0_10empty_typeEEEZNS1_21merge_sort_block_sortIS3_PlS8_PS5_S9_ZN2at6native12_GLOBAL__N_124unique_dim_cuda_templateIN3c104HalfEEESt5tupleIJNSA_6TensorESH_SH_EERKSH_lbbbEUlllE_EE10hipError_tT0_T1_T2_T3_mRjT4_P12ihipStream_tbNS1_7vsmem_tEEUlT_E_NS1_11comp_targetILNS1_3genE5ELNS1_11target_archE942ELNS1_3gpuE9ELNS1_3repE0EEENS1_30default_config_static_selectorELNS0_4arch9wavefront6targetE0EEEvSO_ ; -- Begin function _ZN7rocprim17ROCPRIM_400000_NS6detail17trampoline_kernelINS0_14default_configENS1_37merge_sort_block_sort_config_selectorIlNS0_10empty_typeEEEZNS1_21merge_sort_block_sortIS3_PlS8_PS5_S9_ZN2at6native12_GLOBAL__N_124unique_dim_cuda_templateIN3c104HalfEEESt5tupleIJNSA_6TensorESH_SH_EERKSH_lbbbEUlllE_EE10hipError_tT0_T1_T2_T3_mRjT4_P12ihipStream_tbNS1_7vsmem_tEEUlT_E_NS1_11comp_targetILNS1_3genE5ELNS1_11target_archE942ELNS1_3gpuE9ELNS1_3repE0EEENS1_30default_config_static_selectorELNS0_4arch9wavefront6targetE0EEEvSO_
	.p2align	8
	.type	_ZN7rocprim17ROCPRIM_400000_NS6detail17trampoline_kernelINS0_14default_configENS1_37merge_sort_block_sort_config_selectorIlNS0_10empty_typeEEEZNS1_21merge_sort_block_sortIS3_PlS8_PS5_S9_ZN2at6native12_GLOBAL__N_124unique_dim_cuda_templateIN3c104HalfEEESt5tupleIJNSA_6TensorESH_SH_EERKSH_lbbbEUlllE_EE10hipError_tT0_T1_T2_T3_mRjT4_P12ihipStream_tbNS1_7vsmem_tEEUlT_E_NS1_11comp_targetILNS1_3genE5ELNS1_11target_archE942ELNS1_3gpuE9ELNS1_3repE0EEENS1_30default_config_static_selectorELNS0_4arch9wavefront6targetE0EEEvSO_,@function
_ZN7rocprim17ROCPRIM_400000_NS6detail17trampoline_kernelINS0_14default_configENS1_37merge_sort_block_sort_config_selectorIlNS0_10empty_typeEEEZNS1_21merge_sort_block_sortIS3_PlS8_PS5_S9_ZN2at6native12_GLOBAL__N_124unique_dim_cuda_templateIN3c104HalfEEESt5tupleIJNSA_6TensorESH_SH_EERKSH_lbbbEUlllE_EE10hipError_tT0_T1_T2_T3_mRjT4_P12ihipStream_tbNS1_7vsmem_tEEUlT_E_NS1_11comp_targetILNS1_3genE5ELNS1_11target_archE942ELNS1_3gpuE9ELNS1_3repE0EEENS1_30default_config_static_selectorELNS0_4arch9wavefront6targetE0EEEvSO_: ; @_ZN7rocprim17ROCPRIM_400000_NS6detail17trampoline_kernelINS0_14default_configENS1_37merge_sort_block_sort_config_selectorIlNS0_10empty_typeEEEZNS1_21merge_sort_block_sortIS3_PlS8_PS5_S9_ZN2at6native12_GLOBAL__N_124unique_dim_cuda_templateIN3c104HalfEEESt5tupleIJNSA_6TensorESH_SH_EERKSH_lbbbEUlllE_EE10hipError_tT0_T1_T2_T3_mRjT4_P12ihipStream_tbNS1_7vsmem_tEEUlT_E_NS1_11comp_targetILNS1_3genE5ELNS1_11target_archE942ELNS1_3gpuE9ELNS1_3repE0EEENS1_30default_config_static_selectorELNS0_4arch9wavefront6targetE0EEEvSO_
; %bb.0:
	.section	.rodata,"a",@progbits
	.p2align	6, 0x0
	.amdhsa_kernel _ZN7rocprim17ROCPRIM_400000_NS6detail17trampoline_kernelINS0_14default_configENS1_37merge_sort_block_sort_config_selectorIlNS0_10empty_typeEEEZNS1_21merge_sort_block_sortIS3_PlS8_PS5_S9_ZN2at6native12_GLOBAL__N_124unique_dim_cuda_templateIN3c104HalfEEESt5tupleIJNSA_6TensorESH_SH_EERKSH_lbbbEUlllE_EE10hipError_tT0_T1_T2_T3_mRjT4_P12ihipStream_tbNS1_7vsmem_tEEUlT_E_NS1_11comp_targetILNS1_3genE5ELNS1_11target_archE942ELNS1_3gpuE9ELNS1_3repE0EEENS1_30default_config_static_selectorELNS0_4arch9wavefront6targetE0EEEvSO_
		.amdhsa_group_segment_fixed_size 0
		.amdhsa_private_segment_fixed_size 0
		.amdhsa_kernarg_size 72
		.amdhsa_user_sgpr_count 15
		.amdhsa_user_sgpr_dispatch_ptr 0
		.amdhsa_user_sgpr_queue_ptr 0
		.amdhsa_user_sgpr_kernarg_segment_ptr 1
		.amdhsa_user_sgpr_dispatch_id 0
		.amdhsa_user_sgpr_private_segment_size 0
		.amdhsa_wavefront_size32 1
		.amdhsa_uses_dynamic_stack 0
		.amdhsa_enable_private_segment 0
		.amdhsa_system_sgpr_workgroup_id_x 1
		.amdhsa_system_sgpr_workgroup_id_y 0
		.amdhsa_system_sgpr_workgroup_id_z 0
		.amdhsa_system_sgpr_workgroup_info 0
		.amdhsa_system_vgpr_workitem_id 0
		.amdhsa_next_free_vgpr 1
		.amdhsa_next_free_sgpr 1
		.amdhsa_reserve_vcc 0
		.amdhsa_float_round_mode_32 0
		.amdhsa_float_round_mode_16_64 0
		.amdhsa_float_denorm_mode_32 3
		.amdhsa_float_denorm_mode_16_64 3
		.amdhsa_dx10_clamp 1
		.amdhsa_ieee_mode 1
		.amdhsa_fp16_overflow 0
		.amdhsa_workgroup_processor_mode 1
		.amdhsa_memory_ordered 1
		.amdhsa_forward_progress 0
		.amdhsa_shared_vgpr_count 0
		.amdhsa_exception_fp_ieee_invalid_op 0
		.amdhsa_exception_fp_denorm_src 0
		.amdhsa_exception_fp_ieee_div_zero 0
		.amdhsa_exception_fp_ieee_overflow 0
		.amdhsa_exception_fp_ieee_underflow 0
		.amdhsa_exception_fp_ieee_inexact 0
		.amdhsa_exception_int_div_zero 0
	.end_amdhsa_kernel
	.section	.text._ZN7rocprim17ROCPRIM_400000_NS6detail17trampoline_kernelINS0_14default_configENS1_37merge_sort_block_sort_config_selectorIlNS0_10empty_typeEEEZNS1_21merge_sort_block_sortIS3_PlS8_PS5_S9_ZN2at6native12_GLOBAL__N_124unique_dim_cuda_templateIN3c104HalfEEESt5tupleIJNSA_6TensorESH_SH_EERKSH_lbbbEUlllE_EE10hipError_tT0_T1_T2_T3_mRjT4_P12ihipStream_tbNS1_7vsmem_tEEUlT_E_NS1_11comp_targetILNS1_3genE5ELNS1_11target_archE942ELNS1_3gpuE9ELNS1_3repE0EEENS1_30default_config_static_selectorELNS0_4arch9wavefront6targetE0EEEvSO_,"axG",@progbits,_ZN7rocprim17ROCPRIM_400000_NS6detail17trampoline_kernelINS0_14default_configENS1_37merge_sort_block_sort_config_selectorIlNS0_10empty_typeEEEZNS1_21merge_sort_block_sortIS3_PlS8_PS5_S9_ZN2at6native12_GLOBAL__N_124unique_dim_cuda_templateIN3c104HalfEEESt5tupleIJNSA_6TensorESH_SH_EERKSH_lbbbEUlllE_EE10hipError_tT0_T1_T2_T3_mRjT4_P12ihipStream_tbNS1_7vsmem_tEEUlT_E_NS1_11comp_targetILNS1_3genE5ELNS1_11target_archE942ELNS1_3gpuE9ELNS1_3repE0EEENS1_30default_config_static_selectorELNS0_4arch9wavefront6targetE0EEEvSO_,comdat
.Lfunc_end1238:
	.size	_ZN7rocprim17ROCPRIM_400000_NS6detail17trampoline_kernelINS0_14default_configENS1_37merge_sort_block_sort_config_selectorIlNS0_10empty_typeEEEZNS1_21merge_sort_block_sortIS3_PlS8_PS5_S9_ZN2at6native12_GLOBAL__N_124unique_dim_cuda_templateIN3c104HalfEEESt5tupleIJNSA_6TensorESH_SH_EERKSH_lbbbEUlllE_EE10hipError_tT0_T1_T2_T3_mRjT4_P12ihipStream_tbNS1_7vsmem_tEEUlT_E_NS1_11comp_targetILNS1_3genE5ELNS1_11target_archE942ELNS1_3gpuE9ELNS1_3repE0EEENS1_30default_config_static_selectorELNS0_4arch9wavefront6targetE0EEEvSO_, .Lfunc_end1238-_ZN7rocprim17ROCPRIM_400000_NS6detail17trampoline_kernelINS0_14default_configENS1_37merge_sort_block_sort_config_selectorIlNS0_10empty_typeEEEZNS1_21merge_sort_block_sortIS3_PlS8_PS5_S9_ZN2at6native12_GLOBAL__N_124unique_dim_cuda_templateIN3c104HalfEEESt5tupleIJNSA_6TensorESH_SH_EERKSH_lbbbEUlllE_EE10hipError_tT0_T1_T2_T3_mRjT4_P12ihipStream_tbNS1_7vsmem_tEEUlT_E_NS1_11comp_targetILNS1_3genE5ELNS1_11target_archE942ELNS1_3gpuE9ELNS1_3repE0EEENS1_30default_config_static_selectorELNS0_4arch9wavefront6targetE0EEEvSO_
                                        ; -- End function
	.section	.AMDGPU.csdata,"",@progbits
; Kernel info:
; codeLenInByte = 0
; NumSgprs: 0
; NumVgprs: 0
; ScratchSize: 0
; MemoryBound: 0
; FloatMode: 240
; IeeeMode: 1
; LDSByteSize: 0 bytes/workgroup (compile time only)
; SGPRBlocks: 0
; VGPRBlocks: 0
; NumSGPRsForWavesPerEU: 1
; NumVGPRsForWavesPerEU: 1
; Occupancy: 16
; WaveLimiterHint : 0
; COMPUTE_PGM_RSRC2:SCRATCH_EN: 0
; COMPUTE_PGM_RSRC2:USER_SGPR: 15
; COMPUTE_PGM_RSRC2:TRAP_HANDLER: 0
; COMPUTE_PGM_RSRC2:TGID_X_EN: 1
; COMPUTE_PGM_RSRC2:TGID_Y_EN: 0
; COMPUTE_PGM_RSRC2:TGID_Z_EN: 0
; COMPUTE_PGM_RSRC2:TIDIG_COMP_CNT: 0
	.section	.text._ZN7rocprim17ROCPRIM_400000_NS6detail17trampoline_kernelINS0_14default_configENS1_37merge_sort_block_sort_config_selectorIlNS0_10empty_typeEEEZNS1_21merge_sort_block_sortIS3_PlS8_PS5_S9_ZN2at6native12_GLOBAL__N_124unique_dim_cuda_templateIN3c104HalfEEESt5tupleIJNSA_6TensorESH_SH_EERKSH_lbbbEUlllE_EE10hipError_tT0_T1_T2_T3_mRjT4_P12ihipStream_tbNS1_7vsmem_tEEUlT_E_NS1_11comp_targetILNS1_3genE4ELNS1_11target_archE910ELNS1_3gpuE8ELNS1_3repE0EEENS1_30default_config_static_selectorELNS0_4arch9wavefront6targetE0EEEvSO_,"axG",@progbits,_ZN7rocprim17ROCPRIM_400000_NS6detail17trampoline_kernelINS0_14default_configENS1_37merge_sort_block_sort_config_selectorIlNS0_10empty_typeEEEZNS1_21merge_sort_block_sortIS3_PlS8_PS5_S9_ZN2at6native12_GLOBAL__N_124unique_dim_cuda_templateIN3c104HalfEEESt5tupleIJNSA_6TensorESH_SH_EERKSH_lbbbEUlllE_EE10hipError_tT0_T1_T2_T3_mRjT4_P12ihipStream_tbNS1_7vsmem_tEEUlT_E_NS1_11comp_targetILNS1_3genE4ELNS1_11target_archE910ELNS1_3gpuE8ELNS1_3repE0EEENS1_30default_config_static_selectorELNS0_4arch9wavefront6targetE0EEEvSO_,comdat
	.globl	_ZN7rocprim17ROCPRIM_400000_NS6detail17trampoline_kernelINS0_14default_configENS1_37merge_sort_block_sort_config_selectorIlNS0_10empty_typeEEEZNS1_21merge_sort_block_sortIS3_PlS8_PS5_S9_ZN2at6native12_GLOBAL__N_124unique_dim_cuda_templateIN3c104HalfEEESt5tupleIJNSA_6TensorESH_SH_EERKSH_lbbbEUlllE_EE10hipError_tT0_T1_T2_T3_mRjT4_P12ihipStream_tbNS1_7vsmem_tEEUlT_E_NS1_11comp_targetILNS1_3genE4ELNS1_11target_archE910ELNS1_3gpuE8ELNS1_3repE0EEENS1_30default_config_static_selectorELNS0_4arch9wavefront6targetE0EEEvSO_ ; -- Begin function _ZN7rocprim17ROCPRIM_400000_NS6detail17trampoline_kernelINS0_14default_configENS1_37merge_sort_block_sort_config_selectorIlNS0_10empty_typeEEEZNS1_21merge_sort_block_sortIS3_PlS8_PS5_S9_ZN2at6native12_GLOBAL__N_124unique_dim_cuda_templateIN3c104HalfEEESt5tupleIJNSA_6TensorESH_SH_EERKSH_lbbbEUlllE_EE10hipError_tT0_T1_T2_T3_mRjT4_P12ihipStream_tbNS1_7vsmem_tEEUlT_E_NS1_11comp_targetILNS1_3genE4ELNS1_11target_archE910ELNS1_3gpuE8ELNS1_3repE0EEENS1_30default_config_static_selectorELNS0_4arch9wavefront6targetE0EEEvSO_
	.p2align	8
	.type	_ZN7rocprim17ROCPRIM_400000_NS6detail17trampoline_kernelINS0_14default_configENS1_37merge_sort_block_sort_config_selectorIlNS0_10empty_typeEEEZNS1_21merge_sort_block_sortIS3_PlS8_PS5_S9_ZN2at6native12_GLOBAL__N_124unique_dim_cuda_templateIN3c104HalfEEESt5tupleIJNSA_6TensorESH_SH_EERKSH_lbbbEUlllE_EE10hipError_tT0_T1_T2_T3_mRjT4_P12ihipStream_tbNS1_7vsmem_tEEUlT_E_NS1_11comp_targetILNS1_3genE4ELNS1_11target_archE910ELNS1_3gpuE8ELNS1_3repE0EEENS1_30default_config_static_selectorELNS0_4arch9wavefront6targetE0EEEvSO_,@function
_ZN7rocprim17ROCPRIM_400000_NS6detail17trampoline_kernelINS0_14default_configENS1_37merge_sort_block_sort_config_selectorIlNS0_10empty_typeEEEZNS1_21merge_sort_block_sortIS3_PlS8_PS5_S9_ZN2at6native12_GLOBAL__N_124unique_dim_cuda_templateIN3c104HalfEEESt5tupleIJNSA_6TensorESH_SH_EERKSH_lbbbEUlllE_EE10hipError_tT0_T1_T2_T3_mRjT4_P12ihipStream_tbNS1_7vsmem_tEEUlT_E_NS1_11comp_targetILNS1_3genE4ELNS1_11target_archE910ELNS1_3gpuE8ELNS1_3repE0EEENS1_30default_config_static_selectorELNS0_4arch9wavefront6targetE0EEEvSO_: ; @_ZN7rocprim17ROCPRIM_400000_NS6detail17trampoline_kernelINS0_14default_configENS1_37merge_sort_block_sort_config_selectorIlNS0_10empty_typeEEEZNS1_21merge_sort_block_sortIS3_PlS8_PS5_S9_ZN2at6native12_GLOBAL__N_124unique_dim_cuda_templateIN3c104HalfEEESt5tupleIJNSA_6TensorESH_SH_EERKSH_lbbbEUlllE_EE10hipError_tT0_T1_T2_T3_mRjT4_P12ihipStream_tbNS1_7vsmem_tEEUlT_E_NS1_11comp_targetILNS1_3genE4ELNS1_11target_archE910ELNS1_3gpuE8ELNS1_3repE0EEENS1_30default_config_static_selectorELNS0_4arch9wavefront6targetE0EEEvSO_
; %bb.0:
	.section	.rodata,"a",@progbits
	.p2align	6, 0x0
	.amdhsa_kernel _ZN7rocprim17ROCPRIM_400000_NS6detail17trampoline_kernelINS0_14default_configENS1_37merge_sort_block_sort_config_selectorIlNS0_10empty_typeEEEZNS1_21merge_sort_block_sortIS3_PlS8_PS5_S9_ZN2at6native12_GLOBAL__N_124unique_dim_cuda_templateIN3c104HalfEEESt5tupleIJNSA_6TensorESH_SH_EERKSH_lbbbEUlllE_EE10hipError_tT0_T1_T2_T3_mRjT4_P12ihipStream_tbNS1_7vsmem_tEEUlT_E_NS1_11comp_targetILNS1_3genE4ELNS1_11target_archE910ELNS1_3gpuE8ELNS1_3repE0EEENS1_30default_config_static_selectorELNS0_4arch9wavefront6targetE0EEEvSO_
		.amdhsa_group_segment_fixed_size 0
		.amdhsa_private_segment_fixed_size 0
		.amdhsa_kernarg_size 72
		.amdhsa_user_sgpr_count 15
		.amdhsa_user_sgpr_dispatch_ptr 0
		.amdhsa_user_sgpr_queue_ptr 0
		.amdhsa_user_sgpr_kernarg_segment_ptr 1
		.amdhsa_user_sgpr_dispatch_id 0
		.amdhsa_user_sgpr_private_segment_size 0
		.amdhsa_wavefront_size32 1
		.amdhsa_uses_dynamic_stack 0
		.amdhsa_enable_private_segment 0
		.amdhsa_system_sgpr_workgroup_id_x 1
		.amdhsa_system_sgpr_workgroup_id_y 0
		.amdhsa_system_sgpr_workgroup_id_z 0
		.amdhsa_system_sgpr_workgroup_info 0
		.amdhsa_system_vgpr_workitem_id 0
		.amdhsa_next_free_vgpr 1
		.amdhsa_next_free_sgpr 1
		.amdhsa_reserve_vcc 0
		.amdhsa_float_round_mode_32 0
		.amdhsa_float_round_mode_16_64 0
		.amdhsa_float_denorm_mode_32 3
		.amdhsa_float_denorm_mode_16_64 3
		.amdhsa_dx10_clamp 1
		.amdhsa_ieee_mode 1
		.amdhsa_fp16_overflow 0
		.amdhsa_workgroup_processor_mode 1
		.amdhsa_memory_ordered 1
		.amdhsa_forward_progress 0
		.amdhsa_shared_vgpr_count 0
		.amdhsa_exception_fp_ieee_invalid_op 0
		.amdhsa_exception_fp_denorm_src 0
		.amdhsa_exception_fp_ieee_div_zero 0
		.amdhsa_exception_fp_ieee_overflow 0
		.amdhsa_exception_fp_ieee_underflow 0
		.amdhsa_exception_fp_ieee_inexact 0
		.amdhsa_exception_int_div_zero 0
	.end_amdhsa_kernel
	.section	.text._ZN7rocprim17ROCPRIM_400000_NS6detail17trampoline_kernelINS0_14default_configENS1_37merge_sort_block_sort_config_selectorIlNS0_10empty_typeEEEZNS1_21merge_sort_block_sortIS3_PlS8_PS5_S9_ZN2at6native12_GLOBAL__N_124unique_dim_cuda_templateIN3c104HalfEEESt5tupleIJNSA_6TensorESH_SH_EERKSH_lbbbEUlllE_EE10hipError_tT0_T1_T2_T3_mRjT4_P12ihipStream_tbNS1_7vsmem_tEEUlT_E_NS1_11comp_targetILNS1_3genE4ELNS1_11target_archE910ELNS1_3gpuE8ELNS1_3repE0EEENS1_30default_config_static_selectorELNS0_4arch9wavefront6targetE0EEEvSO_,"axG",@progbits,_ZN7rocprim17ROCPRIM_400000_NS6detail17trampoline_kernelINS0_14default_configENS1_37merge_sort_block_sort_config_selectorIlNS0_10empty_typeEEEZNS1_21merge_sort_block_sortIS3_PlS8_PS5_S9_ZN2at6native12_GLOBAL__N_124unique_dim_cuda_templateIN3c104HalfEEESt5tupleIJNSA_6TensorESH_SH_EERKSH_lbbbEUlllE_EE10hipError_tT0_T1_T2_T3_mRjT4_P12ihipStream_tbNS1_7vsmem_tEEUlT_E_NS1_11comp_targetILNS1_3genE4ELNS1_11target_archE910ELNS1_3gpuE8ELNS1_3repE0EEENS1_30default_config_static_selectorELNS0_4arch9wavefront6targetE0EEEvSO_,comdat
.Lfunc_end1239:
	.size	_ZN7rocprim17ROCPRIM_400000_NS6detail17trampoline_kernelINS0_14default_configENS1_37merge_sort_block_sort_config_selectorIlNS0_10empty_typeEEEZNS1_21merge_sort_block_sortIS3_PlS8_PS5_S9_ZN2at6native12_GLOBAL__N_124unique_dim_cuda_templateIN3c104HalfEEESt5tupleIJNSA_6TensorESH_SH_EERKSH_lbbbEUlllE_EE10hipError_tT0_T1_T2_T3_mRjT4_P12ihipStream_tbNS1_7vsmem_tEEUlT_E_NS1_11comp_targetILNS1_3genE4ELNS1_11target_archE910ELNS1_3gpuE8ELNS1_3repE0EEENS1_30default_config_static_selectorELNS0_4arch9wavefront6targetE0EEEvSO_, .Lfunc_end1239-_ZN7rocprim17ROCPRIM_400000_NS6detail17trampoline_kernelINS0_14default_configENS1_37merge_sort_block_sort_config_selectorIlNS0_10empty_typeEEEZNS1_21merge_sort_block_sortIS3_PlS8_PS5_S9_ZN2at6native12_GLOBAL__N_124unique_dim_cuda_templateIN3c104HalfEEESt5tupleIJNSA_6TensorESH_SH_EERKSH_lbbbEUlllE_EE10hipError_tT0_T1_T2_T3_mRjT4_P12ihipStream_tbNS1_7vsmem_tEEUlT_E_NS1_11comp_targetILNS1_3genE4ELNS1_11target_archE910ELNS1_3gpuE8ELNS1_3repE0EEENS1_30default_config_static_selectorELNS0_4arch9wavefront6targetE0EEEvSO_
                                        ; -- End function
	.section	.AMDGPU.csdata,"",@progbits
; Kernel info:
; codeLenInByte = 0
; NumSgprs: 0
; NumVgprs: 0
; ScratchSize: 0
; MemoryBound: 0
; FloatMode: 240
; IeeeMode: 1
; LDSByteSize: 0 bytes/workgroup (compile time only)
; SGPRBlocks: 0
; VGPRBlocks: 0
; NumSGPRsForWavesPerEU: 1
; NumVGPRsForWavesPerEU: 1
; Occupancy: 16
; WaveLimiterHint : 0
; COMPUTE_PGM_RSRC2:SCRATCH_EN: 0
; COMPUTE_PGM_RSRC2:USER_SGPR: 15
; COMPUTE_PGM_RSRC2:TRAP_HANDLER: 0
; COMPUTE_PGM_RSRC2:TGID_X_EN: 1
; COMPUTE_PGM_RSRC2:TGID_Y_EN: 0
; COMPUTE_PGM_RSRC2:TGID_Z_EN: 0
; COMPUTE_PGM_RSRC2:TIDIG_COMP_CNT: 0
	.section	.text._ZN7rocprim17ROCPRIM_400000_NS6detail17trampoline_kernelINS0_14default_configENS1_37merge_sort_block_sort_config_selectorIlNS0_10empty_typeEEEZNS1_21merge_sort_block_sortIS3_PlS8_PS5_S9_ZN2at6native12_GLOBAL__N_124unique_dim_cuda_templateIN3c104HalfEEESt5tupleIJNSA_6TensorESH_SH_EERKSH_lbbbEUlllE_EE10hipError_tT0_T1_T2_T3_mRjT4_P12ihipStream_tbNS1_7vsmem_tEEUlT_E_NS1_11comp_targetILNS1_3genE3ELNS1_11target_archE908ELNS1_3gpuE7ELNS1_3repE0EEENS1_30default_config_static_selectorELNS0_4arch9wavefront6targetE0EEEvSO_,"axG",@progbits,_ZN7rocprim17ROCPRIM_400000_NS6detail17trampoline_kernelINS0_14default_configENS1_37merge_sort_block_sort_config_selectorIlNS0_10empty_typeEEEZNS1_21merge_sort_block_sortIS3_PlS8_PS5_S9_ZN2at6native12_GLOBAL__N_124unique_dim_cuda_templateIN3c104HalfEEESt5tupleIJNSA_6TensorESH_SH_EERKSH_lbbbEUlllE_EE10hipError_tT0_T1_T2_T3_mRjT4_P12ihipStream_tbNS1_7vsmem_tEEUlT_E_NS1_11comp_targetILNS1_3genE3ELNS1_11target_archE908ELNS1_3gpuE7ELNS1_3repE0EEENS1_30default_config_static_selectorELNS0_4arch9wavefront6targetE0EEEvSO_,comdat
	.globl	_ZN7rocprim17ROCPRIM_400000_NS6detail17trampoline_kernelINS0_14default_configENS1_37merge_sort_block_sort_config_selectorIlNS0_10empty_typeEEEZNS1_21merge_sort_block_sortIS3_PlS8_PS5_S9_ZN2at6native12_GLOBAL__N_124unique_dim_cuda_templateIN3c104HalfEEESt5tupleIJNSA_6TensorESH_SH_EERKSH_lbbbEUlllE_EE10hipError_tT0_T1_T2_T3_mRjT4_P12ihipStream_tbNS1_7vsmem_tEEUlT_E_NS1_11comp_targetILNS1_3genE3ELNS1_11target_archE908ELNS1_3gpuE7ELNS1_3repE0EEENS1_30default_config_static_selectorELNS0_4arch9wavefront6targetE0EEEvSO_ ; -- Begin function _ZN7rocprim17ROCPRIM_400000_NS6detail17trampoline_kernelINS0_14default_configENS1_37merge_sort_block_sort_config_selectorIlNS0_10empty_typeEEEZNS1_21merge_sort_block_sortIS3_PlS8_PS5_S9_ZN2at6native12_GLOBAL__N_124unique_dim_cuda_templateIN3c104HalfEEESt5tupleIJNSA_6TensorESH_SH_EERKSH_lbbbEUlllE_EE10hipError_tT0_T1_T2_T3_mRjT4_P12ihipStream_tbNS1_7vsmem_tEEUlT_E_NS1_11comp_targetILNS1_3genE3ELNS1_11target_archE908ELNS1_3gpuE7ELNS1_3repE0EEENS1_30default_config_static_selectorELNS0_4arch9wavefront6targetE0EEEvSO_
	.p2align	8
	.type	_ZN7rocprim17ROCPRIM_400000_NS6detail17trampoline_kernelINS0_14default_configENS1_37merge_sort_block_sort_config_selectorIlNS0_10empty_typeEEEZNS1_21merge_sort_block_sortIS3_PlS8_PS5_S9_ZN2at6native12_GLOBAL__N_124unique_dim_cuda_templateIN3c104HalfEEESt5tupleIJNSA_6TensorESH_SH_EERKSH_lbbbEUlllE_EE10hipError_tT0_T1_T2_T3_mRjT4_P12ihipStream_tbNS1_7vsmem_tEEUlT_E_NS1_11comp_targetILNS1_3genE3ELNS1_11target_archE908ELNS1_3gpuE7ELNS1_3repE0EEENS1_30default_config_static_selectorELNS0_4arch9wavefront6targetE0EEEvSO_,@function
_ZN7rocprim17ROCPRIM_400000_NS6detail17trampoline_kernelINS0_14default_configENS1_37merge_sort_block_sort_config_selectorIlNS0_10empty_typeEEEZNS1_21merge_sort_block_sortIS3_PlS8_PS5_S9_ZN2at6native12_GLOBAL__N_124unique_dim_cuda_templateIN3c104HalfEEESt5tupleIJNSA_6TensorESH_SH_EERKSH_lbbbEUlllE_EE10hipError_tT0_T1_T2_T3_mRjT4_P12ihipStream_tbNS1_7vsmem_tEEUlT_E_NS1_11comp_targetILNS1_3genE3ELNS1_11target_archE908ELNS1_3gpuE7ELNS1_3repE0EEENS1_30default_config_static_selectorELNS0_4arch9wavefront6targetE0EEEvSO_: ; @_ZN7rocprim17ROCPRIM_400000_NS6detail17trampoline_kernelINS0_14default_configENS1_37merge_sort_block_sort_config_selectorIlNS0_10empty_typeEEEZNS1_21merge_sort_block_sortIS3_PlS8_PS5_S9_ZN2at6native12_GLOBAL__N_124unique_dim_cuda_templateIN3c104HalfEEESt5tupleIJNSA_6TensorESH_SH_EERKSH_lbbbEUlllE_EE10hipError_tT0_T1_T2_T3_mRjT4_P12ihipStream_tbNS1_7vsmem_tEEUlT_E_NS1_11comp_targetILNS1_3genE3ELNS1_11target_archE908ELNS1_3gpuE7ELNS1_3repE0EEENS1_30default_config_static_selectorELNS0_4arch9wavefront6targetE0EEEvSO_
; %bb.0:
	.section	.rodata,"a",@progbits
	.p2align	6, 0x0
	.amdhsa_kernel _ZN7rocprim17ROCPRIM_400000_NS6detail17trampoline_kernelINS0_14default_configENS1_37merge_sort_block_sort_config_selectorIlNS0_10empty_typeEEEZNS1_21merge_sort_block_sortIS3_PlS8_PS5_S9_ZN2at6native12_GLOBAL__N_124unique_dim_cuda_templateIN3c104HalfEEESt5tupleIJNSA_6TensorESH_SH_EERKSH_lbbbEUlllE_EE10hipError_tT0_T1_T2_T3_mRjT4_P12ihipStream_tbNS1_7vsmem_tEEUlT_E_NS1_11comp_targetILNS1_3genE3ELNS1_11target_archE908ELNS1_3gpuE7ELNS1_3repE0EEENS1_30default_config_static_selectorELNS0_4arch9wavefront6targetE0EEEvSO_
		.amdhsa_group_segment_fixed_size 0
		.amdhsa_private_segment_fixed_size 0
		.amdhsa_kernarg_size 72
		.amdhsa_user_sgpr_count 15
		.amdhsa_user_sgpr_dispatch_ptr 0
		.amdhsa_user_sgpr_queue_ptr 0
		.amdhsa_user_sgpr_kernarg_segment_ptr 1
		.amdhsa_user_sgpr_dispatch_id 0
		.amdhsa_user_sgpr_private_segment_size 0
		.amdhsa_wavefront_size32 1
		.amdhsa_uses_dynamic_stack 0
		.amdhsa_enable_private_segment 0
		.amdhsa_system_sgpr_workgroup_id_x 1
		.amdhsa_system_sgpr_workgroup_id_y 0
		.amdhsa_system_sgpr_workgroup_id_z 0
		.amdhsa_system_sgpr_workgroup_info 0
		.amdhsa_system_vgpr_workitem_id 0
		.amdhsa_next_free_vgpr 1
		.amdhsa_next_free_sgpr 1
		.amdhsa_reserve_vcc 0
		.amdhsa_float_round_mode_32 0
		.amdhsa_float_round_mode_16_64 0
		.amdhsa_float_denorm_mode_32 3
		.amdhsa_float_denorm_mode_16_64 3
		.amdhsa_dx10_clamp 1
		.amdhsa_ieee_mode 1
		.amdhsa_fp16_overflow 0
		.amdhsa_workgroup_processor_mode 1
		.amdhsa_memory_ordered 1
		.amdhsa_forward_progress 0
		.amdhsa_shared_vgpr_count 0
		.amdhsa_exception_fp_ieee_invalid_op 0
		.amdhsa_exception_fp_denorm_src 0
		.amdhsa_exception_fp_ieee_div_zero 0
		.amdhsa_exception_fp_ieee_overflow 0
		.amdhsa_exception_fp_ieee_underflow 0
		.amdhsa_exception_fp_ieee_inexact 0
		.amdhsa_exception_int_div_zero 0
	.end_amdhsa_kernel
	.section	.text._ZN7rocprim17ROCPRIM_400000_NS6detail17trampoline_kernelINS0_14default_configENS1_37merge_sort_block_sort_config_selectorIlNS0_10empty_typeEEEZNS1_21merge_sort_block_sortIS3_PlS8_PS5_S9_ZN2at6native12_GLOBAL__N_124unique_dim_cuda_templateIN3c104HalfEEESt5tupleIJNSA_6TensorESH_SH_EERKSH_lbbbEUlllE_EE10hipError_tT0_T1_T2_T3_mRjT4_P12ihipStream_tbNS1_7vsmem_tEEUlT_E_NS1_11comp_targetILNS1_3genE3ELNS1_11target_archE908ELNS1_3gpuE7ELNS1_3repE0EEENS1_30default_config_static_selectorELNS0_4arch9wavefront6targetE0EEEvSO_,"axG",@progbits,_ZN7rocprim17ROCPRIM_400000_NS6detail17trampoline_kernelINS0_14default_configENS1_37merge_sort_block_sort_config_selectorIlNS0_10empty_typeEEEZNS1_21merge_sort_block_sortIS3_PlS8_PS5_S9_ZN2at6native12_GLOBAL__N_124unique_dim_cuda_templateIN3c104HalfEEESt5tupleIJNSA_6TensorESH_SH_EERKSH_lbbbEUlllE_EE10hipError_tT0_T1_T2_T3_mRjT4_P12ihipStream_tbNS1_7vsmem_tEEUlT_E_NS1_11comp_targetILNS1_3genE3ELNS1_11target_archE908ELNS1_3gpuE7ELNS1_3repE0EEENS1_30default_config_static_selectorELNS0_4arch9wavefront6targetE0EEEvSO_,comdat
.Lfunc_end1240:
	.size	_ZN7rocprim17ROCPRIM_400000_NS6detail17trampoline_kernelINS0_14default_configENS1_37merge_sort_block_sort_config_selectorIlNS0_10empty_typeEEEZNS1_21merge_sort_block_sortIS3_PlS8_PS5_S9_ZN2at6native12_GLOBAL__N_124unique_dim_cuda_templateIN3c104HalfEEESt5tupleIJNSA_6TensorESH_SH_EERKSH_lbbbEUlllE_EE10hipError_tT0_T1_T2_T3_mRjT4_P12ihipStream_tbNS1_7vsmem_tEEUlT_E_NS1_11comp_targetILNS1_3genE3ELNS1_11target_archE908ELNS1_3gpuE7ELNS1_3repE0EEENS1_30default_config_static_selectorELNS0_4arch9wavefront6targetE0EEEvSO_, .Lfunc_end1240-_ZN7rocprim17ROCPRIM_400000_NS6detail17trampoline_kernelINS0_14default_configENS1_37merge_sort_block_sort_config_selectorIlNS0_10empty_typeEEEZNS1_21merge_sort_block_sortIS3_PlS8_PS5_S9_ZN2at6native12_GLOBAL__N_124unique_dim_cuda_templateIN3c104HalfEEESt5tupleIJNSA_6TensorESH_SH_EERKSH_lbbbEUlllE_EE10hipError_tT0_T1_T2_T3_mRjT4_P12ihipStream_tbNS1_7vsmem_tEEUlT_E_NS1_11comp_targetILNS1_3genE3ELNS1_11target_archE908ELNS1_3gpuE7ELNS1_3repE0EEENS1_30default_config_static_selectorELNS0_4arch9wavefront6targetE0EEEvSO_
                                        ; -- End function
	.section	.AMDGPU.csdata,"",@progbits
; Kernel info:
; codeLenInByte = 0
; NumSgprs: 0
; NumVgprs: 0
; ScratchSize: 0
; MemoryBound: 0
; FloatMode: 240
; IeeeMode: 1
; LDSByteSize: 0 bytes/workgroup (compile time only)
; SGPRBlocks: 0
; VGPRBlocks: 0
; NumSGPRsForWavesPerEU: 1
; NumVGPRsForWavesPerEU: 1
; Occupancy: 16
; WaveLimiterHint : 0
; COMPUTE_PGM_RSRC2:SCRATCH_EN: 0
; COMPUTE_PGM_RSRC2:USER_SGPR: 15
; COMPUTE_PGM_RSRC2:TRAP_HANDLER: 0
; COMPUTE_PGM_RSRC2:TGID_X_EN: 1
; COMPUTE_PGM_RSRC2:TGID_Y_EN: 0
; COMPUTE_PGM_RSRC2:TGID_Z_EN: 0
; COMPUTE_PGM_RSRC2:TIDIG_COMP_CNT: 0
	.section	.text._ZN7rocprim17ROCPRIM_400000_NS6detail17trampoline_kernelINS0_14default_configENS1_37merge_sort_block_sort_config_selectorIlNS0_10empty_typeEEEZNS1_21merge_sort_block_sortIS3_PlS8_PS5_S9_ZN2at6native12_GLOBAL__N_124unique_dim_cuda_templateIN3c104HalfEEESt5tupleIJNSA_6TensorESH_SH_EERKSH_lbbbEUlllE_EE10hipError_tT0_T1_T2_T3_mRjT4_P12ihipStream_tbNS1_7vsmem_tEEUlT_E_NS1_11comp_targetILNS1_3genE2ELNS1_11target_archE906ELNS1_3gpuE6ELNS1_3repE0EEENS1_30default_config_static_selectorELNS0_4arch9wavefront6targetE0EEEvSO_,"axG",@progbits,_ZN7rocprim17ROCPRIM_400000_NS6detail17trampoline_kernelINS0_14default_configENS1_37merge_sort_block_sort_config_selectorIlNS0_10empty_typeEEEZNS1_21merge_sort_block_sortIS3_PlS8_PS5_S9_ZN2at6native12_GLOBAL__N_124unique_dim_cuda_templateIN3c104HalfEEESt5tupleIJNSA_6TensorESH_SH_EERKSH_lbbbEUlllE_EE10hipError_tT0_T1_T2_T3_mRjT4_P12ihipStream_tbNS1_7vsmem_tEEUlT_E_NS1_11comp_targetILNS1_3genE2ELNS1_11target_archE906ELNS1_3gpuE6ELNS1_3repE0EEENS1_30default_config_static_selectorELNS0_4arch9wavefront6targetE0EEEvSO_,comdat
	.globl	_ZN7rocprim17ROCPRIM_400000_NS6detail17trampoline_kernelINS0_14default_configENS1_37merge_sort_block_sort_config_selectorIlNS0_10empty_typeEEEZNS1_21merge_sort_block_sortIS3_PlS8_PS5_S9_ZN2at6native12_GLOBAL__N_124unique_dim_cuda_templateIN3c104HalfEEESt5tupleIJNSA_6TensorESH_SH_EERKSH_lbbbEUlllE_EE10hipError_tT0_T1_T2_T3_mRjT4_P12ihipStream_tbNS1_7vsmem_tEEUlT_E_NS1_11comp_targetILNS1_3genE2ELNS1_11target_archE906ELNS1_3gpuE6ELNS1_3repE0EEENS1_30default_config_static_selectorELNS0_4arch9wavefront6targetE0EEEvSO_ ; -- Begin function _ZN7rocprim17ROCPRIM_400000_NS6detail17trampoline_kernelINS0_14default_configENS1_37merge_sort_block_sort_config_selectorIlNS0_10empty_typeEEEZNS1_21merge_sort_block_sortIS3_PlS8_PS5_S9_ZN2at6native12_GLOBAL__N_124unique_dim_cuda_templateIN3c104HalfEEESt5tupleIJNSA_6TensorESH_SH_EERKSH_lbbbEUlllE_EE10hipError_tT0_T1_T2_T3_mRjT4_P12ihipStream_tbNS1_7vsmem_tEEUlT_E_NS1_11comp_targetILNS1_3genE2ELNS1_11target_archE906ELNS1_3gpuE6ELNS1_3repE0EEENS1_30default_config_static_selectorELNS0_4arch9wavefront6targetE0EEEvSO_
	.p2align	8
	.type	_ZN7rocprim17ROCPRIM_400000_NS6detail17trampoline_kernelINS0_14default_configENS1_37merge_sort_block_sort_config_selectorIlNS0_10empty_typeEEEZNS1_21merge_sort_block_sortIS3_PlS8_PS5_S9_ZN2at6native12_GLOBAL__N_124unique_dim_cuda_templateIN3c104HalfEEESt5tupleIJNSA_6TensorESH_SH_EERKSH_lbbbEUlllE_EE10hipError_tT0_T1_T2_T3_mRjT4_P12ihipStream_tbNS1_7vsmem_tEEUlT_E_NS1_11comp_targetILNS1_3genE2ELNS1_11target_archE906ELNS1_3gpuE6ELNS1_3repE0EEENS1_30default_config_static_selectorELNS0_4arch9wavefront6targetE0EEEvSO_,@function
_ZN7rocprim17ROCPRIM_400000_NS6detail17trampoline_kernelINS0_14default_configENS1_37merge_sort_block_sort_config_selectorIlNS0_10empty_typeEEEZNS1_21merge_sort_block_sortIS3_PlS8_PS5_S9_ZN2at6native12_GLOBAL__N_124unique_dim_cuda_templateIN3c104HalfEEESt5tupleIJNSA_6TensorESH_SH_EERKSH_lbbbEUlllE_EE10hipError_tT0_T1_T2_T3_mRjT4_P12ihipStream_tbNS1_7vsmem_tEEUlT_E_NS1_11comp_targetILNS1_3genE2ELNS1_11target_archE906ELNS1_3gpuE6ELNS1_3repE0EEENS1_30default_config_static_selectorELNS0_4arch9wavefront6targetE0EEEvSO_: ; @_ZN7rocprim17ROCPRIM_400000_NS6detail17trampoline_kernelINS0_14default_configENS1_37merge_sort_block_sort_config_selectorIlNS0_10empty_typeEEEZNS1_21merge_sort_block_sortIS3_PlS8_PS5_S9_ZN2at6native12_GLOBAL__N_124unique_dim_cuda_templateIN3c104HalfEEESt5tupleIJNSA_6TensorESH_SH_EERKSH_lbbbEUlllE_EE10hipError_tT0_T1_T2_T3_mRjT4_P12ihipStream_tbNS1_7vsmem_tEEUlT_E_NS1_11comp_targetILNS1_3genE2ELNS1_11target_archE906ELNS1_3gpuE6ELNS1_3repE0EEENS1_30default_config_static_selectorELNS0_4arch9wavefront6targetE0EEEvSO_
; %bb.0:
	.section	.rodata,"a",@progbits
	.p2align	6, 0x0
	.amdhsa_kernel _ZN7rocprim17ROCPRIM_400000_NS6detail17trampoline_kernelINS0_14default_configENS1_37merge_sort_block_sort_config_selectorIlNS0_10empty_typeEEEZNS1_21merge_sort_block_sortIS3_PlS8_PS5_S9_ZN2at6native12_GLOBAL__N_124unique_dim_cuda_templateIN3c104HalfEEESt5tupleIJNSA_6TensorESH_SH_EERKSH_lbbbEUlllE_EE10hipError_tT0_T1_T2_T3_mRjT4_P12ihipStream_tbNS1_7vsmem_tEEUlT_E_NS1_11comp_targetILNS1_3genE2ELNS1_11target_archE906ELNS1_3gpuE6ELNS1_3repE0EEENS1_30default_config_static_selectorELNS0_4arch9wavefront6targetE0EEEvSO_
		.amdhsa_group_segment_fixed_size 0
		.amdhsa_private_segment_fixed_size 0
		.amdhsa_kernarg_size 72
		.amdhsa_user_sgpr_count 15
		.amdhsa_user_sgpr_dispatch_ptr 0
		.amdhsa_user_sgpr_queue_ptr 0
		.amdhsa_user_sgpr_kernarg_segment_ptr 1
		.amdhsa_user_sgpr_dispatch_id 0
		.amdhsa_user_sgpr_private_segment_size 0
		.amdhsa_wavefront_size32 1
		.amdhsa_uses_dynamic_stack 0
		.amdhsa_enable_private_segment 0
		.amdhsa_system_sgpr_workgroup_id_x 1
		.amdhsa_system_sgpr_workgroup_id_y 0
		.amdhsa_system_sgpr_workgroup_id_z 0
		.amdhsa_system_sgpr_workgroup_info 0
		.amdhsa_system_vgpr_workitem_id 0
		.amdhsa_next_free_vgpr 1
		.amdhsa_next_free_sgpr 1
		.amdhsa_reserve_vcc 0
		.amdhsa_float_round_mode_32 0
		.amdhsa_float_round_mode_16_64 0
		.amdhsa_float_denorm_mode_32 3
		.amdhsa_float_denorm_mode_16_64 3
		.amdhsa_dx10_clamp 1
		.amdhsa_ieee_mode 1
		.amdhsa_fp16_overflow 0
		.amdhsa_workgroup_processor_mode 1
		.amdhsa_memory_ordered 1
		.amdhsa_forward_progress 0
		.amdhsa_shared_vgpr_count 0
		.amdhsa_exception_fp_ieee_invalid_op 0
		.amdhsa_exception_fp_denorm_src 0
		.amdhsa_exception_fp_ieee_div_zero 0
		.amdhsa_exception_fp_ieee_overflow 0
		.amdhsa_exception_fp_ieee_underflow 0
		.amdhsa_exception_fp_ieee_inexact 0
		.amdhsa_exception_int_div_zero 0
	.end_amdhsa_kernel
	.section	.text._ZN7rocprim17ROCPRIM_400000_NS6detail17trampoline_kernelINS0_14default_configENS1_37merge_sort_block_sort_config_selectorIlNS0_10empty_typeEEEZNS1_21merge_sort_block_sortIS3_PlS8_PS5_S9_ZN2at6native12_GLOBAL__N_124unique_dim_cuda_templateIN3c104HalfEEESt5tupleIJNSA_6TensorESH_SH_EERKSH_lbbbEUlllE_EE10hipError_tT0_T1_T2_T3_mRjT4_P12ihipStream_tbNS1_7vsmem_tEEUlT_E_NS1_11comp_targetILNS1_3genE2ELNS1_11target_archE906ELNS1_3gpuE6ELNS1_3repE0EEENS1_30default_config_static_selectorELNS0_4arch9wavefront6targetE0EEEvSO_,"axG",@progbits,_ZN7rocprim17ROCPRIM_400000_NS6detail17trampoline_kernelINS0_14default_configENS1_37merge_sort_block_sort_config_selectorIlNS0_10empty_typeEEEZNS1_21merge_sort_block_sortIS3_PlS8_PS5_S9_ZN2at6native12_GLOBAL__N_124unique_dim_cuda_templateIN3c104HalfEEESt5tupleIJNSA_6TensorESH_SH_EERKSH_lbbbEUlllE_EE10hipError_tT0_T1_T2_T3_mRjT4_P12ihipStream_tbNS1_7vsmem_tEEUlT_E_NS1_11comp_targetILNS1_3genE2ELNS1_11target_archE906ELNS1_3gpuE6ELNS1_3repE0EEENS1_30default_config_static_selectorELNS0_4arch9wavefront6targetE0EEEvSO_,comdat
.Lfunc_end1241:
	.size	_ZN7rocprim17ROCPRIM_400000_NS6detail17trampoline_kernelINS0_14default_configENS1_37merge_sort_block_sort_config_selectorIlNS0_10empty_typeEEEZNS1_21merge_sort_block_sortIS3_PlS8_PS5_S9_ZN2at6native12_GLOBAL__N_124unique_dim_cuda_templateIN3c104HalfEEESt5tupleIJNSA_6TensorESH_SH_EERKSH_lbbbEUlllE_EE10hipError_tT0_T1_T2_T3_mRjT4_P12ihipStream_tbNS1_7vsmem_tEEUlT_E_NS1_11comp_targetILNS1_3genE2ELNS1_11target_archE906ELNS1_3gpuE6ELNS1_3repE0EEENS1_30default_config_static_selectorELNS0_4arch9wavefront6targetE0EEEvSO_, .Lfunc_end1241-_ZN7rocprim17ROCPRIM_400000_NS6detail17trampoline_kernelINS0_14default_configENS1_37merge_sort_block_sort_config_selectorIlNS0_10empty_typeEEEZNS1_21merge_sort_block_sortIS3_PlS8_PS5_S9_ZN2at6native12_GLOBAL__N_124unique_dim_cuda_templateIN3c104HalfEEESt5tupleIJNSA_6TensorESH_SH_EERKSH_lbbbEUlllE_EE10hipError_tT0_T1_T2_T3_mRjT4_P12ihipStream_tbNS1_7vsmem_tEEUlT_E_NS1_11comp_targetILNS1_3genE2ELNS1_11target_archE906ELNS1_3gpuE6ELNS1_3repE0EEENS1_30default_config_static_selectorELNS0_4arch9wavefront6targetE0EEEvSO_
                                        ; -- End function
	.section	.AMDGPU.csdata,"",@progbits
; Kernel info:
; codeLenInByte = 0
; NumSgprs: 0
; NumVgprs: 0
; ScratchSize: 0
; MemoryBound: 0
; FloatMode: 240
; IeeeMode: 1
; LDSByteSize: 0 bytes/workgroup (compile time only)
; SGPRBlocks: 0
; VGPRBlocks: 0
; NumSGPRsForWavesPerEU: 1
; NumVGPRsForWavesPerEU: 1
; Occupancy: 16
; WaveLimiterHint : 0
; COMPUTE_PGM_RSRC2:SCRATCH_EN: 0
; COMPUTE_PGM_RSRC2:USER_SGPR: 15
; COMPUTE_PGM_RSRC2:TRAP_HANDLER: 0
; COMPUTE_PGM_RSRC2:TGID_X_EN: 1
; COMPUTE_PGM_RSRC2:TGID_Y_EN: 0
; COMPUTE_PGM_RSRC2:TGID_Z_EN: 0
; COMPUTE_PGM_RSRC2:TIDIG_COMP_CNT: 0
	.section	.text._ZN7rocprim17ROCPRIM_400000_NS6detail17trampoline_kernelINS0_14default_configENS1_37merge_sort_block_sort_config_selectorIlNS0_10empty_typeEEEZNS1_21merge_sort_block_sortIS3_PlS8_PS5_S9_ZN2at6native12_GLOBAL__N_124unique_dim_cuda_templateIN3c104HalfEEESt5tupleIJNSA_6TensorESH_SH_EERKSH_lbbbEUlllE_EE10hipError_tT0_T1_T2_T3_mRjT4_P12ihipStream_tbNS1_7vsmem_tEEUlT_E_NS1_11comp_targetILNS1_3genE10ELNS1_11target_archE1201ELNS1_3gpuE5ELNS1_3repE0EEENS1_30default_config_static_selectorELNS0_4arch9wavefront6targetE0EEEvSO_,"axG",@progbits,_ZN7rocprim17ROCPRIM_400000_NS6detail17trampoline_kernelINS0_14default_configENS1_37merge_sort_block_sort_config_selectorIlNS0_10empty_typeEEEZNS1_21merge_sort_block_sortIS3_PlS8_PS5_S9_ZN2at6native12_GLOBAL__N_124unique_dim_cuda_templateIN3c104HalfEEESt5tupleIJNSA_6TensorESH_SH_EERKSH_lbbbEUlllE_EE10hipError_tT0_T1_T2_T3_mRjT4_P12ihipStream_tbNS1_7vsmem_tEEUlT_E_NS1_11comp_targetILNS1_3genE10ELNS1_11target_archE1201ELNS1_3gpuE5ELNS1_3repE0EEENS1_30default_config_static_selectorELNS0_4arch9wavefront6targetE0EEEvSO_,comdat
	.globl	_ZN7rocprim17ROCPRIM_400000_NS6detail17trampoline_kernelINS0_14default_configENS1_37merge_sort_block_sort_config_selectorIlNS0_10empty_typeEEEZNS1_21merge_sort_block_sortIS3_PlS8_PS5_S9_ZN2at6native12_GLOBAL__N_124unique_dim_cuda_templateIN3c104HalfEEESt5tupleIJNSA_6TensorESH_SH_EERKSH_lbbbEUlllE_EE10hipError_tT0_T1_T2_T3_mRjT4_P12ihipStream_tbNS1_7vsmem_tEEUlT_E_NS1_11comp_targetILNS1_3genE10ELNS1_11target_archE1201ELNS1_3gpuE5ELNS1_3repE0EEENS1_30default_config_static_selectorELNS0_4arch9wavefront6targetE0EEEvSO_ ; -- Begin function _ZN7rocprim17ROCPRIM_400000_NS6detail17trampoline_kernelINS0_14default_configENS1_37merge_sort_block_sort_config_selectorIlNS0_10empty_typeEEEZNS1_21merge_sort_block_sortIS3_PlS8_PS5_S9_ZN2at6native12_GLOBAL__N_124unique_dim_cuda_templateIN3c104HalfEEESt5tupleIJNSA_6TensorESH_SH_EERKSH_lbbbEUlllE_EE10hipError_tT0_T1_T2_T3_mRjT4_P12ihipStream_tbNS1_7vsmem_tEEUlT_E_NS1_11comp_targetILNS1_3genE10ELNS1_11target_archE1201ELNS1_3gpuE5ELNS1_3repE0EEENS1_30default_config_static_selectorELNS0_4arch9wavefront6targetE0EEEvSO_
	.p2align	8
	.type	_ZN7rocprim17ROCPRIM_400000_NS6detail17trampoline_kernelINS0_14default_configENS1_37merge_sort_block_sort_config_selectorIlNS0_10empty_typeEEEZNS1_21merge_sort_block_sortIS3_PlS8_PS5_S9_ZN2at6native12_GLOBAL__N_124unique_dim_cuda_templateIN3c104HalfEEESt5tupleIJNSA_6TensorESH_SH_EERKSH_lbbbEUlllE_EE10hipError_tT0_T1_T2_T3_mRjT4_P12ihipStream_tbNS1_7vsmem_tEEUlT_E_NS1_11comp_targetILNS1_3genE10ELNS1_11target_archE1201ELNS1_3gpuE5ELNS1_3repE0EEENS1_30default_config_static_selectorELNS0_4arch9wavefront6targetE0EEEvSO_,@function
_ZN7rocprim17ROCPRIM_400000_NS6detail17trampoline_kernelINS0_14default_configENS1_37merge_sort_block_sort_config_selectorIlNS0_10empty_typeEEEZNS1_21merge_sort_block_sortIS3_PlS8_PS5_S9_ZN2at6native12_GLOBAL__N_124unique_dim_cuda_templateIN3c104HalfEEESt5tupleIJNSA_6TensorESH_SH_EERKSH_lbbbEUlllE_EE10hipError_tT0_T1_T2_T3_mRjT4_P12ihipStream_tbNS1_7vsmem_tEEUlT_E_NS1_11comp_targetILNS1_3genE10ELNS1_11target_archE1201ELNS1_3gpuE5ELNS1_3repE0EEENS1_30default_config_static_selectorELNS0_4arch9wavefront6targetE0EEEvSO_: ; @_ZN7rocprim17ROCPRIM_400000_NS6detail17trampoline_kernelINS0_14default_configENS1_37merge_sort_block_sort_config_selectorIlNS0_10empty_typeEEEZNS1_21merge_sort_block_sortIS3_PlS8_PS5_S9_ZN2at6native12_GLOBAL__N_124unique_dim_cuda_templateIN3c104HalfEEESt5tupleIJNSA_6TensorESH_SH_EERKSH_lbbbEUlllE_EE10hipError_tT0_T1_T2_T3_mRjT4_P12ihipStream_tbNS1_7vsmem_tEEUlT_E_NS1_11comp_targetILNS1_3genE10ELNS1_11target_archE1201ELNS1_3gpuE5ELNS1_3repE0EEENS1_30default_config_static_selectorELNS0_4arch9wavefront6targetE0EEEvSO_
; %bb.0:
	.section	.rodata,"a",@progbits
	.p2align	6, 0x0
	.amdhsa_kernel _ZN7rocprim17ROCPRIM_400000_NS6detail17trampoline_kernelINS0_14default_configENS1_37merge_sort_block_sort_config_selectorIlNS0_10empty_typeEEEZNS1_21merge_sort_block_sortIS3_PlS8_PS5_S9_ZN2at6native12_GLOBAL__N_124unique_dim_cuda_templateIN3c104HalfEEESt5tupleIJNSA_6TensorESH_SH_EERKSH_lbbbEUlllE_EE10hipError_tT0_T1_T2_T3_mRjT4_P12ihipStream_tbNS1_7vsmem_tEEUlT_E_NS1_11comp_targetILNS1_3genE10ELNS1_11target_archE1201ELNS1_3gpuE5ELNS1_3repE0EEENS1_30default_config_static_selectorELNS0_4arch9wavefront6targetE0EEEvSO_
		.amdhsa_group_segment_fixed_size 0
		.amdhsa_private_segment_fixed_size 0
		.amdhsa_kernarg_size 72
		.amdhsa_user_sgpr_count 15
		.amdhsa_user_sgpr_dispatch_ptr 0
		.amdhsa_user_sgpr_queue_ptr 0
		.amdhsa_user_sgpr_kernarg_segment_ptr 1
		.amdhsa_user_sgpr_dispatch_id 0
		.amdhsa_user_sgpr_private_segment_size 0
		.amdhsa_wavefront_size32 1
		.amdhsa_uses_dynamic_stack 0
		.amdhsa_enable_private_segment 0
		.amdhsa_system_sgpr_workgroup_id_x 1
		.amdhsa_system_sgpr_workgroup_id_y 0
		.amdhsa_system_sgpr_workgroup_id_z 0
		.amdhsa_system_sgpr_workgroup_info 0
		.amdhsa_system_vgpr_workitem_id 0
		.amdhsa_next_free_vgpr 1
		.amdhsa_next_free_sgpr 1
		.amdhsa_reserve_vcc 0
		.amdhsa_float_round_mode_32 0
		.amdhsa_float_round_mode_16_64 0
		.amdhsa_float_denorm_mode_32 3
		.amdhsa_float_denorm_mode_16_64 3
		.amdhsa_dx10_clamp 1
		.amdhsa_ieee_mode 1
		.amdhsa_fp16_overflow 0
		.amdhsa_workgroup_processor_mode 1
		.amdhsa_memory_ordered 1
		.amdhsa_forward_progress 0
		.amdhsa_shared_vgpr_count 0
		.amdhsa_exception_fp_ieee_invalid_op 0
		.amdhsa_exception_fp_denorm_src 0
		.amdhsa_exception_fp_ieee_div_zero 0
		.amdhsa_exception_fp_ieee_overflow 0
		.amdhsa_exception_fp_ieee_underflow 0
		.amdhsa_exception_fp_ieee_inexact 0
		.amdhsa_exception_int_div_zero 0
	.end_amdhsa_kernel
	.section	.text._ZN7rocprim17ROCPRIM_400000_NS6detail17trampoline_kernelINS0_14default_configENS1_37merge_sort_block_sort_config_selectorIlNS0_10empty_typeEEEZNS1_21merge_sort_block_sortIS3_PlS8_PS5_S9_ZN2at6native12_GLOBAL__N_124unique_dim_cuda_templateIN3c104HalfEEESt5tupleIJNSA_6TensorESH_SH_EERKSH_lbbbEUlllE_EE10hipError_tT0_T1_T2_T3_mRjT4_P12ihipStream_tbNS1_7vsmem_tEEUlT_E_NS1_11comp_targetILNS1_3genE10ELNS1_11target_archE1201ELNS1_3gpuE5ELNS1_3repE0EEENS1_30default_config_static_selectorELNS0_4arch9wavefront6targetE0EEEvSO_,"axG",@progbits,_ZN7rocprim17ROCPRIM_400000_NS6detail17trampoline_kernelINS0_14default_configENS1_37merge_sort_block_sort_config_selectorIlNS0_10empty_typeEEEZNS1_21merge_sort_block_sortIS3_PlS8_PS5_S9_ZN2at6native12_GLOBAL__N_124unique_dim_cuda_templateIN3c104HalfEEESt5tupleIJNSA_6TensorESH_SH_EERKSH_lbbbEUlllE_EE10hipError_tT0_T1_T2_T3_mRjT4_P12ihipStream_tbNS1_7vsmem_tEEUlT_E_NS1_11comp_targetILNS1_3genE10ELNS1_11target_archE1201ELNS1_3gpuE5ELNS1_3repE0EEENS1_30default_config_static_selectorELNS0_4arch9wavefront6targetE0EEEvSO_,comdat
.Lfunc_end1242:
	.size	_ZN7rocprim17ROCPRIM_400000_NS6detail17trampoline_kernelINS0_14default_configENS1_37merge_sort_block_sort_config_selectorIlNS0_10empty_typeEEEZNS1_21merge_sort_block_sortIS3_PlS8_PS5_S9_ZN2at6native12_GLOBAL__N_124unique_dim_cuda_templateIN3c104HalfEEESt5tupleIJNSA_6TensorESH_SH_EERKSH_lbbbEUlllE_EE10hipError_tT0_T1_T2_T3_mRjT4_P12ihipStream_tbNS1_7vsmem_tEEUlT_E_NS1_11comp_targetILNS1_3genE10ELNS1_11target_archE1201ELNS1_3gpuE5ELNS1_3repE0EEENS1_30default_config_static_selectorELNS0_4arch9wavefront6targetE0EEEvSO_, .Lfunc_end1242-_ZN7rocprim17ROCPRIM_400000_NS6detail17trampoline_kernelINS0_14default_configENS1_37merge_sort_block_sort_config_selectorIlNS0_10empty_typeEEEZNS1_21merge_sort_block_sortIS3_PlS8_PS5_S9_ZN2at6native12_GLOBAL__N_124unique_dim_cuda_templateIN3c104HalfEEESt5tupleIJNSA_6TensorESH_SH_EERKSH_lbbbEUlllE_EE10hipError_tT0_T1_T2_T3_mRjT4_P12ihipStream_tbNS1_7vsmem_tEEUlT_E_NS1_11comp_targetILNS1_3genE10ELNS1_11target_archE1201ELNS1_3gpuE5ELNS1_3repE0EEENS1_30default_config_static_selectorELNS0_4arch9wavefront6targetE0EEEvSO_
                                        ; -- End function
	.section	.AMDGPU.csdata,"",@progbits
; Kernel info:
; codeLenInByte = 0
; NumSgprs: 0
; NumVgprs: 0
; ScratchSize: 0
; MemoryBound: 0
; FloatMode: 240
; IeeeMode: 1
; LDSByteSize: 0 bytes/workgroup (compile time only)
; SGPRBlocks: 0
; VGPRBlocks: 0
; NumSGPRsForWavesPerEU: 1
; NumVGPRsForWavesPerEU: 1
; Occupancy: 16
; WaveLimiterHint : 0
; COMPUTE_PGM_RSRC2:SCRATCH_EN: 0
; COMPUTE_PGM_RSRC2:USER_SGPR: 15
; COMPUTE_PGM_RSRC2:TRAP_HANDLER: 0
; COMPUTE_PGM_RSRC2:TGID_X_EN: 1
; COMPUTE_PGM_RSRC2:TGID_Y_EN: 0
; COMPUTE_PGM_RSRC2:TGID_Z_EN: 0
; COMPUTE_PGM_RSRC2:TIDIG_COMP_CNT: 0
	.section	.text._ZN7rocprim17ROCPRIM_400000_NS6detail17trampoline_kernelINS0_14default_configENS1_37merge_sort_block_sort_config_selectorIlNS0_10empty_typeEEEZNS1_21merge_sort_block_sortIS3_PlS8_PS5_S9_ZN2at6native12_GLOBAL__N_124unique_dim_cuda_templateIN3c104HalfEEESt5tupleIJNSA_6TensorESH_SH_EERKSH_lbbbEUlllE_EE10hipError_tT0_T1_T2_T3_mRjT4_P12ihipStream_tbNS1_7vsmem_tEEUlT_E_NS1_11comp_targetILNS1_3genE10ELNS1_11target_archE1200ELNS1_3gpuE4ELNS1_3repE0EEENS1_30default_config_static_selectorELNS0_4arch9wavefront6targetE0EEEvSO_,"axG",@progbits,_ZN7rocprim17ROCPRIM_400000_NS6detail17trampoline_kernelINS0_14default_configENS1_37merge_sort_block_sort_config_selectorIlNS0_10empty_typeEEEZNS1_21merge_sort_block_sortIS3_PlS8_PS5_S9_ZN2at6native12_GLOBAL__N_124unique_dim_cuda_templateIN3c104HalfEEESt5tupleIJNSA_6TensorESH_SH_EERKSH_lbbbEUlllE_EE10hipError_tT0_T1_T2_T3_mRjT4_P12ihipStream_tbNS1_7vsmem_tEEUlT_E_NS1_11comp_targetILNS1_3genE10ELNS1_11target_archE1200ELNS1_3gpuE4ELNS1_3repE0EEENS1_30default_config_static_selectorELNS0_4arch9wavefront6targetE0EEEvSO_,comdat
	.globl	_ZN7rocprim17ROCPRIM_400000_NS6detail17trampoline_kernelINS0_14default_configENS1_37merge_sort_block_sort_config_selectorIlNS0_10empty_typeEEEZNS1_21merge_sort_block_sortIS3_PlS8_PS5_S9_ZN2at6native12_GLOBAL__N_124unique_dim_cuda_templateIN3c104HalfEEESt5tupleIJNSA_6TensorESH_SH_EERKSH_lbbbEUlllE_EE10hipError_tT0_T1_T2_T3_mRjT4_P12ihipStream_tbNS1_7vsmem_tEEUlT_E_NS1_11comp_targetILNS1_3genE10ELNS1_11target_archE1200ELNS1_3gpuE4ELNS1_3repE0EEENS1_30default_config_static_selectorELNS0_4arch9wavefront6targetE0EEEvSO_ ; -- Begin function _ZN7rocprim17ROCPRIM_400000_NS6detail17trampoline_kernelINS0_14default_configENS1_37merge_sort_block_sort_config_selectorIlNS0_10empty_typeEEEZNS1_21merge_sort_block_sortIS3_PlS8_PS5_S9_ZN2at6native12_GLOBAL__N_124unique_dim_cuda_templateIN3c104HalfEEESt5tupleIJNSA_6TensorESH_SH_EERKSH_lbbbEUlllE_EE10hipError_tT0_T1_T2_T3_mRjT4_P12ihipStream_tbNS1_7vsmem_tEEUlT_E_NS1_11comp_targetILNS1_3genE10ELNS1_11target_archE1200ELNS1_3gpuE4ELNS1_3repE0EEENS1_30default_config_static_selectorELNS0_4arch9wavefront6targetE0EEEvSO_
	.p2align	8
	.type	_ZN7rocprim17ROCPRIM_400000_NS6detail17trampoline_kernelINS0_14default_configENS1_37merge_sort_block_sort_config_selectorIlNS0_10empty_typeEEEZNS1_21merge_sort_block_sortIS3_PlS8_PS5_S9_ZN2at6native12_GLOBAL__N_124unique_dim_cuda_templateIN3c104HalfEEESt5tupleIJNSA_6TensorESH_SH_EERKSH_lbbbEUlllE_EE10hipError_tT0_T1_T2_T3_mRjT4_P12ihipStream_tbNS1_7vsmem_tEEUlT_E_NS1_11comp_targetILNS1_3genE10ELNS1_11target_archE1200ELNS1_3gpuE4ELNS1_3repE0EEENS1_30default_config_static_selectorELNS0_4arch9wavefront6targetE0EEEvSO_,@function
_ZN7rocprim17ROCPRIM_400000_NS6detail17trampoline_kernelINS0_14default_configENS1_37merge_sort_block_sort_config_selectorIlNS0_10empty_typeEEEZNS1_21merge_sort_block_sortIS3_PlS8_PS5_S9_ZN2at6native12_GLOBAL__N_124unique_dim_cuda_templateIN3c104HalfEEESt5tupleIJNSA_6TensorESH_SH_EERKSH_lbbbEUlllE_EE10hipError_tT0_T1_T2_T3_mRjT4_P12ihipStream_tbNS1_7vsmem_tEEUlT_E_NS1_11comp_targetILNS1_3genE10ELNS1_11target_archE1200ELNS1_3gpuE4ELNS1_3repE0EEENS1_30default_config_static_selectorELNS0_4arch9wavefront6targetE0EEEvSO_: ; @_ZN7rocprim17ROCPRIM_400000_NS6detail17trampoline_kernelINS0_14default_configENS1_37merge_sort_block_sort_config_selectorIlNS0_10empty_typeEEEZNS1_21merge_sort_block_sortIS3_PlS8_PS5_S9_ZN2at6native12_GLOBAL__N_124unique_dim_cuda_templateIN3c104HalfEEESt5tupleIJNSA_6TensorESH_SH_EERKSH_lbbbEUlllE_EE10hipError_tT0_T1_T2_T3_mRjT4_P12ihipStream_tbNS1_7vsmem_tEEUlT_E_NS1_11comp_targetILNS1_3genE10ELNS1_11target_archE1200ELNS1_3gpuE4ELNS1_3repE0EEENS1_30default_config_static_selectorELNS0_4arch9wavefront6targetE0EEEvSO_
; %bb.0:
	.section	.rodata,"a",@progbits
	.p2align	6, 0x0
	.amdhsa_kernel _ZN7rocprim17ROCPRIM_400000_NS6detail17trampoline_kernelINS0_14default_configENS1_37merge_sort_block_sort_config_selectorIlNS0_10empty_typeEEEZNS1_21merge_sort_block_sortIS3_PlS8_PS5_S9_ZN2at6native12_GLOBAL__N_124unique_dim_cuda_templateIN3c104HalfEEESt5tupleIJNSA_6TensorESH_SH_EERKSH_lbbbEUlllE_EE10hipError_tT0_T1_T2_T3_mRjT4_P12ihipStream_tbNS1_7vsmem_tEEUlT_E_NS1_11comp_targetILNS1_3genE10ELNS1_11target_archE1200ELNS1_3gpuE4ELNS1_3repE0EEENS1_30default_config_static_selectorELNS0_4arch9wavefront6targetE0EEEvSO_
		.amdhsa_group_segment_fixed_size 0
		.amdhsa_private_segment_fixed_size 0
		.amdhsa_kernarg_size 72
		.amdhsa_user_sgpr_count 15
		.amdhsa_user_sgpr_dispatch_ptr 0
		.amdhsa_user_sgpr_queue_ptr 0
		.amdhsa_user_sgpr_kernarg_segment_ptr 1
		.amdhsa_user_sgpr_dispatch_id 0
		.amdhsa_user_sgpr_private_segment_size 0
		.amdhsa_wavefront_size32 1
		.amdhsa_uses_dynamic_stack 0
		.amdhsa_enable_private_segment 0
		.amdhsa_system_sgpr_workgroup_id_x 1
		.amdhsa_system_sgpr_workgroup_id_y 0
		.amdhsa_system_sgpr_workgroup_id_z 0
		.amdhsa_system_sgpr_workgroup_info 0
		.amdhsa_system_vgpr_workitem_id 0
		.amdhsa_next_free_vgpr 1
		.amdhsa_next_free_sgpr 1
		.amdhsa_reserve_vcc 0
		.amdhsa_float_round_mode_32 0
		.amdhsa_float_round_mode_16_64 0
		.amdhsa_float_denorm_mode_32 3
		.amdhsa_float_denorm_mode_16_64 3
		.amdhsa_dx10_clamp 1
		.amdhsa_ieee_mode 1
		.amdhsa_fp16_overflow 0
		.amdhsa_workgroup_processor_mode 1
		.amdhsa_memory_ordered 1
		.amdhsa_forward_progress 0
		.amdhsa_shared_vgpr_count 0
		.amdhsa_exception_fp_ieee_invalid_op 0
		.amdhsa_exception_fp_denorm_src 0
		.amdhsa_exception_fp_ieee_div_zero 0
		.amdhsa_exception_fp_ieee_overflow 0
		.amdhsa_exception_fp_ieee_underflow 0
		.amdhsa_exception_fp_ieee_inexact 0
		.amdhsa_exception_int_div_zero 0
	.end_amdhsa_kernel
	.section	.text._ZN7rocprim17ROCPRIM_400000_NS6detail17trampoline_kernelINS0_14default_configENS1_37merge_sort_block_sort_config_selectorIlNS0_10empty_typeEEEZNS1_21merge_sort_block_sortIS3_PlS8_PS5_S9_ZN2at6native12_GLOBAL__N_124unique_dim_cuda_templateIN3c104HalfEEESt5tupleIJNSA_6TensorESH_SH_EERKSH_lbbbEUlllE_EE10hipError_tT0_T1_T2_T3_mRjT4_P12ihipStream_tbNS1_7vsmem_tEEUlT_E_NS1_11comp_targetILNS1_3genE10ELNS1_11target_archE1200ELNS1_3gpuE4ELNS1_3repE0EEENS1_30default_config_static_selectorELNS0_4arch9wavefront6targetE0EEEvSO_,"axG",@progbits,_ZN7rocprim17ROCPRIM_400000_NS6detail17trampoline_kernelINS0_14default_configENS1_37merge_sort_block_sort_config_selectorIlNS0_10empty_typeEEEZNS1_21merge_sort_block_sortIS3_PlS8_PS5_S9_ZN2at6native12_GLOBAL__N_124unique_dim_cuda_templateIN3c104HalfEEESt5tupleIJNSA_6TensorESH_SH_EERKSH_lbbbEUlllE_EE10hipError_tT0_T1_T2_T3_mRjT4_P12ihipStream_tbNS1_7vsmem_tEEUlT_E_NS1_11comp_targetILNS1_3genE10ELNS1_11target_archE1200ELNS1_3gpuE4ELNS1_3repE0EEENS1_30default_config_static_selectorELNS0_4arch9wavefront6targetE0EEEvSO_,comdat
.Lfunc_end1243:
	.size	_ZN7rocprim17ROCPRIM_400000_NS6detail17trampoline_kernelINS0_14default_configENS1_37merge_sort_block_sort_config_selectorIlNS0_10empty_typeEEEZNS1_21merge_sort_block_sortIS3_PlS8_PS5_S9_ZN2at6native12_GLOBAL__N_124unique_dim_cuda_templateIN3c104HalfEEESt5tupleIJNSA_6TensorESH_SH_EERKSH_lbbbEUlllE_EE10hipError_tT0_T1_T2_T3_mRjT4_P12ihipStream_tbNS1_7vsmem_tEEUlT_E_NS1_11comp_targetILNS1_3genE10ELNS1_11target_archE1200ELNS1_3gpuE4ELNS1_3repE0EEENS1_30default_config_static_selectorELNS0_4arch9wavefront6targetE0EEEvSO_, .Lfunc_end1243-_ZN7rocprim17ROCPRIM_400000_NS6detail17trampoline_kernelINS0_14default_configENS1_37merge_sort_block_sort_config_selectorIlNS0_10empty_typeEEEZNS1_21merge_sort_block_sortIS3_PlS8_PS5_S9_ZN2at6native12_GLOBAL__N_124unique_dim_cuda_templateIN3c104HalfEEESt5tupleIJNSA_6TensorESH_SH_EERKSH_lbbbEUlllE_EE10hipError_tT0_T1_T2_T3_mRjT4_P12ihipStream_tbNS1_7vsmem_tEEUlT_E_NS1_11comp_targetILNS1_3genE10ELNS1_11target_archE1200ELNS1_3gpuE4ELNS1_3repE0EEENS1_30default_config_static_selectorELNS0_4arch9wavefront6targetE0EEEvSO_
                                        ; -- End function
	.section	.AMDGPU.csdata,"",@progbits
; Kernel info:
; codeLenInByte = 0
; NumSgprs: 0
; NumVgprs: 0
; ScratchSize: 0
; MemoryBound: 0
; FloatMode: 240
; IeeeMode: 1
; LDSByteSize: 0 bytes/workgroup (compile time only)
; SGPRBlocks: 0
; VGPRBlocks: 0
; NumSGPRsForWavesPerEU: 1
; NumVGPRsForWavesPerEU: 1
; Occupancy: 16
; WaveLimiterHint : 0
; COMPUTE_PGM_RSRC2:SCRATCH_EN: 0
; COMPUTE_PGM_RSRC2:USER_SGPR: 15
; COMPUTE_PGM_RSRC2:TRAP_HANDLER: 0
; COMPUTE_PGM_RSRC2:TGID_X_EN: 1
; COMPUTE_PGM_RSRC2:TGID_Y_EN: 0
; COMPUTE_PGM_RSRC2:TGID_Z_EN: 0
; COMPUTE_PGM_RSRC2:TIDIG_COMP_CNT: 0
	.section	.text._ZN7rocprim17ROCPRIM_400000_NS6detail17trampoline_kernelINS0_14default_configENS1_37merge_sort_block_sort_config_selectorIlNS0_10empty_typeEEEZNS1_21merge_sort_block_sortIS3_PlS8_PS5_S9_ZN2at6native12_GLOBAL__N_124unique_dim_cuda_templateIN3c104HalfEEESt5tupleIJNSA_6TensorESH_SH_EERKSH_lbbbEUlllE_EE10hipError_tT0_T1_T2_T3_mRjT4_P12ihipStream_tbNS1_7vsmem_tEEUlT_E_NS1_11comp_targetILNS1_3genE9ELNS1_11target_archE1100ELNS1_3gpuE3ELNS1_3repE0EEENS1_30default_config_static_selectorELNS0_4arch9wavefront6targetE0EEEvSO_,"axG",@progbits,_ZN7rocprim17ROCPRIM_400000_NS6detail17trampoline_kernelINS0_14default_configENS1_37merge_sort_block_sort_config_selectorIlNS0_10empty_typeEEEZNS1_21merge_sort_block_sortIS3_PlS8_PS5_S9_ZN2at6native12_GLOBAL__N_124unique_dim_cuda_templateIN3c104HalfEEESt5tupleIJNSA_6TensorESH_SH_EERKSH_lbbbEUlllE_EE10hipError_tT0_T1_T2_T3_mRjT4_P12ihipStream_tbNS1_7vsmem_tEEUlT_E_NS1_11comp_targetILNS1_3genE9ELNS1_11target_archE1100ELNS1_3gpuE3ELNS1_3repE0EEENS1_30default_config_static_selectorELNS0_4arch9wavefront6targetE0EEEvSO_,comdat
	.globl	_ZN7rocprim17ROCPRIM_400000_NS6detail17trampoline_kernelINS0_14default_configENS1_37merge_sort_block_sort_config_selectorIlNS0_10empty_typeEEEZNS1_21merge_sort_block_sortIS3_PlS8_PS5_S9_ZN2at6native12_GLOBAL__N_124unique_dim_cuda_templateIN3c104HalfEEESt5tupleIJNSA_6TensorESH_SH_EERKSH_lbbbEUlllE_EE10hipError_tT0_T1_T2_T3_mRjT4_P12ihipStream_tbNS1_7vsmem_tEEUlT_E_NS1_11comp_targetILNS1_3genE9ELNS1_11target_archE1100ELNS1_3gpuE3ELNS1_3repE0EEENS1_30default_config_static_selectorELNS0_4arch9wavefront6targetE0EEEvSO_ ; -- Begin function _ZN7rocprim17ROCPRIM_400000_NS6detail17trampoline_kernelINS0_14default_configENS1_37merge_sort_block_sort_config_selectorIlNS0_10empty_typeEEEZNS1_21merge_sort_block_sortIS3_PlS8_PS5_S9_ZN2at6native12_GLOBAL__N_124unique_dim_cuda_templateIN3c104HalfEEESt5tupleIJNSA_6TensorESH_SH_EERKSH_lbbbEUlllE_EE10hipError_tT0_T1_T2_T3_mRjT4_P12ihipStream_tbNS1_7vsmem_tEEUlT_E_NS1_11comp_targetILNS1_3genE9ELNS1_11target_archE1100ELNS1_3gpuE3ELNS1_3repE0EEENS1_30default_config_static_selectorELNS0_4arch9wavefront6targetE0EEEvSO_
	.p2align	8
	.type	_ZN7rocprim17ROCPRIM_400000_NS6detail17trampoline_kernelINS0_14default_configENS1_37merge_sort_block_sort_config_selectorIlNS0_10empty_typeEEEZNS1_21merge_sort_block_sortIS3_PlS8_PS5_S9_ZN2at6native12_GLOBAL__N_124unique_dim_cuda_templateIN3c104HalfEEESt5tupleIJNSA_6TensorESH_SH_EERKSH_lbbbEUlllE_EE10hipError_tT0_T1_T2_T3_mRjT4_P12ihipStream_tbNS1_7vsmem_tEEUlT_E_NS1_11comp_targetILNS1_3genE9ELNS1_11target_archE1100ELNS1_3gpuE3ELNS1_3repE0EEENS1_30default_config_static_selectorELNS0_4arch9wavefront6targetE0EEEvSO_,@function
_ZN7rocprim17ROCPRIM_400000_NS6detail17trampoline_kernelINS0_14default_configENS1_37merge_sort_block_sort_config_selectorIlNS0_10empty_typeEEEZNS1_21merge_sort_block_sortIS3_PlS8_PS5_S9_ZN2at6native12_GLOBAL__N_124unique_dim_cuda_templateIN3c104HalfEEESt5tupleIJNSA_6TensorESH_SH_EERKSH_lbbbEUlllE_EE10hipError_tT0_T1_T2_T3_mRjT4_P12ihipStream_tbNS1_7vsmem_tEEUlT_E_NS1_11comp_targetILNS1_3genE9ELNS1_11target_archE1100ELNS1_3gpuE3ELNS1_3repE0EEENS1_30default_config_static_selectorELNS0_4arch9wavefront6targetE0EEEvSO_: ; @_ZN7rocprim17ROCPRIM_400000_NS6detail17trampoline_kernelINS0_14default_configENS1_37merge_sort_block_sort_config_selectorIlNS0_10empty_typeEEEZNS1_21merge_sort_block_sortIS3_PlS8_PS5_S9_ZN2at6native12_GLOBAL__N_124unique_dim_cuda_templateIN3c104HalfEEESt5tupleIJNSA_6TensorESH_SH_EERKSH_lbbbEUlllE_EE10hipError_tT0_T1_T2_T3_mRjT4_P12ihipStream_tbNS1_7vsmem_tEEUlT_E_NS1_11comp_targetILNS1_3genE9ELNS1_11target_archE1100ELNS1_3gpuE3ELNS1_3repE0EEENS1_30default_config_static_selectorELNS0_4arch9wavefront6targetE0EEEvSO_
; %bb.0:
	s_clause 0x1
	s_load_b64 s[16:17], s[0:1], 0x48
	s_load_b32 s3, s[0:1], 0x0
	s_add_u32 s4, s0, 0x48
	s_addc_u32 s5, s1, 0
	s_waitcnt lgkmcnt(0)
	s_mul_i32 s2, s17, s15
	s_delay_alu instid0(SALU_CYCLE_1) | instskip(NEXT) | instid1(SALU_CYCLE_1)
	s_add_i32 s2, s2, s14
	s_mul_i32 s2, s2, s16
	s_delay_alu instid0(SALU_CYCLE_1) | instskip(NEXT) | instid1(SALU_CYCLE_1)
	s_add_i32 s2, s2, s13
	s_cmp_ge_u32 s2, s3
	s_cbranch_scc1 .LBB1244_880
; %bb.1:
	s_clause 0x2
	s_load_b64 s[18:19], s[0:1], 0x8
	s_load_b128 s[8:11], s[0:1], 0x38
	s_load_b128 s[20:23], s[0:1], 0x18
	v_and_b32_e32 v12, 0x3ff, v0
	s_mov_b32 s3, 0
	v_bfe_u32 v24, v0, 10, 10
	s_lshl_b64 s[0:1], s[2:3], 13
	v_bfe_u32 v25, v0, 20, 10
	v_lshlrev_b32_e32 v22, 3, v12
	v_lshrrev_b32_e32 v27, 2, v12
	v_add_nc_u32_e32 v30, 0x100, v12
	v_add_nc_u32_e32 v29, 0x200, v12
	;; [unrolled: 1-line block ×3, first 2 shown]
	v_lshlrev_b32_e32 v23, 2, v12
	v_lshrrev_b32_e32 v26, 3, v12
	s_waitcnt lgkmcnt(0)
	s_lshr_b64 s[24:25], s[18:19], 10
	v_cmp_gt_i64_e64 s17, s[8:9], 0
	s_add_u32 s14, s20, s0
	s_addc_u32 s15, s21, s1
	s_add_u32 s6, s22, s0
	s_addc_u32 s7, s23, s1
	s_cmp_lg_u64 s[24:25], s[2:3]
	s_cbranch_scc0 .LBB1244_10
; %bb.2:
	v_add_co_u32 v0, s0, s14, v22
	s_delay_alu instid0(VALU_DEP_1) | instskip(SKIP_1) | instid1(VALU_DEP_3)
	v_add_co_ci_u32_e64 v1, null, s15, 0, s0
	v_lshrrev_b32_e32 v8, 2, v30
	v_add_co_u32 v0, vcc_lo, 0x1000, v0
	s_delay_alu instid0(VALU_DEP_3)
	v_add_co_ci_u32_e32 v1, vcc_lo, 0, v1, vcc_lo
	v_lshrrev_b32_e32 v9, 2, v29
	s_clause 0x3
	global_load_b64 v[2:3], v22, s[14:15]
	global_load_b64 v[4:5], v22, s[14:15] offset:2048
	global_load_b64 v[6:7], v[0:1], off
	global_load_b64 v[0:1], v[0:1], off offset:2048
	v_lshrrev_b32_e32 v10, 2, v28
	v_and_b32_e32 v11, 0xf8, v27
	v_dual_mov_b32 v13, 0 :: v_dual_and_b32 v8, 0x1f8, v8
	v_and_b32_e32 v9, 0x1f8, v9
	s_delay_alu instid0(VALU_DEP_4) | instskip(NEXT) | instid1(VALU_DEP_4)
	v_and_b32_e32 v10, 0x1f8, v10
	v_add_nc_u32_e32 v31, v11, v22
	v_add_lshl_u32 v35, v26, v23, 3
	v_add_nc_u32_e32 v34, v8, v22
	v_add_nc_u32_e32 v32, v9, v22
	v_add_nc_u32_e32 v33, v10, v22
	v_cndmask_b32_e64 v36, 0, 1, s17
	s_waitcnt vmcnt(3)
	ds_store_b64 v31, v[2:3]
	s_waitcnt vmcnt(2)
	ds_store_b64 v34, v[4:5] offset:2048
	s_waitcnt vmcnt(1)
	ds_store_b64 v32, v[6:7] offset:4096
	;; [unrolled: 2-line block ×3, first 2 shown]
	s_waitcnt lgkmcnt(0)
	s_barrier
	buffer_gl0_inv
	ds_load_2addr_b64 v[8:11], v35 offset1:1
	ds_load_2addr_b64 v[4:7], v35 offset0:2 offset1:3
	s_waitcnt lgkmcnt(0)
	s_barrier
	buffer_gl0_inv
	s_load_b32 s0, s[4:5], 0xc
	v_dual_mov_b32 v3, v11 :: v_dual_mov_b32 v2, v10
	s_waitcnt lgkmcnt(0)
	s_lshr_b32 s12, s0, 16
	s_cmp_lt_u32 s13, s16
	v_mad_u32_u24 v1, v25, s12, v24
	s_cselect_b32 s0, 12, 18
	s_mov_b32 s12, exec_lo
	s_add_u32 s0, s4, s0
	s_addc_u32 s1, s5, 0
	global_load_u16 v0, v13, s[0:1]
	s_waitcnt vmcnt(0)
	v_mul_lo_u32 v0, v1, v0
	v_mov_b32_e32 v1, v9
	s_delay_alu instid0(VALU_DEP_2) | instskip(SKIP_1) | instid1(VALU_DEP_2)
	v_add_lshl_u32 v37, v0, v12, 2
	v_mov_b32_e32 v0, v8
	v_cmpx_gt_u32_e32 0x400, v37
	s_cbranch_execz .LBB1244_72
; %bb.3:
	s_and_not1_b32 vcc_lo, exec_lo, s17
	s_cbranch_vccnz .LBB1244_16
; %bb.4:
	v_mul_lo_u32 v18, v11, s8
	v_mul_lo_u32 v19, v10, s9
	v_mad_u64_u32 v[14:15], null, v10, s8, 0
	v_mul_lo_u32 v20, v9, s8
	v_mul_lo_u32 v21, v8, s9
	v_mad_u64_u32 v[16:17], null, v8, s8, 0
	s_mov_b32 s20, 0
	s_mov_b64 s[0:1], s[8:9]
	s_delay_alu instid0(VALU_DEP_4) | instskip(NEXT) | instid1(VALU_DEP_2)
	v_add3_u32 v15, v15, v19, v18
                                        ; implicit-def: $sgpr19
                                        ; implicit-def: $sgpr21
                                        ; implicit-def: $sgpr22
                                        ; implicit-def: $sgpr23
                                        ; implicit-def: $sgpr24
	v_add3_u32 v17, v17, v21, v20
	s_delay_alu instid0(VALU_DEP_2) | instskip(NEXT) | instid1(VALU_DEP_2)
	v_lshlrev_b64 v[14:15], 1, v[14:15]
	v_lshlrev_b64 v[16:17], 1, v[16:17]
	s_delay_alu instid0(VALU_DEP_2) | instskip(NEXT) | instid1(VALU_DEP_3)
	v_add_co_u32 v14, vcc_lo, s10, v14
	v_add_co_ci_u32_e32 v15, vcc_lo, s11, v15, vcc_lo
	s_delay_alu instid0(VALU_DEP_3) | instskip(NEXT) | instid1(VALU_DEP_4)
	v_add_co_u32 v16, vcc_lo, s10, v16
	v_add_co_ci_u32_e32 v17, vcc_lo, s11, v17, vcc_lo
	s_set_inst_prefetch_distance 0x1
	s_branch .LBB1244_6
	.p2align	6
.LBB1244_5:                             ;   in Loop: Header=BB1244_6 Depth=1
	s_or_b32 exec_lo, exec_lo, s25
	s_delay_alu instid0(SALU_CYCLE_1) | instskip(NEXT) | instid1(SALU_CYCLE_1)
	s_and_b32 s25, exec_lo, s26
	s_or_b32 s20, s25, s20
	s_and_not1_b32 s21, s21, exec_lo
	s_and_b32 s25, s22, exec_lo
	s_and_not1_b32 s19, s19, exec_lo
	s_and_b32 s26, s23, exec_lo
	s_or_b32 s21, s21, s25
	s_or_b32 s19, s19, s26
	s_and_not1_b32 exec_lo, exec_lo, s20
	s_cbranch_execz .LBB1244_11
.LBB1244_6:                             ; =>This Inner Loop Header: Depth=1
	global_load_u16 v18, v[14:15], off
	global_load_u16 v19, v[16:17], off
	s_or_b32 s23, s23, exec_lo
	s_mov_b32 s27, 0
	s_mov_b32 s25, exec_lo
	s_waitcnt vmcnt(0)
	v_cmpx_nlt_f16_e32 v18, v19
; %bb.7:                                ;   in Loop: Header=BB1244_6 Depth=1
	v_cmp_ngt_f16_e32 vcc_lo, v18, v19
	s_and_not1_b32 s23, s23, exec_lo
	s_and_b32 s24, vcc_lo, s24
	s_and_b32 s27, vcc_lo, exec_lo
	s_and_b32 s24, s24, exec_lo
	s_delay_alu instid0(SALU_CYCLE_1)
	s_or_b32 s23, s23, s24
; %bb.8:                                ;   in Loop: Header=BB1244_6 Depth=1
	s_or_b32 exec_lo, exec_lo, s25
	s_mov_b32 s26, -1
	s_or_b32 s22, s22, exec_lo
                                        ; implicit-def: $sgpr24
	s_and_saveexec_b32 s25, s27
	s_cbranch_execz .LBB1244_5
; %bb.9:                                ;   in Loop: Header=BB1244_6 Depth=1
	v_add_co_u32 v14, vcc_lo, v14, 2
	s_add_u32 s0, s0, -1
	s_addc_u32 s1, s1, -1
	v_add_co_ci_u32_e32 v15, vcc_lo, 0, v15, vcc_lo
	v_add_co_u32 v16, vcc_lo, v16, 2
	s_cmp_eq_u64 s[0:1], 0
	v_add_co_ci_u32_e32 v17, vcc_lo, 0, v17, vcc_lo
	s_cselect_b32 s26, -1, 0
	s_and_b32 s24, s23, exec_lo
	s_and_not1_b32 s22, s22, exec_lo
	s_or_not1_b32 s26, s26, exec_lo
	s_branch .LBB1244_5
.LBB1244_10:
	s_mov_b32 s17, s3
                                        ; implicit-def: $vgpr0_vgpr1
	s_cbranch_execnz .LBB1244_522
	s_branch .LBB1244_878
.LBB1244_11:
	s_set_inst_prefetch_distance 0x2
	s_or_b32 exec_lo, exec_lo, s20
	s_and_saveexec_b32 s0, s21
	s_delay_alu instid0(SALU_CYCLE_1)
	s_xor_b32 s0, exec_lo, s0
	s_cbranch_execz .LBB1244_15
; %bb.12:
	v_dual_mov_b32 v15, v11 :: v_dual_mov_b32 v14, v10
	s_and_saveexec_b32 s1, s19
; %bb.13:
	v_dual_mov_b32 v0, v10 :: v_dual_mov_b32 v1, v11
	v_dual_mov_b32 v2, v8 :: v_dual_mov_b32 v3, v9
	;; [unrolled: 1-line block ×4, first 2 shown]
; %bb.14:
	s_or_b32 exec_lo, exec_lo, s1
	s_delay_alu instid0(VALU_DEP_2)
	v_dual_mov_b32 v10, v14 :: v_dual_mov_b32 v11, v15
.LBB1244_15:
	s_or_b32 exec_lo, exec_lo, s0
.LBB1244_16:
	v_dual_mov_b32 v16, v6 :: v_dual_mov_b32 v17, v7
	v_dual_mov_b32 v14, v4 :: v_dual_mov_b32 v15, v5
	s_and_not1_b32 vcc_lo, exec_lo, s17
	s_cbranch_vccnz .LBB1244_28
; %bb.17:
	v_mul_lo_u32 v38, v7, s8
	v_mul_lo_u32 v39, v6, s9
	v_mad_u64_u32 v[18:19], null, v6, s8, 0
	v_mul_lo_u32 v40, v5, s8
	v_mul_lo_u32 v41, v4, s9
	v_mad_u64_u32 v[20:21], null, v4, s8, 0
	s_mov_b32 s20, 0
	s_mov_b64 s[0:1], s[8:9]
	s_delay_alu instid0(VALU_DEP_4) | instskip(NEXT) | instid1(VALU_DEP_2)
	v_add3_u32 v19, v19, v39, v38
                                        ; implicit-def: $sgpr19
                                        ; implicit-def: $sgpr21
                                        ; implicit-def: $sgpr22
                                        ; implicit-def: $sgpr23
                                        ; implicit-def: $sgpr24
	v_add3_u32 v21, v21, v41, v40
	s_delay_alu instid0(VALU_DEP_2) | instskip(NEXT) | instid1(VALU_DEP_2)
	v_lshlrev_b64 v[18:19], 1, v[18:19]
	v_lshlrev_b64 v[20:21], 1, v[20:21]
	s_delay_alu instid0(VALU_DEP_2) | instskip(NEXT) | instid1(VALU_DEP_3)
	v_add_co_u32 v18, vcc_lo, s10, v18
	v_add_co_ci_u32_e32 v19, vcc_lo, s11, v19, vcc_lo
	s_delay_alu instid0(VALU_DEP_3) | instskip(NEXT) | instid1(VALU_DEP_4)
	v_add_co_u32 v20, vcc_lo, s10, v20
	v_add_co_ci_u32_e32 v21, vcc_lo, s11, v21, vcc_lo
	s_set_inst_prefetch_distance 0x1
	s_branch .LBB1244_19
	.p2align	6
.LBB1244_18:                            ;   in Loop: Header=BB1244_19 Depth=1
	s_or_b32 exec_lo, exec_lo, s25
	s_delay_alu instid0(SALU_CYCLE_1) | instskip(NEXT) | instid1(SALU_CYCLE_1)
	s_and_b32 s25, exec_lo, s26
	s_or_b32 s20, s25, s20
	s_and_not1_b32 s21, s21, exec_lo
	s_and_b32 s25, s22, exec_lo
	s_and_not1_b32 s19, s19, exec_lo
	s_and_b32 s26, s23, exec_lo
	s_or_b32 s21, s21, s25
	s_or_b32 s19, s19, s26
	s_and_not1_b32 exec_lo, exec_lo, s20
	s_cbranch_execz .LBB1244_23
.LBB1244_19:                            ; =>This Inner Loop Header: Depth=1
	global_load_u16 v38, v[18:19], off
	global_load_u16 v39, v[20:21], off
	s_or_b32 s23, s23, exec_lo
	s_mov_b32 s27, 0
	s_mov_b32 s25, exec_lo
	s_waitcnt vmcnt(0)
	v_cmpx_nlt_f16_e32 v38, v39
; %bb.20:                               ;   in Loop: Header=BB1244_19 Depth=1
	v_cmp_ngt_f16_e32 vcc_lo, v38, v39
	s_and_not1_b32 s23, s23, exec_lo
	s_and_b32 s24, vcc_lo, s24
	s_and_b32 s27, vcc_lo, exec_lo
	s_and_b32 s24, s24, exec_lo
	s_delay_alu instid0(SALU_CYCLE_1)
	s_or_b32 s23, s23, s24
; %bb.21:                               ;   in Loop: Header=BB1244_19 Depth=1
	s_or_b32 exec_lo, exec_lo, s25
	s_mov_b32 s26, -1
	s_or_b32 s22, s22, exec_lo
                                        ; implicit-def: $sgpr24
	s_and_saveexec_b32 s25, s27
	s_cbranch_execz .LBB1244_18
; %bb.22:                               ;   in Loop: Header=BB1244_19 Depth=1
	v_add_co_u32 v18, vcc_lo, v18, 2
	s_add_u32 s0, s0, -1
	s_addc_u32 s1, s1, -1
	v_add_co_ci_u32_e32 v19, vcc_lo, 0, v19, vcc_lo
	v_add_co_u32 v20, vcc_lo, v20, 2
	s_cmp_eq_u64 s[0:1], 0
	v_add_co_ci_u32_e32 v21, vcc_lo, 0, v21, vcc_lo
	s_cselect_b32 s26, -1, 0
	s_and_b32 s24, s23, exec_lo
	s_and_not1_b32 s22, s22, exec_lo
	s_or_not1_b32 s26, s26, exec_lo
	s_branch .LBB1244_18
.LBB1244_23:
	s_set_inst_prefetch_distance 0x2
	s_or_b32 exec_lo, exec_lo, s20
	s_and_saveexec_b32 s0, s21
	s_delay_alu instid0(SALU_CYCLE_1)
	s_xor_b32 s0, exec_lo, s0
	s_cbranch_execz .LBB1244_27
; %bb.24:
	s_and_saveexec_b32 s1, s19
; %bb.25:
	v_dual_mov_b32 v38, v0 :: v_dual_mov_b32 v39, v1
	v_dual_mov_b32 v40, v2 :: v_dual_mov_b32 v41, v3
	;; [unrolled: 1-line block ×11, first 2 shown]
; %bb.26:
	s_or_b32 exec_lo, exec_lo, s1
.LBB1244_27:
	s_delay_alu instid0(SALU_CYCLE_1)
	s_or_b32 exec_lo, exec_lo, s0
.LBB1244_28:
	s_delay_alu instid0(SALU_CYCLE_1)
	s_and_b32 vcc_lo, exec_lo, s17
	s_cbranch_vccz .LBB1244_40
; %bb.29:
	v_mul_lo_u32 v38, v15, s8
	v_mul_lo_u32 v39, v14, s9
	v_mad_u64_u32 v[18:19], null, v14, s8, 0
	v_mul_lo_u32 v40, v11, s8
	v_mul_lo_u32 v41, v10, s9
	v_mad_u64_u32 v[20:21], null, v10, s8, 0
	s_mov_b32 s19, 0
	s_mov_b64 s[0:1], s[8:9]
	s_delay_alu instid0(VALU_DEP_4) | instskip(NEXT) | instid1(VALU_DEP_2)
	v_add3_u32 v19, v19, v39, v38
                                        ; implicit-def: $sgpr17
                                        ; implicit-def: $sgpr20
                                        ; implicit-def: $sgpr21
                                        ; implicit-def: $sgpr22
                                        ; implicit-def: $sgpr23
	v_add3_u32 v21, v21, v41, v40
	s_delay_alu instid0(VALU_DEP_2) | instskip(NEXT) | instid1(VALU_DEP_2)
	v_lshlrev_b64 v[18:19], 1, v[18:19]
	v_lshlrev_b64 v[20:21], 1, v[20:21]
	s_delay_alu instid0(VALU_DEP_2) | instskip(NEXT) | instid1(VALU_DEP_3)
	v_add_co_u32 v18, vcc_lo, s10, v18
	v_add_co_ci_u32_e32 v19, vcc_lo, s11, v19, vcc_lo
	s_delay_alu instid0(VALU_DEP_3) | instskip(NEXT) | instid1(VALU_DEP_4)
	v_add_co_u32 v20, vcc_lo, s10, v20
	v_add_co_ci_u32_e32 v21, vcc_lo, s11, v21, vcc_lo
	s_set_inst_prefetch_distance 0x1
	s_branch .LBB1244_31
	.p2align	6
.LBB1244_30:                            ;   in Loop: Header=BB1244_31 Depth=1
	s_or_b32 exec_lo, exec_lo, s24
	s_delay_alu instid0(SALU_CYCLE_1) | instskip(NEXT) | instid1(SALU_CYCLE_1)
	s_and_b32 s24, exec_lo, s25
	s_or_b32 s19, s24, s19
	s_and_not1_b32 s20, s20, exec_lo
	s_and_b32 s24, s21, exec_lo
	s_and_not1_b32 s17, s17, exec_lo
	s_and_b32 s25, s22, exec_lo
	s_or_b32 s20, s20, s24
	s_or_b32 s17, s17, s25
	s_and_not1_b32 exec_lo, exec_lo, s19
	s_cbranch_execz .LBB1244_35
.LBB1244_31:                            ; =>This Inner Loop Header: Depth=1
	global_load_u16 v38, v[18:19], off
	global_load_u16 v39, v[20:21], off
	s_or_b32 s22, s22, exec_lo
	s_mov_b32 s26, 0
	s_mov_b32 s24, exec_lo
	s_waitcnt vmcnt(0)
	v_cmpx_nlt_f16_e32 v38, v39
; %bb.32:                               ;   in Loop: Header=BB1244_31 Depth=1
	v_cmp_ngt_f16_e32 vcc_lo, v38, v39
	s_and_not1_b32 s22, s22, exec_lo
	s_and_b32 s23, vcc_lo, s23
	s_and_b32 s26, vcc_lo, exec_lo
	s_and_b32 s23, s23, exec_lo
	s_delay_alu instid0(SALU_CYCLE_1)
	s_or_b32 s22, s22, s23
; %bb.33:                               ;   in Loop: Header=BB1244_31 Depth=1
	s_or_b32 exec_lo, exec_lo, s24
	s_mov_b32 s25, -1
	s_or_b32 s21, s21, exec_lo
                                        ; implicit-def: $sgpr23
	s_and_saveexec_b32 s24, s26
	s_cbranch_execz .LBB1244_30
; %bb.34:                               ;   in Loop: Header=BB1244_31 Depth=1
	v_add_co_u32 v18, vcc_lo, v18, 2
	s_add_u32 s0, s0, -1
	s_addc_u32 s1, s1, -1
	v_add_co_ci_u32_e32 v19, vcc_lo, 0, v19, vcc_lo
	v_add_co_u32 v20, vcc_lo, v20, 2
	s_cmp_eq_u64 s[0:1], 0
	v_add_co_ci_u32_e32 v21, vcc_lo, 0, v21, vcc_lo
	s_cselect_b32 s25, -1, 0
	s_and_b32 s23, s22, exec_lo
	s_and_not1_b32 s21, s21, exec_lo
	s_or_not1_b32 s25, s25, exec_lo
	s_branch .LBB1244_30
.LBB1244_35:
	s_set_inst_prefetch_distance 0x2
	s_or_b32 exec_lo, exec_lo, s19
	s_and_saveexec_b32 s0, s20
	s_delay_alu instid0(SALU_CYCLE_1)
	s_xor_b32 s0, exec_lo, s0
	s_cbranch_execz .LBB1244_39
; %bb.36:
	v_dual_mov_b32 v19, v11 :: v_dual_mov_b32 v18, v10
	s_and_saveexec_b32 s1, s17
; %bb.37:
	v_dual_mov_b32 v2, v14 :: v_dual_mov_b32 v3, v15
	v_dual_mov_b32 v4, v10 :: v_dual_mov_b32 v5, v11
	v_dual_mov_b32 v19, v15 :: v_dual_mov_b32 v18, v14
	v_dual_mov_b32 v15, v11 :: v_dual_mov_b32 v14, v10
; %bb.38:
	s_or_b32 exec_lo, exec_lo, s1
	s_delay_alu instid0(VALU_DEP_2)
	v_dual_mov_b32 v10, v18 :: v_dual_mov_b32 v11, v19
.LBB1244_39:
	s_or_b32 exec_lo, exec_lo, s0
.LBB1244_40:
	v_cmp_ne_u32_e32 vcc_lo, 1, v36
	s_cbranch_vccnz .LBB1244_52
; %bb.41:
	s_delay_alu instid0(VALU_DEP_2)
	v_mul_lo_u32 v38, v11, s8
	v_mul_lo_u32 v39, v10, s9
	v_mad_u64_u32 v[18:19], null, v10, s8, 0
	v_mul_lo_u32 v40, v9, s8
	v_mul_lo_u32 v41, v8, s9
	v_mad_u64_u32 v[20:21], null, v8, s8, 0
	s_mov_b32 s19, 0
	s_mov_b64 s[0:1], s[8:9]
	s_delay_alu instid0(VALU_DEP_4) | instskip(NEXT) | instid1(VALU_DEP_2)
	v_add3_u32 v19, v19, v39, v38
                                        ; implicit-def: $sgpr17
                                        ; implicit-def: $sgpr20
                                        ; implicit-def: $sgpr21
                                        ; implicit-def: $sgpr22
                                        ; implicit-def: $sgpr23
	v_add3_u32 v21, v21, v41, v40
	s_delay_alu instid0(VALU_DEP_2) | instskip(NEXT) | instid1(VALU_DEP_2)
	v_lshlrev_b64 v[18:19], 1, v[18:19]
	v_lshlrev_b64 v[20:21], 1, v[20:21]
	s_delay_alu instid0(VALU_DEP_2) | instskip(NEXT) | instid1(VALU_DEP_3)
	v_add_co_u32 v18, vcc_lo, s10, v18
	v_add_co_ci_u32_e32 v19, vcc_lo, s11, v19, vcc_lo
	s_delay_alu instid0(VALU_DEP_3) | instskip(NEXT) | instid1(VALU_DEP_4)
	v_add_co_u32 v20, vcc_lo, s10, v20
	v_add_co_ci_u32_e32 v21, vcc_lo, s11, v21, vcc_lo
	s_set_inst_prefetch_distance 0x1
	s_branch .LBB1244_43
	.p2align	6
.LBB1244_42:                            ;   in Loop: Header=BB1244_43 Depth=1
	s_or_b32 exec_lo, exec_lo, s24
	s_delay_alu instid0(SALU_CYCLE_1) | instskip(NEXT) | instid1(SALU_CYCLE_1)
	s_and_b32 s24, exec_lo, s25
	s_or_b32 s19, s24, s19
	s_and_not1_b32 s20, s20, exec_lo
	s_and_b32 s24, s21, exec_lo
	s_and_not1_b32 s17, s17, exec_lo
	s_and_b32 s25, s22, exec_lo
	s_or_b32 s20, s20, s24
	s_or_b32 s17, s17, s25
	s_and_not1_b32 exec_lo, exec_lo, s19
	s_cbranch_execz .LBB1244_47
.LBB1244_43:                            ; =>This Inner Loop Header: Depth=1
	global_load_u16 v38, v[18:19], off
	global_load_u16 v39, v[20:21], off
	s_or_b32 s22, s22, exec_lo
	s_mov_b32 s26, 0
	s_mov_b32 s24, exec_lo
	s_waitcnt vmcnt(0)
	v_cmpx_nlt_f16_e32 v38, v39
; %bb.44:                               ;   in Loop: Header=BB1244_43 Depth=1
	v_cmp_ngt_f16_e32 vcc_lo, v38, v39
	s_and_not1_b32 s22, s22, exec_lo
	s_and_b32 s23, vcc_lo, s23
	s_and_b32 s26, vcc_lo, exec_lo
	s_and_b32 s23, s23, exec_lo
	s_delay_alu instid0(SALU_CYCLE_1)
	s_or_b32 s22, s22, s23
; %bb.45:                               ;   in Loop: Header=BB1244_43 Depth=1
	s_or_b32 exec_lo, exec_lo, s24
	s_mov_b32 s25, -1
	s_or_b32 s21, s21, exec_lo
                                        ; implicit-def: $sgpr23
	s_and_saveexec_b32 s24, s26
	s_cbranch_execz .LBB1244_42
; %bb.46:                               ;   in Loop: Header=BB1244_43 Depth=1
	v_add_co_u32 v18, vcc_lo, v18, 2
	s_add_u32 s0, s0, -1
	s_addc_u32 s1, s1, -1
	v_add_co_ci_u32_e32 v19, vcc_lo, 0, v19, vcc_lo
	v_add_co_u32 v20, vcc_lo, v20, 2
	s_cmp_eq_u64 s[0:1], 0
	v_add_co_ci_u32_e32 v21, vcc_lo, 0, v21, vcc_lo
	s_cselect_b32 s25, -1, 0
	s_and_b32 s23, s22, exec_lo
	s_and_not1_b32 s21, s21, exec_lo
	s_or_not1_b32 s25, s25, exec_lo
	s_branch .LBB1244_42
.LBB1244_47:
	s_set_inst_prefetch_distance 0x2
	s_or_b32 exec_lo, exec_lo, s19
	s_and_saveexec_b32 s0, s20
	s_delay_alu instid0(SALU_CYCLE_1)
	s_xor_b32 s0, exec_lo, s0
	s_cbranch_execz .LBB1244_51
; %bb.48:
	v_dual_mov_b32 v19, v11 :: v_dual_mov_b32 v18, v10
	s_and_saveexec_b32 s1, s17
; %bb.49:
	v_dual_mov_b32 v0, v10 :: v_dual_mov_b32 v1, v11
	v_dual_mov_b32 v2, v8 :: v_dual_mov_b32 v3, v9
	;; [unrolled: 1-line block ×4, first 2 shown]
; %bb.50:
	s_or_b32 exec_lo, exec_lo, s1
	s_delay_alu instid0(VALU_DEP_2)
	v_dual_mov_b32 v10, v18 :: v_dual_mov_b32 v11, v19
.LBB1244_51:
	s_or_b32 exec_lo, exec_lo, s0
.LBB1244_52:
	v_cmp_ne_u32_e32 vcc_lo, 1, v36
	s_cbranch_vccnz .LBB1244_62
; %bb.53:
	v_mul_lo_u32 v38, v17, s8
	v_mul_lo_u32 v39, v16, s9
	v_mad_u64_u32 v[18:19], null, v16, s8, 0
	v_mul_lo_u32 v40, v15, s8
	v_mul_lo_u32 v41, v14, s9
	v_mad_u64_u32 v[20:21], null, v14, s8, 0
	s_mov_b32 s19, 0
	s_mov_b64 s[0:1], s[8:9]
	s_delay_alu instid0(VALU_DEP_4) | instskip(NEXT) | instid1(VALU_DEP_2)
	v_add3_u32 v19, v19, v39, v38
                                        ; implicit-def: $sgpr17
                                        ; implicit-def: $sgpr20
                                        ; implicit-def: $sgpr21
                                        ; implicit-def: $sgpr22
                                        ; implicit-def: $sgpr23
	v_add3_u32 v21, v21, v41, v40
	s_delay_alu instid0(VALU_DEP_2) | instskip(NEXT) | instid1(VALU_DEP_2)
	v_lshlrev_b64 v[18:19], 1, v[18:19]
	v_lshlrev_b64 v[20:21], 1, v[20:21]
	s_delay_alu instid0(VALU_DEP_2) | instskip(NEXT) | instid1(VALU_DEP_3)
	v_add_co_u32 v18, vcc_lo, s10, v18
	v_add_co_ci_u32_e32 v19, vcc_lo, s11, v19, vcc_lo
	s_delay_alu instid0(VALU_DEP_3) | instskip(NEXT) | instid1(VALU_DEP_4)
	v_add_co_u32 v20, vcc_lo, s10, v20
	v_add_co_ci_u32_e32 v21, vcc_lo, s11, v21, vcc_lo
	s_set_inst_prefetch_distance 0x1
	s_branch .LBB1244_55
	.p2align	6
.LBB1244_54:                            ;   in Loop: Header=BB1244_55 Depth=1
	s_or_b32 exec_lo, exec_lo, s24
	s_delay_alu instid0(SALU_CYCLE_1) | instskip(NEXT) | instid1(SALU_CYCLE_1)
	s_and_b32 s24, exec_lo, s25
	s_or_b32 s19, s24, s19
	s_and_not1_b32 s20, s20, exec_lo
	s_and_b32 s24, s21, exec_lo
	s_and_not1_b32 s17, s17, exec_lo
	s_and_b32 s25, s22, exec_lo
	s_or_b32 s20, s20, s24
	s_or_b32 s17, s17, s25
	s_and_not1_b32 exec_lo, exec_lo, s19
	s_cbranch_execz .LBB1244_59
.LBB1244_55:                            ; =>This Inner Loop Header: Depth=1
	global_load_u16 v38, v[18:19], off
	global_load_u16 v39, v[20:21], off
	s_or_b32 s22, s22, exec_lo
	s_mov_b32 s26, 0
	s_mov_b32 s24, exec_lo
	s_waitcnt vmcnt(0)
	v_cmpx_nlt_f16_e32 v38, v39
; %bb.56:                               ;   in Loop: Header=BB1244_55 Depth=1
	v_cmp_ngt_f16_e32 vcc_lo, v38, v39
	s_and_not1_b32 s22, s22, exec_lo
	s_and_b32 s23, vcc_lo, s23
	s_and_b32 s26, vcc_lo, exec_lo
	s_and_b32 s23, s23, exec_lo
	s_delay_alu instid0(SALU_CYCLE_1)
	s_or_b32 s22, s22, s23
; %bb.57:                               ;   in Loop: Header=BB1244_55 Depth=1
	s_or_b32 exec_lo, exec_lo, s24
	s_mov_b32 s25, -1
	s_or_b32 s21, s21, exec_lo
                                        ; implicit-def: $sgpr23
	s_and_saveexec_b32 s24, s26
	s_cbranch_execz .LBB1244_54
; %bb.58:                               ;   in Loop: Header=BB1244_55 Depth=1
	v_add_co_u32 v18, vcc_lo, v18, 2
	s_add_u32 s0, s0, -1
	s_addc_u32 s1, s1, -1
	v_add_co_ci_u32_e32 v19, vcc_lo, 0, v19, vcc_lo
	v_add_co_u32 v20, vcc_lo, v20, 2
	s_cmp_eq_u64 s[0:1], 0
	v_add_co_ci_u32_e32 v21, vcc_lo, 0, v21, vcc_lo
	s_cselect_b32 s25, -1, 0
	s_and_b32 s23, s22, exec_lo
	s_and_not1_b32 s21, s21, exec_lo
	s_or_not1_b32 s25, s25, exec_lo
	s_branch .LBB1244_54
.LBB1244_59:
	s_set_inst_prefetch_distance 0x2
	s_or_b32 exec_lo, exec_lo, s19
	s_and_saveexec_b32 s0, s20
	s_delay_alu instid0(SALU_CYCLE_1)
	s_xor_b32 s0, exec_lo, s0
; %bb.60:
	v_cndmask_b32_e64 v7, v7, v15, s17
	v_cndmask_b32_e64 v6, v6, v14, s17
	;; [unrolled: 1-line block ×6, first 2 shown]
; %bb.61:
	s_or_b32 exec_lo, exec_lo, s0
.LBB1244_62:
	v_cmp_ne_u32_e32 vcc_lo, 1, v36
	s_cbranch_vccnz .LBB1244_72
; %bb.63:
	v_mul_lo_u32 v20, v15, s8
	v_mul_lo_u32 v21, v14, s9
	v_mad_u64_u32 v[16:17], null, v14, s8, 0
	v_mul_lo_u32 v38, v11, s8
	v_mul_lo_u32 v39, v10, s9
	v_mad_u64_u32 v[18:19], null, v10, s8, 0
	s_mov_b32 s19, 0
	s_mov_b64 s[0:1], s[8:9]
	s_delay_alu instid0(VALU_DEP_4) | instskip(NEXT) | instid1(VALU_DEP_2)
	v_add3_u32 v17, v17, v21, v20
                                        ; implicit-def: $sgpr17
                                        ; implicit-def: $sgpr20
                                        ; implicit-def: $sgpr21
                                        ; implicit-def: $sgpr22
                                        ; implicit-def: $sgpr23
	v_add3_u32 v19, v19, v39, v38
	s_delay_alu instid0(VALU_DEP_2) | instskip(NEXT) | instid1(VALU_DEP_2)
	v_lshlrev_b64 v[16:17], 1, v[16:17]
	v_lshlrev_b64 v[18:19], 1, v[18:19]
	s_delay_alu instid0(VALU_DEP_2) | instskip(NEXT) | instid1(VALU_DEP_3)
	v_add_co_u32 v16, vcc_lo, s10, v16
	v_add_co_ci_u32_e32 v17, vcc_lo, s11, v17, vcc_lo
	s_delay_alu instid0(VALU_DEP_3) | instskip(NEXT) | instid1(VALU_DEP_4)
	v_add_co_u32 v18, vcc_lo, s10, v18
	v_add_co_ci_u32_e32 v19, vcc_lo, s11, v19, vcc_lo
	s_set_inst_prefetch_distance 0x1
	s_branch .LBB1244_65
	.p2align	6
.LBB1244_64:                            ;   in Loop: Header=BB1244_65 Depth=1
	s_or_b32 exec_lo, exec_lo, s24
	s_delay_alu instid0(SALU_CYCLE_1) | instskip(NEXT) | instid1(SALU_CYCLE_1)
	s_and_b32 s24, exec_lo, s25
	s_or_b32 s19, s24, s19
	s_and_not1_b32 s20, s20, exec_lo
	s_and_b32 s24, s21, exec_lo
	s_and_not1_b32 s17, s17, exec_lo
	s_and_b32 s25, s22, exec_lo
	s_or_b32 s20, s20, s24
	s_or_b32 s17, s17, s25
	s_and_not1_b32 exec_lo, exec_lo, s19
	s_cbranch_execz .LBB1244_69
.LBB1244_65:                            ; =>This Inner Loop Header: Depth=1
	global_load_u16 v20, v[16:17], off
	global_load_u16 v21, v[18:19], off
	s_or_b32 s22, s22, exec_lo
	s_mov_b32 s26, 0
	s_mov_b32 s24, exec_lo
	s_waitcnt vmcnt(0)
	v_cmpx_nlt_f16_e32 v20, v21
; %bb.66:                               ;   in Loop: Header=BB1244_65 Depth=1
	v_cmp_ngt_f16_e32 vcc_lo, v20, v21
	s_and_not1_b32 s22, s22, exec_lo
	s_and_b32 s23, vcc_lo, s23
	s_and_b32 s26, vcc_lo, exec_lo
	s_and_b32 s23, s23, exec_lo
	s_delay_alu instid0(SALU_CYCLE_1)
	s_or_b32 s22, s22, s23
; %bb.67:                               ;   in Loop: Header=BB1244_65 Depth=1
	s_or_b32 exec_lo, exec_lo, s24
	s_mov_b32 s25, -1
	s_or_b32 s21, s21, exec_lo
                                        ; implicit-def: $sgpr23
	s_and_saveexec_b32 s24, s26
	s_cbranch_execz .LBB1244_64
; %bb.68:                               ;   in Loop: Header=BB1244_65 Depth=1
	v_add_co_u32 v16, vcc_lo, v16, 2
	s_add_u32 s0, s0, -1
	s_addc_u32 s1, s1, -1
	v_add_co_ci_u32_e32 v17, vcc_lo, 0, v17, vcc_lo
	v_add_co_u32 v18, vcc_lo, v18, 2
	s_cmp_eq_u64 s[0:1], 0
	v_add_co_ci_u32_e32 v19, vcc_lo, 0, v19, vcc_lo
	s_cselect_b32 s25, -1, 0
	s_and_b32 s23, s22, exec_lo
	s_and_not1_b32 s21, s21, exec_lo
	s_or_not1_b32 s25, s25, exec_lo
	s_branch .LBB1244_64
.LBB1244_69:
	s_set_inst_prefetch_distance 0x2
	s_or_b32 exec_lo, exec_lo, s19
	s_and_saveexec_b32 s0, s20
	s_delay_alu instid0(SALU_CYCLE_1)
	s_xor_b32 s0, exec_lo, s0
; %bb.70:
	v_cndmask_b32_e64 v5, v5, v11, s17
	v_cndmask_b32_e64 v4, v4, v10, s17
	;; [unrolled: 1-line block ×4, first 2 shown]
; %bb.71:
	s_or_b32 exec_lo, exec_lo, s0
.LBB1244_72:
	s_delay_alu instid0(SALU_CYCLE_1) | instskip(SKIP_4) | instid1(VALU_DEP_2)
	s_or_b32 exec_lo, exec_lo, s12
	v_mbcnt_lo_u32_b32 v11, -1, 0
	v_and_b32_e32 v10, 0xffffff80, v37
	s_mov_b32 s12, 0
	s_mov_b32 s17, exec_lo
	v_lshlrev_b32_e32 v16, 2, v11
	s_delay_alu instid0(VALU_DEP_2) | instskip(NEXT) | instid1(VALU_DEP_2)
	v_sub_nc_u32_e64 v15, 0x400, v10 clamp
	v_or_b32_e32 v14, 4, v16
	v_and_b32_e32 v17, 4, v16
	v_and_b32_e32 v37, 0x78, v16
	s_delay_alu instid0(VALU_DEP_3) | instskip(NEXT) | instid1(VALU_DEP_1)
	v_min_u32_e32 v18, v15, v14
	v_add_nc_u32_e32 v14, 4, v18
	s_delay_alu instid0(VALU_DEP_3) | instskip(NEXT) | instid1(VALU_DEP_2)
	v_sub_nc_u32_e32 v21, v18, v37
	v_min_u32_e32 v19, v15, v14
	v_lshlrev_b32_e32 v14, 3, v10
	v_mov_b32_e32 v10, v2
	v_min_u32_e32 v38, v15, v17
	s_delay_alu instid0(VALU_DEP_4) | instskip(NEXT) | instid1(VALU_DEP_4)
	v_sub_nc_u32_e32 v20, v19, v18
	v_lshl_or_b32 v17, v11, 5, v14
	v_mov_b32_e32 v11, v3
	s_delay_alu instid0(VALU_DEP_4)
	v_min_u32_e32 v39, v38, v21
	v_lshl_or_b32 v21, v37, 3, v14
	v_sub_nc_u32_e64 v20, v38, v20 clamp
	ds_store_b128 v17, v[8:11]
	ds_store_b128 v17, v[4:7] offset:16
	; wave barrier
	v_cmpx_lt_u32_e64 v20, v39
	s_cbranch_execz .LBB1244_85
; %bb.73:
	v_lshlrev_b32_e32 v8, 3, v18
	v_lshlrev_b32_e32 v9, 3, v38
	s_lshl_b64 s[0:1], s[8:9], 1
	s_delay_alu instid0(VALU_DEP_1)
	v_add3_u32 v40, v14, v8, v9
	s_branch .LBB1244_76
.LBB1244_74:                            ;   in Loop: Header=BB1244_76 Depth=1
	s_set_inst_prefetch_distance 0x2
	s_or_b32 exec_lo, exec_lo, s22
.LBB1244_75:                            ;   in Loop: Header=BB1244_76 Depth=1
	s_delay_alu instid0(VALU_DEP_1) | instskip(SKIP_1) | instid1(VALU_DEP_2)
	v_add_nc_u32_e32 v8, 1, v41
	v_cndmask_b32_e64 v39, v39, v41, s19
	v_cndmask_b32_e64 v20, v8, v20, s19
	s_delay_alu instid0(VALU_DEP_1) | instskip(SKIP_1) | instid1(SALU_CYCLE_1)
	v_cmp_ge_u32_e32 vcc_lo, v20, v39
	s_or_b32 s12, vcc_lo, s12
	s_and_not1_b32 exec_lo, exec_lo, s12
	s_cbranch_execz .LBB1244_84
.LBB1244_76:                            ; =>This Loop Header: Depth=1
                                        ;     Child Loop BB1244_79 Depth 2
	v_add_nc_u32_e32 v8, v39, v20
	v_cmp_ne_u32_e32 vcc_lo, 1, v36
	s_delay_alu instid0(VALU_DEP_2)
	v_lshrrev_b32_e32 v41, 1, v8
	s_cbranch_vccnz .LBB1244_83
; %bb.77:                               ;   in Loop: Header=BB1244_76 Depth=1
	s_delay_alu instid0(VALU_DEP_1) | instskip(SKIP_3) | instid1(VALU_DEP_2)
	v_not_b32_e32 v8, v41
	v_lshl_add_u32 v9, v41, 3, v21
	s_mov_b32 s22, 0
	s_mov_b64 s[20:21], s[8:9]
                                        ; implicit-def: $sgpr19
                                        ; implicit-def: $sgpr23
                                        ; implicit-def: $sgpr24
	v_lshl_add_u32 v8, v8, 3, v40
	ds_load_b64 v[10:11], v8
	ds_load_b64 v[42:43], v9
	s_waitcnt lgkmcnt(1)
	v_mul_lo_u32 v44, s0, v11
	v_mul_lo_u32 v45, s1, v10
	v_mad_u64_u32 v[8:9], null, s0, v10, s[10:11]
	s_waitcnt lgkmcnt(0)
	v_mul_lo_u32 v43, s0, v43
	v_mul_lo_u32 v46, s1, v42
	v_mad_u64_u32 v[10:11], null, s0, v42, s[10:11]
	s_delay_alu instid0(VALU_DEP_4) | instskip(NEXT) | instid1(VALU_DEP_2)
	v_add3_u32 v9, v45, v9, v44
	v_add3_u32 v11, v46, v11, v43
	s_set_inst_prefetch_distance 0x1
	s_branch .LBB1244_79
	.p2align	6
.LBB1244_78:                            ;   in Loop: Header=BB1244_79 Depth=2
	s_or_b32 exec_lo, exec_lo, s27
	s_delay_alu instid0(SALU_CYCLE_1) | instskip(NEXT) | instid1(SALU_CYCLE_1)
	s_and_b32 s25, exec_lo, s26
	s_or_b32 s22, s25, s22
	s_and_not1_b32 s19, s19, exec_lo
	s_and_b32 s25, s23, exec_lo
	s_delay_alu instid0(SALU_CYCLE_1)
	s_or_b32 s19, s19, s25
	s_and_not1_b32 exec_lo, exec_lo, s22
	s_cbranch_execz .LBB1244_74
.LBB1244_79:                            ;   Parent Loop BB1244_76 Depth=1
                                        ; =>  This Inner Loop Header: Depth=2
	global_load_u16 v42, v[8:9], off
	global_load_u16 v43, v[10:11], off
	s_mov_b32 s26, -1
	s_mov_b32 s28, 0
	s_mov_b32 s25, -1
	s_mov_b32 s27, exec_lo
	s_waitcnt vmcnt(0)
	v_cmpx_nlt_f16_e32 v42, v43
; %bb.80:                               ;   in Loop: Header=BB1244_79 Depth=2
	v_cmp_ngt_f16_e32 vcc_lo, v42, v43
	s_and_b32 s24, vcc_lo, s24
	s_and_b32 s28, vcc_lo, exec_lo
	s_or_not1_b32 s25, s24, exec_lo
; %bb.81:                               ;   in Loop: Header=BB1244_79 Depth=2
	s_or_b32 exec_lo, exec_lo, s27
	s_delay_alu instid0(SALU_CYCLE_1) | instskip(SKIP_1) | instid1(SALU_CYCLE_1)
	s_and_not1_b32 s23, s23, exec_lo
	s_and_b32 s24, s25, exec_lo
	s_or_b32 s23, s23, s24
                                        ; implicit-def: $sgpr24
	s_and_saveexec_b32 s27, s28
	s_cbranch_execz .LBB1244_78
; %bb.82:                               ;   in Loop: Header=BB1244_79 Depth=2
	s_add_u32 s20, s20, -1
	s_addc_u32 s21, s21, -1
	v_add_co_u32 v8, vcc_lo, v8, 2
	s_cmp_eq_u64 s[20:21], 0
	v_add_co_ci_u32_e32 v9, vcc_lo, 0, v9, vcc_lo
	v_add_co_u32 v10, vcc_lo, v10, 2
	s_cselect_b32 s26, -1, 0
	v_add_co_ci_u32_e32 v11, vcc_lo, 0, v11, vcc_lo
	s_and_not1_b32 s23, s23, exec_lo
	s_and_b32 s24, s25, exec_lo
	s_or_not1_b32 s26, s26, exec_lo
	s_branch .LBB1244_78
.LBB1244_83:                            ;   in Loop: Header=BB1244_76 Depth=1
	s_mov_b32 s19, 0
	s_branch .LBB1244_75
.LBB1244_84:
	s_or_b32 exec_lo, exec_lo, s12
.LBB1244_85:
	s_delay_alu instid0(SALU_CYCLE_1) | instskip(SKIP_3) | instid1(VALU_DEP_3)
	s_or_b32 exec_lo, exec_lo, s17
	v_add_nc_u32_e32 v9, v18, v38
	v_add_nc_u32_e32 v8, v20, v37
	v_cmp_lt_i64_e64 s12, s[8:9], 1
	v_sub_nc_u32_e32 v9, v9, v20
	s_delay_alu instid0(VALU_DEP_3) | instskip(NEXT) | instid1(VALU_DEP_2)
	v_cmp_le_u32_e32 vcc_lo, v8, v18
	v_cmp_le_u32_e64 s0, v9, v19
	s_delay_alu instid0(VALU_DEP_1) | instskip(NEXT) | instid1(SALU_CYCLE_1)
	s_or_b32 s0, vcc_lo, s0
	s_and_saveexec_b32 s17, s0
	s_cbranch_execz .LBB1244_129
; %bb.86:
	v_cmp_ge_u32_e32 vcc_lo, v8, v18
	s_mov_b32 s1, exec_lo
                                        ; implicit-def: $vgpr0_vgpr1
	v_cmpx_lt_u32_e64 v8, v18
	s_cbranch_execz .LBB1244_88
; %bb.87:
	v_lshl_add_u32 v0, v20, 3, v21
	ds_load_b64 v[0:1], v0
.LBB1244_88:
	s_or_b32 exec_lo, exec_lo, s1
	v_cmp_ge_u32_e64 s0, v9, v19
	s_mov_b32 s19, exec_lo
                                        ; implicit-def: $vgpr2_vgpr3
	v_cmpx_lt_u32_e64 v9, v19
	s_cbranch_execz .LBB1244_90
; %bb.89:
	v_lshl_add_u32 v2, v9, 3, v14
	ds_load_b64 v[2:3], v2
.LBB1244_90:
	s_or_b32 exec_lo, exec_lo, s19
	s_or_b32 s1, vcc_lo, s0
	s_xor_b32 s19, vcc_lo, -1
	s_or_b32 s1, s1, s12
	s_or_b32 s19, s0, s19
	s_xor_b32 s1, s1, -1
	s_delay_alu instid0(SALU_CYCLE_1)
	s_and_saveexec_b32 s20, s1
	s_cbranch_execz .LBB1244_98
; %bb.91:
	s_waitcnt lgkmcnt(0)
	v_mul_lo_u32 v10, v3, s8
	v_mul_lo_u32 v11, v2, s9
	v_mad_u64_u32 v[4:5], null, v2, s8, 0
	v_mul_lo_u32 v20, v1, s8
	v_mul_lo_u32 v21, v0, s9
	v_mad_u64_u32 v[6:7], null, v0, s8, 0
	s_mov_b32 s21, 0
	s_mov_b64 s[0:1], s[8:9]
	s_delay_alu instid0(VALU_DEP_4) | instskip(NEXT) | instid1(VALU_DEP_2)
	v_add3_u32 v5, v5, v11, v10
                                        ; implicit-def: $sgpr22
                                        ; implicit-def: $sgpr23
                                        ; implicit-def: $sgpr24
	v_add3_u32 v7, v7, v21, v20
	s_delay_alu instid0(VALU_DEP_2) | instskip(NEXT) | instid1(VALU_DEP_2)
	v_lshlrev_b64 v[4:5], 1, v[4:5]
	v_lshlrev_b64 v[6:7], 1, v[6:7]
	s_delay_alu instid0(VALU_DEP_2) | instskip(NEXT) | instid1(VALU_DEP_3)
	v_add_co_u32 v4, vcc_lo, s10, v4
	v_add_co_ci_u32_e32 v5, vcc_lo, s11, v5, vcc_lo
	s_delay_alu instid0(VALU_DEP_3) | instskip(NEXT) | instid1(VALU_DEP_4)
	v_add_co_u32 v6, vcc_lo, s10, v6
	v_add_co_ci_u32_e32 v7, vcc_lo, s11, v7, vcc_lo
	s_set_inst_prefetch_distance 0x1
	s_branch .LBB1244_93
	.p2align	6
.LBB1244_92:                            ;   in Loop: Header=BB1244_93 Depth=1
	s_or_b32 exec_lo, exec_lo, s27
	s_delay_alu instid0(SALU_CYCLE_1) | instskip(NEXT) | instid1(SALU_CYCLE_1)
	s_and_b32 s25, exec_lo, s25
	s_or_b32 s21, s25, s21
	s_and_not1_b32 s22, s22, exec_lo
	s_and_b32 s25, s23, exec_lo
	s_delay_alu instid0(SALU_CYCLE_1)
	s_or_b32 s22, s22, s25
	s_and_not1_b32 exec_lo, exec_lo, s21
	s_cbranch_execz .LBB1244_97
.LBB1244_93:                            ; =>This Inner Loop Header: Depth=1
	global_load_u16 v10, v[4:5], off
	global_load_u16 v11, v[6:7], off
	s_mov_b32 s25, -1
	s_mov_b32 s28, 0
	s_mov_b32 s26, -1
	s_mov_b32 s27, exec_lo
	s_waitcnt vmcnt(0)
	v_cmpx_nlt_f16_e32 v10, v11
; %bb.94:                               ;   in Loop: Header=BB1244_93 Depth=1
	v_cmp_ngt_f16_e32 vcc_lo, v10, v11
	s_and_b32 s24, vcc_lo, s24
	s_and_b32 s28, vcc_lo, exec_lo
	s_or_not1_b32 s26, s24, exec_lo
; %bb.95:                               ;   in Loop: Header=BB1244_93 Depth=1
	s_or_b32 exec_lo, exec_lo, s27
	s_delay_alu instid0(SALU_CYCLE_1) | instskip(SKIP_1) | instid1(SALU_CYCLE_1)
	s_and_not1_b32 s23, s23, exec_lo
	s_and_b32 s24, s26, exec_lo
	s_or_b32 s23, s23, s24
                                        ; implicit-def: $sgpr24
	s_and_saveexec_b32 s27, s28
	s_cbranch_execz .LBB1244_92
; %bb.96:                               ;   in Loop: Header=BB1244_93 Depth=1
	v_add_co_u32 v4, vcc_lo, v4, 2
	s_add_u32 s0, s0, -1
	s_addc_u32 s1, s1, -1
	v_add_co_ci_u32_e32 v5, vcc_lo, 0, v5, vcc_lo
	v_add_co_u32 v6, vcc_lo, v6, 2
	s_cmp_eq_u64 s[0:1], 0
	v_add_co_ci_u32_e32 v7, vcc_lo, 0, v7, vcc_lo
	s_cselect_b32 s25, -1, 0
	s_and_b32 s24, s26, exec_lo
	s_and_not1_b32 s23, s23, exec_lo
	s_or_not1_b32 s25, s25, exec_lo
	s_branch .LBB1244_92
.LBB1244_97:
	s_set_inst_prefetch_distance 0x2
	s_or_b32 exec_lo, exec_lo, s21
	s_xor_b32 s0, s22, -1
	s_and_not1_b32 s1, s19, exec_lo
	s_and_b32 s0, s0, exec_lo
	s_delay_alu instid0(SALU_CYCLE_1)
	s_or_b32 s19, s1, s0
.LBB1244_98:
	s_or_b32 exec_lo, exec_lo, s20
	v_cndmask_b32_e64 v4, v9, v8, s19
	v_cndmask_b32_e64 v5, v19, v18, s19
	s_mov_b32 s20, -1
	s_mov_b32 s21, -1
	s_mov_b32 s22, exec_lo
	v_add_nc_u32_e32 v6, 1, v4
	v_add_nc_u32_e32 v4, -1, v5
	s_delay_alu instid0(VALU_DEP_2) | instskip(NEXT) | instid1(VALU_DEP_2)
	v_cndmask_b32_e64 v9, v6, v9, s19
	v_min_u32_e32 v4, v6, v4
	v_cndmask_b32_e64 v8, v8, v6, s19
	s_delay_alu instid0(VALU_DEP_2)
	v_lshl_add_u32 v4, v4, 3, v14
	ds_load_b64 v[4:5], v4
	s_waitcnt lgkmcnt(0)
	v_cndmask_b32_e64 v10, v5, v3, s19
	v_cndmask_b32_e64 v11, v4, v2, s19
	v_cndmask_b32_e64 v20, v1, v5, s19
	v_cndmask_b32_e64 v21, v0, v4, s19
	v_cmpx_lt_u32_e64 v9, v19
	s_cbranch_execz .LBB1244_108
; %bb.99:
	v_cmp_lt_u32_e64 s21, v8, v18
	s_xor_b32 s0, s12, -1
	s_delay_alu instid0(VALU_DEP_1) | instid1(SALU_CYCLE_1)
	s_and_b32 s0, s21, s0
	s_delay_alu instid0(SALU_CYCLE_1)
	s_and_saveexec_b32 s23, s0
	s_cbranch_execz .LBB1244_107
; %bb.100:
	v_mul_lo_u32 v37, v10, s8
	v_mul_lo_u32 v38, v11, s9
	v_mad_u64_u32 v[4:5], null, v11, s8, 0
	v_mul_lo_u32 v39, v20, s8
	v_mul_lo_u32 v40, v21, s9
	v_mad_u64_u32 v[6:7], null, v21, s8, 0
	s_mov_b32 s24, 0
	s_mov_b64 s[0:1], s[8:9]
	s_delay_alu instid0(VALU_DEP_4) | instskip(NEXT) | instid1(VALU_DEP_2)
	v_add3_u32 v5, v5, v38, v37
                                        ; implicit-def: $sgpr25
                                        ; implicit-def: $sgpr26
                                        ; implicit-def: $sgpr27
	v_add3_u32 v7, v7, v40, v39
	s_delay_alu instid0(VALU_DEP_2) | instskip(NEXT) | instid1(VALU_DEP_2)
	v_lshlrev_b64 v[4:5], 1, v[4:5]
	v_lshlrev_b64 v[6:7], 1, v[6:7]
	s_delay_alu instid0(VALU_DEP_2) | instskip(NEXT) | instid1(VALU_DEP_3)
	v_add_co_u32 v4, vcc_lo, s10, v4
	v_add_co_ci_u32_e32 v5, vcc_lo, s11, v5, vcc_lo
	s_delay_alu instid0(VALU_DEP_3) | instskip(NEXT) | instid1(VALU_DEP_4)
	v_add_co_u32 v6, vcc_lo, s10, v6
	v_add_co_ci_u32_e32 v7, vcc_lo, s11, v7, vcc_lo
	s_set_inst_prefetch_distance 0x1
	s_branch .LBB1244_102
	.p2align	6
.LBB1244_101:                           ;   in Loop: Header=BB1244_102 Depth=1
	s_or_b32 exec_lo, exec_lo, s30
	s_delay_alu instid0(SALU_CYCLE_1) | instskip(NEXT) | instid1(SALU_CYCLE_1)
	s_and_b32 s28, exec_lo, s28
	s_or_b32 s24, s28, s24
	s_and_not1_b32 s25, s25, exec_lo
	s_and_b32 s28, s26, exec_lo
	s_delay_alu instid0(SALU_CYCLE_1)
	s_or_b32 s25, s25, s28
	s_and_not1_b32 exec_lo, exec_lo, s24
	s_cbranch_execz .LBB1244_106
.LBB1244_102:                           ; =>This Inner Loop Header: Depth=1
	global_load_u16 v37, v[4:5], off
	global_load_u16 v38, v[6:7], off
	s_mov_b32 s28, -1
	s_mov_b32 s31, 0
	s_mov_b32 s29, -1
	s_mov_b32 s30, exec_lo
	s_waitcnt vmcnt(0)
	v_cmpx_nlt_f16_e32 v37, v38
; %bb.103:                              ;   in Loop: Header=BB1244_102 Depth=1
	v_cmp_ngt_f16_e32 vcc_lo, v37, v38
	s_and_b32 s27, vcc_lo, s27
	s_and_b32 s31, vcc_lo, exec_lo
	s_or_not1_b32 s29, s27, exec_lo
; %bb.104:                              ;   in Loop: Header=BB1244_102 Depth=1
	s_or_b32 exec_lo, exec_lo, s30
	s_delay_alu instid0(SALU_CYCLE_1) | instskip(SKIP_1) | instid1(SALU_CYCLE_1)
	s_and_not1_b32 s26, s26, exec_lo
	s_and_b32 s27, s29, exec_lo
	s_or_b32 s26, s26, s27
                                        ; implicit-def: $sgpr27
	s_and_saveexec_b32 s30, s31
	s_cbranch_execz .LBB1244_101
; %bb.105:                              ;   in Loop: Header=BB1244_102 Depth=1
	v_add_co_u32 v4, vcc_lo, v4, 2
	s_add_u32 s0, s0, -1
	s_addc_u32 s1, s1, -1
	v_add_co_ci_u32_e32 v5, vcc_lo, 0, v5, vcc_lo
	v_add_co_u32 v6, vcc_lo, v6, 2
	s_cmp_eq_u64 s[0:1], 0
	v_add_co_ci_u32_e32 v7, vcc_lo, 0, v7, vcc_lo
	s_cselect_b32 s28, -1, 0
	s_and_b32 s27, s29, exec_lo
	s_and_not1_b32 s26, s26, exec_lo
	s_or_not1_b32 s28, s28, exec_lo
	s_branch .LBB1244_101
.LBB1244_106:
	s_set_inst_prefetch_distance 0x2
	s_or_b32 exec_lo, exec_lo, s24
	s_xor_b32 s0, s25, -1
	s_and_not1_b32 s1, s21, exec_lo
	s_and_b32 s0, s0, exec_lo
	s_delay_alu instid0(SALU_CYCLE_1)
	s_or_b32 s21, s1, s0
.LBB1244_107:
	s_or_b32 exec_lo, exec_lo, s23
	s_delay_alu instid0(SALU_CYCLE_1)
	s_or_not1_b32 s21, s21, exec_lo
.LBB1244_108:
	s_or_b32 exec_lo, exec_lo, s22
	v_cndmask_b32_e64 v4, v9, v8, s21
	v_cndmask_b32_e64 v5, v19, v18, s21
	s_mov_b32 s22, exec_lo
	s_delay_alu instid0(VALU_DEP_2) | instskip(NEXT) | instid1(VALU_DEP_2)
	v_add_nc_u32_e32 v6, 1, v4
	v_add_nc_u32_e32 v4, -1, v5
	s_delay_alu instid0(VALU_DEP_2) | instskip(NEXT) | instid1(VALU_DEP_2)
	v_cndmask_b32_e64 v9, v6, v9, s21
	v_min_u32_e32 v4, v6, v4
	v_cndmask_b32_e64 v8, v8, v6, s21
	s_delay_alu instid0(VALU_DEP_2)
	v_lshl_add_u32 v4, v4, 3, v14
	ds_load_b64 v[4:5], v4
	s_waitcnt lgkmcnt(0)
	v_cndmask_b32_e64 v37, v5, v10, s21
	v_cndmask_b32_e64 v38, v4, v11, s21
	;; [unrolled: 1-line block ×4, first 2 shown]
	v_cmpx_lt_u32_e64 v9, v19
	s_cbranch_execz .LBB1244_118
; %bb.109:
	v_cmp_lt_u32_e64 s20, v8, v18
	s_xor_b32 s0, s12, -1
	s_delay_alu instid0(VALU_DEP_1) | instid1(SALU_CYCLE_1)
	s_and_b32 s0, s20, s0
	s_delay_alu instid0(SALU_CYCLE_1)
	s_and_saveexec_b32 s23, s0
	s_cbranch_execz .LBB1244_117
; %bb.110:
	v_mul_lo_u32 v41, v37, s8
	v_mul_lo_u32 v42, v38, s9
	v_mad_u64_u32 v[4:5], null, v38, s8, 0
	v_mul_lo_u32 v43, v39, s8
	v_mul_lo_u32 v44, v40, s9
	v_mad_u64_u32 v[6:7], null, v40, s8, 0
	s_mov_b32 s24, 0
	s_mov_b64 s[0:1], s[8:9]
	s_delay_alu instid0(VALU_DEP_4) | instskip(NEXT) | instid1(VALU_DEP_2)
	v_add3_u32 v5, v5, v42, v41
                                        ; implicit-def: $sgpr25
                                        ; implicit-def: $sgpr26
                                        ; implicit-def: $sgpr27
	v_add3_u32 v7, v7, v44, v43
	s_delay_alu instid0(VALU_DEP_2) | instskip(NEXT) | instid1(VALU_DEP_2)
	v_lshlrev_b64 v[4:5], 1, v[4:5]
	v_lshlrev_b64 v[6:7], 1, v[6:7]
	s_delay_alu instid0(VALU_DEP_2) | instskip(NEXT) | instid1(VALU_DEP_3)
	v_add_co_u32 v4, vcc_lo, s10, v4
	v_add_co_ci_u32_e32 v5, vcc_lo, s11, v5, vcc_lo
	s_delay_alu instid0(VALU_DEP_3) | instskip(NEXT) | instid1(VALU_DEP_4)
	v_add_co_u32 v6, vcc_lo, s10, v6
	v_add_co_ci_u32_e32 v7, vcc_lo, s11, v7, vcc_lo
	s_set_inst_prefetch_distance 0x1
	s_branch .LBB1244_112
	.p2align	6
.LBB1244_111:                           ;   in Loop: Header=BB1244_112 Depth=1
	s_or_b32 exec_lo, exec_lo, s30
	s_delay_alu instid0(SALU_CYCLE_1) | instskip(NEXT) | instid1(SALU_CYCLE_1)
	s_and_b32 s28, exec_lo, s28
	s_or_b32 s24, s28, s24
	s_and_not1_b32 s25, s25, exec_lo
	s_and_b32 s28, s26, exec_lo
	s_delay_alu instid0(SALU_CYCLE_1)
	s_or_b32 s25, s25, s28
	s_and_not1_b32 exec_lo, exec_lo, s24
	s_cbranch_execz .LBB1244_116
.LBB1244_112:                           ; =>This Inner Loop Header: Depth=1
	global_load_u16 v41, v[4:5], off
	global_load_u16 v42, v[6:7], off
	s_mov_b32 s28, -1
	s_mov_b32 s31, 0
	s_mov_b32 s29, -1
	s_mov_b32 s30, exec_lo
	s_waitcnt vmcnt(0)
	v_cmpx_nlt_f16_e32 v41, v42
; %bb.113:                              ;   in Loop: Header=BB1244_112 Depth=1
	v_cmp_ngt_f16_e32 vcc_lo, v41, v42
	s_and_b32 s27, vcc_lo, s27
	s_and_b32 s31, vcc_lo, exec_lo
	s_or_not1_b32 s29, s27, exec_lo
; %bb.114:                              ;   in Loop: Header=BB1244_112 Depth=1
	s_or_b32 exec_lo, exec_lo, s30
	s_delay_alu instid0(SALU_CYCLE_1) | instskip(SKIP_1) | instid1(SALU_CYCLE_1)
	s_and_not1_b32 s26, s26, exec_lo
	s_and_b32 s27, s29, exec_lo
	s_or_b32 s26, s26, s27
                                        ; implicit-def: $sgpr27
	s_and_saveexec_b32 s30, s31
	s_cbranch_execz .LBB1244_111
; %bb.115:                              ;   in Loop: Header=BB1244_112 Depth=1
	v_add_co_u32 v4, vcc_lo, v4, 2
	s_add_u32 s0, s0, -1
	s_addc_u32 s1, s1, -1
	v_add_co_ci_u32_e32 v5, vcc_lo, 0, v5, vcc_lo
	v_add_co_u32 v6, vcc_lo, v6, 2
	s_cmp_eq_u64 s[0:1], 0
	v_add_co_ci_u32_e32 v7, vcc_lo, 0, v7, vcc_lo
	s_cselect_b32 s28, -1, 0
	s_and_b32 s27, s29, exec_lo
	s_and_not1_b32 s26, s26, exec_lo
	s_or_not1_b32 s28, s28, exec_lo
	s_branch .LBB1244_111
.LBB1244_116:
	s_set_inst_prefetch_distance 0x2
	s_or_b32 exec_lo, exec_lo, s24
	s_xor_b32 s0, s25, -1
	s_and_not1_b32 s1, s20, exec_lo
	s_and_b32 s0, s0, exec_lo
	s_delay_alu instid0(SALU_CYCLE_1)
	s_or_b32 s20, s1, s0
.LBB1244_117:
	s_or_b32 exec_lo, exec_lo, s23
	s_delay_alu instid0(SALU_CYCLE_1)
	s_or_not1_b32 s20, s20, exec_lo
.LBB1244_118:
	s_or_b32 exec_lo, exec_lo, s22
	v_cndmask_b32_e64 v4, v9, v8, s20
	v_cndmask_b32_e64 v5, v19, v18, s20
	s_mov_b32 s22, exec_lo
	s_delay_alu instid0(VALU_DEP_2) | instskip(NEXT) | instid1(VALU_DEP_2)
	v_add_nc_u32_e32 v41, 1, v4
	v_add_nc_u32_e32 v4, -1, v5
	s_delay_alu instid0(VALU_DEP_2) | instskip(NEXT) | instid1(VALU_DEP_2)
	v_cndmask_b32_e64 v9, v41, v9, s20
	v_min_u32_e32 v4, v41, v4
	s_delay_alu instid0(VALU_DEP_1)
	v_lshl_add_u32 v4, v4, 3, v14
	ds_load_b64 v[4:5], v4
	s_waitcnt lgkmcnt(0)
	v_cndmask_b32_e64 v7, v39, v5, s20
	v_cndmask_b32_e64 v6, v40, v4, s20
	v_cmpx_lt_u32_e64 v9, v19
	s_cbranch_execz .LBB1244_128
; %bb.119:
	v_cndmask_b32_e64 v8, v8, v41, s20
	v_cndmask_b32_e64 v19, v5, v37, s20
	;; [unrolled: 1-line block ×3, first 2 shown]
	s_delay_alu instid0(VALU_DEP_3) | instskip(NEXT) | instid1(VALU_DEP_2)
	v_cmp_ge_u32_e32 vcc_lo, v8, v18
	v_dual_cndmask_b32 v5, v7, v19 :: v_dual_cndmask_b32 v4, v6, v41
	s_or_b32 s0, vcc_lo, s12
	s_delay_alu instid0(SALU_CYCLE_1) | instskip(NEXT) | instid1(SALU_CYCLE_1)
	s_xor_b32 s0, s0, -1
	s_and_saveexec_b32 s23, s0
	s_cbranch_execz .LBB1244_127
; %bb.120:
	v_mul_lo_u32 v18, v19, s8
	v_mul_lo_u32 v42, v41, s9
	v_mad_u64_u32 v[4:5], null, v41, s8, 0
	v_mul_lo_u32 v43, v7, s8
	v_mul_lo_u32 v44, v6, s9
	v_mad_u64_u32 v[8:9], null, v6, s8, 0
	s_mov_b32 s24, 0
	s_mov_b64 s[0:1], s[8:9]
	s_delay_alu instid0(VALU_DEP_4) | instskip(NEXT) | instid1(VALU_DEP_2)
	v_add3_u32 v5, v5, v42, v18
                                        ; implicit-def: $sgpr25
                                        ; implicit-def: $sgpr26
                                        ; implicit-def: $sgpr27
	v_add3_u32 v9, v9, v44, v43
	s_delay_alu instid0(VALU_DEP_2) | instskip(NEXT) | instid1(VALU_DEP_2)
	v_lshlrev_b64 v[4:5], 1, v[4:5]
	v_lshlrev_b64 v[8:9], 1, v[8:9]
	s_delay_alu instid0(VALU_DEP_2) | instskip(NEXT) | instid1(VALU_DEP_3)
	v_add_co_u32 v4, vcc_lo, s10, v4
	v_add_co_ci_u32_e32 v5, vcc_lo, s11, v5, vcc_lo
	s_delay_alu instid0(VALU_DEP_3) | instskip(NEXT) | instid1(VALU_DEP_4)
	v_add_co_u32 v8, vcc_lo, s10, v8
	v_add_co_ci_u32_e32 v9, vcc_lo, s11, v9, vcc_lo
	s_set_inst_prefetch_distance 0x1
	s_branch .LBB1244_122
	.p2align	6
.LBB1244_121:                           ;   in Loop: Header=BB1244_122 Depth=1
	s_or_b32 exec_lo, exec_lo, s30
	s_delay_alu instid0(SALU_CYCLE_1) | instskip(NEXT) | instid1(SALU_CYCLE_1)
	s_and_b32 s28, exec_lo, s28
	s_or_b32 s24, s28, s24
	s_and_not1_b32 s25, s25, exec_lo
	s_and_b32 s28, s26, exec_lo
	s_delay_alu instid0(SALU_CYCLE_1)
	s_or_b32 s25, s25, s28
	s_and_not1_b32 exec_lo, exec_lo, s24
	s_cbranch_execz .LBB1244_126
.LBB1244_122:                           ; =>This Inner Loop Header: Depth=1
	global_load_u16 v18, v[4:5], off
	global_load_u16 v42, v[8:9], off
	s_mov_b32 s28, -1
	s_mov_b32 s31, 0
	s_mov_b32 s29, -1
	s_mov_b32 s30, exec_lo
	s_waitcnt vmcnt(0)
	v_cmpx_nlt_f16_e32 v18, v42
; %bb.123:                              ;   in Loop: Header=BB1244_122 Depth=1
	v_cmp_ngt_f16_e32 vcc_lo, v18, v42
	s_and_b32 s27, vcc_lo, s27
	s_and_b32 s31, vcc_lo, exec_lo
	s_or_not1_b32 s29, s27, exec_lo
; %bb.124:                              ;   in Loop: Header=BB1244_122 Depth=1
	s_or_b32 exec_lo, exec_lo, s30
	s_delay_alu instid0(SALU_CYCLE_1) | instskip(SKIP_1) | instid1(SALU_CYCLE_1)
	s_and_not1_b32 s26, s26, exec_lo
	s_and_b32 s27, s29, exec_lo
	s_or_b32 s26, s26, s27
                                        ; implicit-def: $sgpr27
	s_and_saveexec_b32 s30, s31
	s_cbranch_execz .LBB1244_121
; %bb.125:                              ;   in Loop: Header=BB1244_122 Depth=1
	v_add_co_u32 v4, vcc_lo, v4, 2
	s_add_u32 s0, s0, -1
	s_addc_u32 s1, s1, -1
	v_add_co_ci_u32_e32 v5, vcc_lo, 0, v5, vcc_lo
	v_add_co_u32 v8, vcc_lo, v8, 2
	s_cmp_eq_u64 s[0:1], 0
	v_add_co_ci_u32_e32 v9, vcc_lo, 0, v9, vcc_lo
	s_cselect_b32 s28, -1, 0
	s_and_b32 s27, s29, exec_lo
	s_and_not1_b32 s26, s26, exec_lo
	s_or_not1_b32 s28, s28, exec_lo
	s_branch .LBB1244_121
.LBB1244_126:
	s_set_inst_prefetch_distance 0x2
	s_or_b32 exec_lo, exec_lo, s24
	v_cndmask_b32_e64 v5, v7, v19, s25
	v_cndmask_b32_e64 v4, v6, v41, s25
.LBB1244_127:
	s_or_b32 exec_lo, exec_lo, s23
	s_delay_alu instid0(VALU_DEP_1)
	v_dual_mov_b32 v7, v5 :: v_dual_mov_b32 v6, v4
.LBB1244_128:
	s_or_b32 exec_lo, exec_lo, s22
	v_cndmask_b32_e64 v1, v3, v1, s19
	v_cndmask_b32_e64 v0, v2, v0, s19
	;; [unrolled: 1-line block ×6, first 2 shown]
.LBB1244_129:
	s_or_b32 exec_lo, exec_lo, s17
	v_and_b32_e32 v37, 0x70, v16
	v_and_b32_e32 v9, 12, v16
	s_mov_b32 s17, exec_lo
	; wave barrier
	s_delay_alu instid0(VALU_DEP_2) | instskip(NEXT) | instid1(VALU_DEP_2)
	v_or_b32_e32 v8, 8, v37
	v_min_u32_e32 v38, v15, v9
	v_lshl_add_u32 v21, v37, 3, v14
	ds_store_b128 v17, v[0:3]
	ds_store_b128 v17, v[4:7] offset:16
	v_min_u32_e32 v18, v15, v8
	; wave barrier
	s_delay_alu instid0(VALU_DEP_1) | instskip(SKIP_1) | instid1(VALU_DEP_2)
	v_add_nc_u32_e32 v8, 8, v18
	v_sub_nc_u32_e32 v9, v18, v37
	v_min_u32_e32 v19, v15, v8
	s_delay_alu instid0(VALU_DEP_2) | instskip(NEXT) | instid1(VALU_DEP_2)
	v_min_u32_e32 v39, v38, v9
	v_sub_nc_u32_e32 v8, v19, v18
	s_delay_alu instid0(VALU_DEP_1) | instskip(NEXT) | instid1(VALU_DEP_1)
	v_sub_nc_u32_e64 v20, v38, v8 clamp
	v_cmpx_lt_u32_e64 v20, v39
	s_cbranch_execz .LBB1244_141
; %bb.130:
	v_lshlrev_b32_e32 v8, 3, v18
	v_lshlrev_b32_e32 v9, 3, v38
	s_lshl_b64 s[0:1], s[8:9], 1
	s_mov_b32 s19, 0
	s_delay_alu instid0(VALU_DEP_1)
	v_add3_u32 v40, v14, v8, v9
	s_branch .LBB1244_133
.LBB1244_131:                           ;   in Loop: Header=BB1244_133 Depth=1
	s_set_inst_prefetch_distance 0x2
	s_or_b32 exec_lo, exec_lo, s23
.LBB1244_132:                           ;   in Loop: Header=BB1244_133 Depth=1
	s_delay_alu instid0(VALU_DEP_1) | instskip(SKIP_1) | instid1(VALU_DEP_2)
	v_add_nc_u32_e32 v8, 1, v41
	v_cndmask_b32_e64 v39, v39, v41, s22
	v_cndmask_b32_e64 v20, v8, v20, s22
	s_delay_alu instid0(VALU_DEP_1) | instskip(SKIP_1) | instid1(SALU_CYCLE_1)
	v_cmp_ge_u32_e32 vcc_lo, v20, v39
	s_or_b32 s19, vcc_lo, s19
	s_and_not1_b32 exec_lo, exec_lo, s19
	s_cbranch_execz .LBB1244_140
.LBB1244_133:                           ; =>This Loop Header: Depth=1
                                        ;     Child Loop BB1244_136 Depth 2
	v_add_nc_u32_e32 v8, v39, v20
	v_cmp_ne_u32_e32 vcc_lo, 1, v36
	s_mov_b32 s22, 0
	s_delay_alu instid0(VALU_DEP_2)
	v_lshrrev_b32_e32 v41, 1, v8
	s_cbranch_vccnz .LBB1244_132
; %bb.134:                              ;   in Loop: Header=BB1244_133 Depth=1
	s_delay_alu instid0(VALU_DEP_1) | instskip(SKIP_3) | instid1(VALU_DEP_2)
	v_not_b32_e32 v8, v41
	v_lshl_add_u32 v9, v41, 3, v21
	s_mov_b32 s23, 0
	s_mov_b64 s[20:21], s[8:9]
                                        ; implicit-def: $sgpr22
                                        ; implicit-def: $sgpr24
                                        ; implicit-def: $sgpr25
	v_lshl_add_u32 v8, v8, 3, v40
	ds_load_b64 v[10:11], v8
	ds_load_b64 v[42:43], v9
	s_waitcnt lgkmcnt(1)
	v_mul_lo_u32 v44, s0, v11
	v_mul_lo_u32 v45, s1, v10
	v_mad_u64_u32 v[8:9], null, s0, v10, s[10:11]
	s_waitcnt lgkmcnt(0)
	v_mul_lo_u32 v43, s0, v43
	v_mul_lo_u32 v46, s1, v42
	v_mad_u64_u32 v[10:11], null, s0, v42, s[10:11]
	s_delay_alu instid0(VALU_DEP_4) | instskip(NEXT) | instid1(VALU_DEP_2)
	v_add3_u32 v9, v45, v9, v44
	v_add3_u32 v11, v46, v11, v43
	s_set_inst_prefetch_distance 0x1
	s_branch .LBB1244_136
	.p2align	6
.LBB1244_135:                           ;   in Loop: Header=BB1244_136 Depth=2
	s_or_b32 exec_lo, exec_lo, s28
	s_delay_alu instid0(SALU_CYCLE_1) | instskip(NEXT) | instid1(SALU_CYCLE_1)
	s_and_b32 s26, exec_lo, s27
	s_or_b32 s23, s26, s23
	s_and_not1_b32 s22, s22, exec_lo
	s_and_b32 s26, s24, exec_lo
	s_delay_alu instid0(SALU_CYCLE_1)
	s_or_b32 s22, s22, s26
	s_and_not1_b32 exec_lo, exec_lo, s23
	s_cbranch_execz .LBB1244_131
.LBB1244_136:                           ;   Parent Loop BB1244_133 Depth=1
                                        ; =>  This Inner Loop Header: Depth=2
	global_load_u16 v42, v[8:9], off
	global_load_u16 v43, v[10:11], off
	s_mov_b32 s27, -1
	s_mov_b32 s29, 0
	s_mov_b32 s26, -1
	s_mov_b32 s28, exec_lo
	s_waitcnt vmcnt(0)
	v_cmpx_nlt_f16_e32 v42, v43
; %bb.137:                              ;   in Loop: Header=BB1244_136 Depth=2
	v_cmp_ngt_f16_e32 vcc_lo, v42, v43
	s_and_b32 s25, vcc_lo, s25
	s_and_b32 s29, vcc_lo, exec_lo
	s_or_not1_b32 s26, s25, exec_lo
; %bb.138:                              ;   in Loop: Header=BB1244_136 Depth=2
	s_or_b32 exec_lo, exec_lo, s28
	s_delay_alu instid0(SALU_CYCLE_1) | instskip(SKIP_1) | instid1(SALU_CYCLE_1)
	s_and_not1_b32 s24, s24, exec_lo
	s_and_b32 s25, s26, exec_lo
	s_or_b32 s24, s24, s25
                                        ; implicit-def: $sgpr25
	s_and_saveexec_b32 s28, s29
	s_cbranch_execz .LBB1244_135
; %bb.139:                              ;   in Loop: Header=BB1244_136 Depth=2
	v_add_co_u32 v8, vcc_lo, v8, 2
	s_add_u32 s20, s20, -1
	s_addc_u32 s21, s21, -1
	v_add_co_ci_u32_e32 v9, vcc_lo, 0, v9, vcc_lo
	v_add_co_u32 v10, vcc_lo, v10, 2
	s_cmp_eq_u64 s[20:21], 0
	v_add_co_ci_u32_e32 v11, vcc_lo, 0, v11, vcc_lo
	s_cselect_b32 s27, -1, 0
	s_and_not1_b32 s24, s24, exec_lo
	s_and_b32 s25, s26, exec_lo
	s_or_not1_b32 s27, s27, exec_lo
	s_branch .LBB1244_135
.LBB1244_140:
	s_or_b32 exec_lo, exec_lo, s19
.LBB1244_141:
	s_delay_alu instid0(SALU_CYCLE_1) | instskip(SKIP_2) | instid1(VALU_DEP_2)
	s_or_b32 exec_lo, exec_lo, s17
	v_add_nc_u32_e32 v9, v18, v38
	v_add_nc_u32_e32 v8, v20, v37
	v_sub_nc_u32_e32 v9, v9, v20
	s_delay_alu instid0(VALU_DEP_2) | instskip(NEXT) | instid1(VALU_DEP_2)
	v_cmp_le_u32_e32 vcc_lo, v8, v18
	v_cmp_le_u32_e64 s0, v9, v19
	s_delay_alu instid0(VALU_DEP_1) | instskip(NEXT) | instid1(SALU_CYCLE_1)
	s_or_b32 s0, vcc_lo, s0
	s_and_saveexec_b32 s17, s0
	s_cbranch_execz .LBB1244_185
; %bb.142:
	v_cmp_ge_u32_e32 vcc_lo, v8, v18
	s_mov_b32 s1, exec_lo
                                        ; implicit-def: $vgpr0_vgpr1
	v_cmpx_lt_u32_e64 v8, v18
	s_cbranch_execz .LBB1244_144
; %bb.143:
	v_lshl_add_u32 v0, v20, 3, v21
	ds_load_b64 v[0:1], v0
.LBB1244_144:
	s_or_b32 exec_lo, exec_lo, s1
	v_cmp_ge_u32_e64 s0, v9, v19
	s_mov_b32 s19, exec_lo
                                        ; implicit-def: $vgpr4_vgpr5
	v_cmpx_lt_u32_e64 v9, v19
	s_cbranch_execz .LBB1244_146
; %bb.145:
	v_lshl_add_u32 v2, v9, 3, v14
	ds_load_b64 v[4:5], v2
.LBB1244_146:
	s_or_b32 exec_lo, exec_lo, s19
	s_or_b32 s1, vcc_lo, s0
	s_xor_b32 s19, vcc_lo, -1
	s_or_b32 s1, s1, s12
	s_or_b32 s19, s0, s19
	s_xor_b32 s1, s1, -1
	s_delay_alu instid0(SALU_CYCLE_1)
	s_and_saveexec_b32 s20, s1
	s_cbranch_execz .LBB1244_154
; %bb.147:
	s_waitcnt lgkmcnt(0)
	v_mul_lo_u32 v10, v5, s8
	v_mul_lo_u32 v11, v4, s9
	v_mad_u64_u32 v[2:3], null, v4, s8, 0
	v_mul_lo_u32 v20, v1, s8
	v_mul_lo_u32 v21, v0, s9
	v_mad_u64_u32 v[6:7], null, v0, s8, 0
	s_mov_b32 s21, 0
	s_mov_b64 s[0:1], s[8:9]
	s_delay_alu instid0(VALU_DEP_4) | instskip(NEXT) | instid1(VALU_DEP_2)
	v_add3_u32 v3, v3, v11, v10
                                        ; implicit-def: $sgpr22
                                        ; implicit-def: $sgpr23
                                        ; implicit-def: $sgpr24
	v_add3_u32 v7, v7, v21, v20
	s_delay_alu instid0(VALU_DEP_2) | instskip(NEXT) | instid1(VALU_DEP_2)
	v_lshlrev_b64 v[2:3], 1, v[2:3]
	v_lshlrev_b64 v[6:7], 1, v[6:7]
	s_delay_alu instid0(VALU_DEP_2) | instskip(NEXT) | instid1(VALU_DEP_3)
	v_add_co_u32 v2, vcc_lo, s10, v2
	v_add_co_ci_u32_e32 v3, vcc_lo, s11, v3, vcc_lo
	s_delay_alu instid0(VALU_DEP_3) | instskip(NEXT) | instid1(VALU_DEP_4)
	v_add_co_u32 v6, vcc_lo, s10, v6
	v_add_co_ci_u32_e32 v7, vcc_lo, s11, v7, vcc_lo
	s_set_inst_prefetch_distance 0x1
	s_branch .LBB1244_149
	.p2align	6
.LBB1244_148:                           ;   in Loop: Header=BB1244_149 Depth=1
	s_or_b32 exec_lo, exec_lo, s27
	s_delay_alu instid0(SALU_CYCLE_1) | instskip(NEXT) | instid1(SALU_CYCLE_1)
	s_and_b32 s25, exec_lo, s25
	s_or_b32 s21, s25, s21
	s_and_not1_b32 s22, s22, exec_lo
	s_and_b32 s25, s23, exec_lo
	s_delay_alu instid0(SALU_CYCLE_1)
	s_or_b32 s22, s22, s25
	s_and_not1_b32 exec_lo, exec_lo, s21
	s_cbranch_execz .LBB1244_153
.LBB1244_149:                           ; =>This Inner Loop Header: Depth=1
	global_load_u16 v10, v[2:3], off
	global_load_u16 v11, v[6:7], off
	s_mov_b32 s25, -1
	s_mov_b32 s28, 0
	s_mov_b32 s26, -1
	s_mov_b32 s27, exec_lo
	s_waitcnt vmcnt(0)
	v_cmpx_nlt_f16_e32 v10, v11
; %bb.150:                              ;   in Loop: Header=BB1244_149 Depth=1
	v_cmp_ngt_f16_e32 vcc_lo, v10, v11
	s_and_b32 s24, vcc_lo, s24
	s_and_b32 s28, vcc_lo, exec_lo
	s_or_not1_b32 s26, s24, exec_lo
; %bb.151:                              ;   in Loop: Header=BB1244_149 Depth=1
	s_or_b32 exec_lo, exec_lo, s27
	s_delay_alu instid0(SALU_CYCLE_1) | instskip(SKIP_1) | instid1(SALU_CYCLE_1)
	s_and_not1_b32 s23, s23, exec_lo
	s_and_b32 s24, s26, exec_lo
	s_or_b32 s23, s23, s24
                                        ; implicit-def: $sgpr24
	s_and_saveexec_b32 s27, s28
	s_cbranch_execz .LBB1244_148
; %bb.152:                              ;   in Loop: Header=BB1244_149 Depth=1
	v_add_co_u32 v2, vcc_lo, v2, 2
	s_add_u32 s0, s0, -1
	s_addc_u32 s1, s1, -1
	v_add_co_ci_u32_e32 v3, vcc_lo, 0, v3, vcc_lo
	v_add_co_u32 v6, vcc_lo, v6, 2
	s_cmp_eq_u64 s[0:1], 0
	v_add_co_ci_u32_e32 v7, vcc_lo, 0, v7, vcc_lo
	s_cselect_b32 s25, -1, 0
	s_and_b32 s24, s26, exec_lo
	s_and_not1_b32 s23, s23, exec_lo
	s_or_not1_b32 s25, s25, exec_lo
	s_branch .LBB1244_148
.LBB1244_153:
	s_set_inst_prefetch_distance 0x2
	s_or_b32 exec_lo, exec_lo, s21
	s_xor_b32 s0, s22, -1
	s_and_not1_b32 s1, s19, exec_lo
	s_and_b32 s0, s0, exec_lo
	s_delay_alu instid0(SALU_CYCLE_1)
	s_or_b32 s19, s1, s0
.LBB1244_154:
	s_or_b32 exec_lo, exec_lo, s20
	v_cndmask_b32_e64 v2, v9, v8, s19
	v_cndmask_b32_e64 v3, v19, v18, s19
	s_mov_b32 s20, -1
	s_mov_b32 s21, -1
	s_mov_b32 s22, exec_lo
	v_add_nc_u32_e32 v6, 1, v2
	v_add_nc_u32_e32 v2, -1, v3
	s_delay_alu instid0(VALU_DEP_2) | instskip(NEXT) | instid1(VALU_DEP_2)
	v_cndmask_b32_e64 v9, v6, v9, s19
	v_min_u32_e32 v2, v6, v2
	v_cndmask_b32_e64 v8, v8, v6, s19
	s_delay_alu instid0(VALU_DEP_2)
	v_lshl_add_u32 v2, v2, 3, v14
	ds_load_b64 v[2:3], v2
	s_waitcnt lgkmcnt(0)
	v_cndmask_b32_e64 v10, v3, v5, s19
	v_cndmask_b32_e64 v11, v2, v4, s19
	;; [unrolled: 1-line block ×4, first 2 shown]
	v_cmpx_lt_u32_e64 v9, v19
	s_cbranch_execz .LBB1244_164
; %bb.155:
	v_cmp_lt_u32_e64 s21, v8, v18
	s_xor_b32 s0, s12, -1
	s_delay_alu instid0(VALU_DEP_1) | instid1(SALU_CYCLE_1)
	s_and_b32 s0, s21, s0
	s_delay_alu instid0(SALU_CYCLE_1)
	s_and_saveexec_b32 s23, s0
	s_cbranch_execz .LBB1244_163
; %bb.156:
	v_mul_lo_u32 v37, v10, s8
	v_mul_lo_u32 v38, v11, s9
	v_mad_u64_u32 v[2:3], null, v11, s8, 0
	v_mul_lo_u32 v39, v20, s8
	v_mul_lo_u32 v40, v21, s9
	v_mad_u64_u32 v[6:7], null, v21, s8, 0
	s_mov_b32 s24, 0
	s_mov_b64 s[0:1], s[8:9]
	s_delay_alu instid0(VALU_DEP_4) | instskip(NEXT) | instid1(VALU_DEP_2)
	v_add3_u32 v3, v3, v38, v37
                                        ; implicit-def: $sgpr25
                                        ; implicit-def: $sgpr26
                                        ; implicit-def: $sgpr27
	v_add3_u32 v7, v7, v40, v39
	s_delay_alu instid0(VALU_DEP_2) | instskip(NEXT) | instid1(VALU_DEP_2)
	v_lshlrev_b64 v[2:3], 1, v[2:3]
	v_lshlrev_b64 v[6:7], 1, v[6:7]
	s_delay_alu instid0(VALU_DEP_2) | instskip(NEXT) | instid1(VALU_DEP_3)
	v_add_co_u32 v2, vcc_lo, s10, v2
	v_add_co_ci_u32_e32 v3, vcc_lo, s11, v3, vcc_lo
	s_delay_alu instid0(VALU_DEP_3) | instskip(NEXT) | instid1(VALU_DEP_4)
	v_add_co_u32 v6, vcc_lo, s10, v6
	v_add_co_ci_u32_e32 v7, vcc_lo, s11, v7, vcc_lo
	s_set_inst_prefetch_distance 0x1
	s_branch .LBB1244_158
	.p2align	6
.LBB1244_157:                           ;   in Loop: Header=BB1244_158 Depth=1
	s_or_b32 exec_lo, exec_lo, s30
	s_delay_alu instid0(SALU_CYCLE_1) | instskip(NEXT) | instid1(SALU_CYCLE_1)
	s_and_b32 s28, exec_lo, s28
	s_or_b32 s24, s28, s24
	s_and_not1_b32 s25, s25, exec_lo
	s_and_b32 s28, s26, exec_lo
	s_delay_alu instid0(SALU_CYCLE_1)
	s_or_b32 s25, s25, s28
	s_and_not1_b32 exec_lo, exec_lo, s24
	s_cbranch_execz .LBB1244_162
.LBB1244_158:                           ; =>This Inner Loop Header: Depth=1
	global_load_u16 v37, v[2:3], off
	global_load_u16 v38, v[6:7], off
	s_mov_b32 s28, -1
	s_mov_b32 s31, 0
	s_mov_b32 s29, -1
	s_mov_b32 s30, exec_lo
	s_waitcnt vmcnt(0)
	v_cmpx_nlt_f16_e32 v37, v38
; %bb.159:                              ;   in Loop: Header=BB1244_158 Depth=1
	v_cmp_ngt_f16_e32 vcc_lo, v37, v38
	s_and_b32 s27, vcc_lo, s27
	s_and_b32 s31, vcc_lo, exec_lo
	s_or_not1_b32 s29, s27, exec_lo
; %bb.160:                              ;   in Loop: Header=BB1244_158 Depth=1
	s_or_b32 exec_lo, exec_lo, s30
	s_delay_alu instid0(SALU_CYCLE_1) | instskip(SKIP_1) | instid1(SALU_CYCLE_1)
	s_and_not1_b32 s26, s26, exec_lo
	s_and_b32 s27, s29, exec_lo
	s_or_b32 s26, s26, s27
                                        ; implicit-def: $sgpr27
	s_and_saveexec_b32 s30, s31
	s_cbranch_execz .LBB1244_157
; %bb.161:                              ;   in Loop: Header=BB1244_158 Depth=1
	v_add_co_u32 v2, vcc_lo, v2, 2
	s_add_u32 s0, s0, -1
	s_addc_u32 s1, s1, -1
	v_add_co_ci_u32_e32 v3, vcc_lo, 0, v3, vcc_lo
	v_add_co_u32 v6, vcc_lo, v6, 2
	s_cmp_eq_u64 s[0:1], 0
	v_add_co_ci_u32_e32 v7, vcc_lo, 0, v7, vcc_lo
	s_cselect_b32 s28, -1, 0
	s_and_b32 s27, s29, exec_lo
	s_and_not1_b32 s26, s26, exec_lo
	s_or_not1_b32 s28, s28, exec_lo
	s_branch .LBB1244_157
.LBB1244_162:
	s_set_inst_prefetch_distance 0x2
	s_or_b32 exec_lo, exec_lo, s24
	s_xor_b32 s0, s25, -1
	s_and_not1_b32 s1, s21, exec_lo
	s_and_b32 s0, s0, exec_lo
	s_delay_alu instid0(SALU_CYCLE_1)
	s_or_b32 s21, s1, s0
.LBB1244_163:
	s_or_b32 exec_lo, exec_lo, s23
	s_delay_alu instid0(SALU_CYCLE_1)
	s_or_not1_b32 s21, s21, exec_lo
.LBB1244_164:
	s_or_b32 exec_lo, exec_lo, s22
	v_cndmask_b32_e64 v2, v9, v8, s21
	v_cndmask_b32_e64 v3, v19, v18, s21
	s_mov_b32 s22, exec_lo
	s_delay_alu instid0(VALU_DEP_2) | instskip(NEXT) | instid1(VALU_DEP_2)
	v_add_nc_u32_e32 v6, 1, v2
	v_add_nc_u32_e32 v2, -1, v3
	s_delay_alu instid0(VALU_DEP_2) | instskip(NEXT) | instid1(VALU_DEP_2)
	v_cndmask_b32_e64 v40, v6, v9, s21
	v_min_u32_e32 v2, v6, v2
	v_cndmask_b32_e64 v37, v8, v6, s21
	s_delay_alu instid0(VALU_DEP_2)
	v_lshl_add_u32 v2, v2, 3, v14
	ds_load_b64 v[2:3], v2
	s_waitcnt lgkmcnt(0)
	v_cndmask_b32_e64 v38, v3, v10, s21
	v_cndmask_b32_e64 v39, v2, v11, s21
	;; [unrolled: 1-line block ×4, first 2 shown]
	v_cmpx_lt_u32_e64 v40, v19
	s_cbranch_execz .LBB1244_174
; %bb.165:
	v_cmp_lt_u32_e64 s20, v37, v18
	s_xor_b32 s0, s12, -1
	s_delay_alu instid0(VALU_DEP_1) | instid1(SALU_CYCLE_1)
	s_and_b32 s0, s20, s0
	s_delay_alu instid0(SALU_CYCLE_1)
	s_and_saveexec_b32 s23, s0
	s_cbranch_execz .LBB1244_173
; %bb.166:
	v_mul_lo_u32 v8, v38, s8
	v_mul_lo_u32 v9, v39, s9
	v_mad_u64_u32 v[2:3], null, v39, s8, 0
	v_mul_lo_u32 v43, v41, s8
	v_mul_lo_u32 v44, v42, s9
	v_mad_u64_u32 v[6:7], null, v42, s8, 0
	s_mov_b32 s24, 0
	s_mov_b64 s[0:1], s[8:9]
	s_delay_alu instid0(VALU_DEP_4) | instskip(NEXT) | instid1(VALU_DEP_2)
	v_add3_u32 v3, v3, v9, v8
                                        ; implicit-def: $sgpr25
                                        ; implicit-def: $sgpr26
                                        ; implicit-def: $sgpr27
	v_add3_u32 v7, v7, v44, v43
	s_delay_alu instid0(VALU_DEP_2) | instskip(NEXT) | instid1(VALU_DEP_2)
	v_lshlrev_b64 v[2:3], 1, v[2:3]
	v_lshlrev_b64 v[6:7], 1, v[6:7]
	s_delay_alu instid0(VALU_DEP_2) | instskip(NEXT) | instid1(VALU_DEP_3)
	v_add_co_u32 v2, vcc_lo, s10, v2
	v_add_co_ci_u32_e32 v3, vcc_lo, s11, v3, vcc_lo
	s_delay_alu instid0(VALU_DEP_3) | instskip(NEXT) | instid1(VALU_DEP_4)
	v_add_co_u32 v6, vcc_lo, s10, v6
	v_add_co_ci_u32_e32 v7, vcc_lo, s11, v7, vcc_lo
	s_set_inst_prefetch_distance 0x1
	s_branch .LBB1244_168
	.p2align	6
.LBB1244_167:                           ;   in Loop: Header=BB1244_168 Depth=1
	s_or_b32 exec_lo, exec_lo, s30
	s_delay_alu instid0(SALU_CYCLE_1) | instskip(NEXT) | instid1(SALU_CYCLE_1)
	s_and_b32 s28, exec_lo, s28
	s_or_b32 s24, s28, s24
	s_and_not1_b32 s25, s25, exec_lo
	s_and_b32 s28, s26, exec_lo
	s_delay_alu instid0(SALU_CYCLE_1)
	s_or_b32 s25, s25, s28
	s_and_not1_b32 exec_lo, exec_lo, s24
	s_cbranch_execz .LBB1244_172
.LBB1244_168:                           ; =>This Inner Loop Header: Depth=1
	global_load_u16 v8, v[2:3], off
	global_load_u16 v9, v[6:7], off
	s_mov_b32 s28, -1
	s_mov_b32 s31, 0
	s_mov_b32 s29, -1
	s_mov_b32 s30, exec_lo
	s_waitcnt vmcnt(0)
	v_cmpx_nlt_f16_e32 v8, v9
; %bb.169:                              ;   in Loop: Header=BB1244_168 Depth=1
	v_cmp_ngt_f16_e32 vcc_lo, v8, v9
	s_and_b32 s27, vcc_lo, s27
	s_and_b32 s31, vcc_lo, exec_lo
	s_or_not1_b32 s29, s27, exec_lo
; %bb.170:                              ;   in Loop: Header=BB1244_168 Depth=1
	s_or_b32 exec_lo, exec_lo, s30
	s_delay_alu instid0(SALU_CYCLE_1) | instskip(SKIP_1) | instid1(SALU_CYCLE_1)
	s_and_not1_b32 s26, s26, exec_lo
	s_and_b32 s27, s29, exec_lo
	s_or_b32 s26, s26, s27
                                        ; implicit-def: $sgpr27
	s_and_saveexec_b32 s30, s31
	s_cbranch_execz .LBB1244_167
; %bb.171:                              ;   in Loop: Header=BB1244_168 Depth=1
	v_add_co_u32 v2, vcc_lo, v2, 2
	s_add_u32 s0, s0, -1
	s_addc_u32 s1, s1, -1
	v_add_co_ci_u32_e32 v3, vcc_lo, 0, v3, vcc_lo
	v_add_co_u32 v6, vcc_lo, v6, 2
	s_cmp_eq_u64 s[0:1], 0
	v_add_co_ci_u32_e32 v7, vcc_lo, 0, v7, vcc_lo
	s_cselect_b32 s28, -1, 0
	s_and_b32 s27, s29, exec_lo
	s_and_not1_b32 s26, s26, exec_lo
	s_or_not1_b32 s28, s28, exec_lo
	s_branch .LBB1244_167
.LBB1244_172:
	s_set_inst_prefetch_distance 0x2
	s_or_b32 exec_lo, exec_lo, s24
	s_xor_b32 s0, s25, -1
	s_and_not1_b32 s1, s20, exec_lo
	s_and_b32 s0, s0, exec_lo
	s_delay_alu instid0(SALU_CYCLE_1)
	s_or_b32 s20, s1, s0
.LBB1244_173:
	s_or_b32 exec_lo, exec_lo, s23
	s_delay_alu instid0(SALU_CYCLE_1)
	s_or_not1_b32 s20, s20, exec_lo
.LBB1244_174:
	s_or_b32 exec_lo, exec_lo, s22
	v_cndmask_b32_e64 v2, v40, v37, s20
	v_cndmask_b32_e64 v3, v19, v18, s20
	;; [unrolled: 1-line block ×5, first 2 shown]
	v_add_nc_u32_e32 v43, 1, v2
	v_add_nc_u32_e32 v2, -1, v3
	v_cndmask_b32_e64 v3, v10, v20, s21
	v_cndmask_b32_e64 v4, v39, v42, s20
	s_mov_b32 s19, exec_lo
	v_cndmask_b32_e64 v10, v43, v40, s20
	v_min_u32_e32 v2, v43, v2
	s_delay_alu instid0(VALU_DEP_1)
	v_lshl_add_u32 v2, v2, 3, v14
	ds_load_b64 v[8:9], v2
	v_cndmask_b32_e64 v2, v11, v21, s21
	s_waitcnt lgkmcnt(0)
	v_cndmask_b32_e64 v7, v41, v9, s20
	v_cndmask_b32_e64 v6, v42, v8, s20
	v_cmpx_lt_u32_e64 v10, v19
	s_cbranch_execz .LBB1244_184
; %bb.175:
	v_cndmask_b32_e64 v10, v37, v43, s20
	v_cndmask_b32_e64 v19, v9, v38, s20
	;; [unrolled: 1-line block ×3, first 2 shown]
	s_delay_alu instid0(VALU_DEP_3) | instskip(NEXT) | instid1(VALU_DEP_2)
	v_cmp_ge_u32_e32 vcc_lo, v10, v18
	v_dual_cndmask_b32 v9, v7, v19 :: v_dual_cndmask_b32 v8, v6, v20
	s_or_b32 s0, vcc_lo, s12
	s_delay_alu instid0(SALU_CYCLE_1) | instskip(NEXT) | instid1(SALU_CYCLE_1)
	s_xor_b32 s0, s0, -1
	s_and_saveexec_b32 s20, s0
	s_cbranch_execz .LBB1244_183
; %bb.176:
	v_mul_lo_u32 v18, v19, s8
	v_mul_lo_u32 v21, v20, s9
	v_mad_u64_u32 v[8:9], null, v20, s8, 0
	v_mul_lo_u32 v37, v7, s8
	v_mul_lo_u32 v38, v6, s9
	v_mad_u64_u32 v[10:11], null, v6, s8, 0
	s_mov_b32 s21, 0
	s_mov_b64 s[0:1], s[8:9]
	s_delay_alu instid0(VALU_DEP_4) | instskip(NEXT) | instid1(VALU_DEP_2)
	v_add3_u32 v9, v9, v21, v18
                                        ; implicit-def: $sgpr22
                                        ; implicit-def: $sgpr23
                                        ; implicit-def: $sgpr24
	v_add3_u32 v11, v11, v38, v37
	s_delay_alu instid0(VALU_DEP_2) | instskip(NEXT) | instid1(VALU_DEP_2)
	v_lshlrev_b64 v[8:9], 1, v[8:9]
	v_lshlrev_b64 v[10:11], 1, v[10:11]
	s_delay_alu instid0(VALU_DEP_2) | instskip(NEXT) | instid1(VALU_DEP_3)
	v_add_co_u32 v8, vcc_lo, s10, v8
	v_add_co_ci_u32_e32 v9, vcc_lo, s11, v9, vcc_lo
	s_delay_alu instid0(VALU_DEP_3) | instskip(NEXT) | instid1(VALU_DEP_4)
	v_add_co_u32 v10, vcc_lo, s10, v10
	v_add_co_ci_u32_e32 v11, vcc_lo, s11, v11, vcc_lo
	s_set_inst_prefetch_distance 0x1
	s_branch .LBB1244_178
	.p2align	6
.LBB1244_177:                           ;   in Loop: Header=BB1244_178 Depth=1
	s_or_b32 exec_lo, exec_lo, s27
	s_delay_alu instid0(SALU_CYCLE_1) | instskip(NEXT) | instid1(SALU_CYCLE_1)
	s_and_b32 s25, exec_lo, s25
	s_or_b32 s21, s25, s21
	s_and_not1_b32 s22, s22, exec_lo
	s_and_b32 s25, s23, exec_lo
	s_delay_alu instid0(SALU_CYCLE_1)
	s_or_b32 s22, s22, s25
	s_and_not1_b32 exec_lo, exec_lo, s21
	s_cbranch_execz .LBB1244_182
.LBB1244_178:                           ; =>This Inner Loop Header: Depth=1
	global_load_u16 v18, v[8:9], off
	global_load_u16 v21, v[10:11], off
	s_mov_b32 s25, -1
	s_mov_b32 s28, 0
	s_mov_b32 s26, -1
	s_mov_b32 s27, exec_lo
	s_waitcnt vmcnt(0)
	v_cmpx_nlt_f16_e32 v18, v21
; %bb.179:                              ;   in Loop: Header=BB1244_178 Depth=1
	v_cmp_ngt_f16_e32 vcc_lo, v18, v21
	s_and_b32 s24, vcc_lo, s24
	s_and_b32 s28, vcc_lo, exec_lo
	s_or_not1_b32 s26, s24, exec_lo
; %bb.180:                              ;   in Loop: Header=BB1244_178 Depth=1
	s_or_b32 exec_lo, exec_lo, s27
	s_delay_alu instid0(SALU_CYCLE_1) | instskip(SKIP_1) | instid1(SALU_CYCLE_1)
	s_and_not1_b32 s23, s23, exec_lo
	s_and_b32 s24, s26, exec_lo
	s_or_b32 s23, s23, s24
                                        ; implicit-def: $sgpr24
	s_and_saveexec_b32 s27, s28
	s_cbranch_execz .LBB1244_177
; %bb.181:                              ;   in Loop: Header=BB1244_178 Depth=1
	v_add_co_u32 v8, vcc_lo, v8, 2
	s_add_u32 s0, s0, -1
	s_addc_u32 s1, s1, -1
	v_add_co_ci_u32_e32 v9, vcc_lo, 0, v9, vcc_lo
	v_add_co_u32 v10, vcc_lo, v10, 2
	s_cmp_eq_u64 s[0:1], 0
	v_add_co_ci_u32_e32 v11, vcc_lo, 0, v11, vcc_lo
	s_cselect_b32 s25, -1, 0
	s_and_b32 s24, s26, exec_lo
	s_and_not1_b32 s23, s23, exec_lo
	s_or_not1_b32 s25, s25, exec_lo
	s_branch .LBB1244_177
.LBB1244_182:
	s_set_inst_prefetch_distance 0x2
	s_or_b32 exec_lo, exec_lo, s21
	v_cndmask_b32_e64 v9, v7, v19, s22
	v_cndmask_b32_e64 v8, v6, v20, s22
.LBB1244_183:
	s_or_b32 exec_lo, exec_lo, s20
	s_delay_alu instid0(VALU_DEP_1)
	v_dual_mov_b32 v6, v8 :: v_dual_mov_b32 v7, v9
.LBB1244_184:
	s_or_b32 exec_lo, exec_lo, s19
.LBB1244_185:
	s_delay_alu instid0(SALU_CYCLE_1) | instskip(SKIP_3) | instid1(VALU_DEP_2)
	s_or_b32 exec_lo, exec_lo, s17
	v_and_b32_e32 v37, 0x60, v16
	v_and_b32_e32 v9, 28, v16
	s_mov_b32 s17, exec_lo
	; wave barrier
	v_or_b32_e32 v8, 16, v37
	s_delay_alu instid0(VALU_DEP_2) | instskip(SKIP_4) | instid1(VALU_DEP_1)
	v_min_u32_e32 v38, v15, v9
	v_lshl_add_u32 v21, v37, 3, v14
	ds_store_b128 v17, v[0:3]
	ds_store_b128 v17, v[4:7] offset:16
	v_min_u32_e32 v18, v15, v8
	; wave barrier
	v_add_nc_u32_e32 v8, 16, v18
	v_sub_nc_u32_e32 v9, v18, v37
	s_delay_alu instid0(VALU_DEP_2) | instskip(NEXT) | instid1(VALU_DEP_2)
	v_min_u32_e32 v19, v15, v8
	v_min_u32_e32 v39, v38, v9
	s_delay_alu instid0(VALU_DEP_2) | instskip(NEXT) | instid1(VALU_DEP_1)
	v_sub_nc_u32_e32 v8, v19, v18
	v_sub_nc_u32_e64 v20, v38, v8 clamp
	s_delay_alu instid0(VALU_DEP_1)
	v_cmpx_lt_u32_e64 v20, v39
	s_cbranch_execz .LBB1244_197
; %bb.186:
	v_lshlrev_b32_e32 v8, 3, v18
	v_lshlrev_b32_e32 v9, 3, v38
	s_lshl_b64 s[0:1], s[8:9], 1
	s_mov_b32 s19, 0
	s_delay_alu instid0(VALU_DEP_1)
	v_add3_u32 v40, v14, v8, v9
	s_branch .LBB1244_189
.LBB1244_187:                           ;   in Loop: Header=BB1244_189 Depth=1
	s_set_inst_prefetch_distance 0x2
	s_or_b32 exec_lo, exec_lo, s23
.LBB1244_188:                           ;   in Loop: Header=BB1244_189 Depth=1
	s_delay_alu instid0(VALU_DEP_1) | instskip(SKIP_1) | instid1(VALU_DEP_2)
	v_add_nc_u32_e32 v8, 1, v41
	v_cndmask_b32_e64 v39, v39, v41, s22
	v_cndmask_b32_e64 v20, v8, v20, s22
	s_delay_alu instid0(VALU_DEP_1) | instskip(SKIP_1) | instid1(SALU_CYCLE_1)
	v_cmp_ge_u32_e32 vcc_lo, v20, v39
	s_or_b32 s19, vcc_lo, s19
	s_and_not1_b32 exec_lo, exec_lo, s19
	s_cbranch_execz .LBB1244_196
.LBB1244_189:                           ; =>This Loop Header: Depth=1
                                        ;     Child Loop BB1244_192 Depth 2
	v_add_nc_u32_e32 v8, v39, v20
	v_cmp_ne_u32_e32 vcc_lo, 1, v36
	s_mov_b32 s22, 0
	s_delay_alu instid0(VALU_DEP_2)
	v_lshrrev_b32_e32 v41, 1, v8
	s_cbranch_vccnz .LBB1244_188
; %bb.190:                              ;   in Loop: Header=BB1244_189 Depth=1
	s_delay_alu instid0(VALU_DEP_1) | instskip(SKIP_3) | instid1(VALU_DEP_2)
	v_not_b32_e32 v8, v41
	v_lshl_add_u32 v9, v41, 3, v21
	s_mov_b32 s23, 0
	s_mov_b64 s[20:21], s[8:9]
                                        ; implicit-def: $sgpr22
                                        ; implicit-def: $sgpr24
                                        ; implicit-def: $sgpr25
	v_lshl_add_u32 v8, v8, 3, v40
	ds_load_b64 v[10:11], v8
	ds_load_b64 v[42:43], v9
	s_waitcnt lgkmcnt(1)
	v_mul_lo_u32 v44, s0, v11
	v_mul_lo_u32 v45, s1, v10
	v_mad_u64_u32 v[8:9], null, s0, v10, s[10:11]
	s_waitcnt lgkmcnt(0)
	v_mul_lo_u32 v43, s0, v43
	v_mul_lo_u32 v46, s1, v42
	v_mad_u64_u32 v[10:11], null, s0, v42, s[10:11]
	s_delay_alu instid0(VALU_DEP_4) | instskip(NEXT) | instid1(VALU_DEP_2)
	v_add3_u32 v9, v45, v9, v44
	v_add3_u32 v11, v46, v11, v43
	s_set_inst_prefetch_distance 0x1
	s_branch .LBB1244_192
	.p2align	6
.LBB1244_191:                           ;   in Loop: Header=BB1244_192 Depth=2
	s_or_b32 exec_lo, exec_lo, s28
	s_delay_alu instid0(SALU_CYCLE_1) | instskip(NEXT) | instid1(SALU_CYCLE_1)
	s_and_b32 s26, exec_lo, s27
	s_or_b32 s23, s26, s23
	s_and_not1_b32 s22, s22, exec_lo
	s_and_b32 s26, s24, exec_lo
	s_delay_alu instid0(SALU_CYCLE_1)
	s_or_b32 s22, s22, s26
	s_and_not1_b32 exec_lo, exec_lo, s23
	s_cbranch_execz .LBB1244_187
.LBB1244_192:                           ;   Parent Loop BB1244_189 Depth=1
                                        ; =>  This Inner Loop Header: Depth=2
	global_load_u16 v42, v[8:9], off
	global_load_u16 v43, v[10:11], off
	s_mov_b32 s27, -1
	s_mov_b32 s29, 0
	s_mov_b32 s26, -1
	s_mov_b32 s28, exec_lo
	s_waitcnt vmcnt(0)
	v_cmpx_nlt_f16_e32 v42, v43
; %bb.193:                              ;   in Loop: Header=BB1244_192 Depth=2
	v_cmp_ngt_f16_e32 vcc_lo, v42, v43
	s_and_b32 s25, vcc_lo, s25
	s_and_b32 s29, vcc_lo, exec_lo
	s_or_not1_b32 s26, s25, exec_lo
; %bb.194:                              ;   in Loop: Header=BB1244_192 Depth=2
	s_or_b32 exec_lo, exec_lo, s28
	s_delay_alu instid0(SALU_CYCLE_1) | instskip(SKIP_1) | instid1(SALU_CYCLE_1)
	s_and_not1_b32 s24, s24, exec_lo
	s_and_b32 s25, s26, exec_lo
	s_or_b32 s24, s24, s25
                                        ; implicit-def: $sgpr25
	s_and_saveexec_b32 s28, s29
	s_cbranch_execz .LBB1244_191
; %bb.195:                              ;   in Loop: Header=BB1244_192 Depth=2
	v_add_co_u32 v8, vcc_lo, v8, 2
	s_add_u32 s20, s20, -1
	s_addc_u32 s21, s21, -1
	v_add_co_ci_u32_e32 v9, vcc_lo, 0, v9, vcc_lo
	v_add_co_u32 v10, vcc_lo, v10, 2
	s_cmp_eq_u64 s[20:21], 0
	v_add_co_ci_u32_e32 v11, vcc_lo, 0, v11, vcc_lo
	s_cselect_b32 s27, -1, 0
	s_and_not1_b32 s24, s24, exec_lo
	s_and_b32 s25, s26, exec_lo
	s_or_not1_b32 s27, s27, exec_lo
	s_branch .LBB1244_191
.LBB1244_196:
	s_or_b32 exec_lo, exec_lo, s19
.LBB1244_197:
	s_delay_alu instid0(SALU_CYCLE_1) | instskip(SKIP_2) | instid1(VALU_DEP_2)
	s_or_b32 exec_lo, exec_lo, s17
	v_add_nc_u32_e32 v9, v18, v38
	v_add_nc_u32_e32 v8, v20, v37
	v_sub_nc_u32_e32 v9, v9, v20
	s_delay_alu instid0(VALU_DEP_2) | instskip(NEXT) | instid1(VALU_DEP_2)
	v_cmp_le_u32_e32 vcc_lo, v8, v18
	v_cmp_le_u32_e64 s0, v9, v19
	s_delay_alu instid0(VALU_DEP_1) | instskip(NEXT) | instid1(SALU_CYCLE_1)
	s_or_b32 s0, vcc_lo, s0
	s_and_saveexec_b32 s17, s0
	s_cbranch_execz .LBB1244_241
; %bb.198:
	v_cmp_ge_u32_e32 vcc_lo, v8, v18
	s_mov_b32 s1, exec_lo
                                        ; implicit-def: $vgpr0_vgpr1
	v_cmpx_lt_u32_e64 v8, v18
	s_cbranch_execz .LBB1244_200
; %bb.199:
	v_lshl_add_u32 v0, v20, 3, v21
	ds_load_b64 v[0:1], v0
.LBB1244_200:
	s_or_b32 exec_lo, exec_lo, s1
	v_cmp_ge_u32_e64 s0, v9, v19
	s_mov_b32 s19, exec_lo
                                        ; implicit-def: $vgpr4_vgpr5
	v_cmpx_lt_u32_e64 v9, v19
	s_cbranch_execz .LBB1244_202
; %bb.201:
	v_lshl_add_u32 v2, v9, 3, v14
	ds_load_b64 v[4:5], v2
.LBB1244_202:
	s_or_b32 exec_lo, exec_lo, s19
	s_or_b32 s1, vcc_lo, s0
	s_xor_b32 s19, vcc_lo, -1
	s_or_b32 s1, s1, s12
	s_or_b32 s19, s0, s19
	s_xor_b32 s1, s1, -1
	s_delay_alu instid0(SALU_CYCLE_1)
	s_and_saveexec_b32 s20, s1
	s_cbranch_execz .LBB1244_210
; %bb.203:
	s_waitcnt lgkmcnt(0)
	v_mul_lo_u32 v10, v5, s8
	v_mul_lo_u32 v11, v4, s9
	v_mad_u64_u32 v[2:3], null, v4, s8, 0
	v_mul_lo_u32 v20, v1, s8
	v_mul_lo_u32 v21, v0, s9
	v_mad_u64_u32 v[6:7], null, v0, s8, 0
	s_mov_b32 s21, 0
	s_mov_b64 s[0:1], s[8:9]
	s_delay_alu instid0(VALU_DEP_4) | instskip(NEXT) | instid1(VALU_DEP_2)
	v_add3_u32 v3, v3, v11, v10
                                        ; implicit-def: $sgpr22
                                        ; implicit-def: $sgpr23
                                        ; implicit-def: $sgpr24
	v_add3_u32 v7, v7, v21, v20
	s_delay_alu instid0(VALU_DEP_2) | instskip(NEXT) | instid1(VALU_DEP_2)
	v_lshlrev_b64 v[2:3], 1, v[2:3]
	v_lshlrev_b64 v[6:7], 1, v[6:7]
	s_delay_alu instid0(VALU_DEP_2) | instskip(NEXT) | instid1(VALU_DEP_3)
	v_add_co_u32 v2, vcc_lo, s10, v2
	v_add_co_ci_u32_e32 v3, vcc_lo, s11, v3, vcc_lo
	s_delay_alu instid0(VALU_DEP_3) | instskip(NEXT) | instid1(VALU_DEP_4)
	v_add_co_u32 v6, vcc_lo, s10, v6
	v_add_co_ci_u32_e32 v7, vcc_lo, s11, v7, vcc_lo
	s_set_inst_prefetch_distance 0x1
	s_branch .LBB1244_205
	.p2align	6
.LBB1244_204:                           ;   in Loop: Header=BB1244_205 Depth=1
	s_or_b32 exec_lo, exec_lo, s27
	s_delay_alu instid0(SALU_CYCLE_1) | instskip(NEXT) | instid1(SALU_CYCLE_1)
	s_and_b32 s25, exec_lo, s25
	s_or_b32 s21, s25, s21
	s_and_not1_b32 s22, s22, exec_lo
	s_and_b32 s25, s23, exec_lo
	s_delay_alu instid0(SALU_CYCLE_1)
	s_or_b32 s22, s22, s25
	s_and_not1_b32 exec_lo, exec_lo, s21
	s_cbranch_execz .LBB1244_209
.LBB1244_205:                           ; =>This Inner Loop Header: Depth=1
	global_load_u16 v10, v[2:3], off
	global_load_u16 v11, v[6:7], off
	s_mov_b32 s25, -1
	s_mov_b32 s28, 0
	s_mov_b32 s26, -1
	s_mov_b32 s27, exec_lo
	s_waitcnt vmcnt(0)
	v_cmpx_nlt_f16_e32 v10, v11
; %bb.206:                              ;   in Loop: Header=BB1244_205 Depth=1
	v_cmp_ngt_f16_e32 vcc_lo, v10, v11
	s_and_b32 s24, vcc_lo, s24
	s_and_b32 s28, vcc_lo, exec_lo
	s_or_not1_b32 s26, s24, exec_lo
; %bb.207:                              ;   in Loop: Header=BB1244_205 Depth=1
	s_or_b32 exec_lo, exec_lo, s27
	s_delay_alu instid0(SALU_CYCLE_1) | instskip(SKIP_1) | instid1(SALU_CYCLE_1)
	s_and_not1_b32 s23, s23, exec_lo
	s_and_b32 s24, s26, exec_lo
	s_or_b32 s23, s23, s24
                                        ; implicit-def: $sgpr24
	s_and_saveexec_b32 s27, s28
	s_cbranch_execz .LBB1244_204
; %bb.208:                              ;   in Loop: Header=BB1244_205 Depth=1
	v_add_co_u32 v2, vcc_lo, v2, 2
	s_add_u32 s0, s0, -1
	s_addc_u32 s1, s1, -1
	v_add_co_ci_u32_e32 v3, vcc_lo, 0, v3, vcc_lo
	v_add_co_u32 v6, vcc_lo, v6, 2
	s_cmp_eq_u64 s[0:1], 0
	v_add_co_ci_u32_e32 v7, vcc_lo, 0, v7, vcc_lo
	s_cselect_b32 s25, -1, 0
	s_and_b32 s24, s26, exec_lo
	s_and_not1_b32 s23, s23, exec_lo
	s_or_not1_b32 s25, s25, exec_lo
	s_branch .LBB1244_204
.LBB1244_209:
	s_set_inst_prefetch_distance 0x2
	s_or_b32 exec_lo, exec_lo, s21
	s_xor_b32 s0, s22, -1
	s_and_not1_b32 s1, s19, exec_lo
	s_and_b32 s0, s0, exec_lo
	s_delay_alu instid0(SALU_CYCLE_1)
	s_or_b32 s19, s1, s0
.LBB1244_210:
	s_or_b32 exec_lo, exec_lo, s20
	v_cndmask_b32_e64 v2, v9, v8, s19
	v_cndmask_b32_e64 v3, v19, v18, s19
	s_mov_b32 s20, -1
	s_mov_b32 s21, -1
	s_mov_b32 s22, exec_lo
	v_add_nc_u32_e32 v6, 1, v2
	v_add_nc_u32_e32 v2, -1, v3
	s_delay_alu instid0(VALU_DEP_2) | instskip(NEXT) | instid1(VALU_DEP_2)
	v_cndmask_b32_e64 v9, v6, v9, s19
	v_min_u32_e32 v2, v6, v2
	v_cndmask_b32_e64 v8, v8, v6, s19
	s_delay_alu instid0(VALU_DEP_2)
	v_lshl_add_u32 v2, v2, 3, v14
	ds_load_b64 v[2:3], v2
	s_waitcnt lgkmcnt(0)
	v_cndmask_b32_e64 v10, v3, v5, s19
	v_cndmask_b32_e64 v11, v2, v4, s19
	;; [unrolled: 1-line block ×4, first 2 shown]
	v_cmpx_lt_u32_e64 v9, v19
	s_cbranch_execz .LBB1244_220
; %bb.211:
	v_cmp_lt_u32_e64 s21, v8, v18
	s_xor_b32 s0, s12, -1
	s_delay_alu instid0(VALU_DEP_1) | instid1(SALU_CYCLE_1)
	s_and_b32 s0, s21, s0
	s_delay_alu instid0(SALU_CYCLE_1)
	s_and_saveexec_b32 s23, s0
	s_cbranch_execz .LBB1244_219
; %bb.212:
	v_mul_lo_u32 v37, v10, s8
	v_mul_lo_u32 v38, v11, s9
	v_mad_u64_u32 v[2:3], null, v11, s8, 0
	v_mul_lo_u32 v39, v20, s8
	v_mul_lo_u32 v40, v21, s9
	v_mad_u64_u32 v[6:7], null, v21, s8, 0
	s_mov_b32 s24, 0
	s_mov_b64 s[0:1], s[8:9]
	s_delay_alu instid0(VALU_DEP_4) | instskip(NEXT) | instid1(VALU_DEP_2)
	v_add3_u32 v3, v3, v38, v37
                                        ; implicit-def: $sgpr25
                                        ; implicit-def: $sgpr26
                                        ; implicit-def: $sgpr27
	v_add3_u32 v7, v7, v40, v39
	s_delay_alu instid0(VALU_DEP_2) | instskip(NEXT) | instid1(VALU_DEP_2)
	v_lshlrev_b64 v[2:3], 1, v[2:3]
	v_lshlrev_b64 v[6:7], 1, v[6:7]
	s_delay_alu instid0(VALU_DEP_2) | instskip(NEXT) | instid1(VALU_DEP_3)
	v_add_co_u32 v2, vcc_lo, s10, v2
	v_add_co_ci_u32_e32 v3, vcc_lo, s11, v3, vcc_lo
	s_delay_alu instid0(VALU_DEP_3) | instskip(NEXT) | instid1(VALU_DEP_4)
	v_add_co_u32 v6, vcc_lo, s10, v6
	v_add_co_ci_u32_e32 v7, vcc_lo, s11, v7, vcc_lo
	s_set_inst_prefetch_distance 0x1
	s_branch .LBB1244_214
	.p2align	6
.LBB1244_213:                           ;   in Loop: Header=BB1244_214 Depth=1
	s_or_b32 exec_lo, exec_lo, s30
	s_delay_alu instid0(SALU_CYCLE_1) | instskip(NEXT) | instid1(SALU_CYCLE_1)
	s_and_b32 s28, exec_lo, s28
	s_or_b32 s24, s28, s24
	s_and_not1_b32 s25, s25, exec_lo
	s_and_b32 s28, s26, exec_lo
	s_delay_alu instid0(SALU_CYCLE_1)
	s_or_b32 s25, s25, s28
	s_and_not1_b32 exec_lo, exec_lo, s24
	s_cbranch_execz .LBB1244_218
.LBB1244_214:                           ; =>This Inner Loop Header: Depth=1
	global_load_u16 v37, v[2:3], off
	global_load_u16 v38, v[6:7], off
	s_mov_b32 s28, -1
	s_mov_b32 s31, 0
	s_mov_b32 s29, -1
	s_mov_b32 s30, exec_lo
	s_waitcnt vmcnt(0)
	v_cmpx_nlt_f16_e32 v37, v38
; %bb.215:                              ;   in Loop: Header=BB1244_214 Depth=1
	v_cmp_ngt_f16_e32 vcc_lo, v37, v38
	s_and_b32 s27, vcc_lo, s27
	s_and_b32 s31, vcc_lo, exec_lo
	s_or_not1_b32 s29, s27, exec_lo
; %bb.216:                              ;   in Loop: Header=BB1244_214 Depth=1
	s_or_b32 exec_lo, exec_lo, s30
	s_delay_alu instid0(SALU_CYCLE_1) | instskip(SKIP_1) | instid1(SALU_CYCLE_1)
	s_and_not1_b32 s26, s26, exec_lo
	s_and_b32 s27, s29, exec_lo
	s_or_b32 s26, s26, s27
                                        ; implicit-def: $sgpr27
	s_and_saveexec_b32 s30, s31
	s_cbranch_execz .LBB1244_213
; %bb.217:                              ;   in Loop: Header=BB1244_214 Depth=1
	v_add_co_u32 v2, vcc_lo, v2, 2
	s_add_u32 s0, s0, -1
	s_addc_u32 s1, s1, -1
	v_add_co_ci_u32_e32 v3, vcc_lo, 0, v3, vcc_lo
	v_add_co_u32 v6, vcc_lo, v6, 2
	s_cmp_eq_u64 s[0:1], 0
	v_add_co_ci_u32_e32 v7, vcc_lo, 0, v7, vcc_lo
	s_cselect_b32 s28, -1, 0
	s_and_b32 s27, s29, exec_lo
	s_and_not1_b32 s26, s26, exec_lo
	s_or_not1_b32 s28, s28, exec_lo
	s_branch .LBB1244_213
.LBB1244_218:
	s_set_inst_prefetch_distance 0x2
	s_or_b32 exec_lo, exec_lo, s24
	s_xor_b32 s0, s25, -1
	s_and_not1_b32 s1, s21, exec_lo
	s_and_b32 s0, s0, exec_lo
	s_delay_alu instid0(SALU_CYCLE_1)
	s_or_b32 s21, s1, s0
.LBB1244_219:
	s_or_b32 exec_lo, exec_lo, s23
	s_delay_alu instid0(SALU_CYCLE_1)
	s_or_not1_b32 s21, s21, exec_lo
.LBB1244_220:
	s_or_b32 exec_lo, exec_lo, s22
	v_cndmask_b32_e64 v2, v9, v8, s21
	v_cndmask_b32_e64 v3, v19, v18, s21
	s_mov_b32 s22, exec_lo
	s_delay_alu instid0(VALU_DEP_2) | instskip(NEXT) | instid1(VALU_DEP_2)
	v_add_nc_u32_e32 v6, 1, v2
	v_add_nc_u32_e32 v2, -1, v3
	s_delay_alu instid0(VALU_DEP_2) | instskip(NEXT) | instid1(VALU_DEP_2)
	v_cndmask_b32_e64 v40, v6, v9, s21
	v_min_u32_e32 v2, v6, v2
	v_cndmask_b32_e64 v37, v8, v6, s21
	s_delay_alu instid0(VALU_DEP_2)
	v_lshl_add_u32 v2, v2, 3, v14
	ds_load_b64 v[2:3], v2
	s_waitcnt lgkmcnt(0)
	v_cndmask_b32_e64 v38, v3, v10, s21
	v_cndmask_b32_e64 v39, v2, v11, s21
	;; [unrolled: 1-line block ×4, first 2 shown]
	v_cmpx_lt_u32_e64 v40, v19
	s_cbranch_execz .LBB1244_230
; %bb.221:
	v_cmp_lt_u32_e64 s20, v37, v18
	s_xor_b32 s0, s12, -1
	s_delay_alu instid0(VALU_DEP_1) | instid1(SALU_CYCLE_1)
	s_and_b32 s0, s20, s0
	s_delay_alu instid0(SALU_CYCLE_1)
	s_and_saveexec_b32 s23, s0
	s_cbranch_execz .LBB1244_229
; %bb.222:
	v_mul_lo_u32 v8, v38, s8
	v_mul_lo_u32 v9, v39, s9
	v_mad_u64_u32 v[2:3], null, v39, s8, 0
	v_mul_lo_u32 v43, v41, s8
	v_mul_lo_u32 v44, v42, s9
	v_mad_u64_u32 v[6:7], null, v42, s8, 0
	s_mov_b32 s24, 0
	s_mov_b64 s[0:1], s[8:9]
	s_delay_alu instid0(VALU_DEP_4) | instskip(NEXT) | instid1(VALU_DEP_2)
	v_add3_u32 v3, v3, v9, v8
                                        ; implicit-def: $sgpr25
                                        ; implicit-def: $sgpr26
                                        ; implicit-def: $sgpr27
	v_add3_u32 v7, v7, v44, v43
	s_delay_alu instid0(VALU_DEP_2) | instskip(NEXT) | instid1(VALU_DEP_2)
	v_lshlrev_b64 v[2:3], 1, v[2:3]
	v_lshlrev_b64 v[6:7], 1, v[6:7]
	s_delay_alu instid0(VALU_DEP_2) | instskip(NEXT) | instid1(VALU_DEP_3)
	v_add_co_u32 v2, vcc_lo, s10, v2
	v_add_co_ci_u32_e32 v3, vcc_lo, s11, v3, vcc_lo
	s_delay_alu instid0(VALU_DEP_3) | instskip(NEXT) | instid1(VALU_DEP_4)
	v_add_co_u32 v6, vcc_lo, s10, v6
	v_add_co_ci_u32_e32 v7, vcc_lo, s11, v7, vcc_lo
	s_set_inst_prefetch_distance 0x1
	s_branch .LBB1244_224
	.p2align	6
.LBB1244_223:                           ;   in Loop: Header=BB1244_224 Depth=1
	s_or_b32 exec_lo, exec_lo, s30
	s_delay_alu instid0(SALU_CYCLE_1) | instskip(NEXT) | instid1(SALU_CYCLE_1)
	s_and_b32 s28, exec_lo, s28
	s_or_b32 s24, s28, s24
	s_and_not1_b32 s25, s25, exec_lo
	s_and_b32 s28, s26, exec_lo
	s_delay_alu instid0(SALU_CYCLE_1)
	s_or_b32 s25, s25, s28
	s_and_not1_b32 exec_lo, exec_lo, s24
	s_cbranch_execz .LBB1244_228
.LBB1244_224:                           ; =>This Inner Loop Header: Depth=1
	global_load_u16 v8, v[2:3], off
	global_load_u16 v9, v[6:7], off
	s_mov_b32 s28, -1
	s_mov_b32 s31, 0
	s_mov_b32 s29, -1
	s_mov_b32 s30, exec_lo
	s_waitcnt vmcnt(0)
	v_cmpx_nlt_f16_e32 v8, v9
; %bb.225:                              ;   in Loop: Header=BB1244_224 Depth=1
	v_cmp_ngt_f16_e32 vcc_lo, v8, v9
	s_and_b32 s27, vcc_lo, s27
	s_and_b32 s31, vcc_lo, exec_lo
	s_or_not1_b32 s29, s27, exec_lo
; %bb.226:                              ;   in Loop: Header=BB1244_224 Depth=1
	s_or_b32 exec_lo, exec_lo, s30
	s_delay_alu instid0(SALU_CYCLE_1) | instskip(SKIP_1) | instid1(SALU_CYCLE_1)
	s_and_not1_b32 s26, s26, exec_lo
	s_and_b32 s27, s29, exec_lo
	s_or_b32 s26, s26, s27
                                        ; implicit-def: $sgpr27
	s_and_saveexec_b32 s30, s31
	s_cbranch_execz .LBB1244_223
; %bb.227:                              ;   in Loop: Header=BB1244_224 Depth=1
	v_add_co_u32 v2, vcc_lo, v2, 2
	s_add_u32 s0, s0, -1
	s_addc_u32 s1, s1, -1
	v_add_co_ci_u32_e32 v3, vcc_lo, 0, v3, vcc_lo
	v_add_co_u32 v6, vcc_lo, v6, 2
	s_cmp_eq_u64 s[0:1], 0
	v_add_co_ci_u32_e32 v7, vcc_lo, 0, v7, vcc_lo
	s_cselect_b32 s28, -1, 0
	s_and_b32 s27, s29, exec_lo
	s_and_not1_b32 s26, s26, exec_lo
	s_or_not1_b32 s28, s28, exec_lo
	s_branch .LBB1244_223
.LBB1244_228:
	s_set_inst_prefetch_distance 0x2
	s_or_b32 exec_lo, exec_lo, s24
	s_xor_b32 s0, s25, -1
	s_and_not1_b32 s1, s20, exec_lo
	s_and_b32 s0, s0, exec_lo
	s_delay_alu instid0(SALU_CYCLE_1)
	s_or_b32 s20, s1, s0
.LBB1244_229:
	s_or_b32 exec_lo, exec_lo, s23
	s_delay_alu instid0(SALU_CYCLE_1)
	s_or_not1_b32 s20, s20, exec_lo
.LBB1244_230:
	s_or_b32 exec_lo, exec_lo, s22
	v_cndmask_b32_e64 v2, v40, v37, s20
	v_cndmask_b32_e64 v3, v19, v18, s20
	;; [unrolled: 1-line block ×5, first 2 shown]
	v_add_nc_u32_e32 v43, 1, v2
	v_add_nc_u32_e32 v2, -1, v3
	v_cndmask_b32_e64 v3, v10, v20, s21
	v_cndmask_b32_e64 v4, v39, v42, s20
	s_mov_b32 s19, exec_lo
	v_cndmask_b32_e64 v10, v43, v40, s20
	v_min_u32_e32 v2, v43, v2
	s_delay_alu instid0(VALU_DEP_1)
	v_lshl_add_u32 v2, v2, 3, v14
	ds_load_b64 v[8:9], v2
	v_cndmask_b32_e64 v2, v11, v21, s21
	s_waitcnt lgkmcnt(0)
	v_cndmask_b32_e64 v7, v41, v9, s20
	v_cndmask_b32_e64 v6, v42, v8, s20
	v_cmpx_lt_u32_e64 v10, v19
	s_cbranch_execz .LBB1244_240
; %bb.231:
	v_cndmask_b32_e64 v10, v37, v43, s20
	v_cndmask_b32_e64 v19, v9, v38, s20
	;; [unrolled: 1-line block ×3, first 2 shown]
	s_delay_alu instid0(VALU_DEP_3) | instskip(NEXT) | instid1(VALU_DEP_2)
	v_cmp_ge_u32_e32 vcc_lo, v10, v18
	v_dual_cndmask_b32 v9, v7, v19 :: v_dual_cndmask_b32 v8, v6, v20
	s_or_b32 s0, vcc_lo, s12
	s_delay_alu instid0(SALU_CYCLE_1) | instskip(NEXT) | instid1(SALU_CYCLE_1)
	s_xor_b32 s0, s0, -1
	s_and_saveexec_b32 s20, s0
	s_cbranch_execz .LBB1244_239
; %bb.232:
	v_mul_lo_u32 v18, v19, s8
	v_mul_lo_u32 v21, v20, s9
	v_mad_u64_u32 v[8:9], null, v20, s8, 0
	v_mul_lo_u32 v37, v7, s8
	v_mul_lo_u32 v38, v6, s9
	v_mad_u64_u32 v[10:11], null, v6, s8, 0
	s_mov_b32 s21, 0
	s_mov_b64 s[0:1], s[8:9]
	s_delay_alu instid0(VALU_DEP_4) | instskip(NEXT) | instid1(VALU_DEP_2)
	v_add3_u32 v9, v9, v21, v18
                                        ; implicit-def: $sgpr22
                                        ; implicit-def: $sgpr23
                                        ; implicit-def: $sgpr24
	v_add3_u32 v11, v11, v38, v37
	s_delay_alu instid0(VALU_DEP_2) | instskip(NEXT) | instid1(VALU_DEP_2)
	v_lshlrev_b64 v[8:9], 1, v[8:9]
	v_lshlrev_b64 v[10:11], 1, v[10:11]
	s_delay_alu instid0(VALU_DEP_2) | instskip(NEXT) | instid1(VALU_DEP_3)
	v_add_co_u32 v8, vcc_lo, s10, v8
	v_add_co_ci_u32_e32 v9, vcc_lo, s11, v9, vcc_lo
	s_delay_alu instid0(VALU_DEP_3) | instskip(NEXT) | instid1(VALU_DEP_4)
	v_add_co_u32 v10, vcc_lo, s10, v10
	v_add_co_ci_u32_e32 v11, vcc_lo, s11, v11, vcc_lo
	s_set_inst_prefetch_distance 0x1
	s_branch .LBB1244_234
	.p2align	6
.LBB1244_233:                           ;   in Loop: Header=BB1244_234 Depth=1
	s_or_b32 exec_lo, exec_lo, s27
	s_delay_alu instid0(SALU_CYCLE_1) | instskip(NEXT) | instid1(SALU_CYCLE_1)
	s_and_b32 s25, exec_lo, s25
	s_or_b32 s21, s25, s21
	s_and_not1_b32 s22, s22, exec_lo
	s_and_b32 s25, s23, exec_lo
	s_delay_alu instid0(SALU_CYCLE_1)
	s_or_b32 s22, s22, s25
	s_and_not1_b32 exec_lo, exec_lo, s21
	s_cbranch_execz .LBB1244_238
.LBB1244_234:                           ; =>This Inner Loop Header: Depth=1
	global_load_u16 v18, v[8:9], off
	global_load_u16 v21, v[10:11], off
	s_mov_b32 s25, -1
	s_mov_b32 s28, 0
	s_mov_b32 s26, -1
	s_mov_b32 s27, exec_lo
	s_waitcnt vmcnt(0)
	v_cmpx_nlt_f16_e32 v18, v21
; %bb.235:                              ;   in Loop: Header=BB1244_234 Depth=1
	v_cmp_ngt_f16_e32 vcc_lo, v18, v21
	s_and_b32 s24, vcc_lo, s24
	s_and_b32 s28, vcc_lo, exec_lo
	s_or_not1_b32 s26, s24, exec_lo
; %bb.236:                              ;   in Loop: Header=BB1244_234 Depth=1
	s_or_b32 exec_lo, exec_lo, s27
	s_delay_alu instid0(SALU_CYCLE_1) | instskip(SKIP_1) | instid1(SALU_CYCLE_1)
	s_and_not1_b32 s23, s23, exec_lo
	s_and_b32 s24, s26, exec_lo
	s_or_b32 s23, s23, s24
                                        ; implicit-def: $sgpr24
	s_and_saveexec_b32 s27, s28
	s_cbranch_execz .LBB1244_233
; %bb.237:                              ;   in Loop: Header=BB1244_234 Depth=1
	v_add_co_u32 v8, vcc_lo, v8, 2
	s_add_u32 s0, s0, -1
	s_addc_u32 s1, s1, -1
	v_add_co_ci_u32_e32 v9, vcc_lo, 0, v9, vcc_lo
	v_add_co_u32 v10, vcc_lo, v10, 2
	s_cmp_eq_u64 s[0:1], 0
	v_add_co_ci_u32_e32 v11, vcc_lo, 0, v11, vcc_lo
	s_cselect_b32 s25, -1, 0
	s_and_b32 s24, s26, exec_lo
	s_and_not1_b32 s23, s23, exec_lo
	s_or_not1_b32 s25, s25, exec_lo
	s_branch .LBB1244_233
.LBB1244_238:
	s_set_inst_prefetch_distance 0x2
	s_or_b32 exec_lo, exec_lo, s21
	v_cndmask_b32_e64 v9, v7, v19, s22
	v_cndmask_b32_e64 v8, v6, v20, s22
.LBB1244_239:
	s_or_b32 exec_lo, exec_lo, s20
	s_delay_alu instid0(VALU_DEP_1)
	v_dual_mov_b32 v6, v8 :: v_dual_mov_b32 v7, v9
.LBB1244_240:
	s_or_b32 exec_lo, exec_lo, s19
.LBB1244_241:
	s_delay_alu instid0(SALU_CYCLE_1) | instskip(SKIP_3) | instid1(VALU_DEP_2)
	s_or_b32 exec_lo, exec_lo, s17
	v_and_b32_e32 v20, 64, v16
	v_and_b32_e32 v9, 60, v16
	s_mov_b32 s17, exec_lo
	; wave barrier
	v_or_b32_e32 v8, 32, v20
	s_delay_alu instid0(VALU_DEP_2) | instskip(SKIP_4) | instid1(VALU_DEP_1)
	v_min_u32_e32 v21, v15, v9
	v_lshl_add_u32 v19, v20, 3, v14
	ds_store_b128 v17, v[0:3]
	ds_store_b128 v17, v[4:7] offset:16
	v_min_u32_e32 v18, v15, v8
	; wave barrier
	v_add_nc_u32_e32 v8, 32, v18
	v_sub_nc_u32_e32 v9, v18, v20
	s_delay_alu instid0(VALU_DEP_2) | instskip(NEXT) | instid1(VALU_DEP_2)
	v_min_u32_e32 v16, v15, v8
	v_min_u32_e32 v37, v21, v9
	s_delay_alu instid0(VALU_DEP_2) | instskip(NEXT) | instid1(VALU_DEP_1)
	v_sub_nc_u32_e32 v8, v16, v18
	v_sub_nc_u32_e64 v15, v21, v8 clamp
	s_delay_alu instid0(VALU_DEP_1)
	v_cmpx_lt_u32_e64 v15, v37
	s_cbranch_execz .LBB1244_253
; %bb.242:
	v_lshlrev_b32_e32 v8, 3, v18
	v_lshlrev_b32_e32 v9, 3, v21
	s_lshl_b64 s[0:1], s[8:9], 1
	s_mov_b32 s19, 0
	s_delay_alu instid0(VALU_DEP_1)
	v_add3_u32 v17, v14, v8, v9
	s_branch .LBB1244_245
.LBB1244_243:                           ;   in Loop: Header=BB1244_245 Depth=1
	s_set_inst_prefetch_distance 0x2
	s_or_b32 exec_lo, exec_lo, s23
.LBB1244_244:                           ;   in Loop: Header=BB1244_245 Depth=1
	s_delay_alu instid0(VALU_DEP_1) | instskip(SKIP_1) | instid1(VALU_DEP_2)
	v_add_nc_u32_e32 v8, 1, v38
	v_cndmask_b32_e64 v37, v37, v38, s22
	v_cndmask_b32_e64 v15, v8, v15, s22
	s_delay_alu instid0(VALU_DEP_1) | instskip(SKIP_1) | instid1(SALU_CYCLE_1)
	v_cmp_ge_u32_e32 vcc_lo, v15, v37
	s_or_b32 s19, vcc_lo, s19
	s_and_not1_b32 exec_lo, exec_lo, s19
	s_cbranch_execz .LBB1244_252
.LBB1244_245:                           ; =>This Loop Header: Depth=1
                                        ;     Child Loop BB1244_248 Depth 2
	v_add_nc_u32_e32 v8, v37, v15
	v_cmp_ne_u32_e32 vcc_lo, 1, v36
	s_mov_b32 s22, 0
	s_delay_alu instid0(VALU_DEP_2)
	v_lshrrev_b32_e32 v38, 1, v8
	s_cbranch_vccnz .LBB1244_244
; %bb.246:                              ;   in Loop: Header=BB1244_245 Depth=1
	s_delay_alu instid0(VALU_DEP_1) | instskip(SKIP_3) | instid1(VALU_DEP_2)
	v_not_b32_e32 v8, v38
	v_lshl_add_u32 v9, v38, 3, v19
	s_mov_b32 s23, 0
	s_mov_b64 s[20:21], s[8:9]
                                        ; implicit-def: $sgpr22
                                        ; implicit-def: $sgpr24
                                        ; implicit-def: $sgpr25
	v_lshl_add_u32 v8, v8, 3, v17
	ds_load_b64 v[10:11], v8
	ds_load_b64 v[39:40], v9
	s_waitcnt lgkmcnt(1)
	v_mul_lo_u32 v41, s0, v11
	v_mul_lo_u32 v42, s1, v10
	v_mad_u64_u32 v[8:9], null, s0, v10, s[10:11]
	s_waitcnt lgkmcnt(0)
	v_mul_lo_u32 v40, s0, v40
	v_mul_lo_u32 v43, s1, v39
	v_mad_u64_u32 v[10:11], null, s0, v39, s[10:11]
	s_delay_alu instid0(VALU_DEP_4) | instskip(NEXT) | instid1(VALU_DEP_2)
	v_add3_u32 v9, v42, v9, v41
	v_add3_u32 v11, v43, v11, v40
	s_set_inst_prefetch_distance 0x1
	s_branch .LBB1244_248
	.p2align	6
.LBB1244_247:                           ;   in Loop: Header=BB1244_248 Depth=2
	s_or_b32 exec_lo, exec_lo, s28
	s_delay_alu instid0(SALU_CYCLE_1) | instskip(NEXT) | instid1(SALU_CYCLE_1)
	s_and_b32 s26, exec_lo, s27
	s_or_b32 s23, s26, s23
	s_and_not1_b32 s22, s22, exec_lo
	s_and_b32 s26, s24, exec_lo
	s_delay_alu instid0(SALU_CYCLE_1)
	s_or_b32 s22, s22, s26
	s_and_not1_b32 exec_lo, exec_lo, s23
	s_cbranch_execz .LBB1244_243
.LBB1244_248:                           ;   Parent Loop BB1244_245 Depth=1
                                        ; =>  This Inner Loop Header: Depth=2
	global_load_u16 v39, v[8:9], off
	global_load_u16 v40, v[10:11], off
	s_mov_b32 s27, -1
	s_mov_b32 s29, 0
	s_mov_b32 s26, -1
	s_mov_b32 s28, exec_lo
	s_waitcnt vmcnt(0)
	v_cmpx_nlt_f16_e32 v39, v40
; %bb.249:                              ;   in Loop: Header=BB1244_248 Depth=2
	v_cmp_ngt_f16_e32 vcc_lo, v39, v40
	s_and_b32 s25, vcc_lo, s25
	s_and_b32 s29, vcc_lo, exec_lo
	s_or_not1_b32 s26, s25, exec_lo
; %bb.250:                              ;   in Loop: Header=BB1244_248 Depth=2
	s_or_b32 exec_lo, exec_lo, s28
	s_delay_alu instid0(SALU_CYCLE_1) | instskip(SKIP_1) | instid1(SALU_CYCLE_1)
	s_and_not1_b32 s24, s24, exec_lo
	s_and_b32 s25, s26, exec_lo
	s_or_b32 s24, s24, s25
                                        ; implicit-def: $sgpr25
	s_and_saveexec_b32 s28, s29
	s_cbranch_execz .LBB1244_247
; %bb.251:                              ;   in Loop: Header=BB1244_248 Depth=2
	v_add_co_u32 v8, vcc_lo, v8, 2
	s_add_u32 s20, s20, -1
	s_addc_u32 s21, s21, -1
	v_add_co_ci_u32_e32 v9, vcc_lo, 0, v9, vcc_lo
	v_add_co_u32 v10, vcc_lo, v10, 2
	s_cmp_eq_u64 s[20:21], 0
	v_add_co_ci_u32_e32 v11, vcc_lo, 0, v11, vcc_lo
	s_cselect_b32 s27, -1, 0
	s_and_not1_b32 s24, s24, exec_lo
	s_and_b32 s25, s26, exec_lo
	s_or_not1_b32 s27, s27, exec_lo
	s_branch .LBB1244_247
.LBB1244_252:
	s_or_b32 exec_lo, exec_lo, s19
.LBB1244_253:
	s_delay_alu instid0(SALU_CYCLE_1) | instskip(SKIP_2) | instid1(VALU_DEP_2)
	s_or_b32 exec_lo, exec_lo, s17
	v_add_nc_u32_e32 v9, v18, v21
	v_add_nc_u32_e32 v8, v15, v20
	v_sub_nc_u32_e32 v9, v9, v15
	s_delay_alu instid0(VALU_DEP_2) | instskip(NEXT) | instid1(VALU_DEP_2)
	v_cmp_le_u32_e32 vcc_lo, v8, v18
	v_cmp_le_u32_e64 s0, v9, v16
	s_delay_alu instid0(VALU_DEP_1) | instskip(NEXT) | instid1(SALU_CYCLE_1)
	s_or_b32 s0, vcc_lo, s0
	s_and_saveexec_b32 s17, s0
	s_cbranch_execz .LBB1244_297
; %bb.254:
	v_cmp_ge_u32_e32 vcc_lo, v8, v18
	s_mov_b32 s1, exec_lo
                                        ; implicit-def: $vgpr0_vgpr1
	v_cmpx_lt_u32_e64 v8, v18
	s_cbranch_execz .LBB1244_256
; %bb.255:
	v_lshl_add_u32 v0, v15, 3, v19
	ds_load_b64 v[0:1], v0
.LBB1244_256:
	s_or_b32 exec_lo, exec_lo, s1
	v_cmp_ge_u32_e64 s0, v9, v16
	s_mov_b32 s19, exec_lo
                                        ; implicit-def: $vgpr4_vgpr5
	v_cmpx_lt_u32_e64 v9, v16
	s_cbranch_execz .LBB1244_258
; %bb.257:
	v_lshl_add_u32 v2, v9, 3, v14
	ds_load_b64 v[4:5], v2
.LBB1244_258:
	s_or_b32 exec_lo, exec_lo, s19
	s_or_b32 s1, vcc_lo, s0
	s_xor_b32 s19, vcc_lo, -1
	s_or_b32 s1, s1, s12
	s_or_b32 s19, s0, s19
	s_xor_b32 s1, s1, -1
	s_delay_alu instid0(SALU_CYCLE_1)
	s_and_saveexec_b32 s20, s1
	s_cbranch_execz .LBB1244_266
; %bb.259:
	s_waitcnt lgkmcnt(0)
	v_mul_lo_u32 v10, v5, s8
	v_mul_lo_u32 v11, v4, s9
	v_mad_u64_u32 v[2:3], null, v4, s8, 0
	v_mul_lo_u32 v15, v1, s8
	v_mul_lo_u32 v17, v0, s9
	v_mad_u64_u32 v[6:7], null, v0, s8, 0
	s_mov_b32 s21, 0
	s_mov_b64 s[0:1], s[8:9]
	s_delay_alu instid0(VALU_DEP_4) | instskip(NEXT) | instid1(VALU_DEP_2)
	v_add3_u32 v3, v3, v11, v10
                                        ; implicit-def: $sgpr22
                                        ; implicit-def: $sgpr23
                                        ; implicit-def: $sgpr24
	v_add3_u32 v7, v7, v17, v15
	s_delay_alu instid0(VALU_DEP_2) | instskip(NEXT) | instid1(VALU_DEP_2)
	v_lshlrev_b64 v[2:3], 1, v[2:3]
	v_lshlrev_b64 v[6:7], 1, v[6:7]
	s_delay_alu instid0(VALU_DEP_2) | instskip(NEXT) | instid1(VALU_DEP_3)
	v_add_co_u32 v2, vcc_lo, s10, v2
	v_add_co_ci_u32_e32 v3, vcc_lo, s11, v3, vcc_lo
	s_delay_alu instid0(VALU_DEP_3) | instskip(NEXT) | instid1(VALU_DEP_4)
	v_add_co_u32 v6, vcc_lo, s10, v6
	v_add_co_ci_u32_e32 v7, vcc_lo, s11, v7, vcc_lo
	s_set_inst_prefetch_distance 0x1
	s_branch .LBB1244_261
	.p2align	6
.LBB1244_260:                           ;   in Loop: Header=BB1244_261 Depth=1
	s_or_b32 exec_lo, exec_lo, s27
	s_delay_alu instid0(SALU_CYCLE_1) | instskip(NEXT) | instid1(SALU_CYCLE_1)
	s_and_b32 s25, exec_lo, s25
	s_or_b32 s21, s25, s21
	s_and_not1_b32 s22, s22, exec_lo
	s_and_b32 s25, s23, exec_lo
	s_delay_alu instid0(SALU_CYCLE_1)
	s_or_b32 s22, s22, s25
	s_and_not1_b32 exec_lo, exec_lo, s21
	s_cbranch_execz .LBB1244_265
.LBB1244_261:                           ; =>This Inner Loop Header: Depth=1
	global_load_u16 v10, v[2:3], off
	global_load_u16 v11, v[6:7], off
	s_mov_b32 s25, -1
	s_mov_b32 s28, 0
	s_mov_b32 s26, -1
	s_mov_b32 s27, exec_lo
	s_waitcnt vmcnt(0)
	v_cmpx_nlt_f16_e32 v10, v11
; %bb.262:                              ;   in Loop: Header=BB1244_261 Depth=1
	v_cmp_ngt_f16_e32 vcc_lo, v10, v11
	s_and_b32 s24, vcc_lo, s24
	s_and_b32 s28, vcc_lo, exec_lo
	s_or_not1_b32 s26, s24, exec_lo
; %bb.263:                              ;   in Loop: Header=BB1244_261 Depth=1
	s_or_b32 exec_lo, exec_lo, s27
	s_delay_alu instid0(SALU_CYCLE_1) | instskip(SKIP_1) | instid1(SALU_CYCLE_1)
	s_and_not1_b32 s23, s23, exec_lo
	s_and_b32 s24, s26, exec_lo
	s_or_b32 s23, s23, s24
                                        ; implicit-def: $sgpr24
	s_and_saveexec_b32 s27, s28
	s_cbranch_execz .LBB1244_260
; %bb.264:                              ;   in Loop: Header=BB1244_261 Depth=1
	v_add_co_u32 v2, vcc_lo, v2, 2
	s_add_u32 s0, s0, -1
	s_addc_u32 s1, s1, -1
	v_add_co_ci_u32_e32 v3, vcc_lo, 0, v3, vcc_lo
	v_add_co_u32 v6, vcc_lo, v6, 2
	s_cmp_eq_u64 s[0:1], 0
	v_add_co_ci_u32_e32 v7, vcc_lo, 0, v7, vcc_lo
	s_cselect_b32 s25, -1, 0
	s_and_b32 s24, s26, exec_lo
	s_and_not1_b32 s23, s23, exec_lo
	s_or_not1_b32 s25, s25, exec_lo
	s_branch .LBB1244_260
.LBB1244_265:
	s_set_inst_prefetch_distance 0x2
	s_or_b32 exec_lo, exec_lo, s21
	s_xor_b32 s0, s22, -1
	s_and_not1_b32 s1, s19, exec_lo
	s_and_b32 s0, s0, exec_lo
	s_delay_alu instid0(SALU_CYCLE_1)
	s_or_b32 s19, s1, s0
.LBB1244_266:
	s_or_b32 exec_lo, exec_lo, s20
	v_cndmask_b32_e64 v2, v9, v8, s19
	v_cndmask_b32_e64 v3, v16, v18, s19
	s_mov_b32 s20, -1
	s_mov_b32 s21, -1
	s_mov_b32 s22, exec_lo
	v_add_nc_u32_e32 v6, 1, v2
	v_add_nc_u32_e32 v2, -1, v3
	s_delay_alu instid0(VALU_DEP_2) | instskip(NEXT) | instid1(VALU_DEP_2)
	v_cndmask_b32_e64 v9, v6, v9, s19
	v_min_u32_e32 v2, v6, v2
	v_cndmask_b32_e64 v8, v8, v6, s19
	s_delay_alu instid0(VALU_DEP_2)
	v_lshl_add_u32 v2, v2, 3, v14
	ds_load_b64 v[2:3], v2
	s_waitcnt lgkmcnt(0)
	v_cndmask_b32_e64 v10, v3, v5, s19
	v_cndmask_b32_e64 v11, v2, v4, s19
	;; [unrolled: 1-line block ×4, first 2 shown]
	v_cmpx_lt_u32_e64 v9, v16
	s_cbranch_execz .LBB1244_276
; %bb.267:
	v_cmp_lt_u32_e64 s21, v8, v18
	s_xor_b32 s0, s12, -1
	s_delay_alu instid0(VALU_DEP_1) | instid1(SALU_CYCLE_1)
	s_and_b32 s0, s21, s0
	s_delay_alu instid0(SALU_CYCLE_1)
	s_and_saveexec_b32 s23, s0
	s_cbranch_execz .LBB1244_275
; %bb.268:
	v_mul_lo_u32 v19, v10, s8
	v_mul_lo_u32 v20, v11, s9
	v_mad_u64_u32 v[2:3], null, v11, s8, 0
	v_mul_lo_u32 v21, v15, s8
	v_mul_lo_u32 v37, v17, s9
	v_mad_u64_u32 v[6:7], null, v17, s8, 0
	s_mov_b32 s24, 0
	s_mov_b64 s[0:1], s[8:9]
	s_delay_alu instid0(VALU_DEP_4) | instskip(NEXT) | instid1(VALU_DEP_2)
	v_add3_u32 v3, v3, v20, v19
                                        ; implicit-def: $sgpr25
                                        ; implicit-def: $sgpr26
                                        ; implicit-def: $sgpr27
	v_add3_u32 v7, v7, v37, v21
	s_delay_alu instid0(VALU_DEP_2) | instskip(NEXT) | instid1(VALU_DEP_2)
	v_lshlrev_b64 v[2:3], 1, v[2:3]
	v_lshlrev_b64 v[6:7], 1, v[6:7]
	s_delay_alu instid0(VALU_DEP_2) | instskip(NEXT) | instid1(VALU_DEP_3)
	v_add_co_u32 v2, vcc_lo, s10, v2
	v_add_co_ci_u32_e32 v3, vcc_lo, s11, v3, vcc_lo
	s_delay_alu instid0(VALU_DEP_3) | instskip(NEXT) | instid1(VALU_DEP_4)
	v_add_co_u32 v6, vcc_lo, s10, v6
	v_add_co_ci_u32_e32 v7, vcc_lo, s11, v7, vcc_lo
	s_set_inst_prefetch_distance 0x1
	s_branch .LBB1244_270
	.p2align	6
.LBB1244_269:                           ;   in Loop: Header=BB1244_270 Depth=1
	s_or_b32 exec_lo, exec_lo, s30
	s_delay_alu instid0(SALU_CYCLE_1) | instskip(NEXT) | instid1(SALU_CYCLE_1)
	s_and_b32 s28, exec_lo, s28
	s_or_b32 s24, s28, s24
	s_and_not1_b32 s25, s25, exec_lo
	s_and_b32 s28, s26, exec_lo
	s_delay_alu instid0(SALU_CYCLE_1)
	s_or_b32 s25, s25, s28
	s_and_not1_b32 exec_lo, exec_lo, s24
	s_cbranch_execz .LBB1244_274
.LBB1244_270:                           ; =>This Inner Loop Header: Depth=1
	global_load_u16 v19, v[2:3], off
	global_load_u16 v20, v[6:7], off
	s_mov_b32 s28, -1
	s_mov_b32 s31, 0
	s_mov_b32 s29, -1
	s_mov_b32 s30, exec_lo
	s_waitcnt vmcnt(0)
	v_cmpx_nlt_f16_e32 v19, v20
; %bb.271:                              ;   in Loop: Header=BB1244_270 Depth=1
	v_cmp_ngt_f16_e32 vcc_lo, v19, v20
	s_and_b32 s27, vcc_lo, s27
	s_and_b32 s31, vcc_lo, exec_lo
	s_or_not1_b32 s29, s27, exec_lo
; %bb.272:                              ;   in Loop: Header=BB1244_270 Depth=1
	s_or_b32 exec_lo, exec_lo, s30
	s_delay_alu instid0(SALU_CYCLE_1) | instskip(SKIP_1) | instid1(SALU_CYCLE_1)
	s_and_not1_b32 s26, s26, exec_lo
	s_and_b32 s27, s29, exec_lo
	s_or_b32 s26, s26, s27
                                        ; implicit-def: $sgpr27
	s_and_saveexec_b32 s30, s31
	s_cbranch_execz .LBB1244_269
; %bb.273:                              ;   in Loop: Header=BB1244_270 Depth=1
	v_add_co_u32 v2, vcc_lo, v2, 2
	s_add_u32 s0, s0, -1
	s_addc_u32 s1, s1, -1
	v_add_co_ci_u32_e32 v3, vcc_lo, 0, v3, vcc_lo
	v_add_co_u32 v6, vcc_lo, v6, 2
	s_cmp_eq_u64 s[0:1], 0
	v_add_co_ci_u32_e32 v7, vcc_lo, 0, v7, vcc_lo
	s_cselect_b32 s28, -1, 0
	s_and_b32 s27, s29, exec_lo
	s_and_not1_b32 s26, s26, exec_lo
	s_or_not1_b32 s28, s28, exec_lo
	s_branch .LBB1244_269
.LBB1244_274:
	s_set_inst_prefetch_distance 0x2
	s_or_b32 exec_lo, exec_lo, s24
	s_xor_b32 s0, s25, -1
	s_and_not1_b32 s1, s21, exec_lo
	s_and_b32 s0, s0, exec_lo
	s_delay_alu instid0(SALU_CYCLE_1)
	s_or_b32 s21, s1, s0
.LBB1244_275:
	s_or_b32 exec_lo, exec_lo, s23
	s_delay_alu instid0(SALU_CYCLE_1)
	s_or_not1_b32 s21, s21, exec_lo
.LBB1244_276:
	s_or_b32 exec_lo, exec_lo, s22
	v_cndmask_b32_e64 v2, v9, v8, s21
	v_cndmask_b32_e64 v3, v16, v18, s21
	s_mov_b32 s22, exec_lo
	s_delay_alu instid0(VALU_DEP_2) | instskip(NEXT) | instid1(VALU_DEP_2)
	v_add_nc_u32_e32 v6, 1, v2
	v_add_nc_u32_e32 v2, -1, v3
	s_delay_alu instid0(VALU_DEP_2) | instskip(NEXT) | instid1(VALU_DEP_2)
	v_cndmask_b32_e64 v37, v6, v9, s21
	v_min_u32_e32 v2, v6, v2
	v_cndmask_b32_e64 v19, v8, v6, s21
	s_delay_alu instid0(VALU_DEP_2)
	v_lshl_add_u32 v2, v2, 3, v14
	ds_load_b64 v[2:3], v2
	s_waitcnt lgkmcnt(0)
	v_cndmask_b32_e64 v20, v3, v10, s21
	v_cndmask_b32_e64 v21, v2, v11, s21
	v_cndmask_b32_e64 v38, v15, v3, s21
	v_cndmask_b32_e64 v39, v17, v2, s21
	v_cmpx_lt_u32_e64 v37, v16
	s_cbranch_execz .LBB1244_286
; %bb.277:
	v_cmp_lt_u32_e64 s20, v19, v18
	s_xor_b32 s0, s12, -1
	s_delay_alu instid0(VALU_DEP_1) | instid1(SALU_CYCLE_1)
	s_and_b32 s0, s20, s0
	s_delay_alu instid0(SALU_CYCLE_1)
	s_and_saveexec_b32 s23, s0
	s_cbranch_execz .LBB1244_285
; %bb.278:
	v_mul_lo_u32 v8, v20, s8
	v_mul_lo_u32 v9, v21, s9
	v_mad_u64_u32 v[2:3], null, v21, s8, 0
	v_mul_lo_u32 v40, v38, s8
	v_mul_lo_u32 v41, v39, s9
	v_mad_u64_u32 v[6:7], null, v39, s8, 0
	s_mov_b32 s24, 0
	s_mov_b64 s[0:1], s[8:9]
	s_delay_alu instid0(VALU_DEP_4) | instskip(NEXT) | instid1(VALU_DEP_2)
	v_add3_u32 v3, v3, v9, v8
                                        ; implicit-def: $sgpr25
                                        ; implicit-def: $sgpr26
                                        ; implicit-def: $sgpr27
	v_add3_u32 v7, v7, v41, v40
	s_delay_alu instid0(VALU_DEP_2) | instskip(NEXT) | instid1(VALU_DEP_2)
	v_lshlrev_b64 v[2:3], 1, v[2:3]
	v_lshlrev_b64 v[6:7], 1, v[6:7]
	s_delay_alu instid0(VALU_DEP_2) | instskip(NEXT) | instid1(VALU_DEP_3)
	v_add_co_u32 v2, vcc_lo, s10, v2
	v_add_co_ci_u32_e32 v3, vcc_lo, s11, v3, vcc_lo
	s_delay_alu instid0(VALU_DEP_3) | instskip(NEXT) | instid1(VALU_DEP_4)
	v_add_co_u32 v6, vcc_lo, s10, v6
	v_add_co_ci_u32_e32 v7, vcc_lo, s11, v7, vcc_lo
	s_set_inst_prefetch_distance 0x1
	s_branch .LBB1244_280
	.p2align	6
.LBB1244_279:                           ;   in Loop: Header=BB1244_280 Depth=1
	s_or_b32 exec_lo, exec_lo, s30
	s_delay_alu instid0(SALU_CYCLE_1) | instskip(NEXT) | instid1(SALU_CYCLE_1)
	s_and_b32 s28, exec_lo, s28
	s_or_b32 s24, s28, s24
	s_and_not1_b32 s25, s25, exec_lo
	s_and_b32 s28, s26, exec_lo
	s_delay_alu instid0(SALU_CYCLE_1)
	s_or_b32 s25, s25, s28
	s_and_not1_b32 exec_lo, exec_lo, s24
	s_cbranch_execz .LBB1244_284
.LBB1244_280:                           ; =>This Inner Loop Header: Depth=1
	global_load_u16 v8, v[2:3], off
	global_load_u16 v9, v[6:7], off
	s_mov_b32 s28, -1
	s_mov_b32 s31, 0
	s_mov_b32 s29, -1
	s_mov_b32 s30, exec_lo
	s_waitcnt vmcnt(0)
	v_cmpx_nlt_f16_e32 v8, v9
; %bb.281:                              ;   in Loop: Header=BB1244_280 Depth=1
	v_cmp_ngt_f16_e32 vcc_lo, v8, v9
	s_and_b32 s27, vcc_lo, s27
	s_and_b32 s31, vcc_lo, exec_lo
	s_or_not1_b32 s29, s27, exec_lo
; %bb.282:                              ;   in Loop: Header=BB1244_280 Depth=1
	s_or_b32 exec_lo, exec_lo, s30
	s_delay_alu instid0(SALU_CYCLE_1) | instskip(SKIP_1) | instid1(SALU_CYCLE_1)
	s_and_not1_b32 s26, s26, exec_lo
	s_and_b32 s27, s29, exec_lo
	s_or_b32 s26, s26, s27
                                        ; implicit-def: $sgpr27
	s_and_saveexec_b32 s30, s31
	s_cbranch_execz .LBB1244_279
; %bb.283:                              ;   in Loop: Header=BB1244_280 Depth=1
	v_add_co_u32 v2, vcc_lo, v2, 2
	s_add_u32 s0, s0, -1
	s_addc_u32 s1, s1, -1
	v_add_co_ci_u32_e32 v3, vcc_lo, 0, v3, vcc_lo
	v_add_co_u32 v6, vcc_lo, v6, 2
	s_cmp_eq_u64 s[0:1], 0
	v_add_co_ci_u32_e32 v7, vcc_lo, 0, v7, vcc_lo
	s_cselect_b32 s28, -1, 0
	s_and_b32 s27, s29, exec_lo
	s_and_not1_b32 s26, s26, exec_lo
	s_or_not1_b32 s28, s28, exec_lo
	s_branch .LBB1244_279
.LBB1244_284:
	s_set_inst_prefetch_distance 0x2
	s_or_b32 exec_lo, exec_lo, s24
	s_xor_b32 s0, s25, -1
	s_and_not1_b32 s1, s20, exec_lo
	s_and_b32 s0, s0, exec_lo
	s_delay_alu instid0(SALU_CYCLE_1)
	s_or_b32 s20, s1, s0
.LBB1244_285:
	s_or_b32 exec_lo, exec_lo, s23
	s_delay_alu instid0(SALU_CYCLE_1)
	s_or_not1_b32 s20, s20, exec_lo
.LBB1244_286:
	s_or_b32 exec_lo, exec_lo, s22
	v_cndmask_b32_e64 v2, v37, v19, s20
	v_cndmask_b32_e64 v3, v16, v18, s20
	;; [unrolled: 1-line block ×5, first 2 shown]
	v_add_nc_u32_e32 v40, 1, v2
	v_add_nc_u32_e32 v2, -1, v3
	v_cndmask_b32_e64 v3, v10, v15, s21
	v_cndmask_b32_e64 v4, v21, v39, s20
	s_mov_b32 s19, exec_lo
	v_cndmask_b32_e64 v10, v40, v37, s20
	v_min_u32_e32 v2, v40, v2
	s_delay_alu instid0(VALU_DEP_1)
	v_lshl_add_u32 v2, v2, 3, v14
	ds_load_b64 v[8:9], v2
	v_cndmask_b32_e64 v2, v11, v17, s21
	s_waitcnt lgkmcnt(0)
	v_cndmask_b32_e64 v7, v38, v9, s20
	v_cndmask_b32_e64 v6, v39, v8, s20
	v_cmpx_lt_u32_e64 v10, v16
	s_cbranch_execz .LBB1244_296
; %bb.287:
	v_cndmask_b32_e64 v10, v19, v40, s20
	v_cndmask_b32_e64 v14, v9, v20, s20
	;; [unrolled: 1-line block ×3, first 2 shown]
	s_delay_alu instid0(VALU_DEP_3) | instskip(NEXT) | instid1(VALU_DEP_2)
	v_cmp_ge_u32_e32 vcc_lo, v10, v18
	v_dual_cndmask_b32 v9, v7, v14 :: v_dual_cndmask_b32 v8, v6, v15
	s_or_b32 s0, vcc_lo, s12
	s_delay_alu instid0(SALU_CYCLE_1) | instskip(NEXT) | instid1(SALU_CYCLE_1)
	s_xor_b32 s0, s0, -1
	s_and_saveexec_b32 s20, s0
	s_cbranch_execz .LBB1244_295
; %bb.288:
	v_mul_lo_u32 v16, v14, s8
	v_mul_lo_u32 v17, v15, s9
	v_mad_u64_u32 v[8:9], null, v15, s8, 0
	v_mul_lo_u32 v18, v7, s8
	v_mul_lo_u32 v19, v6, s9
	v_mad_u64_u32 v[10:11], null, v6, s8, 0
	s_mov_b32 s21, 0
	s_mov_b64 s[0:1], s[8:9]
	s_delay_alu instid0(VALU_DEP_4) | instskip(NEXT) | instid1(VALU_DEP_2)
	v_add3_u32 v9, v9, v17, v16
                                        ; implicit-def: $sgpr22
                                        ; implicit-def: $sgpr23
                                        ; implicit-def: $sgpr24
	v_add3_u32 v11, v11, v19, v18
	s_delay_alu instid0(VALU_DEP_2) | instskip(NEXT) | instid1(VALU_DEP_2)
	v_lshlrev_b64 v[8:9], 1, v[8:9]
	v_lshlrev_b64 v[10:11], 1, v[10:11]
	s_delay_alu instid0(VALU_DEP_2) | instskip(NEXT) | instid1(VALU_DEP_3)
	v_add_co_u32 v8, vcc_lo, s10, v8
	v_add_co_ci_u32_e32 v9, vcc_lo, s11, v9, vcc_lo
	s_delay_alu instid0(VALU_DEP_3) | instskip(NEXT) | instid1(VALU_DEP_4)
	v_add_co_u32 v10, vcc_lo, s10, v10
	v_add_co_ci_u32_e32 v11, vcc_lo, s11, v11, vcc_lo
	s_set_inst_prefetch_distance 0x1
	s_branch .LBB1244_290
	.p2align	6
.LBB1244_289:                           ;   in Loop: Header=BB1244_290 Depth=1
	s_or_b32 exec_lo, exec_lo, s27
	s_delay_alu instid0(SALU_CYCLE_1) | instskip(NEXT) | instid1(SALU_CYCLE_1)
	s_and_b32 s25, exec_lo, s25
	s_or_b32 s21, s25, s21
	s_and_not1_b32 s22, s22, exec_lo
	s_and_b32 s25, s23, exec_lo
	s_delay_alu instid0(SALU_CYCLE_1)
	s_or_b32 s22, s22, s25
	s_and_not1_b32 exec_lo, exec_lo, s21
	s_cbranch_execz .LBB1244_294
.LBB1244_290:                           ; =>This Inner Loop Header: Depth=1
	global_load_u16 v16, v[8:9], off
	global_load_u16 v17, v[10:11], off
	s_mov_b32 s25, -1
	s_mov_b32 s28, 0
	s_mov_b32 s26, -1
	s_mov_b32 s27, exec_lo
	s_waitcnt vmcnt(0)
	v_cmpx_nlt_f16_e32 v16, v17
; %bb.291:                              ;   in Loop: Header=BB1244_290 Depth=1
	v_cmp_ngt_f16_e32 vcc_lo, v16, v17
	s_and_b32 s24, vcc_lo, s24
	s_and_b32 s28, vcc_lo, exec_lo
	s_or_not1_b32 s26, s24, exec_lo
; %bb.292:                              ;   in Loop: Header=BB1244_290 Depth=1
	s_or_b32 exec_lo, exec_lo, s27
	s_delay_alu instid0(SALU_CYCLE_1) | instskip(SKIP_1) | instid1(SALU_CYCLE_1)
	s_and_not1_b32 s23, s23, exec_lo
	s_and_b32 s24, s26, exec_lo
	s_or_b32 s23, s23, s24
                                        ; implicit-def: $sgpr24
	s_and_saveexec_b32 s27, s28
	s_cbranch_execz .LBB1244_289
; %bb.293:                              ;   in Loop: Header=BB1244_290 Depth=1
	v_add_co_u32 v8, vcc_lo, v8, 2
	s_add_u32 s0, s0, -1
	s_addc_u32 s1, s1, -1
	v_add_co_ci_u32_e32 v9, vcc_lo, 0, v9, vcc_lo
	v_add_co_u32 v10, vcc_lo, v10, 2
	s_cmp_eq_u64 s[0:1], 0
	v_add_co_ci_u32_e32 v11, vcc_lo, 0, v11, vcc_lo
	s_cselect_b32 s25, -1, 0
	s_and_b32 s24, s26, exec_lo
	s_and_not1_b32 s23, s23, exec_lo
	s_or_not1_b32 s25, s25, exec_lo
	s_branch .LBB1244_289
.LBB1244_294:
	s_set_inst_prefetch_distance 0x2
	s_or_b32 exec_lo, exec_lo, s21
	v_cndmask_b32_e64 v9, v7, v14, s22
	v_cndmask_b32_e64 v8, v6, v15, s22
.LBB1244_295:
	s_or_b32 exec_lo, exec_lo, s20
	s_delay_alu instid0(VALU_DEP_1)
	v_dual_mov_b32 v6, v8 :: v_dual_mov_b32 v7, v9
.LBB1244_296:
	s_or_b32 exec_lo, exec_lo, s19
.LBB1244_297:
	s_delay_alu instid0(SALU_CYCLE_1) | instskip(SKIP_4) | instid1(VALU_DEP_3)
	s_or_b32 exec_lo, exec_lo, s17
	v_and_b32_e32 v19, 0xf80, v23
	v_and_b32_e32 v20, 0x7c, v23
	v_lshlrev_b32_e32 v14, 3, v23
	s_mov_b32 s17, exec_lo
	v_or_b32_e32 v8, 64, v19
	v_lshlrev_b32_e32 v18, 3, v19
	; wave barrier
	s_waitcnt lgkmcnt(0)
	s_barrier
	s_delay_alu instid0(VALU_DEP_2)
	v_min_u32_e32 v9, 0x3c0, v8
	v_min_u32_e32 v15, 0x400, v8
	buffer_gl0_inv
	ds_store_b128 v14, v[0:3]
	ds_store_b128 v14, v[4:7] offset:16
	s_waitcnt lgkmcnt(0)
	v_add_nc_u32_e32 v16, 64, v9
	v_sub_nc_u32_e32 v8, v15, v19
	s_barrier
	buffer_gl0_inv
	v_sub_nc_u32_e32 v9, v16, v15
	v_min_u32_e32 v21, v20, v8
	s_delay_alu instid0(VALU_DEP_2) | instskip(NEXT) | instid1(VALU_DEP_1)
	v_sub_nc_u32_e64 v17, v20, v9 clamp
	v_cmpx_lt_u32_e64 v17, v21
	s_cbranch_execz .LBB1244_309
; %bb.298:
	v_lshlrev_b32_e32 v8, 3, v20
	s_lshl_b64 s[0:1], s[8:9], 1
	s_mov_b32 s19, 0
	s_delay_alu instid0(VALU_DEP_1)
	v_lshl_add_u32 v37, v15, 3, v8
	s_branch .LBB1244_301
.LBB1244_299:                           ;   in Loop: Header=BB1244_301 Depth=1
	s_set_inst_prefetch_distance 0x2
	s_or_b32 exec_lo, exec_lo, s23
.LBB1244_300:                           ;   in Loop: Header=BB1244_301 Depth=1
	s_delay_alu instid0(VALU_DEP_1) | instskip(SKIP_1) | instid1(VALU_DEP_2)
	v_add_nc_u32_e32 v8, 1, v38
	v_cndmask_b32_e64 v21, v21, v38, s22
	v_cndmask_b32_e64 v17, v8, v17, s22
	s_delay_alu instid0(VALU_DEP_1) | instskip(SKIP_1) | instid1(SALU_CYCLE_1)
	v_cmp_ge_u32_e32 vcc_lo, v17, v21
	s_or_b32 s19, vcc_lo, s19
	s_and_not1_b32 exec_lo, exec_lo, s19
	s_cbranch_execz .LBB1244_308
.LBB1244_301:                           ; =>This Loop Header: Depth=1
                                        ;     Child Loop BB1244_304 Depth 2
	v_add_nc_u32_e32 v8, v21, v17
	v_cmp_ne_u32_e32 vcc_lo, 1, v36
	s_mov_b32 s22, 0
	s_delay_alu instid0(VALU_DEP_2)
	v_lshrrev_b32_e32 v38, 1, v8
	s_cbranch_vccnz .LBB1244_300
; %bb.302:                              ;   in Loop: Header=BB1244_301 Depth=1
	s_delay_alu instid0(VALU_DEP_1) | instskip(SKIP_3) | instid1(VALU_DEP_2)
	v_not_b32_e32 v8, v38
	v_lshl_add_u32 v9, v38, 3, v18
	s_mov_b32 s23, 0
	s_mov_b64 s[20:21], s[8:9]
                                        ; implicit-def: $sgpr22
                                        ; implicit-def: $sgpr24
                                        ; implicit-def: $sgpr25
	v_lshl_add_u32 v8, v8, 3, v37
	ds_load_b64 v[10:11], v8
	ds_load_b64 v[39:40], v9
	s_waitcnt lgkmcnt(1)
	v_mul_lo_u32 v41, s0, v11
	v_mul_lo_u32 v42, s1, v10
	v_mad_u64_u32 v[8:9], null, s0, v10, s[10:11]
	s_waitcnt lgkmcnt(0)
	v_mul_lo_u32 v40, s0, v40
	v_mul_lo_u32 v43, s1, v39
	v_mad_u64_u32 v[10:11], null, s0, v39, s[10:11]
	s_delay_alu instid0(VALU_DEP_4) | instskip(NEXT) | instid1(VALU_DEP_2)
	v_add3_u32 v9, v42, v9, v41
	v_add3_u32 v11, v43, v11, v40
	s_set_inst_prefetch_distance 0x1
	s_branch .LBB1244_304
	.p2align	6
.LBB1244_303:                           ;   in Loop: Header=BB1244_304 Depth=2
	s_or_b32 exec_lo, exec_lo, s28
	s_delay_alu instid0(SALU_CYCLE_1) | instskip(NEXT) | instid1(SALU_CYCLE_1)
	s_and_b32 s26, exec_lo, s27
	s_or_b32 s23, s26, s23
	s_and_not1_b32 s22, s22, exec_lo
	s_and_b32 s26, s24, exec_lo
	s_delay_alu instid0(SALU_CYCLE_1)
	s_or_b32 s22, s22, s26
	s_and_not1_b32 exec_lo, exec_lo, s23
	s_cbranch_execz .LBB1244_299
.LBB1244_304:                           ;   Parent Loop BB1244_301 Depth=1
                                        ; =>  This Inner Loop Header: Depth=2
	global_load_u16 v39, v[8:9], off
	global_load_u16 v40, v[10:11], off
	s_mov_b32 s27, -1
	s_mov_b32 s29, 0
	s_mov_b32 s26, -1
	s_mov_b32 s28, exec_lo
	s_waitcnt vmcnt(0)
	v_cmpx_nlt_f16_e32 v39, v40
; %bb.305:                              ;   in Loop: Header=BB1244_304 Depth=2
	v_cmp_ngt_f16_e32 vcc_lo, v39, v40
	s_and_b32 s25, vcc_lo, s25
	s_and_b32 s29, vcc_lo, exec_lo
	s_or_not1_b32 s26, s25, exec_lo
; %bb.306:                              ;   in Loop: Header=BB1244_304 Depth=2
	s_or_b32 exec_lo, exec_lo, s28
	s_delay_alu instid0(SALU_CYCLE_1) | instskip(SKIP_1) | instid1(SALU_CYCLE_1)
	s_and_not1_b32 s24, s24, exec_lo
	s_and_b32 s25, s26, exec_lo
	s_or_b32 s24, s24, s25
                                        ; implicit-def: $sgpr25
	s_and_saveexec_b32 s28, s29
	s_cbranch_execz .LBB1244_303
; %bb.307:                              ;   in Loop: Header=BB1244_304 Depth=2
	v_add_co_u32 v8, vcc_lo, v8, 2
	s_add_u32 s20, s20, -1
	s_addc_u32 s21, s21, -1
	v_add_co_ci_u32_e32 v9, vcc_lo, 0, v9, vcc_lo
	v_add_co_u32 v10, vcc_lo, v10, 2
	s_cmp_eq_u64 s[20:21], 0
	v_add_co_ci_u32_e32 v11, vcc_lo, 0, v11, vcc_lo
	s_cselect_b32 s27, -1, 0
	s_and_not1_b32 s24, s24, exec_lo
	s_and_b32 s25, s26, exec_lo
	s_or_not1_b32 s27, s27, exec_lo
	s_branch .LBB1244_303
.LBB1244_308:
	s_or_b32 exec_lo, exec_lo, s19
.LBB1244_309:
	s_delay_alu instid0(SALU_CYCLE_1) | instskip(SKIP_2) | instid1(VALU_DEP_2)
	s_or_b32 exec_lo, exec_lo, s17
	v_sub_nc_u32_e32 v9, v20, v17
	v_add_nc_u32_e32 v8, v17, v19
	v_add_nc_u32_e32 v9, v9, v15
	s_delay_alu instid0(VALU_DEP_2) | instskip(NEXT) | instid1(VALU_DEP_2)
	v_cmp_le_u32_e32 vcc_lo, v8, v15
	v_cmp_le_u32_e64 s0, v9, v16
	s_delay_alu instid0(VALU_DEP_1) | instskip(NEXT) | instid1(SALU_CYCLE_1)
	s_or_b32 s0, vcc_lo, s0
	s_and_saveexec_b32 s17, s0
	s_cbranch_execz .LBB1244_353
; %bb.310:
	v_cmp_ge_u32_e32 vcc_lo, v8, v15
	s_mov_b32 s1, exec_lo
                                        ; implicit-def: $vgpr0_vgpr1
	v_cmpx_lt_u32_e64 v8, v15
	s_cbranch_execz .LBB1244_312
; %bb.311:
	v_lshl_add_u32 v0, v17, 3, v18
	ds_load_b64 v[0:1], v0
.LBB1244_312:
	s_or_b32 exec_lo, exec_lo, s1
	v_cmp_ge_u32_e64 s0, v9, v16
	s_mov_b32 s19, exec_lo
                                        ; implicit-def: $vgpr4_vgpr5
	v_cmpx_lt_u32_e64 v9, v16
	s_cbranch_execz .LBB1244_314
; %bb.313:
	v_lshlrev_b32_e32 v2, 3, v9
	ds_load_b64 v[4:5], v2
.LBB1244_314:
	s_or_b32 exec_lo, exec_lo, s19
	s_or_b32 s1, vcc_lo, s0
	s_xor_b32 s19, vcc_lo, -1
	s_or_b32 s1, s1, s12
	s_or_b32 s19, s0, s19
	s_xor_b32 s1, s1, -1
	s_delay_alu instid0(SALU_CYCLE_1)
	s_and_saveexec_b32 s20, s1
	s_cbranch_execz .LBB1244_322
; %bb.315:
	s_waitcnt lgkmcnt(0)
	v_mul_lo_u32 v10, v5, s8
	v_mul_lo_u32 v11, v4, s9
	v_mad_u64_u32 v[2:3], null, v4, s8, 0
	v_mul_lo_u32 v17, v1, s8
	v_mul_lo_u32 v18, v0, s9
	v_mad_u64_u32 v[6:7], null, v0, s8, 0
	s_mov_b32 s21, 0
	s_mov_b64 s[0:1], s[8:9]
	s_delay_alu instid0(VALU_DEP_4) | instskip(NEXT) | instid1(VALU_DEP_2)
	v_add3_u32 v3, v3, v11, v10
                                        ; implicit-def: $sgpr22
                                        ; implicit-def: $sgpr23
                                        ; implicit-def: $sgpr24
	v_add3_u32 v7, v7, v18, v17
	s_delay_alu instid0(VALU_DEP_2) | instskip(NEXT) | instid1(VALU_DEP_2)
	v_lshlrev_b64 v[2:3], 1, v[2:3]
	v_lshlrev_b64 v[6:7], 1, v[6:7]
	s_delay_alu instid0(VALU_DEP_2) | instskip(NEXT) | instid1(VALU_DEP_3)
	v_add_co_u32 v2, vcc_lo, s10, v2
	v_add_co_ci_u32_e32 v3, vcc_lo, s11, v3, vcc_lo
	s_delay_alu instid0(VALU_DEP_3) | instskip(NEXT) | instid1(VALU_DEP_4)
	v_add_co_u32 v6, vcc_lo, s10, v6
	v_add_co_ci_u32_e32 v7, vcc_lo, s11, v7, vcc_lo
	s_set_inst_prefetch_distance 0x1
	s_branch .LBB1244_317
	.p2align	6
.LBB1244_316:                           ;   in Loop: Header=BB1244_317 Depth=1
	s_or_b32 exec_lo, exec_lo, s27
	s_delay_alu instid0(SALU_CYCLE_1) | instskip(NEXT) | instid1(SALU_CYCLE_1)
	s_and_b32 s25, exec_lo, s25
	s_or_b32 s21, s25, s21
	s_and_not1_b32 s22, s22, exec_lo
	s_and_b32 s25, s23, exec_lo
	s_delay_alu instid0(SALU_CYCLE_1)
	s_or_b32 s22, s22, s25
	s_and_not1_b32 exec_lo, exec_lo, s21
	s_cbranch_execz .LBB1244_321
.LBB1244_317:                           ; =>This Inner Loop Header: Depth=1
	global_load_u16 v10, v[2:3], off
	global_load_u16 v11, v[6:7], off
	s_mov_b32 s25, -1
	s_mov_b32 s28, 0
	s_mov_b32 s26, -1
	s_mov_b32 s27, exec_lo
	s_waitcnt vmcnt(0)
	v_cmpx_nlt_f16_e32 v10, v11
; %bb.318:                              ;   in Loop: Header=BB1244_317 Depth=1
	v_cmp_ngt_f16_e32 vcc_lo, v10, v11
	s_and_b32 s24, vcc_lo, s24
	s_and_b32 s28, vcc_lo, exec_lo
	s_or_not1_b32 s26, s24, exec_lo
; %bb.319:                              ;   in Loop: Header=BB1244_317 Depth=1
	s_or_b32 exec_lo, exec_lo, s27
	s_delay_alu instid0(SALU_CYCLE_1) | instskip(SKIP_1) | instid1(SALU_CYCLE_1)
	s_and_not1_b32 s23, s23, exec_lo
	s_and_b32 s24, s26, exec_lo
	s_or_b32 s23, s23, s24
                                        ; implicit-def: $sgpr24
	s_and_saveexec_b32 s27, s28
	s_cbranch_execz .LBB1244_316
; %bb.320:                              ;   in Loop: Header=BB1244_317 Depth=1
	v_add_co_u32 v2, vcc_lo, v2, 2
	s_add_u32 s0, s0, -1
	s_addc_u32 s1, s1, -1
	v_add_co_ci_u32_e32 v3, vcc_lo, 0, v3, vcc_lo
	v_add_co_u32 v6, vcc_lo, v6, 2
	s_cmp_eq_u64 s[0:1], 0
	v_add_co_ci_u32_e32 v7, vcc_lo, 0, v7, vcc_lo
	s_cselect_b32 s25, -1, 0
	s_and_b32 s24, s26, exec_lo
	s_and_not1_b32 s23, s23, exec_lo
	s_or_not1_b32 s25, s25, exec_lo
	s_branch .LBB1244_316
.LBB1244_321:
	s_set_inst_prefetch_distance 0x2
	s_or_b32 exec_lo, exec_lo, s21
	s_xor_b32 s0, s22, -1
	s_and_not1_b32 s1, s19, exec_lo
	s_and_b32 s0, s0, exec_lo
	s_delay_alu instid0(SALU_CYCLE_1)
	s_or_b32 s19, s1, s0
.LBB1244_322:
	s_or_b32 exec_lo, exec_lo, s20
	v_cndmask_b32_e64 v2, v9, v8, s19
	v_cndmask_b32_e64 v3, v16, v15, s19
	s_mov_b32 s20, -1
	s_mov_b32 s21, -1
	s_mov_b32 s22, exec_lo
	v_add_nc_u32_e32 v6, 1, v2
	v_add_nc_u32_e32 v2, -1, v3
	s_delay_alu instid0(VALU_DEP_2) | instskip(NEXT) | instid1(VALU_DEP_2)
	v_cndmask_b32_e64 v9, v6, v9, s19
	v_min_u32_e32 v2, v6, v2
	v_cndmask_b32_e64 v8, v8, v6, s19
	s_delay_alu instid0(VALU_DEP_2)
	v_lshlrev_b32_e32 v2, 3, v2
	ds_load_b64 v[2:3], v2
	s_waitcnt lgkmcnt(0)
	v_cndmask_b32_e64 v10, v3, v5, s19
	v_cndmask_b32_e64 v11, v2, v4, s19
	;; [unrolled: 1-line block ×4, first 2 shown]
	v_cmpx_lt_u32_e64 v9, v16
	s_cbranch_execz .LBB1244_332
; %bb.323:
	v_cmp_lt_u32_e64 s21, v8, v15
	s_xor_b32 s0, s12, -1
	s_delay_alu instid0(VALU_DEP_1) | instid1(SALU_CYCLE_1)
	s_and_b32 s0, s21, s0
	s_delay_alu instid0(SALU_CYCLE_1)
	s_and_saveexec_b32 s23, s0
	s_cbranch_execz .LBB1244_331
; %bb.324:
	v_mul_lo_u32 v19, v10, s8
	v_mul_lo_u32 v20, v11, s9
	v_mad_u64_u32 v[2:3], null, v11, s8, 0
	v_mul_lo_u32 v21, v17, s8
	v_mul_lo_u32 v37, v18, s9
	v_mad_u64_u32 v[6:7], null, v18, s8, 0
	s_mov_b32 s24, 0
	s_mov_b64 s[0:1], s[8:9]
	s_delay_alu instid0(VALU_DEP_4) | instskip(NEXT) | instid1(VALU_DEP_2)
	v_add3_u32 v3, v3, v20, v19
                                        ; implicit-def: $sgpr25
                                        ; implicit-def: $sgpr26
                                        ; implicit-def: $sgpr27
	v_add3_u32 v7, v7, v37, v21
	s_delay_alu instid0(VALU_DEP_2) | instskip(NEXT) | instid1(VALU_DEP_2)
	v_lshlrev_b64 v[2:3], 1, v[2:3]
	v_lshlrev_b64 v[6:7], 1, v[6:7]
	s_delay_alu instid0(VALU_DEP_2) | instskip(NEXT) | instid1(VALU_DEP_3)
	v_add_co_u32 v2, vcc_lo, s10, v2
	v_add_co_ci_u32_e32 v3, vcc_lo, s11, v3, vcc_lo
	s_delay_alu instid0(VALU_DEP_3) | instskip(NEXT) | instid1(VALU_DEP_4)
	v_add_co_u32 v6, vcc_lo, s10, v6
	v_add_co_ci_u32_e32 v7, vcc_lo, s11, v7, vcc_lo
	s_set_inst_prefetch_distance 0x1
	s_branch .LBB1244_326
	.p2align	6
.LBB1244_325:                           ;   in Loop: Header=BB1244_326 Depth=1
	s_or_b32 exec_lo, exec_lo, s30
	s_delay_alu instid0(SALU_CYCLE_1) | instskip(NEXT) | instid1(SALU_CYCLE_1)
	s_and_b32 s28, exec_lo, s28
	s_or_b32 s24, s28, s24
	s_and_not1_b32 s25, s25, exec_lo
	s_and_b32 s28, s26, exec_lo
	s_delay_alu instid0(SALU_CYCLE_1)
	s_or_b32 s25, s25, s28
	s_and_not1_b32 exec_lo, exec_lo, s24
	s_cbranch_execz .LBB1244_330
.LBB1244_326:                           ; =>This Inner Loop Header: Depth=1
	global_load_u16 v19, v[2:3], off
	global_load_u16 v20, v[6:7], off
	s_mov_b32 s28, -1
	s_mov_b32 s31, 0
	s_mov_b32 s29, -1
	s_mov_b32 s30, exec_lo
	s_waitcnt vmcnt(0)
	v_cmpx_nlt_f16_e32 v19, v20
; %bb.327:                              ;   in Loop: Header=BB1244_326 Depth=1
	v_cmp_ngt_f16_e32 vcc_lo, v19, v20
	s_and_b32 s27, vcc_lo, s27
	s_and_b32 s31, vcc_lo, exec_lo
	s_or_not1_b32 s29, s27, exec_lo
; %bb.328:                              ;   in Loop: Header=BB1244_326 Depth=1
	s_or_b32 exec_lo, exec_lo, s30
	s_delay_alu instid0(SALU_CYCLE_1) | instskip(SKIP_1) | instid1(SALU_CYCLE_1)
	s_and_not1_b32 s26, s26, exec_lo
	s_and_b32 s27, s29, exec_lo
	s_or_b32 s26, s26, s27
                                        ; implicit-def: $sgpr27
	s_and_saveexec_b32 s30, s31
	s_cbranch_execz .LBB1244_325
; %bb.329:                              ;   in Loop: Header=BB1244_326 Depth=1
	v_add_co_u32 v2, vcc_lo, v2, 2
	s_add_u32 s0, s0, -1
	s_addc_u32 s1, s1, -1
	v_add_co_ci_u32_e32 v3, vcc_lo, 0, v3, vcc_lo
	v_add_co_u32 v6, vcc_lo, v6, 2
	s_cmp_eq_u64 s[0:1], 0
	v_add_co_ci_u32_e32 v7, vcc_lo, 0, v7, vcc_lo
	s_cselect_b32 s28, -1, 0
	s_and_b32 s27, s29, exec_lo
	s_and_not1_b32 s26, s26, exec_lo
	s_or_not1_b32 s28, s28, exec_lo
	s_branch .LBB1244_325
.LBB1244_330:
	s_set_inst_prefetch_distance 0x2
	s_or_b32 exec_lo, exec_lo, s24
	s_xor_b32 s0, s25, -1
	s_and_not1_b32 s1, s21, exec_lo
	s_and_b32 s0, s0, exec_lo
	s_delay_alu instid0(SALU_CYCLE_1)
	s_or_b32 s21, s1, s0
.LBB1244_331:
	s_or_b32 exec_lo, exec_lo, s23
	s_delay_alu instid0(SALU_CYCLE_1)
	s_or_not1_b32 s21, s21, exec_lo
.LBB1244_332:
	s_or_b32 exec_lo, exec_lo, s22
	v_cndmask_b32_e64 v2, v9, v8, s21
	v_cndmask_b32_e64 v3, v16, v15, s21
	s_mov_b32 s22, exec_lo
	s_delay_alu instid0(VALU_DEP_2) | instskip(NEXT) | instid1(VALU_DEP_2)
	v_add_nc_u32_e32 v6, 1, v2
	v_add_nc_u32_e32 v2, -1, v3
	s_delay_alu instid0(VALU_DEP_2) | instskip(NEXT) | instid1(VALU_DEP_2)
	v_cndmask_b32_e64 v37, v6, v9, s21
	v_min_u32_e32 v2, v6, v2
	v_cndmask_b32_e64 v19, v8, v6, s21
	s_delay_alu instid0(VALU_DEP_2)
	v_lshlrev_b32_e32 v2, 3, v2
	ds_load_b64 v[2:3], v2
	s_waitcnt lgkmcnt(0)
	v_cndmask_b32_e64 v20, v3, v10, s21
	v_cndmask_b32_e64 v21, v2, v11, s21
	;; [unrolled: 1-line block ×4, first 2 shown]
	v_cmpx_lt_u32_e64 v37, v16
	s_cbranch_execz .LBB1244_342
; %bb.333:
	v_cmp_lt_u32_e64 s20, v19, v15
	s_xor_b32 s0, s12, -1
	s_delay_alu instid0(VALU_DEP_1) | instid1(SALU_CYCLE_1)
	s_and_b32 s0, s20, s0
	s_delay_alu instid0(SALU_CYCLE_1)
	s_and_saveexec_b32 s23, s0
	s_cbranch_execz .LBB1244_341
; %bb.334:
	v_mul_lo_u32 v8, v20, s8
	v_mul_lo_u32 v9, v21, s9
	v_mad_u64_u32 v[2:3], null, v21, s8, 0
	v_mul_lo_u32 v40, v38, s8
	v_mul_lo_u32 v41, v39, s9
	v_mad_u64_u32 v[6:7], null, v39, s8, 0
	s_mov_b32 s24, 0
	s_mov_b64 s[0:1], s[8:9]
	s_delay_alu instid0(VALU_DEP_4) | instskip(NEXT) | instid1(VALU_DEP_2)
	v_add3_u32 v3, v3, v9, v8
                                        ; implicit-def: $sgpr25
                                        ; implicit-def: $sgpr26
                                        ; implicit-def: $sgpr27
	v_add3_u32 v7, v7, v41, v40
	s_delay_alu instid0(VALU_DEP_2) | instskip(NEXT) | instid1(VALU_DEP_2)
	v_lshlrev_b64 v[2:3], 1, v[2:3]
	v_lshlrev_b64 v[6:7], 1, v[6:7]
	s_delay_alu instid0(VALU_DEP_2) | instskip(NEXT) | instid1(VALU_DEP_3)
	v_add_co_u32 v2, vcc_lo, s10, v2
	v_add_co_ci_u32_e32 v3, vcc_lo, s11, v3, vcc_lo
	s_delay_alu instid0(VALU_DEP_3) | instskip(NEXT) | instid1(VALU_DEP_4)
	v_add_co_u32 v6, vcc_lo, s10, v6
	v_add_co_ci_u32_e32 v7, vcc_lo, s11, v7, vcc_lo
	s_set_inst_prefetch_distance 0x1
	s_branch .LBB1244_336
	.p2align	6
.LBB1244_335:                           ;   in Loop: Header=BB1244_336 Depth=1
	s_or_b32 exec_lo, exec_lo, s30
	s_delay_alu instid0(SALU_CYCLE_1) | instskip(NEXT) | instid1(SALU_CYCLE_1)
	s_and_b32 s28, exec_lo, s28
	s_or_b32 s24, s28, s24
	s_and_not1_b32 s25, s25, exec_lo
	s_and_b32 s28, s26, exec_lo
	s_delay_alu instid0(SALU_CYCLE_1)
	s_or_b32 s25, s25, s28
	s_and_not1_b32 exec_lo, exec_lo, s24
	s_cbranch_execz .LBB1244_340
.LBB1244_336:                           ; =>This Inner Loop Header: Depth=1
	global_load_u16 v8, v[2:3], off
	global_load_u16 v9, v[6:7], off
	s_mov_b32 s28, -1
	s_mov_b32 s31, 0
	s_mov_b32 s29, -1
	s_mov_b32 s30, exec_lo
	s_waitcnt vmcnt(0)
	v_cmpx_nlt_f16_e32 v8, v9
; %bb.337:                              ;   in Loop: Header=BB1244_336 Depth=1
	v_cmp_ngt_f16_e32 vcc_lo, v8, v9
	s_and_b32 s27, vcc_lo, s27
	s_and_b32 s31, vcc_lo, exec_lo
	s_or_not1_b32 s29, s27, exec_lo
; %bb.338:                              ;   in Loop: Header=BB1244_336 Depth=1
	s_or_b32 exec_lo, exec_lo, s30
	s_delay_alu instid0(SALU_CYCLE_1) | instskip(SKIP_1) | instid1(SALU_CYCLE_1)
	s_and_not1_b32 s26, s26, exec_lo
	s_and_b32 s27, s29, exec_lo
	s_or_b32 s26, s26, s27
                                        ; implicit-def: $sgpr27
	s_and_saveexec_b32 s30, s31
	s_cbranch_execz .LBB1244_335
; %bb.339:                              ;   in Loop: Header=BB1244_336 Depth=1
	v_add_co_u32 v2, vcc_lo, v2, 2
	s_add_u32 s0, s0, -1
	s_addc_u32 s1, s1, -1
	v_add_co_ci_u32_e32 v3, vcc_lo, 0, v3, vcc_lo
	v_add_co_u32 v6, vcc_lo, v6, 2
	s_cmp_eq_u64 s[0:1], 0
	v_add_co_ci_u32_e32 v7, vcc_lo, 0, v7, vcc_lo
	s_cselect_b32 s28, -1, 0
	s_and_b32 s27, s29, exec_lo
	s_and_not1_b32 s26, s26, exec_lo
	s_or_not1_b32 s28, s28, exec_lo
	s_branch .LBB1244_335
.LBB1244_340:
	s_set_inst_prefetch_distance 0x2
	s_or_b32 exec_lo, exec_lo, s24
	s_xor_b32 s0, s25, -1
	s_and_not1_b32 s1, s20, exec_lo
	s_and_b32 s0, s0, exec_lo
	s_delay_alu instid0(SALU_CYCLE_1)
	s_or_b32 s20, s1, s0
.LBB1244_341:
	s_or_b32 exec_lo, exec_lo, s23
	s_delay_alu instid0(SALU_CYCLE_1)
	s_or_not1_b32 s20, s20, exec_lo
.LBB1244_342:
	s_or_b32 exec_lo, exec_lo, s22
	v_cndmask_b32_e64 v2, v37, v19, s20
	v_cndmask_b32_e64 v3, v16, v15, s20
	;; [unrolled: 1-line block ×5, first 2 shown]
	v_add_nc_u32_e32 v40, 1, v2
	v_add_nc_u32_e32 v2, -1, v3
	v_cndmask_b32_e64 v3, v10, v17, s21
	v_cndmask_b32_e64 v4, v21, v39, s20
	s_mov_b32 s19, exec_lo
	v_cndmask_b32_e64 v10, v40, v37, s20
	v_min_u32_e32 v2, v40, v2
	s_delay_alu instid0(VALU_DEP_1)
	v_lshlrev_b32_e32 v2, 3, v2
	ds_load_b64 v[8:9], v2
	v_cndmask_b32_e64 v2, v11, v18, s21
	s_waitcnt lgkmcnt(0)
	v_cndmask_b32_e64 v7, v38, v9, s20
	v_cndmask_b32_e64 v6, v39, v8, s20
	v_cmpx_lt_u32_e64 v10, v16
	s_cbranch_execz .LBB1244_352
; %bb.343:
	v_cndmask_b32_e64 v10, v19, v40, s20
	v_cndmask_b32_e64 v16, v9, v20, s20
	;; [unrolled: 1-line block ×3, first 2 shown]
	s_delay_alu instid0(VALU_DEP_3) | instskip(NEXT) | instid1(VALU_DEP_2)
	v_cmp_ge_u32_e32 vcc_lo, v10, v15
	v_dual_cndmask_b32 v9, v7, v16 :: v_dual_cndmask_b32 v8, v6, v17
	s_or_b32 s0, vcc_lo, s12
	s_delay_alu instid0(SALU_CYCLE_1) | instskip(NEXT) | instid1(SALU_CYCLE_1)
	s_xor_b32 s0, s0, -1
	s_and_saveexec_b32 s20, s0
	s_cbranch_execz .LBB1244_351
; %bb.344:
	v_mul_lo_u32 v15, v16, s8
	v_mul_lo_u32 v18, v17, s9
	v_mad_u64_u32 v[8:9], null, v17, s8, 0
	v_mul_lo_u32 v19, v7, s8
	v_mul_lo_u32 v20, v6, s9
	v_mad_u64_u32 v[10:11], null, v6, s8, 0
	s_mov_b32 s21, 0
	s_mov_b64 s[0:1], s[8:9]
	s_delay_alu instid0(VALU_DEP_4) | instskip(NEXT) | instid1(VALU_DEP_2)
	v_add3_u32 v9, v9, v18, v15
                                        ; implicit-def: $sgpr22
                                        ; implicit-def: $sgpr23
                                        ; implicit-def: $sgpr24
	v_add3_u32 v11, v11, v20, v19
	s_delay_alu instid0(VALU_DEP_2) | instskip(NEXT) | instid1(VALU_DEP_2)
	v_lshlrev_b64 v[8:9], 1, v[8:9]
	v_lshlrev_b64 v[10:11], 1, v[10:11]
	s_delay_alu instid0(VALU_DEP_2) | instskip(NEXT) | instid1(VALU_DEP_3)
	v_add_co_u32 v8, vcc_lo, s10, v8
	v_add_co_ci_u32_e32 v9, vcc_lo, s11, v9, vcc_lo
	s_delay_alu instid0(VALU_DEP_3) | instskip(NEXT) | instid1(VALU_DEP_4)
	v_add_co_u32 v10, vcc_lo, s10, v10
	v_add_co_ci_u32_e32 v11, vcc_lo, s11, v11, vcc_lo
	s_set_inst_prefetch_distance 0x1
	s_branch .LBB1244_346
	.p2align	6
.LBB1244_345:                           ;   in Loop: Header=BB1244_346 Depth=1
	s_or_b32 exec_lo, exec_lo, s27
	s_delay_alu instid0(SALU_CYCLE_1) | instskip(NEXT) | instid1(SALU_CYCLE_1)
	s_and_b32 s25, exec_lo, s25
	s_or_b32 s21, s25, s21
	s_and_not1_b32 s22, s22, exec_lo
	s_and_b32 s25, s23, exec_lo
	s_delay_alu instid0(SALU_CYCLE_1)
	s_or_b32 s22, s22, s25
	s_and_not1_b32 exec_lo, exec_lo, s21
	s_cbranch_execz .LBB1244_350
.LBB1244_346:                           ; =>This Inner Loop Header: Depth=1
	global_load_u16 v15, v[8:9], off
	global_load_u16 v18, v[10:11], off
	s_mov_b32 s25, -1
	s_mov_b32 s28, 0
	s_mov_b32 s26, -1
	s_mov_b32 s27, exec_lo
	s_waitcnt vmcnt(0)
	v_cmpx_nlt_f16_e32 v15, v18
; %bb.347:                              ;   in Loop: Header=BB1244_346 Depth=1
	v_cmp_ngt_f16_e32 vcc_lo, v15, v18
	s_and_b32 s24, vcc_lo, s24
	s_and_b32 s28, vcc_lo, exec_lo
	s_or_not1_b32 s26, s24, exec_lo
; %bb.348:                              ;   in Loop: Header=BB1244_346 Depth=1
	s_or_b32 exec_lo, exec_lo, s27
	s_delay_alu instid0(SALU_CYCLE_1) | instskip(SKIP_1) | instid1(SALU_CYCLE_1)
	s_and_not1_b32 s23, s23, exec_lo
	s_and_b32 s24, s26, exec_lo
	s_or_b32 s23, s23, s24
                                        ; implicit-def: $sgpr24
	s_and_saveexec_b32 s27, s28
	s_cbranch_execz .LBB1244_345
; %bb.349:                              ;   in Loop: Header=BB1244_346 Depth=1
	v_add_co_u32 v8, vcc_lo, v8, 2
	s_add_u32 s0, s0, -1
	s_addc_u32 s1, s1, -1
	v_add_co_ci_u32_e32 v9, vcc_lo, 0, v9, vcc_lo
	v_add_co_u32 v10, vcc_lo, v10, 2
	s_cmp_eq_u64 s[0:1], 0
	v_add_co_ci_u32_e32 v11, vcc_lo, 0, v11, vcc_lo
	s_cselect_b32 s25, -1, 0
	s_and_b32 s24, s26, exec_lo
	s_and_not1_b32 s23, s23, exec_lo
	s_or_not1_b32 s25, s25, exec_lo
	s_branch .LBB1244_345
.LBB1244_350:
	s_set_inst_prefetch_distance 0x2
	s_or_b32 exec_lo, exec_lo, s21
	v_cndmask_b32_e64 v9, v7, v16, s22
	v_cndmask_b32_e64 v8, v6, v17, s22
.LBB1244_351:
	s_or_b32 exec_lo, exec_lo, s20
	s_delay_alu instid0(VALU_DEP_1)
	v_dual_mov_b32 v6, v8 :: v_dual_mov_b32 v7, v9
.LBB1244_352:
	s_or_b32 exec_lo, exec_lo, s19
.LBB1244_353:
	s_delay_alu instid0(SALU_CYCLE_1) | instskip(SKIP_4) | instid1(VALU_DEP_2)
	s_or_b32 exec_lo, exec_lo, s17
	v_and_b32_e32 v19, 0xf00, v23
	v_and_b32_e32 v20, 0xfc, v23
	s_mov_b32 s17, exec_lo
	s_barrier
	v_or_b32_e32 v8, 0x80, v19
	v_lshlrev_b32_e32 v18, 3, v19
	buffer_gl0_inv
	ds_store_b128 v14, v[0:3]
	ds_store_b128 v14, v[4:7] offset:16
	s_waitcnt lgkmcnt(0)
	v_min_u32_e32 v9, 0x380, v8
	v_min_u32_e32 v15, 0x400, v8
	s_barrier
	buffer_gl0_inv
	v_add_nc_u32_e32 v16, 0x80, v9
	v_sub_nc_u32_e32 v8, v15, v19
	s_delay_alu instid0(VALU_DEP_2) | instskip(NEXT) | instid1(VALU_DEP_2)
	v_sub_nc_u32_e32 v9, v16, v15
	v_min_u32_e32 v21, v20, v8
	s_delay_alu instid0(VALU_DEP_2) | instskip(NEXT) | instid1(VALU_DEP_1)
	v_sub_nc_u32_e64 v17, v20, v9 clamp
	v_cmpx_lt_u32_e64 v17, v21
	s_cbranch_execz .LBB1244_365
; %bb.354:
	v_lshlrev_b32_e32 v8, 3, v20
	s_lshl_b64 s[0:1], s[8:9], 1
	s_mov_b32 s19, 0
	s_delay_alu instid0(VALU_DEP_1)
	v_lshl_add_u32 v37, v15, 3, v8
	s_branch .LBB1244_357
.LBB1244_355:                           ;   in Loop: Header=BB1244_357 Depth=1
	s_set_inst_prefetch_distance 0x2
	s_or_b32 exec_lo, exec_lo, s23
.LBB1244_356:                           ;   in Loop: Header=BB1244_357 Depth=1
	s_delay_alu instid0(VALU_DEP_1) | instskip(SKIP_1) | instid1(VALU_DEP_2)
	v_add_nc_u32_e32 v8, 1, v38
	v_cndmask_b32_e64 v21, v21, v38, s22
	v_cndmask_b32_e64 v17, v8, v17, s22
	s_delay_alu instid0(VALU_DEP_1) | instskip(SKIP_1) | instid1(SALU_CYCLE_1)
	v_cmp_ge_u32_e32 vcc_lo, v17, v21
	s_or_b32 s19, vcc_lo, s19
	s_and_not1_b32 exec_lo, exec_lo, s19
	s_cbranch_execz .LBB1244_364
.LBB1244_357:                           ; =>This Loop Header: Depth=1
                                        ;     Child Loop BB1244_360 Depth 2
	v_add_nc_u32_e32 v8, v21, v17
	v_cmp_ne_u32_e32 vcc_lo, 1, v36
	s_mov_b32 s22, 0
	s_delay_alu instid0(VALU_DEP_2)
	v_lshrrev_b32_e32 v38, 1, v8
	s_cbranch_vccnz .LBB1244_356
; %bb.358:                              ;   in Loop: Header=BB1244_357 Depth=1
	s_delay_alu instid0(VALU_DEP_1) | instskip(SKIP_3) | instid1(VALU_DEP_2)
	v_not_b32_e32 v8, v38
	v_lshl_add_u32 v9, v38, 3, v18
	s_mov_b32 s23, 0
	s_mov_b64 s[20:21], s[8:9]
                                        ; implicit-def: $sgpr22
                                        ; implicit-def: $sgpr24
                                        ; implicit-def: $sgpr25
	v_lshl_add_u32 v8, v8, 3, v37
	ds_load_b64 v[10:11], v8
	ds_load_b64 v[39:40], v9
	s_waitcnt lgkmcnt(1)
	v_mul_lo_u32 v41, s0, v11
	v_mul_lo_u32 v42, s1, v10
	v_mad_u64_u32 v[8:9], null, s0, v10, s[10:11]
	s_waitcnt lgkmcnt(0)
	v_mul_lo_u32 v40, s0, v40
	v_mul_lo_u32 v43, s1, v39
	v_mad_u64_u32 v[10:11], null, s0, v39, s[10:11]
	s_delay_alu instid0(VALU_DEP_4) | instskip(NEXT) | instid1(VALU_DEP_2)
	v_add3_u32 v9, v42, v9, v41
	v_add3_u32 v11, v43, v11, v40
	s_set_inst_prefetch_distance 0x1
	s_branch .LBB1244_360
	.p2align	6
.LBB1244_359:                           ;   in Loop: Header=BB1244_360 Depth=2
	s_or_b32 exec_lo, exec_lo, s28
	s_delay_alu instid0(SALU_CYCLE_1) | instskip(NEXT) | instid1(SALU_CYCLE_1)
	s_and_b32 s26, exec_lo, s27
	s_or_b32 s23, s26, s23
	s_and_not1_b32 s22, s22, exec_lo
	s_and_b32 s26, s24, exec_lo
	s_delay_alu instid0(SALU_CYCLE_1)
	s_or_b32 s22, s22, s26
	s_and_not1_b32 exec_lo, exec_lo, s23
	s_cbranch_execz .LBB1244_355
.LBB1244_360:                           ;   Parent Loop BB1244_357 Depth=1
                                        ; =>  This Inner Loop Header: Depth=2
	global_load_u16 v39, v[8:9], off
	global_load_u16 v40, v[10:11], off
	s_mov_b32 s27, -1
	s_mov_b32 s29, 0
	s_mov_b32 s26, -1
	s_mov_b32 s28, exec_lo
	s_waitcnt vmcnt(0)
	v_cmpx_nlt_f16_e32 v39, v40
; %bb.361:                              ;   in Loop: Header=BB1244_360 Depth=2
	v_cmp_ngt_f16_e32 vcc_lo, v39, v40
	s_and_b32 s25, vcc_lo, s25
	s_and_b32 s29, vcc_lo, exec_lo
	s_or_not1_b32 s26, s25, exec_lo
; %bb.362:                              ;   in Loop: Header=BB1244_360 Depth=2
	s_or_b32 exec_lo, exec_lo, s28
	s_delay_alu instid0(SALU_CYCLE_1) | instskip(SKIP_1) | instid1(SALU_CYCLE_1)
	s_and_not1_b32 s24, s24, exec_lo
	s_and_b32 s25, s26, exec_lo
	s_or_b32 s24, s24, s25
                                        ; implicit-def: $sgpr25
	s_and_saveexec_b32 s28, s29
	s_cbranch_execz .LBB1244_359
; %bb.363:                              ;   in Loop: Header=BB1244_360 Depth=2
	v_add_co_u32 v8, vcc_lo, v8, 2
	s_add_u32 s20, s20, -1
	s_addc_u32 s21, s21, -1
	v_add_co_ci_u32_e32 v9, vcc_lo, 0, v9, vcc_lo
	v_add_co_u32 v10, vcc_lo, v10, 2
	s_cmp_eq_u64 s[20:21], 0
	v_add_co_ci_u32_e32 v11, vcc_lo, 0, v11, vcc_lo
	s_cselect_b32 s27, -1, 0
	s_and_not1_b32 s24, s24, exec_lo
	s_and_b32 s25, s26, exec_lo
	s_or_not1_b32 s27, s27, exec_lo
	s_branch .LBB1244_359
.LBB1244_364:
	s_or_b32 exec_lo, exec_lo, s19
.LBB1244_365:
	s_delay_alu instid0(SALU_CYCLE_1) | instskip(SKIP_2) | instid1(VALU_DEP_2)
	s_or_b32 exec_lo, exec_lo, s17
	v_sub_nc_u32_e32 v9, v20, v17
	v_add_nc_u32_e32 v8, v17, v19
	v_add_nc_u32_e32 v9, v9, v15
	s_delay_alu instid0(VALU_DEP_2) | instskip(NEXT) | instid1(VALU_DEP_2)
	v_cmp_le_u32_e32 vcc_lo, v8, v15
	v_cmp_le_u32_e64 s0, v9, v16
	s_delay_alu instid0(VALU_DEP_1) | instskip(NEXT) | instid1(SALU_CYCLE_1)
	s_or_b32 s0, vcc_lo, s0
	s_and_saveexec_b32 s17, s0
	s_cbranch_execz .LBB1244_409
; %bb.366:
	v_cmp_ge_u32_e32 vcc_lo, v8, v15
	s_mov_b32 s1, exec_lo
                                        ; implicit-def: $vgpr0_vgpr1
	v_cmpx_lt_u32_e64 v8, v15
	s_cbranch_execz .LBB1244_368
; %bb.367:
	v_lshl_add_u32 v0, v17, 3, v18
	ds_load_b64 v[0:1], v0
.LBB1244_368:
	s_or_b32 exec_lo, exec_lo, s1
	v_cmp_ge_u32_e64 s0, v9, v16
	s_mov_b32 s19, exec_lo
                                        ; implicit-def: $vgpr4_vgpr5
	v_cmpx_lt_u32_e64 v9, v16
	s_cbranch_execz .LBB1244_370
; %bb.369:
	v_lshlrev_b32_e32 v2, 3, v9
	ds_load_b64 v[4:5], v2
.LBB1244_370:
	s_or_b32 exec_lo, exec_lo, s19
	s_or_b32 s1, vcc_lo, s0
	s_xor_b32 s19, vcc_lo, -1
	s_or_b32 s1, s1, s12
	s_or_b32 s19, s0, s19
	s_xor_b32 s1, s1, -1
	s_delay_alu instid0(SALU_CYCLE_1)
	s_and_saveexec_b32 s20, s1
	s_cbranch_execz .LBB1244_378
; %bb.371:
	s_waitcnt lgkmcnt(0)
	v_mul_lo_u32 v10, v5, s8
	v_mul_lo_u32 v11, v4, s9
	v_mad_u64_u32 v[2:3], null, v4, s8, 0
	v_mul_lo_u32 v17, v1, s8
	v_mul_lo_u32 v18, v0, s9
	v_mad_u64_u32 v[6:7], null, v0, s8, 0
	s_mov_b32 s21, 0
	s_mov_b64 s[0:1], s[8:9]
	s_delay_alu instid0(VALU_DEP_4) | instskip(NEXT) | instid1(VALU_DEP_2)
	v_add3_u32 v3, v3, v11, v10
                                        ; implicit-def: $sgpr22
                                        ; implicit-def: $sgpr23
                                        ; implicit-def: $sgpr24
	v_add3_u32 v7, v7, v18, v17
	s_delay_alu instid0(VALU_DEP_2) | instskip(NEXT) | instid1(VALU_DEP_2)
	v_lshlrev_b64 v[2:3], 1, v[2:3]
	v_lshlrev_b64 v[6:7], 1, v[6:7]
	s_delay_alu instid0(VALU_DEP_2) | instskip(NEXT) | instid1(VALU_DEP_3)
	v_add_co_u32 v2, vcc_lo, s10, v2
	v_add_co_ci_u32_e32 v3, vcc_lo, s11, v3, vcc_lo
	s_delay_alu instid0(VALU_DEP_3) | instskip(NEXT) | instid1(VALU_DEP_4)
	v_add_co_u32 v6, vcc_lo, s10, v6
	v_add_co_ci_u32_e32 v7, vcc_lo, s11, v7, vcc_lo
	s_set_inst_prefetch_distance 0x1
	s_branch .LBB1244_373
	.p2align	6
.LBB1244_372:                           ;   in Loop: Header=BB1244_373 Depth=1
	s_or_b32 exec_lo, exec_lo, s27
	s_delay_alu instid0(SALU_CYCLE_1) | instskip(NEXT) | instid1(SALU_CYCLE_1)
	s_and_b32 s25, exec_lo, s25
	s_or_b32 s21, s25, s21
	s_and_not1_b32 s22, s22, exec_lo
	s_and_b32 s25, s23, exec_lo
	s_delay_alu instid0(SALU_CYCLE_1)
	s_or_b32 s22, s22, s25
	s_and_not1_b32 exec_lo, exec_lo, s21
	s_cbranch_execz .LBB1244_377
.LBB1244_373:                           ; =>This Inner Loop Header: Depth=1
	global_load_u16 v10, v[2:3], off
	global_load_u16 v11, v[6:7], off
	s_mov_b32 s25, -1
	s_mov_b32 s28, 0
	s_mov_b32 s26, -1
	s_mov_b32 s27, exec_lo
	s_waitcnt vmcnt(0)
	v_cmpx_nlt_f16_e32 v10, v11
; %bb.374:                              ;   in Loop: Header=BB1244_373 Depth=1
	v_cmp_ngt_f16_e32 vcc_lo, v10, v11
	s_and_b32 s24, vcc_lo, s24
	s_and_b32 s28, vcc_lo, exec_lo
	s_or_not1_b32 s26, s24, exec_lo
; %bb.375:                              ;   in Loop: Header=BB1244_373 Depth=1
	s_or_b32 exec_lo, exec_lo, s27
	s_delay_alu instid0(SALU_CYCLE_1) | instskip(SKIP_1) | instid1(SALU_CYCLE_1)
	s_and_not1_b32 s23, s23, exec_lo
	s_and_b32 s24, s26, exec_lo
	s_or_b32 s23, s23, s24
                                        ; implicit-def: $sgpr24
	s_and_saveexec_b32 s27, s28
	s_cbranch_execz .LBB1244_372
; %bb.376:                              ;   in Loop: Header=BB1244_373 Depth=1
	v_add_co_u32 v2, vcc_lo, v2, 2
	s_add_u32 s0, s0, -1
	s_addc_u32 s1, s1, -1
	v_add_co_ci_u32_e32 v3, vcc_lo, 0, v3, vcc_lo
	v_add_co_u32 v6, vcc_lo, v6, 2
	s_cmp_eq_u64 s[0:1], 0
	v_add_co_ci_u32_e32 v7, vcc_lo, 0, v7, vcc_lo
	s_cselect_b32 s25, -1, 0
	s_and_b32 s24, s26, exec_lo
	s_and_not1_b32 s23, s23, exec_lo
	s_or_not1_b32 s25, s25, exec_lo
	s_branch .LBB1244_372
.LBB1244_377:
	s_set_inst_prefetch_distance 0x2
	s_or_b32 exec_lo, exec_lo, s21
	s_xor_b32 s0, s22, -1
	s_and_not1_b32 s1, s19, exec_lo
	s_and_b32 s0, s0, exec_lo
	s_delay_alu instid0(SALU_CYCLE_1)
	s_or_b32 s19, s1, s0
.LBB1244_378:
	s_or_b32 exec_lo, exec_lo, s20
	v_cndmask_b32_e64 v2, v9, v8, s19
	v_cndmask_b32_e64 v3, v16, v15, s19
	s_mov_b32 s20, -1
	s_mov_b32 s21, -1
	s_mov_b32 s22, exec_lo
	v_add_nc_u32_e32 v6, 1, v2
	v_add_nc_u32_e32 v2, -1, v3
	s_delay_alu instid0(VALU_DEP_2) | instskip(NEXT) | instid1(VALU_DEP_2)
	v_cndmask_b32_e64 v9, v6, v9, s19
	v_min_u32_e32 v2, v6, v2
	v_cndmask_b32_e64 v8, v8, v6, s19
	s_delay_alu instid0(VALU_DEP_2)
	v_lshlrev_b32_e32 v2, 3, v2
	ds_load_b64 v[2:3], v2
	s_waitcnt lgkmcnt(0)
	v_cndmask_b32_e64 v10, v3, v5, s19
	v_cndmask_b32_e64 v11, v2, v4, s19
	v_cndmask_b32_e64 v17, v1, v3, s19
	v_cndmask_b32_e64 v18, v0, v2, s19
	v_cmpx_lt_u32_e64 v9, v16
	s_cbranch_execz .LBB1244_388
; %bb.379:
	v_cmp_lt_u32_e64 s21, v8, v15
	s_xor_b32 s0, s12, -1
	s_delay_alu instid0(VALU_DEP_1) | instid1(SALU_CYCLE_1)
	s_and_b32 s0, s21, s0
	s_delay_alu instid0(SALU_CYCLE_1)
	s_and_saveexec_b32 s23, s0
	s_cbranch_execz .LBB1244_387
; %bb.380:
	v_mul_lo_u32 v19, v10, s8
	v_mul_lo_u32 v20, v11, s9
	v_mad_u64_u32 v[2:3], null, v11, s8, 0
	v_mul_lo_u32 v21, v17, s8
	v_mul_lo_u32 v37, v18, s9
	v_mad_u64_u32 v[6:7], null, v18, s8, 0
	s_mov_b32 s24, 0
	s_mov_b64 s[0:1], s[8:9]
	s_delay_alu instid0(VALU_DEP_4) | instskip(NEXT) | instid1(VALU_DEP_2)
	v_add3_u32 v3, v3, v20, v19
                                        ; implicit-def: $sgpr25
                                        ; implicit-def: $sgpr26
                                        ; implicit-def: $sgpr27
	v_add3_u32 v7, v7, v37, v21
	s_delay_alu instid0(VALU_DEP_2) | instskip(NEXT) | instid1(VALU_DEP_2)
	v_lshlrev_b64 v[2:3], 1, v[2:3]
	v_lshlrev_b64 v[6:7], 1, v[6:7]
	s_delay_alu instid0(VALU_DEP_2) | instskip(NEXT) | instid1(VALU_DEP_3)
	v_add_co_u32 v2, vcc_lo, s10, v2
	v_add_co_ci_u32_e32 v3, vcc_lo, s11, v3, vcc_lo
	s_delay_alu instid0(VALU_DEP_3) | instskip(NEXT) | instid1(VALU_DEP_4)
	v_add_co_u32 v6, vcc_lo, s10, v6
	v_add_co_ci_u32_e32 v7, vcc_lo, s11, v7, vcc_lo
	s_set_inst_prefetch_distance 0x1
	s_branch .LBB1244_382
	.p2align	6
.LBB1244_381:                           ;   in Loop: Header=BB1244_382 Depth=1
	s_or_b32 exec_lo, exec_lo, s30
	s_delay_alu instid0(SALU_CYCLE_1) | instskip(NEXT) | instid1(SALU_CYCLE_1)
	s_and_b32 s28, exec_lo, s28
	s_or_b32 s24, s28, s24
	s_and_not1_b32 s25, s25, exec_lo
	s_and_b32 s28, s26, exec_lo
	s_delay_alu instid0(SALU_CYCLE_1)
	s_or_b32 s25, s25, s28
	s_and_not1_b32 exec_lo, exec_lo, s24
	s_cbranch_execz .LBB1244_386
.LBB1244_382:                           ; =>This Inner Loop Header: Depth=1
	global_load_u16 v19, v[2:3], off
	global_load_u16 v20, v[6:7], off
	s_mov_b32 s28, -1
	s_mov_b32 s31, 0
	s_mov_b32 s29, -1
	s_mov_b32 s30, exec_lo
	s_waitcnt vmcnt(0)
	v_cmpx_nlt_f16_e32 v19, v20
; %bb.383:                              ;   in Loop: Header=BB1244_382 Depth=1
	v_cmp_ngt_f16_e32 vcc_lo, v19, v20
	s_and_b32 s27, vcc_lo, s27
	s_and_b32 s31, vcc_lo, exec_lo
	s_or_not1_b32 s29, s27, exec_lo
; %bb.384:                              ;   in Loop: Header=BB1244_382 Depth=1
	s_or_b32 exec_lo, exec_lo, s30
	s_delay_alu instid0(SALU_CYCLE_1) | instskip(SKIP_1) | instid1(SALU_CYCLE_1)
	s_and_not1_b32 s26, s26, exec_lo
	s_and_b32 s27, s29, exec_lo
	s_or_b32 s26, s26, s27
                                        ; implicit-def: $sgpr27
	s_and_saveexec_b32 s30, s31
	s_cbranch_execz .LBB1244_381
; %bb.385:                              ;   in Loop: Header=BB1244_382 Depth=1
	v_add_co_u32 v2, vcc_lo, v2, 2
	s_add_u32 s0, s0, -1
	s_addc_u32 s1, s1, -1
	v_add_co_ci_u32_e32 v3, vcc_lo, 0, v3, vcc_lo
	v_add_co_u32 v6, vcc_lo, v6, 2
	s_cmp_eq_u64 s[0:1], 0
	v_add_co_ci_u32_e32 v7, vcc_lo, 0, v7, vcc_lo
	s_cselect_b32 s28, -1, 0
	s_and_b32 s27, s29, exec_lo
	s_and_not1_b32 s26, s26, exec_lo
	s_or_not1_b32 s28, s28, exec_lo
	s_branch .LBB1244_381
.LBB1244_386:
	s_set_inst_prefetch_distance 0x2
	s_or_b32 exec_lo, exec_lo, s24
	s_xor_b32 s0, s25, -1
	s_and_not1_b32 s1, s21, exec_lo
	s_and_b32 s0, s0, exec_lo
	s_delay_alu instid0(SALU_CYCLE_1)
	s_or_b32 s21, s1, s0
.LBB1244_387:
	s_or_b32 exec_lo, exec_lo, s23
	s_delay_alu instid0(SALU_CYCLE_1)
	s_or_not1_b32 s21, s21, exec_lo
.LBB1244_388:
	s_or_b32 exec_lo, exec_lo, s22
	v_cndmask_b32_e64 v2, v9, v8, s21
	v_cndmask_b32_e64 v3, v16, v15, s21
	s_mov_b32 s22, exec_lo
	s_delay_alu instid0(VALU_DEP_2) | instskip(NEXT) | instid1(VALU_DEP_2)
	v_add_nc_u32_e32 v6, 1, v2
	v_add_nc_u32_e32 v2, -1, v3
	s_delay_alu instid0(VALU_DEP_2) | instskip(NEXT) | instid1(VALU_DEP_2)
	v_cndmask_b32_e64 v37, v6, v9, s21
	v_min_u32_e32 v2, v6, v2
	v_cndmask_b32_e64 v19, v8, v6, s21
	s_delay_alu instid0(VALU_DEP_2)
	v_lshlrev_b32_e32 v2, 3, v2
	ds_load_b64 v[2:3], v2
	s_waitcnt lgkmcnt(0)
	v_cndmask_b32_e64 v20, v3, v10, s21
	v_cndmask_b32_e64 v21, v2, v11, s21
	;; [unrolled: 1-line block ×4, first 2 shown]
	v_cmpx_lt_u32_e64 v37, v16
	s_cbranch_execz .LBB1244_398
; %bb.389:
	v_cmp_lt_u32_e64 s20, v19, v15
	s_xor_b32 s0, s12, -1
	s_delay_alu instid0(VALU_DEP_1) | instid1(SALU_CYCLE_1)
	s_and_b32 s0, s20, s0
	s_delay_alu instid0(SALU_CYCLE_1)
	s_and_saveexec_b32 s23, s0
	s_cbranch_execz .LBB1244_397
; %bb.390:
	v_mul_lo_u32 v8, v20, s8
	v_mul_lo_u32 v9, v21, s9
	v_mad_u64_u32 v[2:3], null, v21, s8, 0
	v_mul_lo_u32 v40, v38, s8
	v_mul_lo_u32 v41, v39, s9
	v_mad_u64_u32 v[6:7], null, v39, s8, 0
	s_mov_b32 s24, 0
	s_mov_b64 s[0:1], s[8:9]
	s_delay_alu instid0(VALU_DEP_4) | instskip(NEXT) | instid1(VALU_DEP_2)
	v_add3_u32 v3, v3, v9, v8
                                        ; implicit-def: $sgpr25
                                        ; implicit-def: $sgpr26
                                        ; implicit-def: $sgpr27
	v_add3_u32 v7, v7, v41, v40
	s_delay_alu instid0(VALU_DEP_2) | instskip(NEXT) | instid1(VALU_DEP_2)
	v_lshlrev_b64 v[2:3], 1, v[2:3]
	v_lshlrev_b64 v[6:7], 1, v[6:7]
	s_delay_alu instid0(VALU_DEP_2) | instskip(NEXT) | instid1(VALU_DEP_3)
	v_add_co_u32 v2, vcc_lo, s10, v2
	v_add_co_ci_u32_e32 v3, vcc_lo, s11, v3, vcc_lo
	s_delay_alu instid0(VALU_DEP_3) | instskip(NEXT) | instid1(VALU_DEP_4)
	v_add_co_u32 v6, vcc_lo, s10, v6
	v_add_co_ci_u32_e32 v7, vcc_lo, s11, v7, vcc_lo
	s_set_inst_prefetch_distance 0x1
	s_branch .LBB1244_392
	.p2align	6
.LBB1244_391:                           ;   in Loop: Header=BB1244_392 Depth=1
	s_or_b32 exec_lo, exec_lo, s30
	s_delay_alu instid0(SALU_CYCLE_1) | instskip(NEXT) | instid1(SALU_CYCLE_1)
	s_and_b32 s28, exec_lo, s28
	s_or_b32 s24, s28, s24
	s_and_not1_b32 s25, s25, exec_lo
	s_and_b32 s28, s26, exec_lo
	s_delay_alu instid0(SALU_CYCLE_1)
	s_or_b32 s25, s25, s28
	s_and_not1_b32 exec_lo, exec_lo, s24
	s_cbranch_execz .LBB1244_396
.LBB1244_392:                           ; =>This Inner Loop Header: Depth=1
	global_load_u16 v8, v[2:3], off
	global_load_u16 v9, v[6:7], off
	s_mov_b32 s28, -1
	s_mov_b32 s31, 0
	s_mov_b32 s29, -1
	s_mov_b32 s30, exec_lo
	s_waitcnt vmcnt(0)
	v_cmpx_nlt_f16_e32 v8, v9
; %bb.393:                              ;   in Loop: Header=BB1244_392 Depth=1
	v_cmp_ngt_f16_e32 vcc_lo, v8, v9
	s_and_b32 s27, vcc_lo, s27
	s_and_b32 s31, vcc_lo, exec_lo
	s_or_not1_b32 s29, s27, exec_lo
; %bb.394:                              ;   in Loop: Header=BB1244_392 Depth=1
	s_or_b32 exec_lo, exec_lo, s30
	s_delay_alu instid0(SALU_CYCLE_1) | instskip(SKIP_1) | instid1(SALU_CYCLE_1)
	s_and_not1_b32 s26, s26, exec_lo
	s_and_b32 s27, s29, exec_lo
	s_or_b32 s26, s26, s27
                                        ; implicit-def: $sgpr27
	s_and_saveexec_b32 s30, s31
	s_cbranch_execz .LBB1244_391
; %bb.395:                              ;   in Loop: Header=BB1244_392 Depth=1
	v_add_co_u32 v2, vcc_lo, v2, 2
	s_add_u32 s0, s0, -1
	s_addc_u32 s1, s1, -1
	v_add_co_ci_u32_e32 v3, vcc_lo, 0, v3, vcc_lo
	v_add_co_u32 v6, vcc_lo, v6, 2
	s_cmp_eq_u64 s[0:1], 0
	v_add_co_ci_u32_e32 v7, vcc_lo, 0, v7, vcc_lo
	s_cselect_b32 s28, -1, 0
	s_and_b32 s27, s29, exec_lo
	s_and_not1_b32 s26, s26, exec_lo
	s_or_not1_b32 s28, s28, exec_lo
	s_branch .LBB1244_391
.LBB1244_396:
	s_set_inst_prefetch_distance 0x2
	s_or_b32 exec_lo, exec_lo, s24
	s_xor_b32 s0, s25, -1
	s_and_not1_b32 s1, s20, exec_lo
	s_and_b32 s0, s0, exec_lo
	s_delay_alu instid0(SALU_CYCLE_1)
	s_or_b32 s20, s1, s0
.LBB1244_397:
	s_or_b32 exec_lo, exec_lo, s23
	s_delay_alu instid0(SALU_CYCLE_1)
	s_or_not1_b32 s20, s20, exec_lo
.LBB1244_398:
	s_or_b32 exec_lo, exec_lo, s22
	v_cndmask_b32_e64 v2, v37, v19, s20
	v_cndmask_b32_e64 v3, v16, v15, s20
	;; [unrolled: 1-line block ×5, first 2 shown]
	v_add_nc_u32_e32 v40, 1, v2
	v_add_nc_u32_e32 v2, -1, v3
	v_cndmask_b32_e64 v3, v10, v17, s21
	v_cndmask_b32_e64 v4, v21, v39, s20
	s_mov_b32 s19, exec_lo
	v_cndmask_b32_e64 v10, v40, v37, s20
	v_min_u32_e32 v2, v40, v2
	s_delay_alu instid0(VALU_DEP_1)
	v_lshlrev_b32_e32 v2, 3, v2
	ds_load_b64 v[8:9], v2
	v_cndmask_b32_e64 v2, v11, v18, s21
	s_waitcnt lgkmcnt(0)
	v_cndmask_b32_e64 v7, v38, v9, s20
	v_cndmask_b32_e64 v6, v39, v8, s20
	v_cmpx_lt_u32_e64 v10, v16
	s_cbranch_execz .LBB1244_408
; %bb.399:
	v_cndmask_b32_e64 v10, v19, v40, s20
	v_cndmask_b32_e64 v16, v9, v20, s20
	;; [unrolled: 1-line block ×3, first 2 shown]
	s_delay_alu instid0(VALU_DEP_3) | instskip(NEXT) | instid1(VALU_DEP_2)
	v_cmp_ge_u32_e32 vcc_lo, v10, v15
	v_dual_cndmask_b32 v9, v7, v16 :: v_dual_cndmask_b32 v8, v6, v17
	s_or_b32 s0, vcc_lo, s12
	s_delay_alu instid0(SALU_CYCLE_1) | instskip(NEXT) | instid1(SALU_CYCLE_1)
	s_xor_b32 s0, s0, -1
	s_and_saveexec_b32 s20, s0
	s_cbranch_execz .LBB1244_407
; %bb.400:
	v_mul_lo_u32 v15, v16, s8
	v_mul_lo_u32 v18, v17, s9
	v_mad_u64_u32 v[8:9], null, v17, s8, 0
	v_mul_lo_u32 v19, v7, s8
	v_mul_lo_u32 v20, v6, s9
	v_mad_u64_u32 v[10:11], null, v6, s8, 0
	s_mov_b32 s21, 0
	s_mov_b64 s[0:1], s[8:9]
	s_delay_alu instid0(VALU_DEP_4) | instskip(NEXT) | instid1(VALU_DEP_2)
	v_add3_u32 v9, v9, v18, v15
                                        ; implicit-def: $sgpr22
                                        ; implicit-def: $sgpr23
                                        ; implicit-def: $sgpr24
	v_add3_u32 v11, v11, v20, v19
	s_delay_alu instid0(VALU_DEP_2) | instskip(NEXT) | instid1(VALU_DEP_2)
	v_lshlrev_b64 v[8:9], 1, v[8:9]
	v_lshlrev_b64 v[10:11], 1, v[10:11]
	s_delay_alu instid0(VALU_DEP_2) | instskip(NEXT) | instid1(VALU_DEP_3)
	v_add_co_u32 v8, vcc_lo, s10, v8
	v_add_co_ci_u32_e32 v9, vcc_lo, s11, v9, vcc_lo
	s_delay_alu instid0(VALU_DEP_3) | instskip(NEXT) | instid1(VALU_DEP_4)
	v_add_co_u32 v10, vcc_lo, s10, v10
	v_add_co_ci_u32_e32 v11, vcc_lo, s11, v11, vcc_lo
	s_set_inst_prefetch_distance 0x1
	s_branch .LBB1244_402
	.p2align	6
.LBB1244_401:                           ;   in Loop: Header=BB1244_402 Depth=1
	s_or_b32 exec_lo, exec_lo, s27
	s_delay_alu instid0(SALU_CYCLE_1) | instskip(NEXT) | instid1(SALU_CYCLE_1)
	s_and_b32 s25, exec_lo, s25
	s_or_b32 s21, s25, s21
	s_and_not1_b32 s22, s22, exec_lo
	s_and_b32 s25, s23, exec_lo
	s_delay_alu instid0(SALU_CYCLE_1)
	s_or_b32 s22, s22, s25
	s_and_not1_b32 exec_lo, exec_lo, s21
	s_cbranch_execz .LBB1244_406
.LBB1244_402:                           ; =>This Inner Loop Header: Depth=1
	global_load_u16 v15, v[8:9], off
	global_load_u16 v18, v[10:11], off
	s_mov_b32 s25, -1
	s_mov_b32 s28, 0
	s_mov_b32 s26, -1
	s_mov_b32 s27, exec_lo
	s_waitcnt vmcnt(0)
	v_cmpx_nlt_f16_e32 v15, v18
; %bb.403:                              ;   in Loop: Header=BB1244_402 Depth=1
	v_cmp_ngt_f16_e32 vcc_lo, v15, v18
	s_and_b32 s24, vcc_lo, s24
	s_and_b32 s28, vcc_lo, exec_lo
	s_or_not1_b32 s26, s24, exec_lo
; %bb.404:                              ;   in Loop: Header=BB1244_402 Depth=1
	s_or_b32 exec_lo, exec_lo, s27
	s_delay_alu instid0(SALU_CYCLE_1) | instskip(SKIP_1) | instid1(SALU_CYCLE_1)
	s_and_not1_b32 s23, s23, exec_lo
	s_and_b32 s24, s26, exec_lo
	s_or_b32 s23, s23, s24
                                        ; implicit-def: $sgpr24
	s_and_saveexec_b32 s27, s28
	s_cbranch_execz .LBB1244_401
; %bb.405:                              ;   in Loop: Header=BB1244_402 Depth=1
	v_add_co_u32 v8, vcc_lo, v8, 2
	s_add_u32 s0, s0, -1
	s_addc_u32 s1, s1, -1
	v_add_co_ci_u32_e32 v9, vcc_lo, 0, v9, vcc_lo
	v_add_co_u32 v10, vcc_lo, v10, 2
	s_cmp_eq_u64 s[0:1], 0
	v_add_co_ci_u32_e32 v11, vcc_lo, 0, v11, vcc_lo
	s_cselect_b32 s25, -1, 0
	s_and_b32 s24, s26, exec_lo
	s_and_not1_b32 s23, s23, exec_lo
	s_or_not1_b32 s25, s25, exec_lo
	s_branch .LBB1244_401
.LBB1244_406:
	s_set_inst_prefetch_distance 0x2
	s_or_b32 exec_lo, exec_lo, s21
	v_cndmask_b32_e64 v9, v7, v16, s22
	v_cndmask_b32_e64 v8, v6, v17, s22
.LBB1244_407:
	s_or_b32 exec_lo, exec_lo, s20
	s_delay_alu instid0(VALU_DEP_1)
	v_dual_mov_b32 v6, v8 :: v_dual_mov_b32 v7, v9
.LBB1244_408:
	s_or_b32 exec_lo, exec_lo, s19
.LBB1244_409:
	s_delay_alu instid0(SALU_CYCLE_1) | instskip(SKIP_4) | instid1(VALU_DEP_2)
	s_or_b32 exec_lo, exec_lo, s17
	v_and_b32_e32 v19, 0xe00, v23
	v_and_b32_e32 v20, 0x1fc, v23
	s_mov_b32 s17, exec_lo
	s_barrier
	v_or_b32_e32 v8, 0x100, v19
	v_lshlrev_b32_e32 v18, 3, v19
	buffer_gl0_inv
	ds_store_b128 v14, v[0:3]
	ds_store_b128 v14, v[4:7] offset:16
	s_waitcnt lgkmcnt(0)
	v_min_u32_e32 v9, 0x300, v8
	v_min_u32_e32 v15, 0x400, v8
	s_barrier
	buffer_gl0_inv
	v_add_nc_u32_e32 v16, 0x100, v9
	v_sub_nc_u32_e32 v8, v15, v19
	s_delay_alu instid0(VALU_DEP_2) | instskip(NEXT) | instid1(VALU_DEP_2)
	v_sub_nc_u32_e32 v9, v16, v15
	v_min_u32_e32 v21, v20, v8
	s_delay_alu instid0(VALU_DEP_2) | instskip(NEXT) | instid1(VALU_DEP_1)
	v_sub_nc_u32_e64 v17, v20, v9 clamp
	v_cmpx_lt_u32_e64 v17, v21
	s_cbranch_execz .LBB1244_421
; %bb.410:
	v_lshlrev_b32_e32 v8, 3, v20
	s_lshl_b64 s[0:1], s[8:9], 1
	s_mov_b32 s19, 0
	s_delay_alu instid0(VALU_DEP_1)
	v_lshl_add_u32 v37, v15, 3, v8
	s_branch .LBB1244_413
.LBB1244_411:                           ;   in Loop: Header=BB1244_413 Depth=1
	s_set_inst_prefetch_distance 0x2
	s_or_b32 exec_lo, exec_lo, s23
.LBB1244_412:                           ;   in Loop: Header=BB1244_413 Depth=1
	s_delay_alu instid0(VALU_DEP_1) | instskip(SKIP_1) | instid1(VALU_DEP_2)
	v_add_nc_u32_e32 v8, 1, v38
	v_cndmask_b32_e64 v21, v21, v38, s22
	v_cndmask_b32_e64 v17, v8, v17, s22
	s_delay_alu instid0(VALU_DEP_1) | instskip(SKIP_1) | instid1(SALU_CYCLE_1)
	v_cmp_ge_u32_e32 vcc_lo, v17, v21
	s_or_b32 s19, vcc_lo, s19
	s_and_not1_b32 exec_lo, exec_lo, s19
	s_cbranch_execz .LBB1244_420
.LBB1244_413:                           ; =>This Loop Header: Depth=1
                                        ;     Child Loop BB1244_416 Depth 2
	v_add_nc_u32_e32 v8, v21, v17
	v_cmp_ne_u32_e32 vcc_lo, 1, v36
	s_mov_b32 s22, 0
	s_delay_alu instid0(VALU_DEP_2)
	v_lshrrev_b32_e32 v38, 1, v8
	s_cbranch_vccnz .LBB1244_412
; %bb.414:                              ;   in Loop: Header=BB1244_413 Depth=1
	s_delay_alu instid0(VALU_DEP_1) | instskip(SKIP_3) | instid1(VALU_DEP_2)
	v_not_b32_e32 v8, v38
	v_lshl_add_u32 v9, v38, 3, v18
	s_mov_b32 s23, 0
	s_mov_b64 s[20:21], s[8:9]
                                        ; implicit-def: $sgpr22
                                        ; implicit-def: $sgpr24
                                        ; implicit-def: $sgpr25
	v_lshl_add_u32 v8, v8, 3, v37
	ds_load_b64 v[10:11], v8
	ds_load_b64 v[39:40], v9
	s_waitcnt lgkmcnt(1)
	v_mul_lo_u32 v41, s0, v11
	v_mul_lo_u32 v42, s1, v10
	v_mad_u64_u32 v[8:9], null, s0, v10, s[10:11]
	s_waitcnt lgkmcnt(0)
	v_mul_lo_u32 v40, s0, v40
	v_mul_lo_u32 v43, s1, v39
	v_mad_u64_u32 v[10:11], null, s0, v39, s[10:11]
	s_delay_alu instid0(VALU_DEP_4) | instskip(NEXT) | instid1(VALU_DEP_2)
	v_add3_u32 v9, v42, v9, v41
	v_add3_u32 v11, v43, v11, v40
	s_set_inst_prefetch_distance 0x1
	s_branch .LBB1244_416
	.p2align	6
.LBB1244_415:                           ;   in Loop: Header=BB1244_416 Depth=2
	s_or_b32 exec_lo, exec_lo, s28
	s_delay_alu instid0(SALU_CYCLE_1) | instskip(NEXT) | instid1(SALU_CYCLE_1)
	s_and_b32 s26, exec_lo, s27
	s_or_b32 s23, s26, s23
	s_and_not1_b32 s22, s22, exec_lo
	s_and_b32 s26, s24, exec_lo
	s_delay_alu instid0(SALU_CYCLE_1)
	s_or_b32 s22, s22, s26
	s_and_not1_b32 exec_lo, exec_lo, s23
	s_cbranch_execz .LBB1244_411
.LBB1244_416:                           ;   Parent Loop BB1244_413 Depth=1
                                        ; =>  This Inner Loop Header: Depth=2
	global_load_u16 v39, v[8:9], off
	global_load_u16 v40, v[10:11], off
	s_mov_b32 s27, -1
	s_mov_b32 s29, 0
	s_mov_b32 s26, -1
	s_mov_b32 s28, exec_lo
	s_waitcnt vmcnt(0)
	v_cmpx_nlt_f16_e32 v39, v40
; %bb.417:                              ;   in Loop: Header=BB1244_416 Depth=2
	v_cmp_ngt_f16_e32 vcc_lo, v39, v40
	s_and_b32 s25, vcc_lo, s25
	s_and_b32 s29, vcc_lo, exec_lo
	s_or_not1_b32 s26, s25, exec_lo
; %bb.418:                              ;   in Loop: Header=BB1244_416 Depth=2
	s_or_b32 exec_lo, exec_lo, s28
	s_delay_alu instid0(SALU_CYCLE_1) | instskip(SKIP_1) | instid1(SALU_CYCLE_1)
	s_and_not1_b32 s24, s24, exec_lo
	s_and_b32 s25, s26, exec_lo
	s_or_b32 s24, s24, s25
                                        ; implicit-def: $sgpr25
	s_and_saveexec_b32 s28, s29
	s_cbranch_execz .LBB1244_415
; %bb.419:                              ;   in Loop: Header=BB1244_416 Depth=2
	v_add_co_u32 v8, vcc_lo, v8, 2
	s_add_u32 s20, s20, -1
	s_addc_u32 s21, s21, -1
	v_add_co_ci_u32_e32 v9, vcc_lo, 0, v9, vcc_lo
	v_add_co_u32 v10, vcc_lo, v10, 2
	s_cmp_eq_u64 s[20:21], 0
	v_add_co_ci_u32_e32 v11, vcc_lo, 0, v11, vcc_lo
	s_cselect_b32 s27, -1, 0
	s_and_not1_b32 s24, s24, exec_lo
	s_and_b32 s25, s26, exec_lo
	s_or_not1_b32 s27, s27, exec_lo
	s_branch .LBB1244_415
.LBB1244_420:
	s_or_b32 exec_lo, exec_lo, s19
.LBB1244_421:
	s_delay_alu instid0(SALU_CYCLE_1) | instskip(SKIP_2) | instid1(VALU_DEP_2)
	s_or_b32 exec_lo, exec_lo, s17
	v_sub_nc_u32_e32 v9, v20, v17
	v_add_nc_u32_e32 v8, v17, v19
	v_add_nc_u32_e32 v9, v9, v15
	s_delay_alu instid0(VALU_DEP_2) | instskip(NEXT) | instid1(VALU_DEP_2)
	v_cmp_le_u32_e32 vcc_lo, v8, v15
	v_cmp_le_u32_e64 s0, v9, v16
	s_delay_alu instid0(VALU_DEP_1) | instskip(NEXT) | instid1(SALU_CYCLE_1)
	s_or_b32 s0, vcc_lo, s0
	s_and_saveexec_b32 s17, s0
	s_cbranch_execz .LBB1244_465
; %bb.422:
	v_cmp_ge_u32_e32 vcc_lo, v8, v15
	s_mov_b32 s1, exec_lo
                                        ; implicit-def: $vgpr0_vgpr1
	v_cmpx_lt_u32_e64 v8, v15
	s_cbranch_execz .LBB1244_424
; %bb.423:
	v_lshl_add_u32 v0, v17, 3, v18
	ds_load_b64 v[0:1], v0
.LBB1244_424:
	s_or_b32 exec_lo, exec_lo, s1
	v_cmp_ge_u32_e64 s0, v9, v16
	s_mov_b32 s19, exec_lo
                                        ; implicit-def: $vgpr4_vgpr5
	v_cmpx_lt_u32_e64 v9, v16
	s_cbranch_execz .LBB1244_426
; %bb.425:
	v_lshlrev_b32_e32 v2, 3, v9
	ds_load_b64 v[4:5], v2
.LBB1244_426:
	s_or_b32 exec_lo, exec_lo, s19
	s_or_b32 s1, vcc_lo, s0
	s_xor_b32 s19, vcc_lo, -1
	s_or_b32 s1, s1, s12
	s_or_b32 s19, s0, s19
	s_xor_b32 s1, s1, -1
	s_delay_alu instid0(SALU_CYCLE_1)
	s_and_saveexec_b32 s20, s1
	s_cbranch_execz .LBB1244_434
; %bb.427:
	s_waitcnt lgkmcnt(0)
	v_mul_lo_u32 v10, v5, s8
	v_mul_lo_u32 v11, v4, s9
	v_mad_u64_u32 v[2:3], null, v4, s8, 0
	v_mul_lo_u32 v17, v1, s8
	v_mul_lo_u32 v18, v0, s9
	v_mad_u64_u32 v[6:7], null, v0, s8, 0
	s_mov_b32 s21, 0
	s_mov_b64 s[0:1], s[8:9]
	s_delay_alu instid0(VALU_DEP_4) | instskip(NEXT) | instid1(VALU_DEP_2)
	v_add3_u32 v3, v3, v11, v10
                                        ; implicit-def: $sgpr22
                                        ; implicit-def: $sgpr23
                                        ; implicit-def: $sgpr24
	v_add3_u32 v7, v7, v18, v17
	s_delay_alu instid0(VALU_DEP_2) | instskip(NEXT) | instid1(VALU_DEP_2)
	v_lshlrev_b64 v[2:3], 1, v[2:3]
	v_lshlrev_b64 v[6:7], 1, v[6:7]
	s_delay_alu instid0(VALU_DEP_2) | instskip(NEXT) | instid1(VALU_DEP_3)
	v_add_co_u32 v2, vcc_lo, s10, v2
	v_add_co_ci_u32_e32 v3, vcc_lo, s11, v3, vcc_lo
	s_delay_alu instid0(VALU_DEP_3) | instskip(NEXT) | instid1(VALU_DEP_4)
	v_add_co_u32 v6, vcc_lo, s10, v6
	v_add_co_ci_u32_e32 v7, vcc_lo, s11, v7, vcc_lo
	s_set_inst_prefetch_distance 0x1
	s_branch .LBB1244_429
	.p2align	6
.LBB1244_428:                           ;   in Loop: Header=BB1244_429 Depth=1
	s_or_b32 exec_lo, exec_lo, s27
	s_delay_alu instid0(SALU_CYCLE_1) | instskip(NEXT) | instid1(SALU_CYCLE_1)
	s_and_b32 s25, exec_lo, s25
	s_or_b32 s21, s25, s21
	s_and_not1_b32 s22, s22, exec_lo
	s_and_b32 s25, s23, exec_lo
	s_delay_alu instid0(SALU_CYCLE_1)
	s_or_b32 s22, s22, s25
	s_and_not1_b32 exec_lo, exec_lo, s21
	s_cbranch_execz .LBB1244_433
.LBB1244_429:                           ; =>This Inner Loop Header: Depth=1
	global_load_u16 v10, v[2:3], off
	global_load_u16 v11, v[6:7], off
	s_mov_b32 s25, -1
	s_mov_b32 s28, 0
	s_mov_b32 s26, -1
	s_mov_b32 s27, exec_lo
	s_waitcnt vmcnt(0)
	v_cmpx_nlt_f16_e32 v10, v11
; %bb.430:                              ;   in Loop: Header=BB1244_429 Depth=1
	v_cmp_ngt_f16_e32 vcc_lo, v10, v11
	s_and_b32 s24, vcc_lo, s24
	s_and_b32 s28, vcc_lo, exec_lo
	s_or_not1_b32 s26, s24, exec_lo
; %bb.431:                              ;   in Loop: Header=BB1244_429 Depth=1
	s_or_b32 exec_lo, exec_lo, s27
	s_delay_alu instid0(SALU_CYCLE_1) | instskip(SKIP_1) | instid1(SALU_CYCLE_1)
	s_and_not1_b32 s23, s23, exec_lo
	s_and_b32 s24, s26, exec_lo
	s_or_b32 s23, s23, s24
                                        ; implicit-def: $sgpr24
	s_and_saveexec_b32 s27, s28
	s_cbranch_execz .LBB1244_428
; %bb.432:                              ;   in Loop: Header=BB1244_429 Depth=1
	v_add_co_u32 v2, vcc_lo, v2, 2
	s_add_u32 s0, s0, -1
	s_addc_u32 s1, s1, -1
	v_add_co_ci_u32_e32 v3, vcc_lo, 0, v3, vcc_lo
	v_add_co_u32 v6, vcc_lo, v6, 2
	s_cmp_eq_u64 s[0:1], 0
	v_add_co_ci_u32_e32 v7, vcc_lo, 0, v7, vcc_lo
	s_cselect_b32 s25, -1, 0
	s_and_b32 s24, s26, exec_lo
	s_and_not1_b32 s23, s23, exec_lo
	s_or_not1_b32 s25, s25, exec_lo
	s_branch .LBB1244_428
.LBB1244_433:
	s_set_inst_prefetch_distance 0x2
	s_or_b32 exec_lo, exec_lo, s21
	s_xor_b32 s0, s22, -1
	s_and_not1_b32 s1, s19, exec_lo
	s_and_b32 s0, s0, exec_lo
	s_delay_alu instid0(SALU_CYCLE_1)
	s_or_b32 s19, s1, s0
.LBB1244_434:
	s_or_b32 exec_lo, exec_lo, s20
	v_cndmask_b32_e64 v2, v9, v8, s19
	v_cndmask_b32_e64 v3, v16, v15, s19
	s_mov_b32 s20, -1
	s_mov_b32 s21, -1
	s_mov_b32 s22, exec_lo
	v_add_nc_u32_e32 v6, 1, v2
	v_add_nc_u32_e32 v2, -1, v3
	s_delay_alu instid0(VALU_DEP_2) | instskip(NEXT) | instid1(VALU_DEP_2)
	v_cndmask_b32_e64 v9, v6, v9, s19
	v_min_u32_e32 v2, v6, v2
	v_cndmask_b32_e64 v8, v8, v6, s19
	s_delay_alu instid0(VALU_DEP_2)
	v_lshlrev_b32_e32 v2, 3, v2
	ds_load_b64 v[2:3], v2
	s_waitcnt lgkmcnt(0)
	v_cndmask_b32_e64 v10, v3, v5, s19
	v_cndmask_b32_e64 v11, v2, v4, s19
	;; [unrolled: 1-line block ×4, first 2 shown]
	v_cmpx_lt_u32_e64 v9, v16
	s_cbranch_execz .LBB1244_444
; %bb.435:
	v_cmp_lt_u32_e64 s21, v8, v15
	s_xor_b32 s0, s12, -1
	s_delay_alu instid0(VALU_DEP_1) | instid1(SALU_CYCLE_1)
	s_and_b32 s0, s21, s0
	s_delay_alu instid0(SALU_CYCLE_1)
	s_and_saveexec_b32 s23, s0
	s_cbranch_execz .LBB1244_443
; %bb.436:
	v_mul_lo_u32 v19, v10, s8
	v_mul_lo_u32 v20, v11, s9
	v_mad_u64_u32 v[2:3], null, v11, s8, 0
	v_mul_lo_u32 v21, v17, s8
	v_mul_lo_u32 v37, v18, s9
	v_mad_u64_u32 v[6:7], null, v18, s8, 0
	s_mov_b32 s24, 0
	s_mov_b64 s[0:1], s[8:9]
	s_delay_alu instid0(VALU_DEP_4) | instskip(NEXT) | instid1(VALU_DEP_2)
	v_add3_u32 v3, v3, v20, v19
                                        ; implicit-def: $sgpr25
                                        ; implicit-def: $sgpr26
                                        ; implicit-def: $sgpr27
	v_add3_u32 v7, v7, v37, v21
	s_delay_alu instid0(VALU_DEP_2) | instskip(NEXT) | instid1(VALU_DEP_2)
	v_lshlrev_b64 v[2:3], 1, v[2:3]
	v_lshlrev_b64 v[6:7], 1, v[6:7]
	s_delay_alu instid0(VALU_DEP_2) | instskip(NEXT) | instid1(VALU_DEP_3)
	v_add_co_u32 v2, vcc_lo, s10, v2
	v_add_co_ci_u32_e32 v3, vcc_lo, s11, v3, vcc_lo
	s_delay_alu instid0(VALU_DEP_3) | instskip(NEXT) | instid1(VALU_DEP_4)
	v_add_co_u32 v6, vcc_lo, s10, v6
	v_add_co_ci_u32_e32 v7, vcc_lo, s11, v7, vcc_lo
	s_set_inst_prefetch_distance 0x1
	s_branch .LBB1244_438
	.p2align	6
.LBB1244_437:                           ;   in Loop: Header=BB1244_438 Depth=1
	s_or_b32 exec_lo, exec_lo, s30
	s_delay_alu instid0(SALU_CYCLE_1) | instskip(NEXT) | instid1(SALU_CYCLE_1)
	s_and_b32 s28, exec_lo, s28
	s_or_b32 s24, s28, s24
	s_and_not1_b32 s25, s25, exec_lo
	s_and_b32 s28, s26, exec_lo
	s_delay_alu instid0(SALU_CYCLE_1)
	s_or_b32 s25, s25, s28
	s_and_not1_b32 exec_lo, exec_lo, s24
	s_cbranch_execz .LBB1244_442
.LBB1244_438:                           ; =>This Inner Loop Header: Depth=1
	global_load_u16 v19, v[2:3], off
	global_load_u16 v20, v[6:7], off
	s_mov_b32 s28, -1
	s_mov_b32 s31, 0
	s_mov_b32 s29, -1
	s_mov_b32 s30, exec_lo
	s_waitcnt vmcnt(0)
	v_cmpx_nlt_f16_e32 v19, v20
; %bb.439:                              ;   in Loop: Header=BB1244_438 Depth=1
	v_cmp_ngt_f16_e32 vcc_lo, v19, v20
	s_and_b32 s27, vcc_lo, s27
	s_and_b32 s31, vcc_lo, exec_lo
	s_or_not1_b32 s29, s27, exec_lo
; %bb.440:                              ;   in Loop: Header=BB1244_438 Depth=1
	s_or_b32 exec_lo, exec_lo, s30
	s_delay_alu instid0(SALU_CYCLE_1) | instskip(SKIP_1) | instid1(SALU_CYCLE_1)
	s_and_not1_b32 s26, s26, exec_lo
	s_and_b32 s27, s29, exec_lo
	s_or_b32 s26, s26, s27
                                        ; implicit-def: $sgpr27
	s_and_saveexec_b32 s30, s31
	s_cbranch_execz .LBB1244_437
; %bb.441:                              ;   in Loop: Header=BB1244_438 Depth=1
	v_add_co_u32 v2, vcc_lo, v2, 2
	s_add_u32 s0, s0, -1
	s_addc_u32 s1, s1, -1
	v_add_co_ci_u32_e32 v3, vcc_lo, 0, v3, vcc_lo
	v_add_co_u32 v6, vcc_lo, v6, 2
	s_cmp_eq_u64 s[0:1], 0
	v_add_co_ci_u32_e32 v7, vcc_lo, 0, v7, vcc_lo
	s_cselect_b32 s28, -1, 0
	s_and_b32 s27, s29, exec_lo
	s_and_not1_b32 s26, s26, exec_lo
	s_or_not1_b32 s28, s28, exec_lo
	s_branch .LBB1244_437
.LBB1244_442:
	s_set_inst_prefetch_distance 0x2
	s_or_b32 exec_lo, exec_lo, s24
	s_xor_b32 s0, s25, -1
	s_and_not1_b32 s1, s21, exec_lo
	s_and_b32 s0, s0, exec_lo
	s_delay_alu instid0(SALU_CYCLE_1)
	s_or_b32 s21, s1, s0
.LBB1244_443:
	s_or_b32 exec_lo, exec_lo, s23
	s_delay_alu instid0(SALU_CYCLE_1)
	s_or_not1_b32 s21, s21, exec_lo
.LBB1244_444:
	s_or_b32 exec_lo, exec_lo, s22
	v_cndmask_b32_e64 v2, v9, v8, s21
	v_cndmask_b32_e64 v3, v16, v15, s21
	s_mov_b32 s22, exec_lo
	s_delay_alu instid0(VALU_DEP_2) | instskip(NEXT) | instid1(VALU_DEP_2)
	v_add_nc_u32_e32 v6, 1, v2
	v_add_nc_u32_e32 v2, -1, v3
	s_delay_alu instid0(VALU_DEP_2) | instskip(NEXT) | instid1(VALU_DEP_2)
	v_cndmask_b32_e64 v37, v6, v9, s21
	v_min_u32_e32 v2, v6, v2
	v_cndmask_b32_e64 v19, v8, v6, s21
	s_delay_alu instid0(VALU_DEP_2)
	v_lshlrev_b32_e32 v2, 3, v2
	ds_load_b64 v[2:3], v2
	s_waitcnt lgkmcnt(0)
	v_cndmask_b32_e64 v20, v3, v10, s21
	v_cndmask_b32_e64 v21, v2, v11, s21
	;; [unrolled: 1-line block ×4, first 2 shown]
	v_cmpx_lt_u32_e64 v37, v16
	s_cbranch_execz .LBB1244_454
; %bb.445:
	v_cmp_lt_u32_e64 s20, v19, v15
	s_xor_b32 s0, s12, -1
	s_delay_alu instid0(VALU_DEP_1) | instid1(SALU_CYCLE_1)
	s_and_b32 s0, s20, s0
	s_delay_alu instid0(SALU_CYCLE_1)
	s_and_saveexec_b32 s23, s0
	s_cbranch_execz .LBB1244_453
; %bb.446:
	v_mul_lo_u32 v8, v20, s8
	v_mul_lo_u32 v9, v21, s9
	v_mad_u64_u32 v[2:3], null, v21, s8, 0
	v_mul_lo_u32 v40, v38, s8
	v_mul_lo_u32 v41, v39, s9
	v_mad_u64_u32 v[6:7], null, v39, s8, 0
	s_mov_b32 s24, 0
	s_mov_b64 s[0:1], s[8:9]
	s_delay_alu instid0(VALU_DEP_4) | instskip(NEXT) | instid1(VALU_DEP_2)
	v_add3_u32 v3, v3, v9, v8
                                        ; implicit-def: $sgpr25
                                        ; implicit-def: $sgpr26
                                        ; implicit-def: $sgpr27
	v_add3_u32 v7, v7, v41, v40
	s_delay_alu instid0(VALU_DEP_2) | instskip(NEXT) | instid1(VALU_DEP_2)
	v_lshlrev_b64 v[2:3], 1, v[2:3]
	v_lshlrev_b64 v[6:7], 1, v[6:7]
	s_delay_alu instid0(VALU_DEP_2) | instskip(NEXT) | instid1(VALU_DEP_3)
	v_add_co_u32 v2, vcc_lo, s10, v2
	v_add_co_ci_u32_e32 v3, vcc_lo, s11, v3, vcc_lo
	s_delay_alu instid0(VALU_DEP_3) | instskip(NEXT) | instid1(VALU_DEP_4)
	v_add_co_u32 v6, vcc_lo, s10, v6
	v_add_co_ci_u32_e32 v7, vcc_lo, s11, v7, vcc_lo
	s_set_inst_prefetch_distance 0x1
	s_branch .LBB1244_448
	.p2align	6
.LBB1244_447:                           ;   in Loop: Header=BB1244_448 Depth=1
	s_or_b32 exec_lo, exec_lo, s30
	s_delay_alu instid0(SALU_CYCLE_1) | instskip(NEXT) | instid1(SALU_CYCLE_1)
	s_and_b32 s28, exec_lo, s28
	s_or_b32 s24, s28, s24
	s_and_not1_b32 s25, s25, exec_lo
	s_and_b32 s28, s26, exec_lo
	s_delay_alu instid0(SALU_CYCLE_1)
	s_or_b32 s25, s25, s28
	s_and_not1_b32 exec_lo, exec_lo, s24
	s_cbranch_execz .LBB1244_452
.LBB1244_448:                           ; =>This Inner Loop Header: Depth=1
	global_load_u16 v8, v[2:3], off
	global_load_u16 v9, v[6:7], off
	s_mov_b32 s28, -1
	s_mov_b32 s31, 0
	s_mov_b32 s29, -1
	s_mov_b32 s30, exec_lo
	s_waitcnt vmcnt(0)
	v_cmpx_nlt_f16_e32 v8, v9
; %bb.449:                              ;   in Loop: Header=BB1244_448 Depth=1
	v_cmp_ngt_f16_e32 vcc_lo, v8, v9
	s_and_b32 s27, vcc_lo, s27
	s_and_b32 s31, vcc_lo, exec_lo
	s_or_not1_b32 s29, s27, exec_lo
; %bb.450:                              ;   in Loop: Header=BB1244_448 Depth=1
	s_or_b32 exec_lo, exec_lo, s30
	s_delay_alu instid0(SALU_CYCLE_1) | instskip(SKIP_1) | instid1(SALU_CYCLE_1)
	s_and_not1_b32 s26, s26, exec_lo
	s_and_b32 s27, s29, exec_lo
	s_or_b32 s26, s26, s27
                                        ; implicit-def: $sgpr27
	s_and_saveexec_b32 s30, s31
	s_cbranch_execz .LBB1244_447
; %bb.451:                              ;   in Loop: Header=BB1244_448 Depth=1
	v_add_co_u32 v2, vcc_lo, v2, 2
	s_add_u32 s0, s0, -1
	s_addc_u32 s1, s1, -1
	v_add_co_ci_u32_e32 v3, vcc_lo, 0, v3, vcc_lo
	v_add_co_u32 v6, vcc_lo, v6, 2
	s_cmp_eq_u64 s[0:1], 0
	v_add_co_ci_u32_e32 v7, vcc_lo, 0, v7, vcc_lo
	s_cselect_b32 s28, -1, 0
	s_and_b32 s27, s29, exec_lo
	s_and_not1_b32 s26, s26, exec_lo
	s_or_not1_b32 s28, s28, exec_lo
	s_branch .LBB1244_447
.LBB1244_452:
	s_set_inst_prefetch_distance 0x2
	s_or_b32 exec_lo, exec_lo, s24
	s_xor_b32 s0, s25, -1
	s_and_not1_b32 s1, s20, exec_lo
	s_and_b32 s0, s0, exec_lo
	s_delay_alu instid0(SALU_CYCLE_1)
	s_or_b32 s20, s1, s0
.LBB1244_453:
	s_or_b32 exec_lo, exec_lo, s23
	s_delay_alu instid0(SALU_CYCLE_1)
	s_or_not1_b32 s20, s20, exec_lo
.LBB1244_454:
	s_or_b32 exec_lo, exec_lo, s22
	v_cndmask_b32_e64 v2, v37, v19, s20
	v_cndmask_b32_e64 v3, v16, v15, s20
	;; [unrolled: 1-line block ×5, first 2 shown]
	v_add_nc_u32_e32 v40, 1, v2
	v_add_nc_u32_e32 v2, -1, v3
	v_cndmask_b32_e64 v3, v10, v17, s21
	v_cndmask_b32_e64 v4, v21, v39, s20
	s_mov_b32 s19, exec_lo
	v_cndmask_b32_e64 v10, v40, v37, s20
	v_min_u32_e32 v2, v40, v2
	s_delay_alu instid0(VALU_DEP_1)
	v_lshlrev_b32_e32 v2, 3, v2
	ds_load_b64 v[8:9], v2
	v_cndmask_b32_e64 v2, v11, v18, s21
	s_waitcnt lgkmcnt(0)
	v_cndmask_b32_e64 v7, v38, v9, s20
	v_cndmask_b32_e64 v6, v39, v8, s20
	v_cmpx_lt_u32_e64 v10, v16
	s_cbranch_execz .LBB1244_464
; %bb.455:
	v_cndmask_b32_e64 v10, v19, v40, s20
	v_cndmask_b32_e64 v16, v9, v20, s20
	;; [unrolled: 1-line block ×3, first 2 shown]
	s_delay_alu instid0(VALU_DEP_3) | instskip(NEXT) | instid1(VALU_DEP_2)
	v_cmp_ge_u32_e32 vcc_lo, v10, v15
	v_dual_cndmask_b32 v9, v7, v16 :: v_dual_cndmask_b32 v8, v6, v17
	s_or_b32 s0, vcc_lo, s12
	s_delay_alu instid0(SALU_CYCLE_1) | instskip(NEXT) | instid1(SALU_CYCLE_1)
	s_xor_b32 s0, s0, -1
	s_and_saveexec_b32 s20, s0
	s_cbranch_execz .LBB1244_463
; %bb.456:
	v_mul_lo_u32 v15, v16, s8
	v_mul_lo_u32 v18, v17, s9
	v_mad_u64_u32 v[8:9], null, v17, s8, 0
	v_mul_lo_u32 v19, v7, s8
	v_mul_lo_u32 v20, v6, s9
	v_mad_u64_u32 v[10:11], null, v6, s8, 0
	s_mov_b32 s21, 0
	s_mov_b64 s[0:1], s[8:9]
	s_delay_alu instid0(VALU_DEP_4) | instskip(NEXT) | instid1(VALU_DEP_2)
	v_add3_u32 v9, v9, v18, v15
                                        ; implicit-def: $sgpr22
                                        ; implicit-def: $sgpr23
                                        ; implicit-def: $sgpr24
	v_add3_u32 v11, v11, v20, v19
	s_delay_alu instid0(VALU_DEP_2) | instskip(NEXT) | instid1(VALU_DEP_2)
	v_lshlrev_b64 v[8:9], 1, v[8:9]
	v_lshlrev_b64 v[10:11], 1, v[10:11]
	s_delay_alu instid0(VALU_DEP_2) | instskip(NEXT) | instid1(VALU_DEP_3)
	v_add_co_u32 v8, vcc_lo, s10, v8
	v_add_co_ci_u32_e32 v9, vcc_lo, s11, v9, vcc_lo
	s_delay_alu instid0(VALU_DEP_3) | instskip(NEXT) | instid1(VALU_DEP_4)
	v_add_co_u32 v10, vcc_lo, s10, v10
	v_add_co_ci_u32_e32 v11, vcc_lo, s11, v11, vcc_lo
	s_set_inst_prefetch_distance 0x1
	s_branch .LBB1244_458
	.p2align	6
.LBB1244_457:                           ;   in Loop: Header=BB1244_458 Depth=1
	s_or_b32 exec_lo, exec_lo, s27
	s_delay_alu instid0(SALU_CYCLE_1) | instskip(NEXT) | instid1(SALU_CYCLE_1)
	s_and_b32 s25, exec_lo, s25
	s_or_b32 s21, s25, s21
	s_and_not1_b32 s22, s22, exec_lo
	s_and_b32 s25, s23, exec_lo
	s_delay_alu instid0(SALU_CYCLE_1)
	s_or_b32 s22, s22, s25
	s_and_not1_b32 exec_lo, exec_lo, s21
	s_cbranch_execz .LBB1244_462
.LBB1244_458:                           ; =>This Inner Loop Header: Depth=1
	global_load_u16 v15, v[8:9], off
	global_load_u16 v18, v[10:11], off
	s_mov_b32 s25, -1
	s_mov_b32 s28, 0
	s_mov_b32 s26, -1
	s_mov_b32 s27, exec_lo
	s_waitcnt vmcnt(0)
	v_cmpx_nlt_f16_e32 v15, v18
; %bb.459:                              ;   in Loop: Header=BB1244_458 Depth=1
	v_cmp_ngt_f16_e32 vcc_lo, v15, v18
	s_and_b32 s24, vcc_lo, s24
	s_and_b32 s28, vcc_lo, exec_lo
	s_or_not1_b32 s26, s24, exec_lo
; %bb.460:                              ;   in Loop: Header=BB1244_458 Depth=1
	s_or_b32 exec_lo, exec_lo, s27
	s_delay_alu instid0(SALU_CYCLE_1) | instskip(SKIP_1) | instid1(SALU_CYCLE_1)
	s_and_not1_b32 s23, s23, exec_lo
	s_and_b32 s24, s26, exec_lo
	s_or_b32 s23, s23, s24
                                        ; implicit-def: $sgpr24
	s_and_saveexec_b32 s27, s28
	s_cbranch_execz .LBB1244_457
; %bb.461:                              ;   in Loop: Header=BB1244_458 Depth=1
	v_add_co_u32 v8, vcc_lo, v8, 2
	s_add_u32 s0, s0, -1
	s_addc_u32 s1, s1, -1
	v_add_co_ci_u32_e32 v9, vcc_lo, 0, v9, vcc_lo
	v_add_co_u32 v10, vcc_lo, v10, 2
	s_cmp_eq_u64 s[0:1], 0
	v_add_co_ci_u32_e32 v11, vcc_lo, 0, v11, vcc_lo
	s_cselect_b32 s25, -1, 0
	s_and_b32 s24, s26, exec_lo
	s_and_not1_b32 s23, s23, exec_lo
	s_or_not1_b32 s25, s25, exec_lo
	s_branch .LBB1244_457
.LBB1244_462:
	s_set_inst_prefetch_distance 0x2
	s_or_b32 exec_lo, exec_lo, s21
	v_cndmask_b32_e64 v9, v7, v16, s22
	v_cndmask_b32_e64 v8, v6, v17, s22
.LBB1244_463:
	s_or_b32 exec_lo, exec_lo, s20
	s_delay_alu instid0(VALU_DEP_1)
	v_dual_mov_b32 v6, v8 :: v_dual_mov_b32 v7, v9
.LBB1244_464:
	s_or_b32 exec_lo, exec_lo, s19
.LBB1244_465:
	s_delay_alu instid0(SALU_CYCLE_1) | instskip(SKIP_4) | instid1(VALU_DEP_2)
	s_or_b32 exec_lo, exec_lo, s17
	v_and_b32_e32 v18, 0xc00, v23
	v_and_b32_e32 v19, 0x3fc, v23
	s_mov_b32 s17, exec_lo
	s_barrier
	v_or_b32_e32 v8, 0x200, v18
	v_lshlrev_b32_e32 v17, 3, v18
	buffer_gl0_inv
	ds_store_b128 v14, v[0:3]
	ds_store_b128 v14, v[4:7] offset:16
	s_waitcnt lgkmcnt(0)
	v_min_u32_e32 v15, 0x400, v8
	s_barrier
	buffer_gl0_inv
	v_sub_nc_u32_e32 v8, 0x400, v15
	v_sub_nc_u32_e32 v9, v15, v18
	s_delay_alu instid0(VALU_DEP_2) | instskip(NEXT) | instid1(VALU_DEP_2)
	v_sub_nc_u32_e64 v16, v19, v8 clamp
	v_min_u32_e32 v20, v19, v9
	s_delay_alu instid0(VALU_DEP_1)
	v_cmpx_lt_u32_e64 v16, v20
	s_cbranch_execz .LBB1244_477
; %bb.466:
	v_lshlrev_b32_e32 v8, 3, v19
	s_lshl_b64 s[0:1], s[8:9], 1
	s_mov_b32 s19, 0
	s_delay_alu instid0(VALU_DEP_1)
	v_lshl_add_u32 v14, v15, 3, v8
	s_branch .LBB1244_469
.LBB1244_467:                           ;   in Loop: Header=BB1244_469 Depth=1
	s_set_inst_prefetch_distance 0x2
	s_or_b32 exec_lo, exec_lo, s23
.LBB1244_468:                           ;   in Loop: Header=BB1244_469 Depth=1
	s_delay_alu instid0(VALU_DEP_1) | instskip(SKIP_1) | instid1(VALU_DEP_2)
	v_add_nc_u32_e32 v8, 1, v21
	v_cndmask_b32_e64 v20, v20, v21, s22
	v_cndmask_b32_e64 v16, v8, v16, s22
	s_delay_alu instid0(VALU_DEP_1) | instskip(SKIP_1) | instid1(SALU_CYCLE_1)
	v_cmp_ge_u32_e32 vcc_lo, v16, v20
	s_or_b32 s19, vcc_lo, s19
	s_and_not1_b32 exec_lo, exec_lo, s19
	s_cbranch_execz .LBB1244_476
.LBB1244_469:                           ; =>This Loop Header: Depth=1
                                        ;     Child Loop BB1244_472 Depth 2
	v_add_nc_u32_e32 v8, v20, v16
	v_cmp_ne_u32_e32 vcc_lo, 1, v36
	s_mov_b32 s22, 0
	s_delay_alu instid0(VALU_DEP_2)
	v_lshrrev_b32_e32 v21, 1, v8
	s_cbranch_vccnz .LBB1244_468
; %bb.470:                              ;   in Loop: Header=BB1244_469 Depth=1
	s_delay_alu instid0(VALU_DEP_1) | instskip(SKIP_3) | instid1(VALU_DEP_2)
	v_not_b32_e32 v8, v21
	v_lshl_add_u32 v9, v21, 3, v17
	s_mov_b32 s23, 0
	s_mov_b64 s[20:21], s[8:9]
                                        ; implicit-def: $sgpr22
                                        ; implicit-def: $sgpr24
                                        ; implicit-def: $sgpr25
	v_lshl_add_u32 v8, v8, 3, v14
	ds_load_b64 v[10:11], v8
	ds_load_b64 v[37:38], v9
	s_waitcnt lgkmcnt(1)
	v_mul_lo_u32 v39, s0, v11
	v_mul_lo_u32 v40, s1, v10
	v_mad_u64_u32 v[8:9], null, s0, v10, s[10:11]
	s_waitcnt lgkmcnt(0)
	v_mul_lo_u32 v38, s0, v38
	v_mul_lo_u32 v41, s1, v37
	v_mad_u64_u32 v[10:11], null, s0, v37, s[10:11]
	s_delay_alu instid0(VALU_DEP_4) | instskip(NEXT) | instid1(VALU_DEP_2)
	v_add3_u32 v9, v40, v9, v39
	v_add3_u32 v11, v41, v11, v38
	s_set_inst_prefetch_distance 0x1
	s_branch .LBB1244_472
	.p2align	6
.LBB1244_471:                           ;   in Loop: Header=BB1244_472 Depth=2
	s_or_b32 exec_lo, exec_lo, s28
	s_delay_alu instid0(SALU_CYCLE_1) | instskip(NEXT) | instid1(SALU_CYCLE_1)
	s_and_b32 s26, exec_lo, s27
	s_or_b32 s23, s26, s23
	s_and_not1_b32 s22, s22, exec_lo
	s_and_b32 s26, s24, exec_lo
	s_delay_alu instid0(SALU_CYCLE_1)
	s_or_b32 s22, s22, s26
	s_and_not1_b32 exec_lo, exec_lo, s23
	s_cbranch_execz .LBB1244_467
.LBB1244_472:                           ;   Parent Loop BB1244_469 Depth=1
                                        ; =>  This Inner Loop Header: Depth=2
	global_load_u16 v37, v[8:9], off
	global_load_u16 v38, v[10:11], off
	s_mov_b32 s27, -1
	s_mov_b32 s29, 0
	s_mov_b32 s26, -1
	s_mov_b32 s28, exec_lo
	s_waitcnt vmcnt(0)
	v_cmpx_nlt_f16_e32 v37, v38
; %bb.473:                              ;   in Loop: Header=BB1244_472 Depth=2
	v_cmp_ngt_f16_e32 vcc_lo, v37, v38
	s_and_b32 s25, vcc_lo, s25
	s_and_b32 s29, vcc_lo, exec_lo
	s_or_not1_b32 s26, s25, exec_lo
; %bb.474:                              ;   in Loop: Header=BB1244_472 Depth=2
	s_or_b32 exec_lo, exec_lo, s28
	s_delay_alu instid0(SALU_CYCLE_1) | instskip(SKIP_1) | instid1(SALU_CYCLE_1)
	s_and_not1_b32 s24, s24, exec_lo
	s_and_b32 s25, s26, exec_lo
	s_or_b32 s24, s24, s25
                                        ; implicit-def: $sgpr25
	s_and_saveexec_b32 s28, s29
	s_cbranch_execz .LBB1244_471
; %bb.475:                              ;   in Loop: Header=BB1244_472 Depth=2
	v_add_co_u32 v8, vcc_lo, v8, 2
	s_add_u32 s20, s20, -1
	s_addc_u32 s21, s21, -1
	v_add_co_ci_u32_e32 v9, vcc_lo, 0, v9, vcc_lo
	v_add_co_u32 v10, vcc_lo, v10, 2
	s_cmp_eq_u64 s[20:21], 0
	v_add_co_ci_u32_e32 v11, vcc_lo, 0, v11, vcc_lo
	s_cselect_b32 s27, -1, 0
	s_and_not1_b32 s24, s24, exec_lo
	s_and_b32 s25, s26, exec_lo
	s_or_not1_b32 s27, s27, exec_lo
	s_branch .LBB1244_471
.LBB1244_476:
	s_or_b32 exec_lo, exec_lo, s19
.LBB1244_477:
	s_delay_alu instid0(SALU_CYCLE_1) | instskip(SKIP_2) | instid1(VALU_DEP_2)
	s_or_b32 exec_lo, exec_lo, s17
	v_sub_nc_u32_e32 v8, v19, v16
	v_add_nc_u32_e32 v9, v16, v18
	v_add_nc_u32_e32 v10, v8, v15
	s_delay_alu instid0(VALU_DEP_2) | instskip(NEXT) | instid1(VALU_DEP_2)
	v_cmp_le_u32_e32 vcc_lo, v9, v15
	v_cmp_gt_u32_e64 s0, 0x401, v10
	s_delay_alu instid0(VALU_DEP_1) | instskip(NEXT) | instid1(SALU_CYCLE_1)
	s_or_b32 s0, vcc_lo, s0
	s_and_saveexec_b32 s17, s0
	s_cbranch_execz .LBB1244_521
; %bb.478:
	v_cmp_ge_u32_e32 vcc_lo, v9, v15
	s_mov_b32 s1, exec_lo
                                        ; implicit-def: $vgpr0_vgpr1
	v_cmpx_lt_u32_e64 v9, v15
	s_cbranch_execz .LBB1244_480
; %bb.479:
	v_lshl_add_u32 v0, v16, 3, v17
	ds_load_b64 v[0:1], v0
.LBB1244_480:
	s_or_b32 exec_lo, exec_lo, s1
	v_cmp_lt_u32_e64 s0, 0x3ff, v10
	s_mov_b32 s19, exec_lo
                                        ; implicit-def: $vgpr4_vgpr5
	v_cmpx_gt_u32_e32 0x400, v10
	s_cbranch_execz .LBB1244_482
; %bb.481:
	v_lshlrev_b32_e32 v2, 3, v10
	ds_load_b64 v[4:5], v2
.LBB1244_482:
	s_or_b32 exec_lo, exec_lo, s19
	s_or_b32 s1, vcc_lo, s0
	s_xor_b32 s19, vcc_lo, -1
	s_or_b32 s1, s1, s12
	s_or_b32 s19, s0, s19
	s_xor_b32 s1, s1, -1
	s_delay_alu instid0(SALU_CYCLE_1)
	s_and_saveexec_b32 s20, s1
	s_cbranch_execz .LBB1244_490
; %bb.483:
	s_waitcnt lgkmcnt(0)
	v_mul_lo_u32 v8, v5, s8
	v_mul_lo_u32 v11, v4, s9
	v_mad_u64_u32 v[2:3], null, v4, s8, 0
	v_mul_lo_u32 v14, v1, s8
	v_mul_lo_u32 v16, v0, s9
	v_mad_u64_u32 v[6:7], null, v0, s8, 0
	s_mov_b32 s21, 0
	s_mov_b64 s[0:1], s[8:9]
	s_delay_alu instid0(VALU_DEP_4) | instskip(NEXT) | instid1(VALU_DEP_2)
	v_add3_u32 v3, v3, v11, v8
                                        ; implicit-def: $sgpr22
                                        ; implicit-def: $sgpr23
                                        ; implicit-def: $sgpr24
	v_add3_u32 v7, v7, v16, v14
	s_delay_alu instid0(VALU_DEP_2) | instskip(NEXT) | instid1(VALU_DEP_2)
	v_lshlrev_b64 v[2:3], 1, v[2:3]
	v_lshlrev_b64 v[6:7], 1, v[6:7]
	s_delay_alu instid0(VALU_DEP_2) | instskip(NEXT) | instid1(VALU_DEP_3)
	v_add_co_u32 v2, vcc_lo, s10, v2
	v_add_co_ci_u32_e32 v3, vcc_lo, s11, v3, vcc_lo
	s_delay_alu instid0(VALU_DEP_3) | instskip(NEXT) | instid1(VALU_DEP_4)
	v_add_co_u32 v6, vcc_lo, s10, v6
	v_add_co_ci_u32_e32 v7, vcc_lo, s11, v7, vcc_lo
	s_set_inst_prefetch_distance 0x1
	s_branch .LBB1244_485
	.p2align	6
.LBB1244_484:                           ;   in Loop: Header=BB1244_485 Depth=1
	s_or_b32 exec_lo, exec_lo, s27
	s_delay_alu instid0(SALU_CYCLE_1) | instskip(NEXT) | instid1(SALU_CYCLE_1)
	s_and_b32 s25, exec_lo, s25
	s_or_b32 s21, s25, s21
	s_and_not1_b32 s22, s22, exec_lo
	s_and_b32 s25, s23, exec_lo
	s_delay_alu instid0(SALU_CYCLE_1)
	s_or_b32 s22, s22, s25
	s_and_not1_b32 exec_lo, exec_lo, s21
	s_cbranch_execz .LBB1244_489
.LBB1244_485:                           ; =>This Inner Loop Header: Depth=1
	global_load_u16 v8, v[2:3], off
	global_load_u16 v11, v[6:7], off
	s_mov_b32 s25, -1
	s_mov_b32 s28, 0
	s_mov_b32 s26, -1
	s_mov_b32 s27, exec_lo
	s_waitcnt vmcnt(0)
	v_cmpx_nlt_f16_e32 v8, v11
; %bb.486:                              ;   in Loop: Header=BB1244_485 Depth=1
	v_cmp_ngt_f16_e32 vcc_lo, v8, v11
	s_and_b32 s24, vcc_lo, s24
	s_and_b32 s28, vcc_lo, exec_lo
	s_or_not1_b32 s26, s24, exec_lo
; %bb.487:                              ;   in Loop: Header=BB1244_485 Depth=1
	s_or_b32 exec_lo, exec_lo, s27
	s_delay_alu instid0(SALU_CYCLE_1) | instskip(SKIP_1) | instid1(SALU_CYCLE_1)
	s_and_not1_b32 s23, s23, exec_lo
	s_and_b32 s24, s26, exec_lo
	s_or_b32 s23, s23, s24
                                        ; implicit-def: $sgpr24
	s_and_saveexec_b32 s27, s28
	s_cbranch_execz .LBB1244_484
; %bb.488:                              ;   in Loop: Header=BB1244_485 Depth=1
	v_add_co_u32 v2, vcc_lo, v2, 2
	s_add_u32 s0, s0, -1
	s_addc_u32 s1, s1, -1
	v_add_co_ci_u32_e32 v3, vcc_lo, 0, v3, vcc_lo
	v_add_co_u32 v6, vcc_lo, v6, 2
	s_cmp_eq_u64 s[0:1], 0
	v_add_co_ci_u32_e32 v7, vcc_lo, 0, v7, vcc_lo
	s_cselect_b32 s25, -1, 0
	s_and_b32 s24, s26, exec_lo
	s_and_not1_b32 s23, s23, exec_lo
	s_or_not1_b32 s25, s25, exec_lo
	s_branch .LBB1244_484
.LBB1244_489:
	s_set_inst_prefetch_distance 0x2
	s_or_b32 exec_lo, exec_lo, s21
	s_xor_b32 s0, s22, -1
	s_and_not1_b32 s1, s19, exec_lo
	s_and_b32 s0, s0, exec_lo
	s_delay_alu instid0(SALU_CYCLE_1)
	s_or_b32 s19, s1, s0
.LBB1244_490:
	s_or_b32 exec_lo, exec_lo, s20
	v_cndmask_b32_e64 v2, v10, v9, s19
	v_add_nc_u32_e32 v8, -1, v15
	s_mov_b32 s20, -1
	s_mov_b32 s21, -1
	s_mov_b32 s22, exec_lo
	v_add_nc_u32_e32 v6, 1, v2
	v_cndmask_b32_e64 v2, 0x3ff, v8, s19
	s_delay_alu instid0(VALU_DEP_2) | instskip(NEXT) | instid1(VALU_DEP_2)
	v_cndmask_b32_e64 v17, v6, v10, s19
	v_min_u32_e32 v2, v6, v2
	v_cndmask_b32_e64 v9, v9, v6, s19
	s_delay_alu instid0(VALU_DEP_2)
	v_lshlrev_b32_e32 v2, 3, v2
	ds_load_b64 v[2:3], v2
	s_waitcnt lgkmcnt(0)
	v_cndmask_b32_e64 v10, v3, v5, s19
	v_cndmask_b32_e64 v11, v2, v4, s19
	;; [unrolled: 1-line block ×4, first 2 shown]
	v_cmpx_gt_u32_e32 0x400, v17
	s_cbranch_execz .LBB1244_500
; %bb.491:
	v_cmp_lt_u32_e64 s21, v9, v15
	s_xor_b32 s0, s12, -1
	s_delay_alu instid0(VALU_DEP_1) | instid1(SALU_CYCLE_1)
	s_and_b32 s0, s21, s0
	s_delay_alu instid0(SALU_CYCLE_1)
	s_and_saveexec_b32 s23, s0
	s_cbranch_execz .LBB1244_499
; %bb.492:
	v_mul_lo_u32 v18, v10, s8
	v_mul_lo_u32 v19, v11, s9
	v_mad_u64_u32 v[2:3], null, v11, s8, 0
	v_mul_lo_u32 v20, v14, s8
	v_mul_lo_u32 v21, v16, s9
	v_mad_u64_u32 v[6:7], null, v16, s8, 0
	s_mov_b32 s24, 0
	s_mov_b64 s[0:1], s[8:9]
	s_delay_alu instid0(VALU_DEP_4) | instskip(NEXT) | instid1(VALU_DEP_2)
	v_add3_u32 v3, v3, v19, v18
                                        ; implicit-def: $sgpr25
                                        ; implicit-def: $sgpr26
                                        ; implicit-def: $sgpr27
	v_add3_u32 v7, v7, v21, v20
	s_delay_alu instid0(VALU_DEP_2) | instskip(NEXT) | instid1(VALU_DEP_2)
	v_lshlrev_b64 v[2:3], 1, v[2:3]
	v_lshlrev_b64 v[6:7], 1, v[6:7]
	s_delay_alu instid0(VALU_DEP_2) | instskip(NEXT) | instid1(VALU_DEP_3)
	v_add_co_u32 v2, vcc_lo, s10, v2
	v_add_co_ci_u32_e32 v3, vcc_lo, s11, v3, vcc_lo
	s_delay_alu instid0(VALU_DEP_3) | instskip(NEXT) | instid1(VALU_DEP_4)
	v_add_co_u32 v6, vcc_lo, s10, v6
	v_add_co_ci_u32_e32 v7, vcc_lo, s11, v7, vcc_lo
	s_set_inst_prefetch_distance 0x1
	s_branch .LBB1244_494
	.p2align	6
.LBB1244_493:                           ;   in Loop: Header=BB1244_494 Depth=1
	s_or_b32 exec_lo, exec_lo, s30
	s_delay_alu instid0(SALU_CYCLE_1) | instskip(NEXT) | instid1(SALU_CYCLE_1)
	s_and_b32 s28, exec_lo, s28
	s_or_b32 s24, s28, s24
	s_and_not1_b32 s25, s25, exec_lo
	s_and_b32 s28, s26, exec_lo
	s_delay_alu instid0(SALU_CYCLE_1)
	s_or_b32 s25, s25, s28
	s_and_not1_b32 exec_lo, exec_lo, s24
	s_cbranch_execz .LBB1244_498
.LBB1244_494:                           ; =>This Inner Loop Header: Depth=1
	global_load_u16 v18, v[2:3], off
	global_load_u16 v19, v[6:7], off
	s_mov_b32 s28, -1
	s_mov_b32 s31, 0
	s_mov_b32 s29, -1
	s_mov_b32 s30, exec_lo
	s_waitcnt vmcnt(0)
	v_cmpx_nlt_f16_e32 v18, v19
; %bb.495:                              ;   in Loop: Header=BB1244_494 Depth=1
	v_cmp_ngt_f16_e32 vcc_lo, v18, v19
	s_and_b32 s27, vcc_lo, s27
	s_and_b32 s31, vcc_lo, exec_lo
	s_or_not1_b32 s29, s27, exec_lo
; %bb.496:                              ;   in Loop: Header=BB1244_494 Depth=1
	s_or_b32 exec_lo, exec_lo, s30
	s_delay_alu instid0(SALU_CYCLE_1) | instskip(SKIP_1) | instid1(SALU_CYCLE_1)
	s_and_not1_b32 s26, s26, exec_lo
	s_and_b32 s27, s29, exec_lo
	s_or_b32 s26, s26, s27
                                        ; implicit-def: $sgpr27
	s_and_saveexec_b32 s30, s31
	s_cbranch_execz .LBB1244_493
; %bb.497:                              ;   in Loop: Header=BB1244_494 Depth=1
	v_add_co_u32 v2, vcc_lo, v2, 2
	s_add_u32 s0, s0, -1
	s_addc_u32 s1, s1, -1
	v_add_co_ci_u32_e32 v3, vcc_lo, 0, v3, vcc_lo
	v_add_co_u32 v6, vcc_lo, v6, 2
	s_cmp_eq_u64 s[0:1], 0
	v_add_co_ci_u32_e32 v7, vcc_lo, 0, v7, vcc_lo
	s_cselect_b32 s28, -1, 0
	s_and_b32 s27, s29, exec_lo
	s_and_not1_b32 s26, s26, exec_lo
	s_or_not1_b32 s28, s28, exec_lo
	s_branch .LBB1244_493
.LBB1244_498:
	s_set_inst_prefetch_distance 0x2
	s_or_b32 exec_lo, exec_lo, s24
	s_xor_b32 s0, s25, -1
	s_and_not1_b32 s1, s21, exec_lo
	s_and_b32 s0, s0, exec_lo
	s_delay_alu instid0(SALU_CYCLE_1)
	s_or_b32 s21, s1, s0
.LBB1244_499:
	s_or_b32 exec_lo, exec_lo, s23
	s_delay_alu instid0(SALU_CYCLE_1)
	s_or_not1_b32 s21, s21, exec_lo
.LBB1244_500:
	s_or_b32 exec_lo, exec_lo, s22
	v_cndmask_b32_e64 v2, v17, v9, s21
	v_cndmask_b32_e64 v3, 0x3ff, v8, s21
	s_mov_b32 s22, exec_lo
	s_delay_alu instid0(VALU_DEP_2) | instskip(NEXT) | instid1(VALU_DEP_1)
	v_add_nc_u32_e32 v6, 1, v2
	v_min_u32_e32 v2, v6, v3
	v_cndmask_b32_e64 v20, v6, v17, s21
	v_cndmask_b32_e64 v17, v9, v6, s21
	s_delay_alu instid0(VALU_DEP_3)
	v_lshlrev_b32_e32 v2, 3, v2
	ds_load_b64 v[2:3], v2
	s_waitcnt lgkmcnt(0)
	v_cndmask_b32_e64 v18, v3, v10, s21
	v_cndmask_b32_e64 v19, v2, v11, s21
	;; [unrolled: 1-line block ×4, first 2 shown]
	v_cmpx_gt_u32_e32 0x400, v20
	s_cbranch_execz .LBB1244_510
; %bb.501:
	v_cmp_lt_u32_e64 s20, v17, v15
	s_xor_b32 s0, s12, -1
	s_delay_alu instid0(VALU_DEP_1) | instid1(SALU_CYCLE_1)
	s_and_b32 s0, s20, s0
	s_delay_alu instid0(SALU_CYCLE_1)
	s_and_saveexec_b32 s23, s0
	s_cbranch_execz .LBB1244_509
; %bb.502:
	v_mul_lo_u32 v9, v18, s8
	v_mul_lo_u32 v37, v19, s9
	v_mad_u64_u32 v[2:3], null, v19, s8, 0
	v_mul_lo_u32 v38, v21, s8
	v_mul_lo_u32 v39, v36, s9
	v_mad_u64_u32 v[6:7], null, v36, s8, 0
	s_mov_b32 s24, 0
	s_mov_b64 s[0:1], s[8:9]
	s_delay_alu instid0(VALU_DEP_4) | instskip(NEXT) | instid1(VALU_DEP_2)
	v_add3_u32 v3, v3, v37, v9
                                        ; implicit-def: $sgpr25
                                        ; implicit-def: $sgpr26
                                        ; implicit-def: $sgpr27
	v_add3_u32 v7, v7, v39, v38
	s_delay_alu instid0(VALU_DEP_2) | instskip(NEXT) | instid1(VALU_DEP_2)
	v_lshlrev_b64 v[2:3], 1, v[2:3]
	v_lshlrev_b64 v[6:7], 1, v[6:7]
	s_delay_alu instid0(VALU_DEP_2) | instskip(NEXT) | instid1(VALU_DEP_3)
	v_add_co_u32 v2, vcc_lo, s10, v2
	v_add_co_ci_u32_e32 v3, vcc_lo, s11, v3, vcc_lo
	s_delay_alu instid0(VALU_DEP_3) | instskip(NEXT) | instid1(VALU_DEP_4)
	v_add_co_u32 v6, vcc_lo, s10, v6
	v_add_co_ci_u32_e32 v7, vcc_lo, s11, v7, vcc_lo
	s_set_inst_prefetch_distance 0x1
	s_branch .LBB1244_504
	.p2align	6
.LBB1244_503:                           ;   in Loop: Header=BB1244_504 Depth=1
	s_or_b32 exec_lo, exec_lo, s30
	s_delay_alu instid0(SALU_CYCLE_1) | instskip(NEXT) | instid1(SALU_CYCLE_1)
	s_and_b32 s28, exec_lo, s28
	s_or_b32 s24, s28, s24
	s_and_not1_b32 s25, s25, exec_lo
	s_and_b32 s28, s26, exec_lo
	s_delay_alu instid0(SALU_CYCLE_1)
	s_or_b32 s25, s25, s28
	s_and_not1_b32 exec_lo, exec_lo, s24
	s_cbranch_execz .LBB1244_508
.LBB1244_504:                           ; =>This Inner Loop Header: Depth=1
	global_load_u16 v9, v[2:3], off
	global_load_u16 v37, v[6:7], off
	s_mov_b32 s28, -1
	s_mov_b32 s31, 0
	s_mov_b32 s29, -1
	s_mov_b32 s30, exec_lo
	s_waitcnt vmcnt(0)
	v_cmpx_nlt_f16_e32 v9, v37
; %bb.505:                              ;   in Loop: Header=BB1244_504 Depth=1
	v_cmp_ngt_f16_e32 vcc_lo, v9, v37
	s_and_b32 s27, vcc_lo, s27
	s_and_b32 s31, vcc_lo, exec_lo
	s_or_not1_b32 s29, s27, exec_lo
; %bb.506:                              ;   in Loop: Header=BB1244_504 Depth=1
	s_or_b32 exec_lo, exec_lo, s30
	s_delay_alu instid0(SALU_CYCLE_1) | instskip(SKIP_1) | instid1(SALU_CYCLE_1)
	s_and_not1_b32 s26, s26, exec_lo
	s_and_b32 s27, s29, exec_lo
	s_or_b32 s26, s26, s27
                                        ; implicit-def: $sgpr27
	s_and_saveexec_b32 s30, s31
	s_cbranch_execz .LBB1244_503
; %bb.507:                              ;   in Loop: Header=BB1244_504 Depth=1
	v_add_co_u32 v2, vcc_lo, v2, 2
	s_add_u32 s0, s0, -1
	s_addc_u32 s1, s1, -1
	v_add_co_ci_u32_e32 v3, vcc_lo, 0, v3, vcc_lo
	v_add_co_u32 v6, vcc_lo, v6, 2
	s_cmp_eq_u64 s[0:1], 0
	v_add_co_ci_u32_e32 v7, vcc_lo, 0, v7, vcc_lo
	s_cselect_b32 s28, -1, 0
	s_and_b32 s27, s29, exec_lo
	s_and_not1_b32 s26, s26, exec_lo
	s_or_not1_b32 s28, s28, exec_lo
	s_branch .LBB1244_503
.LBB1244_508:
	s_set_inst_prefetch_distance 0x2
	s_or_b32 exec_lo, exec_lo, s24
	s_xor_b32 s0, s25, -1
	s_and_not1_b32 s1, s20, exec_lo
	s_and_b32 s0, s0, exec_lo
	s_delay_alu instid0(SALU_CYCLE_1)
	s_or_b32 s20, s1, s0
.LBB1244_509:
	s_or_b32 exec_lo, exec_lo, s23
	s_delay_alu instid0(SALU_CYCLE_1)
	s_or_not1_b32 s20, s20, exec_lo
.LBB1244_510:
	s_or_b32 exec_lo, exec_lo, s22
	v_cndmask_b32_e64 v2, v20, v17, s20
	v_cndmask_b32_e64 v3, 0x3ff, v8, s20
	;; [unrolled: 1-line block ×5, first 2 shown]
	v_add_nc_u32_e32 v37, 1, v2
	v_cndmask_b32_e64 v4, v19, v36, s20
	s_mov_b32 s19, exec_lo
	s_delay_alu instid0(VALU_DEP_2) | instskip(SKIP_2) | instid1(VALU_DEP_3)
	v_min_u32_e32 v2, v37, v3
	v_cndmask_b32_e64 v3, v10, v14, s21
	v_cndmask_b32_e64 v10, v37, v20, s20
	v_lshlrev_b32_e32 v2, 3, v2
	ds_load_b64 v[8:9], v2
	v_cndmask_b32_e64 v2, v11, v16, s21
	s_waitcnt lgkmcnt(0)
	v_cndmask_b32_e64 v7, v21, v9, s20
	v_cndmask_b32_e64 v6, v36, v8, s20
	v_cmpx_gt_u32_e32 0x400, v10
	s_cbranch_execz .LBB1244_520
; %bb.511:
	v_cndmask_b32_e64 v10, v17, v37, s20
	v_cndmask_b32_e64 v14, v9, v18, s20
	;; [unrolled: 1-line block ×3, first 2 shown]
	s_delay_alu instid0(VALU_DEP_3) | instskip(NEXT) | instid1(VALU_DEP_2)
	v_cmp_ge_u32_e32 vcc_lo, v10, v15
	v_dual_cndmask_b32 v9, v7, v14 :: v_dual_cndmask_b32 v8, v6, v16
	s_or_b32 s0, vcc_lo, s12
	s_delay_alu instid0(SALU_CYCLE_1) | instskip(NEXT) | instid1(SALU_CYCLE_1)
	s_xor_b32 s0, s0, -1
	s_and_saveexec_b32 s12, s0
	s_cbranch_execz .LBB1244_519
; %bb.512:
	v_mul_lo_u32 v15, v14, s8
	v_mul_lo_u32 v17, v16, s9
	v_mad_u64_u32 v[8:9], null, v16, s8, 0
	v_mul_lo_u32 v18, v7, s8
	v_mul_lo_u32 v19, v6, s9
	v_mad_u64_u32 v[10:11], null, v6, s8, 0
	s_mov_b32 s20, 0
	s_mov_b64 s[0:1], s[8:9]
	s_delay_alu instid0(VALU_DEP_4) | instskip(NEXT) | instid1(VALU_DEP_2)
	v_add3_u32 v9, v9, v17, v15
                                        ; implicit-def: $sgpr21
                                        ; implicit-def: $sgpr22
                                        ; implicit-def: $sgpr23
	v_add3_u32 v11, v11, v19, v18
	s_delay_alu instid0(VALU_DEP_2) | instskip(NEXT) | instid1(VALU_DEP_2)
	v_lshlrev_b64 v[8:9], 1, v[8:9]
	v_lshlrev_b64 v[10:11], 1, v[10:11]
	s_delay_alu instid0(VALU_DEP_2) | instskip(NEXT) | instid1(VALU_DEP_3)
	v_add_co_u32 v8, vcc_lo, s10, v8
	v_add_co_ci_u32_e32 v9, vcc_lo, s11, v9, vcc_lo
	s_delay_alu instid0(VALU_DEP_3) | instskip(NEXT) | instid1(VALU_DEP_4)
	v_add_co_u32 v10, vcc_lo, s10, v10
	v_add_co_ci_u32_e32 v11, vcc_lo, s11, v11, vcc_lo
	s_set_inst_prefetch_distance 0x1
	s_branch .LBB1244_514
	.p2align	6
.LBB1244_513:                           ;   in Loop: Header=BB1244_514 Depth=1
	s_or_b32 exec_lo, exec_lo, s26
	s_delay_alu instid0(SALU_CYCLE_1) | instskip(NEXT) | instid1(SALU_CYCLE_1)
	s_and_b32 s24, exec_lo, s24
	s_or_b32 s20, s24, s20
	s_and_not1_b32 s21, s21, exec_lo
	s_and_b32 s24, s22, exec_lo
	s_delay_alu instid0(SALU_CYCLE_1)
	s_or_b32 s21, s21, s24
	s_and_not1_b32 exec_lo, exec_lo, s20
	s_cbranch_execz .LBB1244_518
.LBB1244_514:                           ; =>This Inner Loop Header: Depth=1
	global_load_u16 v15, v[8:9], off
	global_load_u16 v17, v[10:11], off
	s_mov_b32 s24, -1
	s_mov_b32 s27, 0
	s_mov_b32 s25, -1
	s_mov_b32 s26, exec_lo
	s_waitcnt vmcnt(0)
	v_cmpx_nlt_f16_e32 v15, v17
; %bb.515:                              ;   in Loop: Header=BB1244_514 Depth=1
	v_cmp_ngt_f16_e32 vcc_lo, v15, v17
	s_and_b32 s23, vcc_lo, s23
	s_and_b32 s27, vcc_lo, exec_lo
	s_or_not1_b32 s25, s23, exec_lo
; %bb.516:                              ;   in Loop: Header=BB1244_514 Depth=1
	s_or_b32 exec_lo, exec_lo, s26
	s_delay_alu instid0(SALU_CYCLE_1) | instskip(SKIP_1) | instid1(SALU_CYCLE_1)
	s_and_not1_b32 s22, s22, exec_lo
	s_and_b32 s23, s25, exec_lo
	s_or_b32 s22, s22, s23
                                        ; implicit-def: $sgpr23
	s_and_saveexec_b32 s26, s27
	s_cbranch_execz .LBB1244_513
; %bb.517:                              ;   in Loop: Header=BB1244_514 Depth=1
	v_add_co_u32 v8, vcc_lo, v8, 2
	s_add_u32 s0, s0, -1
	s_addc_u32 s1, s1, -1
	v_add_co_ci_u32_e32 v9, vcc_lo, 0, v9, vcc_lo
	v_add_co_u32 v10, vcc_lo, v10, 2
	s_cmp_eq_u64 s[0:1], 0
	v_add_co_ci_u32_e32 v11, vcc_lo, 0, v11, vcc_lo
	s_cselect_b32 s24, -1, 0
	s_and_b32 s23, s25, exec_lo
	s_and_not1_b32 s22, s22, exec_lo
	s_or_not1_b32 s24, s24, exec_lo
	s_branch .LBB1244_513
.LBB1244_518:
	s_set_inst_prefetch_distance 0x2
	s_or_b32 exec_lo, exec_lo, s20
	v_cndmask_b32_e64 v9, v7, v14, s21
	v_cndmask_b32_e64 v8, v6, v16, s21
.LBB1244_519:
	s_or_b32 exec_lo, exec_lo, s12
	s_delay_alu instid0(VALU_DEP_1)
	v_dual_mov_b32 v6, v8 :: v_dual_mov_b32 v7, v9
.LBB1244_520:
	s_or_b32 exec_lo, exec_lo, s19
.LBB1244_521:
	s_delay_alu instid0(SALU_CYCLE_1)
	s_or_b32 exec_lo, exec_lo, s17
	s_barrier
	buffer_gl0_inv
	s_barrier
	buffer_gl0_inv
	ds_store_2addr_b64 v35, v[0:1], v[2:3] offset1:1
	ds_store_2addr_b64 v35, v[4:5], v[6:7] offset0:2 offset1:3
	s_waitcnt lgkmcnt(0)
	s_barrier
	buffer_gl0_inv
	ds_load_b64 v[2:3], v34 offset:2048
	ds_load_b64 v[4:5], v31
	ds_load_b64 v[6:7], v32 offset:4096
	ds_load_b64 v[0:1], v33 offset:6144
	v_add_co_u32 v8, s0, s6, v22
	s_delay_alu instid0(VALU_DEP_1) | instskip(NEXT) | instid1(VALU_DEP_2)
	v_add_co_ci_u32_e64 v9, null, s7, 0, s0
	v_add_co_u32 v8, vcc_lo, 0x1000, v8
	s_delay_alu instid0(VALU_DEP_2)
	v_add_co_ci_u32_e32 v9, vcc_lo, 0, v9, vcc_lo
	s_mov_b32 s17, -1
	s_waitcnt lgkmcnt(3)
	global_store_b64 v22, v[2:3], s[6:7] offset:2048
	s_waitcnt lgkmcnt(2)
	global_store_b64 v22, v[4:5], s[6:7]
	s_waitcnt lgkmcnt(1)
	global_store_b64 v[8:9], v[6:7], off
	s_branch .LBB1244_878
.LBB1244_522:
	s_lshl_b64 s[0:1], s[2:3], 10
                                        ; implicit-def: $vgpr0_vgpr1_vgpr2_vgpr3_vgpr4_vgpr5_vgpr6_vgpr7
	s_delay_alu instid0(SALU_CYCLE_1) | instskip(NEXT) | instid1(SALU_CYCLE_1)
	s_sub_i32 s18, s18, s0
	v_cmp_gt_u32_e64 s0, s18, v12
	s_delay_alu instid0(VALU_DEP_1)
	s_and_saveexec_b32 s1, s0
	s_cbranch_execnz .LBB1244_534
; %bb.523:
	s_or_b32 exec_lo, exec_lo, s1
	v_cmp_gt_u32_e64 s1, s18, v30
	s_delay_alu instid0(VALU_DEP_1)
	s_and_saveexec_b32 s2, s1
	s_cbranch_execnz .LBB1244_535
.LBB1244_524:
	s_or_b32 exec_lo, exec_lo, s2
	v_cmp_gt_u32_e64 s2, s18, v29
	s_delay_alu instid0(VALU_DEP_1)
	s_and_saveexec_b32 s3, s2
	s_cbranch_execnz .LBB1244_536
.LBB1244_525:
	s_or_b32 exec_lo, exec_lo, s3
	v_cmp_gt_u32_e64 s17, s18, v28
	s_delay_alu instid0(VALU_DEP_1)
	s_and_saveexec_b32 s3, s17
	s_cbranch_execz .LBB1244_527
.LBB1244_526:
	v_lshlrev_b32_e32 v6, 3, v28
	global_load_b64 v[6:7], v6, s[14:15]
.LBB1244_527:
	s_or_b32 exec_lo, exec_lo, s3
	v_lshrrev_b32_e32 v8, 2, v30
	v_lshrrev_b32_e32 v9, 2, v29
	;; [unrolled: 1-line block ×3, first 2 shown]
	v_and_b32_e32 v11, 0xf8, v27
	v_add_lshl_u32 v17, v26, v23, 3
	v_and_b32_e32 v8, 0x1f8, v8
	v_and_b32_e32 v9, 0x1f8, v9
	;; [unrolled: 1-line block ×3, first 2 shown]
	v_cmp_lt_i64_e64 s14, s[8:9], 1
	s_mov_b32 s15, 0
	v_dual_mov_b32 v8, 0 :: v_dual_add_nc_u32 v13, v8, v22
	v_add_nc_u32_e32 v14, v11, v22
	v_add_nc_u32_e32 v15, v9, v22
	;; [unrolled: 1-line block ×3, first 2 shown]
	s_waitcnt vmcnt(0) lgkmcnt(0)
	ds_store_b64 v14, v[0:1]
	ds_store_b64 v13, v[2:3] offset:2048
	ds_store_b64 v15, v[4:5] offset:4096
	;; [unrolled: 1-line block ×3, first 2 shown]
	s_waitcnt lgkmcnt(0)
	s_waitcnt_vscnt null, 0x0
	s_barrier
	buffer_gl0_inv
	ds_load_2addr_b64 v[0:3], v17 offset1:1
	ds_load_2addr_b64 v[4:7], v17 offset0:2 offset1:3
	s_waitcnt lgkmcnt(0)
	s_barrier
	buffer_gl0_inv
	s_load_b32 s3, s[4:5], 0xc
	s_waitcnt lgkmcnt(0)
	s_lshr_b32 s3, s3, 16
	s_cmp_lt_u32 s13, s16
	v_mad_u32_u24 v9, v25, s3, v24
	s_cselect_b32 s12, 12, 18
	v_cmp_gt_i64_e64 s3, s[8:9], 0
	s_add_u32 s4, s4, s12
	s_addc_u32 s5, s5, 0
	global_load_u16 v8, v8, s[4:5]
	s_waitcnt vmcnt(0)
	v_mul_lo_u32 v8, v9, v8
	s_delay_alu instid0(VALU_DEP_1) | instskip(NEXT) | instid1(VALU_DEP_1)
	v_add_lshl_u32 v18, v8, v12, 2
	v_sub_nc_u32_e64 v19, s18, v18 clamp
	s_delay_alu instid0(VALU_DEP_1) | instskip(SKIP_1) | instid1(SALU_CYCLE_1)
	v_cmp_lt_u32_e32 vcc_lo, 1, v19
	s_and_b32 s12, vcc_lo, s3
	s_and_saveexec_b32 s13, s12
	s_cbranch_execz .LBB1244_540
; %bb.528:
	v_mul_lo_u32 v20, v3, s8
	v_mul_lo_u32 v21, v2, s9
	v_mad_u64_u32 v[8:9], null, v2, s8, 0
	v_mul_lo_u32 v24, v1, s8
	v_mul_lo_u32 v25, v0, s9
	v_mad_u64_u32 v[10:11], null, v0, s8, 0
	s_mov_b64 s[4:5], s[8:9]
                                        ; implicit-def: $sgpr16
                                        ; implicit-def: $sgpr19
                                        ; implicit-def: $sgpr20
                                        ; implicit-def: $sgpr21
                                        ; implicit-def: $sgpr22
	s_delay_alu instid0(VALU_DEP_4) | instskip(NEXT) | instid1(VALU_DEP_2)
	v_add3_u32 v9, v9, v21, v20
	v_add3_u32 v11, v11, v25, v24
	s_delay_alu instid0(VALU_DEP_2) | instskip(NEXT) | instid1(VALU_DEP_2)
	v_lshlrev_b64 v[8:9], 1, v[8:9]
	v_lshlrev_b64 v[10:11], 1, v[10:11]
	s_delay_alu instid0(VALU_DEP_2) | instskip(NEXT) | instid1(VALU_DEP_3)
	v_add_co_u32 v8, vcc_lo, s10, v8
	v_add_co_ci_u32_e32 v9, vcc_lo, s11, v9, vcc_lo
	s_delay_alu instid0(VALU_DEP_3) | instskip(NEXT) | instid1(VALU_DEP_4)
	v_add_co_u32 v10, vcc_lo, s10, v10
	v_add_co_ci_u32_e32 v11, vcc_lo, s11, v11, vcc_lo
	s_set_inst_prefetch_distance 0x1
	s_branch .LBB1244_530
	.p2align	6
.LBB1244_529:                           ;   in Loop: Header=BB1244_530 Depth=1
	s_or_b32 exec_lo, exec_lo, s23
	s_delay_alu instid0(SALU_CYCLE_1) | instskip(NEXT) | instid1(SALU_CYCLE_1)
	s_and_b32 s23, exec_lo, s24
	s_or_b32 s15, s23, s15
	s_and_not1_b32 s19, s19, exec_lo
	s_and_b32 s23, s20, exec_lo
	s_and_not1_b32 s16, s16, exec_lo
	s_and_b32 s24, s21, exec_lo
	s_or_b32 s19, s19, s23
	s_or_b32 s16, s16, s24
	s_and_not1_b32 exec_lo, exec_lo, s15
	s_cbranch_execz .LBB1244_537
.LBB1244_530:                           ; =>This Inner Loop Header: Depth=1
	global_load_u16 v20, v[8:9], off
	global_load_u16 v21, v[10:11], off
	s_mov_b32 s25, 0
	s_or_b32 s21, s21, exec_lo
	s_mov_b32 s23, exec_lo
	s_waitcnt vmcnt(0)
	v_cmpx_nlt_f16_e32 v20, v21
; %bb.531:                              ;   in Loop: Header=BB1244_530 Depth=1
	v_cmp_ngt_f16_e32 vcc_lo, v20, v21
	s_and_not1_b32 s21, s21, exec_lo
	s_and_b32 s22, vcc_lo, s22
	s_and_b32 s25, vcc_lo, exec_lo
	s_and_b32 s22, s22, exec_lo
	s_delay_alu instid0(SALU_CYCLE_1)
	s_or_b32 s21, s21, s22
; %bb.532:                              ;   in Loop: Header=BB1244_530 Depth=1
	s_or_b32 exec_lo, exec_lo, s23
	s_mov_b32 s24, -1
	s_or_b32 s20, s20, exec_lo
                                        ; implicit-def: $sgpr22
	s_and_saveexec_b32 s23, s25
	s_cbranch_execz .LBB1244_529
; %bb.533:                              ;   in Loop: Header=BB1244_530 Depth=1
	v_add_co_u32 v8, vcc_lo, v8, 2
	s_add_u32 s4, s4, -1
	s_addc_u32 s5, s5, -1
	v_add_co_ci_u32_e32 v9, vcc_lo, 0, v9, vcc_lo
	v_add_co_u32 v10, vcc_lo, v10, 2
	s_cmp_eq_u64 s[4:5], 0
	v_add_co_ci_u32_e32 v11, vcc_lo, 0, v11, vcc_lo
	s_cselect_b32 s24, -1, 0
	s_and_b32 s22, s21, exec_lo
	s_and_not1_b32 s20, s20, exec_lo
	s_or_not1_b32 s24, s24, exec_lo
	s_branch .LBB1244_529
.LBB1244_534:
	s_waitcnt lgkmcnt(0)
	global_load_b64 v[0:1], v22, s[14:15]
	s_or_b32 exec_lo, exec_lo, s1
	v_cmp_gt_u32_e64 s1, s18, v30
	s_delay_alu instid0(VALU_DEP_1)
	s_and_saveexec_b32 s2, s1
	s_cbranch_execz .LBB1244_524
.LBB1244_535:
	global_load_b64 v[2:3], v22, s[14:15] offset:2048
	s_or_b32 exec_lo, exec_lo, s2
	v_cmp_gt_u32_e64 s2, s18, v29
	s_delay_alu instid0(VALU_DEP_1)
	s_and_saveexec_b32 s3, s2
	s_cbranch_execz .LBB1244_525
.LBB1244_536:
	v_lshlrev_b32_e32 v4, 3, v29
	global_load_b64 v[4:5], v4, s[14:15]
	s_or_b32 exec_lo, exec_lo, s3
	v_cmp_gt_u32_e64 s17, s18, v28
	s_delay_alu instid0(VALU_DEP_1)
	s_and_saveexec_b32 s3, s17
	s_cbranch_execnz .LBB1244_526
	s_branch .LBB1244_527
.LBB1244_537:
	s_set_inst_prefetch_distance 0x2
	s_or_b32 exec_lo, exec_lo, s15
	s_and_saveexec_b32 s4, s19
	s_delay_alu instid0(SALU_CYCLE_1)
	s_xor_b32 s4, exec_lo, s4
; %bb.538:
	v_cndmask_b32_e64 v24, v0, v2, s16
	v_cndmask_b32_e64 v27, v3, v1, s16
	;; [unrolled: 1-line block ×4, first 2 shown]
	v_dual_mov_b32 v28, v4 :: v_dual_mov_b32 v29, v5
	v_dual_mov_b32 v30, v6 :: v_dual_mov_b32 v31, v7
	s_delay_alu instid0(VALU_DEP_3) | instskip(SKIP_1) | instid1(VALU_DEP_4)
	v_dual_mov_b32 v0, v24 :: v_dual_mov_b32 v1, v25
	v_dual_mov_b32 v2, v26 :: v_dual_mov_b32 v3, v27
	;; [unrolled: 1-line block ×3, first 2 shown]
	s_delay_alu instid0(VALU_DEP_4)
	v_dual_mov_b32 v6, v30 :: v_dual_mov_b32 v7, v31
; %bb.539:
	s_or_b32 exec_lo, exec_lo, s4
.LBB1244_540:
	s_delay_alu instid0(SALU_CYCLE_1) | instskip(SKIP_2) | instid1(SALU_CYCLE_1)
	s_or_b32 exec_lo, exec_lo, s13
	v_cmp_lt_u32_e32 vcc_lo, 3, v19
	s_xor_b32 s15, s14, -1
	s_and_b32 s13, vcc_lo, s15
	s_delay_alu instid0(SALU_CYCLE_1)
	s_and_saveexec_b32 s16, s13
	s_cbranch_execz .LBB1244_550
; %bb.541:
	v_mul_lo_u32 v20, v7, s8
	v_mul_lo_u32 v21, v6, s9
	v_mad_u64_u32 v[8:9], null, v6, s8, 0
	v_mul_lo_u32 v24, v5, s8
	v_mul_lo_u32 v25, v4, s9
	v_mad_u64_u32 v[10:11], null, v4, s8, 0
	s_mov_b32 s20, 0
	s_mov_b64 s[4:5], s[8:9]
	s_delay_alu instid0(VALU_DEP_4) | instskip(NEXT) | instid1(VALU_DEP_2)
	v_add3_u32 v9, v9, v21, v20
                                        ; implicit-def: $sgpr19
                                        ; implicit-def: $sgpr21
                                        ; implicit-def: $sgpr22
                                        ; implicit-def: $sgpr23
                                        ; implicit-def: $sgpr24
	v_add3_u32 v11, v11, v25, v24
	s_delay_alu instid0(VALU_DEP_2) | instskip(NEXT) | instid1(VALU_DEP_2)
	v_lshlrev_b64 v[8:9], 1, v[8:9]
	v_lshlrev_b64 v[10:11], 1, v[10:11]
	s_delay_alu instid0(VALU_DEP_2) | instskip(NEXT) | instid1(VALU_DEP_3)
	v_add_co_u32 v8, vcc_lo, s10, v8
	v_add_co_ci_u32_e32 v9, vcc_lo, s11, v9, vcc_lo
	s_delay_alu instid0(VALU_DEP_3) | instskip(NEXT) | instid1(VALU_DEP_4)
	v_add_co_u32 v10, vcc_lo, s10, v10
	v_add_co_ci_u32_e32 v11, vcc_lo, s11, v11, vcc_lo
	s_set_inst_prefetch_distance 0x1
	s_branch .LBB1244_543
	.p2align	6
.LBB1244_542:                           ;   in Loop: Header=BB1244_543 Depth=1
	s_or_b32 exec_lo, exec_lo, s25
	s_delay_alu instid0(SALU_CYCLE_1) | instskip(NEXT) | instid1(SALU_CYCLE_1)
	s_and_b32 s25, exec_lo, s26
	s_or_b32 s20, s25, s20
	s_and_not1_b32 s21, s21, exec_lo
	s_and_b32 s25, s22, exec_lo
	s_and_not1_b32 s19, s19, exec_lo
	s_and_b32 s26, s23, exec_lo
	s_or_b32 s21, s21, s25
	s_or_b32 s19, s19, s26
	s_and_not1_b32 exec_lo, exec_lo, s20
	s_cbranch_execz .LBB1244_547
.LBB1244_543:                           ; =>This Inner Loop Header: Depth=1
	global_load_u16 v20, v[8:9], off
	global_load_u16 v21, v[10:11], off
	s_or_b32 s23, s23, exec_lo
	s_mov_b32 s27, 0
	s_mov_b32 s25, exec_lo
	s_waitcnt vmcnt(0)
	v_cmpx_nlt_f16_e32 v20, v21
; %bb.544:                              ;   in Loop: Header=BB1244_543 Depth=1
	v_cmp_ngt_f16_e32 vcc_lo, v20, v21
	s_and_not1_b32 s23, s23, exec_lo
	s_and_b32 s24, vcc_lo, s24
	s_and_b32 s27, vcc_lo, exec_lo
	s_and_b32 s24, s24, exec_lo
	s_delay_alu instid0(SALU_CYCLE_1)
	s_or_b32 s23, s23, s24
; %bb.545:                              ;   in Loop: Header=BB1244_543 Depth=1
	s_or_b32 exec_lo, exec_lo, s25
	s_mov_b32 s26, -1
	s_or_b32 s22, s22, exec_lo
                                        ; implicit-def: $sgpr24
	s_and_saveexec_b32 s25, s27
	s_cbranch_execz .LBB1244_542
; %bb.546:                              ;   in Loop: Header=BB1244_543 Depth=1
	v_add_co_u32 v8, vcc_lo, v8, 2
	s_add_u32 s4, s4, -1
	s_addc_u32 s5, s5, -1
	v_add_co_ci_u32_e32 v9, vcc_lo, 0, v9, vcc_lo
	v_add_co_u32 v10, vcc_lo, v10, 2
	s_cmp_eq_u64 s[4:5], 0
	v_add_co_ci_u32_e32 v11, vcc_lo, 0, v11, vcc_lo
	s_cselect_b32 s26, -1, 0
	s_and_b32 s24, s23, exec_lo
	s_and_not1_b32 s22, s22, exec_lo
	s_or_not1_b32 s26, s26, exec_lo
	s_branch .LBB1244_542
.LBB1244_547:
	s_set_inst_prefetch_distance 0x2
	s_or_b32 exec_lo, exec_lo, s20
	s_and_saveexec_b32 s4, s21
	s_delay_alu instid0(SALU_CYCLE_1)
	s_xor_b32 s4, exec_lo, s4
; %bb.548:
	v_cndmask_b32_e64 v8, v6, v4, s19
	v_cndmask_b32_e64 v9, v7, v5, s19
	;; [unrolled: 1-line block ×4, first 2 shown]
	s_delay_alu instid0(VALU_DEP_3)
	v_dual_mov_b32 v6, v8 :: v_dual_mov_b32 v7, v9
; %bb.549:
	s_or_b32 exec_lo, exec_lo, s4
.LBB1244_550:
	s_delay_alu instid0(SALU_CYCLE_1) | instskip(SKIP_2) | instid1(SALU_CYCLE_1)
	s_or_b32 exec_lo, exec_lo, s16
	v_cmp_lt_u32_e32 vcc_lo, 2, v19
	s_and_b32 s16, vcc_lo, s15
	s_and_saveexec_b32 s4, s16
	s_delay_alu instid0(SALU_CYCLE_1)
	s_xor_b32 s19, exec_lo, s4
	s_cbranch_execnz .LBB1244_554
; %bb.551:
	s_or_b32 exec_lo, exec_lo, s19
	s_and_saveexec_b32 s19, s12
	s_cbranch_execnz .LBB1244_563
.LBB1244_552:
	s_or_b32 exec_lo, exec_lo, s19
	s_and_saveexec_b32 s12, s13
	s_cbranch_execnz .LBB1244_572
.LBB1244_553:
	s_or_b32 exec_lo, exec_lo, s12
	s_and_saveexec_b32 s12, s16
	s_cbranch_execnz .LBB1244_581
	s_branch .LBB1244_590
.LBB1244_554:
	v_mul_lo_u32 v19, v5, s8
	v_mul_lo_u32 v20, v4, s9
	v_mad_u64_u32 v[8:9], null, v4, s8, 0
	v_mul_lo_u32 v21, v3, s8
	v_mul_lo_u32 v24, v2, s9
	v_mad_u64_u32 v[10:11], null, v2, s8, 0
	s_mov_b32 s21, 0
	s_mov_b64 s[4:5], s[8:9]
	s_delay_alu instid0(VALU_DEP_4) | instskip(NEXT) | instid1(VALU_DEP_2)
	v_add3_u32 v9, v9, v20, v19
                                        ; implicit-def: $sgpr20
                                        ; implicit-def: $sgpr22
                                        ; implicit-def: $sgpr23
                                        ; implicit-def: $sgpr24
                                        ; implicit-def: $sgpr25
	v_add3_u32 v11, v11, v24, v21
	s_delay_alu instid0(VALU_DEP_2) | instskip(NEXT) | instid1(VALU_DEP_2)
	v_lshlrev_b64 v[8:9], 1, v[8:9]
	v_lshlrev_b64 v[10:11], 1, v[10:11]
	s_delay_alu instid0(VALU_DEP_2) | instskip(NEXT) | instid1(VALU_DEP_3)
	v_add_co_u32 v8, vcc_lo, s10, v8
	v_add_co_ci_u32_e32 v9, vcc_lo, s11, v9, vcc_lo
	s_delay_alu instid0(VALU_DEP_3) | instskip(NEXT) | instid1(VALU_DEP_4)
	v_add_co_u32 v10, vcc_lo, s10, v10
	v_add_co_ci_u32_e32 v11, vcc_lo, s11, v11, vcc_lo
	s_set_inst_prefetch_distance 0x1
	s_branch .LBB1244_556
	.p2align	6
.LBB1244_555:                           ;   in Loop: Header=BB1244_556 Depth=1
	s_or_b32 exec_lo, exec_lo, s26
	s_delay_alu instid0(SALU_CYCLE_1) | instskip(NEXT) | instid1(SALU_CYCLE_1)
	s_and_b32 s26, exec_lo, s27
	s_or_b32 s21, s26, s21
	s_and_not1_b32 s22, s22, exec_lo
	s_and_b32 s26, s23, exec_lo
	s_and_not1_b32 s20, s20, exec_lo
	s_and_b32 s27, s24, exec_lo
	s_or_b32 s22, s22, s26
	s_or_b32 s20, s20, s27
	s_and_not1_b32 exec_lo, exec_lo, s21
	s_cbranch_execz .LBB1244_560
.LBB1244_556:                           ; =>This Inner Loop Header: Depth=1
	global_load_u16 v19, v[8:9], off
	global_load_u16 v20, v[10:11], off
	s_or_b32 s24, s24, exec_lo
	s_mov_b32 s28, 0
	s_mov_b32 s26, exec_lo
	s_waitcnt vmcnt(0)
	v_cmpx_nlt_f16_e32 v19, v20
; %bb.557:                              ;   in Loop: Header=BB1244_556 Depth=1
	v_cmp_ngt_f16_e32 vcc_lo, v19, v20
	s_and_not1_b32 s24, s24, exec_lo
	s_and_b32 s25, vcc_lo, s25
	s_and_b32 s28, vcc_lo, exec_lo
	s_and_b32 s25, s25, exec_lo
	s_delay_alu instid0(SALU_CYCLE_1)
	s_or_b32 s24, s24, s25
; %bb.558:                              ;   in Loop: Header=BB1244_556 Depth=1
	s_or_b32 exec_lo, exec_lo, s26
	s_mov_b32 s27, -1
	s_or_b32 s23, s23, exec_lo
                                        ; implicit-def: $sgpr25
	s_and_saveexec_b32 s26, s28
	s_cbranch_execz .LBB1244_555
; %bb.559:                              ;   in Loop: Header=BB1244_556 Depth=1
	v_add_co_u32 v8, vcc_lo, v8, 2
	s_add_u32 s4, s4, -1
	s_addc_u32 s5, s5, -1
	v_add_co_ci_u32_e32 v9, vcc_lo, 0, v9, vcc_lo
	v_add_co_u32 v10, vcc_lo, v10, 2
	s_cmp_eq_u64 s[4:5], 0
	v_add_co_ci_u32_e32 v11, vcc_lo, 0, v11, vcc_lo
	s_cselect_b32 s27, -1, 0
	s_and_b32 s25, s24, exec_lo
	s_and_not1_b32 s23, s23, exec_lo
	s_or_not1_b32 s27, s27, exec_lo
	s_branch .LBB1244_555
.LBB1244_560:
	s_set_inst_prefetch_distance 0x2
	s_or_b32 exec_lo, exec_lo, s21
	s_and_saveexec_b32 s4, s22
	s_delay_alu instid0(SALU_CYCLE_1)
	s_xor_b32 s4, exec_lo, s4
; %bb.561:
	v_cndmask_b32_e64 v8, v4, v2, s20
	v_cndmask_b32_e64 v9, v5, v3, s20
	;; [unrolled: 1-line block ×4, first 2 shown]
	s_delay_alu instid0(VALU_DEP_3)
	v_dual_mov_b32 v4, v8 :: v_dual_mov_b32 v5, v9
; %bb.562:
	s_or_b32 exec_lo, exec_lo, s4
	s_delay_alu instid0(SALU_CYCLE_1)
	s_or_b32 exec_lo, exec_lo, s19
	s_and_saveexec_b32 s19, s12
	s_cbranch_execz .LBB1244_552
.LBB1244_563:
	v_mul_lo_u32 v19, v3, s8
	v_mul_lo_u32 v20, v2, s9
	v_mad_u64_u32 v[8:9], null, v2, s8, 0
	v_mul_lo_u32 v21, v1, s8
	v_mul_lo_u32 v24, v0, s9
	v_mad_u64_u32 v[10:11], null, v0, s8, 0
	s_mov_b32 s20, 0
	s_mov_b64 s[4:5], s[8:9]
	s_delay_alu instid0(VALU_DEP_4) | instskip(NEXT) | instid1(VALU_DEP_2)
	v_add3_u32 v9, v9, v20, v19
                                        ; implicit-def: $sgpr12
                                        ; implicit-def: $sgpr21
                                        ; implicit-def: $sgpr22
                                        ; implicit-def: $sgpr23
                                        ; implicit-def: $sgpr24
	v_add3_u32 v11, v11, v24, v21
	s_delay_alu instid0(VALU_DEP_2) | instskip(NEXT) | instid1(VALU_DEP_2)
	v_lshlrev_b64 v[8:9], 1, v[8:9]
	v_lshlrev_b64 v[10:11], 1, v[10:11]
	s_delay_alu instid0(VALU_DEP_2) | instskip(NEXT) | instid1(VALU_DEP_3)
	v_add_co_u32 v8, vcc_lo, s10, v8
	v_add_co_ci_u32_e32 v9, vcc_lo, s11, v9, vcc_lo
	s_delay_alu instid0(VALU_DEP_3) | instskip(NEXT) | instid1(VALU_DEP_4)
	v_add_co_u32 v10, vcc_lo, s10, v10
	v_add_co_ci_u32_e32 v11, vcc_lo, s11, v11, vcc_lo
	s_set_inst_prefetch_distance 0x1
	s_branch .LBB1244_565
	.p2align	6
.LBB1244_564:                           ;   in Loop: Header=BB1244_565 Depth=1
	s_or_b32 exec_lo, exec_lo, s25
	s_delay_alu instid0(SALU_CYCLE_1) | instskip(NEXT) | instid1(SALU_CYCLE_1)
	s_and_b32 s25, exec_lo, s26
	s_or_b32 s20, s25, s20
	s_and_not1_b32 s21, s21, exec_lo
	s_and_b32 s25, s22, exec_lo
	s_and_not1_b32 s12, s12, exec_lo
	s_and_b32 s26, s23, exec_lo
	s_or_b32 s21, s21, s25
	s_or_b32 s12, s12, s26
	s_and_not1_b32 exec_lo, exec_lo, s20
	s_cbranch_execz .LBB1244_569
.LBB1244_565:                           ; =>This Inner Loop Header: Depth=1
	global_load_u16 v19, v[8:9], off
	global_load_u16 v20, v[10:11], off
	s_or_b32 s23, s23, exec_lo
	s_mov_b32 s27, 0
	s_mov_b32 s25, exec_lo
	s_waitcnt vmcnt(0)
	v_cmpx_nlt_f16_e32 v19, v20
; %bb.566:                              ;   in Loop: Header=BB1244_565 Depth=1
	v_cmp_ngt_f16_e32 vcc_lo, v19, v20
	s_and_not1_b32 s23, s23, exec_lo
	s_and_b32 s24, vcc_lo, s24
	s_and_b32 s27, vcc_lo, exec_lo
	s_and_b32 s24, s24, exec_lo
	s_delay_alu instid0(SALU_CYCLE_1)
	s_or_b32 s23, s23, s24
; %bb.567:                              ;   in Loop: Header=BB1244_565 Depth=1
	s_or_b32 exec_lo, exec_lo, s25
	s_mov_b32 s26, -1
	s_or_b32 s22, s22, exec_lo
                                        ; implicit-def: $sgpr24
	s_and_saveexec_b32 s25, s27
	s_cbranch_execz .LBB1244_564
; %bb.568:                              ;   in Loop: Header=BB1244_565 Depth=1
	v_add_co_u32 v8, vcc_lo, v8, 2
	s_add_u32 s4, s4, -1
	s_addc_u32 s5, s5, -1
	v_add_co_ci_u32_e32 v9, vcc_lo, 0, v9, vcc_lo
	v_add_co_u32 v10, vcc_lo, v10, 2
	s_cmp_eq_u64 s[4:5], 0
	v_add_co_ci_u32_e32 v11, vcc_lo, 0, v11, vcc_lo
	s_cselect_b32 s26, -1, 0
	s_and_b32 s24, s23, exec_lo
	s_and_not1_b32 s22, s22, exec_lo
	s_or_not1_b32 s26, s26, exec_lo
	s_branch .LBB1244_564
.LBB1244_569:
	s_set_inst_prefetch_distance 0x2
	s_or_b32 exec_lo, exec_lo, s20
	s_and_saveexec_b32 s4, s21
	s_delay_alu instid0(SALU_CYCLE_1)
	s_xor_b32 s4, exec_lo, s4
; %bb.570:
	v_cndmask_b32_e64 v24, v0, v2, s12
	v_cndmask_b32_e64 v27, v3, v1, s12
	;; [unrolled: 1-line block ×4, first 2 shown]
	v_dual_mov_b32 v28, v4 :: v_dual_mov_b32 v29, v5
	v_dual_mov_b32 v30, v6 :: v_dual_mov_b32 v31, v7
	s_delay_alu instid0(VALU_DEP_3) | instskip(SKIP_1) | instid1(VALU_DEP_4)
	v_dual_mov_b32 v0, v24 :: v_dual_mov_b32 v1, v25
	v_dual_mov_b32 v2, v26 :: v_dual_mov_b32 v3, v27
	;; [unrolled: 1-line block ×3, first 2 shown]
	s_delay_alu instid0(VALU_DEP_4)
	v_dual_mov_b32 v6, v30 :: v_dual_mov_b32 v7, v31
; %bb.571:
	s_or_b32 exec_lo, exec_lo, s4
	s_delay_alu instid0(SALU_CYCLE_1)
	s_or_b32 exec_lo, exec_lo, s19
	s_and_saveexec_b32 s12, s13
	s_cbranch_execz .LBB1244_553
.LBB1244_572:
	v_mul_lo_u32 v19, v7, s8
	v_mul_lo_u32 v20, v6, s9
	v_mad_u64_u32 v[8:9], null, v6, s8, 0
	v_mul_lo_u32 v21, v5, s8
	v_mul_lo_u32 v24, v4, s9
	v_mad_u64_u32 v[10:11], null, v4, s8, 0
	s_mov_b32 s19, 0
	s_mov_b64 s[4:5], s[8:9]
	s_delay_alu instid0(VALU_DEP_4) | instskip(NEXT) | instid1(VALU_DEP_2)
	v_add3_u32 v9, v9, v20, v19
                                        ; implicit-def: $sgpr13
                                        ; implicit-def: $sgpr20
                                        ; implicit-def: $sgpr21
                                        ; implicit-def: $sgpr22
                                        ; implicit-def: $sgpr23
	v_add3_u32 v11, v11, v24, v21
	s_delay_alu instid0(VALU_DEP_2) | instskip(NEXT) | instid1(VALU_DEP_2)
	v_lshlrev_b64 v[8:9], 1, v[8:9]
	v_lshlrev_b64 v[10:11], 1, v[10:11]
	s_delay_alu instid0(VALU_DEP_2) | instskip(NEXT) | instid1(VALU_DEP_3)
	v_add_co_u32 v8, vcc_lo, s10, v8
	v_add_co_ci_u32_e32 v9, vcc_lo, s11, v9, vcc_lo
	s_delay_alu instid0(VALU_DEP_3) | instskip(NEXT) | instid1(VALU_DEP_4)
	v_add_co_u32 v10, vcc_lo, s10, v10
	v_add_co_ci_u32_e32 v11, vcc_lo, s11, v11, vcc_lo
	s_set_inst_prefetch_distance 0x1
	s_branch .LBB1244_574
	.p2align	6
.LBB1244_573:                           ;   in Loop: Header=BB1244_574 Depth=1
	s_or_b32 exec_lo, exec_lo, s24
	s_delay_alu instid0(SALU_CYCLE_1) | instskip(NEXT) | instid1(SALU_CYCLE_1)
	s_and_b32 s24, exec_lo, s25
	s_or_b32 s19, s24, s19
	s_and_not1_b32 s20, s20, exec_lo
	s_and_b32 s24, s21, exec_lo
	s_and_not1_b32 s13, s13, exec_lo
	s_and_b32 s25, s22, exec_lo
	s_or_b32 s20, s20, s24
	s_or_b32 s13, s13, s25
	s_and_not1_b32 exec_lo, exec_lo, s19
	s_cbranch_execz .LBB1244_578
.LBB1244_574:                           ; =>This Inner Loop Header: Depth=1
	global_load_u16 v19, v[8:9], off
	global_load_u16 v20, v[10:11], off
	s_or_b32 s22, s22, exec_lo
	s_mov_b32 s26, 0
	s_mov_b32 s24, exec_lo
	s_waitcnt vmcnt(0)
	v_cmpx_nlt_f16_e32 v19, v20
; %bb.575:                              ;   in Loop: Header=BB1244_574 Depth=1
	v_cmp_ngt_f16_e32 vcc_lo, v19, v20
	s_and_not1_b32 s22, s22, exec_lo
	s_and_b32 s23, vcc_lo, s23
	s_and_b32 s26, vcc_lo, exec_lo
	s_and_b32 s23, s23, exec_lo
	s_delay_alu instid0(SALU_CYCLE_1)
	s_or_b32 s22, s22, s23
; %bb.576:                              ;   in Loop: Header=BB1244_574 Depth=1
	s_or_b32 exec_lo, exec_lo, s24
	s_mov_b32 s25, -1
	s_or_b32 s21, s21, exec_lo
                                        ; implicit-def: $sgpr23
	s_and_saveexec_b32 s24, s26
	s_cbranch_execz .LBB1244_573
; %bb.577:                              ;   in Loop: Header=BB1244_574 Depth=1
	v_add_co_u32 v8, vcc_lo, v8, 2
	s_add_u32 s4, s4, -1
	s_addc_u32 s5, s5, -1
	v_add_co_ci_u32_e32 v9, vcc_lo, 0, v9, vcc_lo
	v_add_co_u32 v10, vcc_lo, v10, 2
	s_cmp_eq_u64 s[4:5], 0
	v_add_co_ci_u32_e32 v11, vcc_lo, 0, v11, vcc_lo
	s_cselect_b32 s25, -1, 0
	s_and_b32 s23, s22, exec_lo
	s_and_not1_b32 s21, s21, exec_lo
	s_or_not1_b32 s25, s25, exec_lo
	s_branch .LBB1244_573
.LBB1244_578:
	s_set_inst_prefetch_distance 0x2
	s_or_b32 exec_lo, exec_lo, s19
	s_and_saveexec_b32 s4, s20
	s_delay_alu instid0(SALU_CYCLE_1)
	s_xor_b32 s4, exec_lo, s4
; %bb.579:
	v_cndmask_b32_e64 v8, v6, v4, s13
	v_cndmask_b32_e64 v9, v7, v5, s13
	;; [unrolled: 1-line block ×4, first 2 shown]
	s_delay_alu instid0(VALU_DEP_3)
	v_dual_mov_b32 v6, v8 :: v_dual_mov_b32 v7, v9
; %bb.580:
	s_or_b32 exec_lo, exec_lo, s4
	s_delay_alu instid0(SALU_CYCLE_1)
	s_or_b32 exec_lo, exec_lo, s12
	s_and_saveexec_b32 s12, s16
	s_cbranch_execz .LBB1244_590
.LBB1244_581:
	v_mul_lo_u32 v19, v5, s8
	v_mul_lo_u32 v20, v4, s9
	v_mad_u64_u32 v[8:9], null, v4, s8, 0
	v_mul_lo_u32 v21, v3, s8
	v_mul_lo_u32 v24, v2, s9
	v_mad_u64_u32 v[10:11], null, v2, s8, 0
	s_mov_b32 s16, 0
	s_mov_b64 s[4:5], s[8:9]
	s_delay_alu instid0(VALU_DEP_4) | instskip(NEXT) | instid1(VALU_DEP_2)
	v_add3_u32 v9, v9, v20, v19
                                        ; implicit-def: $sgpr13
                                        ; implicit-def: $sgpr19
                                        ; implicit-def: $sgpr20
                                        ; implicit-def: $sgpr21
                                        ; implicit-def: $sgpr22
	v_add3_u32 v11, v11, v24, v21
	s_delay_alu instid0(VALU_DEP_2) | instskip(NEXT) | instid1(VALU_DEP_2)
	v_lshlrev_b64 v[8:9], 1, v[8:9]
	v_lshlrev_b64 v[10:11], 1, v[10:11]
	s_delay_alu instid0(VALU_DEP_2) | instskip(NEXT) | instid1(VALU_DEP_3)
	v_add_co_u32 v8, vcc_lo, s10, v8
	v_add_co_ci_u32_e32 v9, vcc_lo, s11, v9, vcc_lo
	s_delay_alu instid0(VALU_DEP_3) | instskip(NEXT) | instid1(VALU_DEP_4)
	v_add_co_u32 v10, vcc_lo, s10, v10
	v_add_co_ci_u32_e32 v11, vcc_lo, s11, v11, vcc_lo
	s_set_inst_prefetch_distance 0x1
	s_branch .LBB1244_583
	.p2align	6
.LBB1244_582:                           ;   in Loop: Header=BB1244_583 Depth=1
	s_or_b32 exec_lo, exec_lo, s23
	s_delay_alu instid0(SALU_CYCLE_1) | instskip(NEXT) | instid1(SALU_CYCLE_1)
	s_and_b32 s23, exec_lo, s24
	s_or_b32 s16, s23, s16
	s_and_not1_b32 s19, s19, exec_lo
	s_and_b32 s23, s20, exec_lo
	s_and_not1_b32 s13, s13, exec_lo
	s_and_b32 s24, s21, exec_lo
	s_or_b32 s19, s19, s23
	s_or_b32 s13, s13, s24
	s_and_not1_b32 exec_lo, exec_lo, s16
	s_cbranch_execz .LBB1244_587
.LBB1244_583:                           ; =>This Inner Loop Header: Depth=1
	global_load_u16 v19, v[8:9], off
	global_load_u16 v20, v[10:11], off
	s_or_b32 s21, s21, exec_lo
	s_mov_b32 s25, 0
	s_mov_b32 s23, exec_lo
	s_waitcnt vmcnt(0)
	v_cmpx_nlt_f16_e32 v19, v20
; %bb.584:                              ;   in Loop: Header=BB1244_583 Depth=1
	v_cmp_ngt_f16_e32 vcc_lo, v19, v20
	s_and_not1_b32 s21, s21, exec_lo
	s_and_b32 s22, vcc_lo, s22
	s_and_b32 s25, vcc_lo, exec_lo
	s_and_b32 s22, s22, exec_lo
	s_delay_alu instid0(SALU_CYCLE_1)
	s_or_b32 s21, s21, s22
; %bb.585:                              ;   in Loop: Header=BB1244_583 Depth=1
	s_or_b32 exec_lo, exec_lo, s23
	s_mov_b32 s24, -1
	s_or_b32 s20, s20, exec_lo
                                        ; implicit-def: $sgpr22
	s_and_saveexec_b32 s23, s25
	s_cbranch_execz .LBB1244_582
; %bb.586:                              ;   in Loop: Header=BB1244_583 Depth=1
	v_add_co_u32 v8, vcc_lo, v8, 2
	s_add_u32 s4, s4, -1
	s_addc_u32 s5, s5, -1
	v_add_co_ci_u32_e32 v9, vcc_lo, 0, v9, vcc_lo
	v_add_co_u32 v10, vcc_lo, v10, 2
	s_cmp_eq_u64 s[4:5], 0
	v_add_co_ci_u32_e32 v11, vcc_lo, 0, v11, vcc_lo
	s_cselect_b32 s24, -1, 0
	s_and_b32 s22, s21, exec_lo
	s_and_not1_b32 s20, s20, exec_lo
	s_or_not1_b32 s24, s24, exec_lo
	s_branch .LBB1244_582
.LBB1244_587:
	s_set_inst_prefetch_distance 0x2
	s_or_b32 exec_lo, exec_lo, s16
	s_and_saveexec_b32 s4, s19
	s_delay_alu instid0(SALU_CYCLE_1)
	s_xor_b32 s4, exec_lo, s4
; %bb.588:
	v_cndmask_b32_e64 v8, v4, v2, s13
	v_cndmask_b32_e64 v9, v5, v3, s13
	;; [unrolled: 1-line block ×4, first 2 shown]
	s_delay_alu instid0(VALU_DEP_3)
	v_dual_mov_b32 v4, v8 :: v_dual_mov_b32 v5, v9
; %bb.589:
	s_or_b32 exec_lo, exec_lo, s4
.LBB1244_590:
	s_delay_alu instid0(SALU_CYCLE_1)
	s_or_b32 exec_lo, exec_lo, s12
	v_mbcnt_lo_u32_b32 v8, -1, 0
	v_and_b32_e32 v9, 0xffffff80, v18
	v_cndmask_b32_e64 v18, 0, 1, s3
	s_mov_b32 s16, 0
	s_mov_b32 s19, exec_lo
	v_lshlrev_b32_e32 v21, 2, v8
	v_sub_nc_u32_e64 v20, s18, v9 clamp
	v_lshlrev_b32_e32 v19, 3, v9
	s_delay_alu instid0(VALU_DEP_3) | instskip(SKIP_2) | instid1(VALU_DEP_4)
	v_or_b32_e32 v10, 4, v21
	v_and_b32_e32 v11, 4, v21
	v_and_b32_e32 v29, 0x78, v21
	v_lshl_or_b32 v24, v8, 5, v19
	ds_store_b128 v24, v[0:3]
	ds_store_b128 v24, v[4:7] offset:16
	v_min_u32_e32 v25, v20, v10
	v_min_u32_e32 v30, v20, v11
	v_lshl_or_b32 v28, v29, 3, v19
	; wave barrier
	s_delay_alu instid0(VALU_DEP_3) | instskip(NEXT) | instid1(VALU_DEP_1)
	v_add_nc_u32_e32 v10, 4, v25
	v_min_u32_e32 v26, v20, v10
	v_sub_nc_u32_e32 v10, v25, v29
	s_delay_alu instid0(VALU_DEP_2) | instskip(NEXT) | instid1(VALU_DEP_2)
	v_sub_nc_u32_e32 v11, v26, v25
	v_min_u32_e32 v31, v30, v10
	s_delay_alu instid0(VALU_DEP_2) | instskip(NEXT) | instid1(VALU_DEP_1)
	v_sub_nc_u32_e64 v27, v30, v11 clamp
	v_cmpx_lt_u32_e64 v27, v31
	s_cbranch_execz .LBB1244_602
; %bb.591:
	v_lshlrev_b32_e32 v8, 3, v25
	v_lshlrev_b32_e32 v9, 3, v30
	s_lshl_b64 s[4:5], s[8:9], 1
	s_delay_alu instid0(VALU_DEP_1)
	v_add3_u32 v32, v19, v8, v9
	s_branch .LBB1244_594
.LBB1244_592:                           ;   in Loop: Header=BB1244_594 Depth=1
	s_set_inst_prefetch_distance 0x2
	s_or_b32 exec_lo, exec_lo, s21
.LBB1244_593:                           ;   in Loop: Header=BB1244_594 Depth=1
	s_delay_alu instid0(VALU_DEP_1) | instskip(SKIP_1) | instid1(VALU_DEP_2)
	v_add_nc_u32_e32 v8, 1, v33
	v_cndmask_b32_e64 v31, v31, v33, s20
	v_cndmask_b32_e64 v27, v8, v27, s20
	s_delay_alu instid0(VALU_DEP_1) | instskip(SKIP_1) | instid1(SALU_CYCLE_1)
	v_cmp_ge_u32_e32 vcc_lo, v27, v31
	s_or_b32 s16, vcc_lo, s16
	s_and_not1_b32 exec_lo, exec_lo, s16
	s_cbranch_execz .LBB1244_601
.LBB1244_594:                           ; =>This Loop Header: Depth=1
                                        ;     Child Loop BB1244_597 Depth 2
	v_add_nc_u32_e32 v8, v31, v27
	s_and_not1_b32 vcc_lo, exec_lo, s3
	s_mov_b32 s20, 0
	s_delay_alu instid0(VALU_DEP_1)
	v_lshrrev_b32_e32 v33, 1, v8
	s_cbranch_vccnz .LBB1244_593
; %bb.595:                              ;   in Loop: Header=BB1244_594 Depth=1
	s_delay_alu instid0(VALU_DEP_1) | instskip(SKIP_3) | instid1(VALU_DEP_2)
	v_not_b32_e32 v8, v33
	v_lshl_add_u32 v9, v33, 3, v28
	s_mov_b32 s21, 0
	s_mov_b64 s[12:13], s[8:9]
                                        ; implicit-def: $sgpr20
                                        ; implicit-def: $sgpr22
                                        ; implicit-def: $sgpr23
	v_lshl_add_u32 v8, v8, 3, v32
	ds_load_b64 v[10:11], v8
	ds_load_b64 v[34:35], v9
	s_waitcnt lgkmcnt(1)
	v_mul_lo_u32 v36, s4, v11
	v_mul_lo_u32 v37, s5, v10
	v_mad_u64_u32 v[8:9], null, s4, v10, s[10:11]
	s_waitcnt lgkmcnt(0)
	v_mul_lo_u32 v35, s4, v35
	v_mul_lo_u32 v38, s5, v34
	v_mad_u64_u32 v[10:11], null, s4, v34, s[10:11]
	s_delay_alu instid0(VALU_DEP_4) | instskip(NEXT) | instid1(VALU_DEP_2)
	v_add3_u32 v9, v37, v9, v36
	v_add3_u32 v11, v38, v11, v35
	s_set_inst_prefetch_distance 0x1
	s_branch .LBB1244_597
	.p2align	6
.LBB1244_596:                           ;   in Loop: Header=BB1244_597 Depth=2
	s_or_b32 exec_lo, exec_lo, s26
	s_delay_alu instid0(SALU_CYCLE_1) | instskip(NEXT) | instid1(SALU_CYCLE_1)
	s_and_b32 s24, exec_lo, s25
	s_or_b32 s21, s24, s21
	s_and_not1_b32 s20, s20, exec_lo
	s_and_b32 s24, s22, exec_lo
	s_delay_alu instid0(SALU_CYCLE_1)
	s_or_b32 s20, s20, s24
	s_and_not1_b32 exec_lo, exec_lo, s21
	s_cbranch_execz .LBB1244_592
.LBB1244_597:                           ;   Parent Loop BB1244_594 Depth=1
                                        ; =>  This Inner Loop Header: Depth=2
	global_load_u16 v34, v[8:9], off
	global_load_u16 v35, v[10:11], off
	s_mov_b32 s25, -1
	s_mov_b32 s27, 0
	s_mov_b32 s24, -1
	s_mov_b32 s26, exec_lo
	s_waitcnt vmcnt(0)
	v_cmpx_nlt_f16_e32 v34, v35
; %bb.598:                              ;   in Loop: Header=BB1244_597 Depth=2
	v_cmp_ngt_f16_e32 vcc_lo, v34, v35
	s_and_b32 s23, vcc_lo, s23
	s_and_b32 s27, vcc_lo, exec_lo
	s_or_not1_b32 s24, s23, exec_lo
; %bb.599:                              ;   in Loop: Header=BB1244_597 Depth=2
	s_or_b32 exec_lo, exec_lo, s26
	s_delay_alu instid0(SALU_CYCLE_1) | instskip(SKIP_1) | instid1(SALU_CYCLE_1)
	s_and_not1_b32 s22, s22, exec_lo
	s_and_b32 s23, s24, exec_lo
	s_or_b32 s22, s22, s23
                                        ; implicit-def: $sgpr23
	s_and_saveexec_b32 s26, s27
	s_cbranch_execz .LBB1244_596
; %bb.600:                              ;   in Loop: Header=BB1244_597 Depth=2
	v_add_co_u32 v8, vcc_lo, v8, 2
	s_add_u32 s12, s12, -1
	s_addc_u32 s13, s13, -1
	v_add_co_ci_u32_e32 v9, vcc_lo, 0, v9, vcc_lo
	v_add_co_u32 v10, vcc_lo, v10, 2
	s_cmp_eq_u64 s[12:13], 0
	v_add_co_ci_u32_e32 v11, vcc_lo, 0, v11, vcc_lo
	s_cselect_b32 s25, -1, 0
	s_and_not1_b32 s22, s22, exec_lo
	s_and_b32 s23, s24, exec_lo
	s_or_not1_b32 s25, s25, exec_lo
	s_branch .LBB1244_596
.LBB1244_601:
	s_or_b32 exec_lo, exec_lo, s16
.LBB1244_602:
	s_delay_alu instid0(SALU_CYCLE_1) | instskip(SKIP_2) | instid1(VALU_DEP_2)
	s_or_b32 exec_lo, exec_lo, s19
	v_add_nc_u32_e32 v9, v25, v30
	v_add_nc_u32_e32 v8, v27, v29
	v_sub_nc_u32_e32 v9, v9, v27
	s_delay_alu instid0(VALU_DEP_2) | instskip(NEXT) | instid1(VALU_DEP_2)
	v_cmp_le_u32_e32 vcc_lo, v8, v25
	v_cmp_le_u32_e64 s3, v9, v26
	s_delay_alu instid0(VALU_DEP_1) | instskip(NEXT) | instid1(SALU_CYCLE_1)
	s_or_b32 s3, vcc_lo, s3
	s_and_saveexec_b32 s12, s3
	s_cbranch_execz .LBB1244_646
; %bb.603:
	v_cmp_ge_u32_e32 vcc_lo, v8, v25
	s_mov_b32 s4, exec_lo
                                        ; implicit-def: $vgpr0_vgpr1
	v_cmpx_lt_u32_e64 v8, v25
	s_cbranch_execz .LBB1244_605
; %bb.604:
	v_lshl_add_u32 v0, v27, 3, v28
	ds_load_b64 v[0:1], v0
.LBB1244_605:
	s_or_b32 exec_lo, exec_lo, s4
	v_cmp_ge_u32_e64 s3, v9, v26
	s_mov_b32 s5, exec_lo
                                        ; implicit-def: $vgpr2_vgpr3
	v_cmpx_lt_u32_e64 v9, v26
	s_cbranch_execz .LBB1244_607
; %bb.606:
	v_lshl_add_u32 v2, v9, 3, v19
	ds_load_b64 v[2:3], v2
.LBB1244_607:
	s_or_b32 exec_lo, exec_lo, s5
	s_or_b32 s4, vcc_lo, s3
	s_xor_b32 s5, vcc_lo, -1
	s_or_b32 s4, s4, s14
	s_or_b32 s3, s3, s5
	s_xor_b32 s4, s4, -1
	s_delay_alu instid0(SALU_CYCLE_1)
	s_and_saveexec_b32 s13, s4
	s_cbranch_execz .LBB1244_615
; %bb.608:
	s_waitcnt lgkmcnt(0)
	v_mul_lo_u32 v10, v3, s8
	v_mul_lo_u32 v11, v2, s9
	v_mad_u64_u32 v[4:5], null, v2, s8, 0
	v_mul_lo_u32 v27, v1, s8
	v_mul_lo_u32 v28, v0, s9
	v_mad_u64_u32 v[6:7], null, v0, s8, 0
	s_mov_b32 s16, 0
	s_mov_b64 s[4:5], s[8:9]
	s_delay_alu instid0(VALU_DEP_4) | instskip(NEXT) | instid1(VALU_DEP_2)
	v_add3_u32 v5, v5, v11, v10
                                        ; implicit-def: $sgpr19
                                        ; implicit-def: $sgpr20
                                        ; implicit-def: $sgpr21
	v_add3_u32 v7, v7, v28, v27
	s_delay_alu instid0(VALU_DEP_2) | instskip(NEXT) | instid1(VALU_DEP_2)
	v_lshlrev_b64 v[4:5], 1, v[4:5]
	v_lshlrev_b64 v[6:7], 1, v[6:7]
	s_delay_alu instid0(VALU_DEP_2) | instskip(NEXT) | instid1(VALU_DEP_3)
	v_add_co_u32 v4, vcc_lo, s10, v4
	v_add_co_ci_u32_e32 v5, vcc_lo, s11, v5, vcc_lo
	s_delay_alu instid0(VALU_DEP_3) | instskip(NEXT) | instid1(VALU_DEP_4)
	v_add_co_u32 v6, vcc_lo, s10, v6
	v_add_co_ci_u32_e32 v7, vcc_lo, s11, v7, vcc_lo
	s_set_inst_prefetch_distance 0x1
	s_branch .LBB1244_610
	.p2align	6
.LBB1244_609:                           ;   in Loop: Header=BB1244_610 Depth=1
	s_or_b32 exec_lo, exec_lo, s24
	s_delay_alu instid0(SALU_CYCLE_1) | instskip(NEXT) | instid1(SALU_CYCLE_1)
	s_and_b32 s22, exec_lo, s22
	s_or_b32 s16, s22, s16
	s_and_not1_b32 s19, s19, exec_lo
	s_and_b32 s22, s20, exec_lo
	s_delay_alu instid0(SALU_CYCLE_1)
	s_or_b32 s19, s19, s22
	s_and_not1_b32 exec_lo, exec_lo, s16
	s_cbranch_execz .LBB1244_614
.LBB1244_610:                           ; =>This Inner Loop Header: Depth=1
	global_load_u16 v10, v[4:5], off
	global_load_u16 v11, v[6:7], off
	s_mov_b32 s22, -1
	s_mov_b32 s25, 0
	s_mov_b32 s23, -1
	s_mov_b32 s24, exec_lo
	s_waitcnt vmcnt(0)
	v_cmpx_nlt_f16_e32 v10, v11
; %bb.611:                              ;   in Loop: Header=BB1244_610 Depth=1
	v_cmp_ngt_f16_e32 vcc_lo, v10, v11
	s_and_b32 s21, vcc_lo, s21
	s_and_b32 s25, vcc_lo, exec_lo
	s_or_not1_b32 s23, s21, exec_lo
; %bb.612:                              ;   in Loop: Header=BB1244_610 Depth=1
	s_or_b32 exec_lo, exec_lo, s24
	s_delay_alu instid0(SALU_CYCLE_1) | instskip(SKIP_1) | instid1(SALU_CYCLE_1)
	s_and_not1_b32 s20, s20, exec_lo
	s_and_b32 s21, s23, exec_lo
	s_or_b32 s20, s20, s21
                                        ; implicit-def: $sgpr21
	s_and_saveexec_b32 s24, s25
	s_cbranch_execz .LBB1244_609
; %bb.613:                              ;   in Loop: Header=BB1244_610 Depth=1
	v_add_co_u32 v4, vcc_lo, v4, 2
	s_add_u32 s4, s4, -1
	s_addc_u32 s5, s5, -1
	v_add_co_ci_u32_e32 v5, vcc_lo, 0, v5, vcc_lo
	v_add_co_u32 v6, vcc_lo, v6, 2
	s_cmp_eq_u64 s[4:5], 0
	v_add_co_ci_u32_e32 v7, vcc_lo, 0, v7, vcc_lo
	s_cselect_b32 s22, -1, 0
	s_and_b32 s21, s23, exec_lo
	s_and_not1_b32 s20, s20, exec_lo
	s_or_not1_b32 s22, s22, exec_lo
	s_branch .LBB1244_609
.LBB1244_614:
	s_set_inst_prefetch_distance 0x2
	s_or_b32 exec_lo, exec_lo, s16
	s_xor_b32 s4, s19, -1
	s_and_not1_b32 s3, s3, exec_lo
	s_and_b32 s4, s4, exec_lo
	s_delay_alu instid0(SALU_CYCLE_1)
	s_or_b32 s3, s3, s4
.LBB1244_615:
	s_or_b32 exec_lo, exec_lo, s13
	v_cndmask_b32_e64 v4, v9, v8, s3
	v_cndmask_b32_e64 v5, v26, v25, s3
	s_mov_b32 s13, -1
	s_mov_b32 s16, -1
	s_mov_b32 s19, exec_lo
	v_add_nc_u32_e32 v6, 1, v4
	v_add_nc_u32_e32 v4, -1, v5
	s_delay_alu instid0(VALU_DEP_2) | instskip(NEXT) | instid1(VALU_DEP_2)
	v_cndmask_b32_e64 v9, v6, v9, s3
	v_min_u32_e32 v4, v6, v4
	v_cndmask_b32_e64 v8, v8, v6, s3
	s_delay_alu instid0(VALU_DEP_2)
	v_lshl_add_u32 v4, v4, 3, v19
	ds_load_b64 v[4:5], v4
	s_waitcnt lgkmcnt(0)
	v_cndmask_b32_e64 v10, v5, v3, s3
	v_cndmask_b32_e64 v11, v4, v2, s3
	;; [unrolled: 1-line block ×4, first 2 shown]
	v_cmpx_lt_u32_e64 v9, v26
	s_cbranch_execz .LBB1244_625
; %bb.616:
	v_cmp_lt_u32_e64 s16, v8, v25
	s_delay_alu instid0(VALU_DEP_1) | instskip(NEXT) | instid1(SALU_CYCLE_1)
	s_and_b32 s4, s16, s15
	s_and_saveexec_b32 s20, s4
	s_cbranch_execz .LBB1244_624
; %bb.617:
	v_mul_lo_u32 v29, v10, s8
	v_mul_lo_u32 v30, v11, s9
	v_mad_u64_u32 v[4:5], null, v11, s8, 0
	v_mul_lo_u32 v31, v27, s8
	v_mul_lo_u32 v32, v28, s9
	v_mad_u64_u32 v[6:7], null, v28, s8, 0
	s_mov_b32 s21, 0
	s_mov_b64 s[4:5], s[8:9]
	s_delay_alu instid0(VALU_DEP_4) | instskip(NEXT) | instid1(VALU_DEP_2)
	v_add3_u32 v5, v5, v30, v29
                                        ; implicit-def: $sgpr22
                                        ; implicit-def: $sgpr23
                                        ; implicit-def: $sgpr24
	v_add3_u32 v7, v7, v32, v31
	s_delay_alu instid0(VALU_DEP_2) | instskip(NEXT) | instid1(VALU_DEP_2)
	v_lshlrev_b64 v[4:5], 1, v[4:5]
	v_lshlrev_b64 v[6:7], 1, v[6:7]
	s_delay_alu instid0(VALU_DEP_2) | instskip(NEXT) | instid1(VALU_DEP_3)
	v_add_co_u32 v4, vcc_lo, s10, v4
	v_add_co_ci_u32_e32 v5, vcc_lo, s11, v5, vcc_lo
	s_delay_alu instid0(VALU_DEP_3) | instskip(NEXT) | instid1(VALU_DEP_4)
	v_add_co_u32 v6, vcc_lo, s10, v6
	v_add_co_ci_u32_e32 v7, vcc_lo, s11, v7, vcc_lo
	s_set_inst_prefetch_distance 0x1
	s_branch .LBB1244_619
	.p2align	6
.LBB1244_618:                           ;   in Loop: Header=BB1244_619 Depth=1
	s_or_b32 exec_lo, exec_lo, s27
	s_delay_alu instid0(SALU_CYCLE_1) | instskip(NEXT) | instid1(SALU_CYCLE_1)
	s_and_b32 s25, exec_lo, s25
	s_or_b32 s21, s25, s21
	s_and_not1_b32 s22, s22, exec_lo
	s_and_b32 s25, s23, exec_lo
	s_delay_alu instid0(SALU_CYCLE_1)
	s_or_b32 s22, s22, s25
	s_and_not1_b32 exec_lo, exec_lo, s21
	s_cbranch_execz .LBB1244_623
.LBB1244_619:                           ; =>This Inner Loop Header: Depth=1
	global_load_u16 v29, v[4:5], off
	global_load_u16 v30, v[6:7], off
	s_mov_b32 s25, -1
	s_mov_b32 s28, 0
	s_mov_b32 s26, -1
	s_mov_b32 s27, exec_lo
	s_waitcnt vmcnt(0)
	v_cmpx_nlt_f16_e32 v29, v30
; %bb.620:                              ;   in Loop: Header=BB1244_619 Depth=1
	v_cmp_ngt_f16_e32 vcc_lo, v29, v30
	s_and_b32 s24, vcc_lo, s24
	s_and_b32 s28, vcc_lo, exec_lo
	s_or_not1_b32 s26, s24, exec_lo
; %bb.621:                              ;   in Loop: Header=BB1244_619 Depth=1
	s_or_b32 exec_lo, exec_lo, s27
	s_delay_alu instid0(SALU_CYCLE_1) | instskip(SKIP_1) | instid1(SALU_CYCLE_1)
	s_and_not1_b32 s23, s23, exec_lo
	s_and_b32 s24, s26, exec_lo
	s_or_b32 s23, s23, s24
                                        ; implicit-def: $sgpr24
	s_and_saveexec_b32 s27, s28
	s_cbranch_execz .LBB1244_618
; %bb.622:                              ;   in Loop: Header=BB1244_619 Depth=1
	v_add_co_u32 v4, vcc_lo, v4, 2
	s_add_u32 s4, s4, -1
	s_addc_u32 s5, s5, -1
	v_add_co_ci_u32_e32 v5, vcc_lo, 0, v5, vcc_lo
	v_add_co_u32 v6, vcc_lo, v6, 2
	s_cmp_eq_u64 s[4:5], 0
	v_add_co_ci_u32_e32 v7, vcc_lo, 0, v7, vcc_lo
	s_cselect_b32 s25, -1, 0
	s_and_b32 s24, s26, exec_lo
	s_and_not1_b32 s23, s23, exec_lo
	s_or_not1_b32 s25, s25, exec_lo
	s_branch .LBB1244_618
.LBB1244_623:
	s_set_inst_prefetch_distance 0x2
	s_or_b32 exec_lo, exec_lo, s21
	s_xor_b32 s4, s22, -1
	s_and_not1_b32 s5, s16, exec_lo
	s_and_b32 s4, s4, exec_lo
	s_delay_alu instid0(SALU_CYCLE_1)
	s_or_b32 s16, s5, s4
.LBB1244_624:
	s_or_b32 exec_lo, exec_lo, s20
	s_delay_alu instid0(SALU_CYCLE_1)
	s_or_not1_b32 s16, s16, exec_lo
.LBB1244_625:
	s_or_b32 exec_lo, exec_lo, s19
	v_cndmask_b32_e64 v4, v9, v8, s16
	v_cndmask_b32_e64 v5, v26, v25, s16
	s_mov_b32 s19, exec_lo
	s_delay_alu instid0(VALU_DEP_2) | instskip(NEXT) | instid1(VALU_DEP_2)
	v_add_nc_u32_e32 v6, 1, v4
	v_add_nc_u32_e32 v4, -1, v5
	s_delay_alu instid0(VALU_DEP_2) | instskip(NEXT) | instid1(VALU_DEP_2)
	v_cndmask_b32_e64 v9, v6, v9, s16
	v_min_u32_e32 v4, v6, v4
	v_cndmask_b32_e64 v8, v8, v6, s16
	s_delay_alu instid0(VALU_DEP_2)
	v_lshl_add_u32 v4, v4, 3, v19
	ds_load_b64 v[4:5], v4
	s_waitcnt lgkmcnt(0)
	v_cndmask_b32_e64 v29, v5, v10, s16
	v_cndmask_b32_e64 v30, v4, v11, s16
	;; [unrolled: 1-line block ×4, first 2 shown]
	v_cmpx_lt_u32_e64 v9, v26
	s_cbranch_execz .LBB1244_635
; %bb.626:
	v_cmp_lt_u32_e64 s13, v8, v25
	s_delay_alu instid0(VALU_DEP_1) | instskip(NEXT) | instid1(SALU_CYCLE_1)
	s_and_b32 s4, s13, s15
	s_and_saveexec_b32 s20, s4
	s_cbranch_execz .LBB1244_634
; %bb.627:
	v_mul_lo_u32 v33, v29, s8
	v_mul_lo_u32 v34, v30, s9
	v_mad_u64_u32 v[4:5], null, v30, s8, 0
	v_mul_lo_u32 v35, v31, s8
	v_mul_lo_u32 v36, v32, s9
	v_mad_u64_u32 v[6:7], null, v32, s8, 0
	s_mov_b32 s21, 0
	s_mov_b64 s[4:5], s[8:9]
	s_delay_alu instid0(VALU_DEP_4) | instskip(NEXT) | instid1(VALU_DEP_2)
	v_add3_u32 v5, v5, v34, v33
                                        ; implicit-def: $sgpr22
                                        ; implicit-def: $sgpr23
                                        ; implicit-def: $sgpr24
	v_add3_u32 v7, v7, v36, v35
	s_delay_alu instid0(VALU_DEP_2) | instskip(NEXT) | instid1(VALU_DEP_2)
	v_lshlrev_b64 v[4:5], 1, v[4:5]
	v_lshlrev_b64 v[6:7], 1, v[6:7]
	s_delay_alu instid0(VALU_DEP_2) | instskip(NEXT) | instid1(VALU_DEP_3)
	v_add_co_u32 v4, vcc_lo, s10, v4
	v_add_co_ci_u32_e32 v5, vcc_lo, s11, v5, vcc_lo
	s_delay_alu instid0(VALU_DEP_3) | instskip(NEXT) | instid1(VALU_DEP_4)
	v_add_co_u32 v6, vcc_lo, s10, v6
	v_add_co_ci_u32_e32 v7, vcc_lo, s11, v7, vcc_lo
	s_set_inst_prefetch_distance 0x1
	s_branch .LBB1244_629
	.p2align	6
.LBB1244_628:                           ;   in Loop: Header=BB1244_629 Depth=1
	s_or_b32 exec_lo, exec_lo, s27
	s_delay_alu instid0(SALU_CYCLE_1) | instskip(NEXT) | instid1(SALU_CYCLE_1)
	s_and_b32 s25, exec_lo, s25
	s_or_b32 s21, s25, s21
	s_and_not1_b32 s22, s22, exec_lo
	s_and_b32 s25, s23, exec_lo
	s_delay_alu instid0(SALU_CYCLE_1)
	s_or_b32 s22, s22, s25
	s_and_not1_b32 exec_lo, exec_lo, s21
	s_cbranch_execz .LBB1244_633
.LBB1244_629:                           ; =>This Inner Loop Header: Depth=1
	global_load_u16 v33, v[4:5], off
	global_load_u16 v34, v[6:7], off
	s_mov_b32 s25, -1
	s_mov_b32 s28, 0
	s_mov_b32 s26, -1
	s_mov_b32 s27, exec_lo
	s_waitcnt vmcnt(0)
	v_cmpx_nlt_f16_e32 v33, v34
; %bb.630:                              ;   in Loop: Header=BB1244_629 Depth=1
	v_cmp_ngt_f16_e32 vcc_lo, v33, v34
	s_and_b32 s24, vcc_lo, s24
	s_and_b32 s28, vcc_lo, exec_lo
	s_or_not1_b32 s26, s24, exec_lo
; %bb.631:                              ;   in Loop: Header=BB1244_629 Depth=1
	s_or_b32 exec_lo, exec_lo, s27
	s_delay_alu instid0(SALU_CYCLE_1) | instskip(SKIP_1) | instid1(SALU_CYCLE_1)
	s_and_not1_b32 s23, s23, exec_lo
	s_and_b32 s24, s26, exec_lo
	s_or_b32 s23, s23, s24
                                        ; implicit-def: $sgpr24
	s_and_saveexec_b32 s27, s28
	s_cbranch_execz .LBB1244_628
; %bb.632:                              ;   in Loop: Header=BB1244_629 Depth=1
	v_add_co_u32 v4, vcc_lo, v4, 2
	s_add_u32 s4, s4, -1
	s_addc_u32 s5, s5, -1
	v_add_co_ci_u32_e32 v5, vcc_lo, 0, v5, vcc_lo
	v_add_co_u32 v6, vcc_lo, v6, 2
	s_cmp_eq_u64 s[4:5], 0
	v_add_co_ci_u32_e32 v7, vcc_lo, 0, v7, vcc_lo
	s_cselect_b32 s25, -1, 0
	s_and_b32 s24, s26, exec_lo
	s_and_not1_b32 s23, s23, exec_lo
	s_or_not1_b32 s25, s25, exec_lo
	s_branch .LBB1244_628
.LBB1244_633:
	s_set_inst_prefetch_distance 0x2
	s_or_b32 exec_lo, exec_lo, s21
	s_xor_b32 s4, s22, -1
	s_and_not1_b32 s5, s13, exec_lo
	s_and_b32 s4, s4, exec_lo
	s_delay_alu instid0(SALU_CYCLE_1)
	s_or_b32 s13, s5, s4
.LBB1244_634:
	s_or_b32 exec_lo, exec_lo, s20
	s_delay_alu instid0(SALU_CYCLE_1)
	s_or_not1_b32 s13, s13, exec_lo
.LBB1244_635:
	s_or_b32 exec_lo, exec_lo, s19
	v_cndmask_b32_e64 v4, v9, v8, s13
	v_cndmask_b32_e64 v5, v26, v25, s13
	s_mov_b32 s19, exec_lo
	s_delay_alu instid0(VALU_DEP_2) | instskip(NEXT) | instid1(VALU_DEP_2)
	v_add_nc_u32_e32 v33, 1, v4
	v_add_nc_u32_e32 v4, -1, v5
	s_delay_alu instid0(VALU_DEP_2) | instskip(NEXT) | instid1(VALU_DEP_2)
	v_cndmask_b32_e64 v9, v33, v9, s13
	v_min_u32_e32 v4, v33, v4
	s_delay_alu instid0(VALU_DEP_1)
	v_lshl_add_u32 v4, v4, 3, v19
	ds_load_b64 v[4:5], v4
	s_waitcnt lgkmcnt(0)
	v_cndmask_b32_e64 v7, v31, v5, s13
	v_cndmask_b32_e64 v6, v32, v4, s13
	v_cmpx_lt_u32_e64 v9, v26
	s_cbranch_execz .LBB1244_645
; %bb.636:
	v_cndmask_b32_e64 v8, v8, v33, s13
	v_cndmask_b32_e64 v26, v5, v29, s13
	;; [unrolled: 1-line block ×3, first 2 shown]
	s_delay_alu instid0(VALU_DEP_3) | instskip(NEXT) | instid1(VALU_DEP_2)
	v_cmp_ge_u32_e32 vcc_lo, v8, v25
	v_dual_cndmask_b32 v5, v7, v26 :: v_dual_cndmask_b32 v4, v6, v33
	s_or_b32 s4, vcc_lo, s14
	s_delay_alu instid0(SALU_CYCLE_1) | instskip(NEXT) | instid1(SALU_CYCLE_1)
	s_xor_b32 s4, s4, -1
	s_and_saveexec_b32 s20, s4
	s_cbranch_execz .LBB1244_644
; %bb.637:
	v_mul_lo_u32 v25, v26, s8
	v_mul_lo_u32 v34, v33, s9
	v_mad_u64_u32 v[4:5], null, v33, s8, 0
	v_mul_lo_u32 v35, v7, s8
	v_mul_lo_u32 v36, v6, s9
	v_mad_u64_u32 v[8:9], null, v6, s8, 0
	s_mov_b32 s21, 0
	s_mov_b64 s[4:5], s[8:9]
	s_delay_alu instid0(VALU_DEP_4) | instskip(NEXT) | instid1(VALU_DEP_2)
	v_add3_u32 v5, v5, v34, v25
                                        ; implicit-def: $sgpr22
                                        ; implicit-def: $sgpr23
                                        ; implicit-def: $sgpr24
	v_add3_u32 v9, v9, v36, v35
	s_delay_alu instid0(VALU_DEP_2) | instskip(NEXT) | instid1(VALU_DEP_2)
	v_lshlrev_b64 v[4:5], 1, v[4:5]
	v_lshlrev_b64 v[8:9], 1, v[8:9]
	s_delay_alu instid0(VALU_DEP_2) | instskip(NEXT) | instid1(VALU_DEP_3)
	v_add_co_u32 v4, vcc_lo, s10, v4
	v_add_co_ci_u32_e32 v5, vcc_lo, s11, v5, vcc_lo
	s_delay_alu instid0(VALU_DEP_3) | instskip(NEXT) | instid1(VALU_DEP_4)
	v_add_co_u32 v8, vcc_lo, s10, v8
	v_add_co_ci_u32_e32 v9, vcc_lo, s11, v9, vcc_lo
	s_set_inst_prefetch_distance 0x1
	s_branch .LBB1244_639
	.p2align	6
.LBB1244_638:                           ;   in Loop: Header=BB1244_639 Depth=1
	s_or_b32 exec_lo, exec_lo, s27
	s_delay_alu instid0(SALU_CYCLE_1) | instskip(NEXT) | instid1(SALU_CYCLE_1)
	s_and_b32 s25, exec_lo, s25
	s_or_b32 s21, s25, s21
	s_and_not1_b32 s22, s22, exec_lo
	s_and_b32 s25, s23, exec_lo
	s_delay_alu instid0(SALU_CYCLE_1)
	s_or_b32 s22, s22, s25
	s_and_not1_b32 exec_lo, exec_lo, s21
	s_cbranch_execz .LBB1244_643
.LBB1244_639:                           ; =>This Inner Loop Header: Depth=1
	global_load_u16 v25, v[4:5], off
	global_load_u16 v34, v[8:9], off
	s_mov_b32 s25, -1
	s_mov_b32 s28, 0
	s_mov_b32 s26, -1
	s_mov_b32 s27, exec_lo
	s_waitcnt vmcnt(0)
	v_cmpx_nlt_f16_e32 v25, v34
; %bb.640:                              ;   in Loop: Header=BB1244_639 Depth=1
	v_cmp_ngt_f16_e32 vcc_lo, v25, v34
	s_and_b32 s24, vcc_lo, s24
	s_and_b32 s28, vcc_lo, exec_lo
	s_or_not1_b32 s26, s24, exec_lo
; %bb.641:                              ;   in Loop: Header=BB1244_639 Depth=1
	s_or_b32 exec_lo, exec_lo, s27
	s_delay_alu instid0(SALU_CYCLE_1) | instskip(SKIP_1) | instid1(SALU_CYCLE_1)
	s_and_not1_b32 s23, s23, exec_lo
	s_and_b32 s24, s26, exec_lo
	s_or_b32 s23, s23, s24
                                        ; implicit-def: $sgpr24
	s_and_saveexec_b32 s27, s28
	s_cbranch_execz .LBB1244_638
; %bb.642:                              ;   in Loop: Header=BB1244_639 Depth=1
	v_add_co_u32 v4, vcc_lo, v4, 2
	s_add_u32 s4, s4, -1
	s_addc_u32 s5, s5, -1
	v_add_co_ci_u32_e32 v5, vcc_lo, 0, v5, vcc_lo
	v_add_co_u32 v8, vcc_lo, v8, 2
	s_cmp_eq_u64 s[4:5], 0
	v_add_co_ci_u32_e32 v9, vcc_lo, 0, v9, vcc_lo
	s_cselect_b32 s25, -1, 0
	s_and_b32 s24, s26, exec_lo
	s_and_not1_b32 s23, s23, exec_lo
	s_or_not1_b32 s25, s25, exec_lo
	s_branch .LBB1244_638
.LBB1244_643:
	s_set_inst_prefetch_distance 0x2
	s_or_b32 exec_lo, exec_lo, s21
	v_cndmask_b32_e64 v5, v7, v26, s22
	v_cndmask_b32_e64 v4, v6, v33, s22
.LBB1244_644:
	s_or_b32 exec_lo, exec_lo, s20
	s_delay_alu instid0(VALU_DEP_1)
	v_dual_mov_b32 v7, v5 :: v_dual_mov_b32 v6, v4
.LBB1244_645:
	s_or_b32 exec_lo, exec_lo, s19
	v_cndmask_b32_e64 v1, v3, v1, s3
	v_cndmask_b32_e64 v0, v2, v0, s3
	;; [unrolled: 1-line block ×6, first 2 shown]
.LBB1244_646:
	s_or_b32 exec_lo, exec_lo, s12
	v_and_b32_e32 v29, 0x70, v21
	v_and_b32_e32 v9, 12, v21
	s_mov_b32 s3, exec_lo
	; wave barrier
	s_delay_alu instid0(VALU_DEP_2) | instskip(NEXT) | instid1(VALU_DEP_2)
	v_or_b32_e32 v8, 8, v29
	v_min_u32_e32 v30, v20, v9
	v_lshl_add_u32 v28, v29, 3, v19
	ds_store_b128 v24, v[0:3]
	ds_store_b128 v24, v[4:7] offset:16
	v_min_u32_e32 v25, v20, v8
	; wave barrier
	s_delay_alu instid0(VALU_DEP_1) | instskip(SKIP_1) | instid1(VALU_DEP_2)
	v_add_nc_u32_e32 v8, 8, v25
	v_sub_nc_u32_e32 v9, v25, v29
	v_min_u32_e32 v26, v20, v8
	s_delay_alu instid0(VALU_DEP_2) | instskip(NEXT) | instid1(VALU_DEP_2)
	v_min_u32_e32 v31, v30, v9
	v_sub_nc_u32_e32 v8, v26, v25
	s_delay_alu instid0(VALU_DEP_1) | instskip(NEXT) | instid1(VALU_DEP_1)
	v_sub_nc_u32_e64 v27, v30, v8 clamp
	v_cmpx_lt_u32_e64 v27, v31
	s_cbranch_execz .LBB1244_658
; %bb.647:
	v_lshlrev_b32_e32 v8, 3, v25
	v_lshlrev_b32_e32 v9, 3, v30
	s_lshl_b64 s[4:5], s[8:9], 1
	s_mov_b32 s16, 0
	s_delay_alu instid0(VALU_DEP_1)
	v_add3_u32 v32, v19, v8, v9
	s_branch .LBB1244_650
.LBB1244_648:                           ;   in Loop: Header=BB1244_650 Depth=1
	s_set_inst_prefetch_distance 0x2
	s_or_b32 exec_lo, exec_lo, s20
.LBB1244_649:                           ;   in Loop: Header=BB1244_650 Depth=1
	s_delay_alu instid0(VALU_DEP_1) | instskip(SKIP_1) | instid1(VALU_DEP_2)
	v_add_nc_u32_e32 v8, 1, v33
	v_cndmask_b32_e64 v31, v31, v33, s19
	v_cndmask_b32_e64 v27, v8, v27, s19
	s_delay_alu instid0(VALU_DEP_1) | instskip(SKIP_1) | instid1(SALU_CYCLE_1)
	v_cmp_ge_u32_e32 vcc_lo, v27, v31
	s_or_b32 s16, vcc_lo, s16
	s_and_not1_b32 exec_lo, exec_lo, s16
	s_cbranch_execz .LBB1244_657
.LBB1244_650:                           ; =>This Loop Header: Depth=1
                                        ;     Child Loop BB1244_653 Depth 2
	v_add_nc_u32_e32 v8, v31, v27
	v_cmp_ne_u32_e32 vcc_lo, 1, v18
	s_mov_b32 s19, 0
	s_delay_alu instid0(VALU_DEP_2)
	v_lshrrev_b32_e32 v33, 1, v8
	s_cbranch_vccnz .LBB1244_649
; %bb.651:                              ;   in Loop: Header=BB1244_650 Depth=1
	s_delay_alu instid0(VALU_DEP_1) | instskip(SKIP_3) | instid1(VALU_DEP_2)
	v_not_b32_e32 v8, v33
	v_lshl_add_u32 v9, v33, 3, v28
	s_mov_b32 s20, 0
	s_mov_b64 s[12:13], s[8:9]
                                        ; implicit-def: $sgpr19
                                        ; implicit-def: $sgpr21
                                        ; implicit-def: $sgpr22
	v_lshl_add_u32 v8, v8, 3, v32
	ds_load_b64 v[10:11], v8
	ds_load_b64 v[34:35], v9
	s_waitcnt lgkmcnt(1)
	v_mul_lo_u32 v36, s4, v11
	v_mul_lo_u32 v37, s5, v10
	v_mad_u64_u32 v[8:9], null, s4, v10, s[10:11]
	s_waitcnt lgkmcnt(0)
	v_mul_lo_u32 v35, s4, v35
	v_mul_lo_u32 v38, s5, v34
	v_mad_u64_u32 v[10:11], null, s4, v34, s[10:11]
	s_delay_alu instid0(VALU_DEP_4) | instskip(NEXT) | instid1(VALU_DEP_2)
	v_add3_u32 v9, v37, v9, v36
	v_add3_u32 v11, v38, v11, v35
	s_set_inst_prefetch_distance 0x1
	s_branch .LBB1244_653
	.p2align	6
.LBB1244_652:                           ;   in Loop: Header=BB1244_653 Depth=2
	s_or_b32 exec_lo, exec_lo, s25
	s_delay_alu instid0(SALU_CYCLE_1) | instskip(NEXT) | instid1(SALU_CYCLE_1)
	s_and_b32 s23, exec_lo, s24
	s_or_b32 s20, s23, s20
	s_and_not1_b32 s19, s19, exec_lo
	s_and_b32 s23, s21, exec_lo
	s_delay_alu instid0(SALU_CYCLE_1)
	s_or_b32 s19, s19, s23
	s_and_not1_b32 exec_lo, exec_lo, s20
	s_cbranch_execz .LBB1244_648
.LBB1244_653:                           ;   Parent Loop BB1244_650 Depth=1
                                        ; =>  This Inner Loop Header: Depth=2
	global_load_u16 v34, v[8:9], off
	global_load_u16 v35, v[10:11], off
	s_mov_b32 s24, -1
	s_mov_b32 s26, 0
	s_mov_b32 s23, -1
	s_mov_b32 s25, exec_lo
	s_waitcnt vmcnt(0)
	v_cmpx_nlt_f16_e32 v34, v35
; %bb.654:                              ;   in Loop: Header=BB1244_653 Depth=2
	v_cmp_ngt_f16_e32 vcc_lo, v34, v35
	s_and_b32 s22, vcc_lo, s22
	s_and_b32 s26, vcc_lo, exec_lo
	s_or_not1_b32 s23, s22, exec_lo
; %bb.655:                              ;   in Loop: Header=BB1244_653 Depth=2
	s_or_b32 exec_lo, exec_lo, s25
	s_delay_alu instid0(SALU_CYCLE_1) | instskip(SKIP_1) | instid1(SALU_CYCLE_1)
	s_and_not1_b32 s21, s21, exec_lo
	s_and_b32 s22, s23, exec_lo
	s_or_b32 s21, s21, s22
                                        ; implicit-def: $sgpr22
	s_and_saveexec_b32 s25, s26
	s_cbranch_execz .LBB1244_652
; %bb.656:                              ;   in Loop: Header=BB1244_653 Depth=2
	v_add_co_u32 v8, vcc_lo, v8, 2
	s_add_u32 s12, s12, -1
	s_addc_u32 s13, s13, -1
	v_add_co_ci_u32_e32 v9, vcc_lo, 0, v9, vcc_lo
	v_add_co_u32 v10, vcc_lo, v10, 2
	s_cmp_eq_u64 s[12:13], 0
	v_add_co_ci_u32_e32 v11, vcc_lo, 0, v11, vcc_lo
	s_cselect_b32 s24, -1, 0
	s_and_not1_b32 s21, s21, exec_lo
	s_and_b32 s22, s23, exec_lo
	s_or_not1_b32 s24, s24, exec_lo
	s_branch .LBB1244_652
.LBB1244_657:
	s_or_b32 exec_lo, exec_lo, s16
.LBB1244_658:
	s_delay_alu instid0(SALU_CYCLE_1) | instskip(SKIP_2) | instid1(VALU_DEP_2)
	s_or_b32 exec_lo, exec_lo, s3
	v_add_nc_u32_e32 v9, v25, v30
	v_add_nc_u32_e32 v8, v27, v29
	v_sub_nc_u32_e32 v9, v9, v27
	s_delay_alu instid0(VALU_DEP_2) | instskip(NEXT) | instid1(VALU_DEP_2)
	v_cmp_le_u32_e32 vcc_lo, v8, v25
	v_cmp_le_u32_e64 s3, v9, v26
	s_delay_alu instid0(VALU_DEP_1) | instskip(NEXT) | instid1(SALU_CYCLE_1)
	s_or_b32 s3, vcc_lo, s3
	s_and_saveexec_b32 s12, s3
	s_cbranch_execz .LBB1244_702
; %bb.659:
	v_cmp_ge_u32_e32 vcc_lo, v8, v25
	s_mov_b32 s4, exec_lo
                                        ; implicit-def: $vgpr0_vgpr1
	v_cmpx_lt_u32_e64 v8, v25
	s_cbranch_execz .LBB1244_661
; %bb.660:
	v_lshl_add_u32 v0, v27, 3, v28
	ds_load_b64 v[0:1], v0
.LBB1244_661:
	s_or_b32 exec_lo, exec_lo, s4
	v_cmp_ge_u32_e64 s3, v9, v26
	s_mov_b32 s5, exec_lo
                                        ; implicit-def: $vgpr2_vgpr3
	v_cmpx_lt_u32_e64 v9, v26
	s_cbranch_execz .LBB1244_663
; %bb.662:
	v_lshl_add_u32 v2, v9, 3, v19
	ds_load_b64 v[2:3], v2
.LBB1244_663:
	s_or_b32 exec_lo, exec_lo, s5
	s_or_b32 s4, vcc_lo, s3
	s_xor_b32 s5, vcc_lo, -1
	s_or_b32 s4, s4, s14
	s_or_b32 s3, s3, s5
	s_xor_b32 s4, s4, -1
	s_delay_alu instid0(SALU_CYCLE_1)
	s_and_saveexec_b32 s13, s4
	s_cbranch_execz .LBB1244_671
; %bb.664:
	s_waitcnt lgkmcnt(0)
	v_mul_lo_u32 v10, v3, s8
	v_mul_lo_u32 v11, v2, s9
	v_mad_u64_u32 v[4:5], null, v2, s8, 0
	v_mul_lo_u32 v27, v1, s8
	v_mul_lo_u32 v28, v0, s9
	v_mad_u64_u32 v[6:7], null, v0, s8, 0
	s_mov_b32 s16, 0
	s_mov_b64 s[4:5], s[8:9]
	s_delay_alu instid0(VALU_DEP_4) | instskip(NEXT) | instid1(VALU_DEP_2)
	v_add3_u32 v5, v5, v11, v10
                                        ; implicit-def: $sgpr19
                                        ; implicit-def: $sgpr20
                                        ; implicit-def: $sgpr21
	v_add3_u32 v7, v7, v28, v27
	s_delay_alu instid0(VALU_DEP_2) | instskip(NEXT) | instid1(VALU_DEP_2)
	v_lshlrev_b64 v[4:5], 1, v[4:5]
	v_lshlrev_b64 v[6:7], 1, v[6:7]
	s_delay_alu instid0(VALU_DEP_2) | instskip(NEXT) | instid1(VALU_DEP_3)
	v_add_co_u32 v4, vcc_lo, s10, v4
	v_add_co_ci_u32_e32 v5, vcc_lo, s11, v5, vcc_lo
	s_delay_alu instid0(VALU_DEP_3) | instskip(NEXT) | instid1(VALU_DEP_4)
	v_add_co_u32 v6, vcc_lo, s10, v6
	v_add_co_ci_u32_e32 v7, vcc_lo, s11, v7, vcc_lo
	s_set_inst_prefetch_distance 0x1
	s_branch .LBB1244_666
	.p2align	6
.LBB1244_665:                           ;   in Loop: Header=BB1244_666 Depth=1
	s_or_b32 exec_lo, exec_lo, s24
	s_delay_alu instid0(SALU_CYCLE_1) | instskip(NEXT) | instid1(SALU_CYCLE_1)
	s_and_b32 s22, exec_lo, s22
	s_or_b32 s16, s22, s16
	s_and_not1_b32 s19, s19, exec_lo
	s_and_b32 s22, s20, exec_lo
	s_delay_alu instid0(SALU_CYCLE_1)
	s_or_b32 s19, s19, s22
	s_and_not1_b32 exec_lo, exec_lo, s16
	s_cbranch_execz .LBB1244_670
.LBB1244_666:                           ; =>This Inner Loop Header: Depth=1
	global_load_u16 v10, v[4:5], off
	global_load_u16 v11, v[6:7], off
	s_mov_b32 s22, -1
	s_mov_b32 s25, 0
	s_mov_b32 s23, -1
	s_mov_b32 s24, exec_lo
	s_waitcnt vmcnt(0)
	v_cmpx_nlt_f16_e32 v10, v11
; %bb.667:                              ;   in Loop: Header=BB1244_666 Depth=1
	v_cmp_ngt_f16_e32 vcc_lo, v10, v11
	s_and_b32 s21, vcc_lo, s21
	s_and_b32 s25, vcc_lo, exec_lo
	s_or_not1_b32 s23, s21, exec_lo
; %bb.668:                              ;   in Loop: Header=BB1244_666 Depth=1
	s_or_b32 exec_lo, exec_lo, s24
	s_delay_alu instid0(SALU_CYCLE_1) | instskip(SKIP_1) | instid1(SALU_CYCLE_1)
	s_and_not1_b32 s20, s20, exec_lo
	s_and_b32 s21, s23, exec_lo
	s_or_b32 s20, s20, s21
                                        ; implicit-def: $sgpr21
	s_and_saveexec_b32 s24, s25
	s_cbranch_execz .LBB1244_665
; %bb.669:                              ;   in Loop: Header=BB1244_666 Depth=1
	v_add_co_u32 v4, vcc_lo, v4, 2
	s_add_u32 s4, s4, -1
	s_addc_u32 s5, s5, -1
	v_add_co_ci_u32_e32 v5, vcc_lo, 0, v5, vcc_lo
	v_add_co_u32 v6, vcc_lo, v6, 2
	s_cmp_eq_u64 s[4:5], 0
	v_add_co_ci_u32_e32 v7, vcc_lo, 0, v7, vcc_lo
	s_cselect_b32 s22, -1, 0
	s_and_b32 s21, s23, exec_lo
	s_and_not1_b32 s20, s20, exec_lo
	s_or_not1_b32 s22, s22, exec_lo
	s_branch .LBB1244_665
.LBB1244_670:
	s_set_inst_prefetch_distance 0x2
	s_or_b32 exec_lo, exec_lo, s16
	s_xor_b32 s4, s19, -1
	s_and_not1_b32 s3, s3, exec_lo
	s_and_b32 s4, s4, exec_lo
	s_delay_alu instid0(SALU_CYCLE_1)
	s_or_b32 s3, s3, s4
.LBB1244_671:
	s_or_b32 exec_lo, exec_lo, s13
	v_cndmask_b32_e64 v4, v9, v8, s3
	v_cndmask_b32_e64 v5, v26, v25, s3
	s_mov_b32 s13, -1
	s_mov_b32 s16, -1
	s_mov_b32 s19, exec_lo
	v_add_nc_u32_e32 v6, 1, v4
	v_add_nc_u32_e32 v4, -1, v5
	s_delay_alu instid0(VALU_DEP_2) | instskip(NEXT) | instid1(VALU_DEP_2)
	v_cndmask_b32_e64 v9, v6, v9, s3
	v_min_u32_e32 v4, v6, v4
	v_cndmask_b32_e64 v8, v8, v6, s3
	s_delay_alu instid0(VALU_DEP_2)
	v_lshl_add_u32 v4, v4, 3, v19
	ds_load_b64 v[4:5], v4
	s_waitcnt lgkmcnt(0)
	v_cndmask_b32_e64 v10, v5, v3, s3
	v_cndmask_b32_e64 v11, v4, v2, s3
	;; [unrolled: 1-line block ×4, first 2 shown]
	v_cmpx_lt_u32_e64 v9, v26
	s_cbranch_execz .LBB1244_681
; %bb.672:
	v_cmp_lt_u32_e64 s16, v8, v25
	s_delay_alu instid0(VALU_DEP_1) | instskip(NEXT) | instid1(SALU_CYCLE_1)
	s_and_b32 s4, s16, s15
	s_and_saveexec_b32 s20, s4
	s_cbranch_execz .LBB1244_680
; %bb.673:
	v_mul_lo_u32 v29, v10, s8
	v_mul_lo_u32 v30, v11, s9
	v_mad_u64_u32 v[4:5], null, v11, s8, 0
	v_mul_lo_u32 v31, v27, s8
	v_mul_lo_u32 v32, v28, s9
	v_mad_u64_u32 v[6:7], null, v28, s8, 0
	s_mov_b32 s21, 0
	s_mov_b64 s[4:5], s[8:9]
	s_delay_alu instid0(VALU_DEP_4) | instskip(NEXT) | instid1(VALU_DEP_2)
	v_add3_u32 v5, v5, v30, v29
                                        ; implicit-def: $sgpr22
                                        ; implicit-def: $sgpr23
                                        ; implicit-def: $sgpr24
	v_add3_u32 v7, v7, v32, v31
	s_delay_alu instid0(VALU_DEP_2) | instskip(NEXT) | instid1(VALU_DEP_2)
	v_lshlrev_b64 v[4:5], 1, v[4:5]
	v_lshlrev_b64 v[6:7], 1, v[6:7]
	s_delay_alu instid0(VALU_DEP_2) | instskip(NEXT) | instid1(VALU_DEP_3)
	v_add_co_u32 v4, vcc_lo, s10, v4
	v_add_co_ci_u32_e32 v5, vcc_lo, s11, v5, vcc_lo
	s_delay_alu instid0(VALU_DEP_3) | instskip(NEXT) | instid1(VALU_DEP_4)
	v_add_co_u32 v6, vcc_lo, s10, v6
	v_add_co_ci_u32_e32 v7, vcc_lo, s11, v7, vcc_lo
	s_set_inst_prefetch_distance 0x1
	s_branch .LBB1244_675
	.p2align	6
.LBB1244_674:                           ;   in Loop: Header=BB1244_675 Depth=1
	s_or_b32 exec_lo, exec_lo, s27
	s_delay_alu instid0(SALU_CYCLE_1) | instskip(NEXT) | instid1(SALU_CYCLE_1)
	s_and_b32 s25, exec_lo, s25
	s_or_b32 s21, s25, s21
	s_and_not1_b32 s22, s22, exec_lo
	s_and_b32 s25, s23, exec_lo
	s_delay_alu instid0(SALU_CYCLE_1)
	s_or_b32 s22, s22, s25
	s_and_not1_b32 exec_lo, exec_lo, s21
	s_cbranch_execz .LBB1244_679
.LBB1244_675:                           ; =>This Inner Loop Header: Depth=1
	global_load_u16 v29, v[4:5], off
	global_load_u16 v30, v[6:7], off
	s_mov_b32 s25, -1
	s_mov_b32 s28, 0
	s_mov_b32 s26, -1
	s_mov_b32 s27, exec_lo
	s_waitcnt vmcnt(0)
	v_cmpx_nlt_f16_e32 v29, v30
; %bb.676:                              ;   in Loop: Header=BB1244_675 Depth=1
	v_cmp_ngt_f16_e32 vcc_lo, v29, v30
	s_and_b32 s24, vcc_lo, s24
	s_and_b32 s28, vcc_lo, exec_lo
	s_or_not1_b32 s26, s24, exec_lo
; %bb.677:                              ;   in Loop: Header=BB1244_675 Depth=1
	s_or_b32 exec_lo, exec_lo, s27
	s_delay_alu instid0(SALU_CYCLE_1) | instskip(SKIP_1) | instid1(SALU_CYCLE_1)
	s_and_not1_b32 s23, s23, exec_lo
	s_and_b32 s24, s26, exec_lo
	s_or_b32 s23, s23, s24
                                        ; implicit-def: $sgpr24
	s_and_saveexec_b32 s27, s28
	s_cbranch_execz .LBB1244_674
; %bb.678:                              ;   in Loop: Header=BB1244_675 Depth=1
	v_add_co_u32 v4, vcc_lo, v4, 2
	s_add_u32 s4, s4, -1
	s_addc_u32 s5, s5, -1
	v_add_co_ci_u32_e32 v5, vcc_lo, 0, v5, vcc_lo
	v_add_co_u32 v6, vcc_lo, v6, 2
	s_cmp_eq_u64 s[4:5], 0
	v_add_co_ci_u32_e32 v7, vcc_lo, 0, v7, vcc_lo
	s_cselect_b32 s25, -1, 0
	s_and_b32 s24, s26, exec_lo
	s_and_not1_b32 s23, s23, exec_lo
	s_or_not1_b32 s25, s25, exec_lo
	s_branch .LBB1244_674
.LBB1244_679:
	s_set_inst_prefetch_distance 0x2
	s_or_b32 exec_lo, exec_lo, s21
	s_xor_b32 s4, s22, -1
	s_and_not1_b32 s5, s16, exec_lo
	s_and_b32 s4, s4, exec_lo
	s_delay_alu instid0(SALU_CYCLE_1)
	s_or_b32 s16, s5, s4
.LBB1244_680:
	s_or_b32 exec_lo, exec_lo, s20
	s_delay_alu instid0(SALU_CYCLE_1)
	s_or_not1_b32 s16, s16, exec_lo
.LBB1244_681:
	s_or_b32 exec_lo, exec_lo, s19
	v_cndmask_b32_e64 v4, v9, v8, s16
	v_cndmask_b32_e64 v5, v26, v25, s16
	s_mov_b32 s19, exec_lo
	s_delay_alu instid0(VALU_DEP_2) | instskip(NEXT) | instid1(VALU_DEP_2)
	v_add_nc_u32_e32 v6, 1, v4
	v_add_nc_u32_e32 v4, -1, v5
	s_delay_alu instid0(VALU_DEP_2) | instskip(NEXT) | instid1(VALU_DEP_2)
	v_cndmask_b32_e64 v9, v6, v9, s16
	v_min_u32_e32 v4, v6, v4
	v_cndmask_b32_e64 v8, v8, v6, s16
	s_delay_alu instid0(VALU_DEP_2)
	v_lshl_add_u32 v4, v4, 3, v19
	ds_load_b64 v[4:5], v4
	s_waitcnt lgkmcnt(0)
	v_cndmask_b32_e64 v29, v5, v10, s16
	v_cndmask_b32_e64 v30, v4, v11, s16
	v_cndmask_b32_e64 v31, v27, v5, s16
	v_cndmask_b32_e64 v32, v28, v4, s16
	v_cmpx_lt_u32_e64 v9, v26
	s_cbranch_execz .LBB1244_691
; %bb.682:
	v_cmp_lt_u32_e64 s13, v8, v25
	s_delay_alu instid0(VALU_DEP_1) | instskip(NEXT) | instid1(SALU_CYCLE_1)
	s_and_b32 s4, s13, s15
	s_and_saveexec_b32 s20, s4
	s_cbranch_execz .LBB1244_690
; %bb.683:
	v_mul_lo_u32 v33, v29, s8
	v_mul_lo_u32 v34, v30, s9
	v_mad_u64_u32 v[4:5], null, v30, s8, 0
	v_mul_lo_u32 v35, v31, s8
	v_mul_lo_u32 v36, v32, s9
	v_mad_u64_u32 v[6:7], null, v32, s8, 0
	s_mov_b32 s21, 0
	s_mov_b64 s[4:5], s[8:9]
	s_delay_alu instid0(VALU_DEP_4) | instskip(NEXT) | instid1(VALU_DEP_2)
	v_add3_u32 v5, v5, v34, v33
                                        ; implicit-def: $sgpr22
                                        ; implicit-def: $sgpr23
                                        ; implicit-def: $sgpr24
	v_add3_u32 v7, v7, v36, v35
	s_delay_alu instid0(VALU_DEP_2) | instskip(NEXT) | instid1(VALU_DEP_2)
	v_lshlrev_b64 v[4:5], 1, v[4:5]
	v_lshlrev_b64 v[6:7], 1, v[6:7]
	s_delay_alu instid0(VALU_DEP_2) | instskip(NEXT) | instid1(VALU_DEP_3)
	v_add_co_u32 v4, vcc_lo, s10, v4
	v_add_co_ci_u32_e32 v5, vcc_lo, s11, v5, vcc_lo
	s_delay_alu instid0(VALU_DEP_3) | instskip(NEXT) | instid1(VALU_DEP_4)
	v_add_co_u32 v6, vcc_lo, s10, v6
	v_add_co_ci_u32_e32 v7, vcc_lo, s11, v7, vcc_lo
	s_set_inst_prefetch_distance 0x1
	s_branch .LBB1244_685
	.p2align	6
.LBB1244_684:                           ;   in Loop: Header=BB1244_685 Depth=1
	s_or_b32 exec_lo, exec_lo, s27
	s_delay_alu instid0(SALU_CYCLE_1) | instskip(NEXT) | instid1(SALU_CYCLE_1)
	s_and_b32 s25, exec_lo, s25
	s_or_b32 s21, s25, s21
	s_and_not1_b32 s22, s22, exec_lo
	s_and_b32 s25, s23, exec_lo
	s_delay_alu instid0(SALU_CYCLE_1)
	s_or_b32 s22, s22, s25
	s_and_not1_b32 exec_lo, exec_lo, s21
	s_cbranch_execz .LBB1244_689
.LBB1244_685:                           ; =>This Inner Loop Header: Depth=1
	global_load_u16 v33, v[4:5], off
	global_load_u16 v34, v[6:7], off
	s_mov_b32 s25, -1
	s_mov_b32 s28, 0
	s_mov_b32 s26, -1
	s_mov_b32 s27, exec_lo
	s_waitcnt vmcnt(0)
	v_cmpx_nlt_f16_e32 v33, v34
; %bb.686:                              ;   in Loop: Header=BB1244_685 Depth=1
	v_cmp_ngt_f16_e32 vcc_lo, v33, v34
	s_and_b32 s24, vcc_lo, s24
	s_and_b32 s28, vcc_lo, exec_lo
	s_or_not1_b32 s26, s24, exec_lo
; %bb.687:                              ;   in Loop: Header=BB1244_685 Depth=1
	s_or_b32 exec_lo, exec_lo, s27
	s_delay_alu instid0(SALU_CYCLE_1) | instskip(SKIP_1) | instid1(SALU_CYCLE_1)
	s_and_not1_b32 s23, s23, exec_lo
	s_and_b32 s24, s26, exec_lo
	s_or_b32 s23, s23, s24
                                        ; implicit-def: $sgpr24
	s_and_saveexec_b32 s27, s28
	s_cbranch_execz .LBB1244_684
; %bb.688:                              ;   in Loop: Header=BB1244_685 Depth=1
	v_add_co_u32 v4, vcc_lo, v4, 2
	s_add_u32 s4, s4, -1
	s_addc_u32 s5, s5, -1
	v_add_co_ci_u32_e32 v5, vcc_lo, 0, v5, vcc_lo
	v_add_co_u32 v6, vcc_lo, v6, 2
	s_cmp_eq_u64 s[4:5], 0
	v_add_co_ci_u32_e32 v7, vcc_lo, 0, v7, vcc_lo
	s_cselect_b32 s25, -1, 0
	s_and_b32 s24, s26, exec_lo
	s_and_not1_b32 s23, s23, exec_lo
	s_or_not1_b32 s25, s25, exec_lo
	s_branch .LBB1244_684
.LBB1244_689:
	s_set_inst_prefetch_distance 0x2
	s_or_b32 exec_lo, exec_lo, s21
	s_xor_b32 s4, s22, -1
	s_and_not1_b32 s5, s13, exec_lo
	s_and_b32 s4, s4, exec_lo
	s_delay_alu instid0(SALU_CYCLE_1)
	s_or_b32 s13, s5, s4
.LBB1244_690:
	s_or_b32 exec_lo, exec_lo, s20
	s_delay_alu instid0(SALU_CYCLE_1)
	s_or_not1_b32 s13, s13, exec_lo
.LBB1244_691:
	s_or_b32 exec_lo, exec_lo, s19
	v_cndmask_b32_e64 v4, v9, v8, s13
	v_cndmask_b32_e64 v5, v26, v25, s13
	s_mov_b32 s19, exec_lo
	s_delay_alu instid0(VALU_DEP_2) | instskip(NEXT) | instid1(VALU_DEP_2)
	v_add_nc_u32_e32 v33, 1, v4
	v_add_nc_u32_e32 v4, -1, v5
	s_delay_alu instid0(VALU_DEP_2) | instskip(NEXT) | instid1(VALU_DEP_2)
	v_cndmask_b32_e64 v9, v33, v9, s13
	v_min_u32_e32 v4, v33, v4
	s_delay_alu instid0(VALU_DEP_1)
	v_lshl_add_u32 v4, v4, 3, v19
	ds_load_b64 v[4:5], v4
	s_waitcnt lgkmcnt(0)
	v_cndmask_b32_e64 v7, v31, v5, s13
	v_cndmask_b32_e64 v6, v32, v4, s13
	v_cmpx_lt_u32_e64 v9, v26
	s_cbranch_execz .LBB1244_701
; %bb.692:
	v_cndmask_b32_e64 v8, v8, v33, s13
	v_cndmask_b32_e64 v26, v5, v29, s13
	;; [unrolled: 1-line block ×3, first 2 shown]
	s_delay_alu instid0(VALU_DEP_3) | instskip(NEXT) | instid1(VALU_DEP_2)
	v_cmp_ge_u32_e32 vcc_lo, v8, v25
	v_dual_cndmask_b32 v5, v7, v26 :: v_dual_cndmask_b32 v4, v6, v33
	s_or_b32 s4, vcc_lo, s14
	s_delay_alu instid0(SALU_CYCLE_1) | instskip(NEXT) | instid1(SALU_CYCLE_1)
	s_xor_b32 s4, s4, -1
	s_and_saveexec_b32 s20, s4
	s_cbranch_execz .LBB1244_700
; %bb.693:
	v_mul_lo_u32 v25, v26, s8
	v_mul_lo_u32 v34, v33, s9
	v_mad_u64_u32 v[4:5], null, v33, s8, 0
	v_mul_lo_u32 v35, v7, s8
	v_mul_lo_u32 v36, v6, s9
	v_mad_u64_u32 v[8:9], null, v6, s8, 0
	s_mov_b32 s21, 0
	s_mov_b64 s[4:5], s[8:9]
	s_delay_alu instid0(VALU_DEP_4) | instskip(NEXT) | instid1(VALU_DEP_2)
	v_add3_u32 v5, v5, v34, v25
                                        ; implicit-def: $sgpr22
                                        ; implicit-def: $sgpr23
                                        ; implicit-def: $sgpr24
	v_add3_u32 v9, v9, v36, v35
	s_delay_alu instid0(VALU_DEP_2) | instskip(NEXT) | instid1(VALU_DEP_2)
	v_lshlrev_b64 v[4:5], 1, v[4:5]
	v_lshlrev_b64 v[8:9], 1, v[8:9]
	s_delay_alu instid0(VALU_DEP_2) | instskip(NEXT) | instid1(VALU_DEP_3)
	v_add_co_u32 v4, vcc_lo, s10, v4
	v_add_co_ci_u32_e32 v5, vcc_lo, s11, v5, vcc_lo
	s_delay_alu instid0(VALU_DEP_3) | instskip(NEXT) | instid1(VALU_DEP_4)
	v_add_co_u32 v8, vcc_lo, s10, v8
	v_add_co_ci_u32_e32 v9, vcc_lo, s11, v9, vcc_lo
	s_set_inst_prefetch_distance 0x1
	s_branch .LBB1244_695
	.p2align	6
.LBB1244_694:                           ;   in Loop: Header=BB1244_695 Depth=1
	s_or_b32 exec_lo, exec_lo, s27
	s_delay_alu instid0(SALU_CYCLE_1) | instskip(NEXT) | instid1(SALU_CYCLE_1)
	s_and_b32 s25, exec_lo, s25
	s_or_b32 s21, s25, s21
	s_and_not1_b32 s22, s22, exec_lo
	s_and_b32 s25, s23, exec_lo
	s_delay_alu instid0(SALU_CYCLE_1)
	s_or_b32 s22, s22, s25
	s_and_not1_b32 exec_lo, exec_lo, s21
	s_cbranch_execz .LBB1244_699
.LBB1244_695:                           ; =>This Inner Loop Header: Depth=1
	global_load_u16 v25, v[4:5], off
	global_load_u16 v34, v[8:9], off
	s_mov_b32 s25, -1
	s_mov_b32 s28, 0
	s_mov_b32 s26, -1
	s_mov_b32 s27, exec_lo
	s_waitcnt vmcnt(0)
	v_cmpx_nlt_f16_e32 v25, v34
; %bb.696:                              ;   in Loop: Header=BB1244_695 Depth=1
	v_cmp_ngt_f16_e32 vcc_lo, v25, v34
	s_and_b32 s24, vcc_lo, s24
	s_and_b32 s28, vcc_lo, exec_lo
	s_or_not1_b32 s26, s24, exec_lo
; %bb.697:                              ;   in Loop: Header=BB1244_695 Depth=1
	s_or_b32 exec_lo, exec_lo, s27
	s_delay_alu instid0(SALU_CYCLE_1) | instskip(SKIP_1) | instid1(SALU_CYCLE_1)
	s_and_not1_b32 s23, s23, exec_lo
	s_and_b32 s24, s26, exec_lo
	s_or_b32 s23, s23, s24
                                        ; implicit-def: $sgpr24
	s_and_saveexec_b32 s27, s28
	s_cbranch_execz .LBB1244_694
; %bb.698:                              ;   in Loop: Header=BB1244_695 Depth=1
	v_add_co_u32 v4, vcc_lo, v4, 2
	s_add_u32 s4, s4, -1
	s_addc_u32 s5, s5, -1
	v_add_co_ci_u32_e32 v5, vcc_lo, 0, v5, vcc_lo
	v_add_co_u32 v8, vcc_lo, v8, 2
	s_cmp_eq_u64 s[4:5], 0
	v_add_co_ci_u32_e32 v9, vcc_lo, 0, v9, vcc_lo
	s_cselect_b32 s25, -1, 0
	s_and_b32 s24, s26, exec_lo
	s_and_not1_b32 s23, s23, exec_lo
	s_or_not1_b32 s25, s25, exec_lo
	s_branch .LBB1244_694
.LBB1244_699:
	s_set_inst_prefetch_distance 0x2
	s_or_b32 exec_lo, exec_lo, s21
	v_cndmask_b32_e64 v5, v7, v26, s22
	v_cndmask_b32_e64 v4, v6, v33, s22
.LBB1244_700:
	s_or_b32 exec_lo, exec_lo, s20
	s_delay_alu instid0(VALU_DEP_1)
	v_dual_mov_b32 v7, v5 :: v_dual_mov_b32 v6, v4
.LBB1244_701:
	s_or_b32 exec_lo, exec_lo, s19
	v_cndmask_b32_e64 v1, v3, v1, s3
	v_cndmask_b32_e64 v0, v2, v0, s3
	;; [unrolled: 1-line block ×6, first 2 shown]
.LBB1244_702:
	s_or_b32 exec_lo, exec_lo, s12
	v_and_b32_e32 v29, 0x60, v21
	v_and_b32_e32 v9, 28, v21
	s_mov_b32 s3, exec_lo
	; wave barrier
	s_delay_alu instid0(VALU_DEP_2) | instskip(NEXT) | instid1(VALU_DEP_2)
	v_or_b32_e32 v8, 16, v29
	v_min_u32_e32 v30, v20, v9
	v_lshl_add_u32 v28, v29, 3, v19
	ds_store_b128 v24, v[0:3]
	ds_store_b128 v24, v[4:7] offset:16
	v_min_u32_e32 v25, v20, v8
	; wave barrier
	s_delay_alu instid0(VALU_DEP_1) | instskip(SKIP_1) | instid1(VALU_DEP_2)
	v_add_nc_u32_e32 v8, 16, v25
	v_sub_nc_u32_e32 v9, v25, v29
	v_min_u32_e32 v26, v20, v8
	s_delay_alu instid0(VALU_DEP_2) | instskip(NEXT) | instid1(VALU_DEP_2)
	v_min_u32_e32 v31, v30, v9
	v_sub_nc_u32_e32 v8, v26, v25
	s_delay_alu instid0(VALU_DEP_1) | instskip(NEXT) | instid1(VALU_DEP_1)
	v_sub_nc_u32_e64 v27, v30, v8 clamp
	v_cmpx_lt_u32_e64 v27, v31
	s_cbranch_execz .LBB1244_714
; %bb.703:
	v_lshlrev_b32_e32 v8, 3, v25
	v_lshlrev_b32_e32 v9, 3, v30
	s_lshl_b64 s[4:5], s[8:9], 1
	s_mov_b32 s16, 0
	s_delay_alu instid0(VALU_DEP_1)
	v_add3_u32 v32, v19, v8, v9
	s_branch .LBB1244_706
.LBB1244_704:                           ;   in Loop: Header=BB1244_706 Depth=1
	s_set_inst_prefetch_distance 0x2
	s_or_b32 exec_lo, exec_lo, s20
.LBB1244_705:                           ;   in Loop: Header=BB1244_706 Depth=1
	s_delay_alu instid0(VALU_DEP_1) | instskip(SKIP_1) | instid1(VALU_DEP_2)
	v_add_nc_u32_e32 v8, 1, v33
	v_cndmask_b32_e64 v31, v31, v33, s19
	v_cndmask_b32_e64 v27, v8, v27, s19
	s_delay_alu instid0(VALU_DEP_1) | instskip(SKIP_1) | instid1(SALU_CYCLE_1)
	v_cmp_ge_u32_e32 vcc_lo, v27, v31
	s_or_b32 s16, vcc_lo, s16
	s_and_not1_b32 exec_lo, exec_lo, s16
	s_cbranch_execz .LBB1244_713
.LBB1244_706:                           ; =>This Loop Header: Depth=1
                                        ;     Child Loop BB1244_709 Depth 2
	v_add_nc_u32_e32 v8, v31, v27
	v_cmp_ne_u32_e32 vcc_lo, 1, v18
	s_mov_b32 s19, 0
	s_delay_alu instid0(VALU_DEP_2)
	v_lshrrev_b32_e32 v33, 1, v8
	s_cbranch_vccnz .LBB1244_705
; %bb.707:                              ;   in Loop: Header=BB1244_706 Depth=1
	s_delay_alu instid0(VALU_DEP_1) | instskip(SKIP_3) | instid1(VALU_DEP_2)
	v_not_b32_e32 v8, v33
	v_lshl_add_u32 v9, v33, 3, v28
	s_mov_b32 s20, 0
	s_mov_b64 s[12:13], s[8:9]
                                        ; implicit-def: $sgpr19
                                        ; implicit-def: $sgpr21
                                        ; implicit-def: $sgpr22
	v_lshl_add_u32 v8, v8, 3, v32
	ds_load_b64 v[10:11], v8
	ds_load_b64 v[34:35], v9
	s_waitcnt lgkmcnt(1)
	v_mul_lo_u32 v36, s4, v11
	v_mul_lo_u32 v37, s5, v10
	v_mad_u64_u32 v[8:9], null, s4, v10, s[10:11]
	s_waitcnt lgkmcnt(0)
	v_mul_lo_u32 v35, s4, v35
	v_mul_lo_u32 v38, s5, v34
	v_mad_u64_u32 v[10:11], null, s4, v34, s[10:11]
	s_delay_alu instid0(VALU_DEP_4) | instskip(NEXT) | instid1(VALU_DEP_2)
	v_add3_u32 v9, v37, v9, v36
	v_add3_u32 v11, v38, v11, v35
	s_set_inst_prefetch_distance 0x1
	s_branch .LBB1244_709
	.p2align	6
.LBB1244_708:                           ;   in Loop: Header=BB1244_709 Depth=2
	s_or_b32 exec_lo, exec_lo, s25
	s_delay_alu instid0(SALU_CYCLE_1) | instskip(NEXT) | instid1(SALU_CYCLE_1)
	s_and_b32 s23, exec_lo, s24
	s_or_b32 s20, s23, s20
	s_and_not1_b32 s19, s19, exec_lo
	s_and_b32 s23, s21, exec_lo
	s_delay_alu instid0(SALU_CYCLE_1)
	s_or_b32 s19, s19, s23
	s_and_not1_b32 exec_lo, exec_lo, s20
	s_cbranch_execz .LBB1244_704
.LBB1244_709:                           ;   Parent Loop BB1244_706 Depth=1
                                        ; =>  This Inner Loop Header: Depth=2
	global_load_u16 v34, v[8:9], off
	global_load_u16 v35, v[10:11], off
	s_mov_b32 s24, -1
	s_mov_b32 s26, 0
	s_mov_b32 s23, -1
	s_mov_b32 s25, exec_lo
	s_waitcnt vmcnt(0)
	v_cmpx_nlt_f16_e32 v34, v35
; %bb.710:                              ;   in Loop: Header=BB1244_709 Depth=2
	v_cmp_ngt_f16_e32 vcc_lo, v34, v35
	s_and_b32 s22, vcc_lo, s22
	s_and_b32 s26, vcc_lo, exec_lo
	s_or_not1_b32 s23, s22, exec_lo
; %bb.711:                              ;   in Loop: Header=BB1244_709 Depth=2
	s_or_b32 exec_lo, exec_lo, s25
	s_delay_alu instid0(SALU_CYCLE_1) | instskip(SKIP_1) | instid1(SALU_CYCLE_1)
	s_and_not1_b32 s21, s21, exec_lo
	s_and_b32 s22, s23, exec_lo
	s_or_b32 s21, s21, s22
                                        ; implicit-def: $sgpr22
	s_and_saveexec_b32 s25, s26
	s_cbranch_execz .LBB1244_708
; %bb.712:                              ;   in Loop: Header=BB1244_709 Depth=2
	v_add_co_u32 v8, vcc_lo, v8, 2
	s_add_u32 s12, s12, -1
	s_addc_u32 s13, s13, -1
	v_add_co_ci_u32_e32 v9, vcc_lo, 0, v9, vcc_lo
	v_add_co_u32 v10, vcc_lo, v10, 2
	s_cmp_eq_u64 s[12:13], 0
	v_add_co_ci_u32_e32 v11, vcc_lo, 0, v11, vcc_lo
	s_cselect_b32 s24, -1, 0
	s_and_not1_b32 s21, s21, exec_lo
	s_and_b32 s22, s23, exec_lo
	s_or_not1_b32 s24, s24, exec_lo
	s_branch .LBB1244_708
.LBB1244_713:
	s_or_b32 exec_lo, exec_lo, s16
.LBB1244_714:
	s_delay_alu instid0(SALU_CYCLE_1) | instskip(SKIP_2) | instid1(VALU_DEP_2)
	s_or_b32 exec_lo, exec_lo, s3
	v_add_nc_u32_e32 v9, v25, v30
	v_add_nc_u32_e32 v8, v27, v29
	v_sub_nc_u32_e32 v9, v9, v27
	s_delay_alu instid0(VALU_DEP_2) | instskip(NEXT) | instid1(VALU_DEP_2)
	v_cmp_le_u32_e32 vcc_lo, v8, v25
	v_cmp_le_u32_e64 s3, v9, v26
	s_delay_alu instid0(VALU_DEP_1) | instskip(NEXT) | instid1(SALU_CYCLE_1)
	s_or_b32 s3, vcc_lo, s3
	s_and_saveexec_b32 s12, s3
	s_cbranch_execz .LBB1244_758
; %bb.715:
	v_cmp_ge_u32_e32 vcc_lo, v8, v25
	s_mov_b32 s4, exec_lo
                                        ; implicit-def: $vgpr0_vgpr1
	v_cmpx_lt_u32_e64 v8, v25
	s_cbranch_execz .LBB1244_717
; %bb.716:
	v_lshl_add_u32 v0, v27, 3, v28
	ds_load_b64 v[0:1], v0
.LBB1244_717:
	s_or_b32 exec_lo, exec_lo, s4
	v_cmp_ge_u32_e64 s3, v9, v26
	s_mov_b32 s5, exec_lo
                                        ; implicit-def: $vgpr2_vgpr3
	v_cmpx_lt_u32_e64 v9, v26
	s_cbranch_execz .LBB1244_719
; %bb.718:
	v_lshl_add_u32 v2, v9, 3, v19
	ds_load_b64 v[2:3], v2
.LBB1244_719:
	s_or_b32 exec_lo, exec_lo, s5
	s_or_b32 s4, vcc_lo, s3
	s_xor_b32 s5, vcc_lo, -1
	s_or_b32 s4, s4, s14
	s_or_b32 s3, s3, s5
	s_xor_b32 s4, s4, -1
	s_delay_alu instid0(SALU_CYCLE_1)
	s_and_saveexec_b32 s13, s4
	s_cbranch_execz .LBB1244_727
; %bb.720:
	s_waitcnt lgkmcnt(0)
	v_mul_lo_u32 v10, v3, s8
	v_mul_lo_u32 v11, v2, s9
	v_mad_u64_u32 v[4:5], null, v2, s8, 0
	v_mul_lo_u32 v27, v1, s8
	v_mul_lo_u32 v28, v0, s9
	v_mad_u64_u32 v[6:7], null, v0, s8, 0
	s_mov_b32 s16, 0
	s_mov_b64 s[4:5], s[8:9]
	s_delay_alu instid0(VALU_DEP_4) | instskip(NEXT) | instid1(VALU_DEP_2)
	v_add3_u32 v5, v5, v11, v10
                                        ; implicit-def: $sgpr19
                                        ; implicit-def: $sgpr20
                                        ; implicit-def: $sgpr21
	v_add3_u32 v7, v7, v28, v27
	s_delay_alu instid0(VALU_DEP_2) | instskip(NEXT) | instid1(VALU_DEP_2)
	v_lshlrev_b64 v[4:5], 1, v[4:5]
	v_lshlrev_b64 v[6:7], 1, v[6:7]
	s_delay_alu instid0(VALU_DEP_2) | instskip(NEXT) | instid1(VALU_DEP_3)
	v_add_co_u32 v4, vcc_lo, s10, v4
	v_add_co_ci_u32_e32 v5, vcc_lo, s11, v5, vcc_lo
	s_delay_alu instid0(VALU_DEP_3) | instskip(NEXT) | instid1(VALU_DEP_4)
	v_add_co_u32 v6, vcc_lo, s10, v6
	v_add_co_ci_u32_e32 v7, vcc_lo, s11, v7, vcc_lo
	s_set_inst_prefetch_distance 0x1
	s_branch .LBB1244_722
	.p2align	6
.LBB1244_721:                           ;   in Loop: Header=BB1244_722 Depth=1
	s_or_b32 exec_lo, exec_lo, s24
	s_delay_alu instid0(SALU_CYCLE_1) | instskip(NEXT) | instid1(SALU_CYCLE_1)
	s_and_b32 s22, exec_lo, s22
	s_or_b32 s16, s22, s16
	s_and_not1_b32 s19, s19, exec_lo
	s_and_b32 s22, s20, exec_lo
	s_delay_alu instid0(SALU_CYCLE_1)
	s_or_b32 s19, s19, s22
	s_and_not1_b32 exec_lo, exec_lo, s16
	s_cbranch_execz .LBB1244_726
.LBB1244_722:                           ; =>This Inner Loop Header: Depth=1
	global_load_u16 v10, v[4:5], off
	global_load_u16 v11, v[6:7], off
	s_mov_b32 s22, -1
	s_mov_b32 s25, 0
	s_mov_b32 s23, -1
	s_mov_b32 s24, exec_lo
	s_waitcnt vmcnt(0)
	v_cmpx_nlt_f16_e32 v10, v11
; %bb.723:                              ;   in Loop: Header=BB1244_722 Depth=1
	v_cmp_ngt_f16_e32 vcc_lo, v10, v11
	s_and_b32 s21, vcc_lo, s21
	s_and_b32 s25, vcc_lo, exec_lo
	s_or_not1_b32 s23, s21, exec_lo
; %bb.724:                              ;   in Loop: Header=BB1244_722 Depth=1
	s_or_b32 exec_lo, exec_lo, s24
	s_delay_alu instid0(SALU_CYCLE_1) | instskip(SKIP_1) | instid1(SALU_CYCLE_1)
	s_and_not1_b32 s20, s20, exec_lo
	s_and_b32 s21, s23, exec_lo
	s_or_b32 s20, s20, s21
                                        ; implicit-def: $sgpr21
	s_and_saveexec_b32 s24, s25
	s_cbranch_execz .LBB1244_721
; %bb.725:                              ;   in Loop: Header=BB1244_722 Depth=1
	v_add_co_u32 v4, vcc_lo, v4, 2
	s_add_u32 s4, s4, -1
	s_addc_u32 s5, s5, -1
	v_add_co_ci_u32_e32 v5, vcc_lo, 0, v5, vcc_lo
	v_add_co_u32 v6, vcc_lo, v6, 2
	s_cmp_eq_u64 s[4:5], 0
	v_add_co_ci_u32_e32 v7, vcc_lo, 0, v7, vcc_lo
	s_cselect_b32 s22, -1, 0
	s_and_b32 s21, s23, exec_lo
	s_and_not1_b32 s20, s20, exec_lo
	s_or_not1_b32 s22, s22, exec_lo
	s_branch .LBB1244_721
.LBB1244_726:
	s_set_inst_prefetch_distance 0x2
	s_or_b32 exec_lo, exec_lo, s16
	s_xor_b32 s4, s19, -1
	s_and_not1_b32 s3, s3, exec_lo
	s_and_b32 s4, s4, exec_lo
	s_delay_alu instid0(SALU_CYCLE_1)
	s_or_b32 s3, s3, s4
.LBB1244_727:
	s_or_b32 exec_lo, exec_lo, s13
	v_cndmask_b32_e64 v4, v9, v8, s3
	v_cndmask_b32_e64 v5, v26, v25, s3
	s_mov_b32 s13, -1
	s_mov_b32 s16, -1
	s_mov_b32 s19, exec_lo
	v_add_nc_u32_e32 v6, 1, v4
	v_add_nc_u32_e32 v4, -1, v5
	s_delay_alu instid0(VALU_DEP_2) | instskip(NEXT) | instid1(VALU_DEP_2)
	v_cndmask_b32_e64 v9, v6, v9, s3
	v_min_u32_e32 v4, v6, v4
	v_cndmask_b32_e64 v8, v8, v6, s3
	s_delay_alu instid0(VALU_DEP_2)
	v_lshl_add_u32 v4, v4, 3, v19
	ds_load_b64 v[4:5], v4
	s_waitcnt lgkmcnt(0)
	v_cndmask_b32_e64 v10, v5, v3, s3
	v_cndmask_b32_e64 v11, v4, v2, s3
	;; [unrolled: 1-line block ×4, first 2 shown]
	v_cmpx_lt_u32_e64 v9, v26
	s_cbranch_execz .LBB1244_737
; %bb.728:
	v_cmp_lt_u32_e64 s16, v8, v25
	s_delay_alu instid0(VALU_DEP_1) | instskip(NEXT) | instid1(SALU_CYCLE_1)
	s_and_b32 s4, s16, s15
	s_and_saveexec_b32 s20, s4
	s_cbranch_execz .LBB1244_736
; %bb.729:
	v_mul_lo_u32 v29, v10, s8
	v_mul_lo_u32 v30, v11, s9
	v_mad_u64_u32 v[4:5], null, v11, s8, 0
	v_mul_lo_u32 v31, v27, s8
	v_mul_lo_u32 v32, v28, s9
	v_mad_u64_u32 v[6:7], null, v28, s8, 0
	s_mov_b32 s21, 0
	s_mov_b64 s[4:5], s[8:9]
	s_delay_alu instid0(VALU_DEP_4) | instskip(NEXT) | instid1(VALU_DEP_2)
	v_add3_u32 v5, v5, v30, v29
                                        ; implicit-def: $sgpr22
                                        ; implicit-def: $sgpr23
                                        ; implicit-def: $sgpr24
	v_add3_u32 v7, v7, v32, v31
	s_delay_alu instid0(VALU_DEP_2) | instskip(NEXT) | instid1(VALU_DEP_2)
	v_lshlrev_b64 v[4:5], 1, v[4:5]
	v_lshlrev_b64 v[6:7], 1, v[6:7]
	s_delay_alu instid0(VALU_DEP_2) | instskip(NEXT) | instid1(VALU_DEP_3)
	v_add_co_u32 v4, vcc_lo, s10, v4
	v_add_co_ci_u32_e32 v5, vcc_lo, s11, v5, vcc_lo
	s_delay_alu instid0(VALU_DEP_3) | instskip(NEXT) | instid1(VALU_DEP_4)
	v_add_co_u32 v6, vcc_lo, s10, v6
	v_add_co_ci_u32_e32 v7, vcc_lo, s11, v7, vcc_lo
	s_set_inst_prefetch_distance 0x1
	s_branch .LBB1244_731
	.p2align	6
.LBB1244_730:                           ;   in Loop: Header=BB1244_731 Depth=1
	s_or_b32 exec_lo, exec_lo, s27
	s_delay_alu instid0(SALU_CYCLE_1) | instskip(NEXT) | instid1(SALU_CYCLE_1)
	s_and_b32 s25, exec_lo, s25
	s_or_b32 s21, s25, s21
	s_and_not1_b32 s22, s22, exec_lo
	s_and_b32 s25, s23, exec_lo
	s_delay_alu instid0(SALU_CYCLE_1)
	s_or_b32 s22, s22, s25
	s_and_not1_b32 exec_lo, exec_lo, s21
	s_cbranch_execz .LBB1244_735
.LBB1244_731:                           ; =>This Inner Loop Header: Depth=1
	global_load_u16 v29, v[4:5], off
	global_load_u16 v30, v[6:7], off
	s_mov_b32 s25, -1
	s_mov_b32 s28, 0
	s_mov_b32 s26, -1
	s_mov_b32 s27, exec_lo
	s_waitcnt vmcnt(0)
	v_cmpx_nlt_f16_e32 v29, v30
; %bb.732:                              ;   in Loop: Header=BB1244_731 Depth=1
	v_cmp_ngt_f16_e32 vcc_lo, v29, v30
	s_and_b32 s24, vcc_lo, s24
	s_and_b32 s28, vcc_lo, exec_lo
	s_or_not1_b32 s26, s24, exec_lo
; %bb.733:                              ;   in Loop: Header=BB1244_731 Depth=1
	s_or_b32 exec_lo, exec_lo, s27
	s_delay_alu instid0(SALU_CYCLE_1) | instskip(SKIP_1) | instid1(SALU_CYCLE_1)
	s_and_not1_b32 s23, s23, exec_lo
	s_and_b32 s24, s26, exec_lo
	s_or_b32 s23, s23, s24
                                        ; implicit-def: $sgpr24
	s_and_saveexec_b32 s27, s28
	s_cbranch_execz .LBB1244_730
; %bb.734:                              ;   in Loop: Header=BB1244_731 Depth=1
	v_add_co_u32 v4, vcc_lo, v4, 2
	s_add_u32 s4, s4, -1
	s_addc_u32 s5, s5, -1
	v_add_co_ci_u32_e32 v5, vcc_lo, 0, v5, vcc_lo
	v_add_co_u32 v6, vcc_lo, v6, 2
	s_cmp_eq_u64 s[4:5], 0
	v_add_co_ci_u32_e32 v7, vcc_lo, 0, v7, vcc_lo
	s_cselect_b32 s25, -1, 0
	s_and_b32 s24, s26, exec_lo
	s_and_not1_b32 s23, s23, exec_lo
	s_or_not1_b32 s25, s25, exec_lo
	s_branch .LBB1244_730
.LBB1244_735:
	s_set_inst_prefetch_distance 0x2
	s_or_b32 exec_lo, exec_lo, s21
	s_xor_b32 s4, s22, -1
	s_and_not1_b32 s5, s16, exec_lo
	s_and_b32 s4, s4, exec_lo
	s_delay_alu instid0(SALU_CYCLE_1)
	s_or_b32 s16, s5, s4
.LBB1244_736:
	s_or_b32 exec_lo, exec_lo, s20
	s_delay_alu instid0(SALU_CYCLE_1)
	s_or_not1_b32 s16, s16, exec_lo
.LBB1244_737:
	s_or_b32 exec_lo, exec_lo, s19
	v_cndmask_b32_e64 v4, v9, v8, s16
	v_cndmask_b32_e64 v5, v26, v25, s16
	s_mov_b32 s19, exec_lo
	s_delay_alu instid0(VALU_DEP_2) | instskip(NEXT) | instid1(VALU_DEP_2)
	v_add_nc_u32_e32 v6, 1, v4
	v_add_nc_u32_e32 v4, -1, v5
	s_delay_alu instid0(VALU_DEP_2) | instskip(NEXT) | instid1(VALU_DEP_2)
	v_cndmask_b32_e64 v9, v6, v9, s16
	v_min_u32_e32 v4, v6, v4
	v_cndmask_b32_e64 v8, v8, v6, s16
	s_delay_alu instid0(VALU_DEP_2)
	v_lshl_add_u32 v4, v4, 3, v19
	ds_load_b64 v[4:5], v4
	s_waitcnt lgkmcnt(0)
	v_cndmask_b32_e64 v29, v5, v10, s16
	v_cndmask_b32_e64 v30, v4, v11, s16
	;; [unrolled: 1-line block ×4, first 2 shown]
	v_cmpx_lt_u32_e64 v9, v26
	s_cbranch_execz .LBB1244_747
; %bb.738:
	v_cmp_lt_u32_e64 s13, v8, v25
	s_delay_alu instid0(VALU_DEP_1) | instskip(NEXT) | instid1(SALU_CYCLE_1)
	s_and_b32 s4, s13, s15
	s_and_saveexec_b32 s20, s4
	s_cbranch_execz .LBB1244_746
; %bb.739:
	v_mul_lo_u32 v33, v29, s8
	v_mul_lo_u32 v34, v30, s9
	v_mad_u64_u32 v[4:5], null, v30, s8, 0
	v_mul_lo_u32 v35, v31, s8
	v_mul_lo_u32 v36, v32, s9
	v_mad_u64_u32 v[6:7], null, v32, s8, 0
	s_mov_b32 s21, 0
	s_mov_b64 s[4:5], s[8:9]
	s_delay_alu instid0(VALU_DEP_4) | instskip(NEXT) | instid1(VALU_DEP_2)
	v_add3_u32 v5, v5, v34, v33
                                        ; implicit-def: $sgpr22
                                        ; implicit-def: $sgpr23
                                        ; implicit-def: $sgpr24
	v_add3_u32 v7, v7, v36, v35
	s_delay_alu instid0(VALU_DEP_2) | instskip(NEXT) | instid1(VALU_DEP_2)
	v_lshlrev_b64 v[4:5], 1, v[4:5]
	v_lshlrev_b64 v[6:7], 1, v[6:7]
	s_delay_alu instid0(VALU_DEP_2) | instskip(NEXT) | instid1(VALU_DEP_3)
	v_add_co_u32 v4, vcc_lo, s10, v4
	v_add_co_ci_u32_e32 v5, vcc_lo, s11, v5, vcc_lo
	s_delay_alu instid0(VALU_DEP_3) | instskip(NEXT) | instid1(VALU_DEP_4)
	v_add_co_u32 v6, vcc_lo, s10, v6
	v_add_co_ci_u32_e32 v7, vcc_lo, s11, v7, vcc_lo
	s_set_inst_prefetch_distance 0x1
	s_branch .LBB1244_741
	.p2align	6
.LBB1244_740:                           ;   in Loop: Header=BB1244_741 Depth=1
	s_or_b32 exec_lo, exec_lo, s27
	s_delay_alu instid0(SALU_CYCLE_1) | instskip(NEXT) | instid1(SALU_CYCLE_1)
	s_and_b32 s25, exec_lo, s25
	s_or_b32 s21, s25, s21
	s_and_not1_b32 s22, s22, exec_lo
	s_and_b32 s25, s23, exec_lo
	s_delay_alu instid0(SALU_CYCLE_1)
	s_or_b32 s22, s22, s25
	s_and_not1_b32 exec_lo, exec_lo, s21
	s_cbranch_execz .LBB1244_745
.LBB1244_741:                           ; =>This Inner Loop Header: Depth=1
	global_load_u16 v33, v[4:5], off
	global_load_u16 v34, v[6:7], off
	s_mov_b32 s25, -1
	s_mov_b32 s28, 0
	s_mov_b32 s26, -1
	s_mov_b32 s27, exec_lo
	s_waitcnt vmcnt(0)
	v_cmpx_nlt_f16_e32 v33, v34
; %bb.742:                              ;   in Loop: Header=BB1244_741 Depth=1
	v_cmp_ngt_f16_e32 vcc_lo, v33, v34
	s_and_b32 s24, vcc_lo, s24
	s_and_b32 s28, vcc_lo, exec_lo
	s_or_not1_b32 s26, s24, exec_lo
; %bb.743:                              ;   in Loop: Header=BB1244_741 Depth=1
	s_or_b32 exec_lo, exec_lo, s27
	s_delay_alu instid0(SALU_CYCLE_1) | instskip(SKIP_1) | instid1(SALU_CYCLE_1)
	s_and_not1_b32 s23, s23, exec_lo
	s_and_b32 s24, s26, exec_lo
	s_or_b32 s23, s23, s24
                                        ; implicit-def: $sgpr24
	s_and_saveexec_b32 s27, s28
	s_cbranch_execz .LBB1244_740
; %bb.744:                              ;   in Loop: Header=BB1244_741 Depth=1
	v_add_co_u32 v4, vcc_lo, v4, 2
	s_add_u32 s4, s4, -1
	s_addc_u32 s5, s5, -1
	v_add_co_ci_u32_e32 v5, vcc_lo, 0, v5, vcc_lo
	v_add_co_u32 v6, vcc_lo, v6, 2
	s_cmp_eq_u64 s[4:5], 0
	v_add_co_ci_u32_e32 v7, vcc_lo, 0, v7, vcc_lo
	s_cselect_b32 s25, -1, 0
	s_and_b32 s24, s26, exec_lo
	s_and_not1_b32 s23, s23, exec_lo
	s_or_not1_b32 s25, s25, exec_lo
	s_branch .LBB1244_740
.LBB1244_745:
	s_set_inst_prefetch_distance 0x2
	s_or_b32 exec_lo, exec_lo, s21
	s_xor_b32 s4, s22, -1
	s_and_not1_b32 s5, s13, exec_lo
	s_and_b32 s4, s4, exec_lo
	s_delay_alu instid0(SALU_CYCLE_1)
	s_or_b32 s13, s5, s4
.LBB1244_746:
	s_or_b32 exec_lo, exec_lo, s20
	s_delay_alu instid0(SALU_CYCLE_1)
	s_or_not1_b32 s13, s13, exec_lo
.LBB1244_747:
	s_or_b32 exec_lo, exec_lo, s19
	v_cndmask_b32_e64 v4, v9, v8, s13
	v_cndmask_b32_e64 v5, v26, v25, s13
	s_mov_b32 s19, exec_lo
	s_delay_alu instid0(VALU_DEP_2) | instskip(NEXT) | instid1(VALU_DEP_2)
	v_add_nc_u32_e32 v33, 1, v4
	v_add_nc_u32_e32 v4, -1, v5
	s_delay_alu instid0(VALU_DEP_2) | instskip(NEXT) | instid1(VALU_DEP_2)
	v_cndmask_b32_e64 v9, v33, v9, s13
	v_min_u32_e32 v4, v33, v4
	s_delay_alu instid0(VALU_DEP_1)
	v_lshl_add_u32 v4, v4, 3, v19
	ds_load_b64 v[4:5], v4
	s_waitcnt lgkmcnt(0)
	v_cndmask_b32_e64 v7, v31, v5, s13
	v_cndmask_b32_e64 v6, v32, v4, s13
	v_cmpx_lt_u32_e64 v9, v26
	s_cbranch_execz .LBB1244_757
; %bb.748:
	v_cndmask_b32_e64 v8, v8, v33, s13
	v_cndmask_b32_e64 v26, v5, v29, s13
	;; [unrolled: 1-line block ×3, first 2 shown]
	s_delay_alu instid0(VALU_DEP_3) | instskip(NEXT) | instid1(VALU_DEP_2)
	v_cmp_ge_u32_e32 vcc_lo, v8, v25
	v_dual_cndmask_b32 v5, v7, v26 :: v_dual_cndmask_b32 v4, v6, v33
	s_or_b32 s4, vcc_lo, s14
	s_delay_alu instid0(SALU_CYCLE_1) | instskip(NEXT) | instid1(SALU_CYCLE_1)
	s_xor_b32 s4, s4, -1
	s_and_saveexec_b32 s20, s4
	s_cbranch_execz .LBB1244_756
; %bb.749:
	v_mul_lo_u32 v25, v26, s8
	v_mul_lo_u32 v34, v33, s9
	v_mad_u64_u32 v[4:5], null, v33, s8, 0
	v_mul_lo_u32 v35, v7, s8
	v_mul_lo_u32 v36, v6, s9
	v_mad_u64_u32 v[8:9], null, v6, s8, 0
	s_mov_b32 s21, 0
	s_mov_b64 s[4:5], s[8:9]
	s_delay_alu instid0(VALU_DEP_4) | instskip(NEXT) | instid1(VALU_DEP_2)
	v_add3_u32 v5, v5, v34, v25
                                        ; implicit-def: $sgpr22
                                        ; implicit-def: $sgpr23
                                        ; implicit-def: $sgpr24
	v_add3_u32 v9, v9, v36, v35
	s_delay_alu instid0(VALU_DEP_2) | instskip(NEXT) | instid1(VALU_DEP_2)
	v_lshlrev_b64 v[4:5], 1, v[4:5]
	v_lshlrev_b64 v[8:9], 1, v[8:9]
	s_delay_alu instid0(VALU_DEP_2) | instskip(NEXT) | instid1(VALU_DEP_3)
	v_add_co_u32 v4, vcc_lo, s10, v4
	v_add_co_ci_u32_e32 v5, vcc_lo, s11, v5, vcc_lo
	s_delay_alu instid0(VALU_DEP_3) | instskip(NEXT) | instid1(VALU_DEP_4)
	v_add_co_u32 v8, vcc_lo, s10, v8
	v_add_co_ci_u32_e32 v9, vcc_lo, s11, v9, vcc_lo
	s_set_inst_prefetch_distance 0x1
	s_branch .LBB1244_751
	.p2align	6
.LBB1244_750:                           ;   in Loop: Header=BB1244_751 Depth=1
	s_or_b32 exec_lo, exec_lo, s27
	s_delay_alu instid0(SALU_CYCLE_1) | instskip(NEXT) | instid1(SALU_CYCLE_1)
	s_and_b32 s25, exec_lo, s25
	s_or_b32 s21, s25, s21
	s_and_not1_b32 s22, s22, exec_lo
	s_and_b32 s25, s23, exec_lo
	s_delay_alu instid0(SALU_CYCLE_1)
	s_or_b32 s22, s22, s25
	s_and_not1_b32 exec_lo, exec_lo, s21
	s_cbranch_execz .LBB1244_755
.LBB1244_751:                           ; =>This Inner Loop Header: Depth=1
	global_load_u16 v25, v[4:5], off
	global_load_u16 v34, v[8:9], off
	s_mov_b32 s25, -1
	s_mov_b32 s28, 0
	s_mov_b32 s26, -1
	s_mov_b32 s27, exec_lo
	s_waitcnt vmcnt(0)
	v_cmpx_nlt_f16_e32 v25, v34
; %bb.752:                              ;   in Loop: Header=BB1244_751 Depth=1
	v_cmp_ngt_f16_e32 vcc_lo, v25, v34
	s_and_b32 s24, vcc_lo, s24
	s_and_b32 s28, vcc_lo, exec_lo
	s_or_not1_b32 s26, s24, exec_lo
; %bb.753:                              ;   in Loop: Header=BB1244_751 Depth=1
	s_or_b32 exec_lo, exec_lo, s27
	s_delay_alu instid0(SALU_CYCLE_1) | instskip(SKIP_1) | instid1(SALU_CYCLE_1)
	s_and_not1_b32 s23, s23, exec_lo
	s_and_b32 s24, s26, exec_lo
	s_or_b32 s23, s23, s24
                                        ; implicit-def: $sgpr24
	s_and_saveexec_b32 s27, s28
	s_cbranch_execz .LBB1244_750
; %bb.754:                              ;   in Loop: Header=BB1244_751 Depth=1
	v_add_co_u32 v4, vcc_lo, v4, 2
	s_add_u32 s4, s4, -1
	s_addc_u32 s5, s5, -1
	v_add_co_ci_u32_e32 v5, vcc_lo, 0, v5, vcc_lo
	v_add_co_u32 v8, vcc_lo, v8, 2
	s_cmp_eq_u64 s[4:5], 0
	v_add_co_ci_u32_e32 v9, vcc_lo, 0, v9, vcc_lo
	s_cselect_b32 s25, -1, 0
	s_and_b32 s24, s26, exec_lo
	s_and_not1_b32 s23, s23, exec_lo
	s_or_not1_b32 s25, s25, exec_lo
	s_branch .LBB1244_750
.LBB1244_755:
	s_set_inst_prefetch_distance 0x2
	s_or_b32 exec_lo, exec_lo, s21
	v_cndmask_b32_e64 v5, v7, v26, s22
	v_cndmask_b32_e64 v4, v6, v33, s22
.LBB1244_756:
	s_or_b32 exec_lo, exec_lo, s20
	s_delay_alu instid0(VALU_DEP_1)
	v_dual_mov_b32 v7, v5 :: v_dual_mov_b32 v6, v4
.LBB1244_757:
	s_or_b32 exec_lo, exec_lo, s19
	v_cndmask_b32_e64 v1, v3, v1, s3
	v_cndmask_b32_e64 v0, v2, v0, s3
	;; [unrolled: 1-line block ×6, first 2 shown]
.LBB1244_758:
	s_or_b32 exec_lo, exec_lo, s12
	v_and_b32_e32 v27, 64, v21
	v_and_b32_e32 v9, 60, v21
	s_mov_b32 s3, exec_lo
	; wave barrier
	s_delay_alu instid0(VALU_DEP_2) | instskip(NEXT) | instid1(VALU_DEP_2)
	v_or_b32_e32 v8, 32, v27
	v_min_u32_e32 v28, v20, v9
	v_lshl_add_u32 v26, v27, 3, v19
	ds_store_b128 v24, v[0:3]
	ds_store_b128 v24, v[4:7] offset:16
	v_min_u32_e32 v25, v20, v8
	; wave barrier
	s_delay_alu instid0(VALU_DEP_1) | instskip(SKIP_1) | instid1(VALU_DEP_2)
	v_add_nc_u32_e32 v8, 32, v25
	v_sub_nc_u32_e32 v9, v25, v27
	v_min_u32_e32 v21, v20, v8
	s_delay_alu instid0(VALU_DEP_2) | instskip(NEXT) | instid1(VALU_DEP_2)
	v_min_u32_e32 v29, v28, v9
	v_sub_nc_u32_e32 v8, v21, v25
	s_delay_alu instid0(VALU_DEP_1) | instskip(NEXT) | instid1(VALU_DEP_1)
	v_sub_nc_u32_e64 v20, v28, v8 clamp
	v_cmpx_lt_u32_e64 v20, v29
	s_cbranch_execz .LBB1244_770
; %bb.759:
	v_lshlrev_b32_e32 v8, 3, v25
	v_lshlrev_b32_e32 v9, 3, v28
	s_lshl_b64 s[4:5], s[8:9], 1
	s_mov_b32 s16, 0
	s_delay_alu instid0(VALU_DEP_1)
	v_add3_u32 v24, v19, v8, v9
	s_branch .LBB1244_762
.LBB1244_760:                           ;   in Loop: Header=BB1244_762 Depth=1
	s_set_inst_prefetch_distance 0x2
	s_or_b32 exec_lo, exec_lo, s20
.LBB1244_761:                           ;   in Loop: Header=BB1244_762 Depth=1
	s_delay_alu instid0(VALU_DEP_1) | instskip(SKIP_1) | instid1(VALU_DEP_2)
	v_add_nc_u32_e32 v8, 1, v30
	v_cndmask_b32_e64 v29, v29, v30, s19
	v_cndmask_b32_e64 v20, v8, v20, s19
	s_delay_alu instid0(VALU_DEP_1) | instskip(SKIP_1) | instid1(SALU_CYCLE_1)
	v_cmp_ge_u32_e32 vcc_lo, v20, v29
	s_or_b32 s16, vcc_lo, s16
	s_and_not1_b32 exec_lo, exec_lo, s16
	s_cbranch_execz .LBB1244_769
.LBB1244_762:                           ; =>This Loop Header: Depth=1
                                        ;     Child Loop BB1244_765 Depth 2
	v_add_nc_u32_e32 v8, v29, v20
	v_cmp_ne_u32_e32 vcc_lo, 1, v18
	s_mov_b32 s19, 0
	s_delay_alu instid0(VALU_DEP_2)
	v_lshrrev_b32_e32 v30, 1, v8
	s_cbranch_vccnz .LBB1244_761
; %bb.763:                              ;   in Loop: Header=BB1244_762 Depth=1
	s_delay_alu instid0(VALU_DEP_1) | instskip(SKIP_3) | instid1(VALU_DEP_2)
	v_not_b32_e32 v8, v30
	v_lshl_add_u32 v9, v30, 3, v26
	s_mov_b32 s20, 0
	s_mov_b64 s[12:13], s[8:9]
                                        ; implicit-def: $sgpr19
                                        ; implicit-def: $sgpr21
                                        ; implicit-def: $sgpr22
	v_lshl_add_u32 v8, v8, 3, v24
	ds_load_b64 v[10:11], v8
	ds_load_b64 v[31:32], v9
	s_waitcnt lgkmcnt(1)
	v_mul_lo_u32 v33, s4, v11
	v_mul_lo_u32 v34, s5, v10
	v_mad_u64_u32 v[8:9], null, s4, v10, s[10:11]
	s_waitcnt lgkmcnt(0)
	v_mul_lo_u32 v32, s4, v32
	v_mul_lo_u32 v35, s5, v31
	v_mad_u64_u32 v[10:11], null, s4, v31, s[10:11]
	s_delay_alu instid0(VALU_DEP_4) | instskip(NEXT) | instid1(VALU_DEP_2)
	v_add3_u32 v9, v34, v9, v33
	v_add3_u32 v11, v35, v11, v32
	s_set_inst_prefetch_distance 0x1
	s_branch .LBB1244_765
	.p2align	6
.LBB1244_764:                           ;   in Loop: Header=BB1244_765 Depth=2
	s_or_b32 exec_lo, exec_lo, s25
	s_delay_alu instid0(SALU_CYCLE_1) | instskip(NEXT) | instid1(SALU_CYCLE_1)
	s_and_b32 s23, exec_lo, s24
	s_or_b32 s20, s23, s20
	s_and_not1_b32 s19, s19, exec_lo
	s_and_b32 s23, s21, exec_lo
	s_delay_alu instid0(SALU_CYCLE_1)
	s_or_b32 s19, s19, s23
	s_and_not1_b32 exec_lo, exec_lo, s20
	s_cbranch_execz .LBB1244_760
.LBB1244_765:                           ;   Parent Loop BB1244_762 Depth=1
                                        ; =>  This Inner Loop Header: Depth=2
	global_load_u16 v31, v[8:9], off
	global_load_u16 v32, v[10:11], off
	s_mov_b32 s24, -1
	s_mov_b32 s26, 0
	s_mov_b32 s23, -1
	s_mov_b32 s25, exec_lo
	s_waitcnt vmcnt(0)
	v_cmpx_nlt_f16_e32 v31, v32
; %bb.766:                              ;   in Loop: Header=BB1244_765 Depth=2
	v_cmp_ngt_f16_e32 vcc_lo, v31, v32
	s_and_b32 s22, vcc_lo, s22
	s_and_b32 s26, vcc_lo, exec_lo
	s_or_not1_b32 s23, s22, exec_lo
; %bb.767:                              ;   in Loop: Header=BB1244_765 Depth=2
	s_or_b32 exec_lo, exec_lo, s25
	s_delay_alu instid0(SALU_CYCLE_1) | instskip(SKIP_1) | instid1(SALU_CYCLE_1)
	s_and_not1_b32 s21, s21, exec_lo
	s_and_b32 s22, s23, exec_lo
	s_or_b32 s21, s21, s22
                                        ; implicit-def: $sgpr22
	s_and_saveexec_b32 s25, s26
	s_cbranch_execz .LBB1244_764
; %bb.768:                              ;   in Loop: Header=BB1244_765 Depth=2
	v_add_co_u32 v8, vcc_lo, v8, 2
	s_add_u32 s12, s12, -1
	s_addc_u32 s13, s13, -1
	v_add_co_ci_u32_e32 v9, vcc_lo, 0, v9, vcc_lo
	v_add_co_u32 v10, vcc_lo, v10, 2
	s_cmp_eq_u64 s[12:13], 0
	v_add_co_ci_u32_e32 v11, vcc_lo, 0, v11, vcc_lo
	s_cselect_b32 s24, -1, 0
	s_and_not1_b32 s21, s21, exec_lo
	s_and_b32 s22, s23, exec_lo
	s_or_not1_b32 s24, s24, exec_lo
	s_branch .LBB1244_764
.LBB1244_769:
	s_or_b32 exec_lo, exec_lo, s16
.LBB1244_770:
	s_delay_alu instid0(SALU_CYCLE_1) | instskip(SKIP_2) | instid1(VALU_DEP_2)
	s_or_b32 exec_lo, exec_lo, s3
	v_add_nc_u32_e32 v9, v25, v28
	v_add_nc_u32_e32 v8, v20, v27
	v_sub_nc_u32_e32 v9, v9, v20
	s_delay_alu instid0(VALU_DEP_2) | instskip(NEXT) | instid1(VALU_DEP_2)
	v_cmp_le_u32_e32 vcc_lo, v8, v25
	v_cmp_le_u32_e64 s3, v9, v21
	s_delay_alu instid0(VALU_DEP_1) | instskip(NEXT) | instid1(SALU_CYCLE_1)
	s_or_b32 s3, vcc_lo, s3
	s_and_saveexec_b32 s12, s3
	s_cbranch_execz .LBB1244_814
; %bb.771:
	v_cmp_ge_u32_e32 vcc_lo, v8, v25
	s_mov_b32 s4, exec_lo
                                        ; implicit-def: $vgpr0_vgpr1
	v_cmpx_lt_u32_e64 v8, v25
	s_cbranch_execz .LBB1244_773
; %bb.772:
	v_lshl_add_u32 v0, v20, 3, v26
	ds_load_b64 v[0:1], v0
.LBB1244_773:
	s_or_b32 exec_lo, exec_lo, s4
	v_cmp_ge_u32_e64 s3, v9, v21
	s_mov_b32 s5, exec_lo
                                        ; implicit-def: $vgpr2_vgpr3
	v_cmpx_lt_u32_e64 v9, v21
	s_cbranch_execz .LBB1244_775
; %bb.774:
	v_lshl_add_u32 v2, v9, 3, v19
	ds_load_b64 v[2:3], v2
.LBB1244_775:
	s_or_b32 exec_lo, exec_lo, s5
	s_or_b32 s4, vcc_lo, s3
	s_xor_b32 s5, vcc_lo, -1
	s_or_b32 s4, s4, s14
	s_or_b32 s3, s3, s5
	s_xor_b32 s4, s4, -1
	s_delay_alu instid0(SALU_CYCLE_1)
	s_and_saveexec_b32 s13, s4
	s_cbranch_execz .LBB1244_783
; %bb.776:
	s_waitcnt lgkmcnt(0)
	v_mul_lo_u32 v10, v3, s8
	v_mul_lo_u32 v11, v2, s9
	v_mad_u64_u32 v[4:5], null, v2, s8, 0
	v_mul_lo_u32 v20, v1, s8
	v_mul_lo_u32 v24, v0, s9
	v_mad_u64_u32 v[6:7], null, v0, s8, 0
	s_mov_b32 s16, 0
	s_mov_b64 s[4:5], s[8:9]
	s_delay_alu instid0(VALU_DEP_4) | instskip(NEXT) | instid1(VALU_DEP_2)
	v_add3_u32 v5, v5, v11, v10
                                        ; implicit-def: $sgpr19
                                        ; implicit-def: $sgpr20
                                        ; implicit-def: $sgpr21
	v_add3_u32 v7, v7, v24, v20
	s_delay_alu instid0(VALU_DEP_2) | instskip(NEXT) | instid1(VALU_DEP_2)
	v_lshlrev_b64 v[4:5], 1, v[4:5]
	v_lshlrev_b64 v[6:7], 1, v[6:7]
	s_delay_alu instid0(VALU_DEP_2) | instskip(NEXT) | instid1(VALU_DEP_3)
	v_add_co_u32 v4, vcc_lo, s10, v4
	v_add_co_ci_u32_e32 v5, vcc_lo, s11, v5, vcc_lo
	s_delay_alu instid0(VALU_DEP_3) | instskip(NEXT) | instid1(VALU_DEP_4)
	v_add_co_u32 v6, vcc_lo, s10, v6
	v_add_co_ci_u32_e32 v7, vcc_lo, s11, v7, vcc_lo
	s_set_inst_prefetch_distance 0x1
	s_branch .LBB1244_778
	.p2align	6
.LBB1244_777:                           ;   in Loop: Header=BB1244_778 Depth=1
	s_or_b32 exec_lo, exec_lo, s24
	s_delay_alu instid0(SALU_CYCLE_1) | instskip(NEXT) | instid1(SALU_CYCLE_1)
	s_and_b32 s22, exec_lo, s22
	s_or_b32 s16, s22, s16
	s_and_not1_b32 s19, s19, exec_lo
	s_and_b32 s22, s20, exec_lo
	s_delay_alu instid0(SALU_CYCLE_1)
	s_or_b32 s19, s19, s22
	s_and_not1_b32 exec_lo, exec_lo, s16
	s_cbranch_execz .LBB1244_782
.LBB1244_778:                           ; =>This Inner Loop Header: Depth=1
	global_load_u16 v10, v[4:5], off
	global_load_u16 v11, v[6:7], off
	s_mov_b32 s22, -1
	s_mov_b32 s25, 0
	s_mov_b32 s23, -1
	s_mov_b32 s24, exec_lo
	s_waitcnt vmcnt(0)
	v_cmpx_nlt_f16_e32 v10, v11
; %bb.779:                              ;   in Loop: Header=BB1244_778 Depth=1
	v_cmp_ngt_f16_e32 vcc_lo, v10, v11
	s_and_b32 s21, vcc_lo, s21
	s_and_b32 s25, vcc_lo, exec_lo
	s_or_not1_b32 s23, s21, exec_lo
; %bb.780:                              ;   in Loop: Header=BB1244_778 Depth=1
	s_or_b32 exec_lo, exec_lo, s24
	s_delay_alu instid0(SALU_CYCLE_1) | instskip(SKIP_1) | instid1(SALU_CYCLE_1)
	s_and_not1_b32 s20, s20, exec_lo
	s_and_b32 s21, s23, exec_lo
	s_or_b32 s20, s20, s21
                                        ; implicit-def: $sgpr21
	s_and_saveexec_b32 s24, s25
	s_cbranch_execz .LBB1244_777
; %bb.781:                              ;   in Loop: Header=BB1244_778 Depth=1
	v_add_co_u32 v4, vcc_lo, v4, 2
	s_add_u32 s4, s4, -1
	s_addc_u32 s5, s5, -1
	v_add_co_ci_u32_e32 v5, vcc_lo, 0, v5, vcc_lo
	v_add_co_u32 v6, vcc_lo, v6, 2
	s_cmp_eq_u64 s[4:5], 0
	v_add_co_ci_u32_e32 v7, vcc_lo, 0, v7, vcc_lo
	s_cselect_b32 s22, -1, 0
	s_and_b32 s21, s23, exec_lo
	s_and_not1_b32 s20, s20, exec_lo
	s_or_not1_b32 s22, s22, exec_lo
	s_branch .LBB1244_777
.LBB1244_782:
	s_set_inst_prefetch_distance 0x2
	s_or_b32 exec_lo, exec_lo, s16
	s_xor_b32 s4, s19, -1
	s_and_not1_b32 s3, s3, exec_lo
	s_and_b32 s4, s4, exec_lo
	s_delay_alu instid0(SALU_CYCLE_1)
	s_or_b32 s3, s3, s4
.LBB1244_783:
	s_or_b32 exec_lo, exec_lo, s13
	v_cndmask_b32_e64 v4, v9, v8, s3
	v_cndmask_b32_e64 v5, v21, v25, s3
	s_mov_b32 s13, -1
	s_mov_b32 s16, -1
	s_mov_b32 s19, exec_lo
	v_add_nc_u32_e32 v6, 1, v4
	v_add_nc_u32_e32 v4, -1, v5
	s_delay_alu instid0(VALU_DEP_2) | instskip(NEXT) | instid1(VALU_DEP_2)
	v_cndmask_b32_e64 v9, v6, v9, s3
	v_min_u32_e32 v4, v6, v4
	v_cndmask_b32_e64 v8, v8, v6, s3
	s_delay_alu instid0(VALU_DEP_2)
	v_lshl_add_u32 v4, v4, 3, v19
	ds_load_b64 v[4:5], v4
	s_waitcnt lgkmcnt(0)
	v_cndmask_b32_e64 v10, v5, v3, s3
	v_cndmask_b32_e64 v11, v4, v2, s3
	;; [unrolled: 1-line block ×4, first 2 shown]
	v_cmpx_lt_u32_e64 v9, v21
	s_cbranch_execz .LBB1244_793
; %bb.784:
	v_cmp_lt_u32_e64 s16, v8, v25
	s_delay_alu instid0(VALU_DEP_1) | instskip(NEXT) | instid1(SALU_CYCLE_1)
	s_and_b32 s4, s16, s15
	s_and_saveexec_b32 s20, s4
	s_cbranch_execz .LBB1244_792
; %bb.785:
	v_mul_lo_u32 v26, v10, s8
	v_mul_lo_u32 v27, v11, s9
	v_mad_u64_u32 v[4:5], null, v11, s8, 0
	v_mul_lo_u32 v28, v20, s8
	v_mul_lo_u32 v29, v24, s9
	v_mad_u64_u32 v[6:7], null, v24, s8, 0
	s_mov_b32 s21, 0
	s_mov_b64 s[4:5], s[8:9]
	s_delay_alu instid0(VALU_DEP_4) | instskip(NEXT) | instid1(VALU_DEP_2)
	v_add3_u32 v5, v5, v27, v26
                                        ; implicit-def: $sgpr22
                                        ; implicit-def: $sgpr23
                                        ; implicit-def: $sgpr24
	v_add3_u32 v7, v7, v29, v28
	s_delay_alu instid0(VALU_DEP_2) | instskip(NEXT) | instid1(VALU_DEP_2)
	v_lshlrev_b64 v[4:5], 1, v[4:5]
	v_lshlrev_b64 v[6:7], 1, v[6:7]
	s_delay_alu instid0(VALU_DEP_2) | instskip(NEXT) | instid1(VALU_DEP_3)
	v_add_co_u32 v4, vcc_lo, s10, v4
	v_add_co_ci_u32_e32 v5, vcc_lo, s11, v5, vcc_lo
	s_delay_alu instid0(VALU_DEP_3) | instskip(NEXT) | instid1(VALU_DEP_4)
	v_add_co_u32 v6, vcc_lo, s10, v6
	v_add_co_ci_u32_e32 v7, vcc_lo, s11, v7, vcc_lo
	s_set_inst_prefetch_distance 0x1
	s_branch .LBB1244_787
	.p2align	6
.LBB1244_786:                           ;   in Loop: Header=BB1244_787 Depth=1
	s_or_b32 exec_lo, exec_lo, s27
	s_delay_alu instid0(SALU_CYCLE_1) | instskip(NEXT) | instid1(SALU_CYCLE_1)
	s_and_b32 s25, exec_lo, s25
	s_or_b32 s21, s25, s21
	s_and_not1_b32 s22, s22, exec_lo
	s_and_b32 s25, s23, exec_lo
	s_delay_alu instid0(SALU_CYCLE_1)
	s_or_b32 s22, s22, s25
	s_and_not1_b32 exec_lo, exec_lo, s21
	s_cbranch_execz .LBB1244_791
.LBB1244_787:                           ; =>This Inner Loop Header: Depth=1
	global_load_u16 v26, v[4:5], off
	global_load_u16 v27, v[6:7], off
	s_mov_b32 s25, -1
	s_mov_b32 s28, 0
	s_mov_b32 s26, -1
	s_mov_b32 s27, exec_lo
	s_waitcnt vmcnt(0)
	v_cmpx_nlt_f16_e32 v26, v27
; %bb.788:                              ;   in Loop: Header=BB1244_787 Depth=1
	v_cmp_ngt_f16_e32 vcc_lo, v26, v27
	s_and_b32 s24, vcc_lo, s24
	s_and_b32 s28, vcc_lo, exec_lo
	s_or_not1_b32 s26, s24, exec_lo
; %bb.789:                              ;   in Loop: Header=BB1244_787 Depth=1
	s_or_b32 exec_lo, exec_lo, s27
	s_delay_alu instid0(SALU_CYCLE_1) | instskip(SKIP_1) | instid1(SALU_CYCLE_1)
	s_and_not1_b32 s23, s23, exec_lo
	s_and_b32 s24, s26, exec_lo
	s_or_b32 s23, s23, s24
                                        ; implicit-def: $sgpr24
	s_and_saveexec_b32 s27, s28
	s_cbranch_execz .LBB1244_786
; %bb.790:                              ;   in Loop: Header=BB1244_787 Depth=1
	v_add_co_u32 v4, vcc_lo, v4, 2
	s_add_u32 s4, s4, -1
	s_addc_u32 s5, s5, -1
	v_add_co_ci_u32_e32 v5, vcc_lo, 0, v5, vcc_lo
	v_add_co_u32 v6, vcc_lo, v6, 2
	s_cmp_eq_u64 s[4:5], 0
	v_add_co_ci_u32_e32 v7, vcc_lo, 0, v7, vcc_lo
	s_cselect_b32 s25, -1, 0
	s_and_b32 s24, s26, exec_lo
	s_and_not1_b32 s23, s23, exec_lo
	s_or_not1_b32 s25, s25, exec_lo
	s_branch .LBB1244_786
.LBB1244_791:
	s_set_inst_prefetch_distance 0x2
	s_or_b32 exec_lo, exec_lo, s21
	s_xor_b32 s4, s22, -1
	s_and_not1_b32 s5, s16, exec_lo
	s_and_b32 s4, s4, exec_lo
	s_delay_alu instid0(SALU_CYCLE_1)
	s_or_b32 s16, s5, s4
.LBB1244_792:
	s_or_b32 exec_lo, exec_lo, s20
	s_delay_alu instid0(SALU_CYCLE_1)
	s_or_not1_b32 s16, s16, exec_lo
.LBB1244_793:
	s_or_b32 exec_lo, exec_lo, s19
	v_cndmask_b32_e64 v4, v9, v8, s16
	v_cndmask_b32_e64 v5, v21, v25, s16
	s_mov_b32 s19, exec_lo
	s_delay_alu instid0(VALU_DEP_2) | instskip(NEXT) | instid1(VALU_DEP_2)
	v_add_nc_u32_e32 v6, 1, v4
	v_add_nc_u32_e32 v4, -1, v5
	s_delay_alu instid0(VALU_DEP_2) | instskip(NEXT) | instid1(VALU_DEP_2)
	v_cndmask_b32_e64 v9, v6, v9, s16
	v_min_u32_e32 v4, v6, v4
	v_cndmask_b32_e64 v8, v8, v6, s16
	s_delay_alu instid0(VALU_DEP_2)
	v_lshl_add_u32 v4, v4, 3, v19
	ds_load_b64 v[4:5], v4
	s_waitcnt lgkmcnt(0)
	v_cndmask_b32_e64 v26, v5, v10, s16
	v_cndmask_b32_e64 v27, v4, v11, s16
	;; [unrolled: 1-line block ×4, first 2 shown]
	v_cmpx_lt_u32_e64 v9, v21
	s_cbranch_execz .LBB1244_803
; %bb.794:
	v_cmp_lt_u32_e64 s13, v8, v25
	s_delay_alu instid0(VALU_DEP_1) | instskip(NEXT) | instid1(SALU_CYCLE_1)
	s_and_b32 s4, s13, s15
	s_and_saveexec_b32 s20, s4
	s_cbranch_execz .LBB1244_802
; %bb.795:
	v_mul_lo_u32 v30, v26, s8
	v_mul_lo_u32 v31, v27, s9
	v_mad_u64_u32 v[4:5], null, v27, s8, 0
	v_mul_lo_u32 v32, v28, s8
	v_mul_lo_u32 v33, v29, s9
	v_mad_u64_u32 v[6:7], null, v29, s8, 0
	s_mov_b32 s21, 0
	s_mov_b64 s[4:5], s[8:9]
	s_delay_alu instid0(VALU_DEP_4) | instskip(NEXT) | instid1(VALU_DEP_2)
	v_add3_u32 v5, v5, v31, v30
                                        ; implicit-def: $sgpr22
                                        ; implicit-def: $sgpr23
                                        ; implicit-def: $sgpr24
	v_add3_u32 v7, v7, v33, v32
	s_delay_alu instid0(VALU_DEP_2) | instskip(NEXT) | instid1(VALU_DEP_2)
	v_lshlrev_b64 v[4:5], 1, v[4:5]
	v_lshlrev_b64 v[6:7], 1, v[6:7]
	s_delay_alu instid0(VALU_DEP_2) | instskip(NEXT) | instid1(VALU_DEP_3)
	v_add_co_u32 v4, vcc_lo, s10, v4
	v_add_co_ci_u32_e32 v5, vcc_lo, s11, v5, vcc_lo
	s_delay_alu instid0(VALU_DEP_3) | instskip(NEXT) | instid1(VALU_DEP_4)
	v_add_co_u32 v6, vcc_lo, s10, v6
	v_add_co_ci_u32_e32 v7, vcc_lo, s11, v7, vcc_lo
	s_set_inst_prefetch_distance 0x1
	s_branch .LBB1244_797
	.p2align	6
.LBB1244_796:                           ;   in Loop: Header=BB1244_797 Depth=1
	s_or_b32 exec_lo, exec_lo, s27
	s_delay_alu instid0(SALU_CYCLE_1) | instskip(NEXT) | instid1(SALU_CYCLE_1)
	s_and_b32 s25, exec_lo, s25
	s_or_b32 s21, s25, s21
	s_and_not1_b32 s22, s22, exec_lo
	s_and_b32 s25, s23, exec_lo
	s_delay_alu instid0(SALU_CYCLE_1)
	s_or_b32 s22, s22, s25
	s_and_not1_b32 exec_lo, exec_lo, s21
	s_cbranch_execz .LBB1244_801
.LBB1244_797:                           ; =>This Inner Loop Header: Depth=1
	global_load_u16 v30, v[4:5], off
	global_load_u16 v31, v[6:7], off
	s_mov_b32 s25, -1
	s_mov_b32 s28, 0
	s_mov_b32 s26, -1
	s_mov_b32 s27, exec_lo
	s_waitcnt vmcnt(0)
	v_cmpx_nlt_f16_e32 v30, v31
; %bb.798:                              ;   in Loop: Header=BB1244_797 Depth=1
	v_cmp_ngt_f16_e32 vcc_lo, v30, v31
	s_and_b32 s24, vcc_lo, s24
	s_and_b32 s28, vcc_lo, exec_lo
	s_or_not1_b32 s26, s24, exec_lo
; %bb.799:                              ;   in Loop: Header=BB1244_797 Depth=1
	s_or_b32 exec_lo, exec_lo, s27
	s_delay_alu instid0(SALU_CYCLE_1) | instskip(SKIP_1) | instid1(SALU_CYCLE_1)
	s_and_not1_b32 s23, s23, exec_lo
	s_and_b32 s24, s26, exec_lo
	s_or_b32 s23, s23, s24
                                        ; implicit-def: $sgpr24
	s_and_saveexec_b32 s27, s28
	s_cbranch_execz .LBB1244_796
; %bb.800:                              ;   in Loop: Header=BB1244_797 Depth=1
	v_add_co_u32 v4, vcc_lo, v4, 2
	s_add_u32 s4, s4, -1
	s_addc_u32 s5, s5, -1
	v_add_co_ci_u32_e32 v5, vcc_lo, 0, v5, vcc_lo
	v_add_co_u32 v6, vcc_lo, v6, 2
	s_cmp_eq_u64 s[4:5], 0
	v_add_co_ci_u32_e32 v7, vcc_lo, 0, v7, vcc_lo
	s_cselect_b32 s25, -1, 0
	s_and_b32 s24, s26, exec_lo
	s_and_not1_b32 s23, s23, exec_lo
	s_or_not1_b32 s25, s25, exec_lo
	s_branch .LBB1244_796
.LBB1244_801:
	s_set_inst_prefetch_distance 0x2
	s_or_b32 exec_lo, exec_lo, s21
	s_xor_b32 s4, s22, -1
	s_and_not1_b32 s5, s13, exec_lo
	s_and_b32 s4, s4, exec_lo
	s_delay_alu instid0(SALU_CYCLE_1)
	s_or_b32 s13, s5, s4
.LBB1244_802:
	s_or_b32 exec_lo, exec_lo, s20
	s_delay_alu instid0(SALU_CYCLE_1)
	s_or_not1_b32 s13, s13, exec_lo
.LBB1244_803:
	s_or_b32 exec_lo, exec_lo, s19
	v_cndmask_b32_e64 v4, v9, v8, s13
	v_cndmask_b32_e64 v5, v21, v25, s13
	s_mov_b32 s19, exec_lo
	s_delay_alu instid0(VALU_DEP_2) | instskip(NEXT) | instid1(VALU_DEP_2)
	v_add_nc_u32_e32 v30, 1, v4
	v_add_nc_u32_e32 v4, -1, v5
	s_delay_alu instid0(VALU_DEP_2) | instskip(NEXT) | instid1(VALU_DEP_2)
	v_cndmask_b32_e64 v9, v30, v9, s13
	v_min_u32_e32 v4, v30, v4
	s_delay_alu instid0(VALU_DEP_1)
	v_lshl_add_u32 v4, v4, 3, v19
	ds_load_b64 v[4:5], v4
	s_waitcnt lgkmcnt(0)
	v_cndmask_b32_e64 v7, v28, v5, s13
	v_cndmask_b32_e64 v6, v29, v4, s13
	v_cmpx_lt_u32_e64 v9, v21
	s_cbranch_execz .LBB1244_813
; %bb.804:
	v_cndmask_b32_e64 v8, v8, v30, s13
	v_cndmask_b32_e64 v19, v5, v26, s13
	;; [unrolled: 1-line block ×3, first 2 shown]
	s_delay_alu instid0(VALU_DEP_3) | instskip(NEXT) | instid1(VALU_DEP_2)
	v_cmp_ge_u32_e32 vcc_lo, v8, v25
	v_dual_cndmask_b32 v5, v7, v19 :: v_dual_cndmask_b32 v4, v6, v21
	s_or_b32 s4, vcc_lo, s14
	s_delay_alu instid0(SALU_CYCLE_1) | instskip(NEXT) | instid1(SALU_CYCLE_1)
	s_xor_b32 s4, s4, -1
	s_and_saveexec_b32 s20, s4
	s_cbranch_execz .LBB1244_812
; %bb.805:
	v_mul_lo_u32 v25, v19, s8
	v_mul_lo_u32 v30, v21, s9
	v_mad_u64_u32 v[4:5], null, v21, s8, 0
	v_mul_lo_u32 v31, v7, s8
	v_mul_lo_u32 v32, v6, s9
	v_mad_u64_u32 v[8:9], null, v6, s8, 0
	s_mov_b32 s21, 0
	s_mov_b64 s[4:5], s[8:9]
	s_delay_alu instid0(VALU_DEP_4) | instskip(NEXT) | instid1(VALU_DEP_2)
	v_add3_u32 v5, v5, v30, v25
                                        ; implicit-def: $sgpr22
                                        ; implicit-def: $sgpr23
                                        ; implicit-def: $sgpr24
	v_add3_u32 v9, v9, v32, v31
	s_delay_alu instid0(VALU_DEP_2) | instskip(NEXT) | instid1(VALU_DEP_2)
	v_lshlrev_b64 v[4:5], 1, v[4:5]
	v_lshlrev_b64 v[8:9], 1, v[8:9]
	s_delay_alu instid0(VALU_DEP_2) | instskip(NEXT) | instid1(VALU_DEP_3)
	v_add_co_u32 v4, vcc_lo, s10, v4
	v_add_co_ci_u32_e32 v5, vcc_lo, s11, v5, vcc_lo
	s_delay_alu instid0(VALU_DEP_3) | instskip(NEXT) | instid1(VALU_DEP_4)
	v_add_co_u32 v8, vcc_lo, s10, v8
	v_add_co_ci_u32_e32 v9, vcc_lo, s11, v9, vcc_lo
	s_set_inst_prefetch_distance 0x1
	s_branch .LBB1244_807
	.p2align	6
.LBB1244_806:                           ;   in Loop: Header=BB1244_807 Depth=1
	s_or_b32 exec_lo, exec_lo, s27
	s_delay_alu instid0(SALU_CYCLE_1) | instskip(NEXT) | instid1(SALU_CYCLE_1)
	s_and_b32 s25, exec_lo, s25
	s_or_b32 s21, s25, s21
	s_and_not1_b32 s22, s22, exec_lo
	s_and_b32 s25, s23, exec_lo
	s_delay_alu instid0(SALU_CYCLE_1)
	s_or_b32 s22, s22, s25
	s_and_not1_b32 exec_lo, exec_lo, s21
	s_cbranch_execz .LBB1244_811
.LBB1244_807:                           ; =>This Inner Loop Header: Depth=1
	global_load_u16 v25, v[4:5], off
	global_load_u16 v30, v[8:9], off
	s_mov_b32 s25, -1
	s_mov_b32 s28, 0
	s_mov_b32 s26, -1
	s_mov_b32 s27, exec_lo
	s_waitcnt vmcnt(0)
	v_cmpx_nlt_f16_e32 v25, v30
; %bb.808:                              ;   in Loop: Header=BB1244_807 Depth=1
	v_cmp_ngt_f16_e32 vcc_lo, v25, v30
	s_and_b32 s24, vcc_lo, s24
	s_and_b32 s28, vcc_lo, exec_lo
	s_or_not1_b32 s26, s24, exec_lo
; %bb.809:                              ;   in Loop: Header=BB1244_807 Depth=1
	s_or_b32 exec_lo, exec_lo, s27
	s_delay_alu instid0(SALU_CYCLE_1) | instskip(SKIP_1) | instid1(SALU_CYCLE_1)
	s_and_not1_b32 s23, s23, exec_lo
	s_and_b32 s24, s26, exec_lo
	s_or_b32 s23, s23, s24
                                        ; implicit-def: $sgpr24
	s_and_saveexec_b32 s27, s28
	s_cbranch_execz .LBB1244_806
; %bb.810:                              ;   in Loop: Header=BB1244_807 Depth=1
	v_add_co_u32 v4, vcc_lo, v4, 2
	s_add_u32 s4, s4, -1
	s_addc_u32 s5, s5, -1
	v_add_co_ci_u32_e32 v5, vcc_lo, 0, v5, vcc_lo
	v_add_co_u32 v8, vcc_lo, v8, 2
	s_cmp_eq_u64 s[4:5], 0
	v_add_co_ci_u32_e32 v9, vcc_lo, 0, v9, vcc_lo
	s_cselect_b32 s25, -1, 0
	s_and_b32 s24, s26, exec_lo
	s_and_not1_b32 s23, s23, exec_lo
	s_or_not1_b32 s25, s25, exec_lo
	s_branch .LBB1244_806
.LBB1244_811:
	s_set_inst_prefetch_distance 0x2
	s_or_b32 exec_lo, exec_lo, s21
	v_cndmask_b32_e64 v5, v7, v19, s22
	v_cndmask_b32_e64 v4, v6, v21, s22
.LBB1244_812:
	s_or_b32 exec_lo, exec_lo, s20
	s_delay_alu instid0(VALU_DEP_1)
	v_dual_mov_b32 v7, v5 :: v_dual_mov_b32 v6, v4
.LBB1244_813:
	s_or_b32 exec_lo, exec_lo, s19
	v_cndmask_b32_e64 v1, v3, v1, s3
	v_cndmask_b32_e64 v0, v2, v0, s3
	;; [unrolled: 1-line block ×6, first 2 shown]
.LBB1244_814:
	s_or_b32 exec_lo, exec_lo, s12
	s_cmpk_lt_u32 s18, 0x41
	; wave barrier
	s_waitcnt lgkmcnt(0)
	s_barrier
	buffer_gl0_inv
	s_cbranch_scc1 .LBB1244_873
; %bb.815:
	v_lshlrev_b32_e32 v19, 3, v23
	s_lshl_b64 s[12:13], s[8:9], 1
	s_mov_b32 s16, 64
	s_branch .LBB1244_820
.LBB1244_816:                           ;   in Loop: Header=BB1244_820 Depth=1
	s_set_inst_prefetch_distance 0x2
	s_or_b32 exec_lo, exec_lo, s24
	v_cndmask_b32_e64 v5, v7, v21, s25
	v_cndmask_b32_e64 v4, v6, v30, s25
.LBB1244_817:                           ;   in Loop: Header=BB1244_820 Depth=1
	s_or_b32 exec_lo, exec_lo, s23
	s_delay_alu instid0(VALU_DEP_1)
	v_dual_mov_b32 v7, v5 :: v_dual_mov_b32 v6, v4
.LBB1244_818:                           ;   in Loop: Header=BB1244_820 Depth=1
	s_or_b32 exec_lo, exec_lo, s22
	v_cndmask_b32_e64 v1, v3, v1, s3
	v_cndmask_b32_e64 v0, v2, v0, s3
	;; [unrolled: 1-line block ×6, first 2 shown]
.LBB1244_819:                           ;   in Loop: Header=BB1244_820 Depth=1
	s_or_b32 exec_lo, exec_lo, s19
	s_cmp_lt_u32 s16, s18
	s_barrier
	buffer_gl0_inv
	s_cbranch_scc0 .LBB1244_873
.LBB1244_820:                           ; =>This Loop Header: Depth=1
                                        ;     Child Loop BB1244_824 Depth 2
                                        ;       Child Loop BB1244_827 Depth 3
                                        ;     Child Loop BB1244_840 Depth 2
                                        ;     Child Loop BB1244_849 Depth 2
	;; [unrolled: 1-line block ×4, first 2 shown]
	s_mov_b32 s3, s16
	s_lshl_b32 s16, s16, 1
	ds_store_b128 v19, v[0:3]
	ds_store_b128 v19, v[4:7] offset:16
	s_sub_i32 s4, 0, s16
	s_waitcnt lgkmcnt(0)
	v_and_b32_e32 v26, s4, v23
	s_barrier
	buffer_gl0_inv
	v_add_nc_u32_e32 v8, s3, v26
	v_lshlrev_b32_e32 v25, 3, v26
	s_delay_alu instid0(VALU_DEP_2) | instskip(NEXT) | instid1(VALU_DEP_1)
	v_min_u32_e32 v20, s18, v8
	v_add_nc_u32_e32 v8, s3, v20
	s_add_i32 s3, s16, -1
	s_delay_alu instid0(SALU_CYCLE_1) | instskip(SKIP_1) | instid1(VALU_DEP_2)
	v_and_b32_e32 v9, s3, v23
	s_mov_b32 s3, exec_lo
	v_min_u32_e32 v21, s18, v8
	v_sub_nc_u32_e32 v8, v20, v26
	s_delay_alu instid0(VALU_DEP_3) | instskip(NEXT) | instid1(VALU_DEP_3)
	v_min_u32_e32 v27, s18, v9
	v_sub_nc_u32_e32 v9, v21, v20
	s_delay_alu instid0(VALU_DEP_2) | instskip(NEXT) | instid1(VALU_DEP_2)
	v_min_u32_e32 v28, v27, v8
	v_sub_nc_u32_e64 v24, v27, v9 clamp
	s_delay_alu instid0(VALU_DEP_1)
	v_cmpx_lt_u32_e64 v24, v28
	s_cbranch_execz .LBB1244_832
; %bb.821:                              ;   in Loop: Header=BB1244_820 Depth=1
	v_lshlrev_b32_e32 v8, 3, v27
	s_mov_b32 s19, 0
	s_delay_alu instid0(VALU_DEP_1)
	v_lshl_add_u32 v29, v20, 3, v8
	s_branch .LBB1244_824
.LBB1244_822:                           ;   in Loop: Header=BB1244_824 Depth=2
	s_set_inst_prefetch_distance 0x2
	s_or_b32 exec_lo, exec_lo, s21
.LBB1244_823:                           ;   in Loop: Header=BB1244_824 Depth=2
	s_delay_alu instid0(VALU_DEP_1) | instskip(SKIP_1) | instid1(VALU_DEP_2)
	v_add_nc_u32_e32 v8, 1, v30
	v_cndmask_b32_e64 v28, v28, v30, s20
	v_cndmask_b32_e64 v24, v8, v24, s20
	s_delay_alu instid0(VALU_DEP_1) | instskip(SKIP_1) | instid1(SALU_CYCLE_1)
	v_cmp_ge_u32_e32 vcc_lo, v24, v28
	s_or_b32 s19, vcc_lo, s19
	s_and_not1_b32 exec_lo, exec_lo, s19
	s_cbranch_execz .LBB1244_831
.LBB1244_824:                           ;   Parent Loop BB1244_820 Depth=1
                                        ; =>  This Loop Header: Depth=2
                                        ;       Child Loop BB1244_827 Depth 3
	v_add_nc_u32_e32 v8, v28, v24
	v_cmp_ne_u32_e32 vcc_lo, 1, v18
	s_mov_b32 s20, 0
	s_delay_alu instid0(VALU_DEP_2)
	v_lshrrev_b32_e32 v30, 1, v8
	s_cbranch_vccnz .LBB1244_823
; %bb.825:                              ;   in Loop: Header=BB1244_824 Depth=2
	s_delay_alu instid0(VALU_DEP_1) | instskip(SKIP_3) | instid1(VALU_DEP_2)
	v_not_b32_e32 v8, v30
	v_lshl_add_u32 v9, v30, 3, v25
	s_mov_b32 s21, 0
	s_mov_b64 s[4:5], s[8:9]
                                        ; implicit-def: $sgpr20
                                        ; implicit-def: $sgpr22
                                        ; implicit-def: $sgpr23
	v_lshl_add_u32 v8, v8, 3, v29
	ds_load_b64 v[10:11], v8
	ds_load_b64 v[31:32], v9
	s_waitcnt lgkmcnt(1)
	v_mul_lo_u32 v33, s12, v11
	v_mul_lo_u32 v34, s13, v10
	v_mad_u64_u32 v[8:9], null, s12, v10, s[10:11]
	s_waitcnt lgkmcnt(0)
	v_mul_lo_u32 v32, s12, v32
	v_mul_lo_u32 v35, s13, v31
	v_mad_u64_u32 v[10:11], null, s12, v31, s[10:11]
	s_delay_alu instid0(VALU_DEP_4) | instskip(NEXT) | instid1(VALU_DEP_2)
	v_add3_u32 v9, v34, v9, v33
	v_add3_u32 v11, v35, v11, v32
	s_set_inst_prefetch_distance 0x1
	s_branch .LBB1244_827
	.p2align	6
.LBB1244_826:                           ;   in Loop: Header=BB1244_827 Depth=3
	s_or_b32 exec_lo, exec_lo, s26
	s_delay_alu instid0(SALU_CYCLE_1) | instskip(NEXT) | instid1(SALU_CYCLE_1)
	s_and_b32 s24, exec_lo, s25
	s_or_b32 s21, s24, s21
	s_and_not1_b32 s20, s20, exec_lo
	s_and_b32 s24, s22, exec_lo
	s_delay_alu instid0(SALU_CYCLE_1)
	s_or_b32 s20, s20, s24
	s_and_not1_b32 exec_lo, exec_lo, s21
	s_cbranch_execz .LBB1244_822
.LBB1244_827:                           ;   Parent Loop BB1244_820 Depth=1
                                        ;     Parent Loop BB1244_824 Depth=2
                                        ; =>    This Inner Loop Header: Depth=3
	global_load_u16 v31, v[8:9], off
	global_load_u16 v32, v[10:11], off
	s_mov_b32 s25, -1
	s_mov_b32 s27, 0
	s_mov_b32 s24, -1
	s_mov_b32 s26, exec_lo
	s_waitcnt vmcnt(0)
	v_cmpx_nlt_f16_e32 v31, v32
; %bb.828:                              ;   in Loop: Header=BB1244_827 Depth=3
	v_cmp_ngt_f16_e32 vcc_lo, v31, v32
	s_and_b32 s23, vcc_lo, s23
	s_and_b32 s27, vcc_lo, exec_lo
	s_or_not1_b32 s24, s23, exec_lo
; %bb.829:                              ;   in Loop: Header=BB1244_827 Depth=3
	s_or_b32 exec_lo, exec_lo, s26
	s_delay_alu instid0(SALU_CYCLE_1) | instskip(SKIP_1) | instid1(SALU_CYCLE_1)
	s_and_not1_b32 s22, s22, exec_lo
	s_and_b32 s23, s24, exec_lo
	s_or_b32 s22, s22, s23
                                        ; implicit-def: $sgpr23
	s_and_saveexec_b32 s26, s27
	s_cbranch_execz .LBB1244_826
; %bb.830:                              ;   in Loop: Header=BB1244_827 Depth=3
	v_add_co_u32 v8, vcc_lo, v8, 2
	s_add_u32 s4, s4, -1
	s_addc_u32 s5, s5, -1
	v_add_co_ci_u32_e32 v9, vcc_lo, 0, v9, vcc_lo
	v_add_co_u32 v10, vcc_lo, v10, 2
	s_cmp_eq_u64 s[4:5], 0
	v_add_co_ci_u32_e32 v11, vcc_lo, 0, v11, vcc_lo
	s_cselect_b32 s25, -1, 0
	s_and_not1_b32 s22, s22, exec_lo
	s_and_b32 s23, s24, exec_lo
	s_or_not1_b32 s25, s25, exec_lo
	s_branch .LBB1244_826
.LBB1244_831:                           ;   in Loop: Header=BB1244_820 Depth=1
	s_or_b32 exec_lo, exec_lo, s19
.LBB1244_832:                           ;   in Loop: Header=BB1244_820 Depth=1
	s_delay_alu instid0(SALU_CYCLE_1) | instskip(SKIP_2) | instid1(VALU_DEP_2)
	s_or_b32 exec_lo, exec_lo, s3
	v_sub_nc_u32_e32 v9, v27, v24
	v_add_nc_u32_e32 v8, v24, v26
	v_add_nc_u32_e32 v9, v9, v20
	s_delay_alu instid0(VALU_DEP_2) | instskip(NEXT) | instid1(VALU_DEP_2)
	v_cmp_le_u32_e32 vcc_lo, v8, v20
	v_cmp_le_u32_e64 s3, v9, v21
	s_delay_alu instid0(VALU_DEP_1) | instskip(NEXT) | instid1(SALU_CYCLE_1)
	s_or_b32 s3, vcc_lo, s3
	s_and_saveexec_b32 s19, s3
	s_cbranch_execz .LBB1244_819
; %bb.833:                              ;   in Loop: Header=BB1244_820 Depth=1
	v_cmp_ge_u32_e32 vcc_lo, v8, v20
	s_mov_b32 s4, exec_lo
                                        ; implicit-def: $vgpr0_vgpr1
	v_cmpx_lt_u32_e64 v8, v20
	s_cbranch_execz .LBB1244_835
; %bb.834:                              ;   in Loop: Header=BB1244_820 Depth=1
	v_lshl_add_u32 v0, v24, 3, v25
	ds_load_b64 v[0:1], v0
.LBB1244_835:                           ;   in Loop: Header=BB1244_820 Depth=1
	s_or_b32 exec_lo, exec_lo, s4
	v_cmp_ge_u32_e64 s3, v9, v21
	s_mov_b32 s5, exec_lo
                                        ; implicit-def: $vgpr2_vgpr3
	v_cmpx_lt_u32_e64 v9, v21
	s_cbranch_execz .LBB1244_837
; %bb.836:                              ;   in Loop: Header=BB1244_820 Depth=1
	v_lshlrev_b32_e32 v2, 3, v9
	ds_load_b64 v[2:3], v2
.LBB1244_837:                           ;   in Loop: Header=BB1244_820 Depth=1
	s_or_b32 exec_lo, exec_lo, s5
	s_or_b32 s4, vcc_lo, s3
	s_xor_b32 s5, vcc_lo, -1
	s_or_b32 s4, s4, s14
	s_or_b32 s3, s3, s5
	s_xor_b32 s4, s4, -1
	s_delay_alu instid0(SALU_CYCLE_1)
	s_and_saveexec_b32 s20, s4
	s_cbranch_execz .LBB1244_845
; %bb.838:                              ;   in Loop: Header=BB1244_820 Depth=1
	s_waitcnt lgkmcnt(0)
	v_mad_u64_u32 v[4:5], null, s12, v2, s[10:11]
	v_mul_lo_u32 v10, s12, v3
	v_mul_lo_u32 v11, s13, v2
	v_mad_u64_u32 v[6:7], null, s12, v0, s[10:11]
	v_mul_lo_u32 v24, s12, v1
	v_mul_lo_u32 v25, s13, v0
	s_mov_b32 s21, 0
	s_mov_b64 s[4:5], s[8:9]
                                        ; implicit-def: $sgpr22
                                        ; implicit-def: $sgpr23
                                        ; implicit-def: $sgpr24
	s_delay_alu instid0(VALU_DEP_4) | instskip(NEXT) | instid1(VALU_DEP_2)
	v_add3_u32 v5, v11, v5, v10
	v_add3_u32 v7, v25, v7, v24
	s_set_inst_prefetch_distance 0x1
	s_branch .LBB1244_840
	.p2align	6
.LBB1244_839:                           ;   in Loop: Header=BB1244_840 Depth=2
	s_or_b32 exec_lo, exec_lo, s27
	s_delay_alu instid0(SALU_CYCLE_1) | instskip(NEXT) | instid1(SALU_CYCLE_1)
	s_and_b32 s25, exec_lo, s25
	s_or_b32 s21, s25, s21
	s_and_not1_b32 s22, s22, exec_lo
	s_and_b32 s25, s23, exec_lo
	s_delay_alu instid0(SALU_CYCLE_1)
	s_or_b32 s22, s22, s25
	s_and_not1_b32 exec_lo, exec_lo, s21
	s_cbranch_execz .LBB1244_844
.LBB1244_840:                           ;   Parent Loop BB1244_820 Depth=1
                                        ; =>  This Inner Loop Header: Depth=2
	global_load_u16 v10, v[4:5], off
	global_load_u16 v11, v[6:7], off
	s_mov_b32 s25, -1
	s_mov_b32 s28, 0
	s_mov_b32 s26, -1
	s_mov_b32 s27, exec_lo
	s_waitcnt vmcnt(0)
	v_cmpx_nlt_f16_e32 v10, v11
; %bb.841:                              ;   in Loop: Header=BB1244_840 Depth=2
	v_cmp_ngt_f16_e32 vcc_lo, v10, v11
	s_and_b32 s24, vcc_lo, s24
	s_and_b32 s28, vcc_lo, exec_lo
	s_or_not1_b32 s26, s24, exec_lo
; %bb.842:                              ;   in Loop: Header=BB1244_840 Depth=2
	s_or_b32 exec_lo, exec_lo, s27
	s_delay_alu instid0(SALU_CYCLE_1) | instskip(SKIP_1) | instid1(SALU_CYCLE_1)
	s_and_not1_b32 s23, s23, exec_lo
	s_and_b32 s24, s26, exec_lo
	s_or_b32 s23, s23, s24
                                        ; implicit-def: $sgpr24
	s_and_saveexec_b32 s27, s28
	s_cbranch_execz .LBB1244_839
; %bb.843:                              ;   in Loop: Header=BB1244_840 Depth=2
	v_add_co_u32 v4, vcc_lo, v4, 2
	s_add_u32 s4, s4, -1
	s_addc_u32 s5, s5, -1
	v_add_co_ci_u32_e32 v5, vcc_lo, 0, v5, vcc_lo
	v_add_co_u32 v6, vcc_lo, v6, 2
	s_cmp_eq_u64 s[4:5], 0
	v_add_co_ci_u32_e32 v7, vcc_lo, 0, v7, vcc_lo
	s_cselect_b32 s25, -1, 0
	s_and_b32 s24, s26, exec_lo
	s_and_not1_b32 s23, s23, exec_lo
	s_or_not1_b32 s25, s25, exec_lo
	s_branch .LBB1244_839
.LBB1244_844:                           ;   in Loop: Header=BB1244_820 Depth=1
	s_set_inst_prefetch_distance 0x2
	s_or_b32 exec_lo, exec_lo, s21
	s_xor_b32 s4, s22, -1
	s_and_not1_b32 s3, s3, exec_lo
	s_and_b32 s4, s4, exec_lo
	s_delay_alu instid0(SALU_CYCLE_1)
	s_or_b32 s3, s3, s4
.LBB1244_845:                           ;   in Loop: Header=BB1244_820 Depth=1
	s_or_b32 exec_lo, exec_lo, s20
	v_cndmask_b32_e64 v4, v9, v8, s3
	v_cndmask_b32_e64 v5, v21, v20, s3
	s_mov_b32 s20, -1
	s_mov_b32 s21, -1
	s_mov_b32 s22, exec_lo
	v_add_nc_u32_e32 v6, 1, v4
	v_add_nc_u32_e32 v4, -1, v5
	s_delay_alu instid0(VALU_DEP_2) | instskip(NEXT) | instid1(VALU_DEP_2)
	v_cndmask_b32_e64 v9, v6, v9, s3
	v_min_u32_e32 v4, v6, v4
	v_cndmask_b32_e64 v8, v8, v6, s3
	s_delay_alu instid0(VALU_DEP_2)
	v_lshlrev_b32_e32 v4, 3, v4
	ds_load_b64 v[4:5], v4
	s_waitcnt lgkmcnt(0)
	v_cndmask_b32_e64 v10, v5, v3, s3
	v_cndmask_b32_e64 v11, v4, v2, s3
	;; [unrolled: 1-line block ×4, first 2 shown]
	v_cmpx_lt_u32_e64 v9, v21
	s_cbranch_execz .LBB1244_855
; %bb.846:                              ;   in Loop: Header=BB1244_820 Depth=1
	v_cmp_lt_u32_e64 s21, v8, v20
	s_delay_alu instid0(VALU_DEP_1) | instskip(NEXT) | instid1(SALU_CYCLE_1)
	s_and_b32 s4, s21, s15
	s_and_saveexec_b32 s23, s4
	s_cbranch_execz .LBB1244_854
; %bb.847:                              ;   in Loop: Header=BB1244_820 Depth=1
	v_mad_u64_u32 v[4:5], null, s12, v11, s[10:11]
	v_mul_lo_u32 v26, s12, v10
	v_mul_lo_u32 v27, s13, v11
	v_mad_u64_u32 v[6:7], null, s12, v25, s[10:11]
	v_mul_lo_u32 v28, s12, v24
	v_mul_lo_u32 v29, s13, v25
	s_mov_b32 s24, 0
	s_mov_b64 s[4:5], s[8:9]
                                        ; implicit-def: $sgpr25
                                        ; implicit-def: $sgpr26
                                        ; implicit-def: $sgpr27
	s_delay_alu instid0(VALU_DEP_4) | instskip(NEXT) | instid1(VALU_DEP_2)
	v_add3_u32 v5, v27, v5, v26
	v_add3_u32 v7, v29, v7, v28
	s_set_inst_prefetch_distance 0x1
	s_branch .LBB1244_849
	.p2align	6
.LBB1244_848:                           ;   in Loop: Header=BB1244_849 Depth=2
	s_or_b32 exec_lo, exec_lo, s30
	s_delay_alu instid0(SALU_CYCLE_1) | instskip(NEXT) | instid1(SALU_CYCLE_1)
	s_and_b32 s28, exec_lo, s28
	s_or_b32 s24, s28, s24
	s_and_not1_b32 s25, s25, exec_lo
	s_and_b32 s28, s26, exec_lo
	s_delay_alu instid0(SALU_CYCLE_1)
	s_or_b32 s25, s25, s28
	s_and_not1_b32 exec_lo, exec_lo, s24
	s_cbranch_execz .LBB1244_853
.LBB1244_849:                           ;   Parent Loop BB1244_820 Depth=1
                                        ; =>  This Inner Loop Header: Depth=2
	global_load_u16 v26, v[4:5], off
	global_load_u16 v27, v[6:7], off
	s_mov_b32 s28, -1
	s_mov_b32 s31, 0
	s_mov_b32 s29, -1
	s_mov_b32 s30, exec_lo
	s_waitcnt vmcnt(0)
	v_cmpx_nlt_f16_e32 v26, v27
; %bb.850:                              ;   in Loop: Header=BB1244_849 Depth=2
	v_cmp_ngt_f16_e32 vcc_lo, v26, v27
	s_and_b32 s27, vcc_lo, s27
	s_and_b32 s31, vcc_lo, exec_lo
	s_or_not1_b32 s29, s27, exec_lo
; %bb.851:                              ;   in Loop: Header=BB1244_849 Depth=2
	s_or_b32 exec_lo, exec_lo, s30
	s_delay_alu instid0(SALU_CYCLE_1) | instskip(SKIP_1) | instid1(SALU_CYCLE_1)
	s_and_not1_b32 s26, s26, exec_lo
	s_and_b32 s27, s29, exec_lo
	s_or_b32 s26, s26, s27
                                        ; implicit-def: $sgpr27
	s_and_saveexec_b32 s30, s31
	s_cbranch_execz .LBB1244_848
; %bb.852:                              ;   in Loop: Header=BB1244_849 Depth=2
	v_add_co_u32 v4, vcc_lo, v4, 2
	s_add_u32 s4, s4, -1
	s_addc_u32 s5, s5, -1
	v_add_co_ci_u32_e32 v5, vcc_lo, 0, v5, vcc_lo
	v_add_co_u32 v6, vcc_lo, v6, 2
	s_cmp_eq_u64 s[4:5], 0
	v_add_co_ci_u32_e32 v7, vcc_lo, 0, v7, vcc_lo
	s_cselect_b32 s28, -1, 0
	s_and_b32 s27, s29, exec_lo
	s_and_not1_b32 s26, s26, exec_lo
	s_or_not1_b32 s28, s28, exec_lo
	s_branch .LBB1244_848
.LBB1244_853:                           ;   in Loop: Header=BB1244_820 Depth=1
	s_set_inst_prefetch_distance 0x2
	s_or_b32 exec_lo, exec_lo, s24
	s_xor_b32 s4, s25, -1
	s_and_not1_b32 s5, s21, exec_lo
	s_and_b32 s4, s4, exec_lo
	s_delay_alu instid0(SALU_CYCLE_1)
	s_or_b32 s21, s5, s4
.LBB1244_854:                           ;   in Loop: Header=BB1244_820 Depth=1
	s_or_b32 exec_lo, exec_lo, s23
	s_delay_alu instid0(SALU_CYCLE_1)
	s_or_not1_b32 s21, s21, exec_lo
.LBB1244_855:                           ;   in Loop: Header=BB1244_820 Depth=1
	s_or_b32 exec_lo, exec_lo, s22
	v_cndmask_b32_e64 v4, v9, v8, s21
	v_cndmask_b32_e64 v5, v21, v20, s21
	s_mov_b32 s22, exec_lo
	s_delay_alu instid0(VALU_DEP_2) | instskip(NEXT) | instid1(VALU_DEP_2)
	v_add_nc_u32_e32 v6, 1, v4
	v_add_nc_u32_e32 v4, -1, v5
	s_delay_alu instid0(VALU_DEP_2) | instskip(NEXT) | instid1(VALU_DEP_2)
	v_cndmask_b32_e64 v9, v6, v9, s21
	v_min_u32_e32 v4, v6, v4
	v_cndmask_b32_e64 v8, v8, v6, s21
	s_delay_alu instid0(VALU_DEP_2)
	v_lshlrev_b32_e32 v4, 3, v4
	ds_load_b64 v[4:5], v4
	s_waitcnt lgkmcnt(0)
	v_cndmask_b32_e64 v26, v5, v10, s21
	v_cndmask_b32_e64 v27, v4, v11, s21
	;; [unrolled: 1-line block ×4, first 2 shown]
	v_cmpx_lt_u32_e64 v9, v21
	s_cbranch_execz .LBB1244_865
; %bb.856:                              ;   in Loop: Header=BB1244_820 Depth=1
	v_cmp_lt_u32_e64 s20, v8, v20
	s_delay_alu instid0(VALU_DEP_1) | instskip(NEXT) | instid1(SALU_CYCLE_1)
	s_and_b32 s4, s20, s15
	s_and_saveexec_b32 s23, s4
	s_cbranch_execz .LBB1244_864
; %bb.857:                              ;   in Loop: Header=BB1244_820 Depth=1
	v_mad_u64_u32 v[4:5], null, s12, v27, s[10:11]
	v_mul_lo_u32 v30, s12, v26
	v_mul_lo_u32 v31, s13, v27
	v_mad_u64_u32 v[6:7], null, s12, v29, s[10:11]
	v_mul_lo_u32 v32, s12, v28
	v_mul_lo_u32 v33, s13, v29
	s_mov_b32 s24, 0
	s_mov_b64 s[4:5], s[8:9]
                                        ; implicit-def: $sgpr25
                                        ; implicit-def: $sgpr26
                                        ; implicit-def: $sgpr27
	s_delay_alu instid0(VALU_DEP_4) | instskip(NEXT) | instid1(VALU_DEP_2)
	v_add3_u32 v5, v31, v5, v30
	v_add3_u32 v7, v33, v7, v32
	s_set_inst_prefetch_distance 0x1
	s_branch .LBB1244_859
	.p2align	6
.LBB1244_858:                           ;   in Loop: Header=BB1244_859 Depth=2
	s_or_b32 exec_lo, exec_lo, s30
	s_delay_alu instid0(SALU_CYCLE_1) | instskip(NEXT) | instid1(SALU_CYCLE_1)
	s_and_b32 s28, exec_lo, s28
	s_or_b32 s24, s28, s24
	s_and_not1_b32 s25, s25, exec_lo
	s_and_b32 s28, s26, exec_lo
	s_delay_alu instid0(SALU_CYCLE_1)
	s_or_b32 s25, s25, s28
	s_and_not1_b32 exec_lo, exec_lo, s24
	s_cbranch_execz .LBB1244_863
.LBB1244_859:                           ;   Parent Loop BB1244_820 Depth=1
                                        ; =>  This Inner Loop Header: Depth=2
	global_load_u16 v30, v[4:5], off
	global_load_u16 v31, v[6:7], off
	s_mov_b32 s28, -1
	s_mov_b32 s31, 0
	s_mov_b32 s29, -1
	s_mov_b32 s30, exec_lo
	s_waitcnt vmcnt(0)
	v_cmpx_nlt_f16_e32 v30, v31
; %bb.860:                              ;   in Loop: Header=BB1244_859 Depth=2
	v_cmp_ngt_f16_e32 vcc_lo, v30, v31
	s_and_b32 s27, vcc_lo, s27
	s_and_b32 s31, vcc_lo, exec_lo
	s_or_not1_b32 s29, s27, exec_lo
; %bb.861:                              ;   in Loop: Header=BB1244_859 Depth=2
	s_or_b32 exec_lo, exec_lo, s30
	s_delay_alu instid0(SALU_CYCLE_1) | instskip(SKIP_1) | instid1(SALU_CYCLE_1)
	s_and_not1_b32 s26, s26, exec_lo
	s_and_b32 s27, s29, exec_lo
	s_or_b32 s26, s26, s27
                                        ; implicit-def: $sgpr27
	s_and_saveexec_b32 s30, s31
	s_cbranch_execz .LBB1244_858
; %bb.862:                              ;   in Loop: Header=BB1244_859 Depth=2
	v_add_co_u32 v4, vcc_lo, v4, 2
	s_add_u32 s4, s4, -1
	s_addc_u32 s5, s5, -1
	v_add_co_ci_u32_e32 v5, vcc_lo, 0, v5, vcc_lo
	v_add_co_u32 v6, vcc_lo, v6, 2
	s_cmp_eq_u64 s[4:5], 0
	v_add_co_ci_u32_e32 v7, vcc_lo, 0, v7, vcc_lo
	s_cselect_b32 s28, -1, 0
	s_and_b32 s27, s29, exec_lo
	s_and_not1_b32 s26, s26, exec_lo
	s_or_not1_b32 s28, s28, exec_lo
	s_branch .LBB1244_858
.LBB1244_863:                           ;   in Loop: Header=BB1244_820 Depth=1
	s_set_inst_prefetch_distance 0x2
	s_or_b32 exec_lo, exec_lo, s24
	s_xor_b32 s4, s25, -1
	s_and_not1_b32 s5, s20, exec_lo
	s_and_b32 s4, s4, exec_lo
	s_delay_alu instid0(SALU_CYCLE_1)
	s_or_b32 s20, s5, s4
.LBB1244_864:                           ;   in Loop: Header=BB1244_820 Depth=1
	s_or_b32 exec_lo, exec_lo, s23
	s_delay_alu instid0(SALU_CYCLE_1)
	s_or_not1_b32 s20, s20, exec_lo
.LBB1244_865:                           ;   in Loop: Header=BB1244_820 Depth=1
	s_or_b32 exec_lo, exec_lo, s22
	v_cndmask_b32_e64 v4, v9, v8, s20
	v_cndmask_b32_e64 v5, v21, v20, s20
	s_mov_b32 s22, exec_lo
	s_delay_alu instid0(VALU_DEP_2) | instskip(NEXT) | instid1(VALU_DEP_2)
	v_add_nc_u32_e32 v30, 1, v4
	v_add_nc_u32_e32 v4, -1, v5
	s_delay_alu instid0(VALU_DEP_2) | instskip(NEXT) | instid1(VALU_DEP_2)
	v_cndmask_b32_e64 v9, v30, v9, s20
	v_min_u32_e32 v4, v30, v4
	s_delay_alu instid0(VALU_DEP_1)
	v_lshlrev_b32_e32 v4, 3, v4
	ds_load_b64 v[4:5], v4
	s_waitcnt lgkmcnt(0)
	v_cndmask_b32_e64 v7, v28, v5, s20
	v_cndmask_b32_e64 v6, v29, v4, s20
	v_cmpx_lt_u32_e64 v9, v21
	s_cbranch_execz .LBB1244_818
; %bb.866:                              ;   in Loop: Header=BB1244_820 Depth=1
	v_cndmask_b32_e64 v8, v8, v30, s20
	v_cndmask_b32_e64 v21, v5, v26, s20
	;; [unrolled: 1-line block ×3, first 2 shown]
	s_delay_alu instid0(VALU_DEP_3) | instskip(NEXT) | instid1(VALU_DEP_2)
	v_cmp_ge_u32_e32 vcc_lo, v8, v20
	v_dual_cndmask_b32 v5, v7, v21 :: v_dual_cndmask_b32 v4, v6, v30
	s_or_b32 s4, vcc_lo, s14
	s_delay_alu instid0(SALU_CYCLE_1) | instskip(NEXT) | instid1(SALU_CYCLE_1)
	s_xor_b32 s4, s4, -1
	s_and_saveexec_b32 s23, s4
	s_cbranch_execz .LBB1244_817
; %bb.867:                              ;   in Loop: Header=BB1244_820 Depth=1
	v_mad_u64_u32 v[4:5], null, s12, v30, s[10:11]
	v_mul_lo_u32 v20, s12, v21
	v_mul_lo_u32 v31, s13, v30
	v_mad_u64_u32 v[8:9], null, s12, v6, s[10:11]
	v_mul_lo_u32 v32, s12, v7
	v_mul_lo_u32 v33, s13, v6
	s_mov_b32 s24, 0
	s_mov_b64 s[4:5], s[8:9]
                                        ; implicit-def: $sgpr25
                                        ; implicit-def: $sgpr26
                                        ; implicit-def: $sgpr27
	s_delay_alu instid0(VALU_DEP_4) | instskip(NEXT) | instid1(VALU_DEP_2)
	v_add3_u32 v5, v31, v5, v20
	v_add3_u32 v9, v33, v9, v32
	s_set_inst_prefetch_distance 0x1
	s_branch .LBB1244_869
	.p2align	6
.LBB1244_868:                           ;   in Loop: Header=BB1244_869 Depth=2
	s_or_b32 exec_lo, exec_lo, s30
	s_delay_alu instid0(SALU_CYCLE_1) | instskip(NEXT) | instid1(SALU_CYCLE_1)
	s_and_b32 s28, exec_lo, s28
	s_or_b32 s24, s28, s24
	s_and_not1_b32 s25, s25, exec_lo
	s_and_b32 s28, s26, exec_lo
	s_delay_alu instid0(SALU_CYCLE_1)
	s_or_b32 s25, s25, s28
	s_and_not1_b32 exec_lo, exec_lo, s24
	s_cbranch_execz .LBB1244_816
.LBB1244_869:                           ;   Parent Loop BB1244_820 Depth=1
                                        ; =>  This Inner Loop Header: Depth=2
	global_load_u16 v20, v[4:5], off
	global_load_u16 v31, v[8:9], off
	s_mov_b32 s28, -1
	s_mov_b32 s31, 0
	s_mov_b32 s29, -1
	s_mov_b32 s30, exec_lo
	s_waitcnt vmcnt(0)
	v_cmpx_nlt_f16_e32 v20, v31
; %bb.870:                              ;   in Loop: Header=BB1244_869 Depth=2
	v_cmp_ngt_f16_e32 vcc_lo, v20, v31
	s_and_b32 s27, vcc_lo, s27
	s_and_b32 s31, vcc_lo, exec_lo
	s_or_not1_b32 s29, s27, exec_lo
; %bb.871:                              ;   in Loop: Header=BB1244_869 Depth=2
	s_or_b32 exec_lo, exec_lo, s30
	s_delay_alu instid0(SALU_CYCLE_1) | instskip(SKIP_1) | instid1(SALU_CYCLE_1)
	s_and_not1_b32 s26, s26, exec_lo
	s_and_b32 s27, s29, exec_lo
	s_or_b32 s26, s26, s27
                                        ; implicit-def: $sgpr27
	s_and_saveexec_b32 s30, s31
	s_cbranch_execz .LBB1244_868
; %bb.872:                              ;   in Loop: Header=BB1244_869 Depth=2
	v_add_co_u32 v4, vcc_lo, v4, 2
	s_add_u32 s4, s4, -1
	s_addc_u32 s5, s5, -1
	v_add_co_ci_u32_e32 v5, vcc_lo, 0, v5, vcc_lo
	v_add_co_u32 v8, vcc_lo, v8, 2
	s_cmp_eq_u64 s[4:5], 0
	v_add_co_ci_u32_e32 v9, vcc_lo, 0, v9, vcc_lo
	s_cselect_b32 s28, -1, 0
	s_and_b32 s27, s29, exec_lo
	s_and_not1_b32 s26, s26, exec_lo
	s_or_not1_b32 s28, s28, exec_lo
	s_branch .LBB1244_868
.LBB1244_873:
	s_barrier
	buffer_gl0_inv
	ds_store_2addr_b64 v17, v[0:1], v[2:3] offset1:1
	ds_store_2addr_b64 v17, v[4:5], v[6:7] offset0:2 offset1:3
	s_waitcnt lgkmcnt(0)
	s_barrier
	buffer_gl0_inv
	ds_load_b64 v[6:7], v13 offset:2048
	ds_load_b64 v[2:3], v15 offset:4096
	;; [unrolled: 1-line block ×3, first 2 shown]
	v_add_co_u32 v4, s3, s6, v22
	v_mov_b32_e32 v13, 0
	v_add_co_ci_u32_e64 v5, null, s7, 0, s3
	s_and_saveexec_b32 s3, s0
	s_cbranch_execnz .LBB1244_881
; %bb.874:
	s_or_b32 exec_lo, exec_lo, s3
	s_and_saveexec_b32 s0, s1
	s_cbranch_execnz .LBB1244_882
.LBB1244_875:
	s_or_b32 exec_lo, exec_lo, s0
	s_and_saveexec_b32 s0, s2
	s_cbranch_execz .LBB1244_877
.LBB1244_876:
	v_add_co_u32 v4, vcc_lo, 0x1000, v4
	v_add_co_ci_u32_e32 v5, vcc_lo, 0, v5, vcc_lo
	s_waitcnt lgkmcnt(1)
	global_store_b64 v[4:5], v[2:3], off
.LBB1244_877:
	s_or_b32 exec_lo, exec_lo, s0
.LBB1244_878:
	s_and_saveexec_b32 s0, s17
	s_cbranch_execz .LBB1244_880
; %bb.879:
	s_waitcnt lgkmcnt(1)
	v_lshlrev_b64 v[2:3], 3, v[12:13]
	s_delay_alu instid0(VALU_DEP_1) | instskip(NEXT) | instid1(VALU_DEP_2)
	v_add_co_u32 v2, vcc_lo, s6, v2
	v_add_co_ci_u32_e32 v3, vcc_lo, s7, v3, vcc_lo
	s_delay_alu instid0(VALU_DEP_2) | instskip(NEXT) | instid1(VALU_DEP_2)
	v_add_co_u32 v2, vcc_lo, 0x1000, v2
	v_add_co_ci_u32_e32 v3, vcc_lo, 0, v3, vcc_lo
	s_waitcnt lgkmcnt(0)
	global_store_b64 v[2:3], v[0:1], off offset:2048
.LBB1244_880:
	s_nop 0
	s_sendmsg sendmsg(MSG_DEALLOC_VGPRS)
	s_endpgm
.LBB1244_881:
	ds_load_b64 v[8:9], v14
	s_waitcnt lgkmcnt(0)
	global_store_b64 v[4:5], v[8:9], off
	s_or_b32 exec_lo, exec_lo, s3
	s_and_saveexec_b32 s0, s1
	s_cbranch_execz .LBB1244_875
.LBB1244_882:
	s_waitcnt lgkmcnt(2)
	global_store_b64 v[4:5], v[6:7], off offset:2048
	s_or_b32 exec_lo, exec_lo, s0
	s_and_saveexec_b32 s0, s2
	s_cbranch_execnz .LBB1244_876
	s_branch .LBB1244_877
	.section	.rodata,"a",@progbits
	.p2align	6, 0x0
	.amdhsa_kernel _ZN7rocprim17ROCPRIM_400000_NS6detail17trampoline_kernelINS0_14default_configENS1_37merge_sort_block_sort_config_selectorIlNS0_10empty_typeEEEZNS1_21merge_sort_block_sortIS3_PlS8_PS5_S9_ZN2at6native12_GLOBAL__N_124unique_dim_cuda_templateIN3c104HalfEEESt5tupleIJNSA_6TensorESH_SH_EERKSH_lbbbEUlllE_EE10hipError_tT0_T1_T2_T3_mRjT4_P12ihipStream_tbNS1_7vsmem_tEEUlT_E_NS1_11comp_targetILNS1_3genE9ELNS1_11target_archE1100ELNS1_3gpuE3ELNS1_3repE0EEENS1_30default_config_static_selectorELNS0_4arch9wavefront6targetE0EEEvSO_
		.amdhsa_group_segment_fixed_size 8448
		.amdhsa_private_segment_fixed_size 0
		.amdhsa_kernarg_size 328
		.amdhsa_user_sgpr_count 13
		.amdhsa_user_sgpr_dispatch_ptr 0
		.amdhsa_user_sgpr_queue_ptr 0
		.amdhsa_user_sgpr_kernarg_segment_ptr 1
		.amdhsa_user_sgpr_dispatch_id 0
		.amdhsa_user_sgpr_private_segment_size 0
		.amdhsa_wavefront_size32 1
		.amdhsa_uses_dynamic_stack 0
		.amdhsa_enable_private_segment 0
		.amdhsa_system_sgpr_workgroup_id_x 1
		.amdhsa_system_sgpr_workgroup_id_y 1
		.amdhsa_system_sgpr_workgroup_id_z 1
		.amdhsa_system_sgpr_workgroup_info 0
		.amdhsa_system_vgpr_workitem_id 2
		.amdhsa_next_free_vgpr 47
		.amdhsa_next_free_sgpr 32
		.amdhsa_reserve_vcc 1
		.amdhsa_float_round_mode_32 0
		.amdhsa_float_round_mode_16_64 0
		.amdhsa_float_denorm_mode_32 3
		.amdhsa_float_denorm_mode_16_64 3
		.amdhsa_dx10_clamp 1
		.amdhsa_ieee_mode 1
		.amdhsa_fp16_overflow 0
		.amdhsa_workgroup_processor_mode 1
		.amdhsa_memory_ordered 1
		.amdhsa_forward_progress 0
		.amdhsa_shared_vgpr_count 0
		.amdhsa_exception_fp_ieee_invalid_op 0
		.amdhsa_exception_fp_denorm_src 0
		.amdhsa_exception_fp_ieee_div_zero 0
		.amdhsa_exception_fp_ieee_overflow 0
		.amdhsa_exception_fp_ieee_underflow 0
		.amdhsa_exception_fp_ieee_inexact 0
		.amdhsa_exception_int_div_zero 0
	.end_amdhsa_kernel
	.section	.text._ZN7rocprim17ROCPRIM_400000_NS6detail17trampoline_kernelINS0_14default_configENS1_37merge_sort_block_sort_config_selectorIlNS0_10empty_typeEEEZNS1_21merge_sort_block_sortIS3_PlS8_PS5_S9_ZN2at6native12_GLOBAL__N_124unique_dim_cuda_templateIN3c104HalfEEESt5tupleIJNSA_6TensorESH_SH_EERKSH_lbbbEUlllE_EE10hipError_tT0_T1_T2_T3_mRjT4_P12ihipStream_tbNS1_7vsmem_tEEUlT_E_NS1_11comp_targetILNS1_3genE9ELNS1_11target_archE1100ELNS1_3gpuE3ELNS1_3repE0EEENS1_30default_config_static_selectorELNS0_4arch9wavefront6targetE0EEEvSO_,"axG",@progbits,_ZN7rocprim17ROCPRIM_400000_NS6detail17trampoline_kernelINS0_14default_configENS1_37merge_sort_block_sort_config_selectorIlNS0_10empty_typeEEEZNS1_21merge_sort_block_sortIS3_PlS8_PS5_S9_ZN2at6native12_GLOBAL__N_124unique_dim_cuda_templateIN3c104HalfEEESt5tupleIJNSA_6TensorESH_SH_EERKSH_lbbbEUlllE_EE10hipError_tT0_T1_T2_T3_mRjT4_P12ihipStream_tbNS1_7vsmem_tEEUlT_E_NS1_11comp_targetILNS1_3genE9ELNS1_11target_archE1100ELNS1_3gpuE3ELNS1_3repE0EEENS1_30default_config_static_selectorELNS0_4arch9wavefront6targetE0EEEvSO_,comdat
.Lfunc_end1244:
	.size	_ZN7rocprim17ROCPRIM_400000_NS6detail17trampoline_kernelINS0_14default_configENS1_37merge_sort_block_sort_config_selectorIlNS0_10empty_typeEEEZNS1_21merge_sort_block_sortIS3_PlS8_PS5_S9_ZN2at6native12_GLOBAL__N_124unique_dim_cuda_templateIN3c104HalfEEESt5tupleIJNSA_6TensorESH_SH_EERKSH_lbbbEUlllE_EE10hipError_tT0_T1_T2_T3_mRjT4_P12ihipStream_tbNS1_7vsmem_tEEUlT_E_NS1_11comp_targetILNS1_3genE9ELNS1_11target_archE1100ELNS1_3gpuE3ELNS1_3repE0EEENS1_30default_config_static_selectorELNS0_4arch9wavefront6targetE0EEEvSO_, .Lfunc_end1244-_ZN7rocprim17ROCPRIM_400000_NS6detail17trampoline_kernelINS0_14default_configENS1_37merge_sort_block_sort_config_selectorIlNS0_10empty_typeEEEZNS1_21merge_sort_block_sortIS3_PlS8_PS5_S9_ZN2at6native12_GLOBAL__N_124unique_dim_cuda_templateIN3c104HalfEEESt5tupleIJNSA_6TensorESH_SH_EERKSH_lbbbEUlllE_EE10hipError_tT0_T1_T2_T3_mRjT4_P12ihipStream_tbNS1_7vsmem_tEEUlT_E_NS1_11comp_targetILNS1_3genE9ELNS1_11target_archE1100ELNS1_3gpuE3ELNS1_3repE0EEENS1_30default_config_static_selectorELNS0_4arch9wavefront6targetE0EEEvSO_
                                        ; -- End function
	.section	.AMDGPU.csdata,"",@progbits
; Kernel info:
; codeLenInByte = 41172
; NumSgprs: 34
; NumVgprs: 47
; ScratchSize: 0
; MemoryBound: 0
; FloatMode: 240
; IeeeMode: 1
; LDSByteSize: 8448 bytes/workgroup (compile time only)
; SGPRBlocks: 4
; VGPRBlocks: 5
; NumSGPRsForWavesPerEU: 34
; NumVGPRsForWavesPerEU: 47
; Occupancy: 16
; WaveLimiterHint : 1
; COMPUTE_PGM_RSRC2:SCRATCH_EN: 0
; COMPUTE_PGM_RSRC2:USER_SGPR: 13
; COMPUTE_PGM_RSRC2:TRAP_HANDLER: 0
; COMPUTE_PGM_RSRC2:TGID_X_EN: 1
; COMPUTE_PGM_RSRC2:TGID_Y_EN: 1
; COMPUTE_PGM_RSRC2:TGID_Z_EN: 1
; COMPUTE_PGM_RSRC2:TIDIG_COMP_CNT: 2
	.section	.text._ZN7rocprim17ROCPRIM_400000_NS6detail17trampoline_kernelINS0_14default_configENS1_37merge_sort_block_sort_config_selectorIlNS0_10empty_typeEEEZNS1_21merge_sort_block_sortIS3_PlS8_PS5_S9_ZN2at6native12_GLOBAL__N_124unique_dim_cuda_templateIN3c104HalfEEESt5tupleIJNSA_6TensorESH_SH_EERKSH_lbbbEUlllE_EE10hipError_tT0_T1_T2_T3_mRjT4_P12ihipStream_tbNS1_7vsmem_tEEUlT_E_NS1_11comp_targetILNS1_3genE8ELNS1_11target_archE1030ELNS1_3gpuE2ELNS1_3repE0EEENS1_30default_config_static_selectorELNS0_4arch9wavefront6targetE0EEEvSO_,"axG",@progbits,_ZN7rocprim17ROCPRIM_400000_NS6detail17trampoline_kernelINS0_14default_configENS1_37merge_sort_block_sort_config_selectorIlNS0_10empty_typeEEEZNS1_21merge_sort_block_sortIS3_PlS8_PS5_S9_ZN2at6native12_GLOBAL__N_124unique_dim_cuda_templateIN3c104HalfEEESt5tupleIJNSA_6TensorESH_SH_EERKSH_lbbbEUlllE_EE10hipError_tT0_T1_T2_T3_mRjT4_P12ihipStream_tbNS1_7vsmem_tEEUlT_E_NS1_11comp_targetILNS1_3genE8ELNS1_11target_archE1030ELNS1_3gpuE2ELNS1_3repE0EEENS1_30default_config_static_selectorELNS0_4arch9wavefront6targetE0EEEvSO_,comdat
	.globl	_ZN7rocprim17ROCPRIM_400000_NS6detail17trampoline_kernelINS0_14default_configENS1_37merge_sort_block_sort_config_selectorIlNS0_10empty_typeEEEZNS1_21merge_sort_block_sortIS3_PlS8_PS5_S9_ZN2at6native12_GLOBAL__N_124unique_dim_cuda_templateIN3c104HalfEEESt5tupleIJNSA_6TensorESH_SH_EERKSH_lbbbEUlllE_EE10hipError_tT0_T1_T2_T3_mRjT4_P12ihipStream_tbNS1_7vsmem_tEEUlT_E_NS1_11comp_targetILNS1_3genE8ELNS1_11target_archE1030ELNS1_3gpuE2ELNS1_3repE0EEENS1_30default_config_static_selectorELNS0_4arch9wavefront6targetE0EEEvSO_ ; -- Begin function _ZN7rocprim17ROCPRIM_400000_NS6detail17trampoline_kernelINS0_14default_configENS1_37merge_sort_block_sort_config_selectorIlNS0_10empty_typeEEEZNS1_21merge_sort_block_sortIS3_PlS8_PS5_S9_ZN2at6native12_GLOBAL__N_124unique_dim_cuda_templateIN3c104HalfEEESt5tupleIJNSA_6TensorESH_SH_EERKSH_lbbbEUlllE_EE10hipError_tT0_T1_T2_T3_mRjT4_P12ihipStream_tbNS1_7vsmem_tEEUlT_E_NS1_11comp_targetILNS1_3genE8ELNS1_11target_archE1030ELNS1_3gpuE2ELNS1_3repE0EEENS1_30default_config_static_selectorELNS0_4arch9wavefront6targetE0EEEvSO_
	.p2align	8
	.type	_ZN7rocprim17ROCPRIM_400000_NS6detail17trampoline_kernelINS0_14default_configENS1_37merge_sort_block_sort_config_selectorIlNS0_10empty_typeEEEZNS1_21merge_sort_block_sortIS3_PlS8_PS5_S9_ZN2at6native12_GLOBAL__N_124unique_dim_cuda_templateIN3c104HalfEEESt5tupleIJNSA_6TensorESH_SH_EERKSH_lbbbEUlllE_EE10hipError_tT0_T1_T2_T3_mRjT4_P12ihipStream_tbNS1_7vsmem_tEEUlT_E_NS1_11comp_targetILNS1_3genE8ELNS1_11target_archE1030ELNS1_3gpuE2ELNS1_3repE0EEENS1_30default_config_static_selectorELNS0_4arch9wavefront6targetE0EEEvSO_,@function
_ZN7rocprim17ROCPRIM_400000_NS6detail17trampoline_kernelINS0_14default_configENS1_37merge_sort_block_sort_config_selectorIlNS0_10empty_typeEEEZNS1_21merge_sort_block_sortIS3_PlS8_PS5_S9_ZN2at6native12_GLOBAL__N_124unique_dim_cuda_templateIN3c104HalfEEESt5tupleIJNSA_6TensorESH_SH_EERKSH_lbbbEUlllE_EE10hipError_tT0_T1_T2_T3_mRjT4_P12ihipStream_tbNS1_7vsmem_tEEUlT_E_NS1_11comp_targetILNS1_3genE8ELNS1_11target_archE1030ELNS1_3gpuE2ELNS1_3repE0EEENS1_30default_config_static_selectorELNS0_4arch9wavefront6targetE0EEEvSO_: ; @_ZN7rocprim17ROCPRIM_400000_NS6detail17trampoline_kernelINS0_14default_configENS1_37merge_sort_block_sort_config_selectorIlNS0_10empty_typeEEEZNS1_21merge_sort_block_sortIS3_PlS8_PS5_S9_ZN2at6native12_GLOBAL__N_124unique_dim_cuda_templateIN3c104HalfEEESt5tupleIJNSA_6TensorESH_SH_EERKSH_lbbbEUlllE_EE10hipError_tT0_T1_T2_T3_mRjT4_P12ihipStream_tbNS1_7vsmem_tEEUlT_E_NS1_11comp_targetILNS1_3genE8ELNS1_11target_archE1030ELNS1_3gpuE2ELNS1_3repE0EEENS1_30default_config_static_selectorELNS0_4arch9wavefront6targetE0EEEvSO_
; %bb.0:
	.section	.rodata,"a",@progbits
	.p2align	6, 0x0
	.amdhsa_kernel _ZN7rocprim17ROCPRIM_400000_NS6detail17trampoline_kernelINS0_14default_configENS1_37merge_sort_block_sort_config_selectorIlNS0_10empty_typeEEEZNS1_21merge_sort_block_sortIS3_PlS8_PS5_S9_ZN2at6native12_GLOBAL__N_124unique_dim_cuda_templateIN3c104HalfEEESt5tupleIJNSA_6TensorESH_SH_EERKSH_lbbbEUlllE_EE10hipError_tT0_T1_T2_T3_mRjT4_P12ihipStream_tbNS1_7vsmem_tEEUlT_E_NS1_11comp_targetILNS1_3genE8ELNS1_11target_archE1030ELNS1_3gpuE2ELNS1_3repE0EEENS1_30default_config_static_selectorELNS0_4arch9wavefront6targetE0EEEvSO_
		.amdhsa_group_segment_fixed_size 0
		.amdhsa_private_segment_fixed_size 0
		.amdhsa_kernarg_size 72
		.amdhsa_user_sgpr_count 15
		.amdhsa_user_sgpr_dispatch_ptr 0
		.amdhsa_user_sgpr_queue_ptr 0
		.amdhsa_user_sgpr_kernarg_segment_ptr 1
		.amdhsa_user_sgpr_dispatch_id 0
		.amdhsa_user_sgpr_private_segment_size 0
		.amdhsa_wavefront_size32 1
		.amdhsa_uses_dynamic_stack 0
		.amdhsa_enable_private_segment 0
		.amdhsa_system_sgpr_workgroup_id_x 1
		.amdhsa_system_sgpr_workgroup_id_y 0
		.amdhsa_system_sgpr_workgroup_id_z 0
		.amdhsa_system_sgpr_workgroup_info 0
		.amdhsa_system_vgpr_workitem_id 0
		.amdhsa_next_free_vgpr 1
		.amdhsa_next_free_sgpr 1
		.amdhsa_reserve_vcc 0
		.amdhsa_float_round_mode_32 0
		.amdhsa_float_round_mode_16_64 0
		.amdhsa_float_denorm_mode_32 3
		.amdhsa_float_denorm_mode_16_64 3
		.amdhsa_dx10_clamp 1
		.amdhsa_ieee_mode 1
		.amdhsa_fp16_overflow 0
		.amdhsa_workgroup_processor_mode 1
		.amdhsa_memory_ordered 1
		.amdhsa_forward_progress 0
		.amdhsa_shared_vgpr_count 0
		.amdhsa_exception_fp_ieee_invalid_op 0
		.amdhsa_exception_fp_denorm_src 0
		.amdhsa_exception_fp_ieee_div_zero 0
		.amdhsa_exception_fp_ieee_overflow 0
		.amdhsa_exception_fp_ieee_underflow 0
		.amdhsa_exception_fp_ieee_inexact 0
		.amdhsa_exception_int_div_zero 0
	.end_amdhsa_kernel
	.section	.text._ZN7rocprim17ROCPRIM_400000_NS6detail17trampoline_kernelINS0_14default_configENS1_37merge_sort_block_sort_config_selectorIlNS0_10empty_typeEEEZNS1_21merge_sort_block_sortIS3_PlS8_PS5_S9_ZN2at6native12_GLOBAL__N_124unique_dim_cuda_templateIN3c104HalfEEESt5tupleIJNSA_6TensorESH_SH_EERKSH_lbbbEUlllE_EE10hipError_tT0_T1_T2_T3_mRjT4_P12ihipStream_tbNS1_7vsmem_tEEUlT_E_NS1_11comp_targetILNS1_3genE8ELNS1_11target_archE1030ELNS1_3gpuE2ELNS1_3repE0EEENS1_30default_config_static_selectorELNS0_4arch9wavefront6targetE0EEEvSO_,"axG",@progbits,_ZN7rocprim17ROCPRIM_400000_NS6detail17trampoline_kernelINS0_14default_configENS1_37merge_sort_block_sort_config_selectorIlNS0_10empty_typeEEEZNS1_21merge_sort_block_sortIS3_PlS8_PS5_S9_ZN2at6native12_GLOBAL__N_124unique_dim_cuda_templateIN3c104HalfEEESt5tupleIJNSA_6TensorESH_SH_EERKSH_lbbbEUlllE_EE10hipError_tT0_T1_T2_T3_mRjT4_P12ihipStream_tbNS1_7vsmem_tEEUlT_E_NS1_11comp_targetILNS1_3genE8ELNS1_11target_archE1030ELNS1_3gpuE2ELNS1_3repE0EEENS1_30default_config_static_selectorELNS0_4arch9wavefront6targetE0EEEvSO_,comdat
.Lfunc_end1245:
	.size	_ZN7rocprim17ROCPRIM_400000_NS6detail17trampoline_kernelINS0_14default_configENS1_37merge_sort_block_sort_config_selectorIlNS0_10empty_typeEEEZNS1_21merge_sort_block_sortIS3_PlS8_PS5_S9_ZN2at6native12_GLOBAL__N_124unique_dim_cuda_templateIN3c104HalfEEESt5tupleIJNSA_6TensorESH_SH_EERKSH_lbbbEUlllE_EE10hipError_tT0_T1_T2_T3_mRjT4_P12ihipStream_tbNS1_7vsmem_tEEUlT_E_NS1_11comp_targetILNS1_3genE8ELNS1_11target_archE1030ELNS1_3gpuE2ELNS1_3repE0EEENS1_30default_config_static_selectorELNS0_4arch9wavefront6targetE0EEEvSO_, .Lfunc_end1245-_ZN7rocprim17ROCPRIM_400000_NS6detail17trampoline_kernelINS0_14default_configENS1_37merge_sort_block_sort_config_selectorIlNS0_10empty_typeEEEZNS1_21merge_sort_block_sortIS3_PlS8_PS5_S9_ZN2at6native12_GLOBAL__N_124unique_dim_cuda_templateIN3c104HalfEEESt5tupleIJNSA_6TensorESH_SH_EERKSH_lbbbEUlllE_EE10hipError_tT0_T1_T2_T3_mRjT4_P12ihipStream_tbNS1_7vsmem_tEEUlT_E_NS1_11comp_targetILNS1_3genE8ELNS1_11target_archE1030ELNS1_3gpuE2ELNS1_3repE0EEENS1_30default_config_static_selectorELNS0_4arch9wavefront6targetE0EEEvSO_
                                        ; -- End function
	.section	.AMDGPU.csdata,"",@progbits
; Kernel info:
; codeLenInByte = 0
; NumSgprs: 0
; NumVgprs: 0
; ScratchSize: 0
; MemoryBound: 0
; FloatMode: 240
; IeeeMode: 1
; LDSByteSize: 0 bytes/workgroup (compile time only)
; SGPRBlocks: 0
; VGPRBlocks: 0
; NumSGPRsForWavesPerEU: 1
; NumVGPRsForWavesPerEU: 1
; Occupancy: 16
; WaveLimiterHint : 0
; COMPUTE_PGM_RSRC2:SCRATCH_EN: 0
; COMPUTE_PGM_RSRC2:USER_SGPR: 15
; COMPUTE_PGM_RSRC2:TRAP_HANDLER: 0
; COMPUTE_PGM_RSRC2:TGID_X_EN: 1
; COMPUTE_PGM_RSRC2:TGID_Y_EN: 0
; COMPUTE_PGM_RSRC2:TGID_Z_EN: 0
; COMPUTE_PGM_RSRC2:TIDIG_COMP_CNT: 0
	.section	.text._ZN7rocprim17ROCPRIM_400000_NS6detail17trampoline_kernelINS0_14default_configENS1_38merge_sort_block_merge_config_selectorIlNS0_10empty_typeEEEZZNS1_27merge_sort_block_merge_implIS3_PlPS5_mZN2at6native12_GLOBAL__N_124unique_dim_cuda_templateIN3c104HalfEEESt5tupleIJNSA_6TensorESH_SH_EERKSH_lbbbEUlllE_EE10hipError_tT0_T1_T2_jT3_P12ihipStream_tbPNSt15iterator_traitsISN_E10value_typeEPNST_ISO_E10value_typeEPSP_NS1_7vsmem_tEENKUlT_SN_SO_SP_E_clIS8_S8_S9_S9_EESM_S12_SN_SO_SP_EUlS12_E_NS1_11comp_targetILNS1_3genE0ELNS1_11target_archE4294967295ELNS1_3gpuE0ELNS1_3repE0EEENS1_48merge_mergepath_partition_config_static_selectorELNS0_4arch9wavefront6targetE0EEEvSO_,"axG",@progbits,_ZN7rocprim17ROCPRIM_400000_NS6detail17trampoline_kernelINS0_14default_configENS1_38merge_sort_block_merge_config_selectorIlNS0_10empty_typeEEEZZNS1_27merge_sort_block_merge_implIS3_PlPS5_mZN2at6native12_GLOBAL__N_124unique_dim_cuda_templateIN3c104HalfEEESt5tupleIJNSA_6TensorESH_SH_EERKSH_lbbbEUlllE_EE10hipError_tT0_T1_T2_jT3_P12ihipStream_tbPNSt15iterator_traitsISN_E10value_typeEPNST_ISO_E10value_typeEPSP_NS1_7vsmem_tEENKUlT_SN_SO_SP_E_clIS8_S8_S9_S9_EESM_S12_SN_SO_SP_EUlS12_E_NS1_11comp_targetILNS1_3genE0ELNS1_11target_archE4294967295ELNS1_3gpuE0ELNS1_3repE0EEENS1_48merge_mergepath_partition_config_static_selectorELNS0_4arch9wavefront6targetE0EEEvSO_,comdat
	.globl	_ZN7rocprim17ROCPRIM_400000_NS6detail17trampoline_kernelINS0_14default_configENS1_38merge_sort_block_merge_config_selectorIlNS0_10empty_typeEEEZZNS1_27merge_sort_block_merge_implIS3_PlPS5_mZN2at6native12_GLOBAL__N_124unique_dim_cuda_templateIN3c104HalfEEESt5tupleIJNSA_6TensorESH_SH_EERKSH_lbbbEUlllE_EE10hipError_tT0_T1_T2_jT3_P12ihipStream_tbPNSt15iterator_traitsISN_E10value_typeEPNST_ISO_E10value_typeEPSP_NS1_7vsmem_tEENKUlT_SN_SO_SP_E_clIS8_S8_S9_S9_EESM_S12_SN_SO_SP_EUlS12_E_NS1_11comp_targetILNS1_3genE0ELNS1_11target_archE4294967295ELNS1_3gpuE0ELNS1_3repE0EEENS1_48merge_mergepath_partition_config_static_selectorELNS0_4arch9wavefront6targetE0EEEvSO_ ; -- Begin function _ZN7rocprim17ROCPRIM_400000_NS6detail17trampoline_kernelINS0_14default_configENS1_38merge_sort_block_merge_config_selectorIlNS0_10empty_typeEEEZZNS1_27merge_sort_block_merge_implIS3_PlPS5_mZN2at6native12_GLOBAL__N_124unique_dim_cuda_templateIN3c104HalfEEESt5tupleIJNSA_6TensorESH_SH_EERKSH_lbbbEUlllE_EE10hipError_tT0_T1_T2_jT3_P12ihipStream_tbPNSt15iterator_traitsISN_E10value_typeEPNST_ISO_E10value_typeEPSP_NS1_7vsmem_tEENKUlT_SN_SO_SP_E_clIS8_S8_S9_S9_EESM_S12_SN_SO_SP_EUlS12_E_NS1_11comp_targetILNS1_3genE0ELNS1_11target_archE4294967295ELNS1_3gpuE0ELNS1_3repE0EEENS1_48merge_mergepath_partition_config_static_selectorELNS0_4arch9wavefront6targetE0EEEvSO_
	.p2align	8
	.type	_ZN7rocprim17ROCPRIM_400000_NS6detail17trampoline_kernelINS0_14default_configENS1_38merge_sort_block_merge_config_selectorIlNS0_10empty_typeEEEZZNS1_27merge_sort_block_merge_implIS3_PlPS5_mZN2at6native12_GLOBAL__N_124unique_dim_cuda_templateIN3c104HalfEEESt5tupleIJNSA_6TensorESH_SH_EERKSH_lbbbEUlllE_EE10hipError_tT0_T1_T2_jT3_P12ihipStream_tbPNSt15iterator_traitsISN_E10value_typeEPNST_ISO_E10value_typeEPSP_NS1_7vsmem_tEENKUlT_SN_SO_SP_E_clIS8_S8_S9_S9_EESM_S12_SN_SO_SP_EUlS12_E_NS1_11comp_targetILNS1_3genE0ELNS1_11target_archE4294967295ELNS1_3gpuE0ELNS1_3repE0EEENS1_48merge_mergepath_partition_config_static_selectorELNS0_4arch9wavefront6targetE0EEEvSO_,@function
_ZN7rocprim17ROCPRIM_400000_NS6detail17trampoline_kernelINS0_14default_configENS1_38merge_sort_block_merge_config_selectorIlNS0_10empty_typeEEEZZNS1_27merge_sort_block_merge_implIS3_PlPS5_mZN2at6native12_GLOBAL__N_124unique_dim_cuda_templateIN3c104HalfEEESt5tupleIJNSA_6TensorESH_SH_EERKSH_lbbbEUlllE_EE10hipError_tT0_T1_T2_jT3_P12ihipStream_tbPNSt15iterator_traitsISN_E10value_typeEPNST_ISO_E10value_typeEPSP_NS1_7vsmem_tEENKUlT_SN_SO_SP_E_clIS8_S8_S9_S9_EESM_S12_SN_SO_SP_EUlS12_E_NS1_11comp_targetILNS1_3genE0ELNS1_11target_archE4294967295ELNS1_3gpuE0ELNS1_3repE0EEENS1_48merge_mergepath_partition_config_static_selectorELNS0_4arch9wavefront6targetE0EEEvSO_: ; @_ZN7rocprim17ROCPRIM_400000_NS6detail17trampoline_kernelINS0_14default_configENS1_38merge_sort_block_merge_config_selectorIlNS0_10empty_typeEEEZZNS1_27merge_sort_block_merge_implIS3_PlPS5_mZN2at6native12_GLOBAL__N_124unique_dim_cuda_templateIN3c104HalfEEESt5tupleIJNSA_6TensorESH_SH_EERKSH_lbbbEUlllE_EE10hipError_tT0_T1_T2_jT3_P12ihipStream_tbPNSt15iterator_traitsISN_E10value_typeEPNST_ISO_E10value_typeEPSP_NS1_7vsmem_tEENKUlT_SN_SO_SP_E_clIS8_S8_S9_S9_EESM_S12_SN_SO_SP_EUlS12_E_NS1_11comp_targetILNS1_3genE0ELNS1_11target_archE4294967295ELNS1_3gpuE0ELNS1_3repE0EEENS1_48merge_mergepath_partition_config_static_selectorELNS0_4arch9wavefront6targetE0EEEvSO_
; %bb.0:
	.section	.rodata,"a",@progbits
	.p2align	6, 0x0
	.amdhsa_kernel _ZN7rocprim17ROCPRIM_400000_NS6detail17trampoline_kernelINS0_14default_configENS1_38merge_sort_block_merge_config_selectorIlNS0_10empty_typeEEEZZNS1_27merge_sort_block_merge_implIS3_PlPS5_mZN2at6native12_GLOBAL__N_124unique_dim_cuda_templateIN3c104HalfEEESt5tupleIJNSA_6TensorESH_SH_EERKSH_lbbbEUlllE_EE10hipError_tT0_T1_T2_jT3_P12ihipStream_tbPNSt15iterator_traitsISN_E10value_typeEPNST_ISO_E10value_typeEPSP_NS1_7vsmem_tEENKUlT_SN_SO_SP_E_clIS8_S8_S9_S9_EESM_S12_SN_SO_SP_EUlS12_E_NS1_11comp_targetILNS1_3genE0ELNS1_11target_archE4294967295ELNS1_3gpuE0ELNS1_3repE0EEENS1_48merge_mergepath_partition_config_static_selectorELNS0_4arch9wavefront6targetE0EEEvSO_
		.amdhsa_group_segment_fixed_size 0
		.amdhsa_private_segment_fixed_size 0
		.amdhsa_kernarg_size 56
		.amdhsa_user_sgpr_count 15
		.amdhsa_user_sgpr_dispatch_ptr 0
		.amdhsa_user_sgpr_queue_ptr 0
		.amdhsa_user_sgpr_kernarg_segment_ptr 1
		.amdhsa_user_sgpr_dispatch_id 0
		.amdhsa_user_sgpr_private_segment_size 0
		.amdhsa_wavefront_size32 1
		.amdhsa_uses_dynamic_stack 0
		.amdhsa_enable_private_segment 0
		.amdhsa_system_sgpr_workgroup_id_x 1
		.amdhsa_system_sgpr_workgroup_id_y 0
		.amdhsa_system_sgpr_workgroup_id_z 0
		.amdhsa_system_sgpr_workgroup_info 0
		.amdhsa_system_vgpr_workitem_id 0
		.amdhsa_next_free_vgpr 1
		.amdhsa_next_free_sgpr 1
		.amdhsa_reserve_vcc 0
		.amdhsa_float_round_mode_32 0
		.amdhsa_float_round_mode_16_64 0
		.amdhsa_float_denorm_mode_32 3
		.amdhsa_float_denorm_mode_16_64 3
		.amdhsa_dx10_clamp 1
		.amdhsa_ieee_mode 1
		.amdhsa_fp16_overflow 0
		.amdhsa_workgroup_processor_mode 1
		.amdhsa_memory_ordered 1
		.amdhsa_forward_progress 0
		.amdhsa_shared_vgpr_count 0
		.amdhsa_exception_fp_ieee_invalid_op 0
		.amdhsa_exception_fp_denorm_src 0
		.amdhsa_exception_fp_ieee_div_zero 0
		.amdhsa_exception_fp_ieee_overflow 0
		.amdhsa_exception_fp_ieee_underflow 0
		.amdhsa_exception_fp_ieee_inexact 0
		.amdhsa_exception_int_div_zero 0
	.end_amdhsa_kernel
	.section	.text._ZN7rocprim17ROCPRIM_400000_NS6detail17trampoline_kernelINS0_14default_configENS1_38merge_sort_block_merge_config_selectorIlNS0_10empty_typeEEEZZNS1_27merge_sort_block_merge_implIS3_PlPS5_mZN2at6native12_GLOBAL__N_124unique_dim_cuda_templateIN3c104HalfEEESt5tupleIJNSA_6TensorESH_SH_EERKSH_lbbbEUlllE_EE10hipError_tT0_T1_T2_jT3_P12ihipStream_tbPNSt15iterator_traitsISN_E10value_typeEPNST_ISO_E10value_typeEPSP_NS1_7vsmem_tEENKUlT_SN_SO_SP_E_clIS8_S8_S9_S9_EESM_S12_SN_SO_SP_EUlS12_E_NS1_11comp_targetILNS1_3genE0ELNS1_11target_archE4294967295ELNS1_3gpuE0ELNS1_3repE0EEENS1_48merge_mergepath_partition_config_static_selectorELNS0_4arch9wavefront6targetE0EEEvSO_,"axG",@progbits,_ZN7rocprim17ROCPRIM_400000_NS6detail17trampoline_kernelINS0_14default_configENS1_38merge_sort_block_merge_config_selectorIlNS0_10empty_typeEEEZZNS1_27merge_sort_block_merge_implIS3_PlPS5_mZN2at6native12_GLOBAL__N_124unique_dim_cuda_templateIN3c104HalfEEESt5tupleIJNSA_6TensorESH_SH_EERKSH_lbbbEUlllE_EE10hipError_tT0_T1_T2_jT3_P12ihipStream_tbPNSt15iterator_traitsISN_E10value_typeEPNST_ISO_E10value_typeEPSP_NS1_7vsmem_tEENKUlT_SN_SO_SP_E_clIS8_S8_S9_S9_EESM_S12_SN_SO_SP_EUlS12_E_NS1_11comp_targetILNS1_3genE0ELNS1_11target_archE4294967295ELNS1_3gpuE0ELNS1_3repE0EEENS1_48merge_mergepath_partition_config_static_selectorELNS0_4arch9wavefront6targetE0EEEvSO_,comdat
.Lfunc_end1246:
	.size	_ZN7rocprim17ROCPRIM_400000_NS6detail17trampoline_kernelINS0_14default_configENS1_38merge_sort_block_merge_config_selectorIlNS0_10empty_typeEEEZZNS1_27merge_sort_block_merge_implIS3_PlPS5_mZN2at6native12_GLOBAL__N_124unique_dim_cuda_templateIN3c104HalfEEESt5tupleIJNSA_6TensorESH_SH_EERKSH_lbbbEUlllE_EE10hipError_tT0_T1_T2_jT3_P12ihipStream_tbPNSt15iterator_traitsISN_E10value_typeEPNST_ISO_E10value_typeEPSP_NS1_7vsmem_tEENKUlT_SN_SO_SP_E_clIS8_S8_S9_S9_EESM_S12_SN_SO_SP_EUlS12_E_NS1_11comp_targetILNS1_3genE0ELNS1_11target_archE4294967295ELNS1_3gpuE0ELNS1_3repE0EEENS1_48merge_mergepath_partition_config_static_selectorELNS0_4arch9wavefront6targetE0EEEvSO_, .Lfunc_end1246-_ZN7rocprim17ROCPRIM_400000_NS6detail17trampoline_kernelINS0_14default_configENS1_38merge_sort_block_merge_config_selectorIlNS0_10empty_typeEEEZZNS1_27merge_sort_block_merge_implIS3_PlPS5_mZN2at6native12_GLOBAL__N_124unique_dim_cuda_templateIN3c104HalfEEESt5tupleIJNSA_6TensorESH_SH_EERKSH_lbbbEUlllE_EE10hipError_tT0_T1_T2_jT3_P12ihipStream_tbPNSt15iterator_traitsISN_E10value_typeEPNST_ISO_E10value_typeEPSP_NS1_7vsmem_tEENKUlT_SN_SO_SP_E_clIS8_S8_S9_S9_EESM_S12_SN_SO_SP_EUlS12_E_NS1_11comp_targetILNS1_3genE0ELNS1_11target_archE4294967295ELNS1_3gpuE0ELNS1_3repE0EEENS1_48merge_mergepath_partition_config_static_selectorELNS0_4arch9wavefront6targetE0EEEvSO_
                                        ; -- End function
	.section	.AMDGPU.csdata,"",@progbits
; Kernel info:
; codeLenInByte = 0
; NumSgprs: 0
; NumVgprs: 0
; ScratchSize: 0
; MemoryBound: 0
; FloatMode: 240
; IeeeMode: 1
; LDSByteSize: 0 bytes/workgroup (compile time only)
; SGPRBlocks: 0
; VGPRBlocks: 0
; NumSGPRsForWavesPerEU: 1
; NumVGPRsForWavesPerEU: 1
; Occupancy: 16
; WaveLimiterHint : 0
; COMPUTE_PGM_RSRC2:SCRATCH_EN: 0
; COMPUTE_PGM_RSRC2:USER_SGPR: 15
; COMPUTE_PGM_RSRC2:TRAP_HANDLER: 0
; COMPUTE_PGM_RSRC2:TGID_X_EN: 1
; COMPUTE_PGM_RSRC2:TGID_Y_EN: 0
; COMPUTE_PGM_RSRC2:TGID_Z_EN: 0
; COMPUTE_PGM_RSRC2:TIDIG_COMP_CNT: 0
	.section	.text._ZN7rocprim17ROCPRIM_400000_NS6detail17trampoline_kernelINS0_14default_configENS1_38merge_sort_block_merge_config_selectorIlNS0_10empty_typeEEEZZNS1_27merge_sort_block_merge_implIS3_PlPS5_mZN2at6native12_GLOBAL__N_124unique_dim_cuda_templateIN3c104HalfEEESt5tupleIJNSA_6TensorESH_SH_EERKSH_lbbbEUlllE_EE10hipError_tT0_T1_T2_jT3_P12ihipStream_tbPNSt15iterator_traitsISN_E10value_typeEPNST_ISO_E10value_typeEPSP_NS1_7vsmem_tEENKUlT_SN_SO_SP_E_clIS8_S8_S9_S9_EESM_S12_SN_SO_SP_EUlS12_E_NS1_11comp_targetILNS1_3genE10ELNS1_11target_archE1201ELNS1_3gpuE5ELNS1_3repE0EEENS1_48merge_mergepath_partition_config_static_selectorELNS0_4arch9wavefront6targetE0EEEvSO_,"axG",@progbits,_ZN7rocprim17ROCPRIM_400000_NS6detail17trampoline_kernelINS0_14default_configENS1_38merge_sort_block_merge_config_selectorIlNS0_10empty_typeEEEZZNS1_27merge_sort_block_merge_implIS3_PlPS5_mZN2at6native12_GLOBAL__N_124unique_dim_cuda_templateIN3c104HalfEEESt5tupleIJNSA_6TensorESH_SH_EERKSH_lbbbEUlllE_EE10hipError_tT0_T1_T2_jT3_P12ihipStream_tbPNSt15iterator_traitsISN_E10value_typeEPNST_ISO_E10value_typeEPSP_NS1_7vsmem_tEENKUlT_SN_SO_SP_E_clIS8_S8_S9_S9_EESM_S12_SN_SO_SP_EUlS12_E_NS1_11comp_targetILNS1_3genE10ELNS1_11target_archE1201ELNS1_3gpuE5ELNS1_3repE0EEENS1_48merge_mergepath_partition_config_static_selectorELNS0_4arch9wavefront6targetE0EEEvSO_,comdat
	.globl	_ZN7rocprim17ROCPRIM_400000_NS6detail17trampoline_kernelINS0_14default_configENS1_38merge_sort_block_merge_config_selectorIlNS0_10empty_typeEEEZZNS1_27merge_sort_block_merge_implIS3_PlPS5_mZN2at6native12_GLOBAL__N_124unique_dim_cuda_templateIN3c104HalfEEESt5tupleIJNSA_6TensorESH_SH_EERKSH_lbbbEUlllE_EE10hipError_tT0_T1_T2_jT3_P12ihipStream_tbPNSt15iterator_traitsISN_E10value_typeEPNST_ISO_E10value_typeEPSP_NS1_7vsmem_tEENKUlT_SN_SO_SP_E_clIS8_S8_S9_S9_EESM_S12_SN_SO_SP_EUlS12_E_NS1_11comp_targetILNS1_3genE10ELNS1_11target_archE1201ELNS1_3gpuE5ELNS1_3repE0EEENS1_48merge_mergepath_partition_config_static_selectorELNS0_4arch9wavefront6targetE0EEEvSO_ ; -- Begin function _ZN7rocprim17ROCPRIM_400000_NS6detail17trampoline_kernelINS0_14default_configENS1_38merge_sort_block_merge_config_selectorIlNS0_10empty_typeEEEZZNS1_27merge_sort_block_merge_implIS3_PlPS5_mZN2at6native12_GLOBAL__N_124unique_dim_cuda_templateIN3c104HalfEEESt5tupleIJNSA_6TensorESH_SH_EERKSH_lbbbEUlllE_EE10hipError_tT0_T1_T2_jT3_P12ihipStream_tbPNSt15iterator_traitsISN_E10value_typeEPNST_ISO_E10value_typeEPSP_NS1_7vsmem_tEENKUlT_SN_SO_SP_E_clIS8_S8_S9_S9_EESM_S12_SN_SO_SP_EUlS12_E_NS1_11comp_targetILNS1_3genE10ELNS1_11target_archE1201ELNS1_3gpuE5ELNS1_3repE0EEENS1_48merge_mergepath_partition_config_static_selectorELNS0_4arch9wavefront6targetE0EEEvSO_
	.p2align	8
	.type	_ZN7rocprim17ROCPRIM_400000_NS6detail17trampoline_kernelINS0_14default_configENS1_38merge_sort_block_merge_config_selectorIlNS0_10empty_typeEEEZZNS1_27merge_sort_block_merge_implIS3_PlPS5_mZN2at6native12_GLOBAL__N_124unique_dim_cuda_templateIN3c104HalfEEESt5tupleIJNSA_6TensorESH_SH_EERKSH_lbbbEUlllE_EE10hipError_tT0_T1_T2_jT3_P12ihipStream_tbPNSt15iterator_traitsISN_E10value_typeEPNST_ISO_E10value_typeEPSP_NS1_7vsmem_tEENKUlT_SN_SO_SP_E_clIS8_S8_S9_S9_EESM_S12_SN_SO_SP_EUlS12_E_NS1_11comp_targetILNS1_3genE10ELNS1_11target_archE1201ELNS1_3gpuE5ELNS1_3repE0EEENS1_48merge_mergepath_partition_config_static_selectorELNS0_4arch9wavefront6targetE0EEEvSO_,@function
_ZN7rocprim17ROCPRIM_400000_NS6detail17trampoline_kernelINS0_14default_configENS1_38merge_sort_block_merge_config_selectorIlNS0_10empty_typeEEEZZNS1_27merge_sort_block_merge_implIS3_PlPS5_mZN2at6native12_GLOBAL__N_124unique_dim_cuda_templateIN3c104HalfEEESt5tupleIJNSA_6TensorESH_SH_EERKSH_lbbbEUlllE_EE10hipError_tT0_T1_T2_jT3_P12ihipStream_tbPNSt15iterator_traitsISN_E10value_typeEPNST_ISO_E10value_typeEPSP_NS1_7vsmem_tEENKUlT_SN_SO_SP_E_clIS8_S8_S9_S9_EESM_S12_SN_SO_SP_EUlS12_E_NS1_11comp_targetILNS1_3genE10ELNS1_11target_archE1201ELNS1_3gpuE5ELNS1_3repE0EEENS1_48merge_mergepath_partition_config_static_selectorELNS0_4arch9wavefront6targetE0EEEvSO_: ; @_ZN7rocprim17ROCPRIM_400000_NS6detail17trampoline_kernelINS0_14default_configENS1_38merge_sort_block_merge_config_selectorIlNS0_10empty_typeEEEZZNS1_27merge_sort_block_merge_implIS3_PlPS5_mZN2at6native12_GLOBAL__N_124unique_dim_cuda_templateIN3c104HalfEEESt5tupleIJNSA_6TensorESH_SH_EERKSH_lbbbEUlllE_EE10hipError_tT0_T1_T2_jT3_P12ihipStream_tbPNSt15iterator_traitsISN_E10value_typeEPNST_ISO_E10value_typeEPSP_NS1_7vsmem_tEENKUlT_SN_SO_SP_E_clIS8_S8_S9_S9_EESM_S12_SN_SO_SP_EUlS12_E_NS1_11comp_targetILNS1_3genE10ELNS1_11target_archE1201ELNS1_3gpuE5ELNS1_3repE0EEENS1_48merge_mergepath_partition_config_static_selectorELNS0_4arch9wavefront6targetE0EEEvSO_
; %bb.0:
	.section	.rodata,"a",@progbits
	.p2align	6, 0x0
	.amdhsa_kernel _ZN7rocprim17ROCPRIM_400000_NS6detail17trampoline_kernelINS0_14default_configENS1_38merge_sort_block_merge_config_selectorIlNS0_10empty_typeEEEZZNS1_27merge_sort_block_merge_implIS3_PlPS5_mZN2at6native12_GLOBAL__N_124unique_dim_cuda_templateIN3c104HalfEEESt5tupleIJNSA_6TensorESH_SH_EERKSH_lbbbEUlllE_EE10hipError_tT0_T1_T2_jT3_P12ihipStream_tbPNSt15iterator_traitsISN_E10value_typeEPNST_ISO_E10value_typeEPSP_NS1_7vsmem_tEENKUlT_SN_SO_SP_E_clIS8_S8_S9_S9_EESM_S12_SN_SO_SP_EUlS12_E_NS1_11comp_targetILNS1_3genE10ELNS1_11target_archE1201ELNS1_3gpuE5ELNS1_3repE0EEENS1_48merge_mergepath_partition_config_static_selectorELNS0_4arch9wavefront6targetE0EEEvSO_
		.amdhsa_group_segment_fixed_size 0
		.amdhsa_private_segment_fixed_size 0
		.amdhsa_kernarg_size 56
		.amdhsa_user_sgpr_count 15
		.amdhsa_user_sgpr_dispatch_ptr 0
		.amdhsa_user_sgpr_queue_ptr 0
		.amdhsa_user_sgpr_kernarg_segment_ptr 1
		.amdhsa_user_sgpr_dispatch_id 0
		.amdhsa_user_sgpr_private_segment_size 0
		.amdhsa_wavefront_size32 1
		.amdhsa_uses_dynamic_stack 0
		.amdhsa_enable_private_segment 0
		.amdhsa_system_sgpr_workgroup_id_x 1
		.amdhsa_system_sgpr_workgroup_id_y 0
		.amdhsa_system_sgpr_workgroup_id_z 0
		.amdhsa_system_sgpr_workgroup_info 0
		.amdhsa_system_vgpr_workitem_id 0
		.amdhsa_next_free_vgpr 1
		.amdhsa_next_free_sgpr 1
		.amdhsa_reserve_vcc 0
		.amdhsa_float_round_mode_32 0
		.amdhsa_float_round_mode_16_64 0
		.amdhsa_float_denorm_mode_32 3
		.amdhsa_float_denorm_mode_16_64 3
		.amdhsa_dx10_clamp 1
		.amdhsa_ieee_mode 1
		.amdhsa_fp16_overflow 0
		.amdhsa_workgroup_processor_mode 1
		.amdhsa_memory_ordered 1
		.amdhsa_forward_progress 0
		.amdhsa_shared_vgpr_count 0
		.amdhsa_exception_fp_ieee_invalid_op 0
		.amdhsa_exception_fp_denorm_src 0
		.amdhsa_exception_fp_ieee_div_zero 0
		.amdhsa_exception_fp_ieee_overflow 0
		.amdhsa_exception_fp_ieee_underflow 0
		.amdhsa_exception_fp_ieee_inexact 0
		.amdhsa_exception_int_div_zero 0
	.end_amdhsa_kernel
	.section	.text._ZN7rocprim17ROCPRIM_400000_NS6detail17trampoline_kernelINS0_14default_configENS1_38merge_sort_block_merge_config_selectorIlNS0_10empty_typeEEEZZNS1_27merge_sort_block_merge_implIS3_PlPS5_mZN2at6native12_GLOBAL__N_124unique_dim_cuda_templateIN3c104HalfEEESt5tupleIJNSA_6TensorESH_SH_EERKSH_lbbbEUlllE_EE10hipError_tT0_T1_T2_jT3_P12ihipStream_tbPNSt15iterator_traitsISN_E10value_typeEPNST_ISO_E10value_typeEPSP_NS1_7vsmem_tEENKUlT_SN_SO_SP_E_clIS8_S8_S9_S9_EESM_S12_SN_SO_SP_EUlS12_E_NS1_11comp_targetILNS1_3genE10ELNS1_11target_archE1201ELNS1_3gpuE5ELNS1_3repE0EEENS1_48merge_mergepath_partition_config_static_selectorELNS0_4arch9wavefront6targetE0EEEvSO_,"axG",@progbits,_ZN7rocprim17ROCPRIM_400000_NS6detail17trampoline_kernelINS0_14default_configENS1_38merge_sort_block_merge_config_selectorIlNS0_10empty_typeEEEZZNS1_27merge_sort_block_merge_implIS3_PlPS5_mZN2at6native12_GLOBAL__N_124unique_dim_cuda_templateIN3c104HalfEEESt5tupleIJNSA_6TensorESH_SH_EERKSH_lbbbEUlllE_EE10hipError_tT0_T1_T2_jT3_P12ihipStream_tbPNSt15iterator_traitsISN_E10value_typeEPNST_ISO_E10value_typeEPSP_NS1_7vsmem_tEENKUlT_SN_SO_SP_E_clIS8_S8_S9_S9_EESM_S12_SN_SO_SP_EUlS12_E_NS1_11comp_targetILNS1_3genE10ELNS1_11target_archE1201ELNS1_3gpuE5ELNS1_3repE0EEENS1_48merge_mergepath_partition_config_static_selectorELNS0_4arch9wavefront6targetE0EEEvSO_,comdat
.Lfunc_end1247:
	.size	_ZN7rocprim17ROCPRIM_400000_NS6detail17trampoline_kernelINS0_14default_configENS1_38merge_sort_block_merge_config_selectorIlNS0_10empty_typeEEEZZNS1_27merge_sort_block_merge_implIS3_PlPS5_mZN2at6native12_GLOBAL__N_124unique_dim_cuda_templateIN3c104HalfEEESt5tupleIJNSA_6TensorESH_SH_EERKSH_lbbbEUlllE_EE10hipError_tT0_T1_T2_jT3_P12ihipStream_tbPNSt15iterator_traitsISN_E10value_typeEPNST_ISO_E10value_typeEPSP_NS1_7vsmem_tEENKUlT_SN_SO_SP_E_clIS8_S8_S9_S9_EESM_S12_SN_SO_SP_EUlS12_E_NS1_11comp_targetILNS1_3genE10ELNS1_11target_archE1201ELNS1_3gpuE5ELNS1_3repE0EEENS1_48merge_mergepath_partition_config_static_selectorELNS0_4arch9wavefront6targetE0EEEvSO_, .Lfunc_end1247-_ZN7rocprim17ROCPRIM_400000_NS6detail17trampoline_kernelINS0_14default_configENS1_38merge_sort_block_merge_config_selectorIlNS0_10empty_typeEEEZZNS1_27merge_sort_block_merge_implIS3_PlPS5_mZN2at6native12_GLOBAL__N_124unique_dim_cuda_templateIN3c104HalfEEESt5tupleIJNSA_6TensorESH_SH_EERKSH_lbbbEUlllE_EE10hipError_tT0_T1_T2_jT3_P12ihipStream_tbPNSt15iterator_traitsISN_E10value_typeEPNST_ISO_E10value_typeEPSP_NS1_7vsmem_tEENKUlT_SN_SO_SP_E_clIS8_S8_S9_S9_EESM_S12_SN_SO_SP_EUlS12_E_NS1_11comp_targetILNS1_3genE10ELNS1_11target_archE1201ELNS1_3gpuE5ELNS1_3repE0EEENS1_48merge_mergepath_partition_config_static_selectorELNS0_4arch9wavefront6targetE0EEEvSO_
                                        ; -- End function
	.section	.AMDGPU.csdata,"",@progbits
; Kernel info:
; codeLenInByte = 0
; NumSgprs: 0
; NumVgprs: 0
; ScratchSize: 0
; MemoryBound: 0
; FloatMode: 240
; IeeeMode: 1
; LDSByteSize: 0 bytes/workgroup (compile time only)
; SGPRBlocks: 0
; VGPRBlocks: 0
; NumSGPRsForWavesPerEU: 1
; NumVGPRsForWavesPerEU: 1
; Occupancy: 16
; WaveLimiterHint : 0
; COMPUTE_PGM_RSRC2:SCRATCH_EN: 0
; COMPUTE_PGM_RSRC2:USER_SGPR: 15
; COMPUTE_PGM_RSRC2:TRAP_HANDLER: 0
; COMPUTE_PGM_RSRC2:TGID_X_EN: 1
; COMPUTE_PGM_RSRC2:TGID_Y_EN: 0
; COMPUTE_PGM_RSRC2:TGID_Z_EN: 0
; COMPUTE_PGM_RSRC2:TIDIG_COMP_CNT: 0
	.section	.text._ZN7rocprim17ROCPRIM_400000_NS6detail17trampoline_kernelINS0_14default_configENS1_38merge_sort_block_merge_config_selectorIlNS0_10empty_typeEEEZZNS1_27merge_sort_block_merge_implIS3_PlPS5_mZN2at6native12_GLOBAL__N_124unique_dim_cuda_templateIN3c104HalfEEESt5tupleIJNSA_6TensorESH_SH_EERKSH_lbbbEUlllE_EE10hipError_tT0_T1_T2_jT3_P12ihipStream_tbPNSt15iterator_traitsISN_E10value_typeEPNST_ISO_E10value_typeEPSP_NS1_7vsmem_tEENKUlT_SN_SO_SP_E_clIS8_S8_S9_S9_EESM_S12_SN_SO_SP_EUlS12_E_NS1_11comp_targetILNS1_3genE5ELNS1_11target_archE942ELNS1_3gpuE9ELNS1_3repE0EEENS1_48merge_mergepath_partition_config_static_selectorELNS0_4arch9wavefront6targetE0EEEvSO_,"axG",@progbits,_ZN7rocprim17ROCPRIM_400000_NS6detail17trampoline_kernelINS0_14default_configENS1_38merge_sort_block_merge_config_selectorIlNS0_10empty_typeEEEZZNS1_27merge_sort_block_merge_implIS3_PlPS5_mZN2at6native12_GLOBAL__N_124unique_dim_cuda_templateIN3c104HalfEEESt5tupleIJNSA_6TensorESH_SH_EERKSH_lbbbEUlllE_EE10hipError_tT0_T1_T2_jT3_P12ihipStream_tbPNSt15iterator_traitsISN_E10value_typeEPNST_ISO_E10value_typeEPSP_NS1_7vsmem_tEENKUlT_SN_SO_SP_E_clIS8_S8_S9_S9_EESM_S12_SN_SO_SP_EUlS12_E_NS1_11comp_targetILNS1_3genE5ELNS1_11target_archE942ELNS1_3gpuE9ELNS1_3repE0EEENS1_48merge_mergepath_partition_config_static_selectorELNS0_4arch9wavefront6targetE0EEEvSO_,comdat
	.globl	_ZN7rocprim17ROCPRIM_400000_NS6detail17trampoline_kernelINS0_14default_configENS1_38merge_sort_block_merge_config_selectorIlNS0_10empty_typeEEEZZNS1_27merge_sort_block_merge_implIS3_PlPS5_mZN2at6native12_GLOBAL__N_124unique_dim_cuda_templateIN3c104HalfEEESt5tupleIJNSA_6TensorESH_SH_EERKSH_lbbbEUlllE_EE10hipError_tT0_T1_T2_jT3_P12ihipStream_tbPNSt15iterator_traitsISN_E10value_typeEPNST_ISO_E10value_typeEPSP_NS1_7vsmem_tEENKUlT_SN_SO_SP_E_clIS8_S8_S9_S9_EESM_S12_SN_SO_SP_EUlS12_E_NS1_11comp_targetILNS1_3genE5ELNS1_11target_archE942ELNS1_3gpuE9ELNS1_3repE0EEENS1_48merge_mergepath_partition_config_static_selectorELNS0_4arch9wavefront6targetE0EEEvSO_ ; -- Begin function _ZN7rocprim17ROCPRIM_400000_NS6detail17trampoline_kernelINS0_14default_configENS1_38merge_sort_block_merge_config_selectorIlNS0_10empty_typeEEEZZNS1_27merge_sort_block_merge_implIS3_PlPS5_mZN2at6native12_GLOBAL__N_124unique_dim_cuda_templateIN3c104HalfEEESt5tupleIJNSA_6TensorESH_SH_EERKSH_lbbbEUlllE_EE10hipError_tT0_T1_T2_jT3_P12ihipStream_tbPNSt15iterator_traitsISN_E10value_typeEPNST_ISO_E10value_typeEPSP_NS1_7vsmem_tEENKUlT_SN_SO_SP_E_clIS8_S8_S9_S9_EESM_S12_SN_SO_SP_EUlS12_E_NS1_11comp_targetILNS1_3genE5ELNS1_11target_archE942ELNS1_3gpuE9ELNS1_3repE0EEENS1_48merge_mergepath_partition_config_static_selectorELNS0_4arch9wavefront6targetE0EEEvSO_
	.p2align	8
	.type	_ZN7rocprim17ROCPRIM_400000_NS6detail17trampoline_kernelINS0_14default_configENS1_38merge_sort_block_merge_config_selectorIlNS0_10empty_typeEEEZZNS1_27merge_sort_block_merge_implIS3_PlPS5_mZN2at6native12_GLOBAL__N_124unique_dim_cuda_templateIN3c104HalfEEESt5tupleIJNSA_6TensorESH_SH_EERKSH_lbbbEUlllE_EE10hipError_tT0_T1_T2_jT3_P12ihipStream_tbPNSt15iterator_traitsISN_E10value_typeEPNST_ISO_E10value_typeEPSP_NS1_7vsmem_tEENKUlT_SN_SO_SP_E_clIS8_S8_S9_S9_EESM_S12_SN_SO_SP_EUlS12_E_NS1_11comp_targetILNS1_3genE5ELNS1_11target_archE942ELNS1_3gpuE9ELNS1_3repE0EEENS1_48merge_mergepath_partition_config_static_selectorELNS0_4arch9wavefront6targetE0EEEvSO_,@function
_ZN7rocprim17ROCPRIM_400000_NS6detail17trampoline_kernelINS0_14default_configENS1_38merge_sort_block_merge_config_selectorIlNS0_10empty_typeEEEZZNS1_27merge_sort_block_merge_implIS3_PlPS5_mZN2at6native12_GLOBAL__N_124unique_dim_cuda_templateIN3c104HalfEEESt5tupleIJNSA_6TensorESH_SH_EERKSH_lbbbEUlllE_EE10hipError_tT0_T1_T2_jT3_P12ihipStream_tbPNSt15iterator_traitsISN_E10value_typeEPNST_ISO_E10value_typeEPSP_NS1_7vsmem_tEENKUlT_SN_SO_SP_E_clIS8_S8_S9_S9_EESM_S12_SN_SO_SP_EUlS12_E_NS1_11comp_targetILNS1_3genE5ELNS1_11target_archE942ELNS1_3gpuE9ELNS1_3repE0EEENS1_48merge_mergepath_partition_config_static_selectorELNS0_4arch9wavefront6targetE0EEEvSO_: ; @_ZN7rocprim17ROCPRIM_400000_NS6detail17trampoline_kernelINS0_14default_configENS1_38merge_sort_block_merge_config_selectorIlNS0_10empty_typeEEEZZNS1_27merge_sort_block_merge_implIS3_PlPS5_mZN2at6native12_GLOBAL__N_124unique_dim_cuda_templateIN3c104HalfEEESt5tupleIJNSA_6TensorESH_SH_EERKSH_lbbbEUlllE_EE10hipError_tT0_T1_T2_jT3_P12ihipStream_tbPNSt15iterator_traitsISN_E10value_typeEPNST_ISO_E10value_typeEPSP_NS1_7vsmem_tEENKUlT_SN_SO_SP_E_clIS8_S8_S9_S9_EESM_S12_SN_SO_SP_EUlS12_E_NS1_11comp_targetILNS1_3genE5ELNS1_11target_archE942ELNS1_3gpuE9ELNS1_3repE0EEENS1_48merge_mergepath_partition_config_static_selectorELNS0_4arch9wavefront6targetE0EEEvSO_
; %bb.0:
	.section	.rodata,"a",@progbits
	.p2align	6, 0x0
	.amdhsa_kernel _ZN7rocprim17ROCPRIM_400000_NS6detail17trampoline_kernelINS0_14default_configENS1_38merge_sort_block_merge_config_selectorIlNS0_10empty_typeEEEZZNS1_27merge_sort_block_merge_implIS3_PlPS5_mZN2at6native12_GLOBAL__N_124unique_dim_cuda_templateIN3c104HalfEEESt5tupleIJNSA_6TensorESH_SH_EERKSH_lbbbEUlllE_EE10hipError_tT0_T1_T2_jT3_P12ihipStream_tbPNSt15iterator_traitsISN_E10value_typeEPNST_ISO_E10value_typeEPSP_NS1_7vsmem_tEENKUlT_SN_SO_SP_E_clIS8_S8_S9_S9_EESM_S12_SN_SO_SP_EUlS12_E_NS1_11comp_targetILNS1_3genE5ELNS1_11target_archE942ELNS1_3gpuE9ELNS1_3repE0EEENS1_48merge_mergepath_partition_config_static_selectorELNS0_4arch9wavefront6targetE0EEEvSO_
		.amdhsa_group_segment_fixed_size 0
		.amdhsa_private_segment_fixed_size 0
		.amdhsa_kernarg_size 56
		.amdhsa_user_sgpr_count 15
		.amdhsa_user_sgpr_dispatch_ptr 0
		.amdhsa_user_sgpr_queue_ptr 0
		.amdhsa_user_sgpr_kernarg_segment_ptr 1
		.amdhsa_user_sgpr_dispatch_id 0
		.amdhsa_user_sgpr_private_segment_size 0
		.amdhsa_wavefront_size32 1
		.amdhsa_uses_dynamic_stack 0
		.amdhsa_enable_private_segment 0
		.amdhsa_system_sgpr_workgroup_id_x 1
		.amdhsa_system_sgpr_workgroup_id_y 0
		.amdhsa_system_sgpr_workgroup_id_z 0
		.amdhsa_system_sgpr_workgroup_info 0
		.amdhsa_system_vgpr_workitem_id 0
		.amdhsa_next_free_vgpr 1
		.amdhsa_next_free_sgpr 1
		.amdhsa_reserve_vcc 0
		.amdhsa_float_round_mode_32 0
		.amdhsa_float_round_mode_16_64 0
		.amdhsa_float_denorm_mode_32 3
		.amdhsa_float_denorm_mode_16_64 3
		.amdhsa_dx10_clamp 1
		.amdhsa_ieee_mode 1
		.amdhsa_fp16_overflow 0
		.amdhsa_workgroup_processor_mode 1
		.amdhsa_memory_ordered 1
		.amdhsa_forward_progress 0
		.amdhsa_shared_vgpr_count 0
		.amdhsa_exception_fp_ieee_invalid_op 0
		.amdhsa_exception_fp_denorm_src 0
		.amdhsa_exception_fp_ieee_div_zero 0
		.amdhsa_exception_fp_ieee_overflow 0
		.amdhsa_exception_fp_ieee_underflow 0
		.amdhsa_exception_fp_ieee_inexact 0
		.amdhsa_exception_int_div_zero 0
	.end_amdhsa_kernel
	.section	.text._ZN7rocprim17ROCPRIM_400000_NS6detail17trampoline_kernelINS0_14default_configENS1_38merge_sort_block_merge_config_selectorIlNS0_10empty_typeEEEZZNS1_27merge_sort_block_merge_implIS3_PlPS5_mZN2at6native12_GLOBAL__N_124unique_dim_cuda_templateIN3c104HalfEEESt5tupleIJNSA_6TensorESH_SH_EERKSH_lbbbEUlllE_EE10hipError_tT0_T1_T2_jT3_P12ihipStream_tbPNSt15iterator_traitsISN_E10value_typeEPNST_ISO_E10value_typeEPSP_NS1_7vsmem_tEENKUlT_SN_SO_SP_E_clIS8_S8_S9_S9_EESM_S12_SN_SO_SP_EUlS12_E_NS1_11comp_targetILNS1_3genE5ELNS1_11target_archE942ELNS1_3gpuE9ELNS1_3repE0EEENS1_48merge_mergepath_partition_config_static_selectorELNS0_4arch9wavefront6targetE0EEEvSO_,"axG",@progbits,_ZN7rocprim17ROCPRIM_400000_NS6detail17trampoline_kernelINS0_14default_configENS1_38merge_sort_block_merge_config_selectorIlNS0_10empty_typeEEEZZNS1_27merge_sort_block_merge_implIS3_PlPS5_mZN2at6native12_GLOBAL__N_124unique_dim_cuda_templateIN3c104HalfEEESt5tupleIJNSA_6TensorESH_SH_EERKSH_lbbbEUlllE_EE10hipError_tT0_T1_T2_jT3_P12ihipStream_tbPNSt15iterator_traitsISN_E10value_typeEPNST_ISO_E10value_typeEPSP_NS1_7vsmem_tEENKUlT_SN_SO_SP_E_clIS8_S8_S9_S9_EESM_S12_SN_SO_SP_EUlS12_E_NS1_11comp_targetILNS1_3genE5ELNS1_11target_archE942ELNS1_3gpuE9ELNS1_3repE0EEENS1_48merge_mergepath_partition_config_static_selectorELNS0_4arch9wavefront6targetE0EEEvSO_,comdat
.Lfunc_end1248:
	.size	_ZN7rocprim17ROCPRIM_400000_NS6detail17trampoline_kernelINS0_14default_configENS1_38merge_sort_block_merge_config_selectorIlNS0_10empty_typeEEEZZNS1_27merge_sort_block_merge_implIS3_PlPS5_mZN2at6native12_GLOBAL__N_124unique_dim_cuda_templateIN3c104HalfEEESt5tupleIJNSA_6TensorESH_SH_EERKSH_lbbbEUlllE_EE10hipError_tT0_T1_T2_jT3_P12ihipStream_tbPNSt15iterator_traitsISN_E10value_typeEPNST_ISO_E10value_typeEPSP_NS1_7vsmem_tEENKUlT_SN_SO_SP_E_clIS8_S8_S9_S9_EESM_S12_SN_SO_SP_EUlS12_E_NS1_11comp_targetILNS1_3genE5ELNS1_11target_archE942ELNS1_3gpuE9ELNS1_3repE0EEENS1_48merge_mergepath_partition_config_static_selectorELNS0_4arch9wavefront6targetE0EEEvSO_, .Lfunc_end1248-_ZN7rocprim17ROCPRIM_400000_NS6detail17trampoline_kernelINS0_14default_configENS1_38merge_sort_block_merge_config_selectorIlNS0_10empty_typeEEEZZNS1_27merge_sort_block_merge_implIS3_PlPS5_mZN2at6native12_GLOBAL__N_124unique_dim_cuda_templateIN3c104HalfEEESt5tupleIJNSA_6TensorESH_SH_EERKSH_lbbbEUlllE_EE10hipError_tT0_T1_T2_jT3_P12ihipStream_tbPNSt15iterator_traitsISN_E10value_typeEPNST_ISO_E10value_typeEPSP_NS1_7vsmem_tEENKUlT_SN_SO_SP_E_clIS8_S8_S9_S9_EESM_S12_SN_SO_SP_EUlS12_E_NS1_11comp_targetILNS1_3genE5ELNS1_11target_archE942ELNS1_3gpuE9ELNS1_3repE0EEENS1_48merge_mergepath_partition_config_static_selectorELNS0_4arch9wavefront6targetE0EEEvSO_
                                        ; -- End function
	.section	.AMDGPU.csdata,"",@progbits
; Kernel info:
; codeLenInByte = 0
; NumSgprs: 0
; NumVgprs: 0
; ScratchSize: 0
; MemoryBound: 0
; FloatMode: 240
; IeeeMode: 1
; LDSByteSize: 0 bytes/workgroup (compile time only)
; SGPRBlocks: 0
; VGPRBlocks: 0
; NumSGPRsForWavesPerEU: 1
; NumVGPRsForWavesPerEU: 1
; Occupancy: 16
; WaveLimiterHint : 0
; COMPUTE_PGM_RSRC2:SCRATCH_EN: 0
; COMPUTE_PGM_RSRC2:USER_SGPR: 15
; COMPUTE_PGM_RSRC2:TRAP_HANDLER: 0
; COMPUTE_PGM_RSRC2:TGID_X_EN: 1
; COMPUTE_PGM_RSRC2:TGID_Y_EN: 0
; COMPUTE_PGM_RSRC2:TGID_Z_EN: 0
; COMPUTE_PGM_RSRC2:TIDIG_COMP_CNT: 0
	.section	.text._ZN7rocprim17ROCPRIM_400000_NS6detail17trampoline_kernelINS0_14default_configENS1_38merge_sort_block_merge_config_selectorIlNS0_10empty_typeEEEZZNS1_27merge_sort_block_merge_implIS3_PlPS5_mZN2at6native12_GLOBAL__N_124unique_dim_cuda_templateIN3c104HalfEEESt5tupleIJNSA_6TensorESH_SH_EERKSH_lbbbEUlllE_EE10hipError_tT0_T1_T2_jT3_P12ihipStream_tbPNSt15iterator_traitsISN_E10value_typeEPNST_ISO_E10value_typeEPSP_NS1_7vsmem_tEENKUlT_SN_SO_SP_E_clIS8_S8_S9_S9_EESM_S12_SN_SO_SP_EUlS12_E_NS1_11comp_targetILNS1_3genE4ELNS1_11target_archE910ELNS1_3gpuE8ELNS1_3repE0EEENS1_48merge_mergepath_partition_config_static_selectorELNS0_4arch9wavefront6targetE0EEEvSO_,"axG",@progbits,_ZN7rocprim17ROCPRIM_400000_NS6detail17trampoline_kernelINS0_14default_configENS1_38merge_sort_block_merge_config_selectorIlNS0_10empty_typeEEEZZNS1_27merge_sort_block_merge_implIS3_PlPS5_mZN2at6native12_GLOBAL__N_124unique_dim_cuda_templateIN3c104HalfEEESt5tupleIJNSA_6TensorESH_SH_EERKSH_lbbbEUlllE_EE10hipError_tT0_T1_T2_jT3_P12ihipStream_tbPNSt15iterator_traitsISN_E10value_typeEPNST_ISO_E10value_typeEPSP_NS1_7vsmem_tEENKUlT_SN_SO_SP_E_clIS8_S8_S9_S9_EESM_S12_SN_SO_SP_EUlS12_E_NS1_11comp_targetILNS1_3genE4ELNS1_11target_archE910ELNS1_3gpuE8ELNS1_3repE0EEENS1_48merge_mergepath_partition_config_static_selectorELNS0_4arch9wavefront6targetE0EEEvSO_,comdat
	.globl	_ZN7rocprim17ROCPRIM_400000_NS6detail17trampoline_kernelINS0_14default_configENS1_38merge_sort_block_merge_config_selectorIlNS0_10empty_typeEEEZZNS1_27merge_sort_block_merge_implIS3_PlPS5_mZN2at6native12_GLOBAL__N_124unique_dim_cuda_templateIN3c104HalfEEESt5tupleIJNSA_6TensorESH_SH_EERKSH_lbbbEUlllE_EE10hipError_tT0_T1_T2_jT3_P12ihipStream_tbPNSt15iterator_traitsISN_E10value_typeEPNST_ISO_E10value_typeEPSP_NS1_7vsmem_tEENKUlT_SN_SO_SP_E_clIS8_S8_S9_S9_EESM_S12_SN_SO_SP_EUlS12_E_NS1_11comp_targetILNS1_3genE4ELNS1_11target_archE910ELNS1_3gpuE8ELNS1_3repE0EEENS1_48merge_mergepath_partition_config_static_selectorELNS0_4arch9wavefront6targetE0EEEvSO_ ; -- Begin function _ZN7rocprim17ROCPRIM_400000_NS6detail17trampoline_kernelINS0_14default_configENS1_38merge_sort_block_merge_config_selectorIlNS0_10empty_typeEEEZZNS1_27merge_sort_block_merge_implIS3_PlPS5_mZN2at6native12_GLOBAL__N_124unique_dim_cuda_templateIN3c104HalfEEESt5tupleIJNSA_6TensorESH_SH_EERKSH_lbbbEUlllE_EE10hipError_tT0_T1_T2_jT3_P12ihipStream_tbPNSt15iterator_traitsISN_E10value_typeEPNST_ISO_E10value_typeEPSP_NS1_7vsmem_tEENKUlT_SN_SO_SP_E_clIS8_S8_S9_S9_EESM_S12_SN_SO_SP_EUlS12_E_NS1_11comp_targetILNS1_3genE4ELNS1_11target_archE910ELNS1_3gpuE8ELNS1_3repE0EEENS1_48merge_mergepath_partition_config_static_selectorELNS0_4arch9wavefront6targetE0EEEvSO_
	.p2align	8
	.type	_ZN7rocprim17ROCPRIM_400000_NS6detail17trampoline_kernelINS0_14default_configENS1_38merge_sort_block_merge_config_selectorIlNS0_10empty_typeEEEZZNS1_27merge_sort_block_merge_implIS3_PlPS5_mZN2at6native12_GLOBAL__N_124unique_dim_cuda_templateIN3c104HalfEEESt5tupleIJNSA_6TensorESH_SH_EERKSH_lbbbEUlllE_EE10hipError_tT0_T1_T2_jT3_P12ihipStream_tbPNSt15iterator_traitsISN_E10value_typeEPNST_ISO_E10value_typeEPSP_NS1_7vsmem_tEENKUlT_SN_SO_SP_E_clIS8_S8_S9_S9_EESM_S12_SN_SO_SP_EUlS12_E_NS1_11comp_targetILNS1_3genE4ELNS1_11target_archE910ELNS1_3gpuE8ELNS1_3repE0EEENS1_48merge_mergepath_partition_config_static_selectorELNS0_4arch9wavefront6targetE0EEEvSO_,@function
_ZN7rocprim17ROCPRIM_400000_NS6detail17trampoline_kernelINS0_14default_configENS1_38merge_sort_block_merge_config_selectorIlNS0_10empty_typeEEEZZNS1_27merge_sort_block_merge_implIS3_PlPS5_mZN2at6native12_GLOBAL__N_124unique_dim_cuda_templateIN3c104HalfEEESt5tupleIJNSA_6TensorESH_SH_EERKSH_lbbbEUlllE_EE10hipError_tT0_T1_T2_jT3_P12ihipStream_tbPNSt15iterator_traitsISN_E10value_typeEPNST_ISO_E10value_typeEPSP_NS1_7vsmem_tEENKUlT_SN_SO_SP_E_clIS8_S8_S9_S9_EESM_S12_SN_SO_SP_EUlS12_E_NS1_11comp_targetILNS1_3genE4ELNS1_11target_archE910ELNS1_3gpuE8ELNS1_3repE0EEENS1_48merge_mergepath_partition_config_static_selectorELNS0_4arch9wavefront6targetE0EEEvSO_: ; @_ZN7rocprim17ROCPRIM_400000_NS6detail17trampoline_kernelINS0_14default_configENS1_38merge_sort_block_merge_config_selectorIlNS0_10empty_typeEEEZZNS1_27merge_sort_block_merge_implIS3_PlPS5_mZN2at6native12_GLOBAL__N_124unique_dim_cuda_templateIN3c104HalfEEESt5tupleIJNSA_6TensorESH_SH_EERKSH_lbbbEUlllE_EE10hipError_tT0_T1_T2_jT3_P12ihipStream_tbPNSt15iterator_traitsISN_E10value_typeEPNST_ISO_E10value_typeEPSP_NS1_7vsmem_tEENKUlT_SN_SO_SP_E_clIS8_S8_S9_S9_EESM_S12_SN_SO_SP_EUlS12_E_NS1_11comp_targetILNS1_3genE4ELNS1_11target_archE910ELNS1_3gpuE8ELNS1_3repE0EEENS1_48merge_mergepath_partition_config_static_selectorELNS0_4arch9wavefront6targetE0EEEvSO_
; %bb.0:
	.section	.rodata,"a",@progbits
	.p2align	6, 0x0
	.amdhsa_kernel _ZN7rocprim17ROCPRIM_400000_NS6detail17trampoline_kernelINS0_14default_configENS1_38merge_sort_block_merge_config_selectorIlNS0_10empty_typeEEEZZNS1_27merge_sort_block_merge_implIS3_PlPS5_mZN2at6native12_GLOBAL__N_124unique_dim_cuda_templateIN3c104HalfEEESt5tupleIJNSA_6TensorESH_SH_EERKSH_lbbbEUlllE_EE10hipError_tT0_T1_T2_jT3_P12ihipStream_tbPNSt15iterator_traitsISN_E10value_typeEPNST_ISO_E10value_typeEPSP_NS1_7vsmem_tEENKUlT_SN_SO_SP_E_clIS8_S8_S9_S9_EESM_S12_SN_SO_SP_EUlS12_E_NS1_11comp_targetILNS1_3genE4ELNS1_11target_archE910ELNS1_3gpuE8ELNS1_3repE0EEENS1_48merge_mergepath_partition_config_static_selectorELNS0_4arch9wavefront6targetE0EEEvSO_
		.amdhsa_group_segment_fixed_size 0
		.amdhsa_private_segment_fixed_size 0
		.amdhsa_kernarg_size 56
		.amdhsa_user_sgpr_count 15
		.amdhsa_user_sgpr_dispatch_ptr 0
		.amdhsa_user_sgpr_queue_ptr 0
		.amdhsa_user_sgpr_kernarg_segment_ptr 1
		.amdhsa_user_sgpr_dispatch_id 0
		.amdhsa_user_sgpr_private_segment_size 0
		.amdhsa_wavefront_size32 1
		.amdhsa_uses_dynamic_stack 0
		.amdhsa_enable_private_segment 0
		.amdhsa_system_sgpr_workgroup_id_x 1
		.amdhsa_system_sgpr_workgroup_id_y 0
		.amdhsa_system_sgpr_workgroup_id_z 0
		.amdhsa_system_sgpr_workgroup_info 0
		.amdhsa_system_vgpr_workitem_id 0
		.amdhsa_next_free_vgpr 1
		.amdhsa_next_free_sgpr 1
		.amdhsa_reserve_vcc 0
		.amdhsa_float_round_mode_32 0
		.amdhsa_float_round_mode_16_64 0
		.amdhsa_float_denorm_mode_32 3
		.amdhsa_float_denorm_mode_16_64 3
		.amdhsa_dx10_clamp 1
		.amdhsa_ieee_mode 1
		.amdhsa_fp16_overflow 0
		.amdhsa_workgroup_processor_mode 1
		.amdhsa_memory_ordered 1
		.amdhsa_forward_progress 0
		.amdhsa_shared_vgpr_count 0
		.amdhsa_exception_fp_ieee_invalid_op 0
		.amdhsa_exception_fp_denorm_src 0
		.amdhsa_exception_fp_ieee_div_zero 0
		.amdhsa_exception_fp_ieee_overflow 0
		.amdhsa_exception_fp_ieee_underflow 0
		.amdhsa_exception_fp_ieee_inexact 0
		.amdhsa_exception_int_div_zero 0
	.end_amdhsa_kernel
	.section	.text._ZN7rocprim17ROCPRIM_400000_NS6detail17trampoline_kernelINS0_14default_configENS1_38merge_sort_block_merge_config_selectorIlNS0_10empty_typeEEEZZNS1_27merge_sort_block_merge_implIS3_PlPS5_mZN2at6native12_GLOBAL__N_124unique_dim_cuda_templateIN3c104HalfEEESt5tupleIJNSA_6TensorESH_SH_EERKSH_lbbbEUlllE_EE10hipError_tT0_T1_T2_jT3_P12ihipStream_tbPNSt15iterator_traitsISN_E10value_typeEPNST_ISO_E10value_typeEPSP_NS1_7vsmem_tEENKUlT_SN_SO_SP_E_clIS8_S8_S9_S9_EESM_S12_SN_SO_SP_EUlS12_E_NS1_11comp_targetILNS1_3genE4ELNS1_11target_archE910ELNS1_3gpuE8ELNS1_3repE0EEENS1_48merge_mergepath_partition_config_static_selectorELNS0_4arch9wavefront6targetE0EEEvSO_,"axG",@progbits,_ZN7rocprim17ROCPRIM_400000_NS6detail17trampoline_kernelINS0_14default_configENS1_38merge_sort_block_merge_config_selectorIlNS0_10empty_typeEEEZZNS1_27merge_sort_block_merge_implIS3_PlPS5_mZN2at6native12_GLOBAL__N_124unique_dim_cuda_templateIN3c104HalfEEESt5tupleIJNSA_6TensorESH_SH_EERKSH_lbbbEUlllE_EE10hipError_tT0_T1_T2_jT3_P12ihipStream_tbPNSt15iterator_traitsISN_E10value_typeEPNST_ISO_E10value_typeEPSP_NS1_7vsmem_tEENKUlT_SN_SO_SP_E_clIS8_S8_S9_S9_EESM_S12_SN_SO_SP_EUlS12_E_NS1_11comp_targetILNS1_3genE4ELNS1_11target_archE910ELNS1_3gpuE8ELNS1_3repE0EEENS1_48merge_mergepath_partition_config_static_selectorELNS0_4arch9wavefront6targetE0EEEvSO_,comdat
.Lfunc_end1249:
	.size	_ZN7rocprim17ROCPRIM_400000_NS6detail17trampoline_kernelINS0_14default_configENS1_38merge_sort_block_merge_config_selectorIlNS0_10empty_typeEEEZZNS1_27merge_sort_block_merge_implIS3_PlPS5_mZN2at6native12_GLOBAL__N_124unique_dim_cuda_templateIN3c104HalfEEESt5tupleIJNSA_6TensorESH_SH_EERKSH_lbbbEUlllE_EE10hipError_tT0_T1_T2_jT3_P12ihipStream_tbPNSt15iterator_traitsISN_E10value_typeEPNST_ISO_E10value_typeEPSP_NS1_7vsmem_tEENKUlT_SN_SO_SP_E_clIS8_S8_S9_S9_EESM_S12_SN_SO_SP_EUlS12_E_NS1_11comp_targetILNS1_3genE4ELNS1_11target_archE910ELNS1_3gpuE8ELNS1_3repE0EEENS1_48merge_mergepath_partition_config_static_selectorELNS0_4arch9wavefront6targetE0EEEvSO_, .Lfunc_end1249-_ZN7rocprim17ROCPRIM_400000_NS6detail17trampoline_kernelINS0_14default_configENS1_38merge_sort_block_merge_config_selectorIlNS0_10empty_typeEEEZZNS1_27merge_sort_block_merge_implIS3_PlPS5_mZN2at6native12_GLOBAL__N_124unique_dim_cuda_templateIN3c104HalfEEESt5tupleIJNSA_6TensorESH_SH_EERKSH_lbbbEUlllE_EE10hipError_tT0_T1_T2_jT3_P12ihipStream_tbPNSt15iterator_traitsISN_E10value_typeEPNST_ISO_E10value_typeEPSP_NS1_7vsmem_tEENKUlT_SN_SO_SP_E_clIS8_S8_S9_S9_EESM_S12_SN_SO_SP_EUlS12_E_NS1_11comp_targetILNS1_3genE4ELNS1_11target_archE910ELNS1_3gpuE8ELNS1_3repE0EEENS1_48merge_mergepath_partition_config_static_selectorELNS0_4arch9wavefront6targetE0EEEvSO_
                                        ; -- End function
	.section	.AMDGPU.csdata,"",@progbits
; Kernel info:
; codeLenInByte = 0
; NumSgprs: 0
; NumVgprs: 0
; ScratchSize: 0
; MemoryBound: 0
; FloatMode: 240
; IeeeMode: 1
; LDSByteSize: 0 bytes/workgroup (compile time only)
; SGPRBlocks: 0
; VGPRBlocks: 0
; NumSGPRsForWavesPerEU: 1
; NumVGPRsForWavesPerEU: 1
; Occupancy: 16
; WaveLimiterHint : 0
; COMPUTE_PGM_RSRC2:SCRATCH_EN: 0
; COMPUTE_PGM_RSRC2:USER_SGPR: 15
; COMPUTE_PGM_RSRC2:TRAP_HANDLER: 0
; COMPUTE_PGM_RSRC2:TGID_X_EN: 1
; COMPUTE_PGM_RSRC2:TGID_Y_EN: 0
; COMPUTE_PGM_RSRC2:TGID_Z_EN: 0
; COMPUTE_PGM_RSRC2:TIDIG_COMP_CNT: 0
	.section	.text._ZN7rocprim17ROCPRIM_400000_NS6detail17trampoline_kernelINS0_14default_configENS1_38merge_sort_block_merge_config_selectorIlNS0_10empty_typeEEEZZNS1_27merge_sort_block_merge_implIS3_PlPS5_mZN2at6native12_GLOBAL__N_124unique_dim_cuda_templateIN3c104HalfEEESt5tupleIJNSA_6TensorESH_SH_EERKSH_lbbbEUlllE_EE10hipError_tT0_T1_T2_jT3_P12ihipStream_tbPNSt15iterator_traitsISN_E10value_typeEPNST_ISO_E10value_typeEPSP_NS1_7vsmem_tEENKUlT_SN_SO_SP_E_clIS8_S8_S9_S9_EESM_S12_SN_SO_SP_EUlS12_E_NS1_11comp_targetILNS1_3genE3ELNS1_11target_archE908ELNS1_3gpuE7ELNS1_3repE0EEENS1_48merge_mergepath_partition_config_static_selectorELNS0_4arch9wavefront6targetE0EEEvSO_,"axG",@progbits,_ZN7rocprim17ROCPRIM_400000_NS6detail17trampoline_kernelINS0_14default_configENS1_38merge_sort_block_merge_config_selectorIlNS0_10empty_typeEEEZZNS1_27merge_sort_block_merge_implIS3_PlPS5_mZN2at6native12_GLOBAL__N_124unique_dim_cuda_templateIN3c104HalfEEESt5tupleIJNSA_6TensorESH_SH_EERKSH_lbbbEUlllE_EE10hipError_tT0_T1_T2_jT3_P12ihipStream_tbPNSt15iterator_traitsISN_E10value_typeEPNST_ISO_E10value_typeEPSP_NS1_7vsmem_tEENKUlT_SN_SO_SP_E_clIS8_S8_S9_S9_EESM_S12_SN_SO_SP_EUlS12_E_NS1_11comp_targetILNS1_3genE3ELNS1_11target_archE908ELNS1_3gpuE7ELNS1_3repE0EEENS1_48merge_mergepath_partition_config_static_selectorELNS0_4arch9wavefront6targetE0EEEvSO_,comdat
	.globl	_ZN7rocprim17ROCPRIM_400000_NS6detail17trampoline_kernelINS0_14default_configENS1_38merge_sort_block_merge_config_selectorIlNS0_10empty_typeEEEZZNS1_27merge_sort_block_merge_implIS3_PlPS5_mZN2at6native12_GLOBAL__N_124unique_dim_cuda_templateIN3c104HalfEEESt5tupleIJNSA_6TensorESH_SH_EERKSH_lbbbEUlllE_EE10hipError_tT0_T1_T2_jT3_P12ihipStream_tbPNSt15iterator_traitsISN_E10value_typeEPNST_ISO_E10value_typeEPSP_NS1_7vsmem_tEENKUlT_SN_SO_SP_E_clIS8_S8_S9_S9_EESM_S12_SN_SO_SP_EUlS12_E_NS1_11comp_targetILNS1_3genE3ELNS1_11target_archE908ELNS1_3gpuE7ELNS1_3repE0EEENS1_48merge_mergepath_partition_config_static_selectorELNS0_4arch9wavefront6targetE0EEEvSO_ ; -- Begin function _ZN7rocprim17ROCPRIM_400000_NS6detail17trampoline_kernelINS0_14default_configENS1_38merge_sort_block_merge_config_selectorIlNS0_10empty_typeEEEZZNS1_27merge_sort_block_merge_implIS3_PlPS5_mZN2at6native12_GLOBAL__N_124unique_dim_cuda_templateIN3c104HalfEEESt5tupleIJNSA_6TensorESH_SH_EERKSH_lbbbEUlllE_EE10hipError_tT0_T1_T2_jT3_P12ihipStream_tbPNSt15iterator_traitsISN_E10value_typeEPNST_ISO_E10value_typeEPSP_NS1_7vsmem_tEENKUlT_SN_SO_SP_E_clIS8_S8_S9_S9_EESM_S12_SN_SO_SP_EUlS12_E_NS1_11comp_targetILNS1_3genE3ELNS1_11target_archE908ELNS1_3gpuE7ELNS1_3repE0EEENS1_48merge_mergepath_partition_config_static_selectorELNS0_4arch9wavefront6targetE0EEEvSO_
	.p2align	8
	.type	_ZN7rocprim17ROCPRIM_400000_NS6detail17trampoline_kernelINS0_14default_configENS1_38merge_sort_block_merge_config_selectorIlNS0_10empty_typeEEEZZNS1_27merge_sort_block_merge_implIS3_PlPS5_mZN2at6native12_GLOBAL__N_124unique_dim_cuda_templateIN3c104HalfEEESt5tupleIJNSA_6TensorESH_SH_EERKSH_lbbbEUlllE_EE10hipError_tT0_T1_T2_jT3_P12ihipStream_tbPNSt15iterator_traitsISN_E10value_typeEPNST_ISO_E10value_typeEPSP_NS1_7vsmem_tEENKUlT_SN_SO_SP_E_clIS8_S8_S9_S9_EESM_S12_SN_SO_SP_EUlS12_E_NS1_11comp_targetILNS1_3genE3ELNS1_11target_archE908ELNS1_3gpuE7ELNS1_3repE0EEENS1_48merge_mergepath_partition_config_static_selectorELNS0_4arch9wavefront6targetE0EEEvSO_,@function
_ZN7rocprim17ROCPRIM_400000_NS6detail17trampoline_kernelINS0_14default_configENS1_38merge_sort_block_merge_config_selectorIlNS0_10empty_typeEEEZZNS1_27merge_sort_block_merge_implIS3_PlPS5_mZN2at6native12_GLOBAL__N_124unique_dim_cuda_templateIN3c104HalfEEESt5tupleIJNSA_6TensorESH_SH_EERKSH_lbbbEUlllE_EE10hipError_tT0_T1_T2_jT3_P12ihipStream_tbPNSt15iterator_traitsISN_E10value_typeEPNST_ISO_E10value_typeEPSP_NS1_7vsmem_tEENKUlT_SN_SO_SP_E_clIS8_S8_S9_S9_EESM_S12_SN_SO_SP_EUlS12_E_NS1_11comp_targetILNS1_3genE3ELNS1_11target_archE908ELNS1_3gpuE7ELNS1_3repE0EEENS1_48merge_mergepath_partition_config_static_selectorELNS0_4arch9wavefront6targetE0EEEvSO_: ; @_ZN7rocprim17ROCPRIM_400000_NS6detail17trampoline_kernelINS0_14default_configENS1_38merge_sort_block_merge_config_selectorIlNS0_10empty_typeEEEZZNS1_27merge_sort_block_merge_implIS3_PlPS5_mZN2at6native12_GLOBAL__N_124unique_dim_cuda_templateIN3c104HalfEEESt5tupleIJNSA_6TensorESH_SH_EERKSH_lbbbEUlllE_EE10hipError_tT0_T1_T2_jT3_P12ihipStream_tbPNSt15iterator_traitsISN_E10value_typeEPNST_ISO_E10value_typeEPSP_NS1_7vsmem_tEENKUlT_SN_SO_SP_E_clIS8_S8_S9_S9_EESM_S12_SN_SO_SP_EUlS12_E_NS1_11comp_targetILNS1_3genE3ELNS1_11target_archE908ELNS1_3gpuE7ELNS1_3repE0EEENS1_48merge_mergepath_partition_config_static_selectorELNS0_4arch9wavefront6targetE0EEEvSO_
; %bb.0:
	.section	.rodata,"a",@progbits
	.p2align	6, 0x0
	.amdhsa_kernel _ZN7rocprim17ROCPRIM_400000_NS6detail17trampoline_kernelINS0_14default_configENS1_38merge_sort_block_merge_config_selectorIlNS0_10empty_typeEEEZZNS1_27merge_sort_block_merge_implIS3_PlPS5_mZN2at6native12_GLOBAL__N_124unique_dim_cuda_templateIN3c104HalfEEESt5tupleIJNSA_6TensorESH_SH_EERKSH_lbbbEUlllE_EE10hipError_tT0_T1_T2_jT3_P12ihipStream_tbPNSt15iterator_traitsISN_E10value_typeEPNST_ISO_E10value_typeEPSP_NS1_7vsmem_tEENKUlT_SN_SO_SP_E_clIS8_S8_S9_S9_EESM_S12_SN_SO_SP_EUlS12_E_NS1_11comp_targetILNS1_3genE3ELNS1_11target_archE908ELNS1_3gpuE7ELNS1_3repE0EEENS1_48merge_mergepath_partition_config_static_selectorELNS0_4arch9wavefront6targetE0EEEvSO_
		.amdhsa_group_segment_fixed_size 0
		.amdhsa_private_segment_fixed_size 0
		.amdhsa_kernarg_size 56
		.amdhsa_user_sgpr_count 15
		.amdhsa_user_sgpr_dispatch_ptr 0
		.amdhsa_user_sgpr_queue_ptr 0
		.amdhsa_user_sgpr_kernarg_segment_ptr 1
		.amdhsa_user_sgpr_dispatch_id 0
		.amdhsa_user_sgpr_private_segment_size 0
		.amdhsa_wavefront_size32 1
		.amdhsa_uses_dynamic_stack 0
		.amdhsa_enable_private_segment 0
		.amdhsa_system_sgpr_workgroup_id_x 1
		.amdhsa_system_sgpr_workgroup_id_y 0
		.amdhsa_system_sgpr_workgroup_id_z 0
		.amdhsa_system_sgpr_workgroup_info 0
		.amdhsa_system_vgpr_workitem_id 0
		.amdhsa_next_free_vgpr 1
		.amdhsa_next_free_sgpr 1
		.amdhsa_reserve_vcc 0
		.amdhsa_float_round_mode_32 0
		.amdhsa_float_round_mode_16_64 0
		.amdhsa_float_denorm_mode_32 3
		.amdhsa_float_denorm_mode_16_64 3
		.amdhsa_dx10_clamp 1
		.amdhsa_ieee_mode 1
		.amdhsa_fp16_overflow 0
		.amdhsa_workgroup_processor_mode 1
		.amdhsa_memory_ordered 1
		.amdhsa_forward_progress 0
		.amdhsa_shared_vgpr_count 0
		.amdhsa_exception_fp_ieee_invalid_op 0
		.amdhsa_exception_fp_denorm_src 0
		.amdhsa_exception_fp_ieee_div_zero 0
		.amdhsa_exception_fp_ieee_overflow 0
		.amdhsa_exception_fp_ieee_underflow 0
		.amdhsa_exception_fp_ieee_inexact 0
		.amdhsa_exception_int_div_zero 0
	.end_amdhsa_kernel
	.section	.text._ZN7rocprim17ROCPRIM_400000_NS6detail17trampoline_kernelINS0_14default_configENS1_38merge_sort_block_merge_config_selectorIlNS0_10empty_typeEEEZZNS1_27merge_sort_block_merge_implIS3_PlPS5_mZN2at6native12_GLOBAL__N_124unique_dim_cuda_templateIN3c104HalfEEESt5tupleIJNSA_6TensorESH_SH_EERKSH_lbbbEUlllE_EE10hipError_tT0_T1_T2_jT3_P12ihipStream_tbPNSt15iterator_traitsISN_E10value_typeEPNST_ISO_E10value_typeEPSP_NS1_7vsmem_tEENKUlT_SN_SO_SP_E_clIS8_S8_S9_S9_EESM_S12_SN_SO_SP_EUlS12_E_NS1_11comp_targetILNS1_3genE3ELNS1_11target_archE908ELNS1_3gpuE7ELNS1_3repE0EEENS1_48merge_mergepath_partition_config_static_selectorELNS0_4arch9wavefront6targetE0EEEvSO_,"axG",@progbits,_ZN7rocprim17ROCPRIM_400000_NS6detail17trampoline_kernelINS0_14default_configENS1_38merge_sort_block_merge_config_selectorIlNS0_10empty_typeEEEZZNS1_27merge_sort_block_merge_implIS3_PlPS5_mZN2at6native12_GLOBAL__N_124unique_dim_cuda_templateIN3c104HalfEEESt5tupleIJNSA_6TensorESH_SH_EERKSH_lbbbEUlllE_EE10hipError_tT0_T1_T2_jT3_P12ihipStream_tbPNSt15iterator_traitsISN_E10value_typeEPNST_ISO_E10value_typeEPSP_NS1_7vsmem_tEENKUlT_SN_SO_SP_E_clIS8_S8_S9_S9_EESM_S12_SN_SO_SP_EUlS12_E_NS1_11comp_targetILNS1_3genE3ELNS1_11target_archE908ELNS1_3gpuE7ELNS1_3repE0EEENS1_48merge_mergepath_partition_config_static_selectorELNS0_4arch9wavefront6targetE0EEEvSO_,comdat
.Lfunc_end1250:
	.size	_ZN7rocprim17ROCPRIM_400000_NS6detail17trampoline_kernelINS0_14default_configENS1_38merge_sort_block_merge_config_selectorIlNS0_10empty_typeEEEZZNS1_27merge_sort_block_merge_implIS3_PlPS5_mZN2at6native12_GLOBAL__N_124unique_dim_cuda_templateIN3c104HalfEEESt5tupleIJNSA_6TensorESH_SH_EERKSH_lbbbEUlllE_EE10hipError_tT0_T1_T2_jT3_P12ihipStream_tbPNSt15iterator_traitsISN_E10value_typeEPNST_ISO_E10value_typeEPSP_NS1_7vsmem_tEENKUlT_SN_SO_SP_E_clIS8_S8_S9_S9_EESM_S12_SN_SO_SP_EUlS12_E_NS1_11comp_targetILNS1_3genE3ELNS1_11target_archE908ELNS1_3gpuE7ELNS1_3repE0EEENS1_48merge_mergepath_partition_config_static_selectorELNS0_4arch9wavefront6targetE0EEEvSO_, .Lfunc_end1250-_ZN7rocprim17ROCPRIM_400000_NS6detail17trampoline_kernelINS0_14default_configENS1_38merge_sort_block_merge_config_selectorIlNS0_10empty_typeEEEZZNS1_27merge_sort_block_merge_implIS3_PlPS5_mZN2at6native12_GLOBAL__N_124unique_dim_cuda_templateIN3c104HalfEEESt5tupleIJNSA_6TensorESH_SH_EERKSH_lbbbEUlllE_EE10hipError_tT0_T1_T2_jT3_P12ihipStream_tbPNSt15iterator_traitsISN_E10value_typeEPNST_ISO_E10value_typeEPSP_NS1_7vsmem_tEENKUlT_SN_SO_SP_E_clIS8_S8_S9_S9_EESM_S12_SN_SO_SP_EUlS12_E_NS1_11comp_targetILNS1_3genE3ELNS1_11target_archE908ELNS1_3gpuE7ELNS1_3repE0EEENS1_48merge_mergepath_partition_config_static_selectorELNS0_4arch9wavefront6targetE0EEEvSO_
                                        ; -- End function
	.section	.AMDGPU.csdata,"",@progbits
; Kernel info:
; codeLenInByte = 0
; NumSgprs: 0
; NumVgprs: 0
; ScratchSize: 0
; MemoryBound: 0
; FloatMode: 240
; IeeeMode: 1
; LDSByteSize: 0 bytes/workgroup (compile time only)
; SGPRBlocks: 0
; VGPRBlocks: 0
; NumSGPRsForWavesPerEU: 1
; NumVGPRsForWavesPerEU: 1
; Occupancy: 16
; WaveLimiterHint : 0
; COMPUTE_PGM_RSRC2:SCRATCH_EN: 0
; COMPUTE_PGM_RSRC2:USER_SGPR: 15
; COMPUTE_PGM_RSRC2:TRAP_HANDLER: 0
; COMPUTE_PGM_RSRC2:TGID_X_EN: 1
; COMPUTE_PGM_RSRC2:TGID_Y_EN: 0
; COMPUTE_PGM_RSRC2:TGID_Z_EN: 0
; COMPUTE_PGM_RSRC2:TIDIG_COMP_CNT: 0
	.section	.text._ZN7rocprim17ROCPRIM_400000_NS6detail17trampoline_kernelINS0_14default_configENS1_38merge_sort_block_merge_config_selectorIlNS0_10empty_typeEEEZZNS1_27merge_sort_block_merge_implIS3_PlPS5_mZN2at6native12_GLOBAL__N_124unique_dim_cuda_templateIN3c104HalfEEESt5tupleIJNSA_6TensorESH_SH_EERKSH_lbbbEUlllE_EE10hipError_tT0_T1_T2_jT3_P12ihipStream_tbPNSt15iterator_traitsISN_E10value_typeEPNST_ISO_E10value_typeEPSP_NS1_7vsmem_tEENKUlT_SN_SO_SP_E_clIS8_S8_S9_S9_EESM_S12_SN_SO_SP_EUlS12_E_NS1_11comp_targetILNS1_3genE2ELNS1_11target_archE906ELNS1_3gpuE6ELNS1_3repE0EEENS1_48merge_mergepath_partition_config_static_selectorELNS0_4arch9wavefront6targetE0EEEvSO_,"axG",@progbits,_ZN7rocprim17ROCPRIM_400000_NS6detail17trampoline_kernelINS0_14default_configENS1_38merge_sort_block_merge_config_selectorIlNS0_10empty_typeEEEZZNS1_27merge_sort_block_merge_implIS3_PlPS5_mZN2at6native12_GLOBAL__N_124unique_dim_cuda_templateIN3c104HalfEEESt5tupleIJNSA_6TensorESH_SH_EERKSH_lbbbEUlllE_EE10hipError_tT0_T1_T2_jT3_P12ihipStream_tbPNSt15iterator_traitsISN_E10value_typeEPNST_ISO_E10value_typeEPSP_NS1_7vsmem_tEENKUlT_SN_SO_SP_E_clIS8_S8_S9_S9_EESM_S12_SN_SO_SP_EUlS12_E_NS1_11comp_targetILNS1_3genE2ELNS1_11target_archE906ELNS1_3gpuE6ELNS1_3repE0EEENS1_48merge_mergepath_partition_config_static_selectorELNS0_4arch9wavefront6targetE0EEEvSO_,comdat
	.globl	_ZN7rocprim17ROCPRIM_400000_NS6detail17trampoline_kernelINS0_14default_configENS1_38merge_sort_block_merge_config_selectorIlNS0_10empty_typeEEEZZNS1_27merge_sort_block_merge_implIS3_PlPS5_mZN2at6native12_GLOBAL__N_124unique_dim_cuda_templateIN3c104HalfEEESt5tupleIJNSA_6TensorESH_SH_EERKSH_lbbbEUlllE_EE10hipError_tT0_T1_T2_jT3_P12ihipStream_tbPNSt15iterator_traitsISN_E10value_typeEPNST_ISO_E10value_typeEPSP_NS1_7vsmem_tEENKUlT_SN_SO_SP_E_clIS8_S8_S9_S9_EESM_S12_SN_SO_SP_EUlS12_E_NS1_11comp_targetILNS1_3genE2ELNS1_11target_archE906ELNS1_3gpuE6ELNS1_3repE0EEENS1_48merge_mergepath_partition_config_static_selectorELNS0_4arch9wavefront6targetE0EEEvSO_ ; -- Begin function _ZN7rocprim17ROCPRIM_400000_NS6detail17trampoline_kernelINS0_14default_configENS1_38merge_sort_block_merge_config_selectorIlNS0_10empty_typeEEEZZNS1_27merge_sort_block_merge_implIS3_PlPS5_mZN2at6native12_GLOBAL__N_124unique_dim_cuda_templateIN3c104HalfEEESt5tupleIJNSA_6TensorESH_SH_EERKSH_lbbbEUlllE_EE10hipError_tT0_T1_T2_jT3_P12ihipStream_tbPNSt15iterator_traitsISN_E10value_typeEPNST_ISO_E10value_typeEPSP_NS1_7vsmem_tEENKUlT_SN_SO_SP_E_clIS8_S8_S9_S9_EESM_S12_SN_SO_SP_EUlS12_E_NS1_11comp_targetILNS1_3genE2ELNS1_11target_archE906ELNS1_3gpuE6ELNS1_3repE0EEENS1_48merge_mergepath_partition_config_static_selectorELNS0_4arch9wavefront6targetE0EEEvSO_
	.p2align	8
	.type	_ZN7rocprim17ROCPRIM_400000_NS6detail17trampoline_kernelINS0_14default_configENS1_38merge_sort_block_merge_config_selectorIlNS0_10empty_typeEEEZZNS1_27merge_sort_block_merge_implIS3_PlPS5_mZN2at6native12_GLOBAL__N_124unique_dim_cuda_templateIN3c104HalfEEESt5tupleIJNSA_6TensorESH_SH_EERKSH_lbbbEUlllE_EE10hipError_tT0_T1_T2_jT3_P12ihipStream_tbPNSt15iterator_traitsISN_E10value_typeEPNST_ISO_E10value_typeEPSP_NS1_7vsmem_tEENKUlT_SN_SO_SP_E_clIS8_S8_S9_S9_EESM_S12_SN_SO_SP_EUlS12_E_NS1_11comp_targetILNS1_3genE2ELNS1_11target_archE906ELNS1_3gpuE6ELNS1_3repE0EEENS1_48merge_mergepath_partition_config_static_selectorELNS0_4arch9wavefront6targetE0EEEvSO_,@function
_ZN7rocprim17ROCPRIM_400000_NS6detail17trampoline_kernelINS0_14default_configENS1_38merge_sort_block_merge_config_selectorIlNS0_10empty_typeEEEZZNS1_27merge_sort_block_merge_implIS3_PlPS5_mZN2at6native12_GLOBAL__N_124unique_dim_cuda_templateIN3c104HalfEEESt5tupleIJNSA_6TensorESH_SH_EERKSH_lbbbEUlllE_EE10hipError_tT0_T1_T2_jT3_P12ihipStream_tbPNSt15iterator_traitsISN_E10value_typeEPNST_ISO_E10value_typeEPSP_NS1_7vsmem_tEENKUlT_SN_SO_SP_E_clIS8_S8_S9_S9_EESM_S12_SN_SO_SP_EUlS12_E_NS1_11comp_targetILNS1_3genE2ELNS1_11target_archE906ELNS1_3gpuE6ELNS1_3repE0EEENS1_48merge_mergepath_partition_config_static_selectorELNS0_4arch9wavefront6targetE0EEEvSO_: ; @_ZN7rocprim17ROCPRIM_400000_NS6detail17trampoline_kernelINS0_14default_configENS1_38merge_sort_block_merge_config_selectorIlNS0_10empty_typeEEEZZNS1_27merge_sort_block_merge_implIS3_PlPS5_mZN2at6native12_GLOBAL__N_124unique_dim_cuda_templateIN3c104HalfEEESt5tupleIJNSA_6TensorESH_SH_EERKSH_lbbbEUlllE_EE10hipError_tT0_T1_T2_jT3_P12ihipStream_tbPNSt15iterator_traitsISN_E10value_typeEPNST_ISO_E10value_typeEPSP_NS1_7vsmem_tEENKUlT_SN_SO_SP_E_clIS8_S8_S9_S9_EESM_S12_SN_SO_SP_EUlS12_E_NS1_11comp_targetILNS1_3genE2ELNS1_11target_archE906ELNS1_3gpuE6ELNS1_3repE0EEENS1_48merge_mergepath_partition_config_static_selectorELNS0_4arch9wavefront6targetE0EEEvSO_
; %bb.0:
	.section	.rodata,"a",@progbits
	.p2align	6, 0x0
	.amdhsa_kernel _ZN7rocprim17ROCPRIM_400000_NS6detail17trampoline_kernelINS0_14default_configENS1_38merge_sort_block_merge_config_selectorIlNS0_10empty_typeEEEZZNS1_27merge_sort_block_merge_implIS3_PlPS5_mZN2at6native12_GLOBAL__N_124unique_dim_cuda_templateIN3c104HalfEEESt5tupleIJNSA_6TensorESH_SH_EERKSH_lbbbEUlllE_EE10hipError_tT0_T1_T2_jT3_P12ihipStream_tbPNSt15iterator_traitsISN_E10value_typeEPNST_ISO_E10value_typeEPSP_NS1_7vsmem_tEENKUlT_SN_SO_SP_E_clIS8_S8_S9_S9_EESM_S12_SN_SO_SP_EUlS12_E_NS1_11comp_targetILNS1_3genE2ELNS1_11target_archE906ELNS1_3gpuE6ELNS1_3repE0EEENS1_48merge_mergepath_partition_config_static_selectorELNS0_4arch9wavefront6targetE0EEEvSO_
		.amdhsa_group_segment_fixed_size 0
		.amdhsa_private_segment_fixed_size 0
		.amdhsa_kernarg_size 56
		.amdhsa_user_sgpr_count 15
		.amdhsa_user_sgpr_dispatch_ptr 0
		.amdhsa_user_sgpr_queue_ptr 0
		.amdhsa_user_sgpr_kernarg_segment_ptr 1
		.amdhsa_user_sgpr_dispatch_id 0
		.amdhsa_user_sgpr_private_segment_size 0
		.amdhsa_wavefront_size32 1
		.amdhsa_uses_dynamic_stack 0
		.amdhsa_enable_private_segment 0
		.amdhsa_system_sgpr_workgroup_id_x 1
		.amdhsa_system_sgpr_workgroup_id_y 0
		.amdhsa_system_sgpr_workgroup_id_z 0
		.amdhsa_system_sgpr_workgroup_info 0
		.amdhsa_system_vgpr_workitem_id 0
		.amdhsa_next_free_vgpr 1
		.amdhsa_next_free_sgpr 1
		.amdhsa_reserve_vcc 0
		.amdhsa_float_round_mode_32 0
		.amdhsa_float_round_mode_16_64 0
		.amdhsa_float_denorm_mode_32 3
		.amdhsa_float_denorm_mode_16_64 3
		.amdhsa_dx10_clamp 1
		.amdhsa_ieee_mode 1
		.amdhsa_fp16_overflow 0
		.amdhsa_workgroup_processor_mode 1
		.amdhsa_memory_ordered 1
		.amdhsa_forward_progress 0
		.amdhsa_shared_vgpr_count 0
		.amdhsa_exception_fp_ieee_invalid_op 0
		.amdhsa_exception_fp_denorm_src 0
		.amdhsa_exception_fp_ieee_div_zero 0
		.amdhsa_exception_fp_ieee_overflow 0
		.amdhsa_exception_fp_ieee_underflow 0
		.amdhsa_exception_fp_ieee_inexact 0
		.amdhsa_exception_int_div_zero 0
	.end_amdhsa_kernel
	.section	.text._ZN7rocprim17ROCPRIM_400000_NS6detail17trampoline_kernelINS0_14default_configENS1_38merge_sort_block_merge_config_selectorIlNS0_10empty_typeEEEZZNS1_27merge_sort_block_merge_implIS3_PlPS5_mZN2at6native12_GLOBAL__N_124unique_dim_cuda_templateIN3c104HalfEEESt5tupleIJNSA_6TensorESH_SH_EERKSH_lbbbEUlllE_EE10hipError_tT0_T1_T2_jT3_P12ihipStream_tbPNSt15iterator_traitsISN_E10value_typeEPNST_ISO_E10value_typeEPSP_NS1_7vsmem_tEENKUlT_SN_SO_SP_E_clIS8_S8_S9_S9_EESM_S12_SN_SO_SP_EUlS12_E_NS1_11comp_targetILNS1_3genE2ELNS1_11target_archE906ELNS1_3gpuE6ELNS1_3repE0EEENS1_48merge_mergepath_partition_config_static_selectorELNS0_4arch9wavefront6targetE0EEEvSO_,"axG",@progbits,_ZN7rocprim17ROCPRIM_400000_NS6detail17trampoline_kernelINS0_14default_configENS1_38merge_sort_block_merge_config_selectorIlNS0_10empty_typeEEEZZNS1_27merge_sort_block_merge_implIS3_PlPS5_mZN2at6native12_GLOBAL__N_124unique_dim_cuda_templateIN3c104HalfEEESt5tupleIJNSA_6TensorESH_SH_EERKSH_lbbbEUlllE_EE10hipError_tT0_T1_T2_jT3_P12ihipStream_tbPNSt15iterator_traitsISN_E10value_typeEPNST_ISO_E10value_typeEPSP_NS1_7vsmem_tEENKUlT_SN_SO_SP_E_clIS8_S8_S9_S9_EESM_S12_SN_SO_SP_EUlS12_E_NS1_11comp_targetILNS1_3genE2ELNS1_11target_archE906ELNS1_3gpuE6ELNS1_3repE0EEENS1_48merge_mergepath_partition_config_static_selectorELNS0_4arch9wavefront6targetE0EEEvSO_,comdat
.Lfunc_end1251:
	.size	_ZN7rocprim17ROCPRIM_400000_NS6detail17trampoline_kernelINS0_14default_configENS1_38merge_sort_block_merge_config_selectorIlNS0_10empty_typeEEEZZNS1_27merge_sort_block_merge_implIS3_PlPS5_mZN2at6native12_GLOBAL__N_124unique_dim_cuda_templateIN3c104HalfEEESt5tupleIJNSA_6TensorESH_SH_EERKSH_lbbbEUlllE_EE10hipError_tT0_T1_T2_jT3_P12ihipStream_tbPNSt15iterator_traitsISN_E10value_typeEPNST_ISO_E10value_typeEPSP_NS1_7vsmem_tEENKUlT_SN_SO_SP_E_clIS8_S8_S9_S9_EESM_S12_SN_SO_SP_EUlS12_E_NS1_11comp_targetILNS1_3genE2ELNS1_11target_archE906ELNS1_3gpuE6ELNS1_3repE0EEENS1_48merge_mergepath_partition_config_static_selectorELNS0_4arch9wavefront6targetE0EEEvSO_, .Lfunc_end1251-_ZN7rocprim17ROCPRIM_400000_NS6detail17trampoline_kernelINS0_14default_configENS1_38merge_sort_block_merge_config_selectorIlNS0_10empty_typeEEEZZNS1_27merge_sort_block_merge_implIS3_PlPS5_mZN2at6native12_GLOBAL__N_124unique_dim_cuda_templateIN3c104HalfEEESt5tupleIJNSA_6TensorESH_SH_EERKSH_lbbbEUlllE_EE10hipError_tT0_T1_T2_jT3_P12ihipStream_tbPNSt15iterator_traitsISN_E10value_typeEPNST_ISO_E10value_typeEPSP_NS1_7vsmem_tEENKUlT_SN_SO_SP_E_clIS8_S8_S9_S9_EESM_S12_SN_SO_SP_EUlS12_E_NS1_11comp_targetILNS1_3genE2ELNS1_11target_archE906ELNS1_3gpuE6ELNS1_3repE0EEENS1_48merge_mergepath_partition_config_static_selectorELNS0_4arch9wavefront6targetE0EEEvSO_
                                        ; -- End function
	.section	.AMDGPU.csdata,"",@progbits
; Kernel info:
; codeLenInByte = 0
; NumSgprs: 0
; NumVgprs: 0
; ScratchSize: 0
; MemoryBound: 0
; FloatMode: 240
; IeeeMode: 1
; LDSByteSize: 0 bytes/workgroup (compile time only)
; SGPRBlocks: 0
; VGPRBlocks: 0
; NumSGPRsForWavesPerEU: 1
; NumVGPRsForWavesPerEU: 1
; Occupancy: 16
; WaveLimiterHint : 0
; COMPUTE_PGM_RSRC2:SCRATCH_EN: 0
; COMPUTE_PGM_RSRC2:USER_SGPR: 15
; COMPUTE_PGM_RSRC2:TRAP_HANDLER: 0
; COMPUTE_PGM_RSRC2:TGID_X_EN: 1
; COMPUTE_PGM_RSRC2:TGID_Y_EN: 0
; COMPUTE_PGM_RSRC2:TGID_Z_EN: 0
; COMPUTE_PGM_RSRC2:TIDIG_COMP_CNT: 0
	.section	.text._ZN7rocprim17ROCPRIM_400000_NS6detail17trampoline_kernelINS0_14default_configENS1_38merge_sort_block_merge_config_selectorIlNS0_10empty_typeEEEZZNS1_27merge_sort_block_merge_implIS3_PlPS5_mZN2at6native12_GLOBAL__N_124unique_dim_cuda_templateIN3c104HalfEEESt5tupleIJNSA_6TensorESH_SH_EERKSH_lbbbEUlllE_EE10hipError_tT0_T1_T2_jT3_P12ihipStream_tbPNSt15iterator_traitsISN_E10value_typeEPNST_ISO_E10value_typeEPSP_NS1_7vsmem_tEENKUlT_SN_SO_SP_E_clIS8_S8_S9_S9_EESM_S12_SN_SO_SP_EUlS12_E_NS1_11comp_targetILNS1_3genE9ELNS1_11target_archE1100ELNS1_3gpuE3ELNS1_3repE0EEENS1_48merge_mergepath_partition_config_static_selectorELNS0_4arch9wavefront6targetE0EEEvSO_,"axG",@progbits,_ZN7rocprim17ROCPRIM_400000_NS6detail17trampoline_kernelINS0_14default_configENS1_38merge_sort_block_merge_config_selectorIlNS0_10empty_typeEEEZZNS1_27merge_sort_block_merge_implIS3_PlPS5_mZN2at6native12_GLOBAL__N_124unique_dim_cuda_templateIN3c104HalfEEESt5tupleIJNSA_6TensorESH_SH_EERKSH_lbbbEUlllE_EE10hipError_tT0_T1_T2_jT3_P12ihipStream_tbPNSt15iterator_traitsISN_E10value_typeEPNST_ISO_E10value_typeEPSP_NS1_7vsmem_tEENKUlT_SN_SO_SP_E_clIS8_S8_S9_S9_EESM_S12_SN_SO_SP_EUlS12_E_NS1_11comp_targetILNS1_3genE9ELNS1_11target_archE1100ELNS1_3gpuE3ELNS1_3repE0EEENS1_48merge_mergepath_partition_config_static_selectorELNS0_4arch9wavefront6targetE0EEEvSO_,comdat
	.globl	_ZN7rocprim17ROCPRIM_400000_NS6detail17trampoline_kernelINS0_14default_configENS1_38merge_sort_block_merge_config_selectorIlNS0_10empty_typeEEEZZNS1_27merge_sort_block_merge_implIS3_PlPS5_mZN2at6native12_GLOBAL__N_124unique_dim_cuda_templateIN3c104HalfEEESt5tupleIJNSA_6TensorESH_SH_EERKSH_lbbbEUlllE_EE10hipError_tT0_T1_T2_jT3_P12ihipStream_tbPNSt15iterator_traitsISN_E10value_typeEPNST_ISO_E10value_typeEPSP_NS1_7vsmem_tEENKUlT_SN_SO_SP_E_clIS8_S8_S9_S9_EESM_S12_SN_SO_SP_EUlS12_E_NS1_11comp_targetILNS1_3genE9ELNS1_11target_archE1100ELNS1_3gpuE3ELNS1_3repE0EEENS1_48merge_mergepath_partition_config_static_selectorELNS0_4arch9wavefront6targetE0EEEvSO_ ; -- Begin function _ZN7rocprim17ROCPRIM_400000_NS6detail17trampoline_kernelINS0_14default_configENS1_38merge_sort_block_merge_config_selectorIlNS0_10empty_typeEEEZZNS1_27merge_sort_block_merge_implIS3_PlPS5_mZN2at6native12_GLOBAL__N_124unique_dim_cuda_templateIN3c104HalfEEESt5tupleIJNSA_6TensorESH_SH_EERKSH_lbbbEUlllE_EE10hipError_tT0_T1_T2_jT3_P12ihipStream_tbPNSt15iterator_traitsISN_E10value_typeEPNST_ISO_E10value_typeEPSP_NS1_7vsmem_tEENKUlT_SN_SO_SP_E_clIS8_S8_S9_S9_EESM_S12_SN_SO_SP_EUlS12_E_NS1_11comp_targetILNS1_3genE9ELNS1_11target_archE1100ELNS1_3gpuE3ELNS1_3repE0EEENS1_48merge_mergepath_partition_config_static_selectorELNS0_4arch9wavefront6targetE0EEEvSO_
	.p2align	8
	.type	_ZN7rocprim17ROCPRIM_400000_NS6detail17trampoline_kernelINS0_14default_configENS1_38merge_sort_block_merge_config_selectorIlNS0_10empty_typeEEEZZNS1_27merge_sort_block_merge_implIS3_PlPS5_mZN2at6native12_GLOBAL__N_124unique_dim_cuda_templateIN3c104HalfEEESt5tupleIJNSA_6TensorESH_SH_EERKSH_lbbbEUlllE_EE10hipError_tT0_T1_T2_jT3_P12ihipStream_tbPNSt15iterator_traitsISN_E10value_typeEPNST_ISO_E10value_typeEPSP_NS1_7vsmem_tEENKUlT_SN_SO_SP_E_clIS8_S8_S9_S9_EESM_S12_SN_SO_SP_EUlS12_E_NS1_11comp_targetILNS1_3genE9ELNS1_11target_archE1100ELNS1_3gpuE3ELNS1_3repE0EEENS1_48merge_mergepath_partition_config_static_selectorELNS0_4arch9wavefront6targetE0EEEvSO_,@function
_ZN7rocprim17ROCPRIM_400000_NS6detail17trampoline_kernelINS0_14default_configENS1_38merge_sort_block_merge_config_selectorIlNS0_10empty_typeEEEZZNS1_27merge_sort_block_merge_implIS3_PlPS5_mZN2at6native12_GLOBAL__N_124unique_dim_cuda_templateIN3c104HalfEEESt5tupleIJNSA_6TensorESH_SH_EERKSH_lbbbEUlllE_EE10hipError_tT0_T1_T2_jT3_P12ihipStream_tbPNSt15iterator_traitsISN_E10value_typeEPNST_ISO_E10value_typeEPSP_NS1_7vsmem_tEENKUlT_SN_SO_SP_E_clIS8_S8_S9_S9_EESM_S12_SN_SO_SP_EUlS12_E_NS1_11comp_targetILNS1_3genE9ELNS1_11target_archE1100ELNS1_3gpuE3ELNS1_3repE0EEENS1_48merge_mergepath_partition_config_static_selectorELNS0_4arch9wavefront6targetE0EEEvSO_: ; @_ZN7rocprim17ROCPRIM_400000_NS6detail17trampoline_kernelINS0_14default_configENS1_38merge_sort_block_merge_config_selectorIlNS0_10empty_typeEEEZZNS1_27merge_sort_block_merge_implIS3_PlPS5_mZN2at6native12_GLOBAL__N_124unique_dim_cuda_templateIN3c104HalfEEESt5tupleIJNSA_6TensorESH_SH_EERKSH_lbbbEUlllE_EE10hipError_tT0_T1_T2_jT3_P12ihipStream_tbPNSt15iterator_traitsISN_E10value_typeEPNST_ISO_E10value_typeEPSP_NS1_7vsmem_tEENKUlT_SN_SO_SP_E_clIS8_S8_S9_S9_EESM_S12_SN_SO_SP_EUlS12_E_NS1_11comp_targetILNS1_3genE9ELNS1_11target_archE1100ELNS1_3gpuE3ELNS1_3repE0EEENS1_48merge_mergepath_partition_config_static_selectorELNS0_4arch9wavefront6targetE0EEEvSO_
; %bb.0:
	s_load_b32 s2, s[0:1], 0x0
	v_lshl_or_b32 v0, s15, 7, v0
	s_waitcnt lgkmcnt(0)
	s_delay_alu instid0(VALU_DEP_1)
	v_cmp_gt_u32_e32 vcc_lo, s2, v0
	s_and_saveexec_b32 s2, vcc_lo
	s_cbranch_execz .LBB1252_15
; %bb.1:
	s_load_b128 s[4:7], s[0:1], 0x8
	s_mov_b32 s13, 0
	s_mov_b32 s12, exec_lo
	v_mov_b32_e32 v2, 0
	s_waitcnt lgkmcnt(0)
	v_alignbit_b32 v1, s5, s4, 9
	s_delay_alu instid0(VALU_DEP_1) | instskip(NEXT) | instid1(VALU_DEP_1)
	v_and_b32_e32 v3, -2, v1
	v_sub_nc_u32_e32 v1, 0, v3
	s_delay_alu instid0(VALU_DEP_1) | instskip(NEXT) | instid1(VALU_DEP_1)
	v_and_b32_e32 v1, v0, v1
	v_lshlrev_b64 v[4:5], 10, v[1:2]
	v_add_nc_u32_e32 v1, -1, v3
	s_delay_alu instid0(VALU_DEP_1) | instskip(NEXT) | instid1(VALU_DEP_3)
	v_dual_mov_b32 v11, v2 :: v_dual_and_b32 v10, v1, v0
	v_add_co_u32 v6, vcc_lo, v4, s4
	s_delay_alu instid0(VALU_DEP_4) | instskip(NEXT) | instid1(VALU_DEP_1)
	v_add_co_ci_u32_e32 v7, vcc_lo, s5, v5, vcc_lo
	v_cmp_lt_u64_e32 vcc_lo, s[6:7], v[6:7]
	v_cndmask_b32_e64 v8, v6, s6, vcc_lo
	v_cndmask_b32_e64 v9, v7, s7, vcc_lo
	s_delay_alu instid0(VALU_DEP_2) | instskip(NEXT) | instid1(VALU_DEP_2)
	v_add_co_u32 v6, vcc_lo, v8, s4
	v_add_co_ci_u32_e32 v7, vcc_lo, s5, v9, vcc_lo
	v_cmp_lt_u64_e32 vcc_lo, s[6:7], v[4:5]
	s_delay_alu instid0(VALU_DEP_2) | instskip(SKIP_3) | instid1(VALU_DEP_4)
	v_cmp_lt_u64_e64 s2, s[6:7], v[6:7]
	v_cndmask_b32_e64 v2, v4, s6, vcc_lo
	v_cndmask_b32_e64 v3, v5, s7, vcc_lo
	v_lshlrev_b64 v[4:5], 10, v[10:11]
	v_cndmask_b32_e64 v12, v6, s6, s2
	v_cndmask_b32_e64 v1, v7, s7, s2
	s_load_b256 s[4:11], s[0:1], 0x18
	s_delay_alu instid0(VALU_DEP_2) | instskip(NEXT) | instid1(VALU_DEP_2)
	v_sub_co_u32 v6, vcc_lo, v12, v2
	v_sub_co_ci_u32_e32 v7, vcc_lo, v1, v3, vcc_lo
	s_delay_alu instid0(VALU_DEP_1) | instskip(SKIP_3) | instid1(VALU_DEP_2)
	v_cmp_lt_u64_e32 vcc_lo, v[6:7], v[4:5]
	v_dual_cndmask_b32 v11, v5, v7 :: v_dual_cndmask_b32 v10, v4, v6
	v_sub_co_u32 v4, vcc_lo, v8, v12
	v_sub_co_ci_u32_e32 v1, vcc_lo, v9, v1, vcc_lo
	v_add_co_u32 v4, vcc_lo, v10, v4
	s_delay_alu instid0(VALU_DEP_2) | instskip(SKIP_2) | instid1(VALU_DEP_3)
	v_add_co_ci_u32_e32 v5, vcc_lo, v11, v1, vcc_lo
	v_sub_co_u32 v6, vcc_lo, v8, v2
	v_sub_co_ci_u32_e32 v7, vcc_lo, v9, v3, vcc_lo
	v_cmp_gt_u64_e32 vcc_lo, v[4:5], v[10:11]
	s_delay_alu instid0(VALU_DEP_2) | instskip(SKIP_2) | instid1(VALU_DEP_3)
	v_cmp_lt_u64_e64 s0, v[10:11], v[6:7]
	v_cndmask_b32_e64 v5, v5, 0, vcc_lo
	v_cndmask_b32_e64 v4, v4, 0, vcc_lo
	v_cndmask_b32_e64 v7, v7, v11, s0
	v_cndmask_b32_e64 v6, v6, v10, s0
	s_delay_alu instid0(VALU_DEP_1)
	v_cmpx_lt_u64_e64 v[4:5], v[6:7]
	s_cbranch_execz .LBB1252_14
; %bb.2:
	v_lshlrev_b64 v[8:9], 3, v[8:9]
	v_lshlrev_b64 v[12:13], 3, v[2:3]
	;; [unrolled: 1-line block ×3, first 2 shown]
	s_waitcnt lgkmcnt(0)
	s_lshl_b64 s[0:1], s[6:7], 1
	s_delay_alu instid0(VALU_DEP_3) | instskip(SKIP_3) | instid1(VALU_DEP_4)
	v_add_co_u32 v8, vcc_lo, s4, v8
	v_add_co_ci_u32_e32 v9, vcc_lo, s5, v9, vcc_lo
	v_add_co_u32 v1, vcc_lo, s4, v12
	v_add_co_ci_u32_e32 v14, vcc_lo, s5, v13, vcc_lo
	v_add_co_u32 v15, vcc_lo, v8, v10
	v_cmp_gt_i64_e64 s4, s[6:7], 0
	v_add_co_ci_u32_e32 v16, vcc_lo, v9, v11, vcc_lo
	s_branch .LBB1252_5
.LBB1252_3:                             ;   in Loop: Header=BB1252_5 Depth=1
	s_set_inst_prefetch_distance 0x2
	s_or_b32 exec_lo, exec_lo, s14
.LBB1252_4:                             ;   in Loop: Header=BB1252_5 Depth=1
	s_delay_alu instid0(VALU_DEP_1) | instskip(NEXT) | instid1(VALU_DEP_2)
	v_add_co_u32 v10, vcc_lo, v8, 1
	v_add_co_ci_u32_e32 v11, vcc_lo, 0, v9, vcc_lo
	v_cndmask_b32_e64 v7, v7, v9, s5
	v_cndmask_b32_e64 v6, v6, v8, s5
	s_delay_alu instid0(VALU_DEP_4) | instskip(NEXT) | instid1(VALU_DEP_4)
	v_cndmask_b32_e64 v4, v10, v4, s5
	v_cndmask_b32_e64 v5, v11, v5, s5
	s_delay_alu instid0(VALU_DEP_1) | instskip(SKIP_1) | instid1(SALU_CYCLE_1)
	v_cmp_ge_u64_e32 vcc_lo, v[4:5], v[6:7]
	s_or_b32 s13, vcc_lo, s13
	s_and_not1_b32 exec_lo, exec_lo, s13
	s_cbranch_execz .LBB1252_13
.LBB1252_5:                             ; =>This Loop Header: Depth=1
                                        ;     Child Loop BB1252_8 Depth 2
	v_add_co_u32 v8, vcc_lo, v6, v4
	v_add_co_ci_u32_e32 v9, vcc_lo, v7, v5, vcc_lo
	s_delay_alu instid0(VALU_DEP_4) | instskip(NEXT) | instid1(VALU_DEP_1)
	s_and_not1_b32 vcc_lo, exec_lo, s4
	v_lshrrev_b64 v[8:9], 1, v[8:9]
	s_cbranch_vccnz .LBB1252_12
; %bb.6:                                ;   in Loop: Header=BB1252_5 Depth=1
	s_delay_alu instid0(VALU_DEP_1) | instskip(NEXT) | instid1(VALU_DEP_2)
	v_not_b32_e32 v11, v9
	v_not_b32_e32 v10, v8
	v_lshlrev_b64 v[12:13], 3, v[8:9]
	s_mov_b32 s14, 0
	s_mov_b64 s[2:3], s[6:7]
                                        ; implicit-def: $sgpr5
                                        ; implicit-def: $sgpr15
                                        ; implicit-def: $sgpr16
	s_delay_alu instid0(VALU_DEP_2) | instskip(NEXT) | instid1(VALU_DEP_1)
	v_lshlrev_b64 v[10:11], 3, v[10:11]
	v_add_co_u32 v10, vcc_lo, v15, v10
	s_delay_alu instid0(VALU_DEP_2)
	v_add_co_ci_u32_e32 v11, vcc_lo, v16, v11, vcc_lo
	v_add_co_u32 v12, vcc_lo, v1, v12
	v_add_co_ci_u32_e32 v13, vcc_lo, v14, v13, vcc_lo
	s_clause 0x1
	global_load_b64 v[17:18], v[10:11], off
	global_load_b64 v[19:20], v[12:13], off
	s_waitcnt vmcnt(1)
	v_mul_lo_u32 v18, s0, v18
	v_mul_lo_u32 v21, s1, v17
	v_mad_u64_u32 v[10:11], null, s0, v17, s[8:9]
	s_waitcnt vmcnt(0)
	v_mul_lo_u32 v17, s0, v20
	v_mul_lo_u32 v20, s1, v19
	v_mad_u64_u32 v[12:13], null, s0, v19, s[8:9]
	s_delay_alu instid0(VALU_DEP_4) | instskip(NEXT) | instid1(VALU_DEP_2)
	v_add3_u32 v11, v21, v11, v18
	v_add3_u32 v13, v20, v13, v17
	s_set_inst_prefetch_distance 0x1
	s_branch .LBB1252_8
	.p2align	6
.LBB1252_7:                             ;   in Loop: Header=BB1252_8 Depth=2
	s_or_b32 exec_lo, exec_lo, s19
	s_delay_alu instid0(SALU_CYCLE_1) | instskip(NEXT) | instid1(SALU_CYCLE_1)
	s_and_b32 s17, exec_lo, s18
	s_or_b32 s14, s17, s14
	s_and_not1_b32 s5, s5, exec_lo
	s_and_b32 s17, s15, exec_lo
	s_delay_alu instid0(SALU_CYCLE_1)
	s_or_b32 s5, s5, s17
	s_and_not1_b32 exec_lo, exec_lo, s14
	s_cbranch_execz .LBB1252_3
.LBB1252_8:                             ;   Parent Loop BB1252_5 Depth=1
                                        ; =>  This Inner Loop Header: Depth=2
	global_load_u16 v17, v[10:11], off
	global_load_u16 v18, v[12:13], off
	s_mov_b32 s18, -1
	s_mov_b32 s20, 0
	s_mov_b32 s17, -1
	s_mov_b32 s19, exec_lo
	s_waitcnt vmcnt(0)
	v_cmpx_nlt_f16_e32 v17, v18
; %bb.9:                                ;   in Loop: Header=BB1252_8 Depth=2
	v_cmp_ngt_f16_e32 vcc_lo, v17, v18
	s_and_b32 s16, vcc_lo, s16
	s_and_b32 s20, vcc_lo, exec_lo
	s_or_not1_b32 s17, s16, exec_lo
; %bb.10:                               ;   in Loop: Header=BB1252_8 Depth=2
	s_or_b32 exec_lo, exec_lo, s19
	s_delay_alu instid0(SALU_CYCLE_1) | instskip(SKIP_1) | instid1(SALU_CYCLE_1)
	s_and_not1_b32 s15, s15, exec_lo
	s_and_b32 s16, s17, exec_lo
	s_or_b32 s15, s15, s16
                                        ; implicit-def: $sgpr16
	s_and_saveexec_b32 s19, s20
	s_cbranch_execz .LBB1252_7
; %bb.11:                               ;   in Loop: Header=BB1252_8 Depth=2
	s_add_u32 s2, s2, -1
	s_addc_u32 s3, s3, -1
	v_add_co_u32 v10, vcc_lo, v10, 2
	s_cmp_eq_u64 s[2:3], 0
	v_add_co_ci_u32_e32 v11, vcc_lo, 0, v11, vcc_lo
	v_add_co_u32 v12, vcc_lo, v12, 2
	s_cselect_b32 s18, -1, 0
	v_add_co_ci_u32_e32 v13, vcc_lo, 0, v13, vcc_lo
	s_and_not1_b32 s15, s15, exec_lo
	s_and_b32 s16, s17, exec_lo
	s_or_not1_b32 s18, s18, exec_lo
	s_branch .LBB1252_7
.LBB1252_12:                            ;   in Loop: Header=BB1252_5 Depth=1
	s_mov_b32 s5, 0
	s_branch .LBB1252_4
.LBB1252_13:
	s_or_b32 exec_lo, exec_lo, s13
.LBB1252_14:
	s_delay_alu instid0(SALU_CYCLE_1) | instskip(SKIP_3) | instid1(VALU_DEP_3)
	s_or_b32 exec_lo, exec_lo, s12
	v_mov_b32_e32 v1, 0
	v_add_co_u32 v2, vcc_lo, v4, v2
	v_add_co_ci_u32_e32 v3, vcc_lo, v5, v3, vcc_lo
	v_lshlrev_b64 v[0:1], 3, v[0:1]
	s_waitcnt lgkmcnt(0)
	s_delay_alu instid0(VALU_DEP_1) | instskip(NEXT) | instid1(VALU_DEP_2)
	v_add_co_u32 v0, vcc_lo, s10, v0
	v_add_co_ci_u32_e32 v1, vcc_lo, s11, v1, vcc_lo
	global_store_b64 v[0:1], v[2:3], off
.LBB1252_15:
	s_nop 0
	s_sendmsg sendmsg(MSG_DEALLOC_VGPRS)
	s_endpgm
	.section	.rodata,"a",@progbits
	.p2align	6, 0x0
	.amdhsa_kernel _ZN7rocprim17ROCPRIM_400000_NS6detail17trampoline_kernelINS0_14default_configENS1_38merge_sort_block_merge_config_selectorIlNS0_10empty_typeEEEZZNS1_27merge_sort_block_merge_implIS3_PlPS5_mZN2at6native12_GLOBAL__N_124unique_dim_cuda_templateIN3c104HalfEEESt5tupleIJNSA_6TensorESH_SH_EERKSH_lbbbEUlllE_EE10hipError_tT0_T1_T2_jT3_P12ihipStream_tbPNSt15iterator_traitsISN_E10value_typeEPNST_ISO_E10value_typeEPSP_NS1_7vsmem_tEENKUlT_SN_SO_SP_E_clIS8_S8_S9_S9_EESM_S12_SN_SO_SP_EUlS12_E_NS1_11comp_targetILNS1_3genE9ELNS1_11target_archE1100ELNS1_3gpuE3ELNS1_3repE0EEENS1_48merge_mergepath_partition_config_static_selectorELNS0_4arch9wavefront6targetE0EEEvSO_
		.amdhsa_group_segment_fixed_size 0
		.amdhsa_private_segment_fixed_size 0
		.amdhsa_kernarg_size 56
		.amdhsa_user_sgpr_count 15
		.amdhsa_user_sgpr_dispatch_ptr 0
		.amdhsa_user_sgpr_queue_ptr 0
		.amdhsa_user_sgpr_kernarg_segment_ptr 1
		.amdhsa_user_sgpr_dispatch_id 0
		.amdhsa_user_sgpr_private_segment_size 0
		.amdhsa_wavefront_size32 1
		.amdhsa_uses_dynamic_stack 0
		.amdhsa_enable_private_segment 0
		.amdhsa_system_sgpr_workgroup_id_x 1
		.amdhsa_system_sgpr_workgroup_id_y 0
		.amdhsa_system_sgpr_workgroup_id_z 0
		.amdhsa_system_sgpr_workgroup_info 0
		.amdhsa_system_vgpr_workitem_id 0
		.amdhsa_next_free_vgpr 22
		.amdhsa_next_free_sgpr 21
		.amdhsa_reserve_vcc 1
		.amdhsa_float_round_mode_32 0
		.amdhsa_float_round_mode_16_64 0
		.amdhsa_float_denorm_mode_32 3
		.amdhsa_float_denorm_mode_16_64 3
		.amdhsa_dx10_clamp 1
		.amdhsa_ieee_mode 1
		.amdhsa_fp16_overflow 0
		.amdhsa_workgroup_processor_mode 1
		.amdhsa_memory_ordered 1
		.amdhsa_forward_progress 0
		.amdhsa_shared_vgpr_count 0
		.amdhsa_exception_fp_ieee_invalid_op 0
		.amdhsa_exception_fp_denorm_src 0
		.amdhsa_exception_fp_ieee_div_zero 0
		.amdhsa_exception_fp_ieee_overflow 0
		.amdhsa_exception_fp_ieee_underflow 0
		.amdhsa_exception_fp_ieee_inexact 0
		.amdhsa_exception_int_div_zero 0
	.end_amdhsa_kernel
	.section	.text._ZN7rocprim17ROCPRIM_400000_NS6detail17trampoline_kernelINS0_14default_configENS1_38merge_sort_block_merge_config_selectorIlNS0_10empty_typeEEEZZNS1_27merge_sort_block_merge_implIS3_PlPS5_mZN2at6native12_GLOBAL__N_124unique_dim_cuda_templateIN3c104HalfEEESt5tupleIJNSA_6TensorESH_SH_EERKSH_lbbbEUlllE_EE10hipError_tT0_T1_T2_jT3_P12ihipStream_tbPNSt15iterator_traitsISN_E10value_typeEPNST_ISO_E10value_typeEPSP_NS1_7vsmem_tEENKUlT_SN_SO_SP_E_clIS8_S8_S9_S9_EESM_S12_SN_SO_SP_EUlS12_E_NS1_11comp_targetILNS1_3genE9ELNS1_11target_archE1100ELNS1_3gpuE3ELNS1_3repE0EEENS1_48merge_mergepath_partition_config_static_selectorELNS0_4arch9wavefront6targetE0EEEvSO_,"axG",@progbits,_ZN7rocprim17ROCPRIM_400000_NS6detail17trampoline_kernelINS0_14default_configENS1_38merge_sort_block_merge_config_selectorIlNS0_10empty_typeEEEZZNS1_27merge_sort_block_merge_implIS3_PlPS5_mZN2at6native12_GLOBAL__N_124unique_dim_cuda_templateIN3c104HalfEEESt5tupleIJNSA_6TensorESH_SH_EERKSH_lbbbEUlllE_EE10hipError_tT0_T1_T2_jT3_P12ihipStream_tbPNSt15iterator_traitsISN_E10value_typeEPNST_ISO_E10value_typeEPSP_NS1_7vsmem_tEENKUlT_SN_SO_SP_E_clIS8_S8_S9_S9_EESM_S12_SN_SO_SP_EUlS12_E_NS1_11comp_targetILNS1_3genE9ELNS1_11target_archE1100ELNS1_3gpuE3ELNS1_3repE0EEENS1_48merge_mergepath_partition_config_static_selectorELNS0_4arch9wavefront6targetE0EEEvSO_,comdat
.Lfunc_end1252:
	.size	_ZN7rocprim17ROCPRIM_400000_NS6detail17trampoline_kernelINS0_14default_configENS1_38merge_sort_block_merge_config_selectorIlNS0_10empty_typeEEEZZNS1_27merge_sort_block_merge_implIS3_PlPS5_mZN2at6native12_GLOBAL__N_124unique_dim_cuda_templateIN3c104HalfEEESt5tupleIJNSA_6TensorESH_SH_EERKSH_lbbbEUlllE_EE10hipError_tT0_T1_T2_jT3_P12ihipStream_tbPNSt15iterator_traitsISN_E10value_typeEPNST_ISO_E10value_typeEPSP_NS1_7vsmem_tEENKUlT_SN_SO_SP_E_clIS8_S8_S9_S9_EESM_S12_SN_SO_SP_EUlS12_E_NS1_11comp_targetILNS1_3genE9ELNS1_11target_archE1100ELNS1_3gpuE3ELNS1_3repE0EEENS1_48merge_mergepath_partition_config_static_selectorELNS0_4arch9wavefront6targetE0EEEvSO_, .Lfunc_end1252-_ZN7rocprim17ROCPRIM_400000_NS6detail17trampoline_kernelINS0_14default_configENS1_38merge_sort_block_merge_config_selectorIlNS0_10empty_typeEEEZZNS1_27merge_sort_block_merge_implIS3_PlPS5_mZN2at6native12_GLOBAL__N_124unique_dim_cuda_templateIN3c104HalfEEESt5tupleIJNSA_6TensorESH_SH_EERKSH_lbbbEUlllE_EE10hipError_tT0_T1_T2_jT3_P12ihipStream_tbPNSt15iterator_traitsISN_E10value_typeEPNST_ISO_E10value_typeEPSP_NS1_7vsmem_tEENKUlT_SN_SO_SP_E_clIS8_S8_S9_S9_EESM_S12_SN_SO_SP_EUlS12_E_NS1_11comp_targetILNS1_3genE9ELNS1_11target_archE1100ELNS1_3gpuE3ELNS1_3repE0EEENS1_48merge_mergepath_partition_config_static_selectorELNS0_4arch9wavefront6targetE0EEEvSO_
                                        ; -- End function
	.section	.AMDGPU.csdata,"",@progbits
; Kernel info:
; codeLenInByte = 996
; NumSgprs: 23
; NumVgprs: 22
; ScratchSize: 0
; MemoryBound: 0
; FloatMode: 240
; IeeeMode: 1
; LDSByteSize: 0 bytes/workgroup (compile time only)
; SGPRBlocks: 2
; VGPRBlocks: 2
; NumSGPRsForWavesPerEU: 23
; NumVGPRsForWavesPerEU: 22
; Occupancy: 16
; WaveLimiterHint : 0
; COMPUTE_PGM_RSRC2:SCRATCH_EN: 0
; COMPUTE_PGM_RSRC2:USER_SGPR: 15
; COMPUTE_PGM_RSRC2:TRAP_HANDLER: 0
; COMPUTE_PGM_RSRC2:TGID_X_EN: 1
; COMPUTE_PGM_RSRC2:TGID_Y_EN: 0
; COMPUTE_PGM_RSRC2:TGID_Z_EN: 0
; COMPUTE_PGM_RSRC2:TIDIG_COMP_CNT: 0
	.section	.text._ZN7rocprim17ROCPRIM_400000_NS6detail17trampoline_kernelINS0_14default_configENS1_38merge_sort_block_merge_config_selectorIlNS0_10empty_typeEEEZZNS1_27merge_sort_block_merge_implIS3_PlPS5_mZN2at6native12_GLOBAL__N_124unique_dim_cuda_templateIN3c104HalfEEESt5tupleIJNSA_6TensorESH_SH_EERKSH_lbbbEUlllE_EE10hipError_tT0_T1_T2_jT3_P12ihipStream_tbPNSt15iterator_traitsISN_E10value_typeEPNST_ISO_E10value_typeEPSP_NS1_7vsmem_tEENKUlT_SN_SO_SP_E_clIS8_S8_S9_S9_EESM_S12_SN_SO_SP_EUlS12_E_NS1_11comp_targetILNS1_3genE8ELNS1_11target_archE1030ELNS1_3gpuE2ELNS1_3repE0EEENS1_48merge_mergepath_partition_config_static_selectorELNS0_4arch9wavefront6targetE0EEEvSO_,"axG",@progbits,_ZN7rocprim17ROCPRIM_400000_NS6detail17trampoline_kernelINS0_14default_configENS1_38merge_sort_block_merge_config_selectorIlNS0_10empty_typeEEEZZNS1_27merge_sort_block_merge_implIS3_PlPS5_mZN2at6native12_GLOBAL__N_124unique_dim_cuda_templateIN3c104HalfEEESt5tupleIJNSA_6TensorESH_SH_EERKSH_lbbbEUlllE_EE10hipError_tT0_T1_T2_jT3_P12ihipStream_tbPNSt15iterator_traitsISN_E10value_typeEPNST_ISO_E10value_typeEPSP_NS1_7vsmem_tEENKUlT_SN_SO_SP_E_clIS8_S8_S9_S9_EESM_S12_SN_SO_SP_EUlS12_E_NS1_11comp_targetILNS1_3genE8ELNS1_11target_archE1030ELNS1_3gpuE2ELNS1_3repE0EEENS1_48merge_mergepath_partition_config_static_selectorELNS0_4arch9wavefront6targetE0EEEvSO_,comdat
	.globl	_ZN7rocprim17ROCPRIM_400000_NS6detail17trampoline_kernelINS0_14default_configENS1_38merge_sort_block_merge_config_selectorIlNS0_10empty_typeEEEZZNS1_27merge_sort_block_merge_implIS3_PlPS5_mZN2at6native12_GLOBAL__N_124unique_dim_cuda_templateIN3c104HalfEEESt5tupleIJNSA_6TensorESH_SH_EERKSH_lbbbEUlllE_EE10hipError_tT0_T1_T2_jT3_P12ihipStream_tbPNSt15iterator_traitsISN_E10value_typeEPNST_ISO_E10value_typeEPSP_NS1_7vsmem_tEENKUlT_SN_SO_SP_E_clIS8_S8_S9_S9_EESM_S12_SN_SO_SP_EUlS12_E_NS1_11comp_targetILNS1_3genE8ELNS1_11target_archE1030ELNS1_3gpuE2ELNS1_3repE0EEENS1_48merge_mergepath_partition_config_static_selectorELNS0_4arch9wavefront6targetE0EEEvSO_ ; -- Begin function _ZN7rocprim17ROCPRIM_400000_NS6detail17trampoline_kernelINS0_14default_configENS1_38merge_sort_block_merge_config_selectorIlNS0_10empty_typeEEEZZNS1_27merge_sort_block_merge_implIS3_PlPS5_mZN2at6native12_GLOBAL__N_124unique_dim_cuda_templateIN3c104HalfEEESt5tupleIJNSA_6TensorESH_SH_EERKSH_lbbbEUlllE_EE10hipError_tT0_T1_T2_jT3_P12ihipStream_tbPNSt15iterator_traitsISN_E10value_typeEPNST_ISO_E10value_typeEPSP_NS1_7vsmem_tEENKUlT_SN_SO_SP_E_clIS8_S8_S9_S9_EESM_S12_SN_SO_SP_EUlS12_E_NS1_11comp_targetILNS1_3genE8ELNS1_11target_archE1030ELNS1_3gpuE2ELNS1_3repE0EEENS1_48merge_mergepath_partition_config_static_selectorELNS0_4arch9wavefront6targetE0EEEvSO_
	.p2align	8
	.type	_ZN7rocprim17ROCPRIM_400000_NS6detail17trampoline_kernelINS0_14default_configENS1_38merge_sort_block_merge_config_selectorIlNS0_10empty_typeEEEZZNS1_27merge_sort_block_merge_implIS3_PlPS5_mZN2at6native12_GLOBAL__N_124unique_dim_cuda_templateIN3c104HalfEEESt5tupleIJNSA_6TensorESH_SH_EERKSH_lbbbEUlllE_EE10hipError_tT0_T1_T2_jT3_P12ihipStream_tbPNSt15iterator_traitsISN_E10value_typeEPNST_ISO_E10value_typeEPSP_NS1_7vsmem_tEENKUlT_SN_SO_SP_E_clIS8_S8_S9_S9_EESM_S12_SN_SO_SP_EUlS12_E_NS1_11comp_targetILNS1_3genE8ELNS1_11target_archE1030ELNS1_3gpuE2ELNS1_3repE0EEENS1_48merge_mergepath_partition_config_static_selectorELNS0_4arch9wavefront6targetE0EEEvSO_,@function
_ZN7rocprim17ROCPRIM_400000_NS6detail17trampoline_kernelINS0_14default_configENS1_38merge_sort_block_merge_config_selectorIlNS0_10empty_typeEEEZZNS1_27merge_sort_block_merge_implIS3_PlPS5_mZN2at6native12_GLOBAL__N_124unique_dim_cuda_templateIN3c104HalfEEESt5tupleIJNSA_6TensorESH_SH_EERKSH_lbbbEUlllE_EE10hipError_tT0_T1_T2_jT3_P12ihipStream_tbPNSt15iterator_traitsISN_E10value_typeEPNST_ISO_E10value_typeEPSP_NS1_7vsmem_tEENKUlT_SN_SO_SP_E_clIS8_S8_S9_S9_EESM_S12_SN_SO_SP_EUlS12_E_NS1_11comp_targetILNS1_3genE8ELNS1_11target_archE1030ELNS1_3gpuE2ELNS1_3repE0EEENS1_48merge_mergepath_partition_config_static_selectorELNS0_4arch9wavefront6targetE0EEEvSO_: ; @_ZN7rocprim17ROCPRIM_400000_NS6detail17trampoline_kernelINS0_14default_configENS1_38merge_sort_block_merge_config_selectorIlNS0_10empty_typeEEEZZNS1_27merge_sort_block_merge_implIS3_PlPS5_mZN2at6native12_GLOBAL__N_124unique_dim_cuda_templateIN3c104HalfEEESt5tupleIJNSA_6TensorESH_SH_EERKSH_lbbbEUlllE_EE10hipError_tT0_T1_T2_jT3_P12ihipStream_tbPNSt15iterator_traitsISN_E10value_typeEPNST_ISO_E10value_typeEPSP_NS1_7vsmem_tEENKUlT_SN_SO_SP_E_clIS8_S8_S9_S9_EESM_S12_SN_SO_SP_EUlS12_E_NS1_11comp_targetILNS1_3genE8ELNS1_11target_archE1030ELNS1_3gpuE2ELNS1_3repE0EEENS1_48merge_mergepath_partition_config_static_selectorELNS0_4arch9wavefront6targetE0EEEvSO_
; %bb.0:
	.section	.rodata,"a",@progbits
	.p2align	6, 0x0
	.amdhsa_kernel _ZN7rocprim17ROCPRIM_400000_NS6detail17trampoline_kernelINS0_14default_configENS1_38merge_sort_block_merge_config_selectorIlNS0_10empty_typeEEEZZNS1_27merge_sort_block_merge_implIS3_PlPS5_mZN2at6native12_GLOBAL__N_124unique_dim_cuda_templateIN3c104HalfEEESt5tupleIJNSA_6TensorESH_SH_EERKSH_lbbbEUlllE_EE10hipError_tT0_T1_T2_jT3_P12ihipStream_tbPNSt15iterator_traitsISN_E10value_typeEPNST_ISO_E10value_typeEPSP_NS1_7vsmem_tEENKUlT_SN_SO_SP_E_clIS8_S8_S9_S9_EESM_S12_SN_SO_SP_EUlS12_E_NS1_11comp_targetILNS1_3genE8ELNS1_11target_archE1030ELNS1_3gpuE2ELNS1_3repE0EEENS1_48merge_mergepath_partition_config_static_selectorELNS0_4arch9wavefront6targetE0EEEvSO_
		.amdhsa_group_segment_fixed_size 0
		.amdhsa_private_segment_fixed_size 0
		.amdhsa_kernarg_size 56
		.amdhsa_user_sgpr_count 15
		.amdhsa_user_sgpr_dispatch_ptr 0
		.amdhsa_user_sgpr_queue_ptr 0
		.amdhsa_user_sgpr_kernarg_segment_ptr 1
		.amdhsa_user_sgpr_dispatch_id 0
		.amdhsa_user_sgpr_private_segment_size 0
		.amdhsa_wavefront_size32 1
		.amdhsa_uses_dynamic_stack 0
		.amdhsa_enable_private_segment 0
		.amdhsa_system_sgpr_workgroup_id_x 1
		.amdhsa_system_sgpr_workgroup_id_y 0
		.amdhsa_system_sgpr_workgroup_id_z 0
		.amdhsa_system_sgpr_workgroup_info 0
		.amdhsa_system_vgpr_workitem_id 0
		.amdhsa_next_free_vgpr 1
		.amdhsa_next_free_sgpr 1
		.amdhsa_reserve_vcc 0
		.amdhsa_float_round_mode_32 0
		.amdhsa_float_round_mode_16_64 0
		.amdhsa_float_denorm_mode_32 3
		.amdhsa_float_denorm_mode_16_64 3
		.amdhsa_dx10_clamp 1
		.amdhsa_ieee_mode 1
		.amdhsa_fp16_overflow 0
		.amdhsa_workgroup_processor_mode 1
		.amdhsa_memory_ordered 1
		.amdhsa_forward_progress 0
		.amdhsa_shared_vgpr_count 0
		.amdhsa_exception_fp_ieee_invalid_op 0
		.amdhsa_exception_fp_denorm_src 0
		.amdhsa_exception_fp_ieee_div_zero 0
		.amdhsa_exception_fp_ieee_overflow 0
		.amdhsa_exception_fp_ieee_underflow 0
		.amdhsa_exception_fp_ieee_inexact 0
		.amdhsa_exception_int_div_zero 0
	.end_amdhsa_kernel
	.section	.text._ZN7rocprim17ROCPRIM_400000_NS6detail17trampoline_kernelINS0_14default_configENS1_38merge_sort_block_merge_config_selectorIlNS0_10empty_typeEEEZZNS1_27merge_sort_block_merge_implIS3_PlPS5_mZN2at6native12_GLOBAL__N_124unique_dim_cuda_templateIN3c104HalfEEESt5tupleIJNSA_6TensorESH_SH_EERKSH_lbbbEUlllE_EE10hipError_tT0_T1_T2_jT3_P12ihipStream_tbPNSt15iterator_traitsISN_E10value_typeEPNST_ISO_E10value_typeEPSP_NS1_7vsmem_tEENKUlT_SN_SO_SP_E_clIS8_S8_S9_S9_EESM_S12_SN_SO_SP_EUlS12_E_NS1_11comp_targetILNS1_3genE8ELNS1_11target_archE1030ELNS1_3gpuE2ELNS1_3repE0EEENS1_48merge_mergepath_partition_config_static_selectorELNS0_4arch9wavefront6targetE0EEEvSO_,"axG",@progbits,_ZN7rocprim17ROCPRIM_400000_NS6detail17trampoline_kernelINS0_14default_configENS1_38merge_sort_block_merge_config_selectorIlNS0_10empty_typeEEEZZNS1_27merge_sort_block_merge_implIS3_PlPS5_mZN2at6native12_GLOBAL__N_124unique_dim_cuda_templateIN3c104HalfEEESt5tupleIJNSA_6TensorESH_SH_EERKSH_lbbbEUlllE_EE10hipError_tT0_T1_T2_jT3_P12ihipStream_tbPNSt15iterator_traitsISN_E10value_typeEPNST_ISO_E10value_typeEPSP_NS1_7vsmem_tEENKUlT_SN_SO_SP_E_clIS8_S8_S9_S9_EESM_S12_SN_SO_SP_EUlS12_E_NS1_11comp_targetILNS1_3genE8ELNS1_11target_archE1030ELNS1_3gpuE2ELNS1_3repE0EEENS1_48merge_mergepath_partition_config_static_selectorELNS0_4arch9wavefront6targetE0EEEvSO_,comdat
.Lfunc_end1253:
	.size	_ZN7rocprim17ROCPRIM_400000_NS6detail17trampoline_kernelINS0_14default_configENS1_38merge_sort_block_merge_config_selectorIlNS0_10empty_typeEEEZZNS1_27merge_sort_block_merge_implIS3_PlPS5_mZN2at6native12_GLOBAL__N_124unique_dim_cuda_templateIN3c104HalfEEESt5tupleIJNSA_6TensorESH_SH_EERKSH_lbbbEUlllE_EE10hipError_tT0_T1_T2_jT3_P12ihipStream_tbPNSt15iterator_traitsISN_E10value_typeEPNST_ISO_E10value_typeEPSP_NS1_7vsmem_tEENKUlT_SN_SO_SP_E_clIS8_S8_S9_S9_EESM_S12_SN_SO_SP_EUlS12_E_NS1_11comp_targetILNS1_3genE8ELNS1_11target_archE1030ELNS1_3gpuE2ELNS1_3repE0EEENS1_48merge_mergepath_partition_config_static_selectorELNS0_4arch9wavefront6targetE0EEEvSO_, .Lfunc_end1253-_ZN7rocprim17ROCPRIM_400000_NS6detail17trampoline_kernelINS0_14default_configENS1_38merge_sort_block_merge_config_selectorIlNS0_10empty_typeEEEZZNS1_27merge_sort_block_merge_implIS3_PlPS5_mZN2at6native12_GLOBAL__N_124unique_dim_cuda_templateIN3c104HalfEEESt5tupleIJNSA_6TensorESH_SH_EERKSH_lbbbEUlllE_EE10hipError_tT0_T1_T2_jT3_P12ihipStream_tbPNSt15iterator_traitsISN_E10value_typeEPNST_ISO_E10value_typeEPSP_NS1_7vsmem_tEENKUlT_SN_SO_SP_E_clIS8_S8_S9_S9_EESM_S12_SN_SO_SP_EUlS12_E_NS1_11comp_targetILNS1_3genE8ELNS1_11target_archE1030ELNS1_3gpuE2ELNS1_3repE0EEENS1_48merge_mergepath_partition_config_static_selectorELNS0_4arch9wavefront6targetE0EEEvSO_
                                        ; -- End function
	.section	.AMDGPU.csdata,"",@progbits
; Kernel info:
; codeLenInByte = 0
; NumSgprs: 0
; NumVgprs: 0
; ScratchSize: 0
; MemoryBound: 0
; FloatMode: 240
; IeeeMode: 1
; LDSByteSize: 0 bytes/workgroup (compile time only)
; SGPRBlocks: 0
; VGPRBlocks: 0
; NumSGPRsForWavesPerEU: 1
; NumVGPRsForWavesPerEU: 1
; Occupancy: 16
; WaveLimiterHint : 0
; COMPUTE_PGM_RSRC2:SCRATCH_EN: 0
; COMPUTE_PGM_RSRC2:USER_SGPR: 15
; COMPUTE_PGM_RSRC2:TRAP_HANDLER: 0
; COMPUTE_PGM_RSRC2:TGID_X_EN: 1
; COMPUTE_PGM_RSRC2:TGID_Y_EN: 0
; COMPUTE_PGM_RSRC2:TGID_Z_EN: 0
; COMPUTE_PGM_RSRC2:TIDIG_COMP_CNT: 0
	.section	.text._ZN7rocprim17ROCPRIM_400000_NS6detail17trampoline_kernelINS0_14default_configENS1_38merge_sort_block_merge_config_selectorIlNS0_10empty_typeEEEZZNS1_27merge_sort_block_merge_implIS3_PlPS5_mZN2at6native12_GLOBAL__N_124unique_dim_cuda_templateIN3c104HalfEEESt5tupleIJNSA_6TensorESH_SH_EERKSH_lbbbEUlllE_EE10hipError_tT0_T1_T2_jT3_P12ihipStream_tbPNSt15iterator_traitsISN_E10value_typeEPNST_ISO_E10value_typeEPSP_NS1_7vsmem_tEENKUlT_SN_SO_SP_E_clIS8_S8_S9_S9_EESM_S12_SN_SO_SP_EUlS12_E0_NS1_11comp_targetILNS1_3genE0ELNS1_11target_archE4294967295ELNS1_3gpuE0ELNS1_3repE0EEENS1_38merge_mergepath_config_static_selectorELNS0_4arch9wavefront6targetE0EEEvSO_,"axG",@progbits,_ZN7rocprim17ROCPRIM_400000_NS6detail17trampoline_kernelINS0_14default_configENS1_38merge_sort_block_merge_config_selectorIlNS0_10empty_typeEEEZZNS1_27merge_sort_block_merge_implIS3_PlPS5_mZN2at6native12_GLOBAL__N_124unique_dim_cuda_templateIN3c104HalfEEESt5tupleIJNSA_6TensorESH_SH_EERKSH_lbbbEUlllE_EE10hipError_tT0_T1_T2_jT3_P12ihipStream_tbPNSt15iterator_traitsISN_E10value_typeEPNST_ISO_E10value_typeEPSP_NS1_7vsmem_tEENKUlT_SN_SO_SP_E_clIS8_S8_S9_S9_EESM_S12_SN_SO_SP_EUlS12_E0_NS1_11comp_targetILNS1_3genE0ELNS1_11target_archE4294967295ELNS1_3gpuE0ELNS1_3repE0EEENS1_38merge_mergepath_config_static_selectorELNS0_4arch9wavefront6targetE0EEEvSO_,comdat
	.globl	_ZN7rocprim17ROCPRIM_400000_NS6detail17trampoline_kernelINS0_14default_configENS1_38merge_sort_block_merge_config_selectorIlNS0_10empty_typeEEEZZNS1_27merge_sort_block_merge_implIS3_PlPS5_mZN2at6native12_GLOBAL__N_124unique_dim_cuda_templateIN3c104HalfEEESt5tupleIJNSA_6TensorESH_SH_EERKSH_lbbbEUlllE_EE10hipError_tT0_T1_T2_jT3_P12ihipStream_tbPNSt15iterator_traitsISN_E10value_typeEPNST_ISO_E10value_typeEPSP_NS1_7vsmem_tEENKUlT_SN_SO_SP_E_clIS8_S8_S9_S9_EESM_S12_SN_SO_SP_EUlS12_E0_NS1_11comp_targetILNS1_3genE0ELNS1_11target_archE4294967295ELNS1_3gpuE0ELNS1_3repE0EEENS1_38merge_mergepath_config_static_selectorELNS0_4arch9wavefront6targetE0EEEvSO_ ; -- Begin function _ZN7rocprim17ROCPRIM_400000_NS6detail17trampoline_kernelINS0_14default_configENS1_38merge_sort_block_merge_config_selectorIlNS0_10empty_typeEEEZZNS1_27merge_sort_block_merge_implIS3_PlPS5_mZN2at6native12_GLOBAL__N_124unique_dim_cuda_templateIN3c104HalfEEESt5tupleIJNSA_6TensorESH_SH_EERKSH_lbbbEUlllE_EE10hipError_tT0_T1_T2_jT3_P12ihipStream_tbPNSt15iterator_traitsISN_E10value_typeEPNST_ISO_E10value_typeEPSP_NS1_7vsmem_tEENKUlT_SN_SO_SP_E_clIS8_S8_S9_S9_EESM_S12_SN_SO_SP_EUlS12_E0_NS1_11comp_targetILNS1_3genE0ELNS1_11target_archE4294967295ELNS1_3gpuE0ELNS1_3repE0EEENS1_38merge_mergepath_config_static_selectorELNS0_4arch9wavefront6targetE0EEEvSO_
	.p2align	8
	.type	_ZN7rocprim17ROCPRIM_400000_NS6detail17trampoline_kernelINS0_14default_configENS1_38merge_sort_block_merge_config_selectorIlNS0_10empty_typeEEEZZNS1_27merge_sort_block_merge_implIS3_PlPS5_mZN2at6native12_GLOBAL__N_124unique_dim_cuda_templateIN3c104HalfEEESt5tupleIJNSA_6TensorESH_SH_EERKSH_lbbbEUlllE_EE10hipError_tT0_T1_T2_jT3_P12ihipStream_tbPNSt15iterator_traitsISN_E10value_typeEPNST_ISO_E10value_typeEPSP_NS1_7vsmem_tEENKUlT_SN_SO_SP_E_clIS8_S8_S9_S9_EESM_S12_SN_SO_SP_EUlS12_E0_NS1_11comp_targetILNS1_3genE0ELNS1_11target_archE4294967295ELNS1_3gpuE0ELNS1_3repE0EEENS1_38merge_mergepath_config_static_selectorELNS0_4arch9wavefront6targetE0EEEvSO_,@function
_ZN7rocprim17ROCPRIM_400000_NS6detail17trampoline_kernelINS0_14default_configENS1_38merge_sort_block_merge_config_selectorIlNS0_10empty_typeEEEZZNS1_27merge_sort_block_merge_implIS3_PlPS5_mZN2at6native12_GLOBAL__N_124unique_dim_cuda_templateIN3c104HalfEEESt5tupleIJNSA_6TensorESH_SH_EERKSH_lbbbEUlllE_EE10hipError_tT0_T1_T2_jT3_P12ihipStream_tbPNSt15iterator_traitsISN_E10value_typeEPNST_ISO_E10value_typeEPSP_NS1_7vsmem_tEENKUlT_SN_SO_SP_E_clIS8_S8_S9_S9_EESM_S12_SN_SO_SP_EUlS12_E0_NS1_11comp_targetILNS1_3genE0ELNS1_11target_archE4294967295ELNS1_3gpuE0ELNS1_3repE0EEENS1_38merge_mergepath_config_static_selectorELNS0_4arch9wavefront6targetE0EEEvSO_: ; @_ZN7rocprim17ROCPRIM_400000_NS6detail17trampoline_kernelINS0_14default_configENS1_38merge_sort_block_merge_config_selectorIlNS0_10empty_typeEEEZZNS1_27merge_sort_block_merge_implIS3_PlPS5_mZN2at6native12_GLOBAL__N_124unique_dim_cuda_templateIN3c104HalfEEESt5tupleIJNSA_6TensorESH_SH_EERKSH_lbbbEUlllE_EE10hipError_tT0_T1_T2_jT3_P12ihipStream_tbPNSt15iterator_traitsISN_E10value_typeEPNST_ISO_E10value_typeEPSP_NS1_7vsmem_tEENKUlT_SN_SO_SP_E_clIS8_S8_S9_S9_EESM_S12_SN_SO_SP_EUlS12_E0_NS1_11comp_targetILNS1_3genE0ELNS1_11target_archE4294967295ELNS1_3gpuE0ELNS1_3repE0EEENS1_38merge_mergepath_config_static_selectorELNS0_4arch9wavefront6targetE0EEEvSO_
; %bb.0:
	.section	.rodata,"a",@progbits
	.p2align	6, 0x0
	.amdhsa_kernel _ZN7rocprim17ROCPRIM_400000_NS6detail17trampoline_kernelINS0_14default_configENS1_38merge_sort_block_merge_config_selectorIlNS0_10empty_typeEEEZZNS1_27merge_sort_block_merge_implIS3_PlPS5_mZN2at6native12_GLOBAL__N_124unique_dim_cuda_templateIN3c104HalfEEESt5tupleIJNSA_6TensorESH_SH_EERKSH_lbbbEUlllE_EE10hipError_tT0_T1_T2_jT3_P12ihipStream_tbPNSt15iterator_traitsISN_E10value_typeEPNST_ISO_E10value_typeEPSP_NS1_7vsmem_tEENKUlT_SN_SO_SP_E_clIS8_S8_S9_S9_EESM_S12_SN_SO_SP_EUlS12_E0_NS1_11comp_targetILNS1_3genE0ELNS1_11target_archE4294967295ELNS1_3gpuE0ELNS1_3repE0EEENS1_38merge_mergepath_config_static_selectorELNS0_4arch9wavefront6targetE0EEEvSO_
		.amdhsa_group_segment_fixed_size 0
		.amdhsa_private_segment_fixed_size 0
		.amdhsa_kernarg_size 88
		.amdhsa_user_sgpr_count 15
		.amdhsa_user_sgpr_dispatch_ptr 0
		.amdhsa_user_sgpr_queue_ptr 0
		.amdhsa_user_sgpr_kernarg_segment_ptr 1
		.amdhsa_user_sgpr_dispatch_id 0
		.amdhsa_user_sgpr_private_segment_size 0
		.amdhsa_wavefront_size32 1
		.amdhsa_uses_dynamic_stack 0
		.amdhsa_enable_private_segment 0
		.amdhsa_system_sgpr_workgroup_id_x 1
		.amdhsa_system_sgpr_workgroup_id_y 0
		.amdhsa_system_sgpr_workgroup_id_z 0
		.amdhsa_system_sgpr_workgroup_info 0
		.amdhsa_system_vgpr_workitem_id 0
		.amdhsa_next_free_vgpr 1
		.amdhsa_next_free_sgpr 1
		.amdhsa_reserve_vcc 0
		.amdhsa_float_round_mode_32 0
		.amdhsa_float_round_mode_16_64 0
		.amdhsa_float_denorm_mode_32 3
		.amdhsa_float_denorm_mode_16_64 3
		.amdhsa_dx10_clamp 1
		.amdhsa_ieee_mode 1
		.amdhsa_fp16_overflow 0
		.amdhsa_workgroup_processor_mode 1
		.amdhsa_memory_ordered 1
		.amdhsa_forward_progress 0
		.amdhsa_shared_vgpr_count 0
		.amdhsa_exception_fp_ieee_invalid_op 0
		.amdhsa_exception_fp_denorm_src 0
		.amdhsa_exception_fp_ieee_div_zero 0
		.amdhsa_exception_fp_ieee_overflow 0
		.amdhsa_exception_fp_ieee_underflow 0
		.amdhsa_exception_fp_ieee_inexact 0
		.amdhsa_exception_int_div_zero 0
	.end_amdhsa_kernel
	.section	.text._ZN7rocprim17ROCPRIM_400000_NS6detail17trampoline_kernelINS0_14default_configENS1_38merge_sort_block_merge_config_selectorIlNS0_10empty_typeEEEZZNS1_27merge_sort_block_merge_implIS3_PlPS5_mZN2at6native12_GLOBAL__N_124unique_dim_cuda_templateIN3c104HalfEEESt5tupleIJNSA_6TensorESH_SH_EERKSH_lbbbEUlllE_EE10hipError_tT0_T1_T2_jT3_P12ihipStream_tbPNSt15iterator_traitsISN_E10value_typeEPNST_ISO_E10value_typeEPSP_NS1_7vsmem_tEENKUlT_SN_SO_SP_E_clIS8_S8_S9_S9_EESM_S12_SN_SO_SP_EUlS12_E0_NS1_11comp_targetILNS1_3genE0ELNS1_11target_archE4294967295ELNS1_3gpuE0ELNS1_3repE0EEENS1_38merge_mergepath_config_static_selectorELNS0_4arch9wavefront6targetE0EEEvSO_,"axG",@progbits,_ZN7rocprim17ROCPRIM_400000_NS6detail17trampoline_kernelINS0_14default_configENS1_38merge_sort_block_merge_config_selectorIlNS0_10empty_typeEEEZZNS1_27merge_sort_block_merge_implIS3_PlPS5_mZN2at6native12_GLOBAL__N_124unique_dim_cuda_templateIN3c104HalfEEESt5tupleIJNSA_6TensorESH_SH_EERKSH_lbbbEUlllE_EE10hipError_tT0_T1_T2_jT3_P12ihipStream_tbPNSt15iterator_traitsISN_E10value_typeEPNST_ISO_E10value_typeEPSP_NS1_7vsmem_tEENKUlT_SN_SO_SP_E_clIS8_S8_S9_S9_EESM_S12_SN_SO_SP_EUlS12_E0_NS1_11comp_targetILNS1_3genE0ELNS1_11target_archE4294967295ELNS1_3gpuE0ELNS1_3repE0EEENS1_38merge_mergepath_config_static_selectorELNS0_4arch9wavefront6targetE0EEEvSO_,comdat
.Lfunc_end1254:
	.size	_ZN7rocprim17ROCPRIM_400000_NS6detail17trampoline_kernelINS0_14default_configENS1_38merge_sort_block_merge_config_selectorIlNS0_10empty_typeEEEZZNS1_27merge_sort_block_merge_implIS3_PlPS5_mZN2at6native12_GLOBAL__N_124unique_dim_cuda_templateIN3c104HalfEEESt5tupleIJNSA_6TensorESH_SH_EERKSH_lbbbEUlllE_EE10hipError_tT0_T1_T2_jT3_P12ihipStream_tbPNSt15iterator_traitsISN_E10value_typeEPNST_ISO_E10value_typeEPSP_NS1_7vsmem_tEENKUlT_SN_SO_SP_E_clIS8_S8_S9_S9_EESM_S12_SN_SO_SP_EUlS12_E0_NS1_11comp_targetILNS1_3genE0ELNS1_11target_archE4294967295ELNS1_3gpuE0ELNS1_3repE0EEENS1_38merge_mergepath_config_static_selectorELNS0_4arch9wavefront6targetE0EEEvSO_, .Lfunc_end1254-_ZN7rocprim17ROCPRIM_400000_NS6detail17trampoline_kernelINS0_14default_configENS1_38merge_sort_block_merge_config_selectorIlNS0_10empty_typeEEEZZNS1_27merge_sort_block_merge_implIS3_PlPS5_mZN2at6native12_GLOBAL__N_124unique_dim_cuda_templateIN3c104HalfEEESt5tupleIJNSA_6TensorESH_SH_EERKSH_lbbbEUlllE_EE10hipError_tT0_T1_T2_jT3_P12ihipStream_tbPNSt15iterator_traitsISN_E10value_typeEPNST_ISO_E10value_typeEPSP_NS1_7vsmem_tEENKUlT_SN_SO_SP_E_clIS8_S8_S9_S9_EESM_S12_SN_SO_SP_EUlS12_E0_NS1_11comp_targetILNS1_3genE0ELNS1_11target_archE4294967295ELNS1_3gpuE0ELNS1_3repE0EEENS1_38merge_mergepath_config_static_selectorELNS0_4arch9wavefront6targetE0EEEvSO_
                                        ; -- End function
	.section	.AMDGPU.csdata,"",@progbits
; Kernel info:
; codeLenInByte = 0
; NumSgprs: 0
; NumVgprs: 0
; ScratchSize: 0
; MemoryBound: 0
; FloatMode: 240
; IeeeMode: 1
; LDSByteSize: 0 bytes/workgroup (compile time only)
; SGPRBlocks: 0
; VGPRBlocks: 0
; NumSGPRsForWavesPerEU: 1
; NumVGPRsForWavesPerEU: 1
; Occupancy: 16
; WaveLimiterHint : 0
; COMPUTE_PGM_RSRC2:SCRATCH_EN: 0
; COMPUTE_PGM_RSRC2:USER_SGPR: 15
; COMPUTE_PGM_RSRC2:TRAP_HANDLER: 0
; COMPUTE_PGM_RSRC2:TGID_X_EN: 1
; COMPUTE_PGM_RSRC2:TGID_Y_EN: 0
; COMPUTE_PGM_RSRC2:TGID_Z_EN: 0
; COMPUTE_PGM_RSRC2:TIDIG_COMP_CNT: 0
	.section	.text._ZN7rocprim17ROCPRIM_400000_NS6detail17trampoline_kernelINS0_14default_configENS1_38merge_sort_block_merge_config_selectorIlNS0_10empty_typeEEEZZNS1_27merge_sort_block_merge_implIS3_PlPS5_mZN2at6native12_GLOBAL__N_124unique_dim_cuda_templateIN3c104HalfEEESt5tupleIJNSA_6TensorESH_SH_EERKSH_lbbbEUlllE_EE10hipError_tT0_T1_T2_jT3_P12ihipStream_tbPNSt15iterator_traitsISN_E10value_typeEPNST_ISO_E10value_typeEPSP_NS1_7vsmem_tEENKUlT_SN_SO_SP_E_clIS8_S8_S9_S9_EESM_S12_SN_SO_SP_EUlS12_E0_NS1_11comp_targetILNS1_3genE10ELNS1_11target_archE1201ELNS1_3gpuE5ELNS1_3repE0EEENS1_38merge_mergepath_config_static_selectorELNS0_4arch9wavefront6targetE0EEEvSO_,"axG",@progbits,_ZN7rocprim17ROCPRIM_400000_NS6detail17trampoline_kernelINS0_14default_configENS1_38merge_sort_block_merge_config_selectorIlNS0_10empty_typeEEEZZNS1_27merge_sort_block_merge_implIS3_PlPS5_mZN2at6native12_GLOBAL__N_124unique_dim_cuda_templateIN3c104HalfEEESt5tupleIJNSA_6TensorESH_SH_EERKSH_lbbbEUlllE_EE10hipError_tT0_T1_T2_jT3_P12ihipStream_tbPNSt15iterator_traitsISN_E10value_typeEPNST_ISO_E10value_typeEPSP_NS1_7vsmem_tEENKUlT_SN_SO_SP_E_clIS8_S8_S9_S9_EESM_S12_SN_SO_SP_EUlS12_E0_NS1_11comp_targetILNS1_3genE10ELNS1_11target_archE1201ELNS1_3gpuE5ELNS1_3repE0EEENS1_38merge_mergepath_config_static_selectorELNS0_4arch9wavefront6targetE0EEEvSO_,comdat
	.globl	_ZN7rocprim17ROCPRIM_400000_NS6detail17trampoline_kernelINS0_14default_configENS1_38merge_sort_block_merge_config_selectorIlNS0_10empty_typeEEEZZNS1_27merge_sort_block_merge_implIS3_PlPS5_mZN2at6native12_GLOBAL__N_124unique_dim_cuda_templateIN3c104HalfEEESt5tupleIJNSA_6TensorESH_SH_EERKSH_lbbbEUlllE_EE10hipError_tT0_T1_T2_jT3_P12ihipStream_tbPNSt15iterator_traitsISN_E10value_typeEPNST_ISO_E10value_typeEPSP_NS1_7vsmem_tEENKUlT_SN_SO_SP_E_clIS8_S8_S9_S9_EESM_S12_SN_SO_SP_EUlS12_E0_NS1_11comp_targetILNS1_3genE10ELNS1_11target_archE1201ELNS1_3gpuE5ELNS1_3repE0EEENS1_38merge_mergepath_config_static_selectorELNS0_4arch9wavefront6targetE0EEEvSO_ ; -- Begin function _ZN7rocprim17ROCPRIM_400000_NS6detail17trampoline_kernelINS0_14default_configENS1_38merge_sort_block_merge_config_selectorIlNS0_10empty_typeEEEZZNS1_27merge_sort_block_merge_implIS3_PlPS5_mZN2at6native12_GLOBAL__N_124unique_dim_cuda_templateIN3c104HalfEEESt5tupleIJNSA_6TensorESH_SH_EERKSH_lbbbEUlllE_EE10hipError_tT0_T1_T2_jT3_P12ihipStream_tbPNSt15iterator_traitsISN_E10value_typeEPNST_ISO_E10value_typeEPSP_NS1_7vsmem_tEENKUlT_SN_SO_SP_E_clIS8_S8_S9_S9_EESM_S12_SN_SO_SP_EUlS12_E0_NS1_11comp_targetILNS1_3genE10ELNS1_11target_archE1201ELNS1_3gpuE5ELNS1_3repE0EEENS1_38merge_mergepath_config_static_selectorELNS0_4arch9wavefront6targetE0EEEvSO_
	.p2align	8
	.type	_ZN7rocprim17ROCPRIM_400000_NS6detail17trampoline_kernelINS0_14default_configENS1_38merge_sort_block_merge_config_selectorIlNS0_10empty_typeEEEZZNS1_27merge_sort_block_merge_implIS3_PlPS5_mZN2at6native12_GLOBAL__N_124unique_dim_cuda_templateIN3c104HalfEEESt5tupleIJNSA_6TensorESH_SH_EERKSH_lbbbEUlllE_EE10hipError_tT0_T1_T2_jT3_P12ihipStream_tbPNSt15iterator_traitsISN_E10value_typeEPNST_ISO_E10value_typeEPSP_NS1_7vsmem_tEENKUlT_SN_SO_SP_E_clIS8_S8_S9_S9_EESM_S12_SN_SO_SP_EUlS12_E0_NS1_11comp_targetILNS1_3genE10ELNS1_11target_archE1201ELNS1_3gpuE5ELNS1_3repE0EEENS1_38merge_mergepath_config_static_selectorELNS0_4arch9wavefront6targetE0EEEvSO_,@function
_ZN7rocprim17ROCPRIM_400000_NS6detail17trampoline_kernelINS0_14default_configENS1_38merge_sort_block_merge_config_selectorIlNS0_10empty_typeEEEZZNS1_27merge_sort_block_merge_implIS3_PlPS5_mZN2at6native12_GLOBAL__N_124unique_dim_cuda_templateIN3c104HalfEEESt5tupleIJNSA_6TensorESH_SH_EERKSH_lbbbEUlllE_EE10hipError_tT0_T1_T2_jT3_P12ihipStream_tbPNSt15iterator_traitsISN_E10value_typeEPNST_ISO_E10value_typeEPSP_NS1_7vsmem_tEENKUlT_SN_SO_SP_E_clIS8_S8_S9_S9_EESM_S12_SN_SO_SP_EUlS12_E0_NS1_11comp_targetILNS1_3genE10ELNS1_11target_archE1201ELNS1_3gpuE5ELNS1_3repE0EEENS1_38merge_mergepath_config_static_selectorELNS0_4arch9wavefront6targetE0EEEvSO_: ; @_ZN7rocprim17ROCPRIM_400000_NS6detail17trampoline_kernelINS0_14default_configENS1_38merge_sort_block_merge_config_selectorIlNS0_10empty_typeEEEZZNS1_27merge_sort_block_merge_implIS3_PlPS5_mZN2at6native12_GLOBAL__N_124unique_dim_cuda_templateIN3c104HalfEEESt5tupleIJNSA_6TensorESH_SH_EERKSH_lbbbEUlllE_EE10hipError_tT0_T1_T2_jT3_P12ihipStream_tbPNSt15iterator_traitsISN_E10value_typeEPNST_ISO_E10value_typeEPSP_NS1_7vsmem_tEENKUlT_SN_SO_SP_E_clIS8_S8_S9_S9_EESM_S12_SN_SO_SP_EUlS12_E0_NS1_11comp_targetILNS1_3genE10ELNS1_11target_archE1201ELNS1_3gpuE5ELNS1_3repE0EEENS1_38merge_mergepath_config_static_selectorELNS0_4arch9wavefront6targetE0EEEvSO_
; %bb.0:
	.section	.rodata,"a",@progbits
	.p2align	6, 0x0
	.amdhsa_kernel _ZN7rocprim17ROCPRIM_400000_NS6detail17trampoline_kernelINS0_14default_configENS1_38merge_sort_block_merge_config_selectorIlNS0_10empty_typeEEEZZNS1_27merge_sort_block_merge_implIS3_PlPS5_mZN2at6native12_GLOBAL__N_124unique_dim_cuda_templateIN3c104HalfEEESt5tupleIJNSA_6TensorESH_SH_EERKSH_lbbbEUlllE_EE10hipError_tT0_T1_T2_jT3_P12ihipStream_tbPNSt15iterator_traitsISN_E10value_typeEPNST_ISO_E10value_typeEPSP_NS1_7vsmem_tEENKUlT_SN_SO_SP_E_clIS8_S8_S9_S9_EESM_S12_SN_SO_SP_EUlS12_E0_NS1_11comp_targetILNS1_3genE10ELNS1_11target_archE1201ELNS1_3gpuE5ELNS1_3repE0EEENS1_38merge_mergepath_config_static_selectorELNS0_4arch9wavefront6targetE0EEEvSO_
		.amdhsa_group_segment_fixed_size 0
		.amdhsa_private_segment_fixed_size 0
		.amdhsa_kernarg_size 88
		.amdhsa_user_sgpr_count 15
		.amdhsa_user_sgpr_dispatch_ptr 0
		.amdhsa_user_sgpr_queue_ptr 0
		.amdhsa_user_sgpr_kernarg_segment_ptr 1
		.amdhsa_user_sgpr_dispatch_id 0
		.amdhsa_user_sgpr_private_segment_size 0
		.amdhsa_wavefront_size32 1
		.amdhsa_uses_dynamic_stack 0
		.amdhsa_enable_private_segment 0
		.amdhsa_system_sgpr_workgroup_id_x 1
		.amdhsa_system_sgpr_workgroup_id_y 0
		.amdhsa_system_sgpr_workgroup_id_z 0
		.amdhsa_system_sgpr_workgroup_info 0
		.amdhsa_system_vgpr_workitem_id 0
		.amdhsa_next_free_vgpr 1
		.amdhsa_next_free_sgpr 1
		.amdhsa_reserve_vcc 0
		.amdhsa_float_round_mode_32 0
		.amdhsa_float_round_mode_16_64 0
		.amdhsa_float_denorm_mode_32 3
		.amdhsa_float_denorm_mode_16_64 3
		.amdhsa_dx10_clamp 1
		.amdhsa_ieee_mode 1
		.amdhsa_fp16_overflow 0
		.amdhsa_workgroup_processor_mode 1
		.amdhsa_memory_ordered 1
		.amdhsa_forward_progress 0
		.amdhsa_shared_vgpr_count 0
		.amdhsa_exception_fp_ieee_invalid_op 0
		.amdhsa_exception_fp_denorm_src 0
		.amdhsa_exception_fp_ieee_div_zero 0
		.amdhsa_exception_fp_ieee_overflow 0
		.amdhsa_exception_fp_ieee_underflow 0
		.amdhsa_exception_fp_ieee_inexact 0
		.amdhsa_exception_int_div_zero 0
	.end_amdhsa_kernel
	.section	.text._ZN7rocprim17ROCPRIM_400000_NS6detail17trampoline_kernelINS0_14default_configENS1_38merge_sort_block_merge_config_selectorIlNS0_10empty_typeEEEZZNS1_27merge_sort_block_merge_implIS3_PlPS5_mZN2at6native12_GLOBAL__N_124unique_dim_cuda_templateIN3c104HalfEEESt5tupleIJNSA_6TensorESH_SH_EERKSH_lbbbEUlllE_EE10hipError_tT0_T1_T2_jT3_P12ihipStream_tbPNSt15iterator_traitsISN_E10value_typeEPNST_ISO_E10value_typeEPSP_NS1_7vsmem_tEENKUlT_SN_SO_SP_E_clIS8_S8_S9_S9_EESM_S12_SN_SO_SP_EUlS12_E0_NS1_11comp_targetILNS1_3genE10ELNS1_11target_archE1201ELNS1_3gpuE5ELNS1_3repE0EEENS1_38merge_mergepath_config_static_selectorELNS0_4arch9wavefront6targetE0EEEvSO_,"axG",@progbits,_ZN7rocprim17ROCPRIM_400000_NS6detail17trampoline_kernelINS0_14default_configENS1_38merge_sort_block_merge_config_selectorIlNS0_10empty_typeEEEZZNS1_27merge_sort_block_merge_implIS3_PlPS5_mZN2at6native12_GLOBAL__N_124unique_dim_cuda_templateIN3c104HalfEEESt5tupleIJNSA_6TensorESH_SH_EERKSH_lbbbEUlllE_EE10hipError_tT0_T1_T2_jT3_P12ihipStream_tbPNSt15iterator_traitsISN_E10value_typeEPNST_ISO_E10value_typeEPSP_NS1_7vsmem_tEENKUlT_SN_SO_SP_E_clIS8_S8_S9_S9_EESM_S12_SN_SO_SP_EUlS12_E0_NS1_11comp_targetILNS1_3genE10ELNS1_11target_archE1201ELNS1_3gpuE5ELNS1_3repE0EEENS1_38merge_mergepath_config_static_selectorELNS0_4arch9wavefront6targetE0EEEvSO_,comdat
.Lfunc_end1255:
	.size	_ZN7rocprim17ROCPRIM_400000_NS6detail17trampoline_kernelINS0_14default_configENS1_38merge_sort_block_merge_config_selectorIlNS0_10empty_typeEEEZZNS1_27merge_sort_block_merge_implIS3_PlPS5_mZN2at6native12_GLOBAL__N_124unique_dim_cuda_templateIN3c104HalfEEESt5tupleIJNSA_6TensorESH_SH_EERKSH_lbbbEUlllE_EE10hipError_tT0_T1_T2_jT3_P12ihipStream_tbPNSt15iterator_traitsISN_E10value_typeEPNST_ISO_E10value_typeEPSP_NS1_7vsmem_tEENKUlT_SN_SO_SP_E_clIS8_S8_S9_S9_EESM_S12_SN_SO_SP_EUlS12_E0_NS1_11comp_targetILNS1_3genE10ELNS1_11target_archE1201ELNS1_3gpuE5ELNS1_3repE0EEENS1_38merge_mergepath_config_static_selectorELNS0_4arch9wavefront6targetE0EEEvSO_, .Lfunc_end1255-_ZN7rocprim17ROCPRIM_400000_NS6detail17trampoline_kernelINS0_14default_configENS1_38merge_sort_block_merge_config_selectorIlNS0_10empty_typeEEEZZNS1_27merge_sort_block_merge_implIS3_PlPS5_mZN2at6native12_GLOBAL__N_124unique_dim_cuda_templateIN3c104HalfEEESt5tupleIJNSA_6TensorESH_SH_EERKSH_lbbbEUlllE_EE10hipError_tT0_T1_T2_jT3_P12ihipStream_tbPNSt15iterator_traitsISN_E10value_typeEPNST_ISO_E10value_typeEPSP_NS1_7vsmem_tEENKUlT_SN_SO_SP_E_clIS8_S8_S9_S9_EESM_S12_SN_SO_SP_EUlS12_E0_NS1_11comp_targetILNS1_3genE10ELNS1_11target_archE1201ELNS1_3gpuE5ELNS1_3repE0EEENS1_38merge_mergepath_config_static_selectorELNS0_4arch9wavefront6targetE0EEEvSO_
                                        ; -- End function
	.section	.AMDGPU.csdata,"",@progbits
; Kernel info:
; codeLenInByte = 0
; NumSgprs: 0
; NumVgprs: 0
; ScratchSize: 0
; MemoryBound: 0
; FloatMode: 240
; IeeeMode: 1
; LDSByteSize: 0 bytes/workgroup (compile time only)
; SGPRBlocks: 0
; VGPRBlocks: 0
; NumSGPRsForWavesPerEU: 1
; NumVGPRsForWavesPerEU: 1
; Occupancy: 16
; WaveLimiterHint : 0
; COMPUTE_PGM_RSRC2:SCRATCH_EN: 0
; COMPUTE_PGM_RSRC2:USER_SGPR: 15
; COMPUTE_PGM_RSRC2:TRAP_HANDLER: 0
; COMPUTE_PGM_RSRC2:TGID_X_EN: 1
; COMPUTE_PGM_RSRC2:TGID_Y_EN: 0
; COMPUTE_PGM_RSRC2:TGID_Z_EN: 0
; COMPUTE_PGM_RSRC2:TIDIG_COMP_CNT: 0
	.section	.text._ZN7rocprim17ROCPRIM_400000_NS6detail17trampoline_kernelINS0_14default_configENS1_38merge_sort_block_merge_config_selectorIlNS0_10empty_typeEEEZZNS1_27merge_sort_block_merge_implIS3_PlPS5_mZN2at6native12_GLOBAL__N_124unique_dim_cuda_templateIN3c104HalfEEESt5tupleIJNSA_6TensorESH_SH_EERKSH_lbbbEUlllE_EE10hipError_tT0_T1_T2_jT3_P12ihipStream_tbPNSt15iterator_traitsISN_E10value_typeEPNST_ISO_E10value_typeEPSP_NS1_7vsmem_tEENKUlT_SN_SO_SP_E_clIS8_S8_S9_S9_EESM_S12_SN_SO_SP_EUlS12_E0_NS1_11comp_targetILNS1_3genE5ELNS1_11target_archE942ELNS1_3gpuE9ELNS1_3repE0EEENS1_38merge_mergepath_config_static_selectorELNS0_4arch9wavefront6targetE0EEEvSO_,"axG",@progbits,_ZN7rocprim17ROCPRIM_400000_NS6detail17trampoline_kernelINS0_14default_configENS1_38merge_sort_block_merge_config_selectorIlNS0_10empty_typeEEEZZNS1_27merge_sort_block_merge_implIS3_PlPS5_mZN2at6native12_GLOBAL__N_124unique_dim_cuda_templateIN3c104HalfEEESt5tupleIJNSA_6TensorESH_SH_EERKSH_lbbbEUlllE_EE10hipError_tT0_T1_T2_jT3_P12ihipStream_tbPNSt15iterator_traitsISN_E10value_typeEPNST_ISO_E10value_typeEPSP_NS1_7vsmem_tEENKUlT_SN_SO_SP_E_clIS8_S8_S9_S9_EESM_S12_SN_SO_SP_EUlS12_E0_NS1_11comp_targetILNS1_3genE5ELNS1_11target_archE942ELNS1_3gpuE9ELNS1_3repE0EEENS1_38merge_mergepath_config_static_selectorELNS0_4arch9wavefront6targetE0EEEvSO_,comdat
	.globl	_ZN7rocprim17ROCPRIM_400000_NS6detail17trampoline_kernelINS0_14default_configENS1_38merge_sort_block_merge_config_selectorIlNS0_10empty_typeEEEZZNS1_27merge_sort_block_merge_implIS3_PlPS5_mZN2at6native12_GLOBAL__N_124unique_dim_cuda_templateIN3c104HalfEEESt5tupleIJNSA_6TensorESH_SH_EERKSH_lbbbEUlllE_EE10hipError_tT0_T1_T2_jT3_P12ihipStream_tbPNSt15iterator_traitsISN_E10value_typeEPNST_ISO_E10value_typeEPSP_NS1_7vsmem_tEENKUlT_SN_SO_SP_E_clIS8_S8_S9_S9_EESM_S12_SN_SO_SP_EUlS12_E0_NS1_11comp_targetILNS1_3genE5ELNS1_11target_archE942ELNS1_3gpuE9ELNS1_3repE0EEENS1_38merge_mergepath_config_static_selectorELNS0_4arch9wavefront6targetE0EEEvSO_ ; -- Begin function _ZN7rocprim17ROCPRIM_400000_NS6detail17trampoline_kernelINS0_14default_configENS1_38merge_sort_block_merge_config_selectorIlNS0_10empty_typeEEEZZNS1_27merge_sort_block_merge_implIS3_PlPS5_mZN2at6native12_GLOBAL__N_124unique_dim_cuda_templateIN3c104HalfEEESt5tupleIJNSA_6TensorESH_SH_EERKSH_lbbbEUlllE_EE10hipError_tT0_T1_T2_jT3_P12ihipStream_tbPNSt15iterator_traitsISN_E10value_typeEPNST_ISO_E10value_typeEPSP_NS1_7vsmem_tEENKUlT_SN_SO_SP_E_clIS8_S8_S9_S9_EESM_S12_SN_SO_SP_EUlS12_E0_NS1_11comp_targetILNS1_3genE5ELNS1_11target_archE942ELNS1_3gpuE9ELNS1_3repE0EEENS1_38merge_mergepath_config_static_selectorELNS0_4arch9wavefront6targetE0EEEvSO_
	.p2align	8
	.type	_ZN7rocprim17ROCPRIM_400000_NS6detail17trampoline_kernelINS0_14default_configENS1_38merge_sort_block_merge_config_selectorIlNS0_10empty_typeEEEZZNS1_27merge_sort_block_merge_implIS3_PlPS5_mZN2at6native12_GLOBAL__N_124unique_dim_cuda_templateIN3c104HalfEEESt5tupleIJNSA_6TensorESH_SH_EERKSH_lbbbEUlllE_EE10hipError_tT0_T1_T2_jT3_P12ihipStream_tbPNSt15iterator_traitsISN_E10value_typeEPNST_ISO_E10value_typeEPSP_NS1_7vsmem_tEENKUlT_SN_SO_SP_E_clIS8_S8_S9_S9_EESM_S12_SN_SO_SP_EUlS12_E0_NS1_11comp_targetILNS1_3genE5ELNS1_11target_archE942ELNS1_3gpuE9ELNS1_3repE0EEENS1_38merge_mergepath_config_static_selectorELNS0_4arch9wavefront6targetE0EEEvSO_,@function
_ZN7rocprim17ROCPRIM_400000_NS6detail17trampoline_kernelINS0_14default_configENS1_38merge_sort_block_merge_config_selectorIlNS0_10empty_typeEEEZZNS1_27merge_sort_block_merge_implIS3_PlPS5_mZN2at6native12_GLOBAL__N_124unique_dim_cuda_templateIN3c104HalfEEESt5tupleIJNSA_6TensorESH_SH_EERKSH_lbbbEUlllE_EE10hipError_tT0_T1_T2_jT3_P12ihipStream_tbPNSt15iterator_traitsISN_E10value_typeEPNST_ISO_E10value_typeEPSP_NS1_7vsmem_tEENKUlT_SN_SO_SP_E_clIS8_S8_S9_S9_EESM_S12_SN_SO_SP_EUlS12_E0_NS1_11comp_targetILNS1_3genE5ELNS1_11target_archE942ELNS1_3gpuE9ELNS1_3repE0EEENS1_38merge_mergepath_config_static_selectorELNS0_4arch9wavefront6targetE0EEEvSO_: ; @_ZN7rocprim17ROCPRIM_400000_NS6detail17trampoline_kernelINS0_14default_configENS1_38merge_sort_block_merge_config_selectorIlNS0_10empty_typeEEEZZNS1_27merge_sort_block_merge_implIS3_PlPS5_mZN2at6native12_GLOBAL__N_124unique_dim_cuda_templateIN3c104HalfEEESt5tupleIJNSA_6TensorESH_SH_EERKSH_lbbbEUlllE_EE10hipError_tT0_T1_T2_jT3_P12ihipStream_tbPNSt15iterator_traitsISN_E10value_typeEPNST_ISO_E10value_typeEPSP_NS1_7vsmem_tEENKUlT_SN_SO_SP_E_clIS8_S8_S9_S9_EESM_S12_SN_SO_SP_EUlS12_E0_NS1_11comp_targetILNS1_3genE5ELNS1_11target_archE942ELNS1_3gpuE9ELNS1_3repE0EEENS1_38merge_mergepath_config_static_selectorELNS0_4arch9wavefront6targetE0EEEvSO_
; %bb.0:
	.section	.rodata,"a",@progbits
	.p2align	6, 0x0
	.amdhsa_kernel _ZN7rocprim17ROCPRIM_400000_NS6detail17trampoline_kernelINS0_14default_configENS1_38merge_sort_block_merge_config_selectorIlNS0_10empty_typeEEEZZNS1_27merge_sort_block_merge_implIS3_PlPS5_mZN2at6native12_GLOBAL__N_124unique_dim_cuda_templateIN3c104HalfEEESt5tupleIJNSA_6TensorESH_SH_EERKSH_lbbbEUlllE_EE10hipError_tT0_T1_T2_jT3_P12ihipStream_tbPNSt15iterator_traitsISN_E10value_typeEPNST_ISO_E10value_typeEPSP_NS1_7vsmem_tEENKUlT_SN_SO_SP_E_clIS8_S8_S9_S9_EESM_S12_SN_SO_SP_EUlS12_E0_NS1_11comp_targetILNS1_3genE5ELNS1_11target_archE942ELNS1_3gpuE9ELNS1_3repE0EEENS1_38merge_mergepath_config_static_selectorELNS0_4arch9wavefront6targetE0EEEvSO_
		.amdhsa_group_segment_fixed_size 0
		.amdhsa_private_segment_fixed_size 0
		.amdhsa_kernarg_size 88
		.amdhsa_user_sgpr_count 15
		.amdhsa_user_sgpr_dispatch_ptr 0
		.amdhsa_user_sgpr_queue_ptr 0
		.amdhsa_user_sgpr_kernarg_segment_ptr 1
		.amdhsa_user_sgpr_dispatch_id 0
		.amdhsa_user_sgpr_private_segment_size 0
		.amdhsa_wavefront_size32 1
		.amdhsa_uses_dynamic_stack 0
		.amdhsa_enable_private_segment 0
		.amdhsa_system_sgpr_workgroup_id_x 1
		.amdhsa_system_sgpr_workgroup_id_y 0
		.amdhsa_system_sgpr_workgroup_id_z 0
		.amdhsa_system_sgpr_workgroup_info 0
		.amdhsa_system_vgpr_workitem_id 0
		.amdhsa_next_free_vgpr 1
		.amdhsa_next_free_sgpr 1
		.amdhsa_reserve_vcc 0
		.amdhsa_float_round_mode_32 0
		.amdhsa_float_round_mode_16_64 0
		.amdhsa_float_denorm_mode_32 3
		.amdhsa_float_denorm_mode_16_64 3
		.amdhsa_dx10_clamp 1
		.amdhsa_ieee_mode 1
		.amdhsa_fp16_overflow 0
		.amdhsa_workgroup_processor_mode 1
		.amdhsa_memory_ordered 1
		.amdhsa_forward_progress 0
		.amdhsa_shared_vgpr_count 0
		.amdhsa_exception_fp_ieee_invalid_op 0
		.amdhsa_exception_fp_denorm_src 0
		.amdhsa_exception_fp_ieee_div_zero 0
		.amdhsa_exception_fp_ieee_overflow 0
		.amdhsa_exception_fp_ieee_underflow 0
		.amdhsa_exception_fp_ieee_inexact 0
		.amdhsa_exception_int_div_zero 0
	.end_amdhsa_kernel
	.section	.text._ZN7rocprim17ROCPRIM_400000_NS6detail17trampoline_kernelINS0_14default_configENS1_38merge_sort_block_merge_config_selectorIlNS0_10empty_typeEEEZZNS1_27merge_sort_block_merge_implIS3_PlPS5_mZN2at6native12_GLOBAL__N_124unique_dim_cuda_templateIN3c104HalfEEESt5tupleIJNSA_6TensorESH_SH_EERKSH_lbbbEUlllE_EE10hipError_tT0_T1_T2_jT3_P12ihipStream_tbPNSt15iterator_traitsISN_E10value_typeEPNST_ISO_E10value_typeEPSP_NS1_7vsmem_tEENKUlT_SN_SO_SP_E_clIS8_S8_S9_S9_EESM_S12_SN_SO_SP_EUlS12_E0_NS1_11comp_targetILNS1_3genE5ELNS1_11target_archE942ELNS1_3gpuE9ELNS1_3repE0EEENS1_38merge_mergepath_config_static_selectorELNS0_4arch9wavefront6targetE0EEEvSO_,"axG",@progbits,_ZN7rocprim17ROCPRIM_400000_NS6detail17trampoline_kernelINS0_14default_configENS1_38merge_sort_block_merge_config_selectorIlNS0_10empty_typeEEEZZNS1_27merge_sort_block_merge_implIS3_PlPS5_mZN2at6native12_GLOBAL__N_124unique_dim_cuda_templateIN3c104HalfEEESt5tupleIJNSA_6TensorESH_SH_EERKSH_lbbbEUlllE_EE10hipError_tT0_T1_T2_jT3_P12ihipStream_tbPNSt15iterator_traitsISN_E10value_typeEPNST_ISO_E10value_typeEPSP_NS1_7vsmem_tEENKUlT_SN_SO_SP_E_clIS8_S8_S9_S9_EESM_S12_SN_SO_SP_EUlS12_E0_NS1_11comp_targetILNS1_3genE5ELNS1_11target_archE942ELNS1_3gpuE9ELNS1_3repE0EEENS1_38merge_mergepath_config_static_selectorELNS0_4arch9wavefront6targetE0EEEvSO_,comdat
.Lfunc_end1256:
	.size	_ZN7rocprim17ROCPRIM_400000_NS6detail17trampoline_kernelINS0_14default_configENS1_38merge_sort_block_merge_config_selectorIlNS0_10empty_typeEEEZZNS1_27merge_sort_block_merge_implIS3_PlPS5_mZN2at6native12_GLOBAL__N_124unique_dim_cuda_templateIN3c104HalfEEESt5tupleIJNSA_6TensorESH_SH_EERKSH_lbbbEUlllE_EE10hipError_tT0_T1_T2_jT3_P12ihipStream_tbPNSt15iterator_traitsISN_E10value_typeEPNST_ISO_E10value_typeEPSP_NS1_7vsmem_tEENKUlT_SN_SO_SP_E_clIS8_S8_S9_S9_EESM_S12_SN_SO_SP_EUlS12_E0_NS1_11comp_targetILNS1_3genE5ELNS1_11target_archE942ELNS1_3gpuE9ELNS1_3repE0EEENS1_38merge_mergepath_config_static_selectorELNS0_4arch9wavefront6targetE0EEEvSO_, .Lfunc_end1256-_ZN7rocprim17ROCPRIM_400000_NS6detail17trampoline_kernelINS0_14default_configENS1_38merge_sort_block_merge_config_selectorIlNS0_10empty_typeEEEZZNS1_27merge_sort_block_merge_implIS3_PlPS5_mZN2at6native12_GLOBAL__N_124unique_dim_cuda_templateIN3c104HalfEEESt5tupleIJNSA_6TensorESH_SH_EERKSH_lbbbEUlllE_EE10hipError_tT0_T1_T2_jT3_P12ihipStream_tbPNSt15iterator_traitsISN_E10value_typeEPNST_ISO_E10value_typeEPSP_NS1_7vsmem_tEENKUlT_SN_SO_SP_E_clIS8_S8_S9_S9_EESM_S12_SN_SO_SP_EUlS12_E0_NS1_11comp_targetILNS1_3genE5ELNS1_11target_archE942ELNS1_3gpuE9ELNS1_3repE0EEENS1_38merge_mergepath_config_static_selectorELNS0_4arch9wavefront6targetE0EEEvSO_
                                        ; -- End function
	.section	.AMDGPU.csdata,"",@progbits
; Kernel info:
; codeLenInByte = 0
; NumSgprs: 0
; NumVgprs: 0
; ScratchSize: 0
; MemoryBound: 0
; FloatMode: 240
; IeeeMode: 1
; LDSByteSize: 0 bytes/workgroup (compile time only)
; SGPRBlocks: 0
; VGPRBlocks: 0
; NumSGPRsForWavesPerEU: 1
; NumVGPRsForWavesPerEU: 1
; Occupancy: 16
; WaveLimiterHint : 0
; COMPUTE_PGM_RSRC2:SCRATCH_EN: 0
; COMPUTE_PGM_RSRC2:USER_SGPR: 15
; COMPUTE_PGM_RSRC2:TRAP_HANDLER: 0
; COMPUTE_PGM_RSRC2:TGID_X_EN: 1
; COMPUTE_PGM_RSRC2:TGID_Y_EN: 0
; COMPUTE_PGM_RSRC2:TGID_Z_EN: 0
; COMPUTE_PGM_RSRC2:TIDIG_COMP_CNT: 0
	.section	.text._ZN7rocprim17ROCPRIM_400000_NS6detail17trampoline_kernelINS0_14default_configENS1_38merge_sort_block_merge_config_selectorIlNS0_10empty_typeEEEZZNS1_27merge_sort_block_merge_implIS3_PlPS5_mZN2at6native12_GLOBAL__N_124unique_dim_cuda_templateIN3c104HalfEEESt5tupleIJNSA_6TensorESH_SH_EERKSH_lbbbEUlllE_EE10hipError_tT0_T1_T2_jT3_P12ihipStream_tbPNSt15iterator_traitsISN_E10value_typeEPNST_ISO_E10value_typeEPSP_NS1_7vsmem_tEENKUlT_SN_SO_SP_E_clIS8_S8_S9_S9_EESM_S12_SN_SO_SP_EUlS12_E0_NS1_11comp_targetILNS1_3genE4ELNS1_11target_archE910ELNS1_3gpuE8ELNS1_3repE0EEENS1_38merge_mergepath_config_static_selectorELNS0_4arch9wavefront6targetE0EEEvSO_,"axG",@progbits,_ZN7rocprim17ROCPRIM_400000_NS6detail17trampoline_kernelINS0_14default_configENS1_38merge_sort_block_merge_config_selectorIlNS0_10empty_typeEEEZZNS1_27merge_sort_block_merge_implIS3_PlPS5_mZN2at6native12_GLOBAL__N_124unique_dim_cuda_templateIN3c104HalfEEESt5tupleIJNSA_6TensorESH_SH_EERKSH_lbbbEUlllE_EE10hipError_tT0_T1_T2_jT3_P12ihipStream_tbPNSt15iterator_traitsISN_E10value_typeEPNST_ISO_E10value_typeEPSP_NS1_7vsmem_tEENKUlT_SN_SO_SP_E_clIS8_S8_S9_S9_EESM_S12_SN_SO_SP_EUlS12_E0_NS1_11comp_targetILNS1_3genE4ELNS1_11target_archE910ELNS1_3gpuE8ELNS1_3repE0EEENS1_38merge_mergepath_config_static_selectorELNS0_4arch9wavefront6targetE0EEEvSO_,comdat
	.globl	_ZN7rocprim17ROCPRIM_400000_NS6detail17trampoline_kernelINS0_14default_configENS1_38merge_sort_block_merge_config_selectorIlNS0_10empty_typeEEEZZNS1_27merge_sort_block_merge_implIS3_PlPS5_mZN2at6native12_GLOBAL__N_124unique_dim_cuda_templateIN3c104HalfEEESt5tupleIJNSA_6TensorESH_SH_EERKSH_lbbbEUlllE_EE10hipError_tT0_T1_T2_jT3_P12ihipStream_tbPNSt15iterator_traitsISN_E10value_typeEPNST_ISO_E10value_typeEPSP_NS1_7vsmem_tEENKUlT_SN_SO_SP_E_clIS8_S8_S9_S9_EESM_S12_SN_SO_SP_EUlS12_E0_NS1_11comp_targetILNS1_3genE4ELNS1_11target_archE910ELNS1_3gpuE8ELNS1_3repE0EEENS1_38merge_mergepath_config_static_selectorELNS0_4arch9wavefront6targetE0EEEvSO_ ; -- Begin function _ZN7rocprim17ROCPRIM_400000_NS6detail17trampoline_kernelINS0_14default_configENS1_38merge_sort_block_merge_config_selectorIlNS0_10empty_typeEEEZZNS1_27merge_sort_block_merge_implIS3_PlPS5_mZN2at6native12_GLOBAL__N_124unique_dim_cuda_templateIN3c104HalfEEESt5tupleIJNSA_6TensorESH_SH_EERKSH_lbbbEUlllE_EE10hipError_tT0_T1_T2_jT3_P12ihipStream_tbPNSt15iterator_traitsISN_E10value_typeEPNST_ISO_E10value_typeEPSP_NS1_7vsmem_tEENKUlT_SN_SO_SP_E_clIS8_S8_S9_S9_EESM_S12_SN_SO_SP_EUlS12_E0_NS1_11comp_targetILNS1_3genE4ELNS1_11target_archE910ELNS1_3gpuE8ELNS1_3repE0EEENS1_38merge_mergepath_config_static_selectorELNS0_4arch9wavefront6targetE0EEEvSO_
	.p2align	8
	.type	_ZN7rocprim17ROCPRIM_400000_NS6detail17trampoline_kernelINS0_14default_configENS1_38merge_sort_block_merge_config_selectorIlNS0_10empty_typeEEEZZNS1_27merge_sort_block_merge_implIS3_PlPS5_mZN2at6native12_GLOBAL__N_124unique_dim_cuda_templateIN3c104HalfEEESt5tupleIJNSA_6TensorESH_SH_EERKSH_lbbbEUlllE_EE10hipError_tT0_T1_T2_jT3_P12ihipStream_tbPNSt15iterator_traitsISN_E10value_typeEPNST_ISO_E10value_typeEPSP_NS1_7vsmem_tEENKUlT_SN_SO_SP_E_clIS8_S8_S9_S9_EESM_S12_SN_SO_SP_EUlS12_E0_NS1_11comp_targetILNS1_3genE4ELNS1_11target_archE910ELNS1_3gpuE8ELNS1_3repE0EEENS1_38merge_mergepath_config_static_selectorELNS0_4arch9wavefront6targetE0EEEvSO_,@function
_ZN7rocprim17ROCPRIM_400000_NS6detail17trampoline_kernelINS0_14default_configENS1_38merge_sort_block_merge_config_selectorIlNS0_10empty_typeEEEZZNS1_27merge_sort_block_merge_implIS3_PlPS5_mZN2at6native12_GLOBAL__N_124unique_dim_cuda_templateIN3c104HalfEEESt5tupleIJNSA_6TensorESH_SH_EERKSH_lbbbEUlllE_EE10hipError_tT0_T1_T2_jT3_P12ihipStream_tbPNSt15iterator_traitsISN_E10value_typeEPNST_ISO_E10value_typeEPSP_NS1_7vsmem_tEENKUlT_SN_SO_SP_E_clIS8_S8_S9_S9_EESM_S12_SN_SO_SP_EUlS12_E0_NS1_11comp_targetILNS1_3genE4ELNS1_11target_archE910ELNS1_3gpuE8ELNS1_3repE0EEENS1_38merge_mergepath_config_static_selectorELNS0_4arch9wavefront6targetE0EEEvSO_: ; @_ZN7rocprim17ROCPRIM_400000_NS6detail17trampoline_kernelINS0_14default_configENS1_38merge_sort_block_merge_config_selectorIlNS0_10empty_typeEEEZZNS1_27merge_sort_block_merge_implIS3_PlPS5_mZN2at6native12_GLOBAL__N_124unique_dim_cuda_templateIN3c104HalfEEESt5tupleIJNSA_6TensorESH_SH_EERKSH_lbbbEUlllE_EE10hipError_tT0_T1_T2_jT3_P12ihipStream_tbPNSt15iterator_traitsISN_E10value_typeEPNST_ISO_E10value_typeEPSP_NS1_7vsmem_tEENKUlT_SN_SO_SP_E_clIS8_S8_S9_S9_EESM_S12_SN_SO_SP_EUlS12_E0_NS1_11comp_targetILNS1_3genE4ELNS1_11target_archE910ELNS1_3gpuE8ELNS1_3repE0EEENS1_38merge_mergepath_config_static_selectorELNS0_4arch9wavefront6targetE0EEEvSO_
; %bb.0:
	.section	.rodata,"a",@progbits
	.p2align	6, 0x0
	.amdhsa_kernel _ZN7rocprim17ROCPRIM_400000_NS6detail17trampoline_kernelINS0_14default_configENS1_38merge_sort_block_merge_config_selectorIlNS0_10empty_typeEEEZZNS1_27merge_sort_block_merge_implIS3_PlPS5_mZN2at6native12_GLOBAL__N_124unique_dim_cuda_templateIN3c104HalfEEESt5tupleIJNSA_6TensorESH_SH_EERKSH_lbbbEUlllE_EE10hipError_tT0_T1_T2_jT3_P12ihipStream_tbPNSt15iterator_traitsISN_E10value_typeEPNST_ISO_E10value_typeEPSP_NS1_7vsmem_tEENKUlT_SN_SO_SP_E_clIS8_S8_S9_S9_EESM_S12_SN_SO_SP_EUlS12_E0_NS1_11comp_targetILNS1_3genE4ELNS1_11target_archE910ELNS1_3gpuE8ELNS1_3repE0EEENS1_38merge_mergepath_config_static_selectorELNS0_4arch9wavefront6targetE0EEEvSO_
		.amdhsa_group_segment_fixed_size 0
		.amdhsa_private_segment_fixed_size 0
		.amdhsa_kernarg_size 88
		.amdhsa_user_sgpr_count 15
		.amdhsa_user_sgpr_dispatch_ptr 0
		.amdhsa_user_sgpr_queue_ptr 0
		.amdhsa_user_sgpr_kernarg_segment_ptr 1
		.amdhsa_user_sgpr_dispatch_id 0
		.amdhsa_user_sgpr_private_segment_size 0
		.amdhsa_wavefront_size32 1
		.amdhsa_uses_dynamic_stack 0
		.amdhsa_enable_private_segment 0
		.amdhsa_system_sgpr_workgroup_id_x 1
		.amdhsa_system_sgpr_workgroup_id_y 0
		.amdhsa_system_sgpr_workgroup_id_z 0
		.amdhsa_system_sgpr_workgroup_info 0
		.amdhsa_system_vgpr_workitem_id 0
		.amdhsa_next_free_vgpr 1
		.amdhsa_next_free_sgpr 1
		.amdhsa_reserve_vcc 0
		.amdhsa_float_round_mode_32 0
		.amdhsa_float_round_mode_16_64 0
		.amdhsa_float_denorm_mode_32 3
		.amdhsa_float_denorm_mode_16_64 3
		.amdhsa_dx10_clamp 1
		.amdhsa_ieee_mode 1
		.amdhsa_fp16_overflow 0
		.amdhsa_workgroup_processor_mode 1
		.amdhsa_memory_ordered 1
		.amdhsa_forward_progress 0
		.amdhsa_shared_vgpr_count 0
		.amdhsa_exception_fp_ieee_invalid_op 0
		.amdhsa_exception_fp_denorm_src 0
		.amdhsa_exception_fp_ieee_div_zero 0
		.amdhsa_exception_fp_ieee_overflow 0
		.amdhsa_exception_fp_ieee_underflow 0
		.amdhsa_exception_fp_ieee_inexact 0
		.amdhsa_exception_int_div_zero 0
	.end_amdhsa_kernel
	.section	.text._ZN7rocprim17ROCPRIM_400000_NS6detail17trampoline_kernelINS0_14default_configENS1_38merge_sort_block_merge_config_selectorIlNS0_10empty_typeEEEZZNS1_27merge_sort_block_merge_implIS3_PlPS5_mZN2at6native12_GLOBAL__N_124unique_dim_cuda_templateIN3c104HalfEEESt5tupleIJNSA_6TensorESH_SH_EERKSH_lbbbEUlllE_EE10hipError_tT0_T1_T2_jT3_P12ihipStream_tbPNSt15iterator_traitsISN_E10value_typeEPNST_ISO_E10value_typeEPSP_NS1_7vsmem_tEENKUlT_SN_SO_SP_E_clIS8_S8_S9_S9_EESM_S12_SN_SO_SP_EUlS12_E0_NS1_11comp_targetILNS1_3genE4ELNS1_11target_archE910ELNS1_3gpuE8ELNS1_3repE0EEENS1_38merge_mergepath_config_static_selectorELNS0_4arch9wavefront6targetE0EEEvSO_,"axG",@progbits,_ZN7rocprim17ROCPRIM_400000_NS6detail17trampoline_kernelINS0_14default_configENS1_38merge_sort_block_merge_config_selectorIlNS0_10empty_typeEEEZZNS1_27merge_sort_block_merge_implIS3_PlPS5_mZN2at6native12_GLOBAL__N_124unique_dim_cuda_templateIN3c104HalfEEESt5tupleIJNSA_6TensorESH_SH_EERKSH_lbbbEUlllE_EE10hipError_tT0_T1_T2_jT3_P12ihipStream_tbPNSt15iterator_traitsISN_E10value_typeEPNST_ISO_E10value_typeEPSP_NS1_7vsmem_tEENKUlT_SN_SO_SP_E_clIS8_S8_S9_S9_EESM_S12_SN_SO_SP_EUlS12_E0_NS1_11comp_targetILNS1_3genE4ELNS1_11target_archE910ELNS1_3gpuE8ELNS1_3repE0EEENS1_38merge_mergepath_config_static_selectorELNS0_4arch9wavefront6targetE0EEEvSO_,comdat
.Lfunc_end1257:
	.size	_ZN7rocprim17ROCPRIM_400000_NS6detail17trampoline_kernelINS0_14default_configENS1_38merge_sort_block_merge_config_selectorIlNS0_10empty_typeEEEZZNS1_27merge_sort_block_merge_implIS3_PlPS5_mZN2at6native12_GLOBAL__N_124unique_dim_cuda_templateIN3c104HalfEEESt5tupleIJNSA_6TensorESH_SH_EERKSH_lbbbEUlllE_EE10hipError_tT0_T1_T2_jT3_P12ihipStream_tbPNSt15iterator_traitsISN_E10value_typeEPNST_ISO_E10value_typeEPSP_NS1_7vsmem_tEENKUlT_SN_SO_SP_E_clIS8_S8_S9_S9_EESM_S12_SN_SO_SP_EUlS12_E0_NS1_11comp_targetILNS1_3genE4ELNS1_11target_archE910ELNS1_3gpuE8ELNS1_3repE0EEENS1_38merge_mergepath_config_static_selectorELNS0_4arch9wavefront6targetE0EEEvSO_, .Lfunc_end1257-_ZN7rocprim17ROCPRIM_400000_NS6detail17trampoline_kernelINS0_14default_configENS1_38merge_sort_block_merge_config_selectorIlNS0_10empty_typeEEEZZNS1_27merge_sort_block_merge_implIS3_PlPS5_mZN2at6native12_GLOBAL__N_124unique_dim_cuda_templateIN3c104HalfEEESt5tupleIJNSA_6TensorESH_SH_EERKSH_lbbbEUlllE_EE10hipError_tT0_T1_T2_jT3_P12ihipStream_tbPNSt15iterator_traitsISN_E10value_typeEPNST_ISO_E10value_typeEPSP_NS1_7vsmem_tEENKUlT_SN_SO_SP_E_clIS8_S8_S9_S9_EESM_S12_SN_SO_SP_EUlS12_E0_NS1_11comp_targetILNS1_3genE4ELNS1_11target_archE910ELNS1_3gpuE8ELNS1_3repE0EEENS1_38merge_mergepath_config_static_selectorELNS0_4arch9wavefront6targetE0EEEvSO_
                                        ; -- End function
	.section	.AMDGPU.csdata,"",@progbits
; Kernel info:
; codeLenInByte = 0
; NumSgprs: 0
; NumVgprs: 0
; ScratchSize: 0
; MemoryBound: 0
; FloatMode: 240
; IeeeMode: 1
; LDSByteSize: 0 bytes/workgroup (compile time only)
; SGPRBlocks: 0
; VGPRBlocks: 0
; NumSGPRsForWavesPerEU: 1
; NumVGPRsForWavesPerEU: 1
; Occupancy: 16
; WaveLimiterHint : 0
; COMPUTE_PGM_RSRC2:SCRATCH_EN: 0
; COMPUTE_PGM_RSRC2:USER_SGPR: 15
; COMPUTE_PGM_RSRC2:TRAP_HANDLER: 0
; COMPUTE_PGM_RSRC2:TGID_X_EN: 1
; COMPUTE_PGM_RSRC2:TGID_Y_EN: 0
; COMPUTE_PGM_RSRC2:TGID_Z_EN: 0
; COMPUTE_PGM_RSRC2:TIDIG_COMP_CNT: 0
	.section	.text._ZN7rocprim17ROCPRIM_400000_NS6detail17trampoline_kernelINS0_14default_configENS1_38merge_sort_block_merge_config_selectorIlNS0_10empty_typeEEEZZNS1_27merge_sort_block_merge_implIS3_PlPS5_mZN2at6native12_GLOBAL__N_124unique_dim_cuda_templateIN3c104HalfEEESt5tupleIJNSA_6TensorESH_SH_EERKSH_lbbbEUlllE_EE10hipError_tT0_T1_T2_jT3_P12ihipStream_tbPNSt15iterator_traitsISN_E10value_typeEPNST_ISO_E10value_typeEPSP_NS1_7vsmem_tEENKUlT_SN_SO_SP_E_clIS8_S8_S9_S9_EESM_S12_SN_SO_SP_EUlS12_E0_NS1_11comp_targetILNS1_3genE3ELNS1_11target_archE908ELNS1_3gpuE7ELNS1_3repE0EEENS1_38merge_mergepath_config_static_selectorELNS0_4arch9wavefront6targetE0EEEvSO_,"axG",@progbits,_ZN7rocprim17ROCPRIM_400000_NS6detail17trampoline_kernelINS0_14default_configENS1_38merge_sort_block_merge_config_selectorIlNS0_10empty_typeEEEZZNS1_27merge_sort_block_merge_implIS3_PlPS5_mZN2at6native12_GLOBAL__N_124unique_dim_cuda_templateIN3c104HalfEEESt5tupleIJNSA_6TensorESH_SH_EERKSH_lbbbEUlllE_EE10hipError_tT0_T1_T2_jT3_P12ihipStream_tbPNSt15iterator_traitsISN_E10value_typeEPNST_ISO_E10value_typeEPSP_NS1_7vsmem_tEENKUlT_SN_SO_SP_E_clIS8_S8_S9_S9_EESM_S12_SN_SO_SP_EUlS12_E0_NS1_11comp_targetILNS1_3genE3ELNS1_11target_archE908ELNS1_3gpuE7ELNS1_3repE0EEENS1_38merge_mergepath_config_static_selectorELNS0_4arch9wavefront6targetE0EEEvSO_,comdat
	.globl	_ZN7rocprim17ROCPRIM_400000_NS6detail17trampoline_kernelINS0_14default_configENS1_38merge_sort_block_merge_config_selectorIlNS0_10empty_typeEEEZZNS1_27merge_sort_block_merge_implIS3_PlPS5_mZN2at6native12_GLOBAL__N_124unique_dim_cuda_templateIN3c104HalfEEESt5tupleIJNSA_6TensorESH_SH_EERKSH_lbbbEUlllE_EE10hipError_tT0_T1_T2_jT3_P12ihipStream_tbPNSt15iterator_traitsISN_E10value_typeEPNST_ISO_E10value_typeEPSP_NS1_7vsmem_tEENKUlT_SN_SO_SP_E_clIS8_S8_S9_S9_EESM_S12_SN_SO_SP_EUlS12_E0_NS1_11comp_targetILNS1_3genE3ELNS1_11target_archE908ELNS1_3gpuE7ELNS1_3repE0EEENS1_38merge_mergepath_config_static_selectorELNS0_4arch9wavefront6targetE0EEEvSO_ ; -- Begin function _ZN7rocprim17ROCPRIM_400000_NS6detail17trampoline_kernelINS0_14default_configENS1_38merge_sort_block_merge_config_selectorIlNS0_10empty_typeEEEZZNS1_27merge_sort_block_merge_implIS3_PlPS5_mZN2at6native12_GLOBAL__N_124unique_dim_cuda_templateIN3c104HalfEEESt5tupleIJNSA_6TensorESH_SH_EERKSH_lbbbEUlllE_EE10hipError_tT0_T1_T2_jT3_P12ihipStream_tbPNSt15iterator_traitsISN_E10value_typeEPNST_ISO_E10value_typeEPSP_NS1_7vsmem_tEENKUlT_SN_SO_SP_E_clIS8_S8_S9_S9_EESM_S12_SN_SO_SP_EUlS12_E0_NS1_11comp_targetILNS1_3genE3ELNS1_11target_archE908ELNS1_3gpuE7ELNS1_3repE0EEENS1_38merge_mergepath_config_static_selectorELNS0_4arch9wavefront6targetE0EEEvSO_
	.p2align	8
	.type	_ZN7rocprim17ROCPRIM_400000_NS6detail17trampoline_kernelINS0_14default_configENS1_38merge_sort_block_merge_config_selectorIlNS0_10empty_typeEEEZZNS1_27merge_sort_block_merge_implIS3_PlPS5_mZN2at6native12_GLOBAL__N_124unique_dim_cuda_templateIN3c104HalfEEESt5tupleIJNSA_6TensorESH_SH_EERKSH_lbbbEUlllE_EE10hipError_tT0_T1_T2_jT3_P12ihipStream_tbPNSt15iterator_traitsISN_E10value_typeEPNST_ISO_E10value_typeEPSP_NS1_7vsmem_tEENKUlT_SN_SO_SP_E_clIS8_S8_S9_S9_EESM_S12_SN_SO_SP_EUlS12_E0_NS1_11comp_targetILNS1_3genE3ELNS1_11target_archE908ELNS1_3gpuE7ELNS1_3repE0EEENS1_38merge_mergepath_config_static_selectorELNS0_4arch9wavefront6targetE0EEEvSO_,@function
_ZN7rocprim17ROCPRIM_400000_NS6detail17trampoline_kernelINS0_14default_configENS1_38merge_sort_block_merge_config_selectorIlNS0_10empty_typeEEEZZNS1_27merge_sort_block_merge_implIS3_PlPS5_mZN2at6native12_GLOBAL__N_124unique_dim_cuda_templateIN3c104HalfEEESt5tupleIJNSA_6TensorESH_SH_EERKSH_lbbbEUlllE_EE10hipError_tT0_T1_T2_jT3_P12ihipStream_tbPNSt15iterator_traitsISN_E10value_typeEPNST_ISO_E10value_typeEPSP_NS1_7vsmem_tEENKUlT_SN_SO_SP_E_clIS8_S8_S9_S9_EESM_S12_SN_SO_SP_EUlS12_E0_NS1_11comp_targetILNS1_3genE3ELNS1_11target_archE908ELNS1_3gpuE7ELNS1_3repE0EEENS1_38merge_mergepath_config_static_selectorELNS0_4arch9wavefront6targetE0EEEvSO_: ; @_ZN7rocprim17ROCPRIM_400000_NS6detail17trampoline_kernelINS0_14default_configENS1_38merge_sort_block_merge_config_selectorIlNS0_10empty_typeEEEZZNS1_27merge_sort_block_merge_implIS3_PlPS5_mZN2at6native12_GLOBAL__N_124unique_dim_cuda_templateIN3c104HalfEEESt5tupleIJNSA_6TensorESH_SH_EERKSH_lbbbEUlllE_EE10hipError_tT0_T1_T2_jT3_P12ihipStream_tbPNSt15iterator_traitsISN_E10value_typeEPNST_ISO_E10value_typeEPSP_NS1_7vsmem_tEENKUlT_SN_SO_SP_E_clIS8_S8_S9_S9_EESM_S12_SN_SO_SP_EUlS12_E0_NS1_11comp_targetILNS1_3genE3ELNS1_11target_archE908ELNS1_3gpuE7ELNS1_3repE0EEENS1_38merge_mergepath_config_static_selectorELNS0_4arch9wavefront6targetE0EEEvSO_
; %bb.0:
	.section	.rodata,"a",@progbits
	.p2align	6, 0x0
	.amdhsa_kernel _ZN7rocprim17ROCPRIM_400000_NS6detail17trampoline_kernelINS0_14default_configENS1_38merge_sort_block_merge_config_selectorIlNS0_10empty_typeEEEZZNS1_27merge_sort_block_merge_implIS3_PlPS5_mZN2at6native12_GLOBAL__N_124unique_dim_cuda_templateIN3c104HalfEEESt5tupleIJNSA_6TensorESH_SH_EERKSH_lbbbEUlllE_EE10hipError_tT0_T1_T2_jT3_P12ihipStream_tbPNSt15iterator_traitsISN_E10value_typeEPNST_ISO_E10value_typeEPSP_NS1_7vsmem_tEENKUlT_SN_SO_SP_E_clIS8_S8_S9_S9_EESM_S12_SN_SO_SP_EUlS12_E0_NS1_11comp_targetILNS1_3genE3ELNS1_11target_archE908ELNS1_3gpuE7ELNS1_3repE0EEENS1_38merge_mergepath_config_static_selectorELNS0_4arch9wavefront6targetE0EEEvSO_
		.amdhsa_group_segment_fixed_size 0
		.amdhsa_private_segment_fixed_size 0
		.amdhsa_kernarg_size 88
		.amdhsa_user_sgpr_count 15
		.amdhsa_user_sgpr_dispatch_ptr 0
		.amdhsa_user_sgpr_queue_ptr 0
		.amdhsa_user_sgpr_kernarg_segment_ptr 1
		.amdhsa_user_sgpr_dispatch_id 0
		.amdhsa_user_sgpr_private_segment_size 0
		.amdhsa_wavefront_size32 1
		.amdhsa_uses_dynamic_stack 0
		.amdhsa_enable_private_segment 0
		.amdhsa_system_sgpr_workgroup_id_x 1
		.amdhsa_system_sgpr_workgroup_id_y 0
		.amdhsa_system_sgpr_workgroup_id_z 0
		.amdhsa_system_sgpr_workgroup_info 0
		.amdhsa_system_vgpr_workitem_id 0
		.amdhsa_next_free_vgpr 1
		.amdhsa_next_free_sgpr 1
		.amdhsa_reserve_vcc 0
		.amdhsa_float_round_mode_32 0
		.amdhsa_float_round_mode_16_64 0
		.amdhsa_float_denorm_mode_32 3
		.amdhsa_float_denorm_mode_16_64 3
		.amdhsa_dx10_clamp 1
		.amdhsa_ieee_mode 1
		.amdhsa_fp16_overflow 0
		.amdhsa_workgroup_processor_mode 1
		.amdhsa_memory_ordered 1
		.amdhsa_forward_progress 0
		.amdhsa_shared_vgpr_count 0
		.amdhsa_exception_fp_ieee_invalid_op 0
		.amdhsa_exception_fp_denorm_src 0
		.amdhsa_exception_fp_ieee_div_zero 0
		.amdhsa_exception_fp_ieee_overflow 0
		.amdhsa_exception_fp_ieee_underflow 0
		.amdhsa_exception_fp_ieee_inexact 0
		.amdhsa_exception_int_div_zero 0
	.end_amdhsa_kernel
	.section	.text._ZN7rocprim17ROCPRIM_400000_NS6detail17trampoline_kernelINS0_14default_configENS1_38merge_sort_block_merge_config_selectorIlNS0_10empty_typeEEEZZNS1_27merge_sort_block_merge_implIS3_PlPS5_mZN2at6native12_GLOBAL__N_124unique_dim_cuda_templateIN3c104HalfEEESt5tupleIJNSA_6TensorESH_SH_EERKSH_lbbbEUlllE_EE10hipError_tT0_T1_T2_jT3_P12ihipStream_tbPNSt15iterator_traitsISN_E10value_typeEPNST_ISO_E10value_typeEPSP_NS1_7vsmem_tEENKUlT_SN_SO_SP_E_clIS8_S8_S9_S9_EESM_S12_SN_SO_SP_EUlS12_E0_NS1_11comp_targetILNS1_3genE3ELNS1_11target_archE908ELNS1_3gpuE7ELNS1_3repE0EEENS1_38merge_mergepath_config_static_selectorELNS0_4arch9wavefront6targetE0EEEvSO_,"axG",@progbits,_ZN7rocprim17ROCPRIM_400000_NS6detail17trampoline_kernelINS0_14default_configENS1_38merge_sort_block_merge_config_selectorIlNS0_10empty_typeEEEZZNS1_27merge_sort_block_merge_implIS3_PlPS5_mZN2at6native12_GLOBAL__N_124unique_dim_cuda_templateIN3c104HalfEEESt5tupleIJNSA_6TensorESH_SH_EERKSH_lbbbEUlllE_EE10hipError_tT0_T1_T2_jT3_P12ihipStream_tbPNSt15iterator_traitsISN_E10value_typeEPNST_ISO_E10value_typeEPSP_NS1_7vsmem_tEENKUlT_SN_SO_SP_E_clIS8_S8_S9_S9_EESM_S12_SN_SO_SP_EUlS12_E0_NS1_11comp_targetILNS1_3genE3ELNS1_11target_archE908ELNS1_3gpuE7ELNS1_3repE0EEENS1_38merge_mergepath_config_static_selectorELNS0_4arch9wavefront6targetE0EEEvSO_,comdat
.Lfunc_end1258:
	.size	_ZN7rocprim17ROCPRIM_400000_NS6detail17trampoline_kernelINS0_14default_configENS1_38merge_sort_block_merge_config_selectorIlNS0_10empty_typeEEEZZNS1_27merge_sort_block_merge_implIS3_PlPS5_mZN2at6native12_GLOBAL__N_124unique_dim_cuda_templateIN3c104HalfEEESt5tupleIJNSA_6TensorESH_SH_EERKSH_lbbbEUlllE_EE10hipError_tT0_T1_T2_jT3_P12ihipStream_tbPNSt15iterator_traitsISN_E10value_typeEPNST_ISO_E10value_typeEPSP_NS1_7vsmem_tEENKUlT_SN_SO_SP_E_clIS8_S8_S9_S9_EESM_S12_SN_SO_SP_EUlS12_E0_NS1_11comp_targetILNS1_3genE3ELNS1_11target_archE908ELNS1_3gpuE7ELNS1_3repE0EEENS1_38merge_mergepath_config_static_selectorELNS0_4arch9wavefront6targetE0EEEvSO_, .Lfunc_end1258-_ZN7rocprim17ROCPRIM_400000_NS6detail17trampoline_kernelINS0_14default_configENS1_38merge_sort_block_merge_config_selectorIlNS0_10empty_typeEEEZZNS1_27merge_sort_block_merge_implIS3_PlPS5_mZN2at6native12_GLOBAL__N_124unique_dim_cuda_templateIN3c104HalfEEESt5tupleIJNSA_6TensorESH_SH_EERKSH_lbbbEUlllE_EE10hipError_tT0_T1_T2_jT3_P12ihipStream_tbPNSt15iterator_traitsISN_E10value_typeEPNST_ISO_E10value_typeEPSP_NS1_7vsmem_tEENKUlT_SN_SO_SP_E_clIS8_S8_S9_S9_EESM_S12_SN_SO_SP_EUlS12_E0_NS1_11comp_targetILNS1_3genE3ELNS1_11target_archE908ELNS1_3gpuE7ELNS1_3repE0EEENS1_38merge_mergepath_config_static_selectorELNS0_4arch9wavefront6targetE0EEEvSO_
                                        ; -- End function
	.section	.AMDGPU.csdata,"",@progbits
; Kernel info:
; codeLenInByte = 0
; NumSgprs: 0
; NumVgprs: 0
; ScratchSize: 0
; MemoryBound: 0
; FloatMode: 240
; IeeeMode: 1
; LDSByteSize: 0 bytes/workgroup (compile time only)
; SGPRBlocks: 0
; VGPRBlocks: 0
; NumSGPRsForWavesPerEU: 1
; NumVGPRsForWavesPerEU: 1
; Occupancy: 16
; WaveLimiterHint : 0
; COMPUTE_PGM_RSRC2:SCRATCH_EN: 0
; COMPUTE_PGM_RSRC2:USER_SGPR: 15
; COMPUTE_PGM_RSRC2:TRAP_HANDLER: 0
; COMPUTE_PGM_RSRC2:TGID_X_EN: 1
; COMPUTE_PGM_RSRC2:TGID_Y_EN: 0
; COMPUTE_PGM_RSRC2:TGID_Z_EN: 0
; COMPUTE_PGM_RSRC2:TIDIG_COMP_CNT: 0
	.section	.text._ZN7rocprim17ROCPRIM_400000_NS6detail17trampoline_kernelINS0_14default_configENS1_38merge_sort_block_merge_config_selectorIlNS0_10empty_typeEEEZZNS1_27merge_sort_block_merge_implIS3_PlPS5_mZN2at6native12_GLOBAL__N_124unique_dim_cuda_templateIN3c104HalfEEESt5tupleIJNSA_6TensorESH_SH_EERKSH_lbbbEUlllE_EE10hipError_tT0_T1_T2_jT3_P12ihipStream_tbPNSt15iterator_traitsISN_E10value_typeEPNST_ISO_E10value_typeEPSP_NS1_7vsmem_tEENKUlT_SN_SO_SP_E_clIS8_S8_S9_S9_EESM_S12_SN_SO_SP_EUlS12_E0_NS1_11comp_targetILNS1_3genE2ELNS1_11target_archE906ELNS1_3gpuE6ELNS1_3repE0EEENS1_38merge_mergepath_config_static_selectorELNS0_4arch9wavefront6targetE0EEEvSO_,"axG",@progbits,_ZN7rocprim17ROCPRIM_400000_NS6detail17trampoline_kernelINS0_14default_configENS1_38merge_sort_block_merge_config_selectorIlNS0_10empty_typeEEEZZNS1_27merge_sort_block_merge_implIS3_PlPS5_mZN2at6native12_GLOBAL__N_124unique_dim_cuda_templateIN3c104HalfEEESt5tupleIJNSA_6TensorESH_SH_EERKSH_lbbbEUlllE_EE10hipError_tT0_T1_T2_jT3_P12ihipStream_tbPNSt15iterator_traitsISN_E10value_typeEPNST_ISO_E10value_typeEPSP_NS1_7vsmem_tEENKUlT_SN_SO_SP_E_clIS8_S8_S9_S9_EESM_S12_SN_SO_SP_EUlS12_E0_NS1_11comp_targetILNS1_3genE2ELNS1_11target_archE906ELNS1_3gpuE6ELNS1_3repE0EEENS1_38merge_mergepath_config_static_selectorELNS0_4arch9wavefront6targetE0EEEvSO_,comdat
	.globl	_ZN7rocprim17ROCPRIM_400000_NS6detail17trampoline_kernelINS0_14default_configENS1_38merge_sort_block_merge_config_selectorIlNS0_10empty_typeEEEZZNS1_27merge_sort_block_merge_implIS3_PlPS5_mZN2at6native12_GLOBAL__N_124unique_dim_cuda_templateIN3c104HalfEEESt5tupleIJNSA_6TensorESH_SH_EERKSH_lbbbEUlllE_EE10hipError_tT0_T1_T2_jT3_P12ihipStream_tbPNSt15iterator_traitsISN_E10value_typeEPNST_ISO_E10value_typeEPSP_NS1_7vsmem_tEENKUlT_SN_SO_SP_E_clIS8_S8_S9_S9_EESM_S12_SN_SO_SP_EUlS12_E0_NS1_11comp_targetILNS1_3genE2ELNS1_11target_archE906ELNS1_3gpuE6ELNS1_3repE0EEENS1_38merge_mergepath_config_static_selectorELNS0_4arch9wavefront6targetE0EEEvSO_ ; -- Begin function _ZN7rocprim17ROCPRIM_400000_NS6detail17trampoline_kernelINS0_14default_configENS1_38merge_sort_block_merge_config_selectorIlNS0_10empty_typeEEEZZNS1_27merge_sort_block_merge_implIS3_PlPS5_mZN2at6native12_GLOBAL__N_124unique_dim_cuda_templateIN3c104HalfEEESt5tupleIJNSA_6TensorESH_SH_EERKSH_lbbbEUlllE_EE10hipError_tT0_T1_T2_jT3_P12ihipStream_tbPNSt15iterator_traitsISN_E10value_typeEPNST_ISO_E10value_typeEPSP_NS1_7vsmem_tEENKUlT_SN_SO_SP_E_clIS8_S8_S9_S9_EESM_S12_SN_SO_SP_EUlS12_E0_NS1_11comp_targetILNS1_3genE2ELNS1_11target_archE906ELNS1_3gpuE6ELNS1_3repE0EEENS1_38merge_mergepath_config_static_selectorELNS0_4arch9wavefront6targetE0EEEvSO_
	.p2align	8
	.type	_ZN7rocprim17ROCPRIM_400000_NS6detail17trampoline_kernelINS0_14default_configENS1_38merge_sort_block_merge_config_selectorIlNS0_10empty_typeEEEZZNS1_27merge_sort_block_merge_implIS3_PlPS5_mZN2at6native12_GLOBAL__N_124unique_dim_cuda_templateIN3c104HalfEEESt5tupleIJNSA_6TensorESH_SH_EERKSH_lbbbEUlllE_EE10hipError_tT0_T1_T2_jT3_P12ihipStream_tbPNSt15iterator_traitsISN_E10value_typeEPNST_ISO_E10value_typeEPSP_NS1_7vsmem_tEENKUlT_SN_SO_SP_E_clIS8_S8_S9_S9_EESM_S12_SN_SO_SP_EUlS12_E0_NS1_11comp_targetILNS1_3genE2ELNS1_11target_archE906ELNS1_3gpuE6ELNS1_3repE0EEENS1_38merge_mergepath_config_static_selectorELNS0_4arch9wavefront6targetE0EEEvSO_,@function
_ZN7rocprim17ROCPRIM_400000_NS6detail17trampoline_kernelINS0_14default_configENS1_38merge_sort_block_merge_config_selectorIlNS0_10empty_typeEEEZZNS1_27merge_sort_block_merge_implIS3_PlPS5_mZN2at6native12_GLOBAL__N_124unique_dim_cuda_templateIN3c104HalfEEESt5tupleIJNSA_6TensorESH_SH_EERKSH_lbbbEUlllE_EE10hipError_tT0_T1_T2_jT3_P12ihipStream_tbPNSt15iterator_traitsISN_E10value_typeEPNST_ISO_E10value_typeEPSP_NS1_7vsmem_tEENKUlT_SN_SO_SP_E_clIS8_S8_S9_S9_EESM_S12_SN_SO_SP_EUlS12_E0_NS1_11comp_targetILNS1_3genE2ELNS1_11target_archE906ELNS1_3gpuE6ELNS1_3repE0EEENS1_38merge_mergepath_config_static_selectorELNS0_4arch9wavefront6targetE0EEEvSO_: ; @_ZN7rocprim17ROCPRIM_400000_NS6detail17trampoline_kernelINS0_14default_configENS1_38merge_sort_block_merge_config_selectorIlNS0_10empty_typeEEEZZNS1_27merge_sort_block_merge_implIS3_PlPS5_mZN2at6native12_GLOBAL__N_124unique_dim_cuda_templateIN3c104HalfEEESt5tupleIJNSA_6TensorESH_SH_EERKSH_lbbbEUlllE_EE10hipError_tT0_T1_T2_jT3_P12ihipStream_tbPNSt15iterator_traitsISN_E10value_typeEPNST_ISO_E10value_typeEPSP_NS1_7vsmem_tEENKUlT_SN_SO_SP_E_clIS8_S8_S9_S9_EESM_S12_SN_SO_SP_EUlS12_E0_NS1_11comp_targetILNS1_3genE2ELNS1_11target_archE906ELNS1_3gpuE6ELNS1_3repE0EEENS1_38merge_mergepath_config_static_selectorELNS0_4arch9wavefront6targetE0EEEvSO_
; %bb.0:
	.section	.rodata,"a",@progbits
	.p2align	6, 0x0
	.amdhsa_kernel _ZN7rocprim17ROCPRIM_400000_NS6detail17trampoline_kernelINS0_14default_configENS1_38merge_sort_block_merge_config_selectorIlNS0_10empty_typeEEEZZNS1_27merge_sort_block_merge_implIS3_PlPS5_mZN2at6native12_GLOBAL__N_124unique_dim_cuda_templateIN3c104HalfEEESt5tupleIJNSA_6TensorESH_SH_EERKSH_lbbbEUlllE_EE10hipError_tT0_T1_T2_jT3_P12ihipStream_tbPNSt15iterator_traitsISN_E10value_typeEPNST_ISO_E10value_typeEPSP_NS1_7vsmem_tEENKUlT_SN_SO_SP_E_clIS8_S8_S9_S9_EESM_S12_SN_SO_SP_EUlS12_E0_NS1_11comp_targetILNS1_3genE2ELNS1_11target_archE906ELNS1_3gpuE6ELNS1_3repE0EEENS1_38merge_mergepath_config_static_selectorELNS0_4arch9wavefront6targetE0EEEvSO_
		.amdhsa_group_segment_fixed_size 0
		.amdhsa_private_segment_fixed_size 0
		.amdhsa_kernarg_size 88
		.amdhsa_user_sgpr_count 15
		.amdhsa_user_sgpr_dispatch_ptr 0
		.amdhsa_user_sgpr_queue_ptr 0
		.amdhsa_user_sgpr_kernarg_segment_ptr 1
		.amdhsa_user_sgpr_dispatch_id 0
		.amdhsa_user_sgpr_private_segment_size 0
		.amdhsa_wavefront_size32 1
		.amdhsa_uses_dynamic_stack 0
		.amdhsa_enable_private_segment 0
		.amdhsa_system_sgpr_workgroup_id_x 1
		.amdhsa_system_sgpr_workgroup_id_y 0
		.amdhsa_system_sgpr_workgroup_id_z 0
		.amdhsa_system_sgpr_workgroup_info 0
		.amdhsa_system_vgpr_workitem_id 0
		.amdhsa_next_free_vgpr 1
		.amdhsa_next_free_sgpr 1
		.amdhsa_reserve_vcc 0
		.amdhsa_float_round_mode_32 0
		.amdhsa_float_round_mode_16_64 0
		.amdhsa_float_denorm_mode_32 3
		.amdhsa_float_denorm_mode_16_64 3
		.amdhsa_dx10_clamp 1
		.amdhsa_ieee_mode 1
		.amdhsa_fp16_overflow 0
		.amdhsa_workgroup_processor_mode 1
		.amdhsa_memory_ordered 1
		.amdhsa_forward_progress 0
		.amdhsa_shared_vgpr_count 0
		.amdhsa_exception_fp_ieee_invalid_op 0
		.amdhsa_exception_fp_denorm_src 0
		.amdhsa_exception_fp_ieee_div_zero 0
		.amdhsa_exception_fp_ieee_overflow 0
		.amdhsa_exception_fp_ieee_underflow 0
		.amdhsa_exception_fp_ieee_inexact 0
		.amdhsa_exception_int_div_zero 0
	.end_amdhsa_kernel
	.section	.text._ZN7rocprim17ROCPRIM_400000_NS6detail17trampoline_kernelINS0_14default_configENS1_38merge_sort_block_merge_config_selectorIlNS0_10empty_typeEEEZZNS1_27merge_sort_block_merge_implIS3_PlPS5_mZN2at6native12_GLOBAL__N_124unique_dim_cuda_templateIN3c104HalfEEESt5tupleIJNSA_6TensorESH_SH_EERKSH_lbbbEUlllE_EE10hipError_tT0_T1_T2_jT3_P12ihipStream_tbPNSt15iterator_traitsISN_E10value_typeEPNST_ISO_E10value_typeEPSP_NS1_7vsmem_tEENKUlT_SN_SO_SP_E_clIS8_S8_S9_S9_EESM_S12_SN_SO_SP_EUlS12_E0_NS1_11comp_targetILNS1_3genE2ELNS1_11target_archE906ELNS1_3gpuE6ELNS1_3repE0EEENS1_38merge_mergepath_config_static_selectorELNS0_4arch9wavefront6targetE0EEEvSO_,"axG",@progbits,_ZN7rocprim17ROCPRIM_400000_NS6detail17trampoline_kernelINS0_14default_configENS1_38merge_sort_block_merge_config_selectorIlNS0_10empty_typeEEEZZNS1_27merge_sort_block_merge_implIS3_PlPS5_mZN2at6native12_GLOBAL__N_124unique_dim_cuda_templateIN3c104HalfEEESt5tupleIJNSA_6TensorESH_SH_EERKSH_lbbbEUlllE_EE10hipError_tT0_T1_T2_jT3_P12ihipStream_tbPNSt15iterator_traitsISN_E10value_typeEPNST_ISO_E10value_typeEPSP_NS1_7vsmem_tEENKUlT_SN_SO_SP_E_clIS8_S8_S9_S9_EESM_S12_SN_SO_SP_EUlS12_E0_NS1_11comp_targetILNS1_3genE2ELNS1_11target_archE906ELNS1_3gpuE6ELNS1_3repE0EEENS1_38merge_mergepath_config_static_selectorELNS0_4arch9wavefront6targetE0EEEvSO_,comdat
.Lfunc_end1259:
	.size	_ZN7rocprim17ROCPRIM_400000_NS6detail17trampoline_kernelINS0_14default_configENS1_38merge_sort_block_merge_config_selectorIlNS0_10empty_typeEEEZZNS1_27merge_sort_block_merge_implIS3_PlPS5_mZN2at6native12_GLOBAL__N_124unique_dim_cuda_templateIN3c104HalfEEESt5tupleIJNSA_6TensorESH_SH_EERKSH_lbbbEUlllE_EE10hipError_tT0_T1_T2_jT3_P12ihipStream_tbPNSt15iterator_traitsISN_E10value_typeEPNST_ISO_E10value_typeEPSP_NS1_7vsmem_tEENKUlT_SN_SO_SP_E_clIS8_S8_S9_S9_EESM_S12_SN_SO_SP_EUlS12_E0_NS1_11comp_targetILNS1_3genE2ELNS1_11target_archE906ELNS1_3gpuE6ELNS1_3repE0EEENS1_38merge_mergepath_config_static_selectorELNS0_4arch9wavefront6targetE0EEEvSO_, .Lfunc_end1259-_ZN7rocprim17ROCPRIM_400000_NS6detail17trampoline_kernelINS0_14default_configENS1_38merge_sort_block_merge_config_selectorIlNS0_10empty_typeEEEZZNS1_27merge_sort_block_merge_implIS3_PlPS5_mZN2at6native12_GLOBAL__N_124unique_dim_cuda_templateIN3c104HalfEEESt5tupleIJNSA_6TensorESH_SH_EERKSH_lbbbEUlllE_EE10hipError_tT0_T1_T2_jT3_P12ihipStream_tbPNSt15iterator_traitsISN_E10value_typeEPNST_ISO_E10value_typeEPSP_NS1_7vsmem_tEENKUlT_SN_SO_SP_E_clIS8_S8_S9_S9_EESM_S12_SN_SO_SP_EUlS12_E0_NS1_11comp_targetILNS1_3genE2ELNS1_11target_archE906ELNS1_3gpuE6ELNS1_3repE0EEENS1_38merge_mergepath_config_static_selectorELNS0_4arch9wavefront6targetE0EEEvSO_
                                        ; -- End function
	.section	.AMDGPU.csdata,"",@progbits
; Kernel info:
; codeLenInByte = 0
; NumSgprs: 0
; NumVgprs: 0
; ScratchSize: 0
; MemoryBound: 0
; FloatMode: 240
; IeeeMode: 1
; LDSByteSize: 0 bytes/workgroup (compile time only)
; SGPRBlocks: 0
; VGPRBlocks: 0
; NumSGPRsForWavesPerEU: 1
; NumVGPRsForWavesPerEU: 1
; Occupancy: 16
; WaveLimiterHint : 0
; COMPUTE_PGM_RSRC2:SCRATCH_EN: 0
; COMPUTE_PGM_RSRC2:USER_SGPR: 15
; COMPUTE_PGM_RSRC2:TRAP_HANDLER: 0
; COMPUTE_PGM_RSRC2:TGID_X_EN: 1
; COMPUTE_PGM_RSRC2:TGID_Y_EN: 0
; COMPUTE_PGM_RSRC2:TGID_Z_EN: 0
; COMPUTE_PGM_RSRC2:TIDIG_COMP_CNT: 0
	.section	.text._ZN7rocprim17ROCPRIM_400000_NS6detail17trampoline_kernelINS0_14default_configENS1_38merge_sort_block_merge_config_selectorIlNS0_10empty_typeEEEZZNS1_27merge_sort_block_merge_implIS3_PlPS5_mZN2at6native12_GLOBAL__N_124unique_dim_cuda_templateIN3c104HalfEEESt5tupleIJNSA_6TensorESH_SH_EERKSH_lbbbEUlllE_EE10hipError_tT0_T1_T2_jT3_P12ihipStream_tbPNSt15iterator_traitsISN_E10value_typeEPNST_ISO_E10value_typeEPSP_NS1_7vsmem_tEENKUlT_SN_SO_SP_E_clIS8_S8_S9_S9_EESM_S12_SN_SO_SP_EUlS12_E0_NS1_11comp_targetILNS1_3genE9ELNS1_11target_archE1100ELNS1_3gpuE3ELNS1_3repE0EEENS1_38merge_mergepath_config_static_selectorELNS0_4arch9wavefront6targetE0EEEvSO_,"axG",@progbits,_ZN7rocprim17ROCPRIM_400000_NS6detail17trampoline_kernelINS0_14default_configENS1_38merge_sort_block_merge_config_selectorIlNS0_10empty_typeEEEZZNS1_27merge_sort_block_merge_implIS3_PlPS5_mZN2at6native12_GLOBAL__N_124unique_dim_cuda_templateIN3c104HalfEEESt5tupleIJNSA_6TensorESH_SH_EERKSH_lbbbEUlllE_EE10hipError_tT0_T1_T2_jT3_P12ihipStream_tbPNSt15iterator_traitsISN_E10value_typeEPNST_ISO_E10value_typeEPSP_NS1_7vsmem_tEENKUlT_SN_SO_SP_E_clIS8_S8_S9_S9_EESM_S12_SN_SO_SP_EUlS12_E0_NS1_11comp_targetILNS1_3genE9ELNS1_11target_archE1100ELNS1_3gpuE3ELNS1_3repE0EEENS1_38merge_mergepath_config_static_selectorELNS0_4arch9wavefront6targetE0EEEvSO_,comdat
	.globl	_ZN7rocprim17ROCPRIM_400000_NS6detail17trampoline_kernelINS0_14default_configENS1_38merge_sort_block_merge_config_selectorIlNS0_10empty_typeEEEZZNS1_27merge_sort_block_merge_implIS3_PlPS5_mZN2at6native12_GLOBAL__N_124unique_dim_cuda_templateIN3c104HalfEEESt5tupleIJNSA_6TensorESH_SH_EERKSH_lbbbEUlllE_EE10hipError_tT0_T1_T2_jT3_P12ihipStream_tbPNSt15iterator_traitsISN_E10value_typeEPNST_ISO_E10value_typeEPSP_NS1_7vsmem_tEENKUlT_SN_SO_SP_E_clIS8_S8_S9_S9_EESM_S12_SN_SO_SP_EUlS12_E0_NS1_11comp_targetILNS1_3genE9ELNS1_11target_archE1100ELNS1_3gpuE3ELNS1_3repE0EEENS1_38merge_mergepath_config_static_selectorELNS0_4arch9wavefront6targetE0EEEvSO_ ; -- Begin function _ZN7rocprim17ROCPRIM_400000_NS6detail17trampoline_kernelINS0_14default_configENS1_38merge_sort_block_merge_config_selectorIlNS0_10empty_typeEEEZZNS1_27merge_sort_block_merge_implIS3_PlPS5_mZN2at6native12_GLOBAL__N_124unique_dim_cuda_templateIN3c104HalfEEESt5tupleIJNSA_6TensorESH_SH_EERKSH_lbbbEUlllE_EE10hipError_tT0_T1_T2_jT3_P12ihipStream_tbPNSt15iterator_traitsISN_E10value_typeEPNST_ISO_E10value_typeEPSP_NS1_7vsmem_tEENKUlT_SN_SO_SP_E_clIS8_S8_S9_S9_EESM_S12_SN_SO_SP_EUlS12_E0_NS1_11comp_targetILNS1_3genE9ELNS1_11target_archE1100ELNS1_3gpuE3ELNS1_3repE0EEENS1_38merge_mergepath_config_static_selectorELNS0_4arch9wavefront6targetE0EEEvSO_
	.p2align	8
	.type	_ZN7rocprim17ROCPRIM_400000_NS6detail17trampoline_kernelINS0_14default_configENS1_38merge_sort_block_merge_config_selectorIlNS0_10empty_typeEEEZZNS1_27merge_sort_block_merge_implIS3_PlPS5_mZN2at6native12_GLOBAL__N_124unique_dim_cuda_templateIN3c104HalfEEESt5tupleIJNSA_6TensorESH_SH_EERKSH_lbbbEUlllE_EE10hipError_tT0_T1_T2_jT3_P12ihipStream_tbPNSt15iterator_traitsISN_E10value_typeEPNST_ISO_E10value_typeEPSP_NS1_7vsmem_tEENKUlT_SN_SO_SP_E_clIS8_S8_S9_S9_EESM_S12_SN_SO_SP_EUlS12_E0_NS1_11comp_targetILNS1_3genE9ELNS1_11target_archE1100ELNS1_3gpuE3ELNS1_3repE0EEENS1_38merge_mergepath_config_static_selectorELNS0_4arch9wavefront6targetE0EEEvSO_,@function
_ZN7rocprim17ROCPRIM_400000_NS6detail17trampoline_kernelINS0_14default_configENS1_38merge_sort_block_merge_config_selectorIlNS0_10empty_typeEEEZZNS1_27merge_sort_block_merge_implIS3_PlPS5_mZN2at6native12_GLOBAL__N_124unique_dim_cuda_templateIN3c104HalfEEESt5tupleIJNSA_6TensorESH_SH_EERKSH_lbbbEUlllE_EE10hipError_tT0_T1_T2_jT3_P12ihipStream_tbPNSt15iterator_traitsISN_E10value_typeEPNST_ISO_E10value_typeEPSP_NS1_7vsmem_tEENKUlT_SN_SO_SP_E_clIS8_S8_S9_S9_EESM_S12_SN_SO_SP_EUlS12_E0_NS1_11comp_targetILNS1_3genE9ELNS1_11target_archE1100ELNS1_3gpuE3ELNS1_3repE0EEENS1_38merge_mergepath_config_static_selectorELNS0_4arch9wavefront6targetE0EEEvSO_: ; @_ZN7rocprim17ROCPRIM_400000_NS6detail17trampoline_kernelINS0_14default_configENS1_38merge_sort_block_merge_config_selectorIlNS0_10empty_typeEEEZZNS1_27merge_sort_block_merge_implIS3_PlPS5_mZN2at6native12_GLOBAL__N_124unique_dim_cuda_templateIN3c104HalfEEESt5tupleIJNSA_6TensorESH_SH_EERKSH_lbbbEUlllE_EE10hipError_tT0_T1_T2_jT3_P12ihipStream_tbPNSt15iterator_traitsISN_E10value_typeEPNST_ISO_E10value_typeEPSP_NS1_7vsmem_tEENKUlT_SN_SO_SP_E_clIS8_S8_S9_S9_EESM_S12_SN_SO_SP_EUlS12_E0_NS1_11comp_targetILNS1_3genE9ELNS1_11target_archE1100ELNS1_3gpuE3ELNS1_3repE0EEENS1_38merge_mergepath_config_static_selectorELNS0_4arch9wavefront6targetE0EEEvSO_
; %bb.0:
	s_clause 0x1
	s_load_b64 s[24:25], s[0:1], 0x58
	s_load_b32 s3, s[0:1], 0x38
	s_add_u32 s22, s0, 0x58
	s_addc_u32 s23, s1, 0
	s_waitcnt lgkmcnt(0)
	s_mul_i32 s2, s25, s15
	s_delay_alu instid0(SALU_CYCLE_1) | instskip(NEXT) | instid1(SALU_CYCLE_1)
	s_add_i32 s2, s2, s14
	s_mul_i32 s2, s2, s24
	s_delay_alu instid0(SALU_CYCLE_1) | instskip(NEXT) | instid1(SALU_CYCLE_1)
	s_add_i32 s2, s2, s13
	s_cmp_ge_u32 s2, s3
	s_cbranch_scc1 .LBB1260_55
; %bb.1:
	s_clause 0x1
	s_load_b128 s[4:7], s[0:1], 0x28
	s_load_b64 s[8:9], s[0:1], 0x50
	s_mov_b32 s3, 0
	s_delay_alu instid0(SALU_CYCLE_1)
	s_lshl_b64 s[10:11], s[2:3], 3
	s_waitcnt lgkmcnt(0)
	v_alignbit_b32 v1, s7, s6, 9
	s_add_u32 s8, s8, s10
	s_addc_u32 s9, s9, s11
	s_lshl_b64 s[20:21], s[2:3], 10
	s_load_b128 s[16:19], s[8:9], 0x0
	v_readfirstlane_b32 s10, v1
	s_mov_b32 s9, s3
	s_delay_alu instid0(VALU_DEP_1) | instskip(NEXT) | instid1(SALU_CYCLE_1)
	s_and_b32 s8, s10, -2
	s_sub_i32 s33, 0, s8
	s_delay_alu instid0(SALU_CYCLE_1) | instskip(NEXT) | instid1(SALU_CYCLE_1)
	s_and_b32 s8, s2, s33
	s_lshl_b64 s[14:15], s[8:9], 10
	s_delay_alu instid0(SALU_CYCLE_1)
	s_sub_u32 s12, s20, s14
	s_subb_u32 s25, s21, s15
	s_lshl_b64 s[28:29], s[8:9], 11
	s_load_b128 s[8:11], s[0:1], 0x8
	s_add_u32 s27, s28, s6
	s_addc_u32 s28, s29, s7
	s_add_u32 s12, s27, s12
	s_addc_u32 s25, s28, s25
	s_waitcnt lgkmcnt(0)
	s_sub_u32 s26, s12, s18
	s_subb_u32 s19, s25, s19
	s_add_u32 s30, s26, 0x400
	s_addc_u32 s31, s19, 0
	s_delay_alu instid0(SALU_CYCLE_1) | instskip(NEXT) | instid1(VALU_DEP_1)
	v_cmp_lt_u64_e64 s19, s[4:5], s[30:31]
	s_and_b32 s19, s19, exec_lo
	s_cselect_b32 s26, s4, s30
	s_or_b32 s19, s2, s33
	s_delay_alu instid0(SALU_CYCLE_1)
	s_cmp_lg_u32 s19, -1
	s_mov_b32 s19, -1
	s_cbranch_scc1 .LBB1260_3
; %bb.2:
	s_sub_u32 s14, s27, s14
	s_subb_u32 s15, s28, s15
	s_delay_alu instid0(SALU_CYCLE_1) | instskip(NEXT) | instid1(VALU_DEP_1)
	v_cmp_lt_u64_e64 s18, s[4:5], s[14:15]
	s_and_b32 s18, s18, exec_lo
	s_cselect_b32 s18, s4, s14
	s_add_u32 s6, s14, s6
	s_addc_u32 s7, s15, s7
	s_delay_alu instid0(SALU_CYCLE_1) | instskip(NEXT) | instid1(VALU_DEP_1)
	v_cmp_lt_u64_e64 s7, s[4:5], s[6:7]
	s_and_b32 s7, s7, exec_lo
	s_cselect_b32 s26, s4, s6
.LBB1260_3:
	v_mov_b32_e32 v2, 0
	s_lshr_b64 s[28:29], s[4:5], 10
	v_lshlrev_b32_e32 v9, 3, v0
	s_cmp_lg_u64 s[28:29], s[2:3]
	s_cselect_b32 s6, -1, 0
	global_load_b32 v1, v2, s[22:23] offset:14
	s_sub_u32 s14, s12, s16
	s_subb_u32 s15, s25, s17
	s_delay_alu instid0(SALU_CYCLE_1) | instskip(NEXT) | instid1(VALU_DEP_1)
	v_cmp_lt_u64_e64 s7, s[4:5], s[14:15]
	s_and_b32 s7, s7, exec_lo
	s_cselect_b32 s30, s4, s14
	s_cselect_b32 s31, s5, s15
	s_lshl_b64 s[14:15], s[16:17], 3
	s_sub_i32 s5, s18, s16
	s_sub_i32 s16, s26, s30
	s_add_u32 s12, s8, s14
	s_addc_u32 s14, s9, s15
	s_lshl_b64 s[26:27], s[30:31], 3
	s_delay_alu instid0(SALU_CYCLE_1) | instskip(SKIP_3) | instid1(SALU_CYCLE_1)
	s_add_u32 s8, s8, s26
	s_addc_u32 s9, s9, s27
	s_cmp_lt_u32 s13, s24
	s_cselect_b32 s7, 12, 18
	s_add_u32 s22, s22, s7
	s_addc_u32 s23, s23, 0
	s_cmp_eq_u64 s[28:29], s[2:3]
	s_waitcnt vmcnt(0)
	v_lshrrev_b32_e32 v4, 16, v1
	v_and_b32_e32 v1, 0xffff, v1
	global_load_u16 v3, v2, s[22:23]
	v_mul_lo_u32 v1, v1, v4
	s_waitcnt vmcnt(0)
	s_delay_alu instid0(VALU_DEP_1)
	v_mul_lo_u32 v7, v1, v3
	s_cbranch_scc1 .LBB1260_5
; %bb.4:
	v_subrev_nc_u32_e32 v1, s5, v0
	v_add_co_u32 v8, s2, s12, v9
	s_delay_alu instid0(VALU_DEP_1) | instskip(NEXT) | instid1(VALU_DEP_3)
	v_add_co_ci_u32_e64 v10, null, s14, 0, s2
	v_lshlrev_b64 v[3:4], 3, v[1:2]
	v_add_nc_u32_e32 v1, v7, v0
	s_add_i32 s7, s5, s16
	s_delay_alu instid0(VALU_DEP_1) | instskip(NEXT) | instid1(VALU_DEP_3)
	v_lshlrev_b64 v[5:6], 3, v[1:2]
	v_add_co_u32 v3, s2, s8, v3
	s_delay_alu instid0(VALU_DEP_1) | instskip(SKIP_1) | instid1(VALU_DEP_4)
	v_add_co_ci_u32_e64 v4, s2, s9, v4, s2
	v_cmp_gt_u32_e64 s2, s5, v0
	v_add_co_u32 v5, vcc_lo, s12, v5
	v_add_co_ci_u32_e32 v6, vcc_lo, s14, v6, vcc_lo
	v_cmp_gt_u32_e32 vcc_lo, s5, v1
	v_subrev_nc_u32_e32 v1, s5, v1
	s_delay_alu instid0(VALU_DEP_1) | instskip(NEXT) | instid1(VALU_DEP_1)
	v_lshlrev_b64 v[1:2], 3, v[1:2]
	v_add_co_u32 v11, s3, s8, v1
	s_delay_alu instid0(VALU_DEP_1) | instskip(SKIP_2) | instid1(VALU_DEP_3)
	v_add_co_ci_u32_e64 v12, s3, s9, v2, s3
	v_cndmask_b32_e64 v2, v4, v10, s2
	v_cndmask_b32_e64 v1, v3, v8, s2
	v_dual_cndmask_b32 v3, v11, v5 :: v_dual_cndmask_b32 v4, v12, v6
	global_load_b64 v[1:2], v[1:2], off
	global_load_b64 v[5:6], v[3:4], off
	s_cbranch_execz .LBB1260_6
	s_branch .LBB1260_11
.LBB1260_5:
                                        ; implicit-def: $vgpr5_vgpr6
                                        ; implicit-def: $sgpr7
                                        ; implicit-def: $vgpr1_vgpr2_vgpr3_vgpr4
	s_and_not1_b32 vcc_lo, exec_lo, s19
	s_cbranch_vccnz .LBB1260_11
.LBB1260_6:
	s_add_i32 s7, s5, s16
	s_mov_b32 s2, exec_lo
                                        ; implicit-def: $vgpr1_vgpr2
	v_cmpx_gt_u32_e64 s7, v0
	s_cbranch_execz .LBB1260_8
; %bb.7:
	s_waitcnt vmcnt(1)
	v_subrev_nc_u32_e32 v1, s5, v0
	v_add_co_u32 v3, s3, s12, v9
	v_mov_b32_e32 v2, 0
	v_add_co_ci_u32_e64 v4, null, s14, 0, s3
	s_delay_alu instid0(VALU_DEP_2) | instskip(NEXT) | instid1(VALU_DEP_1)
	v_lshlrev_b64 v[1:2], 3, v[1:2]
	v_add_co_u32 v1, vcc_lo, s8, v1
	s_delay_alu instid0(VALU_DEP_2) | instskip(SKIP_1) | instid1(VALU_DEP_2)
	v_add_co_ci_u32_e32 v2, vcc_lo, s9, v2, vcc_lo
	v_cmp_gt_u32_e32 vcc_lo, s5, v0
	v_dual_cndmask_b32 v1, v1, v3 :: v_dual_cndmask_b32 v2, v2, v4
	global_load_b64 v[1:2], v[1:2], off
.LBB1260_8:
	s_or_b32 exec_lo, exec_lo, s2
	v_add_nc_u32_e32 v7, v7, v0
	s_mov_b32 s3, exec_lo
	s_delay_alu instid0(VALU_DEP_1)
	v_cmpx_gt_u32_e64 s7, v7
                                        ; implicit-def: $vgpr3_vgpr4_vgpr5_vgpr6
	s_cbranch_execz .LBB1260_10
; %bb.9:
	v_mov_b32_e32 v8, 0
	s_delay_alu instid0(VALU_DEP_1) | instskip(SKIP_1) | instid1(VALU_DEP_1)
	v_lshlrev_b64 v[3:4], 3, v[7:8]
	s_waitcnt vmcnt(0)
	v_add_co_u32 v5, vcc_lo, s12, v3
	s_delay_alu instid0(VALU_DEP_2) | instskip(SKIP_2) | instid1(VALU_DEP_1)
	v_add_co_ci_u32_e32 v6, vcc_lo, s14, v4, vcc_lo
	v_cmp_gt_u32_e32 vcc_lo, s5, v7
	v_subrev_nc_u32_e32 v7, s5, v7
	v_lshlrev_b64 v[3:4], 3, v[7:8]
	s_delay_alu instid0(VALU_DEP_1) | instskip(NEXT) | instid1(VALU_DEP_1)
	v_add_co_u32 v3, s2, s8, v3
	v_add_co_ci_u32_e64 v4, s2, s9, v4, s2
	s_delay_alu instid0(VALU_DEP_1)
	v_dual_cndmask_b32 v3, v3, v5 :: v_dual_cndmask_b32 v4, v4, v6
	global_load_b64 v[5:6], v[3:4], off
.LBB1260_10:
	s_or_b32 exec_lo, exec_lo, s3
.LBB1260_11:
	s_load_b128 s[12:15], s[0:1], 0x40
	v_lshlrev_b32_e32 v10, 1, v0
	s_mov_b32 s8, exec_lo
	s_waitcnt vmcnt(0)
	ds_store_2addr_stride64_b64 v9, v[1:2], v[5:6] offset1:8
	s_waitcnt lgkmcnt(0)
	s_barrier
	v_min_u32_e32 v12, s7, v10
	buffer_gl0_inv
	v_sub_nc_u32_e64 v11, v12, s16 clamp
	v_min_u32_e32 v13, s5, v12
	s_delay_alu instid0(VALU_DEP_1)
	v_cmpx_lt_u32_e64 v11, v13
	s_cbranch_execz .LBB1260_23
; %bb.12:
	v_lshlrev_b32_e32 v3, 3, v12
	v_cmp_gt_i64_e64 s9, s[12:13], 0
	s_lshl_b64 s[0:1], s[12:13], 1
	s_mov_b32 s16, 0
	s_delay_alu instid0(VALU_DEP_2)
	v_lshl_add_u32 v14, s5, 3, v3
	s_branch .LBB1260_15
.LBB1260_13:                            ;   in Loop: Header=BB1260_15 Depth=1
	s_set_inst_prefetch_distance 0x2
	s_or_b32 exec_lo, exec_lo, s18
.LBB1260_14:                            ;   in Loop: Header=BB1260_15 Depth=1
	s_delay_alu instid0(VALU_DEP_1) | instskip(SKIP_1) | instid1(VALU_DEP_2)
	v_add_nc_u32_e32 v3, 1, v15
	v_cndmask_b32_e64 v13, v13, v15, s17
	v_cndmask_b32_e64 v11, v3, v11, s17
	s_delay_alu instid0(VALU_DEP_1) | instskip(SKIP_1) | instid1(SALU_CYCLE_1)
	v_cmp_ge_u32_e32 vcc_lo, v11, v13
	s_or_b32 s16, vcc_lo, s16
	s_and_not1_b32 exec_lo, exec_lo, s16
	s_cbranch_execz .LBB1260_22
.LBB1260_15:                            ; =>This Loop Header: Depth=1
                                        ;     Child Loop BB1260_18 Depth 2
	v_add_nc_u32_e32 v3, v13, v11
	s_and_not1_b32 vcc_lo, exec_lo, s9
	s_mov_b32 s17, 0
	s_delay_alu instid0(VALU_DEP_1)
	v_lshrrev_b32_e32 v15, 1, v3
	s_cbranch_vccnz .LBB1260_14
; %bb.16:                               ;   in Loop: Header=BB1260_15 Depth=1
	s_delay_alu instid0(VALU_DEP_1) | instskip(SKIP_3) | instid1(VALU_DEP_2)
	v_not_b32_e32 v3, v15
	v_lshlrev_b32_e32 v4, 3, v15
	s_mov_b32 s18, 0
	s_mov_b64 s[2:3], s[12:13]
                                        ; implicit-def: $sgpr17
                                        ; implicit-def: $sgpr19
                                        ; implicit-def: $sgpr22
	v_lshl_add_u32 v3, v3, 3, v14
	ds_load_b64 v[7:8], v3
	ds_load_b64 v[16:17], v4
	s_waitcnt lgkmcnt(1)
	v_mul_lo_u32 v18, s0, v8
	v_mul_lo_u32 v19, s1, v7
	v_mad_u64_u32 v[3:4], null, s0, v7, s[14:15]
	s_waitcnt lgkmcnt(0)
	v_mul_lo_u32 v17, s0, v17
	v_mul_lo_u32 v20, s1, v16
	v_mad_u64_u32 v[7:8], null, s0, v16, s[14:15]
	s_delay_alu instid0(VALU_DEP_4) | instskip(NEXT) | instid1(VALU_DEP_2)
	v_add3_u32 v4, v19, v4, v18
	v_add3_u32 v8, v20, v8, v17
	s_set_inst_prefetch_distance 0x1
	s_branch .LBB1260_18
	.p2align	6
.LBB1260_17:                            ;   in Loop: Header=BB1260_18 Depth=2
	s_or_b32 exec_lo, exec_lo, s25
	s_delay_alu instid0(SALU_CYCLE_1) | instskip(NEXT) | instid1(SALU_CYCLE_1)
	s_and_b32 s23, exec_lo, s24
	s_or_b32 s18, s23, s18
	s_and_not1_b32 s17, s17, exec_lo
	s_and_b32 s23, s19, exec_lo
	s_delay_alu instid0(SALU_CYCLE_1)
	s_or_b32 s17, s17, s23
	s_and_not1_b32 exec_lo, exec_lo, s18
	s_cbranch_execz .LBB1260_13
.LBB1260_18:                            ;   Parent Loop BB1260_15 Depth=1
                                        ; =>  This Inner Loop Header: Depth=2
	global_load_u16 v16, v[3:4], off
	global_load_u16 v17, v[7:8], off
	s_mov_b32 s24, -1
	s_mov_b32 s26, 0
	s_mov_b32 s23, -1
	s_mov_b32 s25, exec_lo
	s_waitcnt vmcnt(0)
	v_cmpx_nlt_f16_e32 v16, v17
; %bb.19:                               ;   in Loop: Header=BB1260_18 Depth=2
	v_cmp_ngt_f16_e32 vcc_lo, v16, v17
	s_and_b32 s22, vcc_lo, s22
	s_and_b32 s26, vcc_lo, exec_lo
	s_or_not1_b32 s23, s22, exec_lo
; %bb.20:                               ;   in Loop: Header=BB1260_18 Depth=2
	s_or_b32 exec_lo, exec_lo, s25
	s_delay_alu instid0(SALU_CYCLE_1) | instskip(SKIP_1) | instid1(SALU_CYCLE_1)
	s_and_not1_b32 s19, s19, exec_lo
	s_and_b32 s22, s23, exec_lo
	s_or_b32 s19, s19, s22
                                        ; implicit-def: $sgpr22
	s_and_saveexec_b32 s25, s26
	s_cbranch_execz .LBB1260_17
; %bb.21:                               ;   in Loop: Header=BB1260_18 Depth=2
	v_add_co_u32 v3, vcc_lo, v3, 2
	s_add_u32 s2, s2, -1
	s_addc_u32 s3, s3, -1
	v_add_co_ci_u32_e32 v4, vcc_lo, 0, v4, vcc_lo
	v_add_co_u32 v7, vcc_lo, v7, 2
	s_cmp_eq_u64 s[2:3], 0
	v_add_co_ci_u32_e32 v8, vcc_lo, 0, v8, vcc_lo
	s_cselect_b32 s24, -1, 0
	s_and_not1_b32 s19, s19, exec_lo
	s_and_b32 s22, s23, exec_lo
	s_or_not1_b32 s24, s24, exec_lo
	s_branch .LBB1260_17
.LBB1260_22:
	s_or_b32 exec_lo, exec_lo, s16
.LBB1260_23:
	s_delay_alu instid0(SALU_CYCLE_1) | instskip(SKIP_2) | instid1(VALU_DEP_2)
	s_or_b32 exec_lo, exec_lo, s8
	v_sub_nc_u32_e32 v3, v12, v11
	v_cmp_ge_u32_e32 vcc_lo, s5, v11
	v_add_nc_u32_e32 v12, s5, v3
	s_delay_alu instid0(VALU_DEP_1) | instskip(NEXT) | instid1(VALU_DEP_1)
	v_cmp_ge_u32_e64 s0, s7, v12
	s_or_b32 s0, vcc_lo, s0
	s_delay_alu instid0(SALU_CYCLE_1)
	s_and_saveexec_b32 s2, s0
	s_cbranch_execz .LBB1260_47
; %bb.24:
	v_cmp_le_u32_e32 vcc_lo, s5, v11
	s_mov_b32 s1, exec_lo
                                        ; implicit-def: $vgpr1_vgpr2
	v_cmpx_gt_u32_e64 s5, v11
	s_cbranch_execz .LBB1260_26
; %bb.25:
	v_lshlrev_b32_e32 v1, 3, v11
	ds_load_b64 v[1:2], v1
.LBB1260_26:
	s_or_b32 exec_lo, exec_lo, s1
	v_cmp_le_u32_e64 s0, s7, v12
	s_mov_b32 s3, exec_lo
                                        ; implicit-def: $vgpr3_vgpr4
	v_cmpx_gt_u32_e64 s7, v12
	s_cbranch_execz .LBB1260_28
; %bb.27:
	v_lshlrev_b32_e32 v3, 3, v12
	ds_load_b64 v[3:4], v3
.LBB1260_28:
	s_or_b32 exec_lo, exec_lo, s3
	v_cmp_lt_i64_e64 s8, s[12:13], 1
	s_or_b32 s1, vcc_lo, s0
	s_xor_b32 s3, vcc_lo, -1
	s_delay_alu instid0(SALU_CYCLE_1) | instskip(NEXT) | instid1(VALU_DEP_1)
	s_or_b32 s3, s0, s3
	s_or_b32 s1, s1, s8
	s_delay_alu instid0(SALU_CYCLE_1) | instskip(NEXT) | instid1(SALU_CYCLE_1)
	s_xor_b32 s1, s1, -1
	s_and_saveexec_b32 s9, s1
	s_cbranch_execz .LBB1260_36
; %bb.29:
	s_waitcnt lgkmcnt(0)
	v_mul_lo_u32 v13, v4, s12
	v_mul_lo_u32 v14, v3, s13
	v_mad_u64_u32 v[5:6], null, v3, s12, 0
	v_mul_lo_u32 v15, v2, s12
	v_mul_lo_u32 v16, v1, s13
	v_mad_u64_u32 v[7:8], null, v1, s12, 0
	s_mov_b32 s16, 0
	s_mov_b64 s[0:1], s[12:13]
	s_delay_alu instid0(VALU_DEP_4) | instskip(NEXT) | instid1(VALU_DEP_2)
	v_add3_u32 v6, v6, v14, v13
                                        ; implicit-def: $sgpr17
                                        ; implicit-def: $sgpr18
                                        ; implicit-def: $sgpr19
	v_add3_u32 v8, v8, v16, v15
	s_delay_alu instid0(VALU_DEP_2) | instskip(NEXT) | instid1(VALU_DEP_2)
	v_lshlrev_b64 v[5:6], 1, v[5:6]
	v_lshlrev_b64 v[7:8], 1, v[7:8]
	s_delay_alu instid0(VALU_DEP_2) | instskip(NEXT) | instid1(VALU_DEP_3)
	v_add_co_u32 v5, vcc_lo, s14, v5
	v_add_co_ci_u32_e32 v6, vcc_lo, s15, v6, vcc_lo
	s_delay_alu instid0(VALU_DEP_3) | instskip(NEXT) | instid1(VALU_DEP_4)
	v_add_co_u32 v7, vcc_lo, s14, v7
	v_add_co_ci_u32_e32 v8, vcc_lo, s15, v8, vcc_lo
	s_set_inst_prefetch_distance 0x1
	s_branch .LBB1260_31
	.p2align	6
.LBB1260_30:                            ;   in Loop: Header=BB1260_31 Depth=1
	s_or_b32 exec_lo, exec_lo, s24
	s_delay_alu instid0(SALU_CYCLE_1) | instskip(NEXT) | instid1(SALU_CYCLE_1)
	s_and_b32 s22, exec_lo, s22
	s_or_b32 s16, s22, s16
	s_and_not1_b32 s17, s17, exec_lo
	s_and_b32 s22, s18, exec_lo
	s_delay_alu instid0(SALU_CYCLE_1)
	s_or_b32 s17, s17, s22
	s_and_not1_b32 exec_lo, exec_lo, s16
	s_cbranch_execz .LBB1260_35
.LBB1260_31:                            ; =>This Inner Loop Header: Depth=1
	global_load_u16 v13, v[5:6], off
	global_load_u16 v14, v[7:8], off
	s_mov_b32 s22, -1
	s_mov_b32 s25, 0
	s_mov_b32 s23, -1
	s_mov_b32 s24, exec_lo
	s_waitcnt vmcnt(0)
	v_cmpx_nlt_f16_e32 v13, v14
; %bb.32:                               ;   in Loop: Header=BB1260_31 Depth=1
	v_cmp_ngt_f16_e32 vcc_lo, v13, v14
	s_and_b32 s19, vcc_lo, s19
	s_and_b32 s25, vcc_lo, exec_lo
	s_or_not1_b32 s23, s19, exec_lo
; %bb.33:                               ;   in Loop: Header=BB1260_31 Depth=1
	s_or_b32 exec_lo, exec_lo, s24
	s_delay_alu instid0(SALU_CYCLE_1) | instskip(SKIP_1) | instid1(SALU_CYCLE_1)
	s_and_not1_b32 s18, s18, exec_lo
	s_and_b32 s19, s23, exec_lo
	s_or_b32 s18, s18, s19
                                        ; implicit-def: $sgpr19
	s_and_saveexec_b32 s24, s25
	s_cbranch_execz .LBB1260_30
; %bb.34:                               ;   in Loop: Header=BB1260_31 Depth=1
	v_add_co_u32 v5, vcc_lo, v5, 2
	s_add_u32 s0, s0, -1
	s_addc_u32 s1, s1, -1
	v_add_co_ci_u32_e32 v6, vcc_lo, 0, v6, vcc_lo
	v_add_co_u32 v7, vcc_lo, v7, 2
	s_cmp_eq_u64 s[0:1], 0
	v_add_co_ci_u32_e32 v8, vcc_lo, 0, v8, vcc_lo
	s_cselect_b32 s22, -1, 0
	s_and_b32 s19, s23, exec_lo
	s_and_not1_b32 s18, s18, exec_lo
	s_or_not1_b32 s22, s22, exec_lo
	s_branch .LBB1260_30
.LBB1260_35:
	s_set_inst_prefetch_distance 0x2
	s_or_b32 exec_lo, exec_lo, s16
	s_xor_b32 s0, s17, -1
	s_and_not1_b32 s1, s3, exec_lo
	s_and_b32 s0, s0, exec_lo
	s_delay_alu instid0(SALU_CYCLE_1)
	s_or_b32 s3, s1, s0
.LBB1260_36:
	s_or_b32 exec_lo, exec_lo, s9
	v_mov_b32_e32 v5, s5
	v_cndmask_b32_e64 v6, v12, v11, s3
	s_mov_b32 s1, -1
	s_mov_b32 s0, exec_lo
	s_delay_alu instid0(VALU_DEP_2) | instskip(NEXT) | instid1(VALU_DEP_2)
	v_cndmask_b32_e64 v7, s7, v5, s3
	v_add_nc_u32_e32 v5, 1, v6
	s_delay_alu instid0(VALU_DEP_2) | instskip(NEXT) | instid1(VALU_DEP_2)
	v_add_nc_u32_e32 v6, -1, v7
	v_cndmask_b32_e64 v8, v5, v12, s3
	s_delay_alu instid0(VALU_DEP_2) | instskip(NEXT) | instid1(VALU_DEP_1)
	v_min_u32_e32 v6, v5, v6
	v_lshlrev_b32_e32 v6, 3, v6
	ds_load_b64 v[6:7], v6
	s_waitcnt lgkmcnt(0)
	v_cndmask_b32_e64 v12, v7, v4, s3
	v_cndmask_b32_e64 v13, v6, v3, s3
	;; [unrolled: 1-line block ×4, first 2 shown]
	v_cmpx_gt_u32_e64 s7, v8
	s_cbranch_execz .LBB1260_46
; %bb.37:
	v_cndmask_b32_e64 v5, v11, v5, s3
	s_delay_alu instid0(VALU_DEP_1)
	v_cmp_gt_u32_e64 s1, s5, v5
	s_xor_b32 s5, s8, -1
	s_delay_alu instid0(VALU_DEP_1) | instid1(SALU_CYCLE_1)
	s_and_b32 s7, s1, s5
	s_delay_alu instid0(SALU_CYCLE_1)
	s_and_saveexec_b32 s5, s7
	s_cbranch_execz .LBB1260_45
; %bb.38:
	v_mul_lo_u32 v11, v12, s12
	v_mul_lo_u32 v16, v13, s13
	v_mad_u64_u32 v[5:6], null, v13, s12, 0
	v_mul_lo_u32 v17, v14, s12
	v_mul_lo_u32 v18, v15, s13
	v_mad_u64_u32 v[7:8], null, v15, s12, 0
	s_mov_b32 s7, 0
                                        ; implicit-def: $sgpr8
                                        ; implicit-def: $sgpr9
	s_delay_alu instid0(VALU_DEP_4) | instskip(NEXT) | instid1(VALU_DEP_2)
	v_add3_u32 v6, v6, v16, v11
	v_add3_u32 v8, v8, v18, v17
	s_delay_alu instid0(VALU_DEP_2) | instskip(NEXT) | instid1(VALU_DEP_2)
	v_lshlrev_b64 v[5:6], 1, v[5:6]
	v_lshlrev_b64 v[7:8], 1, v[7:8]
	s_delay_alu instid0(VALU_DEP_2) | instskip(NEXT) | instid1(VALU_DEP_3)
	v_add_co_u32 v5, vcc_lo, s14, v5
	v_add_co_ci_u32_e32 v6, vcc_lo, s15, v6, vcc_lo
	s_delay_alu instid0(VALU_DEP_3) | instskip(NEXT) | instid1(VALU_DEP_4)
	v_add_co_u32 v7, vcc_lo, s14, v7
	v_add_co_ci_u32_e32 v8, vcc_lo, s15, v8, vcc_lo
                                        ; implicit-def: $sgpr14
	s_set_inst_prefetch_distance 0x1
	s_branch .LBB1260_40
	.p2align	6
.LBB1260_39:                            ;   in Loop: Header=BB1260_40 Depth=1
	s_or_b32 exec_lo, exec_lo, s17
	s_delay_alu instid0(SALU_CYCLE_1) | instskip(NEXT) | instid1(SALU_CYCLE_1)
	s_and_b32 s15, exec_lo, s15
	s_or_b32 s7, s15, s7
	s_and_not1_b32 s8, s8, exec_lo
	s_and_b32 s15, s9, exec_lo
	s_delay_alu instid0(SALU_CYCLE_1)
	s_or_b32 s8, s8, s15
	s_and_not1_b32 exec_lo, exec_lo, s7
	s_cbranch_execz .LBB1260_44
.LBB1260_40:                            ; =>This Inner Loop Header: Depth=1
	global_load_u16 v11, v[5:6], off
	global_load_u16 v16, v[7:8], off
	s_mov_b32 s15, -1
	s_mov_b32 s18, 0
	s_mov_b32 s16, -1
	s_mov_b32 s17, exec_lo
	s_waitcnt vmcnt(0)
	v_cmpx_nlt_f16_e32 v11, v16
; %bb.41:                               ;   in Loop: Header=BB1260_40 Depth=1
	v_cmp_ngt_f16_e32 vcc_lo, v11, v16
	s_and_b32 s14, vcc_lo, s14
	s_and_b32 s18, vcc_lo, exec_lo
	s_or_not1_b32 s16, s14, exec_lo
; %bb.42:                               ;   in Loop: Header=BB1260_40 Depth=1
	s_or_b32 exec_lo, exec_lo, s17
	s_delay_alu instid0(SALU_CYCLE_1) | instskip(SKIP_1) | instid1(SALU_CYCLE_1)
	s_and_not1_b32 s9, s9, exec_lo
	s_and_b32 s14, s16, exec_lo
	s_or_b32 s9, s9, s14
                                        ; implicit-def: $sgpr14
	s_and_saveexec_b32 s17, s18
	s_cbranch_execz .LBB1260_39
; %bb.43:                               ;   in Loop: Header=BB1260_40 Depth=1
	v_add_co_u32 v5, vcc_lo, v5, 2
	s_add_u32 s12, s12, -1
	s_addc_u32 s13, s13, -1
	v_add_co_ci_u32_e32 v6, vcc_lo, 0, v6, vcc_lo
	v_add_co_u32 v7, vcc_lo, v7, 2
	s_cmp_eq_u64 s[12:13], 0
	v_add_co_ci_u32_e32 v8, vcc_lo, 0, v8, vcc_lo
	s_cselect_b32 s15, -1, 0
	s_and_b32 s14, s16, exec_lo
	s_and_not1_b32 s9, s9, exec_lo
	s_or_not1_b32 s15, s15, exec_lo
	s_branch .LBB1260_39
.LBB1260_44:
	s_set_inst_prefetch_distance 0x2
	s_or_b32 exec_lo, exec_lo, s7
	s_xor_b32 s7, s8, -1
	s_and_not1_b32 s1, s1, exec_lo
	s_and_b32 s7, s7, exec_lo
	s_delay_alu instid0(SALU_CYCLE_1)
	s_or_b32 s1, s1, s7
.LBB1260_45:
	s_or_b32 exec_lo, exec_lo, s5
	s_delay_alu instid0(SALU_CYCLE_1)
	s_or_not1_b32 s1, s1, exec_lo
.LBB1260_46:
	s_or_b32 exec_lo, exec_lo, s0
	v_cndmask_b32_e64 v2, v4, v2, s3
	v_cndmask_b32_e64 v1, v3, v1, s3
	;; [unrolled: 1-line block ×4, first 2 shown]
.LBB1260_47:
	s_or_b32 exec_lo, exec_lo, s2
	v_lshrrev_b32_e32 v3, 1, v0
	v_or_b32_e32 v7, 0x200, v0
	v_lshrrev_b32_e32 v4, 2, v0
	s_lshl_b64 s[0:1], s[20:21], 3
	s_delay_alu instid0(VALU_DEP_3) | instskip(NEXT) | instid1(VALU_DEP_3)
	v_and_b32_e32 v3, 0xf8, v3
	v_lshrrev_b32_e32 v8, 2, v7
	s_delay_alu instid0(VALU_DEP_3)
	v_and_b32_e32 v4, 0x78, v4
	s_add_u32 s0, s10, s0
	s_barrier
	v_lshl_add_u32 v3, v10, 3, v3
	v_and_b32_e32 v8, 0xf8, v8
	buffer_gl0_inv
	s_barrier
	buffer_gl0_inv
	s_addc_u32 s1, s11, s1
	ds_store_2addr_b64 v3, v[1:2], v[5:6] offset1:1
	v_add_co_u32 v1, s0, s0, v9
	v_add_nc_u32_e32 v5, v9, v4
	v_add_nc_u32_e32 v6, v9, v8
	v_add_co_ci_u32_e64 v2, null, s1, 0, s0
	s_and_b32 vcc_lo, exec_lo, s6
	s_mov_b32 s0, 0
	s_waitcnt lgkmcnt(0)
	s_cbranch_vccz .LBB1260_49
; %bb.48:
	s_barrier
	buffer_gl0_inv
	ds_load_b64 v[8:9], v5
	ds_load_b64 v[3:4], v6 offset:4096
	s_mov_b32 s0, -1
	s_waitcnt lgkmcnt(1)
	global_store_b64 v[1:2], v[8:9], off
	s_cbranch_execz .LBB1260_50
	s_branch .LBB1260_53
.LBB1260_49:
                                        ; implicit-def: $vgpr3_vgpr4
.LBB1260_50:
	s_waitcnt lgkmcnt(0)
	s_waitcnt_vscnt null, 0x0
	s_barrier
	buffer_gl0_inv
	ds_load_b64 v[3:4], v6 offset:4096
	s_sub_i32 s0, s4, s20
	s_mov_b32 s1, exec_lo
	v_cmpx_gt_u32_e64 s0, v0
	s_cbranch_execz .LBB1260_52
; %bb.51:
	ds_load_b64 v[5:6], v5
	s_waitcnt lgkmcnt(0)
	global_store_b64 v[1:2], v[5:6], off
.LBB1260_52:
	s_or_b32 exec_lo, exec_lo, s1
	v_cmp_gt_u32_e64 s0, s0, v7
.LBB1260_53:
	s_delay_alu instid0(VALU_DEP_1)
	s_and_saveexec_b32 s1, s0
	s_cbranch_execz .LBB1260_55
; %bb.54:
	v_add_co_u32 v0, vcc_lo, 0x1000, v1
	v_add_co_ci_u32_e32 v1, vcc_lo, 0, v2, vcc_lo
	s_waitcnt lgkmcnt(0)
	global_store_b64 v[0:1], v[3:4], off
.LBB1260_55:
	s_nop 0
	s_sendmsg sendmsg(MSG_DEALLOC_VGPRS)
	s_endpgm
	.section	.rodata,"a",@progbits
	.p2align	6, 0x0
	.amdhsa_kernel _ZN7rocprim17ROCPRIM_400000_NS6detail17trampoline_kernelINS0_14default_configENS1_38merge_sort_block_merge_config_selectorIlNS0_10empty_typeEEEZZNS1_27merge_sort_block_merge_implIS3_PlPS5_mZN2at6native12_GLOBAL__N_124unique_dim_cuda_templateIN3c104HalfEEESt5tupleIJNSA_6TensorESH_SH_EERKSH_lbbbEUlllE_EE10hipError_tT0_T1_T2_jT3_P12ihipStream_tbPNSt15iterator_traitsISN_E10value_typeEPNST_ISO_E10value_typeEPSP_NS1_7vsmem_tEENKUlT_SN_SO_SP_E_clIS8_S8_S9_S9_EESM_S12_SN_SO_SP_EUlS12_E0_NS1_11comp_targetILNS1_3genE9ELNS1_11target_archE1100ELNS1_3gpuE3ELNS1_3repE0EEENS1_38merge_mergepath_config_static_selectorELNS0_4arch9wavefront6targetE0EEEvSO_
		.amdhsa_group_segment_fixed_size 8448
		.amdhsa_private_segment_fixed_size 0
		.amdhsa_kernarg_size 344
		.amdhsa_user_sgpr_count 13
		.amdhsa_user_sgpr_dispatch_ptr 0
		.amdhsa_user_sgpr_queue_ptr 0
		.amdhsa_user_sgpr_kernarg_segment_ptr 1
		.amdhsa_user_sgpr_dispatch_id 0
		.amdhsa_user_sgpr_private_segment_size 0
		.amdhsa_wavefront_size32 1
		.amdhsa_uses_dynamic_stack 0
		.amdhsa_enable_private_segment 0
		.amdhsa_system_sgpr_workgroup_id_x 1
		.amdhsa_system_sgpr_workgroup_id_y 1
		.amdhsa_system_sgpr_workgroup_id_z 1
		.amdhsa_system_sgpr_workgroup_info 0
		.amdhsa_system_vgpr_workitem_id 0
		.amdhsa_next_free_vgpr 21
		.amdhsa_next_free_sgpr 34
		.amdhsa_reserve_vcc 1
		.amdhsa_float_round_mode_32 0
		.amdhsa_float_round_mode_16_64 0
		.amdhsa_float_denorm_mode_32 3
		.amdhsa_float_denorm_mode_16_64 3
		.amdhsa_dx10_clamp 1
		.amdhsa_ieee_mode 1
		.amdhsa_fp16_overflow 0
		.amdhsa_workgroup_processor_mode 1
		.amdhsa_memory_ordered 1
		.amdhsa_forward_progress 0
		.amdhsa_shared_vgpr_count 0
		.amdhsa_exception_fp_ieee_invalid_op 0
		.amdhsa_exception_fp_denorm_src 0
		.amdhsa_exception_fp_ieee_div_zero 0
		.amdhsa_exception_fp_ieee_overflow 0
		.amdhsa_exception_fp_ieee_underflow 0
		.amdhsa_exception_fp_ieee_inexact 0
		.amdhsa_exception_int_div_zero 0
	.end_amdhsa_kernel
	.section	.text._ZN7rocprim17ROCPRIM_400000_NS6detail17trampoline_kernelINS0_14default_configENS1_38merge_sort_block_merge_config_selectorIlNS0_10empty_typeEEEZZNS1_27merge_sort_block_merge_implIS3_PlPS5_mZN2at6native12_GLOBAL__N_124unique_dim_cuda_templateIN3c104HalfEEESt5tupleIJNSA_6TensorESH_SH_EERKSH_lbbbEUlllE_EE10hipError_tT0_T1_T2_jT3_P12ihipStream_tbPNSt15iterator_traitsISN_E10value_typeEPNST_ISO_E10value_typeEPSP_NS1_7vsmem_tEENKUlT_SN_SO_SP_E_clIS8_S8_S9_S9_EESM_S12_SN_SO_SP_EUlS12_E0_NS1_11comp_targetILNS1_3genE9ELNS1_11target_archE1100ELNS1_3gpuE3ELNS1_3repE0EEENS1_38merge_mergepath_config_static_selectorELNS0_4arch9wavefront6targetE0EEEvSO_,"axG",@progbits,_ZN7rocprim17ROCPRIM_400000_NS6detail17trampoline_kernelINS0_14default_configENS1_38merge_sort_block_merge_config_selectorIlNS0_10empty_typeEEEZZNS1_27merge_sort_block_merge_implIS3_PlPS5_mZN2at6native12_GLOBAL__N_124unique_dim_cuda_templateIN3c104HalfEEESt5tupleIJNSA_6TensorESH_SH_EERKSH_lbbbEUlllE_EE10hipError_tT0_T1_T2_jT3_P12ihipStream_tbPNSt15iterator_traitsISN_E10value_typeEPNST_ISO_E10value_typeEPSP_NS1_7vsmem_tEENKUlT_SN_SO_SP_E_clIS8_S8_S9_S9_EESM_S12_SN_SO_SP_EUlS12_E0_NS1_11comp_targetILNS1_3genE9ELNS1_11target_archE1100ELNS1_3gpuE3ELNS1_3repE0EEENS1_38merge_mergepath_config_static_selectorELNS0_4arch9wavefront6targetE0EEEvSO_,comdat
.Lfunc_end1260:
	.size	_ZN7rocprim17ROCPRIM_400000_NS6detail17trampoline_kernelINS0_14default_configENS1_38merge_sort_block_merge_config_selectorIlNS0_10empty_typeEEEZZNS1_27merge_sort_block_merge_implIS3_PlPS5_mZN2at6native12_GLOBAL__N_124unique_dim_cuda_templateIN3c104HalfEEESt5tupleIJNSA_6TensorESH_SH_EERKSH_lbbbEUlllE_EE10hipError_tT0_T1_T2_jT3_P12ihipStream_tbPNSt15iterator_traitsISN_E10value_typeEPNST_ISO_E10value_typeEPSP_NS1_7vsmem_tEENKUlT_SN_SO_SP_E_clIS8_S8_S9_S9_EESM_S12_SN_SO_SP_EUlS12_E0_NS1_11comp_targetILNS1_3genE9ELNS1_11target_archE1100ELNS1_3gpuE3ELNS1_3repE0EEENS1_38merge_mergepath_config_static_selectorELNS0_4arch9wavefront6targetE0EEEvSO_, .Lfunc_end1260-_ZN7rocprim17ROCPRIM_400000_NS6detail17trampoline_kernelINS0_14default_configENS1_38merge_sort_block_merge_config_selectorIlNS0_10empty_typeEEEZZNS1_27merge_sort_block_merge_implIS3_PlPS5_mZN2at6native12_GLOBAL__N_124unique_dim_cuda_templateIN3c104HalfEEESt5tupleIJNSA_6TensorESH_SH_EERKSH_lbbbEUlllE_EE10hipError_tT0_T1_T2_jT3_P12ihipStream_tbPNSt15iterator_traitsISN_E10value_typeEPNST_ISO_E10value_typeEPSP_NS1_7vsmem_tEENKUlT_SN_SO_SP_E_clIS8_S8_S9_S9_EESM_S12_SN_SO_SP_EUlS12_E0_NS1_11comp_targetILNS1_3genE9ELNS1_11target_archE1100ELNS1_3gpuE3ELNS1_3repE0EEENS1_38merge_mergepath_config_static_selectorELNS0_4arch9wavefront6targetE0EEEvSO_
                                        ; -- End function
	.section	.AMDGPU.csdata,"",@progbits
; Kernel info:
; codeLenInByte = 2804
; NumSgprs: 36
; NumVgprs: 21
; ScratchSize: 0
; MemoryBound: 0
; FloatMode: 240
; IeeeMode: 1
; LDSByteSize: 8448 bytes/workgroup (compile time only)
; SGPRBlocks: 4
; VGPRBlocks: 2
; NumSGPRsForWavesPerEU: 36
; NumVGPRsForWavesPerEU: 21
; Occupancy: 16
; WaveLimiterHint : 1
; COMPUTE_PGM_RSRC2:SCRATCH_EN: 0
; COMPUTE_PGM_RSRC2:USER_SGPR: 13
; COMPUTE_PGM_RSRC2:TRAP_HANDLER: 0
; COMPUTE_PGM_RSRC2:TGID_X_EN: 1
; COMPUTE_PGM_RSRC2:TGID_Y_EN: 1
; COMPUTE_PGM_RSRC2:TGID_Z_EN: 1
; COMPUTE_PGM_RSRC2:TIDIG_COMP_CNT: 0
	.section	.text._ZN7rocprim17ROCPRIM_400000_NS6detail17trampoline_kernelINS0_14default_configENS1_38merge_sort_block_merge_config_selectorIlNS0_10empty_typeEEEZZNS1_27merge_sort_block_merge_implIS3_PlPS5_mZN2at6native12_GLOBAL__N_124unique_dim_cuda_templateIN3c104HalfEEESt5tupleIJNSA_6TensorESH_SH_EERKSH_lbbbEUlllE_EE10hipError_tT0_T1_T2_jT3_P12ihipStream_tbPNSt15iterator_traitsISN_E10value_typeEPNST_ISO_E10value_typeEPSP_NS1_7vsmem_tEENKUlT_SN_SO_SP_E_clIS8_S8_S9_S9_EESM_S12_SN_SO_SP_EUlS12_E0_NS1_11comp_targetILNS1_3genE8ELNS1_11target_archE1030ELNS1_3gpuE2ELNS1_3repE0EEENS1_38merge_mergepath_config_static_selectorELNS0_4arch9wavefront6targetE0EEEvSO_,"axG",@progbits,_ZN7rocprim17ROCPRIM_400000_NS6detail17trampoline_kernelINS0_14default_configENS1_38merge_sort_block_merge_config_selectorIlNS0_10empty_typeEEEZZNS1_27merge_sort_block_merge_implIS3_PlPS5_mZN2at6native12_GLOBAL__N_124unique_dim_cuda_templateIN3c104HalfEEESt5tupleIJNSA_6TensorESH_SH_EERKSH_lbbbEUlllE_EE10hipError_tT0_T1_T2_jT3_P12ihipStream_tbPNSt15iterator_traitsISN_E10value_typeEPNST_ISO_E10value_typeEPSP_NS1_7vsmem_tEENKUlT_SN_SO_SP_E_clIS8_S8_S9_S9_EESM_S12_SN_SO_SP_EUlS12_E0_NS1_11comp_targetILNS1_3genE8ELNS1_11target_archE1030ELNS1_3gpuE2ELNS1_3repE0EEENS1_38merge_mergepath_config_static_selectorELNS0_4arch9wavefront6targetE0EEEvSO_,comdat
	.globl	_ZN7rocprim17ROCPRIM_400000_NS6detail17trampoline_kernelINS0_14default_configENS1_38merge_sort_block_merge_config_selectorIlNS0_10empty_typeEEEZZNS1_27merge_sort_block_merge_implIS3_PlPS5_mZN2at6native12_GLOBAL__N_124unique_dim_cuda_templateIN3c104HalfEEESt5tupleIJNSA_6TensorESH_SH_EERKSH_lbbbEUlllE_EE10hipError_tT0_T1_T2_jT3_P12ihipStream_tbPNSt15iterator_traitsISN_E10value_typeEPNST_ISO_E10value_typeEPSP_NS1_7vsmem_tEENKUlT_SN_SO_SP_E_clIS8_S8_S9_S9_EESM_S12_SN_SO_SP_EUlS12_E0_NS1_11comp_targetILNS1_3genE8ELNS1_11target_archE1030ELNS1_3gpuE2ELNS1_3repE0EEENS1_38merge_mergepath_config_static_selectorELNS0_4arch9wavefront6targetE0EEEvSO_ ; -- Begin function _ZN7rocprim17ROCPRIM_400000_NS6detail17trampoline_kernelINS0_14default_configENS1_38merge_sort_block_merge_config_selectorIlNS0_10empty_typeEEEZZNS1_27merge_sort_block_merge_implIS3_PlPS5_mZN2at6native12_GLOBAL__N_124unique_dim_cuda_templateIN3c104HalfEEESt5tupleIJNSA_6TensorESH_SH_EERKSH_lbbbEUlllE_EE10hipError_tT0_T1_T2_jT3_P12ihipStream_tbPNSt15iterator_traitsISN_E10value_typeEPNST_ISO_E10value_typeEPSP_NS1_7vsmem_tEENKUlT_SN_SO_SP_E_clIS8_S8_S9_S9_EESM_S12_SN_SO_SP_EUlS12_E0_NS1_11comp_targetILNS1_3genE8ELNS1_11target_archE1030ELNS1_3gpuE2ELNS1_3repE0EEENS1_38merge_mergepath_config_static_selectorELNS0_4arch9wavefront6targetE0EEEvSO_
	.p2align	8
	.type	_ZN7rocprim17ROCPRIM_400000_NS6detail17trampoline_kernelINS0_14default_configENS1_38merge_sort_block_merge_config_selectorIlNS0_10empty_typeEEEZZNS1_27merge_sort_block_merge_implIS3_PlPS5_mZN2at6native12_GLOBAL__N_124unique_dim_cuda_templateIN3c104HalfEEESt5tupleIJNSA_6TensorESH_SH_EERKSH_lbbbEUlllE_EE10hipError_tT0_T1_T2_jT3_P12ihipStream_tbPNSt15iterator_traitsISN_E10value_typeEPNST_ISO_E10value_typeEPSP_NS1_7vsmem_tEENKUlT_SN_SO_SP_E_clIS8_S8_S9_S9_EESM_S12_SN_SO_SP_EUlS12_E0_NS1_11comp_targetILNS1_3genE8ELNS1_11target_archE1030ELNS1_3gpuE2ELNS1_3repE0EEENS1_38merge_mergepath_config_static_selectorELNS0_4arch9wavefront6targetE0EEEvSO_,@function
_ZN7rocprim17ROCPRIM_400000_NS6detail17trampoline_kernelINS0_14default_configENS1_38merge_sort_block_merge_config_selectorIlNS0_10empty_typeEEEZZNS1_27merge_sort_block_merge_implIS3_PlPS5_mZN2at6native12_GLOBAL__N_124unique_dim_cuda_templateIN3c104HalfEEESt5tupleIJNSA_6TensorESH_SH_EERKSH_lbbbEUlllE_EE10hipError_tT0_T1_T2_jT3_P12ihipStream_tbPNSt15iterator_traitsISN_E10value_typeEPNST_ISO_E10value_typeEPSP_NS1_7vsmem_tEENKUlT_SN_SO_SP_E_clIS8_S8_S9_S9_EESM_S12_SN_SO_SP_EUlS12_E0_NS1_11comp_targetILNS1_3genE8ELNS1_11target_archE1030ELNS1_3gpuE2ELNS1_3repE0EEENS1_38merge_mergepath_config_static_selectorELNS0_4arch9wavefront6targetE0EEEvSO_: ; @_ZN7rocprim17ROCPRIM_400000_NS6detail17trampoline_kernelINS0_14default_configENS1_38merge_sort_block_merge_config_selectorIlNS0_10empty_typeEEEZZNS1_27merge_sort_block_merge_implIS3_PlPS5_mZN2at6native12_GLOBAL__N_124unique_dim_cuda_templateIN3c104HalfEEESt5tupleIJNSA_6TensorESH_SH_EERKSH_lbbbEUlllE_EE10hipError_tT0_T1_T2_jT3_P12ihipStream_tbPNSt15iterator_traitsISN_E10value_typeEPNST_ISO_E10value_typeEPSP_NS1_7vsmem_tEENKUlT_SN_SO_SP_E_clIS8_S8_S9_S9_EESM_S12_SN_SO_SP_EUlS12_E0_NS1_11comp_targetILNS1_3genE8ELNS1_11target_archE1030ELNS1_3gpuE2ELNS1_3repE0EEENS1_38merge_mergepath_config_static_selectorELNS0_4arch9wavefront6targetE0EEEvSO_
; %bb.0:
	.section	.rodata,"a",@progbits
	.p2align	6, 0x0
	.amdhsa_kernel _ZN7rocprim17ROCPRIM_400000_NS6detail17trampoline_kernelINS0_14default_configENS1_38merge_sort_block_merge_config_selectorIlNS0_10empty_typeEEEZZNS1_27merge_sort_block_merge_implIS3_PlPS5_mZN2at6native12_GLOBAL__N_124unique_dim_cuda_templateIN3c104HalfEEESt5tupleIJNSA_6TensorESH_SH_EERKSH_lbbbEUlllE_EE10hipError_tT0_T1_T2_jT3_P12ihipStream_tbPNSt15iterator_traitsISN_E10value_typeEPNST_ISO_E10value_typeEPSP_NS1_7vsmem_tEENKUlT_SN_SO_SP_E_clIS8_S8_S9_S9_EESM_S12_SN_SO_SP_EUlS12_E0_NS1_11comp_targetILNS1_3genE8ELNS1_11target_archE1030ELNS1_3gpuE2ELNS1_3repE0EEENS1_38merge_mergepath_config_static_selectorELNS0_4arch9wavefront6targetE0EEEvSO_
		.amdhsa_group_segment_fixed_size 0
		.amdhsa_private_segment_fixed_size 0
		.amdhsa_kernarg_size 88
		.amdhsa_user_sgpr_count 15
		.amdhsa_user_sgpr_dispatch_ptr 0
		.amdhsa_user_sgpr_queue_ptr 0
		.amdhsa_user_sgpr_kernarg_segment_ptr 1
		.amdhsa_user_sgpr_dispatch_id 0
		.amdhsa_user_sgpr_private_segment_size 0
		.amdhsa_wavefront_size32 1
		.amdhsa_uses_dynamic_stack 0
		.amdhsa_enable_private_segment 0
		.amdhsa_system_sgpr_workgroup_id_x 1
		.amdhsa_system_sgpr_workgroup_id_y 0
		.amdhsa_system_sgpr_workgroup_id_z 0
		.amdhsa_system_sgpr_workgroup_info 0
		.amdhsa_system_vgpr_workitem_id 0
		.amdhsa_next_free_vgpr 1
		.amdhsa_next_free_sgpr 1
		.amdhsa_reserve_vcc 0
		.amdhsa_float_round_mode_32 0
		.amdhsa_float_round_mode_16_64 0
		.amdhsa_float_denorm_mode_32 3
		.amdhsa_float_denorm_mode_16_64 3
		.amdhsa_dx10_clamp 1
		.amdhsa_ieee_mode 1
		.amdhsa_fp16_overflow 0
		.amdhsa_workgroup_processor_mode 1
		.amdhsa_memory_ordered 1
		.amdhsa_forward_progress 0
		.amdhsa_shared_vgpr_count 0
		.amdhsa_exception_fp_ieee_invalid_op 0
		.amdhsa_exception_fp_denorm_src 0
		.amdhsa_exception_fp_ieee_div_zero 0
		.amdhsa_exception_fp_ieee_overflow 0
		.amdhsa_exception_fp_ieee_underflow 0
		.amdhsa_exception_fp_ieee_inexact 0
		.amdhsa_exception_int_div_zero 0
	.end_amdhsa_kernel
	.section	.text._ZN7rocprim17ROCPRIM_400000_NS6detail17trampoline_kernelINS0_14default_configENS1_38merge_sort_block_merge_config_selectorIlNS0_10empty_typeEEEZZNS1_27merge_sort_block_merge_implIS3_PlPS5_mZN2at6native12_GLOBAL__N_124unique_dim_cuda_templateIN3c104HalfEEESt5tupleIJNSA_6TensorESH_SH_EERKSH_lbbbEUlllE_EE10hipError_tT0_T1_T2_jT3_P12ihipStream_tbPNSt15iterator_traitsISN_E10value_typeEPNST_ISO_E10value_typeEPSP_NS1_7vsmem_tEENKUlT_SN_SO_SP_E_clIS8_S8_S9_S9_EESM_S12_SN_SO_SP_EUlS12_E0_NS1_11comp_targetILNS1_3genE8ELNS1_11target_archE1030ELNS1_3gpuE2ELNS1_3repE0EEENS1_38merge_mergepath_config_static_selectorELNS0_4arch9wavefront6targetE0EEEvSO_,"axG",@progbits,_ZN7rocprim17ROCPRIM_400000_NS6detail17trampoline_kernelINS0_14default_configENS1_38merge_sort_block_merge_config_selectorIlNS0_10empty_typeEEEZZNS1_27merge_sort_block_merge_implIS3_PlPS5_mZN2at6native12_GLOBAL__N_124unique_dim_cuda_templateIN3c104HalfEEESt5tupleIJNSA_6TensorESH_SH_EERKSH_lbbbEUlllE_EE10hipError_tT0_T1_T2_jT3_P12ihipStream_tbPNSt15iterator_traitsISN_E10value_typeEPNST_ISO_E10value_typeEPSP_NS1_7vsmem_tEENKUlT_SN_SO_SP_E_clIS8_S8_S9_S9_EESM_S12_SN_SO_SP_EUlS12_E0_NS1_11comp_targetILNS1_3genE8ELNS1_11target_archE1030ELNS1_3gpuE2ELNS1_3repE0EEENS1_38merge_mergepath_config_static_selectorELNS0_4arch9wavefront6targetE0EEEvSO_,comdat
.Lfunc_end1261:
	.size	_ZN7rocprim17ROCPRIM_400000_NS6detail17trampoline_kernelINS0_14default_configENS1_38merge_sort_block_merge_config_selectorIlNS0_10empty_typeEEEZZNS1_27merge_sort_block_merge_implIS3_PlPS5_mZN2at6native12_GLOBAL__N_124unique_dim_cuda_templateIN3c104HalfEEESt5tupleIJNSA_6TensorESH_SH_EERKSH_lbbbEUlllE_EE10hipError_tT0_T1_T2_jT3_P12ihipStream_tbPNSt15iterator_traitsISN_E10value_typeEPNST_ISO_E10value_typeEPSP_NS1_7vsmem_tEENKUlT_SN_SO_SP_E_clIS8_S8_S9_S9_EESM_S12_SN_SO_SP_EUlS12_E0_NS1_11comp_targetILNS1_3genE8ELNS1_11target_archE1030ELNS1_3gpuE2ELNS1_3repE0EEENS1_38merge_mergepath_config_static_selectorELNS0_4arch9wavefront6targetE0EEEvSO_, .Lfunc_end1261-_ZN7rocprim17ROCPRIM_400000_NS6detail17trampoline_kernelINS0_14default_configENS1_38merge_sort_block_merge_config_selectorIlNS0_10empty_typeEEEZZNS1_27merge_sort_block_merge_implIS3_PlPS5_mZN2at6native12_GLOBAL__N_124unique_dim_cuda_templateIN3c104HalfEEESt5tupleIJNSA_6TensorESH_SH_EERKSH_lbbbEUlllE_EE10hipError_tT0_T1_T2_jT3_P12ihipStream_tbPNSt15iterator_traitsISN_E10value_typeEPNST_ISO_E10value_typeEPSP_NS1_7vsmem_tEENKUlT_SN_SO_SP_E_clIS8_S8_S9_S9_EESM_S12_SN_SO_SP_EUlS12_E0_NS1_11comp_targetILNS1_3genE8ELNS1_11target_archE1030ELNS1_3gpuE2ELNS1_3repE0EEENS1_38merge_mergepath_config_static_selectorELNS0_4arch9wavefront6targetE0EEEvSO_
                                        ; -- End function
	.section	.AMDGPU.csdata,"",@progbits
; Kernel info:
; codeLenInByte = 0
; NumSgprs: 0
; NumVgprs: 0
; ScratchSize: 0
; MemoryBound: 0
; FloatMode: 240
; IeeeMode: 1
; LDSByteSize: 0 bytes/workgroup (compile time only)
; SGPRBlocks: 0
; VGPRBlocks: 0
; NumSGPRsForWavesPerEU: 1
; NumVGPRsForWavesPerEU: 1
; Occupancy: 16
; WaveLimiterHint : 0
; COMPUTE_PGM_RSRC2:SCRATCH_EN: 0
; COMPUTE_PGM_RSRC2:USER_SGPR: 15
; COMPUTE_PGM_RSRC2:TRAP_HANDLER: 0
; COMPUTE_PGM_RSRC2:TGID_X_EN: 1
; COMPUTE_PGM_RSRC2:TGID_Y_EN: 0
; COMPUTE_PGM_RSRC2:TGID_Z_EN: 0
; COMPUTE_PGM_RSRC2:TIDIG_COMP_CNT: 0
	.section	.text._ZN7rocprim17ROCPRIM_400000_NS6detail17trampoline_kernelINS0_14default_configENS1_38merge_sort_block_merge_config_selectorIlNS0_10empty_typeEEEZZNS1_27merge_sort_block_merge_implIS3_PlPS5_mZN2at6native12_GLOBAL__N_124unique_dim_cuda_templateIN3c104HalfEEESt5tupleIJNSA_6TensorESH_SH_EERKSH_lbbbEUlllE_EE10hipError_tT0_T1_T2_jT3_P12ihipStream_tbPNSt15iterator_traitsISN_E10value_typeEPNST_ISO_E10value_typeEPSP_NS1_7vsmem_tEENKUlT_SN_SO_SP_E_clIS8_S8_S9_S9_EESM_S12_SN_SO_SP_EUlS12_E1_NS1_11comp_targetILNS1_3genE0ELNS1_11target_archE4294967295ELNS1_3gpuE0ELNS1_3repE0EEENS1_36merge_oddeven_config_static_selectorELNS0_4arch9wavefront6targetE0EEEvSO_,"axG",@progbits,_ZN7rocprim17ROCPRIM_400000_NS6detail17trampoline_kernelINS0_14default_configENS1_38merge_sort_block_merge_config_selectorIlNS0_10empty_typeEEEZZNS1_27merge_sort_block_merge_implIS3_PlPS5_mZN2at6native12_GLOBAL__N_124unique_dim_cuda_templateIN3c104HalfEEESt5tupleIJNSA_6TensorESH_SH_EERKSH_lbbbEUlllE_EE10hipError_tT0_T1_T2_jT3_P12ihipStream_tbPNSt15iterator_traitsISN_E10value_typeEPNST_ISO_E10value_typeEPSP_NS1_7vsmem_tEENKUlT_SN_SO_SP_E_clIS8_S8_S9_S9_EESM_S12_SN_SO_SP_EUlS12_E1_NS1_11comp_targetILNS1_3genE0ELNS1_11target_archE4294967295ELNS1_3gpuE0ELNS1_3repE0EEENS1_36merge_oddeven_config_static_selectorELNS0_4arch9wavefront6targetE0EEEvSO_,comdat
	.globl	_ZN7rocprim17ROCPRIM_400000_NS6detail17trampoline_kernelINS0_14default_configENS1_38merge_sort_block_merge_config_selectorIlNS0_10empty_typeEEEZZNS1_27merge_sort_block_merge_implIS3_PlPS5_mZN2at6native12_GLOBAL__N_124unique_dim_cuda_templateIN3c104HalfEEESt5tupleIJNSA_6TensorESH_SH_EERKSH_lbbbEUlllE_EE10hipError_tT0_T1_T2_jT3_P12ihipStream_tbPNSt15iterator_traitsISN_E10value_typeEPNST_ISO_E10value_typeEPSP_NS1_7vsmem_tEENKUlT_SN_SO_SP_E_clIS8_S8_S9_S9_EESM_S12_SN_SO_SP_EUlS12_E1_NS1_11comp_targetILNS1_3genE0ELNS1_11target_archE4294967295ELNS1_3gpuE0ELNS1_3repE0EEENS1_36merge_oddeven_config_static_selectorELNS0_4arch9wavefront6targetE0EEEvSO_ ; -- Begin function _ZN7rocprim17ROCPRIM_400000_NS6detail17trampoline_kernelINS0_14default_configENS1_38merge_sort_block_merge_config_selectorIlNS0_10empty_typeEEEZZNS1_27merge_sort_block_merge_implIS3_PlPS5_mZN2at6native12_GLOBAL__N_124unique_dim_cuda_templateIN3c104HalfEEESt5tupleIJNSA_6TensorESH_SH_EERKSH_lbbbEUlllE_EE10hipError_tT0_T1_T2_jT3_P12ihipStream_tbPNSt15iterator_traitsISN_E10value_typeEPNST_ISO_E10value_typeEPSP_NS1_7vsmem_tEENKUlT_SN_SO_SP_E_clIS8_S8_S9_S9_EESM_S12_SN_SO_SP_EUlS12_E1_NS1_11comp_targetILNS1_3genE0ELNS1_11target_archE4294967295ELNS1_3gpuE0ELNS1_3repE0EEENS1_36merge_oddeven_config_static_selectorELNS0_4arch9wavefront6targetE0EEEvSO_
	.p2align	8
	.type	_ZN7rocprim17ROCPRIM_400000_NS6detail17trampoline_kernelINS0_14default_configENS1_38merge_sort_block_merge_config_selectorIlNS0_10empty_typeEEEZZNS1_27merge_sort_block_merge_implIS3_PlPS5_mZN2at6native12_GLOBAL__N_124unique_dim_cuda_templateIN3c104HalfEEESt5tupleIJNSA_6TensorESH_SH_EERKSH_lbbbEUlllE_EE10hipError_tT0_T1_T2_jT3_P12ihipStream_tbPNSt15iterator_traitsISN_E10value_typeEPNST_ISO_E10value_typeEPSP_NS1_7vsmem_tEENKUlT_SN_SO_SP_E_clIS8_S8_S9_S9_EESM_S12_SN_SO_SP_EUlS12_E1_NS1_11comp_targetILNS1_3genE0ELNS1_11target_archE4294967295ELNS1_3gpuE0ELNS1_3repE0EEENS1_36merge_oddeven_config_static_selectorELNS0_4arch9wavefront6targetE0EEEvSO_,@function
_ZN7rocprim17ROCPRIM_400000_NS6detail17trampoline_kernelINS0_14default_configENS1_38merge_sort_block_merge_config_selectorIlNS0_10empty_typeEEEZZNS1_27merge_sort_block_merge_implIS3_PlPS5_mZN2at6native12_GLOBAL__N_124unique_dim_cuda_templateIN3c104HalfEEESt5tupleIJNSA_6TensorESH_SH_EERKSH_lbbbEUlllE_EE10hipError_tT0_T1_T2_jT3_P12ihipStream_tbPNSt15iterator_traitsISN_E10value_typeEPNST_ISO_E10value_typeEPSP_NS1_7vsmem_tEENKUlT_SN_SO_SP_E_clIS8_S8_S9_S9_EESM_S12_SN_SO_SP_EUlS12_E1_NS1_11comp_targetILNS1_3genE0ELNS1_11target_archE4294967295ELNS1_3gpuE0ELNS1_3repE0EEENS1_36merge_oddeven_config_static_selectorELNS0_4arch9wavefront6targetE0EEEvSO_: ; @_ZN7rocprim17ROCPRIM_400000_NS6detail17trampoline_kernelINS0_14default_configENS1_38merge_sort_block_merge_config_selectorIlNS0_10empty_typeEEEZZNS1_27merge_sort_block_merge_implIS3_PlPS5_mZN2at6native12_GLOBAL__N_124unique_dim_cuda_templateIN3c104HalfEEESt5tupleIJNSA_6TensorESH_SH_EERKSH_lbbbEUlllE_EE10hipError_tT0_T1_T2_jT3_P12ihipStream_tbPNSt15iterator_traitsISN_E10value_typeEPNST_ISO_E10value_typeEPSP_NS1_7vsmem_tEENKUlT_SN_SO_SP_E_clIS8_S8_S9_S9_EESM_S12_SN_SO_SP_EUlS12_E1_NS1_11comp_targetILNS1_3genE0ELNS1_11target_archE4294967295ELNS1_3gpuE0ELNS1_3repE0EEENS1_36merge_oddeven_config_static_selectorELNS0_4arch9wavefront6targetE0EEEvSO_
; %bb.0:
	.section	.rodata,"a",@progbits
	.p2align	6, 0x0
	.amdhsa_kernel _ZN7rocprim17ROCPRIM_400000_NS6detail17trampoline_kernelINS0_14default_configENS1_38merge_sort_block_merge_config_selectorIlNS0_10empty_typeEEEZZNS1_27merge_sort_block_merge_implIS3_PlPS5_mZN2at6native12_GLOBAL__N_124unique_dim_cuda_templateIN3c104HalfEEESt5tupleIJNSA_6TensorESH_SH_EERKSH_lbbbEUlllE_EE10hipError_tT0_T1_T2_jT3_P12ihipStream_tbPNSt15iterator_traitsISN_E10value_typeEPNST_ISO_E10value_typeEPSP_NS1_7vsmem_tEENKUlT_SN_SO_SP_E_clIS8_S8_S9_S9_EESM_S12_SN_SO_SP_EUlS12_E1_NS1_11comp_targetILNS1_3genE0ELNS1_11target_archE4294967295ELNS1_3gpuE0ELNS1_3repE0EEENS1_36merge_oddeven_config_static_selectorELNS0_4arch9wavefront6targetE0EEEvSO_
		.amdhsa_group_segment_fixed_size 0
		.amdhsa_private_segment_fixed_size 0
		.amdhsa_kernarg_size 64
		.amdhsa_user_sgpr_count 15
		.amdhsa_user_sgpr_dispatch_ptr 0
		.amdhsa_user_sgpr_queue_ptr 0
		.amdhsa_user_sgpr_kernarg_segment_ptr 1
		.amdhsa_user_sgpr_dispatch_id 0
		.amdhsa_user_sgpr_private_segment_size 0
		.amdhsa_wavefront_size32 1
		.amdhsa_uses_dynamic_stack 0
		.amdhsa_enable_private_segment 0
		.amdhsa_system_sgpr_workgroup_id_x 1
		.amdhsa_system_sgpr_workgroup_id_y 0
		.amdhsa_system_sgpr_workgroup_id_z 0
		.amdhsa_system_sgpr_workgroup_info 0
		.amdhsa_system_vgpr_workitem_id 0
		.amdhsa_next_free_vgpr 1
		.amdhsa_next_free_sgpr 1
		.amdhsa_reserve_vcc 0
		.amdhsa_float_round_mode_32 0
		.amdhsa_float_round_mode_16_64 0
		.amdhsa_float_denorm_mode_32 3
		.amdhsa_float_denorm_mode_16_64 3
		.amdhsa_dx10_clamp 1
		.amdhsa_ieee_mode 1
		.amdhsa_fp16_overflow 0
		.amdhsa_workgroup_processor_mode 1
		.amdhsa_memory_ordered 1
		.amdhsa_forward_progress 0
		.amdhsa_shared_vgpr_count 0
		.amdhsa_exception_fp_ieee_invalid_op 0
		.amdhsa_exception_fp_denorm_src 0
		.amdhsa_exception_fp_ieee_div_zero 0
		.amdhsa_exception_fp_ieee_overflow 0
		.amdhsa_exception_fp_ieee_underflow 0
		.amdhsa_exception_fp_ieee_inexact 0
		.amdhsa_exception_int_div_zero 0
	.end_amdhsa_kernel
	.section	.text._ZN7rocprim17ROCPRIM_400000_NS6detail17trampoline_kernelINS0_14default_configENS1_38merge_sort_block_merge_config_selectorIlNS0_10empty_typeEEEZZNS1_27merge_sort_block_merge_implIS3_PlPS5_mZN2at6native12_GLOBAL__N_124unique_dim_cuda_templateIN3c104HalfEEESt5tupleIJNSA_6TensorESH_SH_EERKSH_lbbbEUlllE_EE10hipError_tT0_T1_T2_jT3_P12ihipStream_tbPNSt15iterator_traitsISN_E10value_typeEPNST_ISO_E10value_typeEPSP_NS1_7vsmem_tEENKUlT_SN_SO_SP_E_clIS8_S8_S9_S9_EESM_S12_SN_SO_SP_EUlS12_E1_NS1_11comp_targetILNS1_3genE0ELNS1_11target_archE4294967295ELNS1_3gpuE0ELNS1_3repE0EEENS1_36merge_oddeven_config_static_selectorELNS0_4arch9wavefront6targetE0EEEvSO_,"axG",@progbits,_ZN7rocprim17ROCPRIM_400000_NS6detail17trampoline_kernelINS0_14default_configENS1_38merge_sort_block_merge_config_selectorIlNS0_10empty_typeEEEZZNS1_27merge_sort_block_merge_implIS3_PlPS5_mZN2at6native12_GLOBAL__N_124unique_dim_cuda_templateIN3c104HalfEEESt5tupleIJNSA_6TensorESH_SH_EERKSH_lbbbEUlllE_EE10hipError_tT0_T1_T2_jT3_P12ihipStream_tbPNSt15iterator_traitsISN_E10value_typeEPNST_ISO_E10value_typeEPSP_NS1_7vsmem_tEENKUlT_SN_SO_SP_E_clIS8_S8_S9_S9_EESM_S12_SN_SO_SP_EUlS12_E1_NS1_11comp_targetILNS1_3genE0ELNS1_11target_archE4294967295ELNS1_3gpuE0ELNS1_3repE0EEENS1_36merge_oddeven_config_static_selectorELNS0_4arch9wavefront6targetE0EEEvSO_,comdat
.Lfunc_end1262:
	.size	_ZN7rocprim17ROCPRIM_400000_NS6detail17trampoline_kernelINS0_14default_configENS1_38merge_sort_block_merge_config_selectorIlNS0_10empty_typeEEEZZNS1_27merge_sort_block_merge_implIS3_PlPS5_mZN2at6native12_GLOBAL__N_124unique_dim_cuda_templateIN3c104HalfEEESt5tupleIJNSA_6TensorESH_SH_EERKSH_lbbbEUlllE_EE10hipError_tT0_T1_T2_jT3_P12ihipStream_tbPNSt15iterator_traitsISN_E10value_typeEPNST_ISO_E10value_typeEPSP_NS1_7vsmem_tEENKUlT_SN_SO_SP_E_clIS8_S8_S9_S9_EESM_S12_SN_SO_SP_EUlS12_E1_NS1_11comp_targetILNS1_3genE0ELNS1_11target_archE4294967295ELNS1_3gpuE0ELNS1_3repE0EEENS1_36merge_oddeven_config_static_selectorELNS0_4arch9wavefront6targetE0EEEvSO_, .Lfunc_end1262-_ZN7rocprim17ROCPRIM_400000_NS6detail17trampoline_kernelINS0_14default_configENS1_38merge_sort_block_merge_config_selectorIlNS0_10empty_typeEEEZZNS1_27merge_sort_block_merge_implIS3_PlPS5_mZN2at6native12_GLOBAL__N_124unique_dim_cuda_templateIN3c104HalfEEESt5tupleIJNSA_6TensorESH_SH_EERKSH_lbbbEUlllE_EE10hipError_tT0_T1_T2_jT3_P12ihipStream_tbPNSt15iterator_traitsISN_E10value_typeEPNST_ISO_E10value_typeEPSP_NS1_7vsmem_tEENKUlT_SN_SO_SP_E_clIS8_S8_S9_S9_EESM_S12_SN_SO_SP_EUlS12_E1_NS1_11comp_targetILNS1_3genE0ELNS1_11target_archE4294967295ELNS1_3gpuE0ELNS1_3repE0EEENS1_36merge_oddeven_config_static_selectorELNS0_4arch9wavefront6targetE0EEEvSO_
                                        ; -- End function
	.section	.AMDGPU.csdata,"",@progbits
; Kernel info:
; codeLenInByte = 0
; NumSgprs: 0
; NumVgprs: 0
; ScratchSize: 0
; MemoryBound: 0
; FloatMode: 240
; IeeeMode: 1
; LDSByteSize: 0 bytes/workgroup (compile time only)
; SGPRBlocks: 0
; VGPRBlocks: 0
; NumSGPRsForWavesPerEU: 1
; NumVGPRsForWavesPerEU: 1
; Occupancy: 16
; WaveLimiterHint : 0
; COMPUTE_PGM_RSRC2:SCRATCH_EN: 0
; COMPUTE_PGM_RSRC2:USER_SGPR: 15
; COMPUTE_PGM_RSRC2:TRAP_HANDLER: 0
; COMPUTE_PGM_RSRC2:TGID_X_EN: 1
; COMPUTE_PGM_RSRC2:TGID_Y_EN: 0
; COMPUTE_PGM_RSRC2:TGID_Z_EN: 0
; COMPUTE_PGM_RSRC2:TIDIG_COMP_CNT: 0
	.section	.text._ZN7rocprim17ROCPRIM_400000_NS6detail17trampoline_kernelINS0_14default_configENS1_38merge_sort_block_merge_config_selectorIlNS0_10empty_typeEEEZZNS1_27merge_sort_block_merge_implIS3_PlPS5_mZN2at6native12_GLOBAL__N_124unique_dim_cuda_templateIN3c104HalfEEESt5tupleIJNSA_6TensorESH_SH_EERKSH_lbbbEUlllE_EE10hipError_tT0_T1_T2_jT3_P12ihipStream_tbPNSt15iterator_traitsISN_E10value_typeEPNST_ISO_E10value_typeEPSP_NS1_7vsmem_tEENKUlT_SN_SO_SP_E_clIS8_S8_S9_S9_EESM_S12_SN_SO_SP_EUlS12_E1_NS1_11comp_targetILNS1_3genE10ELNS1_11target_archE1201ELNS1_3gpuE5ELNS1_3repE0EEENS1_36merge_oddeven_config_static_selectorELNS0_4arch9wavefront6targetE0EEEvSO_,"axG",@progbits,_ZN7rocprim17ROCPRIM_400000_NS6detail17trampoline_kernelINS0_14default_configENS1_38merge_sort_block_merge_config_selectorIlNS0_10empty_typeEEEZZNS1_27merge_sort_block_merge_implIS3_PlPS5_mZN2at6native12_GLOBAL__N_124unique_dim_cuda_templateIN3c104HalfEEESt5tupleIJNSA_6TensorESH_SH_EERKSH_lbbbEUlllE_EE10hipError_tT0_T1_T2_jT3_P12ihipStream_tbPNSt15iterator_traitsISN_E10value_typeEPNST_ISO_E10value_typeEPSP_NS1_7vsmem_tEENKUlT_SN_SO_SP_E_clIS8_S8_S9_S9_EESM_S12_SN_SO_SP_EUlS12_E1_NS1_11comp_targetILNS1_3genE10ELNS1_11target_archE1201ELNS1_3gpuE5ELNS1_3repE0EEENS1_36merge_oddeven_config_static_selectorELNS0_4arch9wavefront6targetE0EEEvSO_,comdat
	.globl	_ZN7rocprim17ROCPRIM_400000_NS6detail17trampoline_kernelINS0_14default_configENS1_38merge_sort_block_merge_config_selectorIlNS0_10empty_typeEEEZZNS1_27merge_sort_block_merge_implIS3_PlPS5_mZN2at6native12_GLOBAL__N_124unique_dim_cuda_templateIN3c104HalfEEESt5tupleIJNSA_6TensorESH_SH_EERKSH_lbbbEUlllE_EE10hipError_tT0_T1_T2_jT3_P12ihipStream_tbPNSt15iterator_traitsISN_E10value_typeEPNST_ISO_E10value_typeEPSP_NS1_7vsmem_tEENKUlT_SN_SO_SP_E_clIS8_S8_S9_S9_EESM_S12_SN_SO_SP_EUlS12_E1_NS1_11comp_targetILNS1_3genE10ELNS1_11target_archE1201ELNS1_3gpuE5ELNS1_3repE0EEENS1_36merge_oddeven_config_static_selectorELNS0_4arch9wavefront6targetE0EEEvSO_ ; -- Begin function _ZN7rocprim17ROCPRIM_400000_NS6detail17trampoline_kernelINS0_14default_configENS1_38merge_sort_block_merge_config_selectorIlNS0_10empty_typeEEEZZNS1_27merge_sort_block_merge_implIS3_PlPS5_mZN2at6native12_GLOBAL__N_124unique_dim_cuda_templateIN3c104HalfEEESt5tupleIJNSA_6TensorESH_SH_EERKSH_lbbbEUlllE_EE10hipError_tT0_T1_T2_jT3_P12ihipStream_tbPNSt15iterator_traitsISN_E10value_typeEPNST_ISO_E10value_typeEPSP_NS1_7vsmem_tEENKUlT_SN_SO_SP_E_clIS8_S8_S9_S9_EESM_S12_SN_SO_SP_EUlS12_E1_NS1_11comp_targetILNS1_3genE10ELNS1_11target_archE1201ELNS1_3gpuE5ELNS1_3repE0EEENS1_36merge_oddeven_config_static_selectorELNS0_4arch9wavefront6targetE0EEEvSO_
	.p2align	8
	.type	_ZN7rocprim17ROCPRIM_400000_NS6detail17trampoline_kernelINS0_14default_configENS1_38merge_sort_block_merge_config_selectorIlNS0_10empty_typeEEEZZNS1_27merge_sort_block_merge_implIS3_PlPS5_mZN2at6native12_GLOBAL__N_124unique_dim_cuda_templateIN3c104HalfEEESt5tupleIJNSA_6TensorESH_SH_EERKSH_lbbbEUlllE_EE10hipError_tT0_T1_T2_jT3_P12ihipStream_tbPNSt15iterator_traitsISN_E10value_typeEPNST_ISO_E10value_typeEPSP_NS1_7vsmem_tEENKUlT_SN_SO_SP_E_clIS8_S8_S9_S9_EESM_S12_SN_SO_SP_EUlS12_E1_NS1_11comp_targetILNS1_3genE10ELNS1_11target_archE1201ELNS1_3gpuE5ELNS1_3repE0EEENS1_36merge_oddeven_config_static_selectorELNS0_4arch9wavefront6targetE0EEEvSO_,@function
_ZN7rocprim17ROCPRIM_400000_NS6detail17trampoline_kernelINS0_14default_configENS1_38merge_sort_block_merge_config_selectorIlNS0_10empty_typeEEEZZNS1_27merge_sort_block_merge_implIS3_PlPS5_mZN2at6native12_GLOBAL__N_124unique_dim_cuda_templateIN3c104HalfEEESt5tupleIJNSA_6TensorESH_SH_EERKSH_lbbbEUlllE_EE10hipError_tT0_T1_T2_jT3_P12ihipStream_tbPNSt15iterator_traitsISN_E10value_typeEPNST_ISO_E10value_typeEPSP_NS1_7vsmem_tEENKUlT_SN_SO_SP_E_clIS8_S8_S9_S9_EESM_S12_SN_SO_SP_EUlS12_E1_NS1_11comp_targetILNS1_3genE10ELNS1_11target_archE1201ELNS1_3gpuE5ELNS1_3repE0EEENS1_36merge_oddeven_config_static_selectorELNS0_4arch9wavefront6targetE0EEEvSO_: ; @_ZN7rocprim17ROCPRIM_400000_NS6detail17trampoline_kernelINS0_14default_configENS1_38merge_sort_block_merge_config_selectorIlNS0_10empty_typeEEEZZNS1_27merge_sort_block_merge_implIS3_PlPS5_mZN2at6native12_GLOBAL__N_124unique_dim_cuda_templateIN3c104HalfEEESt5tupleIJNSA_6TensorESH_SH_EERKSH_lbbbEUlllE_EE10hipError_tT0_T1_T2_jT3_P12ihipStream_tbPNSt15iterator_traitsISN_E10value_typeEPNST_ISO_E10value_typeEPSP_NS1_7vsmem_tEENKUlT_SN_SO_SP_E_clIS8_S8_S9_S9_EESM_S12_SN_SO_SP_EUlS12_E1_NS1_11comp_targetILNS1_3genE10ELNS1_11target_archE1201ELNS1_3gpuE5ELNS1_3repE0EEENS1_36merge_oddeven_config_static_selectorELNS0_4arch9wavefront6targetE0EEEvSO_
; %bb.0:
	.section	.rodata,"a",@progbits
	.p2align	6, 0x0
	.amdhsa_kernel _ZN7rocprim17ROCPRIM_400000_NS6detail17trampoline_kernelINS0_14default_configENS1_38merge_sort_block_merge_config_selectorIlNS0_10empty_typeEEEZZNS1_27merge_sort_block_merge_implIS3_PlPS5_mZN2at6native12_GLOBAL__N_124unique_dim_cuda_templateIN3c104HalfEEESt5tupleIJNSA_6TensorESH_SH_EERKSH_lbbbEUlllE_EE10hipError_tT0_T1_T2_jT3_P12ihipStream_tbPNSt15iterator_traitsISN_E10value_typeEPNST_ISO_E10value_typeEPSP_NS1_7vsmem_tEENKUlT_SN_SO_SP_E_clIS8_S8_S9_S9_EESM_S12_SN_SO_SP_EUlS12_E1_NS1_11comp_targetILNS1_3genE10ELNS1_11target_archE1201ELNS1_3gpuE5ELNS1_3repE0EEENS1_36merge_oddeven_config_static_selectorELNS0_4arch9wavefront6targetE0EEEvSO_
		.amdhsa_group_segment_fixed_size 0
		.amdhsa_private_segment_fixed_size 0
		.amdhsa_kernarg_size 64
		.amdhsa_user_sgpr_count 15
		.amdhsa_user_sgpr_dispatch_ptr 0
		.amdhsa_user_sgpr_queue_ptr 0
		.amdhsa_user_sgpr_kernarg_segment_ptr 1
		.amdhsa_user_sgpr_dispatch_id 0
		.amdhsa_user_sgpr_private_segment_size 0
		.amdhsa_wavefront_size32 1
		.amdhsa_uses_dynamic_stack 0
		.amdhsa_enable_private_segment 0
		.amdhsa_system_sgpr_workgroup_id_x 1
		.amdhsa_system_sgpr_workgroup_id_y 0
		.amdhsa_system_sgpr_workgroup_id_z 0
		.amdhsa_system_sgpr_workgroup_info 0
		.amdhsa_system_vgpr_workitem_id 0
		.amdhsa_next_free_vgpr 1
		.amdhsa_next_free_sgpr 1
		.amdhsa_reserve_vcc 0
		.amdhsa_float_round_mode_32 0
		.amdhsa_float_round_mode_16_64 0
		.amdhsa_float_denorm_mode_32 3
		.amdhsa_float_denorm_mode_16_64 3
		.amdhsa_dx10_clamp 1
		.amdhsa_ieee_mode 1
		.amdhsa_fp16_overflow 0
		.amdhsa_workgroup_processor_mode 1
		.amdhsa_memory_ordered 1
		.amdhsa_forward_progress 0
		.amdhsa_shared_vgpr_count 0
		.amdhsa_exception_fp_ieee_invalid_op 0
		.amdhsa_exception_fp_denorm_src 0
		.amdhsa_exception_fp_ieee_div_zero 0
		.amdhsa_exception_fp_ieee_overflow 0
		.amdhsa_exception_fp_ieee_underflow 0
		.amdhsa_exception_fp_ieee_inexact 0
		.amdhsa_exception_int_div_zero 0
	.end_amdhsa_kernel
	.section	.text._ZN7rocprim17ROCPRIM_400000_NS6detail17trampoline_kernelINS0_14default_configENS1_38merge_sort_block_merge_config_selectorIlNS0_10empty_typeEEEZZNS1_27merge_sort_block_merge_implIS3_PlPS5_mZN2at6native12_GLOBAL__N_124unique_dim_cuda_templateIN3c104HalfEEESt5tupleIJNSA_6TensorESH_SH_EERKSH_lbbbEUlllE_EE10hipError_tT0_T1_T2_jT3_P12ihipStream_tbPNSt15iterator_traitsISN_E10value_typeEPNST_ISO_E10value_typeEPSP_NS1_7vsmem_tEENKUlT_SN_SO_SP_E_clIS8_S8_S9_S9_EESM_S12_SN_SO_SP_EUlS12_E1_NS1_11comp_targetILNS1_3genE10ELNS1_11target_archE1201ELNS1_3gpuE5ELNS1_3repE0EEENS1_36merge_oddeven_config_static_selectorELNS0_4arch9wavefront6targetE0EEEvSO_,"axG",@progbits,_ZN7rocprim17ROCPRIM_400000_NS6detail17trampoline_kernelINS0_14default_configENS1_38merge_sort_block_merge_config_selectorIlNS0_10empty_typeEEEZZNS1_27merge_sort_block_merge_implIS3_PlPS5_mZN2at6native12_GLOBAL__N_124unique_dim_cuda_templateIN3c104HalfEEESt5tupleIJNSA_6TensorESH_SH_EERKSH_lbbbEUlllE_EE10hipError_tT0_T1_T2_jT3_P12ihipStream_tbPNSt15iterator_traitsISN_E10value_typeEPNST_ISO_E10value_typeEPSP_NS1_7vsmem_tEENKUlT_SN_SO_SP_E_clIS8_S8_S9_S9_EESM_S12_SN_SO_SP_EUlS12_E1_NS1_11comp_targetILNS1_3genE10ELNS1_11target_archE1201ELNS1_3gpuE5ELNS1_3repE0EEENS1_36merge_oddeven_config_static_selectorELNS0_4arch9wavefront6targetE0EEEvSO_,comdat
.Lfunc_end1263:
	.size	_ZN7rocprim17ROCPRIM_400000_NS6detail17trampoline_kernelINS0_14default_configENS1_38merge_sort_block_merge_config_selectorIlNS0_10empty_typeEEEZZNS1_27merge_sort_block_merge_implIS3_PlPS5_mZN2at6native12_GLOBAL__N_124unique_dim_cuda_templateIN3c104HalfEEESt5tupleIJNSA_6TensorESH_SH_EERKSH_lbbbEUlllE_EE10hipError_tT0_T1_T2_jT3_P12ihipStream_tbPNSt15iterator_traitsISN_E10value_typeEPNST_ISO_E10value_typeEPSP_NS1_7vsmem_tEENKUlT_SN_SO_SP_E_clIS8_S8_S9_S9_EESM_S12_SN_SO_SP_EUlS12_E1_NS1_11comp_targetILNS1_3genE10ELNS1_11target_archE1201ELNS1_3gpuE5ELNS1_3repE0EEENS1_36merge_oddeven_config_static_selectorELNS0_4arch9wavefront6targetE0EEEvSO_, .Lfunc_end1263-_ZN7rocprim17ROCPRIM_400000_NS6detail17trampoline_kernelINS0_14default_configENS1_38merge_sort_block_merge_config_selectorIlNS0_10empty_typeEEEZZNS1_27merge_sort_block_merge_implIS3_PlPS5_mZN2at6native12_GLOBAL__N_124unique_dim_cuda_templateIN3c104HalfEEESt5tupleIJNSA_6TensorESH_SH_EERKSH_lbbbEUlllE_EE10hipError_tT0_T1_T2_jT3_P12ihipStream_tbPNSt15iterator_traitsISN_E10value_typeEPNST_ISO_E10value_typeEPSP_NS1_7vsmem_tEENKUlT_SN_SO_SP_E_clIS8_S8_S9_S9_EESM_S12_SN_SO_SP_EUlS12_E1_NS1_11comp_targetILNS1_3genE10ELNS1_11target_archE1201ELNS1_3gpuE5ELNS1_3repE0EEENS1_36merge_oddeven_config_static_selectorELNS0_4arch9wavefront6targetE0EEEvSO_
                                        ; -- End function
	.section	.AMDGPU.csdata,"",@progbits
; Kernel info:
; codeLenInByte = 0
; NumSgprs: 0
; NumVgprs: 0
; ScratchSize: 0
; MemoryBound: 0
; FloatMode: 240
; IeeeMode: 1
; LDSByteSize: 0 bytes/workgroup (compile time only)
; SGPRBlocks: 0
; VGPRBlocks: 0
; NumSGPRsForWavesPerEU: 1
; NumVGPRsForWavesPerEU: 1
; Occupancy: 16
; WaveLimiterHint : 0
; COMPUTE_PGM_RSRC2:SCRATCH_EN: 0
; COMPUTE_PGM_RSRC2:USER_SGPR: 15
; COMPUTE_PGM_RSRC2:TRAP_HANDLER: 0
; COMPUTE_PGM_RSRC2:TGID_X_EN: 1
; COMPUTE_PGM_RSRC2:TGID_Y_EN: 0
; COMPUTE_PGM_RSRC2:TGID_Z_EN: 0
; COMPUTE_PGM_RSRC2:TIDIG_COMP_CNT: 0
	.section	.text._ZN7rocprim17ROCPRIM_400000_NS6detail17trampoline_kernelINS0_14default_configENS1_38merge_sort_block_merge_config_selectorIlNS0_10empty_typeEEEZZNS1_27merge_sort_block_merge_implIS3_PlPS5_mZN2at6native12_GLOBAL__N_124unique_dim_cuda_templateIN3c104HalfEEESt5tupleIJNSA_6TensorESH_SH_EERKSH_lbbbEUlllE_EE10hipError_tT0_T1_T2_jT3_P12ihipStream_tbPNSt15iterator_traitsISN_E10value_typeEPNST_ISO_E10value_typeEPSP_NS1_7vsmem_tEENKUlT_SN_SO_SP_E_clIS8_S8_S9_S9_EESM_S12_SN_SO_SP_EUlS12_E1_NS1_11comp_targetILNS1_3genE5ELNS1_11target_archE942ELNS1_3gpuE9ELNS1_3repE0EEENS1_36merge_oddeven_config_static_selectorELNS0_4arch9wavefront6targetE0EEEvSO_,"axG",@progbits,_ZN7rocprim17ROCPRIM_400000_NS6detail17trampoline_kernelINS0_14default_configENS1_38merge_sort_block_merge_config_selectorIlNS0_10empty_typeEEEZZNS1_27merge_sort_block_merge_implIS3_PlPS5_mZN2at6native12_GLOBAL__N_124unique_dim_cuda_templateIN3c104HalfEEESt5tupleIJNSA_6TensorESH_SH_EERKSH_lbbbEUlllE_EE10hipError_tT0_T1_T2_jT3_P12ihipStream_tbPNSt15iterator_traitsISN_E10value_typeEPNST_ISO_E10value_typeEPSP_NS1_7vsmem_tEENKUlT_SN_SO_SP_E_clIS8_S8_S9_S9_EESM_S12_SN_SO_SP_EUlS12_E1_NS1_11comp_targetILNS1_3genE5ELNS1_11target_archE942ELNS1_3gpuE9ELNS1_3repE0EEENS1_36merge_oddeven_config_static_selectorELNS0_4arch9wavefront6targetE0EEEvSO_,comdat
	.globl	_ZN7rocprim17ROCPRIM_400000_NS6detail17trampoline_kernelINS0_14default_configENS1_38merge_sort_block_merge_config_selectorIlNS0_10empty_typeEEEZZNS1_27merge_sort_block_merge_implIS3_PlPS5_mZN2at6native12_GLOBAL__N_124unique_dim_cuda_templateIN3c104HalfEEESt5tupleIJNSA_6TensorESH_SH_EERKSH_lbbbEUlllE_EE10hipError_tT0_T1_T2_jT3_P12ihipStream_tbPNSt15iterator_traitsISN_E10value_typeEPNST_ISO_E10value_typeEPSP_NS1_7vsmem_tEENKUlT_SN_SO_SP_E_clIS8_S8_S9_S9_EESM_S12_SN_SO_SP_EUlS12_E1_NS1_11comp_targetILNS1_3genE5ELNS1_11target_archE942ELNS1_3gpuE9ELNS1_3repE0EEENS1_36merge_oddeven_config_static_selectorELNS0_4arch9wavefront6targetE0EEEvSO_ ; -- Begin function _ZN7rocprim17ROCPRIM_400000_NS6detail17trampoline_kernelINS0_14default_configENS1_38merge_sort_block_merge_config_selectorIlNS0_10empty_typeEEEZZNS1_27merge_sort_block_merge_implIS3_PlPS5_mZN2at6native12_GLOBAL__N_124unique_dim_cuda_templateIN3c104HalfEEESt5tupleIJNSA_6TensorESH_SH_EERKSH_lbbbEUlllE_EE10hipError_tT0_T1_T2_jT3_P12ihipStream_tbPNSt15iterator_traitsISN_E10value_typeEPNST_ISO_E10value_typeEPSP_NS1_7vsmem_tEENKUlT_SN_SO_SP_E_clIS8_S8_S9_S9_EESM_S12_SN_SO_SP_EUlS12_E1_NS1_11comp_targetILNS1_3genE5ELNS1_11target_archE942ELNS1_3gpuE9ELNS1_3repE0EEENS1_36merge_oddeven_config_static_selectorELNS0_4arch9wavefront6targetE0EEEvSO_
	.p2align	8
	.type	_ZN7rocprim17ROCPRIM_400000_NS6detail17trampoline_kernelINS0_14default_configENS1_38merge_sort_block_merge_config_selectorIlNS0_10empty_typeEEEZZNS1_27merge_sort_block_merge_implIS3_PlPS5_mZN2at6native12_GLOBAL__N_124unique_dim_cuda_templateIN3c104HalfEEESt5tupleIJNSA_6TensorESH_SH_EERKSH_lbbbEUlllE_EE10hipError_tT0_T1_T2_jT3_P12ihipStream_tbPNSt15iterator_traitsISN_E10value_typeEPNST_ISO_E10value_typeEPSP_NS1_7vsmem_tEENKUlT_SN_SO_SP_E_clIS8_S8_S9_S9_EESM_S12_SN_SO_SP_EUlS12_E1_NS1_11comp_targetILNS1_3genE5ELNS1_11target_archE942ELNS1_3gpuE9ELNS1_3repE0EEENS1_36merge_oddeven_config_static_selectorELNS0_4arch9wavefront6targetE0EEEvSO_,@function
_ZN7rocprim17ROCPRIM_400000_NS6detail17trampoline_kernelINS0_14default_configENS1_38merge_sort_block_merge_config_selectorIlNS0_10empty_typeEEEZZNS1_27merge_sort_block_merge_implIS3_PlPS5_mZN2at6native12_GLOBAL__N_124unique_dim_cuda_templateIN3c104HalfEEESt5tupleIJNSA_6TensorESH_SH_EERKSH_lbbbEUlllE_EE10hipError_tT0_T1_T2_jT3_P12ihipStream_tbPNSt15iterator_traitsISN_E10value_typeEPNST_ISO_E10value_typeEPSP_NS1_7vsmem_tEENKUlT_SN_SO_SP_E_clIS8_S8_S9_S9_EESM_S12_SN_SO_SP_EUlS12_E1_NS1_11comp_targetILNS1_3genE5ELNS1_11target_archE942ELNS1_3gpuE9ELNS1_3repE0EEENS1_36merge_oddeven_config_static_selectorELNS0_4arch9wavefront6targetE0EEEvSO_: ; @_ZN7rocprim17ROCPRIM_400000_NS6detail17trampoline_kernelINS0_14default_configENS1_38merge_sort_block_merge_config_selectorIlNS0_10empty_typeEEEZZNS1_27merge_sort_block_merge_implIS3_PlPS5_mZN2at6native12_GLOBAL__N_124unique_dim_cuda_templateIN3c104HalfEEESt5tupleIJNSA_6TensorESH_SH_EERKSH_lbbbEUlllE_EE10hipError_tT0_T1_T2_jT3_P12ihipStream_tbPNSt15iterator_traitsISN_E10value_typeEPNST_ISO_E10value_typeEPSP_NS1_7vsmem_tEENKUlT_SN_SO_SP_E_clIS8_S8_S9_S9_EESM_S12_SN_SO_SP_EUlS12_E1_NS1_11comp_targetILNS1_3genE5ELNS1_11target_archE942ELNS1_3gpuE9ELNS1_3repE0EEENS1_36merge_oddeven_config_static_selectorELNS0_4arch9wavefront6targetE0EEEvSO_
; %bb.0:
	.section	.rodata,"a",@progbits
	.p2align	6, 0x0
	.amdhsa_kernel _ZN7rocprim17ROCPRIM_400000_NS6detail17trampoline_kernelINS0_14default_configENS1_38merge_sort_block_merge_config_selectorIlNS0_10empty_typeEEEZZNS1_27merge_sort_block_merge_implIS3_PlPS5_mZN2at6native12_GLOBAL__N_124unique_dim_cuda_templateIN3c104HalfEEESt5tupleIJNSA_6TensorESH_SH_EERKSH_lbbbEUlllE_EE10hipError_tT0_T1_T2_jT3_P12ihipStream_tbPNSt15iterator_traitsISN_E10value_typeEPNST_ISO_E10value_typeEPSP_NS1_7vsmem_tEENKUlT_SN_SO_SP_E_clIS8_S8_S9_S9_EESM_S12_SN_SO_SP_EUlS12_E1_NS1_11comp_targetILNS1_3genE5ELNS1_11target_archE942ELNS1_3gpuE9ELNS1_3repE0EEENS1_36merge_oddeven_config_static_selectorELNS0_4arch9wavefront6targetE0EEEvSO_
		.amdhsa_group_segment_fixed_size 0
		.amdhsa_private_segment_fixed_size 0
		.amdhsa_kernarg_size 64
		.amdhsa_user_sgpr_count 15
		.amdhsa_user_sgpr_dispatch_ptr 0
		.amdhsa_user_sgpr_queue_ptr 0
		.amdhsa_user_sgpr_kernarg_segment_ptr 1
		.amdhsa_user_sgpr_dispatch_id 0
		.amdhsa_user_sgpr_private_segment_size 0
		.amdhsa_wavefront_size32 1
		.amdhsa_uses_dynamic_stack 0
		.amdhsa_enable_private_segment 0
		.amdhsa_system_sgpr_workgroup_id_x 1
		.amdhsa_system_sgpr_workgroup_id_y 0
		.amdhsa_system_sgpr_workgroup_id_z 0
		.amdhsa_system_sgpr_workgroup_info 0
		.amdhsa_system_vgpr_workitem_id 0
		.amdhsa_next_free_vgpr 1
		.amdhsa_next_free_sgpr 1
		.amdhsa_reserve_vcc 0
		.amdhsa_float_round_mode_32 0
		.amdhsa_float_round_mode_16_64 0
		.amdhsa_float_denorm_mode_32 3
		.amdhsa_float_denorm_mode_16_64 3
		.amdhsa_dx10_clamp 1
		.amdhsa_ieee_mode 1
		.amdhsa_fp16_overflow 0
		.amdhsa_workgroup_processor_mode 1
		.amdhsa_memory_ordered 1
		.amdhsa_forward_progress 0
		.amdhsa_shared_vgpr_count 0
		.amdhsa_exception_fp_ieee_invalid_op 0
		.amdhsa_exception_fp_denorm_src 0
		.amdhsa_exception_fp_ieee_div_zero 0
		.amdhsa_exception_fp_ieee_overflow 0
		.amdhsa_exception_fp_ieee_underflow 0
		.amdhsa_exception_fp_ieee_inexact 0
		.amdhsa_exception_int_div_zero 0
	.end_amdhsa_kernel
	.section	.text._ZN7rocprim17ROCPRIM_400000_NS6detail17trampoline_kernelINS0_14default_configENS1_38merge_sort_block_merge_config_selectorIlNS0_10empty_typeEEEZZNS1_27merge_sort_block_merge_implIS3_PlPS5_mZN2at6native12_GLOBAL__N_124unique_dim_cuda_templateIN3c104HalfEEESt5tupleIJNSA_6TensorESH_SH_EERKSH_lbbbEUlllE_EE10hipError_tT0_T1_T2_jT3_P12ihipStream_tbPNSt15iterator_traitsISN_E10value_typeEPNST_ISO_E10value_typeEPSP_NS1_7vsmem_tEENKUlT_SN_SO_SP_E_clIS8_S8_S9_S9_EESM_S12_SN_SO_SP_EUlS12_E1_NS1_11comp_targetILNS1_3genE5ELNS1_11target_archE942ELNS1_3gpuE9ELNS1_3repE0EEENS1_36merge_oddeven_config_static_selectorELNS0_4arch9wavefront6targetE0EEEvSO_,"axG",@progbits,_ZN7rocprim17ROCPRIM_400000_NS6detail17trampoline_kernelINS0_14default_configENS1_38merge_sort_block_merge_config_selectorIlNS0_10empty_typeEEEZZNS1_27merge_sort_block_merge_implIS3_PlPS5_mZN2at6native12_GLOBAL__N_124unique_dim_cuda_templateIN3c104HalfEEESt5tupleIJNSA_6TensorESH_SH_EERKSH_lbbbEUlllE_EE10hipError_tT0_T1_T2_jT3_P12ihipStream_tbPNSt15iterator_traitsISN_E10value_typeEPNST_ISO_E10value_typeEPSP_NS1_7vsmem_tEENKUlT_SN_SO_SP_E_clIS8_S8_S9_S9_EESM_S12_SN_SO_SP_EUlS12_E1_NS1_11comp_targetILNS1_3genE5ELNS1_11target_archE942ELNS1_3gpuE9ELNS1_3repE0EEENS1_36merge_oddeven_config_static_selectorELNS0_4arch9wavefront6targetE0EEEvSO_,comdat
.Lfunc_end1264:
	.size	_ZN7rocprim17ROCPRIM_400000_NS6detail17trampoline_kernelINS0_14default_configENS1_38merge_sort_block_merge_config_selectorIlNS0_10empty_typeEEEZZNS1_27merge_sort_block_merge_implIS3_PlPS5_mZN2at6native12_GLOBAL__N_124unique_dim_cuda_templateIN3c104HalfEEESt5tupleIJNSA_6TensorESH_SH_EERKSH_lbbbEUlllE_EE10hipError_tT0_T1_T2_jT3_P12ihipStream_tbPNSt15iterator_traitsISN_E10value_typeEPNST_ISO_E10value_typeEPSP_NS1_7vsmem_tEENKUlT_SN_SO_SP_E_clIS8_S8_S9_S9_EESM_S12_SN_SO_SP_EUlS12_E1_NS1_11comp_targetILNS1_3genE5ELNS1_11target_archE942ELNS1_3gpuE9ELNS1_3repE0EEENS1_36merge_oddeven_config_static_selectorELNS0_4arch9wavefront6targetE0EEEvSO_, .Lfunc_end1264-_ZN7rocprim17ROCPRIM_400000_NS6detail17trampoline_kernelINS0_14default_configENS1_38merge_sort_block_merge_config_selectorIlNS0_10empty_typeEEEZZNS1_27merge_sort_block_merge_implIS3_PlPS5_mZN2at6native12_GLOBAL__N_124unique_dim_cuda_templateIN3c104HalfEEESt5tupleIJNSA_6TensorESH_SH_EERKSH_lbbbEUlllE_EE10hipError_tT0_T1_T2_jT3_P12ihipStream_tbPNSt15iterator_traitsISN_E10value_typeEPNST_ISO_E10value_typeEPSP_NS1_7vsmem_tEENKUlT_SN_SO_SP_E_clIS8_S8_S9_S9_EESM_S12_SN_SO_SP_EUlS12_E1_NS1_11comp_targetILNS1_3genE5ELNS1_11target_archE942ELNS1_3gpuE9ELNS1_3repE0EEENS1_36merge_oddeven_config_static_selectorELNS0_4arch9wavefront6targetE0EEEvSO_
                                        ; -- End function
	.section	.AMDGPU.csdata,"",@progbits
; Kernel info:
; codeLenInByte = 0
; NumSgprs: 0
; NumVgprs: 0
; ScratchSize: 0
; MemoryBound: 0
; FloatMode: 240
; IeeeMode: 1
; LDSByteSize: 0 bytes/workgroup (compile time only)
; SGPRBlocks: 0
; VGPRBlocks: 0
; NumSGPRsForWavesPerEU: 1
; NumVGPRsForWavesPerEU: 1
; Occupancy: 16
; WaveLimiterHint : 0
; COMPUTE_PGM_RSRC2:SCRATCH_EN: 0
; COMPUTE_PGM_RSRC2:USER_SGPR: 15
; COMPUTE_PGM_RSRC2:TRAP_HANDLER: 0
; COMPUTE_PGM_RSRC2:TGID_X_EN: 1
; COMPUTE_PGM_RSRC2:TGID_Y_EN: 0
; COMPUTE_PGM_RSRC2:TGID_Z_EN: 0
; COMPUTE_PGM_RSRC2:TIDIG_COMP_CNT: 0
	.section	.text._ZN7rocprim17ROCPRIM_400000_NS6detail17trampoline_kernelINS0_14default_configENS1_38merge_sort_block_merge_config_selectorIlNS0_10empty_typeEEEZZNS1_27merge_sort_block_merge_implIS3_PlPS5_mZN2at6native12_GLOBAL__N_124unique_dim_cuda_templateIN3c104HalfEEESt5tupleIJNSA_6TensorESH_SH_EERKSH_lbbbEUlllE_EE10hipError_tT0_T1_T2_jT3_P12ihipStream_tbPNSt15iterator_traitsISN_E10value_typeEPNST_ISO_E10value_typeEPSP_NS1_7vsmem_tEENKUlT_SN_SO_SP_E_clIS8_S8_S9_S9_EESM_S12_SN_SO_SP_EUlS12_E1_NS1_11comp_targetILNS1_3genE4ELNS1_11target_archE910ELNS1_3gpuE8ELNS1_3repE0EEENS1_36merge_oddeven_config_static_selectorELNS0_4arch9wavefront6targetE0EEEvSO_,"axG",@progbits,_ZN7rocprim17ROCPRIM_400000_NS6detail17trampoline_kernelINS0_14default_configENS1_38merge_sort_block_merge_config_selectorIlNS0_10empty_typeEEEZZNS1_27merge_sort_block_merge_implIS3_PlPS5_mZN2at6native12_GLOBAL__N_124unique_dim_cuda_templateIN3c104HalfEEESt5tupleIJNSA_6TensorESH_SH_EERKSH_lbbbEUlllE_EE10hipError_tT0_T1_T2_jT3_P12ihipStream_tbPNSt15iterator_traitsISN_E10value_typeEPNST_ISO_E10value_typeEPSP_NS1_7vsmem_tEENKUlT_SN_SO_SP_E_clIS8_S8_S9_S9_EESM_S12_SN_SO_SP_EUlS12_E1_NS1_11comp_targetILNS1_3genE4ELNS1_11target_archE910ELNS1_3gpuE8ELNS1_3repE0EEENS1_36merge_oddeven_config_static_selectorELNS0_4arch9wavefront6targetE0EEEvSO_,comdat
	.globl	_ZN7rocprim17ROCPRIM_400000_NS6detail17trampoline_kernelINS0_14default_configENS1_38merge_sort_block_merge_config_selectorIlNS0_10empty_typeEEEZZNS1_27merge_sort_block_merge_implIS3_PlPS5_mZN2at6native12_GLOBAL__N_124unique_dim_cuda_templateIN3c104HalfEEESt5tupleIJNSA_6TensorESH_SH_EERKSH_lbbbEUlllE_EE10hipError_tT0_T1_T2_jT3_P12ihipStream_tbPNSt15iterator_traitsISN_E10value_typeEPNST_ISO_E10value_typeEPSP_NS1_7vsmem_tEENKUlT_SN_SO_SP_E_clIS8_S8_S9_S9_EESM_S12_SN_SO_SP_EUlS12_E1_NS1_11comp_targetILNS1_3genE4ELNS1_11target_archE910ELNS1_3gpuE8ELNS1_3repE0EEENS1_36merge_oddeven_config_static_selectorELNS0_4arch9wavefront6targetE0EEEvSO_ ; -- Begin function _ZN7rocprim17ROCPRIM_400000_NS6detail17trampoline_kernelINS0_14default_configENS1_38merge_sort_block_merge_config_selectorIlNS0_10empty_typeEEEZZNS1_27merge_sort_block_merge_implIS3_PlPS5_mZN2at6native12_GLOBAL__N_124unique_dim_cuda_templateIN3c104HalfEEESt5tupleIJNSA_6TensorESH_SH_EERKSH_lbbbEUlllE_EE10hipError_tT0_T1_T2_jT3_P12ihipStream_tbPNSt15iterator_traitsISN_E10value_typeEPNST_ISO_E10value_typeEPSP_NS1_7vsmem_tEENKUlT_SN_SO_SP_E_clIS8_S8_S9_S9_EESM_S12_SN_SO_SP_EUlS12_E1_NS1_11comp_targetILNS1_3genE4ELNS1_11target_archE910ELNS1_3gpuE8ELNS1_3repE0EEENS1_36merge_oddeven_config_static_selectorELNS0_4arch9wavefront6targetE0EEEvSO_
	.p2align	8
	.type	_ZN7rocprim17ROCPRIM_400000_NS6detail17trampoline_kernelINS0_14default_configENS1_38merge_sort_block_merge_config_selectorIlNS0_10empty_typeEEEZZNS1_27merge_sort_block_merge_implIS3_PlPS5_mZN2at6native12_GLOBAL__N_124unique_dim_cuda_templateIN3c104HalfEEESt5tupleIJNSA_6TensorESH_SH_EERKSH_lbbbEUlllE_EE10hipError_tT0_T1_T2_jT3_P12ihipStream_tbPNSt15iterator_traitsISN_E10value_typeEPNST_ISO_E10value_typeEPSP_NS1_7vsmem_tEENKUlT_SN_SO_SP_E_clIS8_S8_S9_S9_EESM_S12_SN_SO_SP_EUlS12_E1_NS1_11comp_targetILNS1_3genE4ELNS1_11target_archE910ELNS1_3gpuE8ELNS1_3repE0EEENS1_36merge_oddeven_config_static_selectorELNS0_4arch9wavefront6targetE0EEEvSO_,@function
_ZN7rocprim17ROCPRIM_400000_NS6detail17trampoline_kernelINS0_14default_configENS1_38merge_sort_block_merge_config_selectorIlNS0_10empty_typeEEEZZNS1_27merge_sort_block_merge_implIS3_PlPS5_mZN2at6native12_GLOBAL__N_124unique_dim_cuda_templateIN3c104HalfEEESt5tupleIJNSA_6TensorESH_SH_EERKSH_lbbbEUlllE_EE10hipError_tT0_T1_T2_jT3_P12ihipStream_tbPNSt15iterator_traitsISN_E10value_typeEPNST_ISO_E10value_typeEPSP_NS1_7vsmem_tEENKUlT_SN_SO_SP_E_clIS8_S8_S9_S9_EESM_S12_SN_SO_SP_EUlS12_E1_NS1_11comp_targetILNS1_3genE4ELNS1_11target_archE910ELNS1_3gpuE8ELNS1_3repE0EEENS1_36merge_oddeven_config_static_selectorELNS0_4arch9wavefront6targetE0EEEvSO_: ; @_ZN7rocprim17ROCPRIM_400000_NS6detail17trampoline_kernelINS0_14default_configENS1_38merge_sort_block_merge_config_selectorIlNS0_10empty_typeEEEZZNS1_27merge_sort_block_merge_implIS3_PlPS5_mZN2at6native12_GLOBAL__N_124unique_dim_cuda_templateIN3c104HalfEEESt5tupleIJNSA_6TensorESH_SH_EERKSH_lbbbEUlllE_EE10hipError_tT0_T1_T2_jT3_P12ihipStream_tbPNSt15iterator_traitsISN_E10value_typeEPNST_ISO_E10value_typeEPSP_NS1_7vsmem_tEENKUlT_SN_SO_SP_E_clIS8_S8_S9_S9_EESM_S12_SN_SO_SP_EUlS12_E1_NS1_11comp_targetILNS1_3genE4ELNS1_11target_archE910ELNS1_3gpuE8ELNS1_3repE0EEENS1_36merge_oddeven_config_static_selectorELNS0_4arch9wavefront6targetE0EEEvSO_
; %bb.0:
	.section	.rodata,"a",@progbits
	.p2align	6, 0x0
	.amdhsa_kernel _ZN7rocprim17ROCPRIM_400000_NS6detail17trampoline_kernelINS0_14default_configENS1_38merge_sort_block_merge_config_selectorIlNS0_10empty_typeEEEZZNS1_27merge_sort_block_merge_implIS3_PlPS5_mZN2at6native12_GLOBAL__N_124unique_dim_cuda_templateIN3c104HalfEEESt5tupleIJNSA_6TensorESH_SH_EERKSH_lbbbEUlllE_EE10hipError_tT0_T1_T2_jT3_P12ihipStream_tbPNSt15iterator_traitsISN_E10value_typeEPNST_ISO_E10value_typeEPSP_NS1_7vsmem_tEENKUlT_SN_SO_SP_E_clIS8_S8_S9_S9_EESM_S12_SN_SO_SP_EUlS12_E1_NS1_11comp_targetILNS1_3genE4ELNS1_11target_archE910ELNS1_3gpuE8ELNS1_3repE0EEENS1_36merge_oddeven_config_static_selectorELNS0_4arch9wavefront6targetE0EEEvSO_
		.amdhsa_group_segment_fixed_size 0
		.amdhsa_private_segment_fixed_size 0
		.amdhsa_kernarg_size 64
		.amdhsa_user_sgpr_count 15
		.amdhsa_user_sgpr_dispatch_ptr 0
		.amdhsa_user_sgpr_queue_ptr 0
		.amdhsa_user_sgpr_kernarg_segment_ptr 1
		.amdhsa_user_sgpr_dispatch_id 0
		.amdhsa_user_sgpr_private_segment_size 0
		.amdhsa_wavefront_size32 1
		.amdhsa_uses_dynamic_stack 0
		.amdhsa_enable_private_segment 0
		.amdhsa_system_sgpr_workgroup_id_x 1
		.amdhsa_system_sgpr_workgroup_id_y 0
		.amdhsa_system_sgpr_workgroup_id_z 0
		.amdhsa_system_sgpr_workgroup_info 0
		.amdhsa_system_vgpr_workitem_id 0
		.amdhsa_next_free_vgpr 1
		.amdhsa_next_free_sgpr 1
		.amdhsa_reserve_vcc 0
		.amdhsa_float_round_mode_32 0
		.amdhsa_float_round_mode_16_64 0
		.amdhsa_float_denorm_mode_32 3
		.amdhsa_float_denorm_mode_16_64 3
		.amdhsa_dx10_clamp 1
		.amdhsa_ieee_mode 1
		.amdhsa_fp16_overflow 0
		.amdhsa_workgroup_processor_mode 1
		.amdhsa_memory_ordered 1
		.amdhsa_forward_progress 0
		.amdhsa_shared_vgpr_count 0
		.amdhsa_exception_fp_ieee_invalid_op 0
		.amdhsa_exception_fp_denorm_src 0
		.amdhsa_exception_fp_ieee_div_zero 0
		.amdhsa_exception_fp_ieee_overflow 0
		.amdhsa_exception_fp_ieee_underflow 0
		.amdhsa_exception_fp_ieee_inexact 0
		.amdhsa_exception_int_div_zero 0
	.end_amdhsa_kernel
	.section	.text._ZN7rocprim17ROCPRIM_400000_NS6detail17trampoline_kernelINS0_14default_configENS1_38merge_sort_block_merge_config_selectorIlNS0_10empty_typeEEEZZNS1_27merge_sort_block_merge_implIS3_PlPS5_mZN2at6native12_GLOBAL__N_124unique_dim_cuda_templateIN3c104HalfEEESt5tupleIJNSA_6TensorESH_SH_EERKSH_lbbbEUlllE_EE10hipError_tT0_T1_T2_jT3_P12ihipStream_tbPNSt15iterator_traitsISN_E10value_typeEPNST_ISO_E10value_typeEPSP_NS1_7vsmem_tEENKUlT_SN_SO_SP_E_clIS8_S8_S9_S9_EESM_S12_SN_SO_SP_EUlS12_E1_NS1_11comp_targetILNS1_3genE4ELNS1_11target_archE910ELNS1_3gpuE8ELNS1_3repE0EEENS1_36merge_oddeven_config_static_selectorELNS0_4arch9wavefront6targetE0EEEvSO_,"axG",@progbits,_ZN7rocprim17ROCPRIM_400000_NS6detail17trampoline_kernelINS0_14default_configENS1_38merge_sort_block_merge_config_selectorIlNS0_10empty_typeEEEZZNS1_27merge_sort_block_merge_implIS3_PlPS5_mZN2at6native12_GLOBAL__N_124unique_dim_cuda_templateIN3c104HalfEEESt5tupleIJNSA_6TensorESH_SH_EERKSH_lbbbEUlllE_EE10hipError_tT0_T1_T2_jT3_P12ihipStream_tbPNSt15iterator_traitsISN_E10value_typeEPNST_ISO_E10value_typeEPSP_NS1_7vsmem_tEENKUlT_SN_SO_SP_E_clIS8_S8_S9_S9_EESM_S12_SN_SO_SP_EUlS12_E1_NS1_11comp_targetILNS1_3genE4ELNS1_11target_archE910ELNS1_3gpuE8ELNS1_3repE0EEENS1_36merge_oddeven_config_static_selectorELNS0_4arch9wavefront6targetE0EEEvSO_,comdat
.Lfunc_end1265:
	.size	_ZN7rocprim17ROCPRIM_400000_NS6detail17trampoline_kernelINS0_14default_configENS1_38merge_sort_block_merge_config_selectorIlNS0_10empty_typeEEEZZNS1_27merge_sort_block_merge_implIS3_PlPS5_mZN2at6native12_GLOBAL__N_124unique_dim_cuda_templateIN3c104HalfEEESt5tupleIJNSA_6TensorESH_SH_EERKSH_lbbbEUlllE_EE10hipError_tT0_T1_T2_jT3_P12ihipStream_tbPNSt15iterator_traitsISN_E10value_typeEPNST_ISO_E10value_typeEPSP_NS1_7vsmem_tEENKUlT_SN_SO_SP_E_clIS8_S8_S9_S9_EESM_S12_SN_SO_SP_EUlS12_E1_NS1_11comp_targetILNS1_3genE4ELNS1_11target_archE910ELNS1_3gpuE8ELNS1_3repE0EEENS1_36merge_oddeven_config_static_selectorELNS0_4arch9wavefront6targetE0EEEvSO_, .Lfunc_end1265-_ZN7rocprim17ROCPRIM_400000_NS6detail17trampoline_kernelINS0_14default_configENS1_38merge_sort_block_merge_config_selectorIlNS0_10empty_typeEEEZZNS1_27merge_sort_block_merge_implIS3_PlPS5_mZN2at6native12_GLOBAL__N_124unique_dim_cuda_templateIN3c104HalfEEESt5tupleIJNSA_6TensorESH_SH_EERKSH_lbbbEUlllE_EE10hipError_tT0_T1_T2_jT3_P12ihipStream_tbPNSt15iterator_traitsISN_E10value_typeEPNST_ISO_E10value_typeEPSP_NS1_7vsmem_tEENKUlT_SN_SO_SP_E_clIS8_S8_S9_S9_EESM_S12_SN_SO_SP_EUlS12_E1_NS1_11comp_targetILNS1_3genE4ELNS1_11target_archE910ELNS1_3gpuE8ELNS1_3repE0EEENS1_36merge_oddeven_config_static_selectorELNS0_4arch9wavefront6targetE0EEEvSO_
                                        ; -- End function
	.section	.AMDGPU.csdata,"",@progbits
; Kernel info:
; codeLenInByte = 0
; NumSgprs: 0
; NumVgprs: 0
; ScratchSize: 0
; MemoryBound: 0
; FloatMode: 240
; IeeeMode: 1
; LDSByteSize: 0 bytes/workgroup (compile time only)
; SGPRBlocks: 0
; VGPRBlocks: 0
; NumSGPRsForWavesPerEU: 1
; NumVGPRsForWavesPerEU: 1
; Occupancy: 16
; WaveLimiterHint : 0
; COMPUTE_PGM_RSRC2:SCRATCH_EN: 0
; COMPUTE_PGM_RSRC2:USER_SGPR: 15
; COMPUTE_PGM_RSRC2:TRAP_HANDLER: 0
; COMPUTE_PGM_RSRC2:TGID_X_EN: 1
; COMPUTE_PGM_RSRC2:TGID_Y_EN: 0
; COMPUTE_PGM_RSRC2:TGID_Z_EN: 0
; COMPUTE_PGM_RSRC2:TIDIG_COMP_CNT: 0
	.section	.text._ZN7rocprim17ROCPRIM_400000_NS6detail17trampoline_kernelINS0_14default_configENS1_38merge_sort_block_merge_config_selectorIlNS0_10empty_typeEEEZZNS1_27merge_sort_block_merge_implIS3_PlPS5_mZN2at6native12_GLOBAL__N_124unique_dim_cuda_templateIN3c104HalfEEESt5tupleIJNSA_6TensorESH_SH_EERKSH_lbbbEUlllE_EE10hipError_tT0_T1_T2_jT3_P12ihipStream_tbPNSt15iterator_traitsISN_E10value_typeEPNST_ISO_E10value_typeEPSP_NS1_7vsmem_tEENKUlT_SN_SO_SP_E_clIS8_S8_S9_S9_EESM_S12_SN_SO_SP_EUlS12_E1_NS1_11comp_targetILNS1_3genE3ELNS1_11target_archE908ELNS1_3gpuE7ELNS1_3repE0EEENS1_36merge_oddeven_config_static_selectorELNS0_4arch9wavefront6targetE0EEEvSO_,"axG",@progbits,_ZN7rocprim17ROCPRIM_400000_NS6detail17trampoline_kernelINS0_14default_configENS1_38merge_sort_block_merge_config_selectorIlNS0_10empty_typeEEEZZNS1_27merge_sort_block_merge_implIS3_PlPS5_mZN2at6native12_GLOBAL__N_124unique_dim_cuda_templateIN3c104HalfEEESt5tupleIJNSA_6TensorESH_SH_EERKSH_lbbbEUlllE_EE10hipError_tT0_T1_T2_jT3_P12ihipStream_tbPNSt15iterator_traitsISN_E10value_typeEPNST_ISO_E10value_typeEPSP_NS1_7vsmem_tEENKUlT_SN_SO_SP_E_clIS8_S8_S9_S9_EESM_S12_SN_SO_SP_EUlS12_E1_NS1_11comp_targetILNS1_3genE3ELNS1_11target_archE908ELNS1_3gpuE7ELNS1_3repE0EEENS1_36merge_oddeven_config_static_selectorELNS0_4arch9wavefront6targetE0EEEvSO_,comdat
	.globl	_ZN7rocprim17ROCPRIM_400000_NS6detail17trampoline_kernelINS0_14default_configENS1_38merge_sort_block_merge_config_selectorIlNS0_10empty_typeEEEZZNS1_27merge_sort_block_merge_implIS3_PlPS5_mZN2at6native12_GLOBAL__N_124unique_dim_cuda_templateIN3c104HalfEEESt5tupleIJNSA_6TensorESH_SH_EERKSH_lbbbEUlllE_EE10hipError_tT0_T1_T2_jT3_P12ihipStream_tbPNSt15iterator_traitsISN_E10value_typeEPNST_ISO_E10value_typeEPSP_NS1_7vsmem_tEENKUlT_SN_SO_SP_E_clIS8_S8_S9_S9_EESM_S12_SN_SO_SP_EUlS12_E1_NS1_11comp_targetILNS1_3genE3ELNS1_11target_archE908ELNS1_3gpuE7ELNS1_3repE0EEENS1_36merge_oddeven_config_static_selectorELNS0_4arch9wavefront6targetE0EEEvSO_ ; -- Begin function _ZN7rocprim17ROCPRIM_400000_NS6detail17trampoline_kernelINS0_14default_configENS1_38merge_sort_block_merge_config_selectorIlNS0_10empty_typeEEEZZNS1_27merge_sort_block_merge_implIS3_PlPS5_mZN2at6native12_GLOBAL__N_124unique_dim_cuda_templateIN3c104HalfEEESt5tupleIJNSA_6TensorESH_SH_EERKSH_lbbbEUlllE_EE10hipError_tT0_T1_T2_jT3_P12ihipStream_tbPNSt15iterator_traitsISN_E10value_typeEPNST_ISO_E10value_typeEPSP_NS1_7vsmem_tEENKUlT_SN_SO_SP_E_clIS8_S8_S9_S9_EESM_S12_SN_SO_SP_EUlS12_E1_NS1_11comp_targetILNS1_3genE3ELNS1_11target_archE908ELNS1_3gpuE7ELNS1_3repE0EEENS1_36merge_oddeven_config_static_selectorELNS0_4arch9wavefront6targetE0EEEvSO_
	.p2align	8
	.type	_ZN7rocprim17ROCPRIM_400000_NS6detail17trampoline_kernelINS0_14default_configENS1_38merge_sort_block_merge_config_selectorIlNS0_10empty_typeEEEZZNS1_27merge_sort_block_merge_implIS3_PlPS5_mZN2at6native12_GLOBAL__N_124unique_dim_cuda_templateIN3c104HalfEEESt5tupleIJNSA_6TensorESH_SH_EERKSH_lbbbEUlllE_EE10hipError_tT0_T1_T2_jT3_P12ihipStream_tbPNSt15iterator_traitsISN_E10value_typeEPNST_ISO_E10value_typeEPSP_NS1_7vsmem_tEENKUlT_SN_SO_SP_E_clIS8_S8_S9_S9_EESM_S12_SN_SO_SP_EUlS12_E1_NS1_11comp_targetILNS1_3genE3ELNS1_11target_archE908ELNS1_3gpuE7ELNS1_3repE0EEENS1_36merge_oddeven_config_static_selectorELNS0_4arch9wavefront6targetE0EEEvSO_,@function
_ZN7rocprim17ROCPRIM_400000_NS6detail17trampoline_kernelINS0_14default_configENS1_38merge_sort_block_merge_config_selectorIlNS0_10empty_typeEEEZZNS1_27merge_sort_block_merge_implIS3_PlPS5_mZN2at6native12_GLOBAL__N_124unique_dim_cuda_templateIN3c104HalfEEESt5tupleIJNSA_6TensorESH_SH_EERKSH_lbbbEUlllE_EE10hipError_tT0_T1_T2_jT3_P12ihipStream_tbPNSt15iterator_traitsISN_E10value_typeEPNST_ISO_E10value_typeEPSP_NS1_7vsmem_tEENKUlT_SN_SO_SP_E_clIS8_S8_S9_S9_EESM_S12_SN_SO_SP_EUlS12_E1_NS1_11comp_targetILNS1_3genE3ELNS1_11target_archE908ELNS1_3gpuE7ELNS1_3repE0EEENS1_36merge_oddeven_config_static_selectorELNS0_4arch9wavefront6targetE0EEEvSO_: ; @_ZN7rocprim17ROCPRIM_400000_NS6detail17trampoline_kernelINS0_14default_configENS1_38merge_sort_block_merge_config_selectorIlNS0_10empty_typeEEEZZNS1_27merge_sort_block_merge_implIS3_PlPS5_mZN2at6native12_GLOBAL__N_124unique_dim_cuda_templateIN3c104HalfEEESt5tupleIJNSA_6TensorESH_SH_EERKSH_lbbbEUlllE_EE10hipError_tT0_T1_T2_jT3_P12ihipStream_tbPNSt15iterator_traitsISN_E10value_typeEPNST_ISO_E10value_typeEPSP_NS1_7vsmem_tEENKUlT_SN_SO_SP_E_clIS8_S8_S9_S9_EESM_S12_SN_SO_SP_EUlS12_E1_NS1_11comp_targetILNS1_3genE3ELNS1_11target_archE908ELNS1_3gpuE7ELNS1_3repE0EEENS1_36merge_oddeven_config_static_selectorELNS0_4arch9wavefront6targetE0EEEvSO_
; %bb.0:
	.section	.rodata,"a",@progbits
	.p2align	6, 0x0
	.amdhsa_kernel _ZN7rocprim17ROCPRIM_400000_NS6detail17trampoline_kernelINS0_14default_configENS1_38merge_sort_block_merge_config_selectorIlNS0_10empty_typeEEEZZNS1_27merge_sort_block_merge_implIS3_PlPS5_mZN2at6native12_GLOBAL__N_124unique_dim_cuda_templateIN3c104HalfEEESt5tupleIJNSA_6TensorESH_SH_EERKSH_lbbbEUlllE_EE10hipError_tT0_T1_T2_jT3_P12ihipStream_tbPNSt15iterator_traitsISN_E10value_typeEPNST_ISO_E10value_typeEPSP_NS1_7vsmem_tEENKUlT_SN_SO_SP_E_clIS8_S8_S9_S9_EESM_S12_SN_SO_SP_EUlS12_E1_NS1_11comp_targetILNS1_3genE3ELNS1_11target_archE908ELNS1_3gpuE7ELNS1_3repE0EEENS1_36merge_oddeven_config_static_selectorELNS0_4arch9wavefront6targetE0EEEvSO_
		.amdhsa_group_segment_fixed_size 0
		.amdhsa_private_segment_fixed_size 0
		.amdhsa_kernarg_size 64
		.amdhsa_user_sgpr_count 15
		.amdhsa_user_sgpr_dispatch_ptr 0
		.amdhsa_user_sgpr_queue_ptr 0
		.amdhsa_user_sgpr_kernarg_segment_ptr 1
		.amdhsa_user_sgpr_dispatch_id 0
		.amdhsa_user_sgpr_private_segment_size 0
		.amdhsa_wavefront_size32 1
		.amdhsa_uses_dynamic_stack 0
		.amdhsa_enable_private_segment 0
		.amdhsa_system_sgpr_workgroup_id_x 1
		.amdhsa_system_sgpr_workgroup_id_y 0
		.amdhsa_system_sgpr_workgroup_id_z 0
		.amdhsa_system_sgpr_workgroup_info 0
		.amdhsa_system_vgpr_workitem_id 0
		.amdhsa_next_free_vgpr 1
		.amdhsa_next_free_sgpr 1
		.amdhsa_reserve_vcc 0
		.amdhsa_float_round_mode_32 0
		.amdhsa_float_round_mode_16_64 0
		.amdhsa_float_denorm_mode_32 3
		.amdhsa_float_denorm_mode_16_64 3
		.amdhsa_dx10_clamp 1
		.amdhsa_ieee_mode 1
		.amdhsa_fp16_overflow 0
		.amdhsa_workgroup_processor_mode 1
		.amdhsa_memory_ordered 1
		.amdhsa_forward_progress 0
		.amdhsa_shared_vgpr_count 0
		.amdhsa_exception_fp_ieee_invalid_op 0
		.amdhsa_exception_fp_denorm_src 0
		.amdhsa_exception_fp_ieee_div_zero 0
		.amdhsa_exception_fp_ieee_overflow 0
		.amdhsa_exception_fp_ieee_underflow 0
		.amdhsa_exception_fp_ieee_inexact 0
		.amdhsa_exception_int_div_zero 0
	.end_amdhsa_kernel
	.section	.text._ZN7rocprim17ROCPRIM_400000_NS6detail17trampoline_kernelINS0_14default_configENS1_38merge_sort_block_merge_config_selectorIlNS0_10empty_typeEEEZZNS1_27merge_sort_block_merge_implIS3_PlPS5_mZN2at6native12_GLOBAL__N_124unique_dim_cuda_templateIN3c104HalfEEESt5tupleIJNSA_6TensorESH_SH_EERKSH_lbbbEUlllE_EE10hipError_tT0_T1_T2_jT3_P12ihipStream_tbPNSt15iterator_traitsISN_E10value_typeEPNST_ISO_E10value_typeEPSP_NS1_7vsmem_tEENKUlT_SN_SO_SP_E_clIS8_S8_S9_S9_EESM_S12_SN_SO_SP_EUlS12_E1_NS1_11comp_targetILNS1_3genE3ELNS1_11target_archE908ELNS1_3gpuE7ELNS1_3repE0EEENS1_36merge_oddeven_config_static_selectorELNS0_4arch9wavefront6targetE0EEEvSO_,"axG",@progbits,_ZN7rocprim17ROCPRIM_400000_NS6detail17trampoline_kernelINS0_14default_configENS1_38merge_sort_block_merge_config_selectorIlNS0_10empty_typeEEEZZNS1_27merge_sort_block_merge_implIS3_PlPS5_mZN2at6native12_GLOBAL__N_124unique_dim_cuda_templateIN3c104HalfEEESt5tupleIJNSA_6TensorESH_SH_EERKSH_lbbbEUlllE_EE10hipError_tT0_T1_T2_jT3_P12ihipStream_tbPNSt15iterator_traitsISN_E10value_typeEPNST_ISO_E10value_typeEPSP_NS1_7vsmem_tEENKUlT_SN_SO_SP_E_clIS8_S8_S9_S9_EESM_S12_SN_SO_SP_EUlS12_E1_NS1_11comp_targetILNS1_3genE3ELNS1_11target_archE908ELNS1_3gpuE7ELNS1_3repE0EEENS1_36merge_oddeven_config_static_selectorELNS0_4arch9wavefront6targetE0EEEvSO_,comdat
.Lfunc_end1266:
	.size	_ZN7rocprim17ROCPRIM_400000_NS6detail17trampoline_kernelINS0_14default_configENS1_38merge_sort_block_merge_config_selectorIlNS0_10empty_typeEEEZZNS1_27merge_sort_block_merge_implIS3_PlPS5_mZN2at6native12_GLOBAL__N_124unique_dim_cuda_templateIN3c104HalfEEESt5tupleIJNSA_6TensorESH_SH_EERKSH_lbbbEUlllE_EE10hipError_tT0_T1_T2_jT3_P12ihipStream_tbPNSt15iterator_traitsISN_E10value_typeEPNST_ISO_E10value_typeEPSP_NS1_7vsmem_tEENKUlT_SN_SO_SP_E_clIS8_S8_S9_S9_EESM_S12_SN_SO_SP_EUlS12_E1_NS1_11comp_targetILNS1_3genE3ELNS1_11target_archE908ELNS1_3gpuE7ELNS1_3repE0EEENS1_36merge_oddeven_config_static_selectorELNS0_4arch9wavefront6targetE0EEEvSO_, .Lfunc_end1266-_ZN7rocprim17ROCPRIM_400000_NS6detail17trampoline_kernelINS0_14default_configENS1_38merge_sort_block_merge_config_selectorIlNS0_10empty_typeEEEZZNS1_27merge_sort_block_merge_implIS3_PlPS5_mZN2at6native12_GLOBAL__N_124unique_dim_cuda_templateIN3c104HalfEEESt5tupleIJNSA_6TensorESH_SH_EERKSH_lbbbEUlllE_EE10hipError_tT0_T1_T2_jT3_P12ihipStream_tbPNSt15iterator_traitsISN_E10value_typeEPNST_ISO_E10value_typeEPSP_NS1_7vsmem_tEENKUlT_SN_SO_SP_E_clIS8_S8_S9_S9_EESM_S12_SN_SO_SP_EUlS12_E1_NS1_11comp_targetILNS1_3genE3ELNS1_11target_archE908ELNS1_3gpuE7ELNS1_3repE0EEENS1_36merge_oddeven_config_static_selectorELNS0_4arch9wavefront6targetE0EEEvSO_
                                        ; -- End function
	.section	.AMDGPU.csdata,"",@progbits
; Kernel info:
; codeLenInByte = 0
; NumSgprs: 0
; NumVgprs: 0
; ScratchSize: 0
; MemoryBound: 0
; FloatMode: 240
; IeeeMode: 1
; LDSByteSize: 0 bytes/workgroup (compile time only)
; SGPRBlocks: 0
; VGPRBlocks: 0
; NumSGPRsForWavesPerEU: 1
; NumVGPRsForWavesPerEU: 1
; Occupancy: 16
; WaveLimiterHint : 0
; COMPUTE_PGM_RSRC2:SCRATCH_EN: 0
; COMPUTE_PGM_RSRC2:USER_SGPR: 15
; COMPUTE_PGM_RSRC2:TRAP_HANDLER: 0
; COMPUTE_PGM_RSRC2:TGID_X_EN: 1
; COMPUTE_PGM_RSRC2:TGID_Y_EN: 0
; COMPUTE_PGM_RSRC2:TGID_Z_EN: 0
; COMPUTE_PGM_RSRC2:TIDIG_COMP_CNT: 0
	.section	.text._ZN7rocprim17ROCPRIM_400000_NS6detail17trampoline_kernelINS0_14default_configENS1_38merge_sort_block_merge_config_selectorIlNS0_10empty_typeEEEZZNS1_27merge_sort_block_merge_implIS3_PlPS5_mZN2at6native12_GLOBAL__N_124unique_dim_cuda_templateIN3c104HalfEEESt5tupleIJNSA_6TensorESH_SH_EERKSH_lbbbEUlllE_EE10hipError_tT0_T1_T2_jT3_P12ihipStream_tbPNSt15iterator_traitsISN_E10value_typeEPNST_ISO_E10value_typeEPSP_NS1_7vsmem_tEENKUlT_SN_SO_SP_E_clIS8_S8_S9_S9_EESM_S12_SN_SO_SP_EUlS12_E1_NS1_11comp_targetILNS1_3genE2ELNS1_11target_archE906ELNS1_3gpuE6ELNS1_3repE0EEENS1_36merge_oddeven_config_static_selectorELNS0_4arch9wavefront6targetE0EEEvSO_,"axG",@progbits,_ZN7rocprim17ROCPRIM_400000_NS6detail17trampoline_kernelINS0_14default_configENS1_38merge_sort_block_merge_config_selectorIlNS0_10empty_typeEEEZZNS1_27merge_sort_block_merge_implIS3_PlPS5_mZN2at6native12_GLOBAL__N_124unique_dim_cuda_templateIN3c104HalfEEESt5tupleIJNSA_6TensorESH_SH_EERKSH_lbbbEUlllE_EE10hipError_tT0_T1_T2_jT3_P12ihipStream_tbPNSt15iterator_traitsISN_E10value_typeEPNST_ISO_E10value_typeEPSP_NS1_7vsmem_tEENKUlT_SN_SO_SP_E_clIS8_S8_S9_S9_EESM_S12_SN_SO_SP_EUlS12_E1_NS1_11comp_targetILNS1_3genE2ELNS1_11target_archE906ELNS1_3gpuE6ELNS1_3repE0EEENS1_36merge_oddeven_config_static_selectorELNS0_4arch9wavefront6targetE0EEEvSO_,comdat
	.globl	_ZN7rocprim17ROCPRIM_400000_NS6detail17trampoline_kernelINS0_14default_configENS1_38merge_sort_block_merge_config_selectorIlNS0_10empty_typeEEEZZNS1_27merge_sort_block_merge_implIS3_PlPS5_mZN2at6native12_GLOBAL__N_124unique_dim_cuda_templateIN3c104HalfEEESt5tupleIJNSA_6TensorESH_SH_EERKSH_lbbbEUlllE_EE10hipError_tT0_T1_T2_jT3_P12ihipStream_tbPNSt15iterator_traitsISN_E10value_typeEPNST_ISO_E10value_typeEPSP_NS1_7vsmem_tEENKUlT_SN_SO_SP_E_clIS8_S8_S9_S9_EESM_S12_SN_SO_SP_EUlS12_E1_NS1_11comp_targetILNS1_3genE2ELNS1_11target_archE906ELNS1_3gpuE6ELNS1_3repE0EEENS1_36merge_oddeven_config_static_selectorELNS0_4arch9wavefront6targetE0EEEvSO_ ; -- Begin function _ZN7rocprim17ROCPRIM_400000_NS6detail17trampoline_kernelINS0_14default_configENS1_38merge_sort_block_merge_config_selectorIlNS0_10empty_typeEEEZZNS1_27merge_sort_block_merge_implIS3_PlPS5_mZN2at6native12_GLOBAL__N_124unique_dim_cuda_templateIN3c104HalfEEESt5tupleIJNSA_6TensorESH_SH_EERKSH_lbbbEUlllE_EE10hipError_tT0_T1_T2_jT3_P12ihipStream_tbPNSt15iterator_traitsISN_E10value_typeEPNST_ISO_E10value_typeEPSP_NS1_7vsmem_tEENKUlT_SN_SO_SP_E_clIS8_S8_S9_S9_EESM_S12_SN_SO_SP_EUlS12_E1_NS1_11comp_targetILNS1_3genE2ELNS1_11target_archE906ELNS1_3gpuE6ELNS1_3repE0EEENS1_36merge_oddeven_config_static_selectorELNS0_4arch9wavefront6targetE0EEEvSO_
	.p2align	8
	.type	_ZN7rocprim17ROCPRIM_400000_NS6detail17trampoline_kernelINS0_14default_configENS1_38merge_sort_block_merge_config_selectorIlNS0_10empty_typeEEEZZNS1_27merge_sort_block_merge_implIS3_PlPS5_mZN2at6native12_GLOBAL__N_124unique_dim_cuda_templateIN3c104HalfEEESt5tupleIJNSA_6TensorESH_SH_EERKSH_lbbbEUlllE_EE10hipError_tT0_T1_T2_jT3_P12ihipStream_tbPNSt15iterator_traitsISN_E10value_typeEPNST_ISO_E10value_typeEPSP_NS1_7vsmem_tEENKUlT_SN_SO_SP_E_clIS8_S8_S9_S9_EESM_S12_SN_SO_SP_EUlS12_E1_NS1_11comp_targetILNS1_3genE2ELNS1_11target_archE906ELNS1_3gpuE6ELNS1_3repE0EEENS1_36merge_oddeven_config_static_selectorELNS0_4arch9wavefront6targetE0EEEvSO_,@function
_ZN7rocprim17ROCPRIM_400000_NS6detail17trampoline_kernelINS0_14default_configENS1_38merge_sort_block_merge_config_selectorIlNS0_10empty_typeEEEZZNS1_27merge_sort_block_merge_implIS3_PlPS5_mZN2at6native12_GLOBAL__N_124unique_dim_cuda_templateIN3c104HalfEEESt5tupleIJNSA_6TensorESH_SH_EERKSH_lbbbEUlllE_EE10hipError_tT0_T1_T2_jT3_P12ihipStream_tbPNSt15iterator_traitsISN_E10value_typeEPNST_ISO_E10value_typeEPSP_NS1_7vsmem_tEENKUlT_SN_SO_SP_E_clIS8_S8_S9_S9_EESM_S12_SN_SO_SP_EUlS12_E1_NS1_11comp_targetILNS1_3genE2ELNS1_11target_archE906ELNS1_3gpuE6ELNS1_3repE0EEENS1_36merge_oddeven_config_static_selectorELNS0_4arch9wavefront6targetE0EEEvSO_: ; @_ZN7rocprim17ROCPRIM_400000_NS6detail17trampoline_kernelINS0_14default_configENS1_38merge_sort_block_merge_config_selectorIlNS0_10empty_typeEEEZZNS1_27merge_sort_block_merge_implIS3_PlPS5_mZN2at6native12_GLOBAL__N_124unique_dim_cuda_templateIN3c104HalfEEESt5tupleIJNSA_6TensorESH_SH_EERKSH_lbbbEUlllE_EE10hipError_tT0_T1_T2_jT3_P12ihipStream_tbPNSt15iterator_traitsISN_E10value_typeEPNST_ISO_E10value_typeEPSP_NS1_7vsmem_tEENKUlT_SN_SO_SP_E_clIS8_S8_S9_S9_EESM_S12_SN_SO_SP_EUlS12_E1_NS1_11comp_targetILNS1_3genE2ELNS1_11target_archE906ELNS1_3gpuE6ELNS1_3repE0EEENS1_36merge_oddeven_config_static_selectorELNS0_4arch9wavefront6targetE0EEEvSO_
; %bb.0:
	.section	.rodata,"a",@progbits
	.p2align	6, 0x0
	.amdhsa_kernel _ZN7rocprim17ROCPRIM_400000_NS6detail17trampoline_kernelINS0_14default_configENS1_38merge_sort_block_merge_config_selectorIlNS0_10empty_typeEEEZZNS1_27merge_sort_block_merge_implIS3_PlPS5_mZN2at6native12_GLOBAL__N_124unique_dim_cuda_templateIN3c104HalfEEESt5tupleIJNSA_6TensorESH_SH_EERKSH_lbbbEUlllE_EE10hipError_tT0_T1_T2_jT3_P12ihipStream_tbPNSt15iterator_traitsISN_E10value_typeEPNST_ISO_E10value_typeEPSP_NS1_7vsmem_tEENKUlT_SN_SO_SP_E_clIS8_S8_S9_S9_EESM_S12_SN_SO_SP_EUlS12_E1_NS1_11comp_targetILNS1_3genE2ELNS1_11target_archE906ELNS1_3gpuE6ELNS1_3repE0EEENS1_36merge_oddeven_config_static_selectorELNS0_4arch9wavefront6targetE0EEEvSO_
		.amdhsa_group_segment_fixed_size 0
		.amdhsa_private_segment_fixed_size 0
		.amdhsa_kernarg_size 64
		.amdhsa_user_sgpr_count 15
		.amdhsa_user_sgpr_dispatch_ptr 0
		.amdhsa_user_sgpr_queue_ptr 0
		.amdhsa_user_sgpr_kernarg_segment_ptr 1
		.amdhsa_user_sgpr_dispatch_id 0
		.amdhsa_user_sgpr_private_segment_size 0
		.amdhsa_wavefront_size32 1
		.amdhsa_uses_dynamic_stack 0
		.amdhsa_enable_private_segment 0
		.amdhsa_system_sgpr_workgroup_id_x 1
		.amdhsa_system_sgpr_workgroup_id_y 0
		.amdhsa_system_sgpr_workgroup_id_z 0
		.amdhsa_system_sgpr_workgroup_info 0
		.amdhsa_system_vgpr_workitem_id 0
		.amdhsa_next_free_vgpr 1
		.amdhsa_next_free_sgpr 1
		.amdhsa_reserve_vcc 0
		.amdhsa_float_round_mode_32 0
		.amdhsa_float_round_mode_16_64 0
		.amdhsa_float_denorm_mode_32 3
		.amdhsa_float_denorm_mode_16_64 3
		.amdhsa_dx10_clamp 1
		.amdhsa_ieee_mode 1
		.amdhsa_fp16_overflow 0
		.amdhsa_workgroup_processor_mode 1
		.amdhsa_memory_ordered 1
		.amdhsa_forward_progress 0
		.amdhsa_shared_vgpr_count 0
		.amdhsa_exception_fp_ieee_invalid_op 0
		.amdhsa_exception_fp_denorm_src 0
		.amdhsa_exception_fp_ieee_div_zero 0
		.amdhsa_exception_fp_ieee_overflow 0
		.amdhsa_exception_fp_ieee_underflow 0
		.amdhsa_exception_fp_ieee_inexact 0
		.amdhsa_exception_int_div_zero 0
	.end_amdhsa_kernel
	.section	.text._ZN7rocprim17ROCPRIM_400000_NS6detail17trampoline_kernelINS0_14default_configENS1_38merge_sort_block_merge_config_selectorIlNS0_10empty_typeEEEZZNS1_27merge_sort_block_merge_implIS3_PlPS5_mZN2at6native12_GLOBAL__N_124unique_dim_cuda_templateIN3c104HalfEEESt5tupleIJNSA_6TensorESH_SH_EERKSH_lbbbEUlllE_EE10hipError_tT0_T1_T2_jT3_P12ihipStream_tbPNSt15iterator_traitsISN_E10value_typeEPNST_ISO_E10value_typeEPSP_NS1_7vsmem_tEENKUlT_SN_SO_SP_E_clIS8_S8_S9_S9_EESM_S12_SN_SO_SP_EUlS12_E1_NS1_11comp_targetILNS1_3genE2ELNS1_11target_archE906ELNS1_3gpuE6ELNS1_3repE0EEENS1_36merge_oddeven_config_static_selectorELNS0_4arch9wavefront6targetE0EEEvSO_,"axG",@progbits,_ZN7rocprim17ROCPRIM_400000_NS6detail17trampoline_kernelINS0_14default_configENS1_38merge_sort_block_merge_config_selectorIlNS0_10empty_typeEEEZZNS1_27merge_sort_block_merge_implIS3_PlPS5_mZN2at6native12_GLOBAL__N_124unique_dim_cuda_templateIN3c104HalfEEESt5tupleIJNSA_6TensorESH_SH_EERKSH_lbbbEUlllE_EE10hipError_tT0_T1_T2_jT3_P12ihipStream_tbPNSt15iterator_traitsISN_E10value_typeEPNST_ISO_E10value_typeEPSP_NS1_7vsmem_tEENKUlT_SN_SO_SP_E_clIS8_S8_S9_S9_EESM_S12_SN_SO_SP_EUlS12_E1_NS1_11comp_targetILNS1_3genE2ELNS1_11target_archE906ELNS1_3gpuE6ELNS1_3repE0EEENS1_36merge_oddeven_config_static_selectorELNS0_4arch9wavefront6targetE0EEEvSO_,comdat
.Lfunc_end1267:
	.size	_ZN7rocprim17ROCPRIM_400000_NS6detail17trampoline_kernelINS0_14default_configENS1_38merge_sort_block_merge_config_selectorIlNS0_10empty_typeEEEZZNS1_27merge_sort_block_merge_implIS3_PlPS5_mZN2at6native12_GLOBAL__N_124unique_dim_cuda_templateIN3c104HalfEEESt5tupleIJNSA_6TensorESH_SH_EERKSH_lbbbEUlllE_EE10hipError_tT0_T1_T2_jT3_P12ihipStream_tbPNSt15iterator_traitsISN_E10value_typeEPNST_ISO_E10value_typeEPSP_NS1_7vsmem_tEENKUlT_SN_SO_SP_E_clIS8_S8_S9_S9_EESM_S12_SN_SO_SP_EUlS12_E1_NS1_11comp_targetILNS1_3genE2ELNS1_11target_archE906ELNS1_3gpuE6ELNS1_3repE0EEENS1_36merge_oddeven_config_static_selectorELNS0_4arch9wavefront6targetE0EEEvSO_, .Lfunc_end1267-_ZN7rocprim17ROCPRIM_400000_NS6detail17trampoline_kernelINS0_14default_configENS1_38merge_sort_block_merge_config_selectorIlNS0_10empty_typeEEEZZNS1_27merge_sort_block_merge_implIS3_PlPS5_mZN2at6native12_GLOBAL__N_124unique_dim_cuda_templateIN3c104HalfEEESt5tupleIJNSA_6TensorESH_SH_EERKSH_lbbbEUlllE_EE10hipError_tT0_T1_T2_jT3_P12ihipStream_tbPNSt15iterator_traitsISN_E10value_typeEPNST_ISO_E10value_typeEPSP_NS1_7vsmem_tEENKUlT_SN_SO_SP_E_clIS8_S8_S9_S9_EESM_S12_SN_SO_SP_EUlS12_E1_NS1_11comp_targetILNS1_3genE2ELNS1_11target_archE906ELNS1_3gpuE6ELNS1_3repE0EEENS1_36merge_oddeven_config_static_selectorELNS0_4arch9wavefront6targetE0EEEvSO_
                                        ; -- End function
	.section	.AMDGPU.csdata,"",@progbits
; Kernel info:
; codeLenInByte = 0
; NumSgprs: 0
; NumVgprs: 0
; ScratchSize: 0
; MemoryBound: 0
; FloatMode: 240
; IeeeMode: 1
; LDSByteSize: 0 bytes/workgroup (compile time only)
; SGPRBlocks: 0
; VGPRBlocks: 0
; NumSGPRsForWavesPerEU: 1
; NumVGPRsForWavesPerEU: 1
; Occupancy: 16
; WaveLimiterHint : 0
; COMPUTE_PGM_RSRC2:SCRATCH_EN: 0
; COMPUTE_PGM_RSRC2:USER_SGPR: 15
; COMPUTE_PGM_RSRC2:TRAP_HANDLER: 0
; COMPUTE_PGM_RSRC2:TGID_X_EN: 1
; COMPUTE_PGM_RSRC2:TGID_Y_EN: 0
; COMPUTE_PGM_RSRC2:TGID_Z_EN: 0
; COMPUTE_PGM_RSRC2:TIDIG_COMP_CNT: 0
	.section	.text._ZN7rocprim17ROCPRIM_400000_NS6detail17trampoline_kernelINS0_14default_configENS1_38merge_sort_block_merge_config_selectorIlNS0_10empty_typeEEEZZNS1_27merge_sort_block_merge_implIS3_PlPS5_mZN2at6native12_GLOBAL__N_124unique_dim_cuda_templateIN3c104HalfEEESt5tupleIJNSA_6TensorESH_SH_EERKSH_lbbbEUlllE_EE10hipError_tT0_T1_T2_jT3_P12ihipStream_tbPNSt15iterator_traitsISN_E10value_typeEPNST_ISO_E10value_typeEPSP_NS1_7vsmem_tEENKUlT_SN_SO_SP_E_clIS8_S8_S9_S9_EESM_S12_SN_SO_SP_EUlS12_E1_NS1_11comp_targetILNS1_3genE9ELNS1_11target_archE1100ELNS1_3gpuE3ELNS1_3repE0EEENS1_36merge_oddeven_config_static_selectorELNS0_4arch9wavefront6targetE0EEEvSO_,"axG",@progbits,_ZN7rocprim17ROCPRIM_400000_NS6detail17trampoline_kernelINS0_14default_configENS1_38merge_sort_block_merge_config_selectorIlNS0_10empty_typeEEEZZNS1_27merge_sort_block_merge_implIS3_PlPS5_mZN2at6native12_GLOBAL__N_124unique_dim_cuda_templateIN3c104HalfEEESt5tupleIJNSA_6TensorESH_SH_EERKSH_lbbbEUlllE_EE10hipError_tT0_T1_T2_jT3_P12ihipStream_tbPNSt15iterator_traitsISN_E10value_typeEPNST_ISO_E10value_typeEPSP_NS1_7vsmem_tEENKUlT_SN_SO_SP_E_clIS8_S8_S9_S9_EESM_S12_SN_SO_SP_EUlS12_E1_NS1_11comp_targetILNS1_3genE9ELNS1_11target_archE1100ELNS1_3gpuE3ELNS1_3repE0EEENS1_36merge_oddeven_config_static_selectorELNS0_4arch9wavefront6targetE0EEEvSO_,comdat
	.globl	_ZN7rocprim17ROCPRIM_400000_NS6detail17trampoline_kernelINS0_14default_configENS1_38merge_sort_block_merge_config_selectorIlNS0_10empty_typeEEEZZNS1_27merge_sort_block_merge_implIS3_PlPS5_mZN2at6native12_GLOBAL__N_124unique_dim_cuda_templateIN3c104HalfEEESt5tupleIJNSA_6TensorESH_SH_EERKSH_lbbbEUlllE_EE10hipError_tT0_T1_T2_jT3_P12ihipStream_tbPNSt15iterator_traitsISN_E10value_typeEPNST_ISO_E10value_typeEPSP_NS1_7vsmem_tEENKUlT_SN_SO_SP_E_clIS8_S8_S9_S9_EESM_S12_SN_SO_SP_EUlS12_E1_NS1_11comp_targetILNS1_3genE9ELNS1_11target_archE1100ELNS1_3gpuE3ELNS1_3repE0EEENS1_36merge_oddeven_config_static_selectorELNS0_4arch9wavefront6targetE0EEEvSO_ ; -- Begin function _ZN7rocprim17ROCPRIM_400000_NS6detail17trampoline_kernelINS0_14default_configENS1_38merge_sort_block_merge_config_selectorIlNS0_10empty_typeEEEZZNS1_27merge_sort_block_merge_implIS3_PlPS5_mZN2at6native12_GLOBAL__N_124unique_dim_cuda_templateIN3c104HalfEEESt5tupleIJNSA_6TensorESH_SH_EERKSH_lbbbEUlllE_EE10hipError_tT0_T1_T2_jT3_P12ihipStream_tbPNSt15iterator_traitsISN_E10value_typeEPNST_ISO_E10value_typeEPSP_NS1_7vsmem_tEENKUlT_SN_SO_SP_E_clIS8_S8_S9_S9_EESM_S12_SN_SO_SP_EUlS12_E1_NS1_11comp_targetILNS1_3genE9ELNS1_11target_archE1100ELNS1_3gpuE3ELNS1_3repE0EEENS1_36merge_oddeven_config_static_selectorELNS0_4arch9wavefront6targetE0EEEvSO_
	.p2align	8
	.type	_ZN7rocprim17ROCPRIM_400000_NS6detail17trampoline_kernelINS0_14default_configENS1_38merge_sort_block_merge_config_selectorIlNS0_10empty_typeEEEZZNS1_27merge_sort_block_merge_implIS3_PlPS5_mZN2at6native12_GLOBAL__N_124unique_dim_cuda_templateIN3c104HalfEEESt5tupleIJNSA_6TensorESH_SH_EERKSH_lbbbEUlllE_EE10hipError_tT0_T1_T2_jT3_P12ihipStream_tbPNSt15iterator_traitsISN_E10value_typeEPNST_ISO_E10value_typeEPSP_NS1_7vsmem_tEENKUlT_SN_SO_SP_E_clIS8_S8_S9_S9_EESM_S12_SN_SO_SP_EUlS12_E1_NS1_11comp_targetILNS1_3genE9ELNS1_11target_archE1100ELNS1_3gpuE3ELNS1_3repE0EEENS1_36merge_oddeven_config_static_selectorELNS0_4arch9wavefront6targetE0EEEvSO_,@function
_ZN7rocprim17ROCPRIM_400000_NS6detail17trampoline_kernelINS0_14default_configENS1_38merge_sort_block_merge_config_selectorIlNS0_10empty_typeEEEZZNS1_27merge_sort_block_merge_implIS3_PlPS5_mZN2at6native12_GLOBAL__N_124unique_dim_cuda_templateIN3c104HalfEEESt5tupleIJNSA_6TensorESH_SH_EERKSH_lbbbEUlllE_EE10hipError_tT0_T1_T2_jT3_P12ihipStream_tbPNSt15iterator_traitsISN_E10value_typeEPNST_ISO_E10value_typeEPSP_NS1_7vsmem_tEENKUlT_SN_SO_SP_E_clIS8_S8_S9_S9_EESM_S12_SN_SO_SP_EUlS12_E1_NS1_11comp_targetILNS1_3genE9ELNS1_11target_archE1100ELNS1_3gpuE3ELNS1_3repE0EEENS1_36merge_oddeven_config_static_selectorELNS0_4arch9wavefront6targetE0EEEvSO_: ; @_ZN7rocprim17ROCPRIM_400000_NS6detail17trampoline_kernelINS0_14default_configENS1_38merge_sort_block_merge_config_selectorIlNS0_10empty_typeEEEZZNS1_27merge_sort_block_merge_implIS3_PlPS5_mZN2at6native12_GLOBAL__N_124unique_dim_cuda_templateIN3c104HalfEEESt5tupleIJNSA_6TensorESH_SH_EERKSH_lbbbEUlllE_EE10hipError_tT0_T1_T2_jT3_P12ihipStream_tbPNSt15iterator_traitsISN_E10value_typeEPNST_ISO_E10value_typeEPSP_NS1_7vsmem_tEENKUlT_SN_SO_SP_E_clIS8_S8_S9_S9_EESM_S12_SN_SO_SP_EUlS12_E1_NS1_11comp_targetILNS1_3genE9ELNS1_11target_archE1100ELNS1_3gpuE3ELNS1_3repE0EEENS1_36merge_oddeven_config_static_selectorELNS0_4arch9wavefront6targetE0EEEvSO_
; %bb.0:
	s_load_b32 s3, s[0:1], 0x20
	s_waitcnt lgkmcnt(0)
	s_lshr_b32 s2, s3, 8
	s_delay_alu instid0(SALU_CYCLE_1) | instskip(SKIP_4) | instid1(SALU_CYCLE_1)
	s_cmp_lg_u32 s15, s2
	s_cselect_b32 s8, -1, 0
	s_cmp_eq_u32 s15, s2
	s_cselect_b32 s16, -1, 0
	s_lshl_b32 s12, s15, 8
	s_sub_i32 s2, s3, s12
	s_delay_alu instid0(SALU_CYCLE_1) | instskip(NEXT) | instid1(VALU_DEP_1)
	v_cmp_gt_u32_e64 s2, s2, v0
	s_or_b32 s4, s8, s2
	s_delay_alu instid0(SALU_CYCLE_1)
	s_and_saveexec_b32 s5, s4
	s_cbranch_execz .LBB1268_62
; %bb.1:
	s_clause 0x1
	s_load_b128 s[4:7], s[0:1], 0x0
	s_load_b32 s17, s[0:1], 0x28
	s_mov_b32 s13, 0
	v_lshlrev_b32_e32 v1, 3, v0
	s_lshl_b64 s[10:11], s[12:13], 3
	s_waitcnt lgkmcnt(0)
	s_add_u32 s10, s4, s10
	s_addc_u32 s11, s5, s11
	s_lshr_b32 s9, s17, 8
	global_load_b64 v[1:2], v1, s[10:11]
	s_sub_i32 s10, 0, s9
	s_delay_alu instid0(SALU_CYCLE_1) | instskip(NEXT) | instid1(SALU_CYCLE_1)
	s_and_b32 s10, s15, s10
	s_and_b32 s9, s10, s9
	s_delay_alu instid0(SALU_CYCLE_1)
	s_cmp_lg_u32 s9, 0
	s_cselect_b32 s14, -1, 0
	s_lshl_b32 s18, s10, 8
	s_sub_i32 s10, 0, s17
	s_cmp_eq_u32 s9, 0
	s_cselect_b32 s15, s17, s10
	s_delay_alu instid0(SALU_CYCLE_1) | instskip(NEXT) | instid1(SALU_CYCLE_1)
	s_add_i32 s15, s15, s18
	s_cmp_lt_u32 s15, s3
	s_cbranch_scc1 .LBB1268_3
; %bb.2:
	v_add_nc_u32_e32 v3, s12, v0
	s_delay_alu instid0(VALU_DEP_1) | instskip(SKIP_1) | instid1(SALU_CYCLE_1)
	v_cmp_gt_u32_e32 vcc_lo, s3, v3
	s_or_b32 s9, vcc_lo, s8
	s_and_b32 s13, s9, exec_lo
	s_cbranch_execz .LBB1268_4
	s_branch .LBB1268_60
.LBB1268_3:
                                        ; implicit-def: $vgpr3
.LBB1268_4:
	s_load_b128 s[8:11], s[0:1], 0x30
	v_add_nc_u32_e32 v0, s12, v0
	s_min_u32 s12, s15, s3
	s_and_b32 vcc_lo, exec_lo, s16
	s_add_i32 s0, s18, s12
	s_add_i32 s1, s12, s17
	v_subrev_nc_u32_e32 v0, s0, v0
	s_min_u32 s0, s18, s12
	s_min_u32 s16, s1, s3
	s_delay_alu instid0(VALU_DEP_1)
	v_add_nc_u32_e32 v0, s0, v0
	s_cbranch_vccz .LBB1268_30
; %bb.5:
                                        ; implicit-def: $vgpr3
	s_and_saveexec_b32 s17, s2
	s_cbranch_execz .LBB1268_33
; %bb.6:
	v_mov_b32_e32 v13, s12
	s_cmp_ge_u32 s15, s16
	s_cbranch_scc1 .LBB1268_32
; %bb.7:
	s_waitcnt vmcnt(0) lgkmcnt(0)
	v_mul_lo_u32 v5, v2, s8
	v_mul_lo_u32 v6, v1, s9
	v_mad_u64_u32 v[3:4], null, v1, s8, 0
	v_cmp_gt_i64_e64 s18, s[8:9], 0
	v_dual_mov_b32 v14, s16 :: v_dual_mov_b32 v13, s12
	s_lshl_b64 s[0:1], s[8:9], 1
	s_mov_b32 s19, 0
	s_delay_alu instid0(VALU_DEP_3) | instskip(NEXT) | instid1(VALU_DEP_1)
	v_add3_u32 v4, v4, v6, v5
	v_lshlrev_b64 v[5:6], 1, v[3:4]
	v_mov_b32_e32 v4, 0
	s_delay_alu instid0(VALU_DEP_2) | instskip(NEXT) | instid1(VALU_DEP_3)
	v_add_co_u32 v5, vcc_lo, s10, v5
	v_add_co_ci_u32_e32 v6, vcc_lo, s11, v6, vcc_lo
	s_branch .LBB1268_10
.LBB1268_8:                             ;   in Loop: Header=BB1268_10 Depth=1
	s_set_inst_prefetch_distance 0x2
	s_or_b32 exec_lo, exec_lo, s21
.LBB1268_9:                             ;   in Loop: Header=BB1268_10 Depth=1
	s_waitcnt vmcnt(0)
	v_add_nc_u32_e32 v7, 1, v3
	v_cndmask_b32_e64 v14, v3, v14, s20
	s_delay_alu instid0(VALU_DEP_2) | instskip(NEXT) | instid1(VALU_DEP_1)
	v_cndmask_b32_e64 v13, v13, v7, s20
	v_cmp_ge_u32_e32 vcc_lo, v13, v14
	s_or_b32 s19, vcc_lo, s19
	s_delay_alu instid0(SALU_CYCLE_1)
	s_and_not1_b32 exec_lo, exec_lo, s19
	s_cbranch_execz .LBB1268_31
.LBB1268_10:                            ; =>This Loop Header: Depth=1
                                        ;     Child Loop BB1268_14 Depth 2
                                        ;     Child Loop BB1268_25 Depth 2
	v_add_nc_u32_e32 v3, v13, v14
	s_mov_b32 s2, -1
                                        ; implicit-def: $sgpr20
	s_delay_alu instid0(VALU_DEP_1) | instskip(NEXT) | instid1(VALU_DEP_1)
	v_lshrrev_b32_e32 v3, 1, v3
	v_lshlrev_b64 v[7:8], 3, v[3:4]
	s_delay_alu instid0(VALU_DEP_1) | instskip(NEXT) | instid1(VALU_DEP_2)
	v_add_co_u32 v7, vcc_lo, s4, v7
	v_add_co_ci_u32_e32 v8, vcc_lo, s5, v8, vcc_lo
	s_and_not1_b32 vcc_lo, exec_lo, s14
	global_load_b64 v[7:8], v[7:8], off
	s_cbranch_vccnz .LBB1268_21
; %bb.11:                               ;   in Loop: Header=BB1268_10 Depth=1
	s_and_not1_b32 vcc_lo, exec_lo, s18
	s_cbranch_vccnz .LBB1268_19
; %bb.12:                               ;   in Loop: Header=BB1268_10 Depth=1
	s_waitcnt vmcnt(0)
	v_mad_u64_u32 v[9:10], null, s0, v7, s[10:11]
	v_mul_lo_u32 v11, s0, v8
	v_mul_lo_u32 v12, s1, v7
	s_mov_b32 s21, 0
	s_mov_b64 s[2:3], s[8:9]
                                        ; implicit-def: $sgpr20
                                        ; implicit-def: $sgpr22
                                        ; implicit-def: $sgpr23
	s_delay_alu instid0(VALU_DEP_1)
	v_add3_u32 v10, v12, v10, v11
	v_dual_mov_b32 v12, v6 :: v_dual_mov_b32 v11, v5
	s_set_inst_prefetch_distance 0x1
	s_branch .LBB1268_14
	.p2align	6
.LBB1268_13:                            ;   in Loop: Header=BB1268_14 Depth=2
	s_or_b32 exec_lo, exec_lo, s26
	s_delay_alu instid0(SALU_CYCLE_1) | instskip(NEXT) | instid1(SALU_CYCLE_1)
	s_and_b32 s24, exec_lo, s25
	s_or_b32 s21, s24, s21
	s_and_not1_b32 s20, s20, exec_lo
	s_and_b32 s24, s22, exec_lo
	s_delay_alu instid0(SALU_CYCLE_1)
	s_or_b32 s20, s20, s24
	s_and_not1_b32 exec_lo, exec_lo, s21
	s_cbranch_execz .LBB1268_18
.LBB1268_14:                            ;   Parent Loop BB1268_10 Depth=1
                                        ; =>  This Inner Loop Header: Depth=2
	global_load_u16 v15, v[11:12], off
	global_load_u16 v16, v[9:10], off
	s_mov_b32 s25, -1
	s_mov_b32 s27, 0
	s_mov_b32 s24, -1
	s_mov_b32 s26, exec_lo
	s_waitcnt vmcnt(0)
	v_cmpx_nlt_f16_e32 v15, v16
; %bb.15:                               ;   in Loop: Header=BB1268_14 Depth=2
	v_cmp_ngt_f16_e32 vcc_lo, v15, v16
	s_and_b32 s23, vcc_lo, s23
	s_and_b32 s27, vcc_lo, exec_lo
	s_or_not1_b32 s24, s23, exec_lo
; %bb.16:                               ;   in Loop: Header=BB1268_14 Depth=2
	s_or_b32 exec_lo, exec_lo, s26
	s_delay_alu instid0(SALU_CYCLE_1) | instskip(SKIP_1) | instid1(SALU_CYCLE_1)
	s_and_not1_b32 s22, s22, exec_lo
	s_and_b32 s23, s24, exec_lo
	s_or_b32 s22, s22, s23
                                        ; implicit-def: $sgpr23
	s_and_saveexec_b32 s26, s27
	s_cbranch_execz .LBB1268_13
; %bb.17:                               ;   in Loop: Header=BB1268_14 Depth=2
	s_add_u32 s2, s2, -1
	s_addc_u32 s3, s3, -1
	v_add_co_u32 v11, vcc_lo, v11, 2
	s_cmp_eq_u64 s[2:3], 0
	v_add_co_ci_u32_e32 v12, vcc_lo, 0, v12, vcc_lo
	v_add_co_u32 v9, vcc_lo, v9, 2
	s_cselect_b32 s25, -1, 0
	v_add_co_ci_u32_e32 v10, vcc_lo, 0, v10, vcc_lo
	s_and_not1_b32 s22, s22, exec_lo
	s_and_b32 s23, s24, exec_lo
	s_or_not1_b32 s25, s25, exec_lo
	s_branch .LBB1268_13
.LBB1268_18:                            ;   in Loop: Header=BB1268_10 Depth=1
	s_set_inst_prefetch_distance 0x2
	s_or_b32 exec_lo, exec_lo, s21
	s_branch .LBB1268_20
.LBB1268_19:                            ;   in Loop: Header=BB1268_10 Depth=1
	s_mov_b32 s20, 0
.LBB1268_20:                            ;   in Loop: Header=BB1268_10 Depth=1
	s_delay_alu instid0(SALU_CYCLE_1)
	s_xor_b32 s20, s20, -1
	s_mov_b32 s2, 0
.LBB1268_21:                            ;   in Loop: Header=BB1268_10 Depth=1
	s_delay_alu instid0(SALU_CYCLE_1)
	s_and_b32 vcc_lo, exec_lo, s2
	s_cbranch_vccz .LBB1268_9
; %bb.22:                               ;   in Loop: Header=BB1268_10 Depth=1
	s_and_not1_b32 vcc_lo, exec_lo, s18
	s_cbranch_vccnz .LBB1268_29
; %bb.23:                               ;   in Loop: Header=BB1268_10 Depth=1
	s_waitcnt vmcnt(0)
	v_mad_u64_u32 v[9:10], null, s0, v7, s[10:11]
	v_mul_lo_u32 v8, s0, v8
	v_mul_lo_u32 v7, s1, v7
	s_mov_b32 s21, 0
	s_mov_b64 s[2:3], s[8:9]
                                        ; implicit-def: $sgpr20
                                        ; implicit-def: $sgpr22
                                        ; implicit-def: $sgpr23
	s_delay_alu instid0(VALU_DEP_1)
	v_add3_u32 v10, v7, v10, v8
	v_dual_mov_b32 v8, v6 :: v_dual_mov_b32 v7, v5
	s_set_inst_prefetch_distance 0x1
	s_branch .LBB1268_25
	.p2align	6
.LBB1268_24:                            ;   in Loop: Header=BB1268_25 Depth=2
	s_or_b32 exec_lo, exec_lo, s26
	s_delay_alu instid0(SALU_CYCLE_1) | instskip(NEXT) | instid1(SALU_CYCLE_1)
	s_and_b32 s24, exec_lo, s25
	s_or_b32 s21, s24, s21
	s_and_not1_b32 s20, s20, exec_lo
	s_and_b32 s24, s22, exec_lo
	s_delay_alu instid0(SALU_CYCLE_1)
	s_or_b32 s20, s20, s24
	s_and_not1_b32 exec_lo, exec_lo, s21
	s_cbranch_execz .LBB1268_8
.LBB1268_25:                            ;   Parent Loop BB1268_10 Depth=1
                                        ; =>  This Inner Loop Header: Depth=2
	global_load_u16 v11, v[9:10], off
	global_load_u16 v12, v[7:8], off
	s_mov_b32 s25, -1
	s_mov_b32 s27, 0
	s_mov_b32 s24, -1
	s_mov_b32 s26, exec_lo
	s_waitcnt vmcnt(0)
	v_cmpx_nlt_f16_e32 v11, v12
; %bb.26:                               ;   in Loop: Header=BB1268_25 Depth=2
	v_cmp_ngt_f16_e32 vcc_lo, v11, v12
	s_and_b32 s23, vcc_lo, s23
	s_and_b32 s27, vcc_lo, exec_lo
	s_or_not1_b32 s24, s23, exec_lo
; %bb.27:                               ;   in Loop: Header=BB1268_25 Depth=2
	s_or_b32 exec_lo, exec_lo, s26
	s_delay_alu instid0(SALU_CYCLE_1) | instskip(SKIP_1) | instid1(SALU_CYCLE_1)
	s_and_not1_b32 s22, s22, exec_lo
	s_and_b32 s23, s24, exec_lo
	s_or_b32 s22, s22, s23
                                        ; implicit-def: $sgpr23
	s_and_saveexec_b32 s26, s27
	s_cbranch_execz .LBB1268_24
; %bb.28:                               ;   in Loop: Header=BB1268_25 Depth=2
	s_add_u32 s2, s2, -1
	s_addc_u32 s3, s3, -1
	v_add_co_u32 v9, vcc_lo, v9, 2
	s_cmp_eq_u64 s[2:3], 0
	v_add_co_ci_u32_e32 v10, vcc_lo, 0, v10, vcc_lo
	v_add_co_u32 v7, vcc_lo, v7, 2
	s_cselect_b32 s25, -1, 0
	v_add_co_ci_u32_e32 v8, vcc_lo, 0, v8, vcc_lo
	s_and_not1_b32 s22, s22, exec_lo
	s_and_b32 s23, s24, exec_lo
	s_or_not1_b32 s25, s25, exec_lo
	s_branch .LBB1268_24
.LBB1268_29:                            ;   in Loop: Header=BB1268_10 Depth=1
	s_mov_b32 s20, 0
	s_branch .LBB1268_9
.LBB1268_30:
                                        ; implicit-def: $vgpr3
	s_cbranch_execnz .LBB1268_34
	s_branch .LBB1268_60
.LBB1268_31:
	s_or_b32 exec_lo, exec_lo, s19
.LBB1268_32:
	s_delay_alu instid0(VALU_DEP_1)
	v_add_nc_u32_e32 v3, v13, v0
	s_or_b32 s13, s13, exec_lo
.LBB1268_33:
	s_or_b32 exec_lo, exec_lo, s17
	s_branch .LBB1268_60
.LBB1268_34:
	v_mov_b32_e32 v13, s12
	s_cmp_ge_u32 s15, s16
	s_cbranch_scc1 .LBB1268_59
; %bb.35:
	s_waitcnt vmcnt(0) lgkmcnt(0)
	v_mul_lo_u32 v5, v2, s8
	v_mul_lo_u32 v6, v1, s9
	v_mad_u64_u32 v[3:4], null, v1, s8, 0
	v_dual_mov_b32 v14, s16 :: v_dual_mov_b32 v13, s12
	v_cmp_gt_i64_e64 s12, s[8:9], 0
	s_lshl_b64 s[2:3], s[8:9], 1
	s_mov_b32 s13, 0
	s_delay_alu instid0(VALU_DEP_3) | instskip(NEXT) | instid1(VALU_DEP_2)
	v_add3_u32 v4, v4, v6, v5
	v_cndmask_b32_e64 v15, 0, 1, s12
	s_delay_alu instid0(VALU_DEP_2) | instskip(SKIP_1) | instid1(VALU_DEP_2)
	v_lshlrev_b64 v[5:6], 1, v[3:4]
	v_mov_b32_e32 v4, 0
	v_add_co_u32 v5, vcc_lo, s10, v5
	s_delay_alu instid0(VALU_DEP_3)
	v_add_co_ci_u32_e32 v6, vcc_lo, s11, v6, vcc_lo
	s_branch .LBB1268_38
.LBB1268_36:                            ;   in Loop: Header=BB1268_38 Depth=1
	s_set_inst_prefetch_distance 0x2
	s_or_b32 exec_lo, exec_lo, s16
.LBB1268_37:                            ;   in Loop: Header=BB1268_38 Depth=1
	s_waitcnt vmcnt(0)
	v_add_nc_u32_e32 v7, 1, v3
	v_cndmask_b32_e64 v14, v3, v14, s15
	s_delay_alu instid0(VALU_DEP_2) | instskip(NEXT) | instid1(VALU_DEP_1)
	v_cndmask_b32_e64 v13, v13, v7, s15
	v_cmp_ge_u32_e32 vcc_lo, v13, v14
	s_or_b32 s13, vcc_lo, s13
	s_delay_alu instid0(SALU_CYCLE_1)
	s_and_not1_b32 exec_lo, exec_lo, s13
	s_cbranch_execz .LBB1268_58
.LBB1268_38:                            ; =>This Loop Header: Depth=1
                                        ;     Child Loop BB1268_42 Depth 2
                                        ;     Child Loop BB1268_53 Depth 2
	v_add_nc_u32_e32 v3, v13, v14
	v_cmp_ne_u32_e64 s0, 1, v15
	s_mov_b32 s1, -1
                                        ; implicit-def: $sgpr15
	s_delay_alu instid0(VALU_DEP_2) | instskip(NEXT) | instid1(VALU_DEP_1)
	v_lshrrev_b32_e32 v3, 1, v3
	v_lshlrev_b64 v[7:8], 3, v[3:4]
	s_delay_alu instid0(VALU_DEP_1) | instskip(NEXT) | instid1(VALU_DEP_2)
	v_add_co_u32 v7, vcc_lo, s4, v7
	v_add_co_ci_u32_e32 v8, vcc_lo, s5, v8, vcc_lo
	s_and_not1_b32 vcc_lo, exec_lo, s14
	global_load_b64 v[7:8], v[7:8], off
	s_cbranch_vccnz .LBB1268_49
; %bb.39:                               ;   in Loop: Header=BB1268_38 Depth=1
	s_and_b32 vcc_lo, exec_lo, s0
	s_cbranch_vccnz .LBB1268_47
; %bb.40:                               ;   in Loop: Header=BB1268_38 Depth=1
	s_waitcnt vmcnt(0)
	v_mad_u64_u32 v[9:10], null, s2, v7, s[10:11]
	v_mul_lo_u32 v11, s2, v8
	v_mul_lo_u32 v12, s3, v7
	s_mov_b32 s16, 0
	s_mov_b64 s[0:1], s[8:9]
                                        ; implicit-def: $sgpr15
                                        ; implicit-def: $sgpr17
                                        ; implicit-def: $sgpr18
	s_delay_alu instid0(VALU_DEP_1)
	v_add3_u32 v10, v12, v10, v11
	v_dual_mov_b32 v12, v6 :: v_dual_mov_b32 v11, v5
	s_set_inst_prefetch_distance 0x1
	s_branch .LBB1268_42
	.p2align	6
.LBB1268_41:                            ;   in Loop: Header=BB1268_42 Depth=2
	s_or_b32 exec_lo, exec_lo, s21
	s_delay_alu instid0(SALU_CYCLE_1) | instskip(NEXT) | instid1(SALU_CYCLE_1)
	s_and_b32 s19, exec_lo, s20
	s_or_b32 s16, s19, s16
	s_and_not1_b32 s15, s15, exec_lo
	s_and_b32 s19, s17, exec_lo
	s_delay_alu instid0(SALU_CYCLE_1)
	s_or_b32 s15, s15, s19
	s_and_not1_b32 exec_lo, exec_lo, s16
	s_cbranch_execz .LBB1268_46
.LBB1268_42:                            ;   Parent Loop BB1268_38 Depth=1
                                        ; =>  This Inner Loop Header: Depth=2
	global_load_u16 v16, v[11:12], off
	global_load_u16 v17, v[9:10], off
	s_mov_b32 s20, -1
	s_mov_b32 s22, 0
	s_mov_b32 s19, -1
	s_mov_b32 s21, exec_lo
	s_waitcnt vmcnt(0)
	v_cmpx_nlt_f16_e32 v16, v17
; %bb.43:                               ;   in Loop: Header=BB1268_42 Depth=2
	v_cmp_ngt_f16_e32 vcc_lo, v16, v17
	s_and_b32 s18, vcc_lo, s18
	s_and_b32 s22, vcc_lo, exec_lo
	s_or_not1_b32 s19, s18, exec_lo
; %bb.44:                               ;   in Loop: Header=BB1268_42 Depth=2
	s_or_b32 exec_lo, exec_lo, s21
	s_delay_alu instid0(SALU_CYCLE_1) | instskip(SKIP_1) | instid1(SALU_CYCLE_1)
	s_and_not1_b32 s17, s17, exec_lo
	s_and_b32 s18, s19, exec_lo
	s_or_b32 s17, s17, s18
                                        ; implicit-def: $sgpr18
	s_and_saveexec_b32 s21, s22
	s_cbranch_execz .LBB1268_41
; %bb.45:                               ;   in Loop: Header=BB1268_42 Depth=2
	s_add_u32 s0, s0, -1
	s_addc_u32 s1, s1, -1
	v_add_co_u32 v11, vcc_lo, v11, 2
	s_cmp_eq_u64 s[0:1], 0
	v_add_co_ci_u32_e32 v12, vcc_lo, 0, v12, vcc_lo
	v_add_co_u32 v9, vcc_lo, v9, 2
	s_cselect_b32 s20, -1, 0
	v_add_co_ci_u32_e32 v10, vcc_lo, 0, v10, vcc_lo
	s_and_not1_b32 s17, s17, exec_lo
	s_and_b32 s18, s19, exec_lo
	s_or_not1_b32 s20, s20, exec_lo
	s_branch .LBB1268_41
.LBB1268_46:                            ;   in Loop: Header=BB1268_38 Depth=1
	s_set_inst_prefetch_distance 0x2
	s_or_b32 exec_lo, exec_lo, s16
	s_branch .LBB1268_48
.LBB1268_47:                            ;   in Loop: Header=BB1268_38 Depth=1
	s_mov_b32 s15, 0
.LBB1268_48:                            ;   in Loop: Header=BB1268_38 Depth=1
	s_delay_alu instid0(SALU_CYCLE_1)
	s_xor_b32 s15, s15, -1
	s_mov_b32 s1, 0
.LBB1268_49:                            ;   in Loop: Header=BB1268_38 Depth=1
	s_delay_alu instid0(SALU_CYCLE_1)
	s_and_b32 vcc_lo, exec_lo, s1
	s_cbranch_vccz .LBB1268_37
; %bb.50:                               ;   in Loop: Header=BB1268_38 Depth=1
	s_and_not1_b32 vcc_lo, exec_lo, s12
	s_cbranch_vccnz .LBB1268_57
; %bb.51:                               ;   in Loop: Header=BB1268_38 Depth=1
	s_waitcnt vmcnt(0)
	v_mad_u64_u32 v[9:10], null, s2, v7, s[10:11]
	v_mul_lo_u32 v8, s2, v8
	v_mul_lo_u32 v7, s3, v7
	s_mov_b32 s16, 0
	s_mov_b64 s[0:1], s[8:9]
                                        ; implicit-def: $sgpr15
                                        ; implicit-def: $sgpr17
                                        ; implicit-def: $sgpr18
	s_delay_alu instid0(VALU_DEP_1)
	v_add3_u32 v10, v7, v10, v8
	v_dual_mov_b32 v8, v6 :: v_dual_mov_b32 v7, v5
	s_set_inst_prefetch_distance 0x1
	s_branch .LBB1268_53
	.p2align	6
.LBB1268_52:                            ;   in Loop: Header=BB1268_53 Depth=2
	s_or_b32 exec_lo, exec_lo, s21
	s_delay_alu instid0(SALU_CYCLE_1) | instskip(NEXT) | instid1(SALU_CYCLE_1)
	s_and_b32 s19, exec_lo, s20
	s_or_b32 s16, s19, s16
	s_and_not1_b32 s15, s15, exec_lo
	s_and_b32 s19, s17, exec_lo
	s_delay_alu instid0(SALU_CYCLE_1)
	s_or_b32 s15, s15, s19
	s_and_not1_b32 exec_lo, exec_lo, s16
	s_cbranch_execz .LBB1268_36
.LBB1268_53:                            ;   Parent Loop BB1268_38 Depth=1
                                        ; =>  This Inner Loop Header: Depth=2
	global_load_u16 v11, v[9:10], off
	global_load_u16 v12, v[7:8], off
	s_mov_b32 s20, -1
	s_mov_b32 s22, 0
	s_mov_b32 s19, -1
	s_mov_b32 s21, exec_lo
	s_waitcnt vmcnt(0)
	v_cmpx_nlt_f16_e32 v11, v12
; %bb.54:                               ;   in Loop: Header=BB1268_53 Depth=2
	v_cmp_ngt_f16_e32 vcc_lo, v11, v12
	s_and_b32 s18, vcc_lo, s18
	s_and_b32 s22, vcc_lo, exec_lo
	s_or_not1_b32 s19, s18, exec_lo
; %bb.55:                               ;   in Loop: Header=BB1268_53 Depth=2
	s_or_b32 exec_lo, exec_lo, s21
	s_delay_alu instid0(SALU_CYCLE_1) | instskip(SKIP_1) | instid1(SALU_CYCLE_1)
	s_and_not1_b32 s17, s17, exec_lo
	s_and_b32 s18, s19, exec_lo
	s_or_b32 s17, s17, s18
                                        ; implicit-def: $sgpr18
	s_and_saveexec_b32 s21, s22
	s_cbranch_execz .LBB1268_52
; %bb.56:                               ;   in Loop: Header=BB1268_53 Depth=2
	s_add_u32 s0, s0, -1
	s_addc_u32 s1, s1, -1
	v_add_co_u32 v9, vcc_lo, v9, 2
	s_cmp_eq_u64 s[0:1], 0
	v_add_co_ci_u32_e32 v10, vcc_lo, 0, v10, vcc_lo
	v_add_co_u32 v7, vcc_lo, v7, 2
	s_cselect_b32 s20, -1, 0
	v_add_co_ci_u32_e32 v8, vcc_lo, 0, v8, vcc_lo
	s_and_not1_b32 s17, s17, exec_lo
	s_and_b32 s18, s19, exec_lo
	s_or_not1_b32 s20, s20, exec_lo
	s_branch .LBB1268_52
.LBB1268_57:                            ;   in Loop: Header=BB1268_38 Depth=1
	s_mov_b32 s15, 0
	s_branch .LBB1268_37
.LBB1268_58:
	s_or_b32 exec_lo, exec_lo, s13
.LBB1268_59:
	s_delay_alu instid0(VALU_DEP_1)
	v_add_nc_u32_e32 v3, v13, v0
	s_mov_b32 s13, -1
.LBB1268_60:
	s_delay_alu instid0(SALU_CYCLE_1)
	s_and_b32 exec_lo, exec_lo, s13
	s_cbranch_execz .LBB1268_62
; %bb.61:
	v_mov_b32_e32 v4, 0
	s_delay_alu instid0(VALU_DEP_1) | instskip(NEXT) | instid1(VALU_DEP_1)
	v_lshlrev_b64 v[3:4], 3, v[3:4]
	v_add_co_u32 v3, vcc_lo, s6, v3
	s_delay_alu instid0(VALU_DEP_2)
	v_add_co_ci_u32_e32 v4, vcc_lo, s7, v4, vcc_lo
	s_waitcnt vmcnt(0)
	global_store_b64 v[3:4], v[1:2], off
.LBB1268_62:
	s_nop 0
	s_sendmsg sendmsg(MSG_DEALLOC_VGPRS)
	s_endpgm
	.section	.rodata,"a",@progbits
	.p2align	6, 0x0
	.amdhsa_kernel _ZN7rocprim17ROCPRIM_400000_NS6detail17trampoline_kernelINS0_14default_configENS1_38merge_sort_block_merge_config_selectorIlNS0_10empty_typeEEEZZNS1_27merge_sort_block_merge_implIS3_PlPS5_mZN2at6native12_GLOBAL__N_124unique_dim_cuda_templateIN3c104HalfEEESt5tupleIJNSA_6TensorESH_SH_EERKSH_lbbbEUlllE_EE10hipError_tT0_T1_T2_jT3_P12ihipStream_tbPNSt15iterator_traitsISN_E10value_typeEPNST_ISO_E10value_typeEPSP_NS1_7vsmem_tEENKUlT_SN_SO_SP_E_clIS8_S8_S9_S9_EESM_S12_SN_SO_SP_EUlS12_E1_NS1_11comp_targetILNS1_3genE9ELNS1_11target_archE1100ELNS1_3gpuE3ELNS1_3repE0EEENS1_36merge_oddeven_config_static_selectorELNS0_4arch9wavefront6targetE0EEEvSO_
		.amdhsa_group_segment_fixed_size 0
		.amdhsa_private_segment_fixed_size 0
		.amdhsa_kernarg_size 64
		.amdhsa_user_sgpr_count 15
		.amdhsa_user_sgpr_dispatch_ptr 0
		.amdhsa_user_sgpr_queue_ptr 0
		.amdhsa_user_sgpr_kernarg_segment_ptr 1
		.amdhsa_user_sgpr_dispatch_id 0
		.amdhsa_user_sgpr_private_segment_size 0
		.amdhsa_wavefront_size32 1
		.amdhsa_uses_dynamic_stack 0
		.amdhsa_enable_private_segment 0
		.amdhsa_system_sgpr_workgroup_id_x 1
		.amdhsa_system_sgpr_workgroup_id_y 0
		.amdhsa_system_sgpr_workgroup_id_z 0
		.amdhsa_system_sgpr_workgroup_info 0
		.amdhsa_system_vgpr_workitem_id 0
		.amdhsa_next_free_vgpr 18
		.amdhsa_next_free_sgpr 28
		.amdhsa_reserve_vcc 1
		.amdhsa_float_round_mode_32 0
		.amdhsa_float_round_mode_16_64 0
		.amdhsa_float_denorm_mode_32 3
		.amdhsa_float_denorm_mode_16_64 3
		.amdhsa_dx10_clamp 1
		.amdhsa_ieee_mode 1
		.amdhsa_fp16_overflow 0
		.amdhsa_workgroup_processor_mode 1
		.amdhsa_memory_ordered 1
		.amdhsa_forward_progress 0
		.amdhsa_shared_vgpr_count 0
		.amdhsa_exception_fp_ieee_invalid_op 0
		.amdhsa_exception_fp_denorm_src 0
		.amdhsa_exception_fp_ieee_div_zero 0
		.amdhsa_exception_fp_ieee_overflow 0
		.amdhsa_exception_fp_ieee_underflow 0
		.amdhsa_exception_fp_ieee_inexact 0
		.amdhsa_exception_int_div_zero 0
	.end_amdhsa_kernel
	.section	.text._ZN7rocprim17ROCPRIM_400000_NS6detail17trampoline_kernelINS0_14default_configENS1_38merge_sort_block_merge_config_selectorIlNS0_10empty_typeEEEZZNS1_27merge_sort_block_merge_implIS3_PlPS5_mZN2at6native12_GLOBAL__N_124unique_dim_cuda_templateIN3c104HalfEEESt5tupleIJNSA_6TensorESH_SH_EERKSH_lbbbEUlllE_EE10hipError_tT0_T1_T2_jT3_P12ihipStream_tbPNSt15iterator_traitsISN_E10value_typeEPNST_ISO_E10value_typeEPSP_NS1_7vsmem_tEENKUlT_SN_SO_SP_E_clIS8_S8_S9_S9_EESM_S12_SN_SO_SP_EUlS12_E1_NS1_11comp_targetILNS1_3genE9ELNS1_11target_archE1100ELNS1_3gpuE3ELNS1_3repE0EEENS1_36merge_oddeven_config_static_selectorELNS0_4arch9wavefront6targetE0EEEvSO_,"axG",@progbits,_ZN7rocprim17ROCPRIM_400000_NS6detail17trampoline_kernelINS0_14default_configENS1_38merge_sort_block_merge_config_selectorIlNS0_10empty_typeEEEZZNS1_27merge_sort_block_merge_implIS3_PlPS5_mZN2at6native12_GLOBAL__N_124unique_dim_cuda_templateIN3c104HalfEEESt5tupleIJNSA_6TensorESH_SH_EERKSH_lbbbEUlllE_EE10hipError_tT0_T1_T2_jT3_P12ihipStream_tbPNSt15iterator_traitsISN_E10value_typeEPNST_ISO_E10value_typeEPSP_NS1_7vsmem_tEENKUlT_SN_SO_SP_E_clIS8_S8_S9_S9_EESM_S12_SN_SO_SP_EUlS12_E1_NS1_11comp_targetILNS1_3genE9ELNS1_11target_archE1100ELNS1_3gpuE3ELNS1_3repE0EEENS1_36merge_oddeven_config_static_selectorELNS0_4arch9wavefront6targetE0EEEvSO_,comdat
.Lfunc_end1268:
	.size	_ZN7rocprim17ROCPRIM_400000_NS6detail17trampoline_kernelINS0_14default_configENS1_38merge_sort_block_merge_config_selectorIlNS0_10empty_typeEEEZZNS1_27merge_sort_block_merge_implIS3_PlPS5_mZN2at6native12_GLOBAL__N_124unique_dim_cuda_templateIN3c104HalfEEESt5tupleIJNSA_6TensorESH_SH_EERKSH_lbbbEUlllE_EE10hipError_tT0_T1_T2_jT3_P12ihipStream_tbPNSt15iterator_traitsISN_E10value_typeEPNST_ISO_E10value_typeEPSP_NS1_7vsmem_tEENKUlT_SN_SO_SP_E_clIS8_S8_S9_S9_EESM_S12_SN_SO_SP_EUlS12_E1_NS1_11comp_targetILNS1_3genE9ELNS1_11target_archE1100ELNS1_3gpuE3ELNS1_3repE0EEENS1_36merge_oddeven_config_static_selectorELNS0_4arch9wavefront6targetE0EEEvSO_, .Lfunc_end1268-_ZN7rocprim17ROCPRIM_400000_NS6detail17trampoline_kernelINS0_14default_configENS1_38merge_sort_block_merge_config_selectorIlNS0_10empty_typeEEEZZNS1_27merge_sort_block_merge_implIS3_PlPS5_mZN2at6native12_GLOBAL__N_124unique_dim_cuda_templateIN3c104HalfEEESt5tupleIJNSA_6TensorESH_SH_EERKSH_lbbbEUlllE_EE10hipError_tT0_T1_T2_jT3_P12ihipStream_tbPNSt15iterator_traitsISN_E10value_typeEPNST_ISO_E10value_typeEPSP_NS1_7vsmem_tEENKUlT_SN_SO_SP_E_clIS8_S8_S9_S9_EESM_S12_SN_SO_SP_EUlS12_E1_NS1_11comp_targetILNS1_3genE9ELNS1_11target_archE1100ELNS1_3gpuE3ELNS1_3repE0EEENS1_36merge_oddeven_config_static_selectorELNS0_4arch9wavefront6targetE0EEEvSO_
                                        ; -- End function
	.section	.AMDGPU.csdata,"",@progbits
; Kernel info:
; codeLenInByte = 1956
; NumSgprs: 30
; NumVgprs: 18
; ScratchSize: 0
; MemoryBound: 0
; FloatMode: 240
; IeeeMode: 1
; LDSByteSize: 0 bytes/workgroup (compile time only)
; SGPRBlocks: 3
; VGPRBlocks: 2
; NumSGPRsForWavesPerEU: 30
; NumVGPRsForWavesPerEU: 18
; Occupancy: 16
; WaveLimiterHint : 0
; COMPUTE_PGM_RSRC2:SCRATCH_EN: 0
; COMPUTE_PGM_RSRC2:USER_SGPR: 15
; COMPUTE_PGM_RSRC2:TRAP_HANDLER: 0
; COMPUTE_PGM_RSRC2:TGID_X_EN: 1
; COMPUTE_PGM_RSRC2:TGID_Y_EN: 0
; COMPUTE_PGM_RSRC2:TGID_Z_EN: 0
; COMPUTE_PGM_RSRC2:TIDIG_COMP_CNT: 0
	.section	.text._ZN7rocprim17ROCPRIM_400000_NS6detail17trampoline_kernelINS0_14default_configENS1_38merge_sort_block_merge_config_selectorIlNS0_10empty_typeEEEZZNS1_27merge_sort_block_merge_implIS3_PlPS5_mZN2at6native12_GLOBAL__N_124unique_dim_cuda_templateIN3c104HalfEEESt5tupleIJNSA_6TensorESH_SH_EERKSH_lbbbEUlllE_EE10hipError_tT0_T1_T2_jT3_P12ihipStream_tbPNSt15iterator_traitsISN_E10value_typeEPNST_ISO_E10value_typeEPSP_NS1_7vsmem_tEENKUlT_SN_SO_SP_E_clIS8_S8_S9_S9_EESM_S12_SN_SO_SP_EUlS12_E1_NS1_11comp_targetILNS1_3genE8ELNS1_11target_archE1030ELNS1_3gpuE2ELNS1_3repE0EEENS1_36merge_oddeven_config_static_selectorELNS0_4arch9wavefront6targetE0EEEvSO_,"axG",@progbits,_ZN7rocprim17ROCPRIM_400000_NS6detail17trampoline_kernelINS0_14default_configENS1_38merge_sort_block_merge_config_selectorIlNS0_10empty_typeEEEZZNS1_27merge_sort_block_merge_implIS3_PlPS5_mZN2at6native12_GLOBAL__N_124unique_dim_cuda_templateIN3c104HalfEEESt5tupleIJNSA_6TensorESH_SH_EERKSH_lbbbEUlllE_EE10hipError_tT0_T1_T2_jT3_P12ihipStream_tbPNSt15iterator_traitsISN_E10value_typeEPNST_ISO_E10value_typeEPSP_NS1_7vsmem_tEENKUlT_SN_SO_SP_E_clIS8_S8_S9_S9_EESM_S12_SN_SO_SP_EUlS12_E1_NS1_11comp_targetILNS1_3genE8ELNS1_11target_archE1030ELNS1_3gpuE2ELNS1_3repE0EEENS1_36merge_oddeven_config_static_selectorELNS0_4arch9wavefront6targetE0EEEvSO_,comdat
	.globl	_ZN7rocprim17ROCPRIM_400000_NS6detail17trampoline_kernelINS0_14default_configENS1_38merge_sort_block_merge_config_selectorIlNS0_10empty_typeEEEZZNS1_27merge_sort_block_merge_implIS3_PlPS5_mZN2at6native12_GLOBAL__N_124unique_dim_cuda_templateIN3c104HalfEEESt5tupleIJNSA_6TensorESH_SH_EERKSH_lbbbEUlllE_EE10hipError_tT0_T1_T2_jT3_P12ihipStream_tbPNSt15iterator_traitsISN_E10value_typeEPNST_ISO_E10value_typeEPSP_NS1_7vsmem_tEENKUlT_SN_SO_SP_E_clIS8_S8_S9_S9_EESM_S12_SN_SO_SP_EUlS12_E1_NS1_11comp_targetILNS1_3genE8ELNS1_11target_archE1030ELNS1_3gpuE2ELNS1_3repE0EEENS1_36merge_oddeven_config_static_selectorELNS0_4arch9wavefront6targetE0EEEvSO_ ; -- Begin function _ZN7rocprim17ROCPRIM_400000_NS6detail17trampoline_kernelINS0_14default_configENS1_38merge_sort_block_merge_config_selectorIlNS0_10empty_typeEEEZZNS1_27merge_sort_block_merge_implIS3_PlPS5_mZN2at6native12_GLOBAL__N_124unique_dim_cuda_templateIN3c104HalfEEESt5tupleIJNSA_6TensorESH_SH_EERKSH_lbbbEUlllE_EE10hipError_tT0_T1_T2_jT3_P12ihipStream_tbPNSt15iterator_traitsISN_E10value_typeEPNST_ISO_E10value_typeEPSP_NS1_7vsmem_tEENKUlT_SN_SO_SP_E_clIS8_S8_S9_S9_EESM_S12_SN_SO_SP_EUlS12_E1_NS1_11comp_targetILNS1_3genE8ELNS1_11target_archE1030ELNS1_3gpuE2ELNS1_3repE0EEENS1_36merge_oddeven_config_static_selectorELNS0_4arch9wavefront6targetE0EEEvSO_
	.p2align	8
	.type	_ZN7rocprim17ROCPRIM_400000_NS6detail17trampoline_kernelINS0_14default_configENS1_38merge_sort_block_merge_config_selectorIlNS0_10empty_typeEEEZZNS1_27merge_sort_block_merge_implIS3_PlPS5_mZN2at6native12_GLOBAL__N_124unique_dim_cuda_templateIN3c104HalfEEESt5tupleIJNSA_6TensorESH_SH_EERKSH_lbbbEUlllE_EE10hipError_tT0_T1_T2_jT3_P12ihipStream_tbPNSt15iterator_traitsISN_E10value_typeEPNST_ISO_E10value_typeEPSP_NS1_7vsmem_tEENKUlT_SN_SO_SP_E_clIS8_S8_S9_S9_EESM_S12_SN_SO_SP_EUlS12_E1_NS1_11comp_targetILNS1_3genE8ELNS1_11target_archE1030ELNS1_3gpuE2ELNS1_3repE0EEENS1_36merge_oddeven_config_static_selectorELNS0_4arch9wavefront6targetE0EEEvSO_,@function
_ZN7rocprim17ROCPRIM_400000_NS6detail17trampoline_kernelINS0_14default_configENS1_38merge_sort_block_merge_config_selectorIlNS0_10empty_typeEEEZZNS1_27merge_sort_block_merge_implIS3_PlPS5_mZN2at6native12_GLOBAL__N_124unique_dim_cuda_templateIN3c104HalfEEESt5tupleIJNSA_6TensorESH_SH_EERKSH_lbbbEUlllE_EE10hipError_tT0_T1_T2_jT3_P12ihipStream_tbPNSt15iterator_traitsISN_E10value_typeEPNST_ISO_E10value_typeEPSP_NS1_7vsmem_tEENKUlT_SN_SO_SP_E_clIS8_S8_S9_S9_EESM_S12_SN_SO_SP_EUlS12_E1_NS1_11comp_targetILNS1_3genE8ELNS1_11target_archE1030ELNS1_3gpuE2ELNS1_3repE0EEENS1_36merge_oddeven_config_static_selectorELNS0_4arch9wavefront6targetE0EEEvSO_: ; @_ZN7rocprim17ROCPRIM_400000_NS6detail17trampoline_kernelINS0_14default_configENS1_38merge_sort_block_merge_config_selectorIlNS0_10empty_typeEEEZZNS1_27merge_sort_block_merge_implIS3_PlPS5_mZN2at6native12_GLOBAL__N_124unique_dim_cuda_templateIN3c104HalfEEESt5tupleIJNSA_6TensorESH_SH_EERKSH_lbbbEUlllE_EE10hipError_tT0_T1_T2_jT3_P12ihipStream_tbPNSt15iterator_traitsISN_E10value_typeEPNST_ISO_E10value_typeEPSP_NS1_7vsmem_tEENKUlT_SN_SO_SP_E_clIS8_S8_S9_S9_EESM_S12_SN_SO_SP_EUlS12_E1_NS1_11comp_targetILNS1_3genE8ELNS1_11target_archE1030ELNS1_3gpuE2ELNS1_3repE0EEENS1_36merge_oddeven_config_static_selectorELNS0_4arch9wavefront6targetE0EEEvSO_
; %bb.0:
	.section	.rodata,"a",@progbits
	.p2align	6, 0x0
	.amdhsa_kernel _ZN7rocprim17ROCPRIM_400000_NS6detail17trampoline_kernelINS0_14default_configENS1_38merge_sort_block_merge_config_selectorIlNS0_10empty_typeEEEZZNS1_27merge_sort_block_merge_implIS3_PlPS5_mZN2at6native12_GLOBAL__N_124unique_dim_cuda_templateIN3c104HalfEEESt5tupleIJNSA_6TensorESH_SH_EERKSH_lbbbEUlllE_EE10hipError_tT0_T1_T2_jT3_P12ihipStream_tbPNSt15iterator_traitsISN_E10value_typeEPNST_ISO_E10value_typeEPSP_NS1_7vsmem_tEENKUlT_SN_SO_SP_E_clIS8_S8_S9_S9_EESM_S12_SN_SO_SP_EUlS12_E1_NS1_11comp_targetILNS1_3genE8ELNS1_11target_archE1030ELNS1_3gpuE2ELNS1_3repE0EEENS1_36merge_oddeven_config_static_selectorELNS0_4arch9wavefront6targetE0EEEvSO_
		.amdhsa_group_segment_fixed_size 0
		.amdhsa_private_segment_fixed_size 0
		.amdhsa_kernarg_size 64
		.amdhsa_user_sgpr_count 15
		.amdhsa_user_sgpr_dispatch_ptr 0
		.amdhsa_user_sgpr_queue_ptr 0
		.amdhsa_user_sgpr_kernarg_segment_ptr 1
		.amdhsa_user_sgpr_dispatch_id 0
		.amdhsa_user_sgpr_private_segment_size 0
		.amdhsa_wavefront_size32 1
		.amdhsa_uses_dynamic_stack 0
		.amdhsa_enable_private_segment 0
		.amdhsa_system_sgpr_workgroup_id_x 1
		.amdhsa_system_sgpr_workgroup_id_y 0
		.amdhsa_system_sgpr_workgroup_id_z 0
		.amdhsa_system_sgpr_workgroup_info 0
		.amdhsa_system_vgpr_workitem_id 0
		.amdhsa_next_free_vgpr 1
		.amdhsa_next_free_sgpr 1
		.amdhsa_reserve_vcc 0
		.amdhsa_float_round_mode_32 0
		.amdhsa_float_round_mode_16_64 0
		.amdhsa_float_denorm_mode_32 3
		.amdhsa_float_denorm_mode_16_64 3
		.amdhsa_dx10_clamp 1
		.amdhsa_ieee_mode 1
		.amdhsa_fp16_overflow 0
		.amdhsa_workgroup_processor_mode 1
		.amdhsa_memory_ordered 1
		.amdhsa_forward_progress 0
		.amdhsa_shared_vgpr_count 0
		.amdhsa_exception_fp_ieee_invalid_op 0
		.amdhsa_exception_fp_denorm_src 0
		.amdhsa_exception_fp_ieee_div_zero 0
		.amdhsa_exception_fp_ieee_overflow 0
		.amdhsa_exception_fp_ieee_underflow 0
		.amdhsa_exception_fp_ieee_inexact 0
		.amdhsa_exception_int_div_zero 0
	.end_amdhsa_kernel
	.section	.text._ZN7rocprim17ROCPRIM_400000_NS6detail17trampoline_kernelINS0_14default_configENS1_38merge_sort_block_merge_config_selectorIlNS0_10empty_typeEEEZZNS1_27merge_sort_block_merge_implIS3_PlPS5_mZN2at6native12_GLOBAL__N_124unique_dim_cuda_templateIN3c104HalfEEESt5tupleIJNSA_6TensorESH_SH_EERKSH_lbbbEUlllE_EE10hipError_tT0_T1_T2_jT3_P12ihipStream_tbPNSt15iterator_traitsISN_E10value_typeEPNST_ISO_E10value_typeEPSP_NS1_7vsmem_tEENKUlT_SN_SO_SP_E_clIS8_S8_S9_S9_EESM_S12_SN_SO_SP_EUlS12_E1_NS1_11comp_targetILNS1_3genE8ELNS1_11target_archE1030ELNS1_3gpuE2ELNS1_3repE0EEENS1_36merge_oddeven_config_static_selectorELNS0_4arch9wavefront6targetE0EEEvSO_,"axG",@progbits,_ZN7rocprim17ROCPRIM_400000_NS6detail17trampoline_kernelINS0_14default_configENS1_38merge_sort_block_merge_config_selectorIlNS0_10empty_typeEEEZZNS1_27merge_sort_block_merge_implIS3_PlPS5_mZN2at6native12_GLOBAL__N_124unique_dim_cuda_templateIN3c104HalfEEESt5tupleIJNSA_6TensorESH_SH_EERKSH_lbbbEUlllE_EE10hipError_tT0_T1_T2_jT3_P12ihipStream_tbPNSt15iterator_traitsISN_E10value_typeEPNST_ISO_E10value_typeEPSP_NS1_7vsmem_tEENKUlT_SN_SO_SP_E_clIS8_S8_S9_S9_EESM_S12_SN_SO_SP_EUlS12_E1_NS1_11comp_targetILNS1_3genE8ELNS1_11target_archE1030ELNS1_3gpuE2ELNS1_3repE0EEENS1_36merge_oddeven_config_static_selectorELNS0_4arch9wavefront6targetE0EEEvSO_,comdat
.Lfunc_end1269:
	.size	_ZN7rocprim17ROCPRIM_400000_NS6detail17trampoline_kernelINS0_14default_configENS1_38merge_sort_block_merge_config_selectorIlNS0_10empty_typeEEEZZNS1_27merge_sort_block_merge_implIS3_PlPS5_mZN2at6native12_GLOBAL__N_124unique_dim_cuda_templateIN3c104HalfEEESt5tupleIJNSA_6TensorESH_SH_EERKSH_lbbbEUlllE_EE10hipError_tT0_T1_T2_jT3_P12ihipStream_tbPNSt15iterator_traitsISN_E10value_typeEPNST_ISO_E10value_typeEPSP_NS1_7vsmem_tEENKUlT_SN_SO_SP_E_clIS8_S8_S9_S9_EESM_S12_SN_SO_SP_EUlS12_E1_NS1_11comp_targetILNS1_3genE8ELNS1_11target_archE1030ELNS1_3gpuE2ELNS1_3repE0EEENS1_36merge_oddeven_config_static_selectorELNS0_4arch9wavefront6targetE0EEEvSO_, .Lfunc_end1269-_ZN7rocprim17ROCPRIM_400000_NS6detail17trampoline_kernelINS0_14default_configENS1_38merge_sort_block_merge_config_selectorIlNS0_10empty_typeEEEZZNS1_27merge_sort_block_merge_implIS3_PlPS5_mZN2at6native12_GLOBAL__N_124unique_dim_cuda_templateIN3c104HalfEEESt5tupleIJNSA_6TensorESH_SH_EERKSH_lbbbEUlllE_EE10hipError_tT0_T1_T2_jT3_P12ihipStream_tbPNSt15iterator_traitsISN_E10value_typeEPNST_ISO_E10value_typeEPSP_NS1_7vsmem_tEENKUlT_SN_SO_SP_E_clIS8_S8_S9_S9_EESM_S12_SN_SO_SP_EUlS12_E1_NS1_11comp_targetILNS1_3genE8ELNS1_11target_archE1030ELNS1_3gpuE2ELNS1_3repE0EEENS1_36merge_oddeven_config_static_selectorELNS0_4arch9wavefront6targetE0EEEvSO_
                                        ; -- End function
	.section	.AMDGPU.csdata,"",@progbits
; Kernel info:
; codeLenInByte = 0
; NumSgprs: 0
; NumVgprs: 0
; ScratchSize: 0
; MemoryBound: 0
; FloatMode: 240
; IeeeMode: 1
; LDSByteSize: 0 bytes/workgroup (compile time only)
; SGPRBlocks: 0
; VGPRBlocks: 0
; NumSGPRsForWavesPerEU: 1
; NumVGPRsForWavesPerEU: 1
; Occupancy: 16
; WaveLimiterHint : 0
; COMPUTE_PGM_RSRC2:SCRATCH_EN: 0
; COMPUTE_PGM_RSRC2:USER_SGPR: 15
; COMPUTE_PGM_RSRC2:TRAP_HANDLER: 0
; COMPUTE_PGM_RSRC2:TGID_X_EN: 1
; COMPUTE_PGM_RSRC2:TGID_Y_EN: 0
; COMPUTE_PGM_RSRC2:TGID_Z_EN: 0
; COMPUTE_PGM_RSRC2:TIDIG_COMP_CNT: 0
	.section	.text._ZN7rocprim17ROCPRIM_400000_NS6detail17trampoline_kernelINS0_14default_configENS1_35adjacent_difference_config_selectorILb0ElEEZNS1_24adjacent_difference_implIS3_Lb0ELb0EPlS7_ZN2at6native12_GLOBAL__N_124unique_dim_cuda_templateIN3c104HalfEEESt5tupleIJNS8_6TensorESF_SF_EERKSF_lbbbEUlllE1_EE10hipError_tPvRmT2_T3_mT4_P12ihipStream_tbEUlT_E_NS1_11comp_targetILNS1_3genE0ELNS1_11target_archE4294967295ELNS1_3gpuE0ELNS1_3repE0EEENS1_30default_config_static_selectorELNS0_4arch9wavefront6targetE0EEEvT1_,"axG",@progbits,_ZN7rocprim17ROCPRIM_400000_NS6detail17trampoline_kernelINS0_14default_configENS1_35adjacent_difference_config_selectorILb0ElEEZNS1_24adjacent_difference_implIS3_Lb0ELb0EPlS7_ZN2at6native12_GLOBAL__N_124unique_dim_cuda_templateIN3c104HalfEEESt5tupleIJNS8_6TensorESF_SF_EERKSF_lbbbEUlllE1_EE10hipError_tPvRmT2_T3_mT4_P12ihipStream_tbEUlT_E_NS1_11comp_targetILNS1_3genE0ELNS1_11target_archE4294967295ELNS1_3gpuE0ELNS1_3repE0EEENS1_30default_config_static_selectorELNS0_4arch9wavefront6targetE0EEEvT1_,comdat
	.globl	_ZN7rocprim17ROCPRIM_400000_NS6detail17trampoline_kernelINS0_14default_configENS1_35adjacent_difference_config_selectorILb0ElEEZNS1_24adjacent_difference_implIS3_Lb0ELb0EPlS7_ZN2at6native12_GLOBAL__N_124unique_dim_cuda_templateIN3c104HalfEEESt5tupleIJNS8_6TensorESF_SF_EERKSF_lbbbEUlllE1_EE10hipError_tPvRmT2_T3_mT4_P12ihipStream_tbEUlT_E_NS1_11comp_targetILNS1_3genE0ELNS1_11target_archE4294967295ELNS1_3gpuE0ELNS1_3repE0EEENS1_30default_config_static_selectorELNS0_4arch9wavefront6targetE0EEEvT1_ ; -- Begin function _ZN7rocprim17ROCPRIM_400000_NS6detail17trampoline_kernelINS0_14default_configENS1_35adjacent_difference_config_selectorILb0ElEEZNS1_24adjacent_difference_implIS3_Lb0ELb0EPlS7_ZN2at6native12_GLOBAL__N_124unique_dim_cuda_templateIN3c104HalfEEESt5tupleIJNS8_6TensorESF_SF_EERKSF_lbbbEUlllE1_EE10hipError_tPvRmT2_T3_mT4_P12ihipStream_tbEUlT_E_NS1_11comp_targetILNS1_3genE0ELNS1_11target_archE4294967295ELNS1_3gpuE0ELNS1_3repE0EEENS1_30default_config_static_selectorELNS0_4arch9wavefront6targetE0EEEvT1_
	.p2align	8
	.type	_ZN7rocprim17ROCPRIM_400000_NS6detail17trampoline_kernelINS0_14default_configENS1_35adjacent_difference_config_selectorILb0ElEEZNS1_24adjacent_difference_implIS3_Lb0ELb0EPlS7_ZN2at6native12_GLOBAL__N_124unique_dim_cuda_templateIN3c104HalfEEESt5tupleIJNS8_6TensorESF_SF_EERKSF_lbbbEUlllE1_EE10hipError_tPvRmT2_T3_mT4_P12ihipStream_tbEUlT_E_NS1_11comp_targetILNS1_3genE0ELNS1_11target_archE4294967295ELNS1_3gpuE0ELNS1_3repE0EEENS1_30default_config_static_selectorELNS0_4arch9wavefront6targetE0EEEvT1_,@function
_ZN7rocprim17ROCPRIM_400000_NS6detail17trampoline_kernelINS0_14default_configENS1_35adjacent_difference_config_selectorILb0ElEEZNS1_24adjacent_difference_implIS3_Lb0ELb0EPlS7_ZN2at6native12_GLOBAL__N_124unique_dim_cuda_templateIN3c104HalfEEESt5tupleIJNS8_6TensorESF_SF_EERKSF_lbbbEUlllE1_EE10hipError_tPvRmT2_T3_mT4_P12ihipStream_tbEUlT_E_NS1_11comp_targetILNS1_3genE0ELNS1_11target_archE4294967295ELNS1_3gpuE0ELNS1_3repE0EEENS1_30default_config_static_selectorELNS0_4arch9wavefront6targetE0EEEvT1_: ; @_ZN7rocprim17ROCPRIM_400000_NS6detail17trampoline_kernelINS0_14default_configENS1_35adjacent_difference_config_selectorILb0ElEEZNS1_24adjacent_difference_implIS3_Lb0ELb0EPlS7_ZN2at6native12_GLOBAL__N_124unique_dim_cuda_templateIN3c104HalfEEESt5tupleIJNS8_6TensorESF_SF_EERKSF_lbbbEUlllE1_EE10hipError_tPvRmT2_T3_mT4_P12ihipStream_tbEUlT_E_NS1_11comp_targetILNS1_3genE0ELNS1_11target_archE4294967295ELNS1_3gpuE0ELNS1_3repE0EEENS1_30default_config_static_selectorELNS0_4arch9wavefront6targetE0EEEvT1_
; %bb.0:
	.section	.rodata,"a",@progbits
	.p2align	6, 0x0
	.amdhsa_kernel _ZN7rocprim17ROCPRIM_400000_NS6detail17trampoline_kernelINS0_14default_configENS1_35adjacent_difference_config_selectorILb0ElEEZNS1_24adjacent_difference_implIS3_Lb0ELb0EPlS7_ZN2at6native12_GLOBAL__N_124unique_dim_cuda_templateIN3c104HalfEEESt5tupleIJNS8_6TensorESF_SF_EERKSF_lbbbEUlllE1_EE10hipError_tPvRmT2_T3_mT4_P12ihipStream_tbEUlT_E_NS1_11comp_targetILNS1_3genE0ELNS1_11target_archE4294967295ELNS1_3gpuE0ELNS1_3repE0EEENS1_30default_config_static_selectorELNS0_4arch9wavefront6targetE0EEEvT1_
		.amdhsa_group_segment_fixed_size 0
		.amdhsa_private_segment_fixed_size 0
		.amdhsa_kernarg_size 64
		.amdhsa_user_sgpr_count 15
		.amdhsa_user_sgpr_dispatch_ptr 0
		.amdhsa_user_sgpr_queue_ptr 0
		.amdhsa_user_sgpr_kernarg_segment_ptr 1
		.amdhsa_user_sgpr_dispatch_id 0
		.amdhsa_user_sgpr_private_segment_size 0
		.amdhsa_wavefront_size32 1
		.amdhsa_uses_dynamic_stack 0
		.amdhsa_enable_private_segment 0
		.amdhsa_system_sgpr_workgroup_id_x 1
		.amdhsa_system_sgpr_workgroup_id_y 0
		.amdhsa_system_sgpr_workgroup_id_z 0
		.amdhsa_system_sgpr_workgroup_info 0
		.amdhsa_system_vgpr_workitem_id 0
		.amdhsa_next_free_vgpr 1
		.amdhsa_next_free_sgpr 1
		.amdhsa_reserve_vcc 0
		.amdhsa_float_round_mode_32 0
		.amdhsa_float_round_mode_16_64 0
		.amdhsa_float_denorm_mode_32 3
		.amdhsa_float_denorm_mode_16_64 3
		.amdhsa_dx10_clamp 1
		.amdhsa_ieee_mode 1
		.amdhsa_fp16_overflow 0
		.amdhsa_workgroup_processor_mode 1
		.amdhsa_memory_ordered 1
		.amdhsa_forward_progress 0
		.amdhsa_shared_vgpr_count 0
		.amdhsa_exception_fp_ieee_invalid_op 0
		.amdhsa_exception_fp_denorm_src 0
		.amdhsa_exception_fp_ieee_div_zero 0
		.amdhsa_exception_fp_ieee_overflow 0
		.amdhsa_exception_fp_ieee_underflow 0
		.amdhsa_exception_fp_ieee_inexact 0
		.amdhsa_exception_int_div_zero 0
	.end_amdhsa_kernel
	.section	.text._ZN7rocprim17ROCPRIM_400000_NS6detail17trampoline_kernelINS0_14default_configENS1_35adjacent_difference_config_selectorILb0ElEEZNS1_24adjacent_difference_implIS3_Lb0ELb0EPlS7_ZN2at6native12_GLOBAL__N_124unique_dim_cuda_templateIN3c104HalfEEESt5tupleIJNS8_6TensorESF_SF_EERKSF_lbbbEUlllE1_EE10hipError_tPvRmT2_T3_mT4_P12ihipStream_tbEUlT_E_NS1_11comp_targetILNS1_3genE0ELNS1_11target_archE4294967295ELNS1_3gpuE0ELNS1_3repE0EEENS1_30default_config_static_selectorELNS0_4arch9wavefront6targetE0EEEvT1_,"axG",@progbits,_ZN7rocprim17ROCPRIM_400000_NS6detail17trampoline_kernelINS0_14default_configENS1_35adjacent_difference_config_selectorILb0ElEEZNS1_24adjacent_difference_implIS3_Lb0ELb0EPlS7_ZN2at6native12_GLOBAL__N_124unique_dim_cuda_templateIN3c104HalfEEESt5tupleIJNS8_6TensorESF_SF_EERKSF_lbbbEUlllE1_EE10hipError_tPvRmT2_T3_mT4_P12ihipStream_tbEUlT_E_NS1_11comp_targetILNS1_3genE0ELNS1_11target_archE4294967295ELNS1_3gpuE0ELNS1_3repE0EEENS1_30default_config_static_selectorELNS0_4arch9wavefront6targetE0EEEvT1_,comdat
.Lfunc_end1270:
	.size	_ZN7rocprim17ROCPRIM_400000_NS6detail17trampoline_kernelINS0_14default_configENS1_35adjacent_difference_config_selectorILb0ElEEZNS1_24adjacent_difference_implIS3_Lb0ELb0EPlS7_ZN2at6native12_GLOBAL__N_124unique_dim_cuda_templateIN3c104HalfEEESt5tupleIJNS8_6TensorESF_SF_EERKSF_lbbbEUlllE1_EE10hipError_tPvRmT2_T3_mT4_P12ihipStream_tbEUlT_E_NS1_11comp_targetILNS1_3genE0ELNS1_11target_archE4294967295ELNS1_3gpuE0ELNS1_3repE0EEENS1_30default_config_static_selectorELNS0_4arch9wavefront6targetE0EEEvT1_, .Lfunc_end1270-_ZN7rocprim17ROCPRIM_400000_NS6detail17trampoline_kernelINS0_14default_configENS1_35adjacent_difference_config_selectorILb0ElEEZNS1_24adjacent_difference_implIS3_Lb0ELb0EPlS7_ZN2at6native12_GLOBAL__N_124unique_dim_cuda_templateIN3c104HalfEEESt5tupleIJNS8_6TensorESF_SF_EERKSF_lbbbEUlllE1_EE10hipError_tPvRmT2_T3_mT4_P12ihipStream_tbEUlT_E_NS1_11comp_targetILNS1_3genE0ELNS1_11target_archE4294967295ELNS1_3gpuE0ELNS1_3repE0EEENS1_30default_config_static_selectorELNS0_4arch9wavefront6targetE0EEEvT1_
                                        ; -- End function
	.section	.AMDGPU.csdata,"",@progbits
; Kernel info:
; codeLenInByte = 0
; NumSgprs: 0
; NumVgprs: 0
; ScratchSize: 0
; MemoryBound: 0
; FloatMode: 240
; IeeeMode: 1
; LDSByteSize: 0 bytes/workgroup (compile time only)
; SGPRBlocks: 0
; VGPRBlocks: 0
; NumSGPRsForWavesPerEU: 1
; NumVGPRsForWavesPerEU: 1
; Occupancy: 16
; WaveLimiterHint : 0
; COMPUTE_PGM_RSRC2:SCRATCH_EN: 0
; COMPUTE_PGM_RSRC2:USER_SGPR: 15
; COMPUTE_PGM_RSRC2:TRAP_HANDLER: 0
; COMPUTE_PGM_RSRC2:TGID_X_EN: 1
; COMPUTE_PGM_RSRC2:TGID_Y_EN: 0
; COMPUTE_PGM_RSRC2:TGID_Z_EN: 0
; COMPUTE_PGM_RSRC2:TIDIG_COMP_CNT: 0
	.section	.text._ZN7rocprim17ROCPRIM_400000_NS6detail17trampoline_kernelINS0_14default_configENS1_35adjacent_difference_config_selectorILb0ElEEZNS1_24adjacent_difference_implIS3_Lb0ELb0EPlS7_ZN2at6native12_GLOBAL__N_124unique_dim_cuda_templateIN3c104HalfEEESt5tupleIJNS8_6TensorESF_SF_EERKSF_lbbbEUlllE1_EE10hipError_tPvRmT2_T3_mT4_P12ihipStream_tbEUlT_E_NS1_11comp_targetILNS1_3genE10ELNS1_11target_archE1201ELNS1_3gpuE5ELNS1_3repE0EEENS1_30default_config_static_selectorELNS0_4arch9wavefront6targetE0EEEvT1_,"axG",@progbits,_ZN7rocprim17ROCPRIM_400000_NS6detail17trampoline_kernelINS0_14default_configENS1_35adjacent_difference_config_selectorILb0ElEEZNS1_24adjacent_difference_implIS3_Lb0ELb0EPlS7_ZN2at6native12_GLOBAL__N_124unique_dim_cuda_templateIN3c104HalfEEESt5tupleIJNS8_6TensorESF_SF_EERKSF_lbbbEUlllE1_EE10hipError_tPvRmT2_T3_mT4_P12ihipStream_tbEUlT_E_NS1_11comp_targetILNS1_3genE10ELNS1_11target_archE1201ELNS1_3gpuE5ELNS1_3repE0EEENS1_30default_config_static_selectorELNS0_4arch9wavefront6targetE0EEEvT1_,comdat
	.globl	_ZN7rocprim17ROCPRIM_400000_NS6detail17trampoline_kernelINS0_14default_configENS1_35adjacent_difference_config_selectorILb0ElEEZNS1_24adjacent_difference_implIS3_Lb0ELb0EPlS7_ZN2at6native12_GLOBAL__N_124unique_dim_cuda_templateIN3c104HalfEEESt5tupleIJNS8_6TensorESF_SF_EERKSF_lbbbEUlllE1_EE10hipError_tPvRmT2_T3_mT4_P12ihipStream_tbEUlT_E_NS1_11comp_targetILNS1_3genE10ELNS1_11target_archE1201ELNS1_3gpuE5ELNS1_3repE0EEENS1_30default_config_static_selectorELNS0_4arch9wavefront6targetE0EEEvT1_ ; -- Begin function _ZN7rocprim17ROCPRIM_400000_NS6detail17trampoline_kernelINS0_14default_configENS1_35adjacent_difference_config_selectorILb0ElEEZNS1_24adjacent_difference_implIS3_Lb0ELb0EPlS7_ZN2at6native12_GLOBAL__N_124unique_dim_cuda_templateIN3c104HalfEEESt5tupleIJNS8_6TensorESF_SF_EERKSF_lbbbEUlllE1_EE10hipError_tPvRmT2_T3_mT4_P12ihipStream_tbEUlT_E_NS1_11comp_targetILNS1_3genE10ELNS1_11target_archE1201ELNS1_3gpuE5ELNS1_3repE0EEENS1_30default_config_static_selectorELNS0_4arch9wavefront6targetE0EEEvT1_
	.p2align	8
	.type	_ZN7rocprim17ROCPRIM_400000_NS6detail17trampoline_kernelINS0_14default_configENS1_35adjacent_difference_config_selectorILb0ElEEZNS1_24adjacent_difference_implIS3_Lb0ELb0EPlS7_ZN2at6native12_GLOBAL__N_124unique_dim_cuda_templateIN3c104HalfEEESt5tupleIJNS8_6TensorESF_SF_EERKSF_lbbbEUlllE1_EE10hipError_tPvRmT2_T3_mT4_P12ihipStream_tbEUlT_E_NS1_11comp_targetILNS1_3genE10ELNS1_11target_archE1201ELNS1_3gpuE5ELNS1_3repE0EEENS1_30default_config_static_selectorELNS0_4arch9wavefront6targetE0EEEvT1_,@function
_ZN7rocprim17ROCPRIM_400000_NS6detail17trampoline_kernelINS0_14default_configENS1_35adjacent_difference_config_selectorILb0ElEEZNS1_24adjacent_difference_implIS3_Lb0ELb0EPlS7_ZN2at6native12_GLOBAL__N_124unique_dim_cuda_templateIN3c104HalfEEESt5tupleIJNS8_6TensorESF_SF_EERKSF_lbbbEUlllE1_EE10hipError_tPvRmT2_T3_mT4_P12ihipStream_tbEUlT_E_NS1_11comp_targetILNS1_3genE10ELNS1_11target_archE1201ELNS1_3gpuE5ELNS1_3repE0EEENS1_30default_config_static_selectorELNS0_4arch9wavefront6targetE0EEEvT1_: ; @_ZN7rocprim17ROCPRIM_400000_NS6detail17trampoline_kernelINS0_14default_configENS1_35adjacent_difference_config_selectorILb0ElEEZNS1_24adjacent_difference_implIS3_Lb0ELb0EPlS7_ZN2at6native12_GLOBAL__N_124unique_dim_cuda_templateIN3c104HalfEEESt5tupleIJNS8_6TensorESF_SF_EERKSF_lbbbEUlllE1_EE10hipError_tPvRmT2_T3_mT4_P12ihipStream_tbEUlT_E_NS1_11comp_targetILNS1_3genE10ELNS1_11target_archE1201ELNS1_3gpuE5ELNS1_3repE0EEENS1_30default_config_static_selectorELNS0_4arch9wavefront6targetE0EEEvT1_
; %bb.0:
	.section	.rodata,"a",@progbits
	.p2align	6, 0x0
	.amdhsa_kernel _ZN7rocprim17ROCPRIM_400000_NS6detail17trampoline_kernelINS0_14default_configENS1_35adjacent_difference_config_selectorILb0ElEEZNS1_24adjacent_difference_implIS3_Lb0ELb0EPlS7_ZN2at6native12_GLOBAL__N_124unique_dim_cuda_templateIN3c104HalfEEESt5tupleIJNS8_6TensorESF_SF_EERKSF_lbbbEUlllE1_EE10hipError_tPvRmT2_T3_mT4_P12ihipStream_tbEUlT_E_NS1_11comp_targetILNS1_3genE10ELNS1_11target_archE1201ELNS1_3gpuE5ELNS1_3repE0EEENS1_30default_config_static_selectorELNS0_4arch9wavefront6targetE0EEEvT1_
		.amdhsa_group_segment_fixed_size 0
		.amdhsa_private_segment_fixed_size 0
		.amdhsa_kernarg_size 64
		.amdhsa_user_sgpr_count 15
		.amdhsa_user_sgpr_dispatch_ptr 0
		.amdhsa_user_sgpr_queue_ptr 0
		.amdhsa_user_sgpr_kernarg_segment_ptr 1
		.amdhsa_user_sgpr_dispatch_id 0
		.amdhsa_user_sgpr_private_segment_size 0
		.amdhsa_wavefront_size32 1
		.amdhsa_uses_dynamic_stack 0
		.amdhsa_enable_private_segment 0
		.amdhsa_system_sgpr_workgroup_id_x 1
		.amdhsa_system_sgpr_workgroup_id_y 0
		.amdhsa_system_sgpr_workgroup_id_z 0
		.amdhsa_system_sgpr_workgroup_info 0
		.amdhsa_system_vgpr_workitem_id 0
		.amdhsa_next_free_vgpr 1
		.amdhsa_next_free_sgpr 1
		.amdhsa_reserve_vcc 0
		.amdhsa_float_round_mode_32 0
		.amdhsa_float_round_mode_16_64 0
		.amdhsa_float_denorm_mode_32 3
		.amdhsa_float_denorm_mode_16_64 3
		.amdhsa_dx10_clamp 1
		.amdhsa_ieee_mode 1
		.amdhsa_fp16_overflow 0
		.amdhsa_workgroup_processor_mode 1
		.amdhsa_memory_ordered 1
		.amdhsa_forward_progress 0
		.amdhsa_shared_vgpr_count 0
		.amdhsa_exception_fp_ieee_invalid_op 0
		.amdhsa_exception_fp_denorm_src 0
		.amdhsa_exception_fp_ieee_div_zero 0
		.amdhsa_exception_fp_ieee_overflow 0
		.amdhsa_exception_fp_ieee_underflow 0
		.amdhsa_exception_fp_ieee_inexact 0
		.amdhsa_exception_int_div_zero 0
	.end_amdhsa_kernel
	.section	.text._ZN7rocprim17ROCPRIM_400000_NS6detail17trampoline_kernelINS0_14default_configENS1_35adjacent_difference_config_selectorILb0ElEEZNS1_24adjacent_difference_implIS3_Lb0ELb0EPlS7_ZN2at6native12_GLOBAL__N_124unique_dim_cuda_templateIN3c104HalfEEESt5tupleIJNS8_6TensorESF_SF_EERKSF_lbbbEUlllE1_EE10hipError_tPvRmT2_T3_mT4_P12ihipStream_tbEUlT_E_NS1_11comp_targetILNS1_3genE10ELNS1_11target_archE1201ELNS1_3gpuE5ELNS1_3repE0EEENS1_30default_config_static_selectorELNS0_4arch9wavefront6targetE0EEEvT1_,"axG",@progbits,_ZN7rocprim17ROCPRIM_400000_NS6detail17trampoline_kernelINS0_14default_configENS1_35adjacent_difference_config_selectorILb0ElEEZNS1_24adjacent_difference_implIS3_Lb0ELb0EPlS7_ZN2at6native12_GLOBAL__N_124unique_dim_cuda_templateIN3c104HalfEEESt5tupleIJNS8_6TensorESF_SF_EERKSF_lbbbEUlllE1_EE10hipError_tPvRmT2_T3_mT4_P12ihipStream_tbEUlT_E_NS1_11comp_targetILNS1_3genE10ELNS1_11target_archE1201ELNS1_3gpuE5ELNS1_3repE0EEENS1_30default_config_static_selectorELNS0_4arch9wavefront6targetE0EEEvT1_,comdat
.Lfunc_end1271:
	.size	_ZN7rocprim17ROCPRIM_400000_NS6detail17trampoline_kernelINS0_14default_configENS1_35adjacent_difference_config_selectorILb0ElEEZNS1_24adjacent_difference_implIS3_Lb0ELb0EPlS7_ZN2at6native12_GLOBAL__N_124unique_dim_cuda_templateIN3c104HalfEEESt5tupleIJNS8_6TensorESF_SF_EERKSF_lbbbEUlllE1_EE10hipError_tPvRmT2_T3_mT4_P12ihipStream_tbEUlT_E_NS1_11comp_targetILNS1_3genE10ELNS1_11target_archE1201ELNS1_3gpuE5ELNS1_3repE0EEENS1_30default_config_static_selectorELNS0_4arch9wavefront6targetE0EEEvT1_, .Lfunc_end1271-_ZN7rocprim17ROCPRIM_400000_NS6detail17trampoline_kernelINS0_14default_configENS1_35adjacent_difference_config_selectorILb0ElEEZNS1_24adjacent_difference_implIS3_Lb0ELb0EPlS7_ZN2at6native12_GLOBAL__N_124unique_dim_cuda_templateIN3c104HalfEEESt5tupleIJNS8_6TensorESF_SF_EERKSF_lbbbEUlllE1_EE10hipError_tPvRmT2_T3_mT4_P12ihipStream_tbEUlT_E_NS1_11comp_targetILNS1_3genE10ELNS1_11target_archE1201ELNS1_3gpuE5ELNS1_3repE0EEENS1_30default_config_static_selectorELNS0_4arch9wavefront6targetE0EEEvT1_
                                        ; -- End function
	.section	.AMDGPU.csdata,"",@progbits
; Kernel info:
; codeLenInByte = 0
; NumSgprs: 0
; NumVgprs: 0
; ScratchSize: 0
; MemoryBound: 0
; FloatMode: 240
; IeeeMode: 1
; LDSByteSize: 0 bytes/workgroup (compile time only)
; SGPRBlocks: 0
; VGPRBlocks: 0
; NumSGPRsForWavesPerEU: 1
; NumVGPRsForWavesPerEU: 1
; Occupancy: 16
; WaveLimiterHint : 0
; COMPUTE_PGM_RSRC2:SCRATCH_EN: 0
; COMPUTE_PGM_RSRC2:USER_SGPR: 15
; COMPUTE_PGM_RSRC2:TRAP_HANDLER: 0
; COMPUTE_PGM_RSRC2:TGID_X_EN: 1
; COMPUTE_PGM_RSRC2:TGID_Y_EN: 0
; COMPUTE_PGM_RSRC2:TGID_Z_EN: 0
; COMPUTE_PGM_RSRC2:TIDIG_COMP_CNT: 0
	.section	.text._ZN7rocprim17ROCPRIM_400000_NS6detail17trampoline_kernelINS0_14default_configENS1_35adjacent_difference_config_selectorILb0ElEEZNS1_24adjacent_difference_implIS3_Lb0ELb0EPlS7_ZN2at6native12_GLOBAL__N_124unique_dim_cuda_templateIN3c104HalfEEESt5tupleIJNS8_6TensorESF_SF_EERKSF_lbbbEUlllE1_EE10hipError_tPvRmT2_T3_mT4_P12ihipStream_tbEUlT_E_NS1_11comp_targetILNS1_3genE5ELNS1_11target_archE942ELNS1_3gpuE9ELNS1_3repE0EEENS1_30default_config_static_selectorELNS0_4arch9wavefront6targetE0EEEvT1_,"axG",@progbits,_ZN7rocprim17ROCPRIM_400000_NS6detail17trampoline_kernelINS0_14default_configENS1_35adjacent_difference_config_selectorILb0ElEEZNS1_24adjacent_difference_implIS3_Lb0ELb0EPlS7_ZN2at6native12_GLOBAL__N_124unique_dim_cuda_templateIN3c104HalfEEESt5tupleIJNS8_6TensorESF_SF_EERKSF_lbbbEUlllE1_EE10hipError_tPvRmT2_T3_mT4_P12ihipStream_tbEUlT_E_NS1_11comp_targetILNS1_3genE5ELNS1_11target_archE942ELNS1_3gpuE9ELNS1_3repE0EEENS1_30default_config_static_selectorELNS0_4arch9wavefront6targetE0EEEvT1_,comdat
	.globl	_ZN7rocprim17ROCPRIM_400000_NS6detail17trampoline_kernelINS0_14default_configENS1_35adjacent_difference_config_selectorILb0ElEEZNS1_24adjacent_difference_implIS3_Lb0ELb0EPlS7_ZN2at6native12_GLOBAL__N_124unique_dim_cuda_templateIN3c104HalfEEESt5tupleIJNS8_6TensorESF_SF_EERKSF_lbbbEUlllE1_EE10hipError_tPvRmT2_T3_mT4_P12ihipStream_tbEUlT_E_NS1_11comp_targetILNS1_3genE5ELNS1_11target_archE942ELNS1_3gpuE9ELNS1_3repE0EEENS1_30default_config_static_selectorELNS0_4arch9wavefront6targetE0EEEvT1_ ; -- Begin function _ZN7rocprim17ROCPRIM_400000_NS6detail17trampoline_kernelINS0_14default_configENS1_35adjacent_difference_config_selectorILb0ElEEZNS1_24adjacent_difference_implIS3_Lb0ELb0EPlS7_ZN2at6native12_GLOBAL__N_124unique_dim_cuda_templateIN3c104HalfEEESt5tupleIJNS8_6TensorESF_SF_EERKSF_lbbbEUlllE1_EE10hipError_tPvRmT2_T3_mT4_P12ihipStream_tbEUlT_E_NS1_11comp_targetILNS1_3genE5ELNS1_11target_archE942ELNS1_3gpuE9ELNS1_3repE0EEENS1_30default_config_static_selectorELNS0_4arch9wavefront6targetE0EEEvT1_
	.p2align	8
	.type	_ZN7rocprim17ROCPRIM_400000_NS6detail17trampoline_kernelINS0_14default_configENS1_35adjacent_difference_config_selectorILb0ElEEZNS1_24adjacent_difference_implIS3_Lb0ELb0EPlS7_ZN2at6native12_GLOBAL__N_124unique_dim_cuda_templateIN3c104HalfEEESt5tupleIJNS8_6TensorESF_SF_EERKSF_lbbbEUlllE1_EE10hipError_tPvRmT2_T3_mT4_P12ihipStream_tbEUlT_E_NS1_11comp_targetILNS1_3genE5ELNS1_11target_archE942ELNS1_3gpuE9ELNS1_3repE0EEENS1_30default_config_static_selectorELNS0_4arch9wavefront6targetE0EEEvT1_,@function
_ZN7rocprim17ROCPRIM_400000_NS6detail17trampoline_kernelINS0_14default_configENS1_35adjacent_difference_config_selectorILb0ElEEZNS1_24adjacent_difference_implIS3_Lb0ELb0EPlS7_ZN2at6native12_GLOBAL__N_124unique_dim_cuda_templateIN3c104HalfEEESt5tupleIJNS8_6TensorESF_SF_EERKSF_lbbbEUlllE1_EE10hipError_tPvRmT2_T3_mT4_P12ihipStream_tbEUlT_E_NS1_11comp_targetILNS1_3genE5ELNS1_11target_archE942ELNS1_3gpuE9ELNS1_3repE0EEENS1_30default_config_static_selectorELNS0_4arch9wavefront6targetE0EEEvT1_: ; @_ZN7rocprim17ROCPRIM_400000_NS6detail17trampoline_kernelINS0_14default_configENS1_35adjacent_difference_config_selectorILb0ElEEZNS1_24adjacent_difference_implIS3_Lb0ELb0EPlS7_ZN2at6native12_GLOBAL__N_124unique_dim_cuda_templateIN3c104HalfEEESt5tupleIJNS8_6TensorESF_SF_EERKSF_lbbbEUlllE1_EE10hipError_tPvRmT2_T3_mT4_P12ihipStream_tbEUlT_E_NS1_11comp_targetILNS1_3genE5ELNS1_11target_archE942ELNS1_3gpuE9ELNS1_3repE0EEENS1_30default_config_static_selectorELNS0_4arch9wavefront6targetE0EEEvT1_
; %bb.0:
	.section	.rodata,"a",@progbits
	.p2align	6, 0x0
	.amdhsa_kernel _ZN7rocprim17ROCPRIM_400000_NS6detail17trampoline_kernelINS0_14default_configENS1_35adjacent_difference_config_selectorILb0ElEEZNS1_24adjacent_difference_implIS3_Lb0ELb0EPlS7_ZN2at6native12_GLOBAL__N_124unique_dim_cuda_templateIN3c104HalfEEESt5tupleIJNS8_6TensorESF_SF_EERKSF_lbbbEUlllE1_EE10hipError_tPvRmT2_T3_mT4_P12ihipStream_tbEUlT_E_NS1_11comp_targetILNS1_3genE5ELNS1_11target_archE942ELNS1_3gpuE9ELNS1_3repE0EEENS1_30default_config_static_selectorELNS0_4arch9wavefront6targetE0EEEvT1_
		.amdhsa_group_segment_fixed_size 0
		.amdhsa_private_segment_fixed_size 0
		.amdhsa_kernarg_size 64
		.amdhsa_user_sgpr_count 15
		.amdhsa_user_sgpr_dispatch_ptr 0
		.amdhsa_user_sgpr_queue_ptr 0
		.amdhsa_user_sgpr_kernarg_segment_ptr 1
		.amdhsa_user_sgpr_dispatch_id 0
		.amdhsa_user_sgpr_private_segment_size 0
		.amdhsa_wavefront_size32 1
		.amdhsa_uses_dynamic_stack 0
		.amdhsa_enable_private_segment 0
		.amdhsa_system_sgpr_workgroup_id_x 1
		.amdhsa_system_sgpr_workgroup_id_y 0
		.amdhsa_system_sgpr_workgroup_id_z 0
		.amdhsa_system_sgpr_workgroup_info 0
		.amdhsa_system_vgpr_workitem_id 0
		.amdhsa_next_free_vgpr 1
		.amdhsa_next_free_sgpr 1
		.amdhsa_reserve_vcc 0
		.amdhsa_float_round_mode_32 0
		.amdhsa_float_round_mode_16_64 0
		.amdhsa_float_denorm_mode_32 3
		.amdhsa_float_denorm_mode_16_64 3
		.amdhsa_dx10_clamp 1
		.amdhsa_ieee_mode 1
		.amdhsa_fp16_overflow 0
		.amdhsa_workgroup_processor_mode 1
		.amdhsa_memory_ordered 1
		.amdhsa_forward_progress 0
		.amdhsa_shared_vgpr_count 0
		.amdhsa_exception_fp_ieee_invalid_op 0
		.amdhsa_exception_fp_denorm_src 0
		.amdhsa_exception_fp_ieee_div_zero 0
		.amdhsa_exception_fp_ieee_overflow 0
		.amdhsa_exception_fp_ieee_underflow 0
		.amdhsa_exception_fp_ieee_inexact 0
		.amdhsa_exception_int_div_zero 0
	.end_amdhsa_kernel
	.section	.text._ZN7rocprim17ROCPRIM_400000_NS6detail17trampoline_kernelINS0_14default_configENS1_35adjacent_difference_config_selectorILb0ElEEZNS1_24adjacent_difference_implIS3_Lb0ELb0EPlS7_ZN2at6native12_GLOBAL__N_124unique_dim_cuda_templateIN3c104HalfEEESt5tupleIJNS8_6TensorESF_SF_EERKSF_lbbbEUlllE1_EE10hipError_tPvRmT2_T3_mT4_P12ihipStream_tbEUlT_E_NS1_11comp_targetILNS1_3genE5ELNS1_11target_archE942ELNS1_3gpuE9ELNS1_3repE0EEENS1_30default_config_static_selectorELNS0_4arch9wavefront6targetE0EEEvT1_,"axG",@progbits,_ZN7rocprim17ROCPRIM_400000_NS6detail17trampoline_kernelINS0_14default_configENS1_35adjacent_difference_config_selectorILb0ElEEZNS1_24adjacent_difference_implIS3_Lb0ELb0EPlS7_ZN2at6native12_GLOBAL__N_124unique_dim_cuda_templateIN3c104HalfEEESt5tupleIJNS8_6TensorESF_SF_EERKSF_lbbbEUlllE1_EE10hipError_tPvRmT2_T3_mT4_P12ihipStream_tbEUlT_E_NS1_11comp_targetILNS1_3genE5ELNS1_11target_archE942ELNS1_3gpuE9ELNS1_3repE0EEENS1_30default_config_static_selectorELNS0_4arch9wavefront6targetE0EEEvT1_,comdat
.Lfunc_end1272:
	.size	_ZN7rocprim17ROCPRIM_400000_NS6detail17trampoline_kernelINS0_14default_configENS1_35adjacent_difference_config_selectorILb0ElEEZNS1_24adjacent_difference_implIS3_Lb0ELb0EPlS7_ZN2at6native12_GLOBAL__N_124unique_dim_cuda_templateIN3c104HalfEEESt5tupleIJNS8_6TensorESF_SF_EERKSF_lbbbEUlllE1_EE10hipError_tPvRmT2_T3_mT4_P12ihipStream_tbEUlT_E_NS1_11comp_targetILNS1_3genE5ELNS1_11target_archE942ELNS1_3gpuE9ELNS1_3repE0EEENS1_30default_config_static_selectorELNS0_4arch9wavefront6targetE0EEEvT1_, .Lfunc_end1272-_ZN7rocprim17ROCPRIM_400000_NS6detail17trampoline_kernelINS0_14default_configENS1_35adjacent_difference_config_selectorILb0ElEEZNS1_24adjacent_difference_implIS3_Lb0ELb0EPlS7_ZN2at6native12_GLOBAL__N_124unique_dim_cuda_templateIN3c104HalfEEESt5tupleIJNS8_6TensorESF_SF_EERKSF_lbbbEUlllE1_EE10hipError_tPvRmT2_T3_mT4_P12ihipStream_tbEUlT_E_NS1_11comp_targetILNS1_3genE5ELNS1_11target_archE942ELNS1_3gpuE9ELNS1_3repE0EEENS1_30default_config_static_selectorELNS0_4arch9wavefront6targetE0EEEvT1_
                                        ; -- End function
	.section	.AMDGPU.csdata,"",@progbits
; Kernel info:
; codeLenInByte = 0
; NumSgprs: 0
; NumVgprs: 0
; ScratchSize: 0
; MemoryBound: 0
; FloatMode: 240
; IeeeMode: 1
; LDSByteSize: 0 bytes/workgroup (compile time only)
; SGPRBlocks: 0
; VGPRBlocks: 0
; NumSGPRsForWavesPerEU: 1
; NumVGPRsForWavesPerEU: 1
; Occupancy: 16
; WaveLimiterHint : 0
; COMPUTE_PGM_RSRC2:SCRATCH_EN: 0
; COMPUTE_PGM_RSRC2:USER_SGPR: 15
; COMPUTE_PGM_RSRC2:TRAP_HANDLER: 0
; COMPUTE_PGM_RSRC2:TGID_X_EN: 1
; COMPUTE_PGM_RSRC2:TGID_Y_EN: 0
; COMPUTE_PGM_RSRC2:TGID_Z_EN: 0
; COMPUTE_PGM_RSRC2:TIDIG_COMP_CNT: 0
	.section	.text._ZN7rocprim17ROCPRIM_400000_NS6detail17trampoline_kernelINS0_14default_configENS1_35adjacent_difference_config_selectorILb0ElEEZNS1_24adjacent_difference_implIS3_Lb0ELb0EPlS7_ZN2at6native12_GLOBAL__N_124unique_dim_cuda_templateIN3c104HalfEEESt5tupleIJNS8_6TensorESF_SF_EERKSF_lbbbEUlllE1_EE10hipError_tPvRmT2_T3_mT4_P12ihipStream_tbEUlT_E_NS1_11comp_targetILNS1_3genE4ELNS1_11target_archE910ELNS1_3gpuE8ELNS1_3repE0EEENS1_30default_config_static_selectorELNS0_4arch9wavefront6targetE0EEEvT1_,"axG",@progbits,_ZN7rocprim17ROCPRIM_400000_NS6detail17trampoline_kernelINS0_14default_configENS1_35adjacent_difference_config_selectorILb0ElEEZNS1_24adjacent_difference_implIS3_Lb0ELb0EPlS7_ZN2at6native12_GLOBAL__N_124unique_dim_cuda_templateIN3c104HalfEEESt5tupleIJNS8_6TensorESF_SF_EERKSF_lbbbEUlllE1_EE10hipError_tPvRmT2_T3_mT4_P12ihipStream_tbEUlT_E_NS1_11comp_targetILNS1_3genE4ELNS1_11target_archE910ELNS1_3gpuE8ELNS1_3repE0EEENS1_30default_config_static_selectorELNS0_4arch9wavefront6targetE0EEEvT1_,comdat
	.globl	_ZN7rocprim17ROCPRIM_400000_NS6detail17trampoline_kernelINS0_14default_configENS1_35adjacent_difference_config_selectorILb0ElEEZNS1_24adjacent_difference_implIS3_Lb0ELb0EPlS7_ZN2at6native12_GLOBAL__N_124unique_dim_cuda_templateIN3c104HalfEEESt5tupleIJNS8_6TensorESF_SF_EERKSF_lbbbEUlllE1_EE10hipError_tPvRmT2_T3_mT4_P12ihipStream_tbEUlT_E_NS1_11comp_targetILNS1_3genE4ELNS1_11target_archE910ELNS1_3gpuE8ELNS1_3repE0EEENS1_30default_config_static_selectorELNS0_4arch9wavefront6targetE0EEEvT1_ ; -- Begin function _ZN7rocprim17ROCPRIM_400000_NS6detail17trampoline_kernelINS0_14default_configENS1_35adjacent_difference_config_selectorILb0ElEEZNS1_24adjacent_difference_implIS3_Lb0ELb0EPlS7_ZN2at6native12_GLOBAL__N_124unique_dim_cuda_templateIN3c104HalfEEESt5tupleIJNS8_6TensorESF_SF_EERKSF_lbbbEUlllE1_EE10hipError_tPvRmT2_T3_mT4_P12ihipStream_tbEUlT_E_NS1_11comp_targetILNS1_3genE4ELNS1_11target_archE910ELNS1_3gpuE8ELNS1_3repE0EEENS1_30default_config_static_selectorELNS0_4arch9wavefront6targetE0EEEvT1_
	.p2align	8
	.type	_ZN7rocprim17ROCPRIM_400000_NS6detail17trampoline_kernelINS0_14default_configENS1_35adjacent_difference_config_selectorILb0ElEEZNS1_24adjacent_difference_implIS3_Lb0ELb0EPlS7_ZN2at6native12_GLOBAL__N_124unique_dim_cuda_templateIN3c104HalfEEESt5tupleIJNS8_6TensorESF_SF_EERKSF_lbbbEUlllE1_EE10hipError_tPvRmT2_T3_mT4_P12ihipStream_tbEUlT_E_NS1_11comp_targetILNS1_3genE4ELNS1_11target_archE910ELNS1_3gpuE8ELNS1_3repE0EEENS1_30default_config_static_selectorELNS0_4arch9wavefront6targetE0EEEvT1_,@function
_ZN7rocprim17ROCPRIM_400000_NS6detail17trampoline_kernelINS0_14default_configENS1_35adjacent_difference_config_selectorILb0ElEEZNS1_24adjacent_difference_implIS3_Lb0ELb0EPlS7_ZN2at6native12_GLOBAL__N_124unique_dim_cuda_templateIN3c104HalfEEESt5tupleIJNS8_6TensorESF_SF_EERKSF_lbbbEUlllE1_EE10hipError_tPvRmT2_T3_mT4_P12ihipStream_tbEUlT_E_NS1_11comp_targetILNS1_3genE4ELNS1_11target_archE910ELNS1_3gpuE8ELNS1_3repE0EEENS1_30default_config_static_selectorELNS0_4arch9wavefront6targetE0EEEvT1_: ; @_ZN7rocprim17ROCPRIM_400000_NS6detail17trampoline_kernelINS0_14default_configENS1_35adjacent_difference_config_selectorILb0ElEEZNS1_24adjacent_difference_implIS3_Lb0ELb0EPlS7_ZN2at6native12_GLOBAL__N_124unique_dim_cuda_templateIN3c104HalfEEESt5tupleIJNS8_6TensorESF_SF_EERKSF_lbbbEUlllE1_EE10hipError_tPvRmT2_T3_mT4_P12ihipStream_tbEUlT_E_NS1_11comp_targetILNS1_3genE4ELNS1_11target_archE910ELNS1_3gpuE8ELNS1_3repE0EEENS1_30default_config_static_selectorELNS0_4arch9wavefront6targetE0EEEvT1_
; %bb.0:
	.section	.rodata,"a",@progbits
	.p2align	6, 0x0
	.amdhsa_kernel _ZN7rocprim17ROCPRIM_400000_NS6detail17trampoline_kernelINS0_14default_configENS1_35adjacent_difference_config_selectorILb0ElEEZNS1_24adjacent_difference_implIS3_Lb0ELb0EPlS7_ZN2at6native12_GLOBAL__N_124unique_dim_cuda_templateIN3c104HalfEEESt5tupleIJNS8_6TensorESF_SF_EERKSF_lbbbEUlllE1_EE10hipError_tPvRmT2_T3_mT4_P12ihipStream_tbEUlT_E_NS1_11comp_targetILNS1_3genE4ELNS1_11target_archE910ELNS1_3gpuE8ELNS1_3repE0EEENS1_30default_config_static_selectorELNS0_4arch9wavefront6targetE0EEEvT1_
		.amdhsa_group_segment_fixed_size 0
		.amdhsa_private_segment_fixed_size 0
		.amdhsa_kernarg_size 64
		.amdhsa_user_sgpr_count 15
		.amdhsa_user_sgpr_dispatch_ptr 0
		.amdhsa_user_sgpr_queue_ptr 0
		.amdhsa_user_sgpr_kernarg_segment_ptr 1
		.amdhsa_user_sgpr_dispatch_id 0
		.amdhsa_user_sgpr_private_segment_size 0
		.amdhsa_wavefront_size32 1
		.amdhsa_uses_dynamic_stack 0
		.amdhsa_enable_private_segment 0
		.amdhsa_system_sgpr_workgroup_id_x 1
		.amdhsa_system_sgpr_workgroup_id_y 0
		.amdhsa_system_sgpr_workgroup_id_z 0
		.amdhsa_system_sgpr_workgroup_info 0
		.amdhsa_system_vgpr_workitem_id 0
		.amdhsa_next_free_vgpr 1
		.amdhsa_next_free_sgpr 1
		.amdhsa_reserve_vcc 0
		.amdhsa_float_round_mode_32 0
		.amdhsa_float_round_mode_16_64 0
		.amdhsa_float_denorm_mode_32 3
		.amdhsa_float_denorm_mode_16_64 3
		.amdhsa_dx10_clamp 1
		.amdhsa_ieee_mode 1
		.amdhsa_fp16_overflow 0
		.amdhsa_workgroup_processor_mode 1
		.amdhsa_memory_ordered 1
		.amdhsa_forward_progress 0
		.amdhsa_shared_vgpr_count 0
		.amdhsa_exception_fp_ieee_invalid_op 0
		.amdhsa_exception_fp_denorm_src 0
		.amdhsa_exception_fp_ieee_div_zero 0
		.amdhsa_exception_fp_ieee_overflow 0
		.amdhsa_exception_fp_ieee_underflow 0
		.amdhsa_exception_fp_ieee_inexact 0
		.amdhsa_exception_int_div_zero 0
	.end_amdhsa_kernel
	.section	.text._ZN7rocprim17ROCPRIM_400000_NS6detail17trampoline_kernelINS0_14default_configENS1_35adjacent_difference_config_selectorILb0ElEEZNS1_24adjacent_difference_implIS3_Lb0ELb0EPlS7_ZN2at6native12_GLOBAL__N_124unique_dim_cuda_templateIN3c104HalfEEESt5tupleIJNS8_6TensorESF_SF_EERKSF_lbbbEUlllE1_EE10hipError_tPvRmT2_T3_mT4_P12ihipStream_tbEUlT_E_NS1_11comp_targetILNS1_3genE4ELNS1_11target_archE910ELNS1_3gpuE8ELNS1_3repE0EEENS1_30default_config_static_selectorELNS0_4arch9wavefront6targetE0EEEvT1_,"axG",@progbits,_ZN7rocprim17ROCPRIM_400000_NS6detail17trampoline_kernelINS0_14default_configENS1_35adjacent_difference_config_selectorILb0ElEEZNS1_24adjacent_difference_implIS3_Lb0ELb0EPlS7_ZN2at6native12_GLOBAL__N_124unique_dim_cuda_templateIN3c104HalfEEESt5tupleIJNS8_6TensorESF_SF_EERKSF_lbbbEUlllE1_EE10hipError_tPvRmT2_T3_mT4_P12ihipStream_tbEUlT_E_NS1_11comp_targetILNS1_3genE4ELNS1_11target_archE910ELNS1_3gpuE8ELNS1_3repE0EEENS1_30default_config_static_selectorELNS0_4arch9wavefront6targetE0EEEvT1_,comdat
.Lfunc_end1273:
	.size	_ZN7rocprim17ROCPRIM_400000_NS6detail17trampoline_kernelINS0_14default_configENS1_35adjacent_difference_config_selectorILb0ElEEZNS1_24adjacent_difference_implIS3_Lb0ELb0EPlS7_ZN2at6native12_GLOBAL__N_124unique_dim_cuda_templateIN3c104HalfEEESt5tupleIJNS8_6TensorESF_SF_EERKSF_lbbbEUlllE1_EE10hipError_tPvRmT2_T3_mT4_P12ihipStream_tbEUlT_E_NS1_11comp_targetILNS1_3genE4ELNS1_11target_archE910ELNS1_3gpuE8ELNS1_3repE0EEENS1_30default_config_static_selectorELNS0_4arch9wavefront6targetE0EEEvT1_, .Lfunc_end1273-_ZN7rocprim17ROCPRIM_400000_NS6detail17trampoline_kernelINS0_14default_configENS1_35adjacent_difference_config_selectorILb0ElEEZNS1_24adjacent_difference_implIS3_Lb0ELb0EPlS7_ZN2at6native12_GLOBAL__N_124unique_dim_cuda_templateIN3c104HalfEEESt5tupleIJNS8_6TensorESF_SF_EERKSF_lbbbEUlllE1_EE10hipError_tPvRmT2_T3_mT4_P12ihipStream_tbEUlT_E_NS1_11comp_targetILNS1_3genE4ELNS1_11target_archE910ELNS1_3gpuE8ELNS1_3repE0EEENS1_30default_config_static_selectorELNS0_4arch9wavefront6targetE0EEEvT1_
                                        ; -- End function
	.section	.AMDGPU.csdata,"",@progbits
; Kernel info:
; codeLenInByte = 0
; NumSgprs: 0
; NumVgprs: 0
; ScratchSize: 0
; MemoryBound: 0
; FloatMode: 240
; IeeeMode: 1
; LDSByteSize: 0 bytes/workgroup (compile time only)
; SGPRBlocks: 0
; VGPRBlocks: 0
; NumSGPRsForWavesPerEU: 1
; NumVGPRsForWavesPerEU: 1
; Occupancy: 16
; WaveLimiterHint : 0
; COMPUTE_PGM_RSRC2:SCRATCH_EN: 0
; COMPUTE_PGM_RSRC2:USER_SGPR: 15
; COMPUTE_PGM_RSRC2:TRAP_HANDLER: 0
; COMPUTE_PGM_RSRC2:TGID_X_EN: 1
; COMPUTE_PGM_RSRC2:TGID_Y_EN: 0
; COMPUTE_PGM_RSRC2:TGID_Z_EN: 0
; COMPUTE_PGM_RSRC2:TIDIG_COMP_CNT: 0
	.section	.text._ZN7rocprim17ROCPRIM_400000_NS6detail17trampoline_kernelINS0_14default_configENS1_35adjacent_difference_config_selectorILb0ElEEZNS1_24adjacent_difference_implIS3_Lb0ELb0EPlS7_ZN2at6native12_GLOBAL__N_124unique_dim_cuda_templateIN3c104HalfEEESt5tupleIJNS8_6TensorESF_SF_EERKSF_lbbbEUlllE1_EE10hipError_tPvRmT2_T3_mT4_P12ihipStream_tbEUlT_E_NS1_11comp_targetILNS1_3genE3ELNS1_11target_archE908ELNS1_3gpuE7ELNS1_3repE0EEENS1_30default_config_static_selectorELNS0_4arch9wavefront6targetE0EEEvT1_,"axG",@progbits,_ZN7rocprim17ROCPRIM_400000_NS6detail17trampoline_kernelINS0_14default_configENS1_35adjacent_difference_config_selectorILb0ElEEZNS1_24adjacent_difference_implIS3_Lb0ELb0EPlS7_ZN2at6native12_GLOBAL__N_124unique_dim_cuda_templateIN3c104HalfEEESt5tupleIJNS8_6TensorESF_SF_EERKSF_lbbbEUlllE1_EE10hipError_tPvRmT2_T3_mT4_P12ihipStream_tbEUlT_E_NS1_11comp_targetILNS1_3genE3ELNS1_11target_archE908ELNS1_3gpuE7ELNS1_3repE0EEENS1_30default_config_static_selectorELNS0_4arch9wavefront6targetE0EEEvT1_,comdat
	.globl	_ZN7rocprim17ROCPRIM_400000_NS6detail17trampoline_kernelINS0_14default_configENS1_35adjacent_difference_config_selectorILb0ElEEZNS1_24adjacent_difference_implIS3_Lb0ELb0EPlS7_ZN2at6native12_GLOBAL__N_124unique_dim_cuda_templateIN3c104HalfEEESt5tupleIJNS8_6TensorESF_SF_EERKSF_lbbbEUlllE1_EE10hipError_tPvRmT2_T3_mT4_P12ihipStream_tbEUlT_E_NS1_11comp_targetILNS1_3genE3ELNS1_11target_archE908ELNS1_3gpuE7ELNS1_3repE0EEENS1_30default_config_static_selectorELNS0_4arch9wavefront6targetE0EEEvT1_ ; -- Begin function _ZN7rocprim17ROCPRIM_400000_NS6detail17trampoline_kernelINS0_14default_configENS1_35adjacent_difference_config_selectorILb0ElEEZNS1_24adjacent_difference_implIS3_Lb0ELb0EPlS7_ZN2at6native12_GLOBAL__N_124unique_dim_cuda_templateIN3c104HalfEEESt5tupleIJNS8_6TensorESF_SF_EERKSF_lbbbEUlllE1_EE10hipError_tPvRmT2_T3_mT4_P12ihipStream_tbEUlT_E_NS1_11comp_targetILNS1_3genE3ELNS1_11target_archE908ELNS1_3gpuE7ELNS1_3repE0EEENS1_30default_config_static_selectorELNS0_4arch9wavefront6targetE0EEEvT1_
	.p2align	8
	.type	_ZN7rocprim17ROCPRIM_400000_NS6detail17trampoline_kernelINS0_14default_configENS1_35adjacent_difference_config_selectorILb0ElEEZNS1_24adjacent_difference_implIS3_Lb0ELb0EPlS7_ZN2at6native12_GLOBAL__N_124unique_dim_cuda_templateIN3c104HalfEEESt5tupleIJNS8_6TensorESF_SF_EERKSF_lbbbEUlllE1_EE10hipError_tPvRmT2_T3_mT4_P12ihipStream_tbEUlT_E_NS1_11comp_targetILNS1_3genE3ELNS1_11target_archE908ELNS1_3gpuE7ELNS1_3repE0EEENS1_30default_config_static_selectorELNS0_4arch9wavefront6targetE0EEEvT1_,@function
_ZN7rocprim17ROCPRIM_400000_NS6detail17trampoline_kernelINS0_14default_configENS1_35adjacent_difference_config_selectorILb0ElEEZNS1_24adjacent_difference_implIS3_Lb0ELb0EPlS7_ZN2at6native12_GLOBAL__N_124unique_dim_cuda_templateIN3c104HalfEEESt5tupleIJNS8_6TensorESF_SF_EERKSF_lbbbEUlllE1_EE10hipError_tPvRmT2_T3_mT4_P12ihipStream_tbEUlT_E_NS1_11comp_targetILNS1_3genE3ELNS1_11target_archE908ELNS1_3gpuE7ELNS1_3repE0EEENS1_30default_config_static_selectorELNS0_4arch9wavefront6targetE0EEEvT1_: ; @_ZN7rocprim17ROCPRIM_400000_NS6detail17trampoline_kernelINS0_14default_configENS1_35adjacent_difference_config_selectorILb0ElEEZNS1_24adjacent_difference_implIS3_Lb0ELb0EPlS7_ZN2at6native12_GLOBAL__N_124unique_dim_cuda_templateIN3c104HalfEEESt5tupleIJNS8_6TensorESF_SF_EERKSF_lbbbEUlllE1_EE10hipError_tPvRmT2_T3_mT4_P12ihipStream_tbEUlT_E_NS1_11comp_targetILNS1_3genE3ELNS1_11target_archE908ELNS1_3gpuE7ELNS1_3repE0EEENS1_30default_config_static_selectorELNS0_4arch9wavefront6targetE0EEEvT1_
; %bb.0:
	.section	.rodata,"a",@progbits
	.p2align	6, 0x0
	.amdhsa_kernel _ZN7rocprim17ROCPRIM_400000_NS6detail17trampoline_kernelINS0_14default_configENS1_35adjacent_difference_config_selectorILb0ElEEZNS1_24adjacent_difference_implIS3_Lb0ELb0EPlS7_ZN2at6native12_GLOBAL__N_124unique_dim_cuda_templateIN3c104HalfEEESt5tupleIJNS8_6TensorESF_SF_EERKSF_lbbbEUlllE1_EE10hipError_tPvRmT2_T3_mT4_P12ihipStream_tbEUlT_E_NS1_11comp_targetILNS1_3genE3ELNS1_11target_archE908ELNS1_3gpuE7ELNS1_3repE0EEENS1_30default_config_static_selectorELNS0_4arch9wavefront6targetE0EEEvT1_
		.amdhsa_group_segment_fixed_size 0
		.amdhsa_private_segment_fixed_size 0
		.amdhsa_kernarg_size 64
		.amdhsa_user_sgpr_count 15
		.amdhsa_user_sgpr_dispatch_ptr 0
		.amdhsa_user_sgpr_queue_ptr 0
		.amdhsa_user_sgpr_kernarg_segment_ptr 1
		.amdhsa_user_sgpr_dispatch_id 0
		.amdhsa_user_sgpr_private_segment_size 0
		.amdhsa_wavefront_size32 1
		.amdhsa_uses_dynamic_stack 0
		.amdhsa_enable_private_segment 0
		.amdhsa_system_sgpr_workgroup_id_x 1
		.amdhsa_system_sgpr_workgroup_id_y 0
		.amdhsa_system_sgpr_workgroup_id_z 0
		.amdhsa_system_sgpr_workgroup_info 0
		.amdhsa_system_vgpr_workitem_id 0
		.amdhsa_next_free_vgpr 1
		.amdhsa_next_free_sgpr 1
		.amdhsa_reserve_vcc 0
		.amdhsa_float_round_mode_32 0
		.amdhsa_float_round_mode_16_64 0
		.amdhsa_float_denorm_mode_32 3
		.amdhsa_float_denorm_mode_16_64 3
		.amdhsa_dx10_clamp 1
		.amdhsa_ieee_mode 1
		.amdhsa_fp16_overflow 0
		.amdhsa_workgroup_processor_mode 1
		.amdhsa_memory_ordered 1
		.amdhsa_forward_progress 0
		.amdhsa_shared_vgpr_count 0
		.amdhsa_exception_fp_ieee_invalid_op 0
		.amdhsa_exception_fp_denorm_src 0
		.amdhsa_exception_fp_ieee_div_zero 0
		.amdhsa_exception_fp_ieee_overflow 0
		.amdhsa_exception_fp_ieee_underflow 0
		.amdhsa_exception_fp_ieee_inexact 0
		.amdhsa_exception_int_div_zero 0
	.end_amdhsa_kernel
	.section	.text._ZN7rocprim17ROCPRIM_400000_NS6detail17trampoline_kernelINS0_14default_configENS1_35adjacent_difference_config_selectorILb0ElEEZNS1_24adjacent_difference_implIS3_Lb0ELb0EPlS7_ZN2at6native12_GLOBAL__N_124unique_dim_cuda_templateIN3c104HalfEEESt5tupleIJNS8_6TensorESF_SF_EERKSF_lbbbEUlllE1_EE10hipError_tPvRmT2_T3_mT4_P12ihipStream_tbEUlT_E_NS1_11comp_targetILNS1_3genE3ELNS1_11target_archE908ELNS1_3gpuE7ELNS1_3repE0EEENS1_30default_config_static_selectorELNS0_4arch9wavefront6targetE0EEEvT1_,"axG",@progbits,_ZN7rocprim17ROCPRIM_400000_NS6detail17trampoline_kernelINS0_14default_configENS1_35adjacent_difference_config_selectorILb0ElEEZNS1_24adjacent_difference_implIS3_Lb0ELb0EPlS7_ZN2at6native12_GLOBAL__N_124unique_dim_cuda_templateIN3c104HalfEEESt5tupleIJNS8_6TensorESF_SF_EERKSF_lbbbEUlllE1_EE10hipError_tPvRmT2_T3_mT4_P12ihipStream_tbEUlT_E_NS1_11comp_targetILNS1_3genE3ELNS1_11target_archE908ELNS1_3gpuE7ELNS1_3repE0EEENS1_30default_config_static_selectorELNS0_4arch9wavefront6targetE0EEEvT1_,comdat
.Lfunc_end1274:
	.size	_ZN7rocprim17ROCPRIM_400000_NS6detail17trampoline_kernelINS0_14default_configENS1_35adjacent_difference_config_selectorILb0ElEEZNS1_24adjacent_difference_implIS3_Lb0ELb0EPlS7_ZN2at6native12_GLOBAL__N_124unique_dim_cuda_templateIN3c104HalfEEESt5tupleIJNS8_6TensorESF_SF_EERKSF_lbbbEUlllE1_EE10hipError_tPvRmT2_T3_mT4_P12ihipStream_tbEUlT_E_NS1_11comp_targetILNS1_3genE3ELNS1_11target_archE908ELNS1_3gpuE7ELNS1_3repE0EEENS1_30default_config_static_selectorELNS0_4arch9wavefront6targetE0EEEvT1_, .Lfunc_end1274-_ZN7rocprim17ROCPRIM_400000_NS6detail17trampoline_kernelINS0_14default_configENS1_35adjacent_difference_config_selectorILb0ElEEZNS1_24adjacent_difference_implIS3_Lb0ELb0EPlS7_ZN2at6native12_GLOBAL__N_124unique_dim_cuda_templateIN3c104HalfEEESt5tupleIJNS8_6TensorESF_SF_EERKSF_lbbbEUlllE1_EE10hipError_tPvRmT2_T3_mT4_P12ihipStream_tbEUlT_E_NS1_11comp_targetILNS1_3genE3ELNS1_11target_archE908ELNS1_3gpuE7ELNS1_3repE0EEENS1_30default_config_static_selectorELNS0_4arch9wavefront6targetE0EEEvT1_
                                        ; -- End function
	.section	.AMDGPU.csdata,"",@progbits
; Kernel info:
; codeLenInByte = 0
; NumSgprs: 0
; NumVgprs: 0
; ScratchSize: 0
; MemoryBound: 0
; FloatMode: 240
; IeeeMode: 1
; LDSByteSize: 0 bytes/workgroup (compile time only)
; SGPRBlocks: 0
; VGPRBlocks: 0
; NumSGPRsForWavesPerEU: 1
; NumVGPRsForWavesPerEU: 1
; Occupancy: 16
; WaveLimiterHint : 0
; COMPUTE_PGM_RSRC2:SCRATCH_EN: 0
; COMPUTE_PGM_RSRC2:USER_SGPR: 15
; COMPUTE_PGM_RSRC2:TRAP_HANDLER: 0
; COMPUTE_PGM_RSRC2:TGID_X_EN: 1
; COMPUTE_PGM_RSRC2:TGID_Y_EN: 0
; COMPUTE_PGM_RSRC2:TGID_Z_EN: 0
; COMPUTE_PGM_RSRC2:TIDIG_COMP_CNT: 0
	.section	.text._ZN7rocprim17ROCPRIM_400000_NS6detail17trampoline_kernelINS0_14default_configENS1_35adjacent_difference_config_selectorILb0ElEEZNS1_24adjacent_difference_implIS3_Lb0ELb0EPlS7_ZN2at6native12_GLOBAL__N_124unique_dim_cuda_templateIN3c104HalfEEESt5tupleIJNS8_6TensorESF_SF_EERKSF_lbbbEUlllE1_EE10hipError_tPvRmT2_T3_mT4_P12ihipStream_tbEUlT_E_NS1_11comp_targetILNS1_3genE2ELNS1_11target_archE906ELNS1_3gpuE6ELNS1_3repE0EEENS1_30default_config_static_selectorELNS0_4arch9wavefront6targetE0EEEvT1_,"axG",@progbits,_ZN7rocprim17ROCPRIM_400000_NS6detail17trampoline_kernelINS0_14default_configENS1_35adjacent_difference_config_selectorILb0ElEEZNS1_24adjacent_difference_implIS3_Lb0ELb0EPlS7_ZN2at6native12_GLOBAL__N_124unique_dim_cuda_templateIN3c104HalfEEESt5tupleIJNS8_6TensorESF_SF_EERKSF_lbbbEUlllE1_EE10hipError_tPvRmT2_T3_mT4_P12ihipStream_tbEUlT_E_NS1_11comp_targetILNS1_3genE2ELNS1_11target_archE906ELNS1_3gpuE6ELNS1_3repE0EEENS1_30default_config_static_selectorELNS0_4arch9wavefront6targetE0EEEvT1_,comdat
	.globl	_ZN7rocprim17ROCPRIM_400000_NS6detail17trampoline_kernelINS0_14default_configENS1_35adjacent_difference_config_selectorILb0ElEEZNS1_24adjacent_difference_implIS3_Lb0ELb0EPlS7_ZN2at6native12_GLOBAL__N_124unique_dim_cuda_templateIN3c104HalfEEESt5tupleIJNS8_6TensorESF_SF_EERKSF_lbbbEUlllE1_EE10hipError_tPvRmT2_T3_mT4_P12ihipStream_tbEUlT_E_NS1_11comp_targetILNS1_3genE2ELNS1_11target_archE906ELNS1_3gpuE6ELNS1_3repE0EEENS1_30default_config_static_selectorELNS0_4arch9wavefront6targetE0EEEvT1_ ; -- Begin function _ZN7rocprim17ROCPRIM_400000_NS6detail17trampoline_kernelINS0_14default_configENS1_35adjacent_difference_config_selectorILb0ElEEZNS1_24adjacent_difference_implIS3_Lb0ELb0EPlS7_ZN2at6native12_GLOBAL__N_124unique_dim_cuda_templateIN3c104HalfEEESt5tupleIJNS8_6TensorESF_SF_EERKSF_lbbbEUlllE1_EE10hipError_tPvRmT2_T3_mT4_P12ihipStream_tbEUlT_E_NS1_11comp_targetILNS1_3genE2ELNS1_11target_archE906ELNS1_3gpuE6ELNS1_3repE0EEENS1_30default_config_static_selectorELNS0_4arch9wavefront6targetE0EEEvT1_
	.p2align	8
	.type	_ZN7rocprim17ROCPRIM_400000_NS6detail17trampoline_kernelINS0_14default_configENS1_35adjacent_difference_config_selectorILb0ElEEZNS1_24adjacent_difference_implIS3_Lb0ELb0EPlS7_ZN2at6native12_GLOBAL__N_124unique_dim_cuda_templateIN3c104HalfEEESt5tupleIJNS8_6TensorESF_SF_EERKSF_lbbbEUlllE1_EE10hipError_tPvRmT2_T3_mT4_P12ihipStream_tbEUlT_E_NS1_11comp_targetILNS1_3genE2ELNS1_11target_archE906ELNS1_3gpuE6ELNS1_3repE0EEENS1_30default_config_static_selectorELNS0_4arch9wavefront6targetE0EEEvT1_,@function
_ZN7rocprim17ROCPRIM_400000_NS6detail17trampoline_kernelINS0_14default_configENS1_35adjacent_difference_config_selectorILb0ElEEZNS1_24adjacent_difference_implIS3_Lb0ELb0EPlS7_ZN2at6native12_GLOBAL__N_124unique_dim_cuda_templateIN3c104HalfEEESt5tupleIJNS8_6TensorESF_SF_EERKSF_lbbbEUlllE1_EE10hipError_tPvRmT2_T3_mT4_P12ihipStream_tbEUlT_E_NS1_11comp_targetILNS1_3genE2ELNS1_11target_archE906ELNS1_3gpuE6ELNS1_3repE0EEENS1_30default_config_static_selectorELNS0_4arch9wavefront6targetE0EEEvT1_: ; @_ZN7rocprim17ROCPRIM_400000_NS6detail17trampoline_kernelINS0_14default_configENS1_35adjacent_difference_config_selectorILb0ElEEZNS1_24adjacent_difference_implIS3_Lb0ELb0EPlS7_ZN2at6native12_GLOBAL__N_124unique_dim_cuda_templateIN3c104HalfEEESt5tupleIJNS8_6TensorESF_SF_EERKSF_lbbbEUlllE1_EE10hipError_tPvRmT2_T3_mT4_P12ihipStream_tbEUlT_E_NS1_11comp_targetILNS1_3genE2ELNS1_11target_archE906ELNS1_3gpuE6ELNS1_3repE0EEENS1_30default_config_static_selectorELNS0_4arch9wavefront6targetE0EEEvT1_
; %bb.0:
	.section	.rodata,"a",@progbits
	.p2align	6, 0x0
	.amdhsa_kernel _ZN7rocprim17ROCPRIM_400000_NS6detail17trampoline_kernelINS0_14default_configENS1_35adjacent_difference_config_selectorILb0ElEEZNS1_24adjacent_difference_implIS3_Lb0ELb0EPlS7_ZN2at6native12_GLOBAL__N_124unique_dim_cuda_templateIN3c104HalfEEESt5tupleIJNS8_6TensorESF_SF_EERKSF_lbbbEUlllE1_EE10hipError_tPvRmT2_T3_mT4_P12ihipStream_tbEUlT_E_NS1_11comp_targetILNS1_3genE2ELNS1_11target_archE906ELNS1_3gpuE6ELNS1_3repE0EEENS1_30default_config_static_selectorELNS0_4arch9wavefront6targetE0EEEvT1_
		.amdhsa_group_segment_fixed_size 0
		.amdhsa_private_segment_fixed_size 0
		.amdhsa_kernarg_size 64
		.amdhsa_user_sgpr_count 15
		.amdhsa_user_sgpr_dispatch_ptr 0
		.amdhsa_user_sgpr_queue_ptr 0
		.amdhsa_user_sgpr_kernarg_segment_ptr 1
		.amdhsa_user_sgpr_dispatch_id 0
		.amdhsa_user_sgpr_private_segment_size 0
		.amdhsa_wavefront_size32 1
		.amdhsa_uses_dynamic_stack 0
		.amdhsa_enable_private_segment 0
		.amdhsa_system_sgpr_workgroup_id_x 1
		.amdhsa_system_sgpr_workgroup_id_y 0
		.amdhsa_system_sgpr_workgroup_id_z 0
		.amdhsa_system_sgpr_workgroup_info 0
		.amdhsa_system_vgpr_workitem_id 0
		.amdhsa_next_free_vgpr 1
		.amdhsa_next_free_sgpr 1
		.amdhsa_reserve_vcc 0
		.amdhsa_float_round_mode_32 0
		.amdhsa_float_round_mode_16_64 0
		.amdhsa_float_denorm_mode_32 3
		.amdhsa_float_denorm_mode_16_64 3
		.amdhsa_dx10_clamp 1
		.amdhsa_ieee_mode 1
		.amdhsa_fp16_overflow 0
		.amdhsa_workgroup_processor_mode 1
		.amdhsa_memory_ordered 1
		.amdhsa_forward_progress 0
		.amdhsa_shared_vgpr_count 0
		.amdhsa_exception_fp_ieee_invalid_op 0
		.amdhsa_exception_fp_denorm_src 0
		.amdhsa_exception_fp_ieee_div_zero 0
		.amdhsa_exception_fp_ieee_overflow 0
		.amdhsa_exception_fp_ieee_underflow 0
		.amdhsa_exception_fp_ieee_inexact 0
		.amdhsa_exception_int_div_zero 0
	.end_amdhsa_kernel
	.section	.text._ZN7rocprim17ROCPRIM_400000_NS6detail17trampoline_kernelINS0_14default_configENS1_35adjacent_difference_config_selectorILb0ElEEZNS1_24adjacent_difference_implIS3_Lb0ELb0EPlS7_ZN2at6native12_GLOBAL__N_124unique_dim_cuda_templateIN3c104HalfEEESt5tupleIJNS8_6TensorESF_SF_EERKSF_lbbbEUlllE1_EE10hipError_tPvRmT2_T3_mT4_P12ihipStream_tbEUlT_E_NS1_11comp_targetILNS1_3genE2ELNS1_11target_archE906ELNS1_3gpuE6ELNS1_3repE0EEENS1_30default_config_static_selectorELNS0_4arch9wavefront6targetE0EEEvT1_,"axG",@progbits,_ZN7rocprim17ROCPRIM_400000_NS6detail17trampoline_kernelINS0_14default_configENS1_35adjacent_difference_config_selectorILb0ElEEZNS1_24adjacent_difference_implIS3_Lb0ELb0EPlS7_ZN2at6native12_GLOBAL__N_124unique_dim_cuda_templateIN3c104HalfEEESt5tupleIJNS8_6TensorESF_SF_EERKSF_lbbbEUlllE1_EE10hipError_tPvRmT2_T3_mT4_P12ihipStream_tbEUlT_E_NS1_11comp_targetILNS1_3genE2ELNS1_11target_archE906ELNS1_3gpuE6ELNS1_3repE0EEENS1_30default_config_static_selectorELNS0_4arch9wavefront6targetE0EEEvT1_,comdat
.Lfunc_end1275:
	.size	_ZN7rocprim17ROCPRIM_400000_NS6detail17trampoline_kernelINS0_14default_configENS1_35adjacent_difference_config_selectorILb0ElEEZNS1_24adjacent_difference_implIS3_Lb0ELb0EPlS7_ZN2at6native12_GLOBAL__N_124unique_dim_cuda_templateIN3c104HalfEEESt5tupleIJNS8_6TensorESF_SF_EERKSF_lbbbEUlllE1_EE10hipError_tPvRmT2_T3_mT4_P12ihipStream_tbEUlT_E_NS1_11comp_targetILNS1_3genE2ELNS1_11target_archE906ELNS1_3gpuE6ELNS1_3repE0EEENS1_30default_config_static_selectorELNS0_4arch9wavefront6targetE0EEEvT1_, .Lfunc_end1275-_ZN7rocprim17ROCPRIM_400000_NS6detail17trampoline_kernelINS0_14default_configENS1_35adjacent_difference_config_selectorILb0ElEEZNS1_24adjacent_difference_implIS3_Lb0ELb0EPlS7_ZN2at6native12_GLOBAL__N_124unique_dim_cuda_templateIN3c104HalfEEESt5tupleIJNS8_6TensorESF_SF_EERKSF_lbbbEUlllE1_EE10hipError_tPvRmT2_T3_mT4_P12ihipStream_tbEUlT_E_NS1_11comp_targetILNS1_3genE2ELNS1_11target_archE906ELNS1_3gpuE6ELNS1_3repE0EEENS1_30default_config_static_selectorELNS0_4arch9wavefront6targetE0EEEvT1_
                                        ; -- End function
	.section	.AMDGPU.csdata,"",@progbits
; Kernel info:
; codeLenInByte = 0
; NumSgprs: 0
; NumVgprs: 0
; ScratchSize: 0
; MemoryBound: 0
; FloatMode: 240
; IeeeMode: 1
; LDSByteSize: 0 bytes/workgroup (compile time only)
; SGPRBlocks: 0
; VGPRBlocks: 0
; NumSGPRsForWavesPerEU: 1
; NumVGPRsForWavesPerEU: 1
; Occupancy: 16
; WaveLimiterHint : 0
; COMPUTE_PGM_RSRC2:SCRATCH_EN: 0
; COMPUTE_PGM_RSRC2:USER_SGPR: 15
; COMPUTE_PGM_RSRC2:TRAP_HANDLER: 0
; COMPUTE_PGM_RSRC2:TGID_X_EN: 1
; COMPUTE_PGM_RSRC2:TGID_Y_EN: 0
; COMPUTE_PGM_RSRC2:TGID_Z_EN: 0
; COMPUTE_PGM_RSRC2:TIDIG_COMP_CNT: 0
	.section	.text._ZN7rocprim17ROCPRIM_400000_NS6detail17trampoline_kernelINS0_14default_configENS1_35adjacent_difference_config_selectorILb0ElEEZNS1_24adjacent_difference_implIS3_Lb0ELb0EPlS7_ZN2at6native12_GLOBAL__N_124unique_dim_cuda_templateIN3c104HalfEEESt5tupleIJNS8_6TensorESF_SF_EERKSF_lbbbEUlllE1_EE10hipError_tPvRmT2_T3_mT4_P12ihipStream_tbEUlT_E_NS1_11comp_targetILNS1_3genE9ELNS1_11target_archE1100ELNS1_3gpuE3ELNS1_3repE0EEENS1_30default_config_static_selectorELNS0_4arch9wavefront6targetE0EEEvT1_,"axG",@progbits,_ZN7rocprim17ROCPRIM_400000_NS6detail17trampoline_kernelINS0_14default_configENS1_35adjacent_difference_config_selectorILb0ElEEZNS1_24adjacent_difference_implIS3_Lb0ELb0EPlS7_ZN2at6native12_GLOBAL__N_124unique_dim_cuda_templateIN3c104HalfEEESt5tupleIJNS8_6TensorESF_SF_EERKSF_lbbbEUlllE1_EE10hipError_tPvRmT2_T3_mT4_P12ihipStream_tbEUlT_E_NS1_11comp_targetILNS1_3genE9ELNS1_11target_archE1100ELNS1_3gpuE3ELNS1_3repE0EEENS1_30default_config_static_selectorELNS0_4arch9wavefront6targetE0EEEvT1_,comdat
	.globl	_ZN7rocprim17ROCPRIM_400000_NS6detail17trampoline_kernelINS0_14default_configENS1_35adjacent_difference_config_selectorILb0ElEEZNS1_24adjacent_difference_implIS3_Lb0ELb0EPlS7_ZN2at6native12_GLOBAL__N_124unique_dim_cuda_templateIN3c104HalfEEESt5tupleIJNS8_6TensorESF_SF_EERKSF_lbbbEUlllE1_EE10hipError_tPvRmT2_T3_mT4_P12ihipStream_tbEUlT_E_NS1_11comp_targetILNS1_3genE9ELNS1_11target_archE1100ELNS1_3gpuE3ELNS1_3repE0EEENS1_30default_config_static_selectorELNS0_4arch9wavefront6targetE0EEEvT1_ ; -- Begin function _ZN7rocprim17ROCPRIM_400000_NS6detail17trampoline_kernelINS0_14default_configENS1_35adjacent_difference_config_selectorILb0ElEEZNS1_24adjacent_difference_implIS3_Lb0ELb0EPlS7_ZN2at6native12_GLOBAL__N_124unique_dim_cuda_templateIN3c104HalfEEESt5tupleIJNS8_6TensorESF_SF_EERKSF_lbbbEUlllE1_EE10hipError_tPvRmT2_T3_mT4_P12ihipStream_tbEUlT_E_NS1_11comp_targetILNS1_3genE9ELNS1_11target_archE1100ELNS1_3gpuE3ELNS1_3repE0EEENS1_30default_config_static_selectorELNS0_4arch9wavefront6targetE0EEEvT1_
	.p2align	8
	.type	_ZN7rocprim17ROCPRIM_400000_NS6detail17trampoline_kernelINS0_14default_configENS1_35adjacent_difference_config_selectorILb0ElEEZNS1_24adjacent_difference_implIS3_Lb0ELb0EPlS7_ZN2at6native12_GLOBAL__N_124unique_dim_cuda_templateIN3c104HalfEEESt5tupleIJNS8_6TensorESF_SF_EERKSF_lbbbEUlllE1_EE10hipError_tPvRmT2_T3_mT4_P12ihipStream_tbEUlT_E_NS1_11comp_targetILNS1_3genE9ELNS1_11target_archE1100ELNS1_3gpuE3ELNS1_3repE0EEENS1_30default_config_static_selectorELNS0_4arch9wavefront6targetE0EEEvT1_,@function
_ZN7rocprim17ROCPRIM_400000_NS6detail17trampoline_kernelINS0_14default_configENS1_35adjacent_difference_config_selectorILb0ElEEZNS1_24adjacent_difference_implIS3_Lb0ELb0EPlS7_ZN2at6native12_GLOBAL__N_124unique_dim_cuda_templateIN3c104HalfEEESt5tupleIJNS8_6TensorESF_SF_EERKSF_lbbbEUlllE1_EE10hipError_tPvRmT2_T3_mT4_P12ihipStream_tbEUlT_E_NS1_11comp_targetILNS1_3genE9ELNS1_11target_archE1100ELNS1_3gpuE3ELNS1_3repE0EEENS1_30default_config_static_selectorELNS0_4arch9wavefront6targetE0EEEvT1_: ; @_ZN7rocprim17ROCPRIM_400000_NS6detail17trampoline_kernelINS0_14default_configENS1_35adjacent_difference_config_selectorILb0ElEEZNS1_24adjacent_difference_implIS3_Lb0ELb0EPlS7_ZN2at6native12_GLOBAL__N_124unique_dim_cuda_templateIN3c104HalfEEESt5tupleIJNS8_6TensorESF_SF_EERKSF_lbbbEUlllE1_EE10hipError_tPvRmT2_T3_mT4_P12ihipStream_tbEUlT_E_NS1_11comp_targetILNS1_3genE9ELNS1_11target_archE1100ELNS1_3gpuE3ELNS1_3repE0EEENS1_30default_config_static_selectorELNS0_4arch9wavefront6targetE0EEEvT1_
; %bb.0:
	s_clause 0x1
	s_load_b256 s[4:11], s[0:1], 0x0
	s_load_b64 s[18:19], s[0:1], 0x38
	s_mov_b32 s17, 0
	s_waitcnt lgkmcnt(0)
	s_lshl_b64 s[12:13], s[6:7], 3
	s_delay_alu instid0(SALU_CYCLE_1)
	s_add_u32 s20, s4, s12
	s_addc_u32 s21, s5, s13
	s_load_b128 s[4:7], s[0:1], 0x20
	s_and_b32 s16, s10, 0x1ff
	s_lshl_b32 s2, s15, 9
	s_lshr_b64 s[22:23], s[10:11], 9
	s_cmp_lg_u64 s[16:17], 0
	s_cselect_b32 s3, -1, 0
	s_delay_alu instid0(SALU_CYCLE_1) | instskip(NEXT) | instid1(VALU_DEP_1)
	v_cndmask_b32_e64 v1, 0, 1, s3
	v_readfirstlane_b32 s3, v1
	s_delay_alu instid0(VALU_DEP_1)
	s_add_u32 s16, s22, s3
	s_addc_u32 s17, s23, 0
	s_add_u32 s18, s18, s15
	s_addc_u32 s19, s19, 0
	s_add_u32 s14, s16, -1
	s_addc_u32 s15, s17, -1
	s_delay_alu instid0(SALU_CYCLE_1) | instskip(NEXT) | instid1(VALU_DEP_1)
	v_cmp_ge_u64_e64 s1, s[18:19], s[14:15]
	s_and_b32 vcc_lo, exec_lo, s1
	s_cbranch_vccz .LBB1276_4
; %bb.1:
	s_lshl_b32 s0, s14, 9
                                        ; implicit-def: $vgpr1_vgpr2
	s_delay_alu instid0(SALU_CYCLE_1) | instskip(NEXT) | instid1(SALU_CYCLE_1)
	s_sub_i32 s0, s10, s0
	v_cmp_gt_u32_e32 vcc_lo, s0, v0
	s_and_saveexec_b32 s0, vcc_lo
	s_cbranch_execz .LBB1276_3
; %bb.2:
	s_mov_b32 s3, 0
	v_lshlrev_b32_e32 v1, 3, v0
	s_lshl_b64 s[22:23], s[2:3], 3
	s_delay_alu instid0(SALU_CYCLE_1)
	s_add_u32 s22, s20, s22
	s_addc_u32 s23, s21, s23
	global_load_b64 v[1:2], v1, s[22:23]
.LBB1276_3:
	s_or_b32 exec_lo, exec_lo, s0
	v_lshlrev_b32_e32 v3, 3, v0
	s_waitcnt vmcnt(0)
	ds_store_b64 v3, v[1:2]
	s_waitcnt lgkmcnt(0)
	s_barrier
	v_lshlrev_b32_e32 v9, 3, v0
	s_branch .LBB1276_6
.LBB1276_4:
                                        ; implicit-def: $vgpr3
	v_lshlrev_b32_e32 v9, 3, v0
	s_cbranch_execz .LBB1276_6
; %bb.5:
	s_mov_b32 s3, 0
	s_delay_alu instid0(VALU_DEP_1) | instskip(SKIP_1) | instid1(SALU_CYCLE_1)
	v_mov_b32_e32 v3, v9
	s_lshl_b64 s[22:23], s[2:3], 3
	s_add_u32 s22, s20, s22
	s_addc_u32 s23, s21, s23
	global_load_b64 v[1:2], v9, s[22:23]
	s_waitcnt vmcnt(0)
	ds_store_b64 v9, v[1:2]
	s_waitcnt lgkmcnt(0)
	s_barrier
.LBB1276_6:
	s_waitcnt lgkmcnt(0)
	buffer_gl0_inv
	ds_load_b64 v[1:2], v3
	s_cmp_eq_u64 s[18:19], 0
	s_waitcnt lgkmcnt(0)
	s_barrier
	buffer_gl0_inv
	s_cbranch_scc1 .LBB1276_17
; %bb.7:
	s_mov_b32 s3, 0
	s_delay_alu instid0(SALU_CYCLE_1) | instskip(NEXT) | instid1(SALU_CYCLE_1)
	s_lshl_b64 s[22:23], s[2:3], 3
	s_add_u32 s0, s20, s22
	s_addc_u32 s11, s21, s23
	s_add_u32 s20, s0, -8
	s_addc_u32 s21, s11, -1
	s_cmp_lg_u64 s[18:19], s[14:15]
	s_load_b64 s[20:21], s[20:21], 0x0
	s_cbranch_scc0 .LBB1276_18
; %bb.8:
	s_waitcnt lgkmcnt(0)
	v_dual_mov_b32 v3, s20 :: v_dual_mov_b32 v4, s21
	s_mov_b32 s0, 0
	s_mov_b32 s3, exec_lo
	ds_store_b64 v9, v[1:2]
	s_waitcnt lgkmcnt(0)
	s_barrier
	buffer_gl0_inv
	v_cmpx_ne_u32_e32 0, v0
	s_cbranch_execz .LBB1276_10
; %bb.9:
	v_add_nc_u32_e32 v3, -8, v9
	ds_load_b64 v[3:4], v3
.LBB1276_10:
	s_or_b32 exec_lo, exec_lo, s3
	v_cmp_lt_i64_e64 s3, s[4:5], 1
	s_delay_alu instid0(VALU_DEP_1)
	s_and_b32 vcc_lo, exec_lo, s3
	s_cbranch_vccnz .LBB1276_21
; %bb.11:
	v_mul_lo_u32 v10, v2, s4
	v_mul_lo_u32 v11, v1, s5
	v_mad_u64_u32 v[5:6], null, v1, s4, 0
	s_waitcnt lgkmcnt(0)
	v_mul_lo_u32 v4, v4, s4
	v_mul_lo_u32 v12, v3, s5
	v_mad_u64_u32 v[7:8], null, v3, s4, 0
	s_mov_b32 s0, -1
	s_mov_b32 s3, exec_lo
	s_delay_alu instid0(VALU_DEP_4) | instskip(NEXT) | instid1(VALU_DEP_2)
	v_add3_u32 v6, v6, v11, v10
	v_add3_u32 v8, v8, v12, v4
	s_delay_alu instid0(VALU_DEP_2) | instskip(NEXT) | instid1(VALU_DEP_2)
	v_lshlrev_b64 v[3:4], 1, v[5:6]
	v_lshlrev_b64 v[7:8], 1, v[7:8]
	s_delay_alu instid0(VALU_DEP_2) | instskip(NEXT) | instid1(VALU_DEP_3)
	v_add_co_u32 v5, vcc_lo, s6, v3
	v_add_co_ci_u32_e32 v6, vcc_lo, s7, v4, vcc_lo
	s_delay_alu instid0(VALU_DEP_3) | instskip(NEXT) | instid1(VALU_DEP_4)
	v_add_co_u32 v3, vcc_lo, s6, v7
	v_add_co_ci_u32_e32 v4, vcc_lo, s7, v8, vcc_lo
	s_clause 0x1
	global_load_u16 v7, v[5:6], off
	global_load_u16 v8, v[3:4], off
	s_waitcnt vmcnt(0)
	v_cmpx_eq_f16_e32 v7, v8
	s_cbranch_execz .LBB1276_20
; %bb.12:
	v_add_co_u32 v3, vcc_lo, v3, 2
	v_add_co_ci_u32_e32 v4, vcc_lo, 0, v4, vcc_lo
	v_add_co_u32 v5, vcc_lo, v5, 2
	v_add_co_ci_u32_e32 v6, vcc_lo, 0, v6, vcc_lo
	s_add_u32 s22, s4, -1
	s_addc_u32 s23, s5, -1
	s_mov_b64 s[24:25], 0
	s_mov_b32 s11, 0
                                        ; implicit-def: $sgpr15
	s_set_inst_prefetch_distance 0x1
	s_branch .LBB1276_15
	.p2align	6
.LBB1276_13:                            ;   in Loop: Header=BB1276_15 Depth=1
	global_load_u16 v7, v[5:6], off
	global_load_u16 v8, v[3:4], off
	v_add_co_u32 v3, vcc_lo, v3, 2
	v_add_co_ci_u32_e32 v4, vcc_lo, 0, v4, vcc_lo
	v_add_co_u32 v5, s0, v5, 2
	s_delay_alu instid0(VALU_DEP_1)
	v_add_co_ci_u32_e64 v6, s0, 0, v6, s0
	s_add_u32 s24, s24, 1
	s_addc_u32 s25, s25, 0
	s_and_not1_b32 s0, s15, exec_lo
	s_waitcnt vmcnt(0)
	v_cmp_neq_f16_e32 vcc_lo, v7, v8
	s_and_b32 s15, vcc_lo, exec_lo
	s_delay_alu instid0(SALU_CYCLE_1)
	s_or_b32 s15, s0, s15
.LBB1276_14:                            ;   in Loop: Header=BB1276_15 Depth=1
	v_dual_mov_b32 v7, s24 :: v_dual_mov_b32 v8, s25
	s_and_b32 s0, exec_lo, s15
	s_delay_alu instid0(SALU_CYCLE_1) | instskip(NEXT) | instid1(SALU_CYCLE_1)
	s_or_b32 s11, s0, s11
	s_and_not1_b32 exec_lo, exec_lo, s11
	s_cbranch_execz .LBB1276_19
.LBB1276_15:                            ; =>This Inner Loop Header: Depth=1
	s_or_b32 s15, s15, exec_lo
	s_cmp_eq_u64 s[22:23], s[24:25]
	s_cbranch_scc0 .LBB1276_13
; %bb.16:                               ;   in Loop: Header=BB1276_15 Depth=1
	s_mov_b64 s[24:25], s[4:5]
                                        ; implicit-def: $vgpr3_vgpr4
                                        ; implicit-def: $vgpr5_vgpr6
	s_branch .LBB1276_14
.LBB1276_17:
	s_mov_b32 s3, 0
                                        ; implicit-def: $sgpr0
	s_cbranch_execnz .LBB1276_38
	s_branch .LBB1276_65
.LBB1276_18:
                                        ; implicit-def: $sgpr0
	s_cbranch_execnz .LBB1276_22
	s_branch .LBB1276_37
.LBB1276_19:
	s_set_inst_prefetch_distance 0x2
	s_or_b32 exec_lo, exec_lo, s11
	v_cmp_gt_i64_e32 vcc_lo, s[4:5], v[7:8]
	s_or_not1_b32 s0, vcc_lo, exec_lo
.LBB1276_20:
	s_or_b32 exec_lo, exec_lo, s3
.LBB1276_21:
	s_mov_b32 s3, -1
	s_branch .LBB1276_37
.LBB1276_22:
	s_waitcnt lgkmcnt(0)
	v_dual_mov_b32 v3, s20 :: v_dual_mov_b32 v4, s21
	s_mov_b32 s0, exec_lo
	ds_store_b64 v9, v[1:2]
	s_waitcnt lgkmcnt(0)
	s_barrier
	buffer_gl0_inv
	v_cmpx_ne_u32_e32 0, v0
	s_cbranch_execz .LBB1276_24
; %bb.23:
	v_add_nc_u32_e32 v3, -8, v9
	ds_load_b64 v[3:4], v3
.LBB1276_24:
	s_or_b32 exec_lo, exec_lo, s0
	s_lshl_b32 s0, s18, 9
	s_delay_alu instid0(SALU_CYCLE_1) | instskip(NEXT) | instid1(SALU_CYCLE_1)
	s_sub_i32 s0, s10, s0
	v_cmp_gt_u32_e32 vcc_lo, s0, v0
                                        ; implicit-def: $sgpr0
	s_and_saveexec_b32 s11, vcc_lo
	s_cbranch_execz .LBB1276_36
; %bb.25:
	v_cmp_lt_i64_e64 s0, s[4:5], 1
	s_delay_alu instid0(VALU_DEP_1)
	s_and_b32 vcc_lo, exec_lo, s0
	s_cbranch_vccnz .LBB1276_32
; %bb.26:
	v_mul_lo_u32 v10, v2, s4
	v_mul_lo_u32 v11, v1, s5
	v_mad_u64_u32 v[5:6], null, v1, s4, 0
	s_waitcnt lgkmcnt(0)
	v_mul_lo_u32 v4, v4, s4
	v_mul_lo_u32 v12, v3, s5
	v_mad_u64_u32 v[7:8], null, v3, s4, 0
	s_mov_b32 s0, -1
	s_mov_b32 s15, exec_lo
	s_delay_alu instid0(VALU_DEP_4) | instskip(NEXT) | instid1(VALU_DEP_2)
	v_add3_u32 v6, v6, v11, v10
	v_add3_u32 v8, v8, v12, v4
	s_delay_alu instid0(VALU_DEP_2) | instskip(NEXT) | instid1(VALU_DEP_2)
	v_lshlrev_b64 v[3:4], 1, v[5:6]
	v_lshlrev_b64 v[7:8], 1, v[7:8]
	s_delay_alu instid0(VALU_DEP_2) | instskip(NEXT) | instid1(VALU_DEP_3)
	v_add_co_u32 v5, vcc_lo, s6, v3
	v_add_co_ci_u32_e32 v6, vcc_lo, s7, v4, vcc_lo
	s_delay_alu instid0(VALU_DEP_3) | instskip(NEXT) | instid1(VALU_DEP_4)
	v_add_co_u32 v3, vcc_lo, s6, v7
	v_add_co_ci_u32_e32 v4, vcc_lo, s7, v8, vcc_lo
	s_clause 0x1
	global_load_u16 v7, v[5:6], off
	global_load_u16 v8, v[3:4], off
	s_waitcnt vmcnt(0)
	v_cmpx_eq_f16_e32 v7, v8
	s_cbranch_execz .LBB1276_34
; %bb.27:
	v_add_co_u32 v3, vcc_lo, v3, 2
	v_add_co_ci_u32_e32 v4, vcc_lo, 0, v4, vcc_lo
	v_add_co_u32 v5, vcc_lo, v5, 2
	v_add_co_ci_u32_e32 v6, vcc_lo, 0, v6, vcc_lo
	s_add_u32 s18, s4, -1
	s_addc_u32 s19, s5, -1
	s_mov_b64 s[20:21], 0
	s_mov_b32 s22, 0
                                        ; implicit-def: $sgpr23
	s_set_inst_prefetch_distance 0x1
	s_branch .LBB1276_30
	.p2align	6
.LBB1276_28:                            ;   in Loop: Header=BB1276_30 Depth=1
	global_load_u16 v7, v[5:6], off
	global_load_u16 v8, v[3:4], off
	v_add_co_u32 v3, vcc_lo, v3, 2
	v_add_co_ci_u32_e32 v4, vcc_lo, 0, v4, vcc_lo
	v_add_co_u32 v5, s0, v5, 2
	s_delay_alu instid0(VALU_DEP_1)
	v_add_co_ci_u32_e64 v6, s0, 0, v6, s0
	s_add_u32 s20, s20, 1
	s_addc_u32 s21, s21, 0
	s_and_not1_b32 s0, s23, exec_lo
	s_waitcnt vmcnt(0)
	v_cmp_neq_f16_e32 vcc_lo, v7, v8
	s_and_b32 s23, vcc_lo, exec_lo
	s_delay_alu instid0(SALU_CYCLE_1)
	s_or_b32 s23, s0, s23
.LBB1276_29:                            ;   in Loop: Header=BB1276_30 Depth=1
	v_dual_mov_b32 v7, s20 :: v_dual_mov_b32 v8, s21
	s_and_b32 s0, exec_lo, s23
	s_delay_alu instid0(SALU_CYCLE_1) | instskip(NEXT) | instid1(SALU_CYCLE_1)
	s_or_b32 s22, s0, s22
	s_and_not1_b32 exec_lo, exec_lo, s22
	s_cbranch_execz .LBB1276_33
.LBB1276_30:                            ; =>This Inner Loop Header: Depth=1
	s_or_b32 s23, s23, exec_lo
	s_cmp_eq_u64 s[18:19], s[20:21]
	s_cbranch_scc0 .LBB1276_28
; %bb.31:                               ;   in Loop: Header=BB1276_30 Depth=1
	s_mov_b64 s[20:21], s[4:5]
                                        ; implicit-def: $vgpr3_vgpr4
                                        ; implicit-def: $vgpr5_vgpr6
	s_branch .LBB1276_29
.LBB1276_32:
	s_mov_b32 s0, 0
	s_branch .LBB1276_35
.LBB1276_33:
	s_set_inst_prefetch_distance 0x2
	s_or_b32 exec_lo, exec_lo, s22
	v_cmp_gt_i64_e32 vcc_lo, s[4:5], v[7:8]
	s_or_not1_b32 s0, vcc_lo, exec_lo
.LBB1276_34:
	s_or_b32 exec_lo, exec_lo, s15
.LBB1276_35:
	s_delay_alu instid0(SALU_CYCLE_1)
	s_and_b32 s0, s0, exec_lo
	s_or_b32 s3, s3, exec_lo
.LBB1276_36:
	s_or_b32 exec_lo, exec_lo, s11
.LBB1276_37:
	s_branch .LBB1276_65
.LBB1276_38:
	s_cmp_lg_u64 s[16:17], 1
	s_cbranch_scc0 .LBB1276_47
; %bb.39:
	s_mov_b32 s11, 0
	s_mov_b32 s15, exec_lo
	ds_store_b64 v9, v[1:2]
	s_waitcnt lgkmcnt(0)
	s_barrier
	buffer_gl0_inv
                                        ; implicit-def: $sgpr0
	v_cmpx_ne_u32_e32 0, v0
	s_cbranch_execz .LBB1276_48
; %bb.40:
	v_cmp_lt_i64_e64 s0, s[4:5], 1
	s_delay_alu instid0(VALU_DEP_1)
	s_and_b32 vcc_lo, exec_lo, s0
	s_cbranch_vccnz .LBB1276_49
; %bb.41:
	v_add_nc_u32_e32 v3, -8, v9
	v_mul_lo_u32 v10, v2, s4
	v_mul_lo_u32 v11, v1, s5
	v_mad_u64_u32 v[5:6], null, v1, s4, 0
	ds_load_b64 v[3:4], v3
	s_mov_b32 s0, -1
	s_mov_b32 s20, exec_lo
	v_add3_u32 v6, v6, v11, v10
	s_waitcnt lgkmcnt(0)
	v_mul_lo_u32 v4, v4, s4
	v_mul_lo_u32 v12, v3, s5
	v_mad_u64_u32 v[7:8], null, v3, s4, 0
	s_delay_alu instid0(VALU_DEP_1) | instskip(SKIP_1) | instid1(VALU_DEP_2)
	v_add3_u32 v8, v8, v12, v4
	v_lshlrev_b64 v[3:4], 1, v[5:6]
	v_lshlrev_b64 v[7:8], 1, v[7:8]
	s_delay_alu instid0(VALU_DEP_2) | instskip(NEXT) | instid1(VALU_DEP_3)
	v_add_co_u32 v5, vcc_lo, s6, v3
	v_add_co_ci_u32_e32 v6, vcc_lo, s7, v4, vcc_lo
	s_delay_alu instid0(VALU_DEP_3) | instskip(NEXT) | instid1(VALU_DEP_4)
	v_add_co_u32 v3, vcc_lo, s6, v7
	v_add_co_ci_u32_e32 v4, vcc_lo, s7, v8, vcc_lo
	s_clause 0x1
	global_load_u16 v7, v[5:6], off
	global_load_u16 v8, v[3:4], off
	s_waitcnt vmcnt(0)
	v_cmpx_eq_f16_e32 v7, v8
	s_cbranch_execz .LBB1276_51
; %bb.42:
	v_add_co_u32 v3, vcc_lo, v3, 2
	v_add_co_ci_u32_e32 v4, vcc_lo, 0, v4, vcc_lo
	v_add_co_u32 v5, vcc_lo, v5, 2
	v_add_co_ci_u32_e32 v6, vcc_lo, 0, v6, vcc_lo
	s_add_u32 s16, s4, -1
	s_addc_u32 s17, s5, -1
	s_mov_b64 s[18:19], 0
	s_mov_b32 s21, 0
                                        ; implicit-def: $sgpr22
	s_set_inst_prefetch_distance 0x1
	s_branch .LBB1276_45
	.p2align	6
.LBB1276_43:                            ;   in Loop: Header=BB1276_45 Depth=1
	global_load_u16 v7, v[5:6], off
	global_load_u16 v8, v[3:4], off
	v_add_co_u32 v3, vcc_lo, v3, 2
	v_add_co_ci_u32_e32 v4, vcc_lo, 0, v4, vcc_lo
	v_add_co_u32 v5, s0, v5, 2
	s_delay_alu instid0(VALU_DEP_1)
	v_add_co_ci_u32_e64 v6, s0, 0, v6, s0
	s_add_u32 s18, s18, 1
	s_addc_u32 s19, s19, 0
	s_and_not1_b32 s0, s22, exec_lo
	s_waitcnt vmcnt(0)
	v_cmp_neq_f16_e32 vcc_lo, v7, v8
	s_and_b32 s22, vcc_lo, exec_lo
	s_delay_alu instid0(SALU_CYCLE_1)
	s_or_b32 s22, s0, s22
.LBB1276_44:                            ;   in Loop: Header=BB1276_45 Depth=1
	v_dual_mov_b32 v7, s18 :: v_dual_mov_b32 v8, s19
	s_and_b32 s0, exec_lo, s22
	s_delay_alu instid0(SALU_CYCLE_1) | instskip(NEXT) | instid1(SALU_CYCLE_1)
	s_or_b32 s21, s0, s21
	s_and_not1_b32 exec_lo, exec_lo, s21
	s_cbranch_execz .LBB1276_50
.LBB1276_45:                            ; =>This Inner Loop Header: Depth=1
	s_or_b32 s22, s22, exec_lo
	s_cmp_eq_u64 s[16:17], s[18:19]
	s_cbranch_scc0 .LBB1276_43
; %bb.46:                               ;   in Loop: Header=BB1276_45 Depth=1
	s_mov_b64 s[18:19], s[4:5]
                                        ; implicit-def: $vgpr3_vgpr4
                                        ; implicit-def: $vgpr5_vgpr6
	s_branch .LBB1276_44
.LBB1276_47:
                                        ; implicit-def: $sgpr0
	s_cbranch_execnz .LBB1276_53
	s_branch .LBB1276_65
.LBB1276_48:
	s_or_b32 exec_lo, exec_lo, s15
	s_delay_alu instid0(SALU_CYCLE_1)
	s_and_b32 vcc_lo, exec_lo, s11
	s_cbranch_vccnz .LBB1276_53
	s_branch .LBB1276_65
.LBB1276_49:
	s_mov_b32 s0, 0
	s_branch .LBB1276_52
.LBB1276_50:
	s_set_inst_prefetch_distance 0x2
	s_or_b32 exec_lo, exec_lo, s21
	v_cmp_gt_i64_e32 vcc_lo, s[4:5], v[7:8]
	s_or_not1_b32 s0, vcc_lo, exec_lo
.LBB1276_51:
	s_or_b32 exec_lo, exec_lo, s20
.LBB1276_52:
	s_delay_alu instid0(SALU_CYCLE_1) | instskip(SKIP_2) | instid1(SALU_CYCLE_1)
	s_and_b32 s0, s0, exec_lo
	s_or_b32 s3, s3, exec_lo
	s_or_b32 exec_lo, exec_lo, s15
	s_and_b32 vcc_lo, exec_lo, s11
	s_cbranch_vccz .LBB1276_65
.LBB1276_53:
	v_cmp_ne_u32_e32 vcc_lo, 0, v0
	v_cmp_gt_u32_e64 s0, s10, v0
	s_mov_b32 s16, 0
	ds_store_b64 v9, v[1:2]
	s_waitcnt lgkmcnt(0)
	s_barrier
	s_and_b32 s15, vcc_lo, s0
	buffer_gl0_inv
                                        ; implicit-def: $sgpr0
	s_and_saveexec_b32 s11, s15
	s_cbranch_execz .LBB1276_64
; %bb.54:
	v_cmp_lt_i64_e64 s0, s[4:5], 1
	s_delay_alu instid0(VALU_DEP_1)
	s_and_b32 vcc_lo, exec_lo, s0
	s_cbranch_vccnz .LBB1276_63
; %bb.55:
	v_add_nc_u32_e32 v3, -8, v9
	v_mul_lo_u32 v7, v2, s4
	v_mul_lo_u32 v8, v1, s5
	v_mad_u64_u32 v[5:6], null, v1, s4, 0
	ds_load_b64 v[3:4], v3
	s_mov_b32 s16, -1
	s_mov_b32 s15, exec_lo
	v_add3_u32 v6, v6, v8, v7
	s_waitcnt lgkmcnt(0)
	v_mul_lo_u32 v4, v4, s4
	v_mul_lo_u32 v10, v3, s5
	v_mad_u64_u32 v[1:2], null, v3, s4, 0
	s_delay_alu instid0(VALU_DEP_1) | instskip(SKIP_1) | instid1(VALU_DEP_2)
	v_add3_u32 v2, v2, v10, v4
	v_lshlrev_b64 v[3:4], 1, v[5:6]
	v_lshlrev_b64 v[1:2], 1, v[1:2]
	s_delay_alu instid0(VALU_DEP_2) | instskip(NEXT) | instid1(VALU_DEP_3)
	v_add_co_u32 v3, vcc_lo, s6, v3
	v_add_co_ci_u32_e32 v4, vcc_lo, s7, v4, vcc_lo
	s_delay_alu instid0(VALU_DEP_3) | instskip(NEXT) | instid1(VALU_DEP_4)
	v_add_co_u32 v1, vcc_lo, s6, v1
	v_add_co_ci_u32_e32 v2, vcc_lo, s7, v2, vcc_lo
	s_clause 0x1
	global_load_u16 v5, v[3:4], off
	global_load_u16 v6, v[1:2], off
	s_waitcnt vmcnt(0)
	v_cmpx_eq_f16_e32 v5, v6
	s_cbranch_execz .LBB1276_62
; %bb.56:
	v_add_co_u32 v1, vcc_lo, v1, 2
	v_add_co_ci_u32_e32 v2, vcc_lo, 0, v2, vcc_lo
	v_add_co_u32 v3, vcc_lo, v3, 2
	v_add_co_ci_u32_e32 v4, vcc_lo, 0, v4, vcc_lo
	s_add_u32 s6, s4, -1
	s_addc_u32 s7, s5, -1
	s_mov_b64 s[16:17], 0
	s_mov_b32 s18, 0
                                        ; implicit-def: $sgpr19
	s_set_inst_prefetch_distance 0x1
	s_branch .LBB1276_59
	.p2align	6
.LBB1276_57:                            ;   in Loop: Header=BB1276_59 Depth=1
	global_load_u16 v5, v[3:4], off
	global_load_u16 v6, v[1:2], off
	v_add_co_u32 v1, vcc_lo, v1, 2
	v_add_co_ci_u32_e32 v2, vcc_lo, 0, v2, vcc_lo
	v_add_co_u32 v3, s0, v3, 2
	s_delay_alu instid0(VALU_DEP_1)
	v_add_co_ci_u32_e64 v4, s0, 0, v4, s0
	s_add_u32 s16, s16, 1
	s_addc_u32 s17, s17, 0
	s_and_not1_b32 s0, s19, exec_lo
	s_waitcnt vmcnt(0)
	v_cmp_neq_f16_e32 vcc_lo, v5, v6
	s_and_b32 s19, vcc_lo, exec_lo
	s_delay_alu instid0(SALU_CYCLE_1)
	s_or_b32 s19, s0, s19
.LBB1276_58:                            ;   in Loop: Header=BB1276_59 Depth=1
	v_dual_mov_b32 v5, s16 :: v_dual_mov_b32 v6, s17
	s_and_b32 s0, exec_lo, s19
	s_delay_alu instid0(SALU_CYCLE_1) | instskip(NEXT) | instid1(SALU_CYCLE_1)
	s_or_b32 s18, s0, s18
	s_and_not1_b32 exec_lo, exec_lo, s18
	s_cbranch_execz .LBB1276_61
.LBB1276_59:                            ; =>This Inner Loop Header: Depth=1
	s_or_b32 s19, s19, exec_lo
	s_cmp_eq_u64 s[6:7], s[16:17]
	s_cbranch_scc0 .LBB1276_57
; %bb.60:                               ;   in Loop: Header=BB1276_59 Depth=1
	s_mov_b64 s[16:17], s[4:5]
                                        ; implicit-def: $vgpr1_vgpr2
                                        ; implicit-def: $vgpr3_vgpr4
	s_branch .LBB1276_58
.LBB1276_61:
	s_set_inst_prefetch_distance 0x2
	s_or_b32 exec_lo, exec_lo, s18
	v_cmp_gt_i64_e32 vcc_lo, s[4:5], v[5:6]
	s_or_not1_b32 s16, vcc_lo, exec_lo
.LBB1276_62:
	s_or_b32 exec_lo, exec_lo, s15
.LBB1276_63:
	s_delay_alu instid0(SALU_CYCLE_1)
	s_and_b32 s0, s16, exec_lo
	s_or_b32 s3, s3, exec_lo
                                        ; implicit-def: $vgpr1_vgpr2
.LBB1276_64:
	s_or_b32 exec_lo, exec_lo, s11
.LBB1276_65:
	s_and_saveexec_b32 s4, s3
; %bb.66:
	s_mov_b32 s3, 0
	v_cndmask_b32_e64 v1, 0, 1, s0
	v_mov_b32_e32 v2, s3
; %bb.67:
	s_or_b32 exec_lo, exec_lo, s4
	s_add_u32 s0, s8, s12
	s_addc_u32 s4, s9, s13
	s_and_b32 vcc_lo, exec_lo, s1
	s_mov_b32 s1, -1
	s_waitcnt lgkmcnt(0)
	s_barrier
	buffer_gl0_inv
	s_cbranch_vccnz .LBB1276_70
; %bb.68:
	s_and_not1_b32 vcc_lo, exec_lo, s1
	s_cbranch_vccz .LBB1276_73
.LBB1276_69:
	s_nop 0
	s_sendmsg sendmsg(MSG_DEALLOC_VGPRS)
	s_endpgm
.LBB1276_70:
	s_lshl_b32 s1, s14, 9
	ds_store_b64 v9, v[1:2]
	s_sub_i32 s1, s10, s1
	s_waitcnt lgkmcnt(0)
	v_cmp_gt_u32_e32 vcc_lo, s1, v0
	s_barrier
	buffer_gl0_inv
	s_and_saveexec_b32 s1, vcc_lo
	s_cbranch_execz .LBB1276_72
; %bb.71:
	ds_load_b64 v[3:4], v9
	s_mov_b32 s3, 0
	s_delay_alu instid0(SALU_CYCLE_1) | instskip(NEXT) | instid1(SALU_CYCLE_1)
	s_lshl_b64 s[6:7], s[2:3], 3
	s_add_u32 s6, s0, s6
	s_addc_u32 s7, s4, s7
	s_waitcnt lgkmcnt(0)
	global_store_b64 v9, v[3:4], s[6:7]
.LBB1276_72:
	s_or_b32 exec_lo, exec_lo, s1
	s_cbranch_execnz .LBB1276_69
.LBB1276_73:
	ds_store_b64 v9, v[1:2]
	s_waitcnt lgkmcnt(0)
	s_waitcnt_vscnt null, 0x0
	s_barrier
	buffer_gl0_inv
	ds_load_b64 v[0:1], v9
	s_mov_b32 s3, 0
	s_delay_alu instid0(SALU_CYCLE_1) | instskip(NEXT) | instid1(SALU_CYCLE_1)
	s_lshl_b64 s[2:3], s[2:3], 3
	s_add_u32 s0, s0, s2
	s_addc_u32 s1, s4, s3
	s_waitcnt lgkmcnt(0)
	global_store_b64 v9, v[0:1], s[0:1]
	s_nop 0
	s_sendmsg sendmsg(MSG_DEALLOC_VGPRS)
	s_endpgm
	.section	.rodata,"a",@progbits
	.p2align	6, 0x0
	.amdhsa_kernel _ZN7rocprim17ROCPRIM_400000_NS6detail17trampoline_kernelINS0_14default_configENS1_35adjacent_difference_config_selectorILb0ElEEZNS1_24adjacent_difference_implIS3_Lb0ELb0EPlS7_ZN2at6native12_GLOBAL__N_124unique_dim_cuda_templateIN3c104HalfEEESt5tupleIJNS8_6TensorESF_SF_EERKSF_lbbbEUlllE1_EE10hipError_tPvRmT2_T3_mT4_P12ihipStream_tbEUlT_E_NS1_11comp_targetILNS1_3genE9ELNS1_11target_archE1100ELNS1_3gpuE3ELNS1_3repE0EEENS1_30default_config_static_selectorELNS0_4arch9wavefront6targetE0EEEvT1_
		.amdhsa_group_segment_fixed_size 8192
		.amdhsa_private_segment_fixed_size 0
		.amdhsa_kernarg_size 64
		.amdhsa_user_sgpr_count 15
		.amdhsa_user_sgpr_dispatch_ptr 0
		.amdhsa_user_sgpr_queue_ptr 0
		.amdhsa_user_sgpr_kernarg_segment_ptr 1
		.amdhsa_user_sgpr_dispatch_id 0
		.amdhsa_user_sgpr_private_segment_size 0
		.amdhsa_wavefront_size32 1
		.amdhsa_uses_dynamic_stack 0
		.amdhsa_enable_private_segment 0
		.amdhsa_system_sgpr_workgroup_id_x 1
		.amdhsa_system_sgpr_workgroup_id_y 0
		.amdhsa_system_sgpr_workgroup_id_z 0
		.amdhsa_system_sgpr_workgroup_info 0
		.amdhsa_system_vgpr_workitem_id 0
		.amdhsa_next_free_vgpr 13
		.amdhsa_next_free_sgpr 26
		.amdhsa_reserve_vcc 1
		.amdhsa_float_round_mode_32 0
		.amdhsa_float_round_mode_16_64 0
		.amdhsa_float_denorm_mode_32 3
		.amdhsa_float_denorm_mode_16_64 3
		.amdhsa_dx10_clamp 1
		.amdhsa_ieee_mode 1
		.amdhsa_fp16_overflow 0
		.amdhsa_workgroup_processor_mode 1
		.amdhsa_memory_ordered 1
		.amdhsa_forward_progress 0
		.amdhsa_shared_vgpr_count 0
		.amdhsa_exception_fp_ieee_invalid_op 0
		.amdhsa_exception_fp_denorm_src 0
		.amdhsa_exception_fp_ieee_div_zero 0
		.amdhsa_exception_fp_ieee_overflow 0
		.amdhsa_exception_fp_ieee_underflow 0
		.amdhsa_exception_fp_ieee_inexact 0
		.amdhsa_exception_int_div_zero 0
	.end_amdhsa_kernel
	.section	.text._ZN7rocprim17ROCPRIM_400000_NS6detail17trampoline_kernelINS0_14default_configENS1_35adjacent_difference_config_selectorILb0ElEEZNS1_24adjacent_difference_implIS3_Lb0ELb0EPlS7_ZN2at6native12_GLOBAL__N_124unique_dim_cuda_templateIN3c104HalfEEESt5tupleIJNS8_6TensorESF_SF_EERKSF_lbbbEUlllE1_EE10hipError_tPvRmT2_T3_mT4_P12ihipStream_tbEUlT_E_NS1_11comp_targetILNS1_3genE9ELNS1_11target_archE1100ELNS1_3gpuE3ELNS1_3repE0EEENS1_30default_config_static_selectorELNS0_4arch9wavefront6targetE0EEEvT1_,"axG",@progbits,_ZN7rocprim17ROCPRIM_400000_NS6detail17trampoline_kernelINS0_14default_configENS1_35adjacent_difference_config_selectorILb0ElEEZNS1_24adjacent_difference_implIS3_Lb0ELb0EPlS7_ZN2at6native12_GLOBAL__N_124unique_dim_cuda_templateIN3c104HalfEEESt5tupleIJNS8_6TensorESF_SF_EERKSF_lbbbEUlllE1_EE10hipError_tPvRmT2_T3_mT4_P12ihipStream_tbEUlT_E_NS1_11comp_targetILNS1_3genE9ELNS1_11target_archE1100ELNS1_3gpuE3ELNS1_3repE0EEENS1_30default_config_static_selectorELNS0_4arch9wavefront6targetE0EEEvT1_,comdat
.Lfunc_end1276:
	.size	_ZN7rocprim17ROCPRIM_400000_NS6detail17trampoline_kernelINS0_14default_configENS1_35adjacent_difference_config_selectorILb0ElEEZNS1_24adjacent_difference_implIS3_Lb0ELb0EPlS7_ZN2at6native12_GLOBAL__N_124unique_dim_cuda_templateIN3c104HalfEEESt5tupleIJNS8_6TensorESF_SF_EERKSF_lbbbEUlllE1_EE10hipError_tPvRmT2_T3_mT4_P12ihipStream_tbEUlT_E_NS1_11comp_targetILNS1_3genE9ELNS1_11target_archE1100ELNS1_3gpuE3ELNS1_3repE0EEENS1_30default_config_static_selectorELNS0_4arch9wavefront6targetE0EEEvT1_, .Lfunc_end1276-_ZN7rocprim17ROCPRIM_400000_NS6detail17trampoline_kernelINS0_14default_configENS1_35adjacent_difference_config_selectorILb0ElEEZNS1_24adjacent_difference_implIS3_Lb0ELb0EPlS7_ZN2at6native12_GLOBAL__N_124unique_dim_cuda_templateIN3c104HalfEEESt5tupleIJNS8_6TensorESF_SF_EERKSF_lbbbEUlllE1_EE10hipError_tPvRmT2_T3_mT4_P12ihipStream_tbEUlT_E_NS1_11comp_targetILNS1_3genE9ELNS1_11target_archE1100ELNS1_3gpuE3ELNS1_3repE0EEENS1_30default_config_static_selectorELNS0_4arch9wavefront6targetE0EEEvT1_
                                        ; -- End function
	.section	.AMDGPU.csdata,"",@progbits
; Kernel info:
; codeLenInByte = 2556
; NumSgprs: 28
; NumVgprs: 13
; ScratchSize: 0
; MemoryBound: 0
; FloatMode: 240
; IeeeMode: 1
; LDSByteSize: 8192 bytes/workgroup (compile time only)
; SGPRBlocks: 3
; VGPRBlocks: 1
; NumSGPRsForWavesPerEU: 28
; NumVGPRsForWavesPerEU: 13
; Occupancy: 16
; WaveLimiterHint : 0
; COMPUTE_PGM_RSRC2:SCRATCH_EN: 0
; COMPUTE_PGM_RSRC2:USER_SGPR: 15
; COMPUTE_PGM_RSRC2:TRAP_HANDLER: 0
; COMPUTE_PGM_RSRC2:TGID_X_EN: 1
; COMPUTE_PGM_RSRC2:TGID_Y_EN: 0
; COMPUTE_PGM_RSRC2:TGID_Z_EN: 0
; COMPUTE_PGM_RSRC2:TIDIG_COMP_CNT: 0
	.section	.text._ZN7rocprim17ROCPRIM_400000_NS6detail17trampoline_kernelINS0_14default_configENS1_35adjacent_difference_config_selectorILb0ElEEZNS1_24adjacent_difference_implIS3_Lb0ELb0EPlS7_ZN2at6native12_GLOBAL__N_124unique_dim_cuda_templateIN3c104HalfEEESt5tupleIJNS8_6TensorESF_SF_EERKSF_lbbbEUlllE1_EE10hipError_tPvRmT2_T3_mT4_P12ihipStream_tbEUlT_E_NS1_11comp_targetILNS1_3genE8ELNS1_11target_archE1030ELNS1_3gpuE2ELNS1_3repE0EEENS1_30default_config_static_selectorELNS0_4arch9wavefront6targetE0EEEvT1_,"axG",@progbits,_ZN7rocprim17ROCPRIM_400000_NS6detail17trampoline_kernelINS0_14default_configENS1_35adjacent_difference_config_selectorILb0ElEEZNS1_24adjacent_difference_implIS3_Lb0ELb0EPlS7_ZN2at6native12_GLOBAL__N_124unique_dim_cuda_templateIN3c104HalfEEESt5tupleIJNS8_6TensorESF_SF_EERKSF_lbbbEUlllE1_EE10hipError_tPvRmT2_T3_mT4_P12ihipStream_tbEUlT_E_NS1_11comp_targetILNS1_3genE8ELNS1_11target_archE1030ELNS1_3gpuE2ELNS1_3repE0EEENS1_30default_config_static_selectorELNS0_4arch9wavefront6targetE0EEEvT1_,comdat
	.globl	_ZN7rocprim17ROCPRIM_400000_NS6detail17trampoline_kernelINS0_14default_configENS1_35adjacent_difference_config_selectorILb0ElEEZNS1_24adjacent_difference_implIS3_Lb0ELb0EPlS7_ZN2at6native12_GLOBAL__N_124unique_dim_cuda_templateIN3c104HalfEEESt5tupleIJNS8_6TensorESF_SF_EERKSF_lbbbEUlllE1_EE10hipError_tPvRmT2_T3_mT4_P12ihipStream_tbEUlT_E_NS1_11comp_targetILNS1_3genE8ELNS1_11target_archE1030ELNS1_3gpuE2ELNS1_3repE0EEENS1_30default_config_static_selectorELNS0_4arch9wavefront6targetE0EEEvT1_ ; -- Begin function _ZN7rocprim17ROCPRIM_400000_NS6detail17trampoline_kernelINS0_14default_configENS1_35adjacent_difference_config_selectorILb0ElEEZNS1_24adjacent_difference_implIS3_Lb0ELb0EPlS7_ZN2at6native12_GLOBAL__N_124unique_dim_cuda_templateIN3c104HalfEEESt5tupleIJNS8_6TensorESF_SF_EERKSF_lbbbEUlllE1_EE10hipError_tPvRmT2_T3_mT4_P12ihipStream_tbEUlT_E_NS1_11comp_targetILNS1_3genE8ELNS1_11target_archE1030ELNS1_3gpuE2ELNS1_3repE0EEENS1_30default_config_static_selectorELNS0_4arch9wavefront6targetE0EEEvT1_
	.p2align	8
	.type	_ZN7rocprim17ROCPRIM_400000_NS6detail17trampoline_kernelINS0_14default_configENS1_35adjacent_difference_config_selectorILb0ElEEZNS1_24adjacent_difference_implIS3_Lb0ELb0EPlS7_ZN2at6native12_GLOBAL__N_124unique_dim_cuda_templateIN3c104HalfEEESt5tupleIJNS8_6TensorESF_SF_EERKSF_lbbbEUlllE1_EE10hipError_tPvRmT2_T3_mT4_P12ihipStream_tbEUlT_E_NS1_11comp_targetILNS1_3genE8ELNS1_11target_archE1030ELNS1_3gpuE2ELNS1_3repE0EEENS1_30default_config_static_selectorELNS0_4arch9wavefront6targetE0EEEvT1_,@function
_ZN7rocprim17ROCPRIM_400000_NS6detail17trampoline_kernelINS0_14default_configENS1_35adjacent_difference_config_selectorILb0ElEEZNS1_24adjacent_difference_implIS3_Lb0ELb0EPlS7_ZN2at6native12_GLOBAL__N_124unique_dim_cuda_templateIN3c104HalfEEESt5tupleIJNS8_6TensorESF_SF_EERKSF_lbbbEUlllE1_EE10hipError_tPvRmT2_T3_mT4_P12ihipStream_tbEUlT_E_NS1_11comp_targetILNS1_3genE8ELNS1_11target_archE1030ELNS1_3gpuE2ELNS1_3repE0EEENS1_30default_config_static_selectorELNS0_4arch9wavefront6targetE0EEEvT1_: ; @_ZN7rocprim17ROCPRIM_400000_NS6detail17trampoline_kernelINS0_14default_configENS1_35adjacent_difference_config_selectorILb0ElEEZNS1_24adjacent_difference_implIS3_Lb0ELb0EPlS7_ZN2at6native12_GLOBAL__N_124unique_dim_cuda_templateIN3c104HalfEEESt5tupleIJNS8_6TensorESF_SF_EERKSF_lbbbEUlllE1_EE10hipError_tPvRmT2_T3_mT4_P12ihipStream_tbEUlT_E_NS1_11comp_targetILNS1_3genE8ELNS1_11target_archE1030ELNS1_3gpuE2ELNS1_3repE0EEENS1_30default_config_static_selectorELNS0_4arch9wavefront6targetE0EEEvT1_
; %bb.0:
	.section	.rodata,"a",@progbits
	.p2align	6, 0x0
	.amdhsa_kernel _ZN7rocprim17ROCPRIM_400000_NS6detail17trampoline_kernelINS0_14default_configENS1_35adjacent_difference_config_selectorILb0ElEEZNS1_24adjacent_difference_implIS3_Lb0ELb0EPlS7_ZN2at6native12_GLOBAL__N_124unique_dim_cuda_templateIN3c104HalfEEESt5tupleIJNS8_6TensorESF_SF_EERKSF_lbbbEUlllE1_EE10hipError_tPvRmT2_T3_mT4_P12ihipStream_tbEUlT_E_NS1_11comp_targetILNS1_3genE8ELNS1_11target_archE1030ELNS1_3gpuE2ELNS1_3repE0EEENS1_30default_config_static_selectorELNS0_4arch9wavefront6targetE0EEEvT1_
		.amdhsa_group_segment_fixed_size 0
		.amdhsa_private_segment_fixed_size 0
		.amdhsa_kernarg_size 64
		.amdhsa_user_sgpr_count 15
		.amdhsa_user_sgpr_dispatch_ptr 0
		.amdhsa_user_sgpr_queue_ptr 0
		.amdhsa_user_sgpr_kernarg_segment_ptr 1
		.amdhsa_user_sgpr_dispatch_id 0
		.amdhsa_user_sgpr_private_segment_size 0
		.amdhsa_wavefront_size32 1
		.amdhsa_uses_dynamic_stack 0
		.amdhsa_enable_private_segment 0
		.amdhsa_system_sgpr_workgroup_id_x 1
		.amdhsa_system_sgpr_workgroup_id_y 0
		.amdhsa_system_sgpr_workgroup_id_z 0
		.amdhsa_system_sgpr_workgroup_info 0
		.amdhsa_system_vgpr_workitem_id 0
		.amdhsa_next_free_vgpr 1
		.amdhsa_next_free_sgpr 1
		.amdhsa_reserve_vcc 0
		.amdhsa_float_round_mode_32 0
		.amdhsa_float_round_mode_16_64 0
		.amdhsa_float_denorm_mode_32 3
		.amdhsa_float_denorm_mode_16_64 3
		.amdhsa_dx10_clamp 1
		.amdhsa_ieee_mode 1
		.amdhsa_fp16_overflow 0
		.amdhsa_workgroup_processor_mode 1
		.amdhsa_memory_ordered 1
		.amdhsa_forward_progress 0
		.amdhsa_shared_vgpr_count 0
		.amdhsa_exception_fp_ieee_invalid_op 0
		.amdhsa_exception_fp_denorm_src 0
		.amdhsa_exception_fp_ieee_div_zero 0
		.amdhsa_exception_fp_ieee_overflow 0
		.amdhsa_exception_fp_ieee_underflow 0
		.amdhsa_exception_fp_ieee_inexact 0
		.amdhsa_exception_int_div_zero 0
	.end_amdhsa_kernel
	.section	.text._ZN7rocprim17ROCPRIM_400000_NS6detail17trampoline_kernelINS0_14default_configENS1_35adjacent_difference_config_selectorILb0ElEEZNS1_24adjacent_difference_implIS3_Lb0ELb0EPlS7_ZN2at6native12_GLOBAL__N_124unique_dim_cuda_templateIN3c104HalfEEESt5tupleIJNS8_6TensorESF_SF_EERKSF_lbbbEUlllE1_EE10hipError_tPvRmT2_T3_mT4_P12ihipStream_tbEUlT_E_NS1_11comp_targetILNS1_3genE8ELNS1_11target_archE1030ELNS1_3gpuE2ELNS1_3repE0EEENS1_30default_config_static_selectorELNS0_4arch9wavefront6targetE0EEEvT1_,"axG",@progbits,_ZN7rocprim17ROCPRIM_400000_NS6detail17trampoline_kernelINS0_14default_configENS1_35adjacent_difference_config_selectorILb0ElEEZNS1_24adjacent_difference_implIS3_Lb0ELb0EPlS7_ZN2at6native12_GLOBAL__N_124unique_dim_cuda_templateIN3c104HalfEEESt5tupleIJNS8_6TensorESF_SF_EERKSF_lbbbEUlllE1_EE10hipError_tPvRmT2_T3_mT4_P12ihipStream_tbEUlT_E_NS1_11comp_targetILNS1_3genE8ELNS1_11target_archE1030ELNS1_3gpuE2ELNS1_3repE0EEENS1_30default_config_static_selectorELNS0_4arch9wavefront6targetE0EEEvT1_,comdat
.Lfunc_end1277:
	.size	_ZN7rocprim17ROCPRIM_400000_NS6detail17trampoline_kernelINS0_14default_configENS1_35adjacent_difference_config_selectorILb0ElEEZNS1_24adjacent_difference_implIS3_Lb0ELb0EPlS7_ZN2at6native12_GLOBAL__N_124unique_dim_cuda_templateIN3c104HalfEEESt5tupleIJNS8_6TensorESF_SF_EERKSF_lbbbEUlllE1_EE10hipError_tPvRmT2_T3_mT4_P12ihipStream_tbEUlT_E_NS1_11comp_targetILNS1_3genE8ELNS1_11target_archE1030ELNS1_3gpuE2ELNS1_3repE0EEENS1_30default_config_static_selectorELNS0_4arch9wavefront6targetE0EEEvT1_, .Lfunc_end1277-_ZN7rocprim17ROCPRIM_400000_NS6detail17trampoline_kernelINS0_14default_configENS1_35adjacent_difference_config_selectorILb0ElEEZNS1_24adjacent_difference_implIS3_Lb0ELb0EPlS7_ZN2at6native12_GLOBAL__N_124unique_dim_cuda_templateIN3c104HalfEEESt5tupleIJNS8_6TensorESF_SF_EERKSF_lbbbEUlllE1_EE10hipError_tPvRmT2_T3_mT4_P12ihipStream_tbEUlT_E_NS1_11comp_targetILNS1_3genE8ELNS1_11target_archE1030ELNS1_3gpuE2ELNS1_3repE0EEENS1_30default_config_static_selectorELNS0_4arch9wavefront6targetE0EEEvT1_
                                        ; -- End function
	.section	.AMDGPU.csdata,"",@progbits
; Kernel info:
; codeLenInByte = 0
; NumSgprs: 0
; NumVgprs: 0
; ScratchSize: 0
; MemoryBound: 0
; FloatMode: 240
; IeeeMode: 1
; LDSByteSize: 0 bytes/workgroup (compile time only)
; SGPRBlocks: 0
; VGPRBlocks: 0
; NumSGPRsForWavesPerEU: 1
; NumVGPRsForWavesPerEU: 1
; Occupancy: 16
; WaveLimiterHint : 0
; COMPUTE_PGM_RSRC2:SCRATCH_EN: 0
; COMPUTE_PGM_RSRC2:USER_SGPR: 15
; COMPUTE_PGM_RSRC2:TRAP_HANDLER: 0
; COMPUTE_PGM_RSRC2:TGID_X_EN: 1
; COMPUTE_PGM_RSRC2:TGID_Y_EN: 0
; COMPUTE_PGM_RSRC2:TGID_Z_EN: 0
; COMPUTE_PGM_RSRC2:TIDIG_COMP_CNT: 0
	.section	.text._ZN7rocprim17ROCPRIM_400000_NS6detail17trampoline_kernelINS0_14default_configENS1_25transform_config_selectorIlLb0EEEZNS1_14transform_implILb0ES3_S5_NS0_18transform_iteratorINS0_17counting_iteratorImlEEZNS1_24adjacent_difference_implIS3_Lb1ELb0EPlSB_ZN2at6native12_GLOBAL__N_124unique_dim_cuda_templateIN3c104HalfEEESt5tupleIJNSC_6TensorESJ_SJ_EERKSJ_lbbbEUlllE1_EE10hipError_tPvRmT2_T3_mT4_P12ihipStream_tbEUlmE_lEESB_NS0_8identityIvEEEESO_SR_SS_mST_SV_bEUlT_E_NS1_11comp_targetILNS1_3genE0ELNS1_11target_archE4294967295ELNS1_3gpuE0ELNS1_3repE0EEENS1_30default_config_static_selectorELNS0_4arch9wavefront6targetE0EEEvT1_,"axG",@progbits,_ZN7rocprim17ROCPRIM_400000_NS6detail17trampoline_kernelINS0_14default_configENS1_25transform_config_selectorIlLb0EEEZNS1_14transform_implILb0ES3_S5_NS0_18transform_iteratorINS0_17counting_iteratorImlEEZNS1_24adjacent_difference_implIS3_Lb1ELb0EPlSB_ZN2at6native12_GLOBAL__N_124unique_dim_cuda_templateIN3c104HalfEEESt5tupleIJNSC_6TensorESJ_SJ_EERKSJ_lbbbEUlllE1_EE10hipError_tPvRmT2_T3_mT4_P12ihipStream_tbEUlmE_lEESB_NS0_8identityIvEEEESO_SR_SS_mST_SV_bEUlT_E_NS1_11comp_targetILNS1_3genE0ELNS1_11target_archE4294967295ELNS1_3gpuE0ELNS1_3repE0EEENS1_30default_config_static_selectorELNS0_4arch9wavefront6targetE0EEEvT1_,comdat
	.globl	_ZN7rocprim17ROCPRIM_400000_NS6detail17trampoline_kernelINS0_14default_configENS1_25transform_config_selectorIlLb0EEEZNS1_14transform_implILb0ES3_S5_NS0_18transform_iteratorINS0_17counting_iteratorImlEEZNS1_24adjacent_difference_implIS3_Lb1ELb0EPlSB_ZN2at6native12_GLOBAL__N_124unique_dim_cuda_templateIN3c104HalfEEESt5tupleIJNSC_6TensorESJ_SJ_EERKSJ_lbbbEUlllE1_EE10hipError_tPvRmT2_T3_mT4_P12ihipStream_tbEUlmE_lEESB_NS0_8identityIvEEEESO_SR_SS_mST_SV_bEUlT_E_NS1_11comp_targetILNS1_3genE0ELNS1_11target_archE4294967295ELNS1_3gpuE0ELNS1_3repE0EEENS1_30default_config_static_selectorELNS0_4arch9wavefront6targetE0EEEvT1_ ; -- Begin function _ZN7rocprim17ROCPRIM_400000_NS6detail17trampoline_kernelINS0_14default_configENS1_25transform_config_selectorIlLb0EEEZNS1_14transform_implILb0ES3_S5_NS0_18transform_iteratorINS0_17counting_iteratorImlEEZNS1_24adjacent_difference_implIS3_Lb1ELb0EPlSB_ZN2at6native12_GLOBAL__N_124unique_dim_cuda_templateIN3c104HalfEEESt5tupleIJNSC_6TensorESJ_SJ_EERKSJ_lbbbEUlllE1_EE10hipError_tPvRmT2_T3_mT4_P12ihipStream_tbEUlmE_lEESB_NS0_8identityIvEEEESO_SR_SS_mST_SV_bEUlT_E_NS1_11comp_targetILNS1_3genE0ELNS1_11target_archE4294967295ELNS1_3gpuE0ELNS1_3repE0EEENS1_30default_config_static_selectorELNS0_4arch9wavefront6targetE0EEEvT1_
	.p2align	8
	.type	_ZN7rocprim17ROCPRIM_400000_NS6detail17trampoline_kernelINS0_14default_configENS1_25transform_config_selectorIlLb0EEEZNS1_14transform_implILb0ES3_S5_NS0_18transform_iteratorINS0_17counting_iteratorImlEEZNS1_24adjacent_difference_implIS3_Lb1ELb0EPlSB_ZN2at6native12_GLOBAL__N_124unique_dim_cuda_templateIN3c104HalfEEESt5tupleIJNSC_6TensorESJ_SJ_EERKSJ_lbbbEUlllE1_EE10hipError_tPvRmT2_T3_mT4_P12ihipStream_tbEUlmE_lEESB_NS0_8identityIvEEEESO_SR_SS_mST_SV_bEUlT_E_NS1_11comp_targetILNS1_3genE0ELNS1_11target_archE4294967295ELNS1_3gpuE0ELNS1_3repE0EEENS1_30default_config_static_selectorELNS0_4arch9wavefront6targetE0EEEvT1_,@function
_ZN7rocprim17ROCPRIM_400000_NS6detail17trampoline_kernelINS0_14default_configENS1_25transform_config_selectorIlLb0EEEZNS1_14transform_implILb0ES3_S5_NS0_18transform_iteratorINS0_17counting_iteratorImlEEZNS1_24adjacent_difference_implIS3_Lb1ELb0EPlSB_ZN2at6native12_GLOBAL__N_124unique_dim_cuda_templateIN3c104HalfEEESt5tupleIJNSC_6TensorESJ_SJ_EERKSJ_lbbbEUlllE1_EE10hipError_tPvRmT2_T3_mT4_P12ihipStream_tbEUlmE_lEESB_NS0_8identityIvEEEESO_SR_SS_mST_SV_bEUlT_E_NS1_11comp_targetILNS1_3genE0ELNS1_11target_archE4294967295ELNS1_3gpuE0ELNS1_3repE0EEENS1_30default_config_static_selectorELNS0_4arch9wavefront6targetE0EEEvT1_: ; @_ZN7rocprim17ROCPRIM_400000_NS6detail17trampoline_kernelINS0_14default_configENS1_25transform_config_selectorIlLb0EEEZNS1_14transform_implILb0ES3_S5_NS0_18transform_iteratorINS0_17counting_iteratorImlEEZNS1_24adjacent_difference_implIS3_Lb1ELb0EPlSB_ZN2at6native12_GLOBAL__N_124unique_dim_cuda_templateIN3c104HalfEEESt5tupleIJNSC_6TensorESJ_SJ_EERKSJ_lbbbEUlllE1_EE10hipError_tPvRmT2_T3_mT4_P12ihipStream_tbEUlmE_lEESB_NS0_8identityIvEEEESO_SR_SS_mST_SV_bEUlT_E_NS1_11comp_targetILNS1_3genE0ELNS1_11target_archE4294967295ELNS1_3gpuE0ELNS1_3repE0EEENS1_30default_config_static_selectorELNS0_4arch9wavefront6targetE0EEEvT1_
; %bb.0:
	.section	.rodata,"a",@progbits
	.p2align	6, 0x0
	.amdhsa_kernel _ZN7rocprim17ROCPRIM_400000_NS6detail17trampoline_kernelINS0_14default_configENS1_25transform_config_selectorIlLb0EEEZNS1_14transform_implILb0ES3_S5_NS0_18transform_iteratorINS0_17counting_iteratorImlEEZNS1_24adjacent_difference_implIS3_Lb1ELb0EPlSB_ZN2at6native12_GLOBAL__N_124unique_dim_cuda_templateIN3c104HalfEEESt5tupleIJNSC_6TensorESJ_SJ_EERKSJ_lbbbEUlllE1_EE10hipError_tPvRmT2_T3_mT4_P12ihipStream_tbEUlmE_lEESB_NS0_8identityIvEEEESO_SR_SS_mST_SV_bEUlT_E_NS1_11comp_targetILNS1_3genE0ELNS1_11target_archE4294967295ELNS1_3gpuE0ELNS1_3repE0EEENS1_30default_config_static_selectorELNS0_4arch9wavefront6targetE0EEEvT1_
		.amdhsa_group_segment_fixed_size 0
		.amdhsa_private_segment_fixed_size 0
		.amdhsa_kernarg_size 56
		.amdhsa_user_sgpr_count 15
		.amdhsa_user_sgpr_dispatch_ptr 0
		.amdhsa_user_sgpr_queue_ptr 0
		.amdhsa_user_sgpr_kernarg_segment_ptr 1
		.amdhsa_user_sgpr_dispatch_id 0
		.amdhsa_user_sgpr_private_segment_size 0
		.amdhsa_wavefront_size32 1
		.amdhsa_uses_dynamic_stack 0
		.amdhsa_enable_private_segment 0
		.amdhsa_system_sgpr_workgroup_id_x 1
		.amdhsa_system_sgpr_workgroup_id_y 0
		.amdhsa_system_sgpr_workgroup_id_z 0
		.amdhsa_system_sgpr_workgroup_info 0
		.amdhsa_system_vgpr_workitem_id 0
		.amdhsa_next_free_vgpr 1
		.amdhsa_next_free_sgpr 1
		.amdhsa_reserve_vcc 0
		.amdhsa_float_round_mode_32 0
		.amdhsa_float_round_mode_16_64 0
		.amdhsa_float_denorm_mode_32 3
		.amdhsa_float_denorm_mode_16_64 3
		.amdhsa_dx10_clamp 1
		.amdhsa_ieee_mode 1
		.amdhsa_fp16_overflow 0
		.amdhsa_workgroup_processor_mode 1
		.amdhsa_memory_ordered 1
		.amdhsa_forward_progress 0
		.amdhsa_shared_vgpr_count 0
		.amdhsa_exception_fp_ieee_invalid_op 0
		.amdhsa_exception_fp_denorm_src 0
		.amdhsa_exception_fp_ieee_div_zero 0
		.amdhsa_exception_fp_ieee_overflow 0
		.amdhsa_exception_fp_ieee_underflow 0
		.amdhsa_exception_fp_ieee_inexact 0
		.amdhsa_exception_int_div_zero 0
	.end_amdhsa_kernel
	.section	.text._ZN7rocprim17ROCPRIM_400000_NS6detail17trampoline_kernelINS0_14default_configENS1_25transform_config_selectorIlLb0EEEZNS1_14transform_implILb0ES3_S5_NS0_18transform_iteratorINS0_17counting_iteratorImlEEZNS1_24adjacent_difference_implIS3_Lb1ELb0EPlSB_ZN2at6native12_GLOBAL__N_124unique_dim_cuda_templateIN3c104HalfEEESt5tupleIJNSC_6TensorESJ_SJ_EERKSJ_lbbbEUlllE1_EE10hipError_tPvRmT2_T3_mT4_P12ihipStream_tbEUlmE_lEESB_NS0_8identityIvEEEESO_SR_SS_mST_SV_bEUlT_E_NS1_11comp_targetILNS1_3genE0ELNS1_11target_archE4294967295ELNS1_3gpuE0ELNS1_3repE0EEENS1_30default_config_static_selectorELNS0_4arch9wavefront6targetE0EEEvT1_,"axG",@progbits,_ZN7rocprim17ROCPRIM_400000_NS6detail17trampoline_kernelINS0_14default_configENS1_25transform_config_selectorIlLb0EEEZNS1_14transform_implILb0ES3_S5_NS0_18transform_iteratorINS0_17counting_iteratorImlEEZNS1_24adjacent_difference_implIS3_Lb1ELb0EPlSB_ZN2at6native12_GLOBAL__N_124unique_dim_cuda_templateIN3c104HalfEEESt5tupleIJNSC_6TensorESJ_SJ_EERKSJ_lbbbEUlllE1_EE10hipError_tPvRmT2_T3_mT4_P12ihipStream_tbEUlmE_lEESB_NS0_8identityIvEEEESO_SR_SS_mST_SV_bEUlT_E_NS1_11comp_targetILNS1_3genE0ELNS1_11target_archE4294967295ELNS1_3gpuE0ELNS1_3repE0EEENS1_30default_config_static_selectorELNS0_4arch9wavefront6targetE0EEEvT1_,comdat
.Lfunc_end1278:
	.size	_ZN7rocprim17ROCPRIM_400000_NS6detail17trampoline_kernelINS0_14default_configENS1_25transform_config_selectorIlLb0EEEZNS1_14transform_implILb0ES3_S5_NS0_18transform_iteratorINS0_17counting_iteratorImlEEZNS1_24adjacent_difference_implIS3_Lb1ELb0EPlSB_ZN2at6native12_GLOBAL__N_124unique_dim_cuda_templateIN3c104HalfEEESt5tupleIJNSC_6TensorESJ_SJ_EERKSJ_lbbbEUlllE1_EE10hipError_tPvRmT2_T3_mT4_P12ihipStream_tbEUlmE_lEESB_NS0_8identityIvEEEESO_SR_SS_mST_SV_bEUlT_E_NS1_11comp_targetILNS1_3genE0ELNS1_11target_archE4294967295ELNS1_3gpuE0ELNS1_3repE0EEENS1_30default_config_static_selectorELNS0_4arch9wavefront6targetE0EEEvT1_, .Lfunc_end1278-_ZN7rocprim17ROCPRIM_400000_NS6detail17trampoline_kernelINS0_14default_configENS1_25transform_config_selectorIlLb0EEEZNS1_14transform_implILb0ES3_S5_NS0_18transform_iteratorINS0_17counting_iteratorImlEEZNS1_24adjacent_difference_implIS3_Lb1ELb0EPlSB_ZN2at6native12_GLOBAL__N_124unique_dim_cuda_templateIN3c104HalfEEESt5tupleIJNSC_6TensorESJ_SJ_EERKSJ_lbbbEUlllE1_EE10hipError_tPvRmT2_T3_mT4_P12ihipStream_tbEUlmE_lEESB_NS0_8identityIvEEEESO_SR_SS_mST_SV_bEUlT_E_NS1_11comp_targetILNS1_3genE0ELNS1_11target_archE4294967295ELNS1_3gpuE0ELNS1_3repE0EEENS1_30default_config_static_selectorELNS0_4arch9wavefront6targetE0EEEvT1_
                                        ; -- End function
	.section	.AMDGPU.csdata,"",@progbits
; Kernel info:
; codeLenInByte = 0
; NumSgprs: 0
; NumVgprs: 0
; ScratchSize: 0
; MemoryBound: 0
; FloatMode: 240
; IeeeMode: 1
; LDSByteSize: 0 bytes/workgroup (compile time only)
; SGPRBlocks: 0
; VGPRBlocks: 0
; NumSGPRsForWavesPerEU: 1
; NumVGPRsForWavesPerEU: 1
; Occupancy: 16
; WaveLimiterHint : 0
; COMPUTE_PGM_RSRC2:SCRATCH_EN: 0
; COMPUTE_PGM_RSRC2:USER_SGPR: 15
; COMPUTE_PGM_RSRC2:TRAP_HANDLER: 0
; COMPUTE_PGM_RSRC2:TGID_X_EN: 1
; COMPUTE_PGM_RSRC2:TGID_Y_EN: 0
; COMPUTE_PGM_RSRC2:TGID_Z_EN: 0
; COMPUTE_PGM_RSRC2:TIDIG_COMP_CNT: 0
	.section	.text._ZN7rocprim17ROCPRIM_400000_NS6detail17trampoline_kernelINS0_14default_configENS1_25transform_config_selectorIlLb0EEEZNS1_14transform_implILb0ES3_S5_NS0_18transform_iteratorINS0_17counting_iteratorImlEEZNS1_24adjacent_difference_implIS3_Lb1ELb0EPlSB_ZN2at6native12_GLOBAL__N_124unique_dim_cuda_templateIN3c104HalfEEESt5tupleIJNSC_6TensorESJ_SJ_EERKSJ_lbbbEUlllE1_EE10hipError_tPvRmT2_T3_mT4_P12ihipStream_tbEUlmE_lEESB_NS0_8identityIvEEEESO_SR_SS_mST_SV_bEUlT_E_NS1_11comp_targetILNS1_3genE5ELNS1_11target_archE942ELNS1_3gpuE9ELNS1_3repE0EEENS1_30default_config_static_selectorELNS0_4arch9wavefront6targetE0EEEvT1_,"axG",@progbits,_ZN7rocprim17ROCPRIM_400000_NS6detail17trampoline_kernelINS0_14default_configENS1_25transform_config_selectorIlLb0EEEZNS1_14transform_implILb0ES3_S5_NS0_18transform_iteratorINS0_17counting_iteratorImlEEZNS1_24adjacent_difference_implIS3_Lb1ELb0EPlSB_ZN2at6native12_GLOBAL__N_124unique_dim_cuda_templateIN3c104HalfEEESt5tupleIJNSC_6TensorESJ_SJ_EERKSJ_lbbbEUlllE1_EE10hipError_tPvRmT2_T3_mT4_P12ihipStream_tbEUlmE_lEESB_NS0_8identityIvEEEESO_SR_SS_mST_SV_bEUlT_E_NS1_11comp_targetILNS1_3genE5ELNS1_11target_archE942ELNS1_3gpuE9ELNS1_3repE0EEENS1_30default_config_static_selectorELNS0_4arch9wavefront6targetE0EEEvT1_,comdat
	.globl	_ZN7rocprim17ROCPRIM_400000_NS6detail17trampoline_kernelINS0_14default_configENS1_25transform_config_selectorIlLb0EEEZNS1_14transform_implILb0ES3_S5_NS0_18transform_iteratorINS0_17counting_iteratorImlEEZNS1_24adjacent_difference_implIS3_Lb1ELb0EPlSB_ZN2at6native12_GLOBAL__N_124unique_dim_cuda_templateIN3c104HalfEEESt5tupleIJNSC_6TensorESJ_SJ_EERKSJ_lbbbEUlllE1_EE10hipError_tPvRmT2_T3_mT4_P12ihipStream_tbEUlmE_lEESB_NS0_8identityIvEEEESO_SR_SS_mST_SV_bEUlT_E_NS1_11comp_targetILNS1_3genE5ELNS1_11target_archE942ELNS1_3gpuE9ELNS1_3repE0EEENS1_30default_config_static_selectorELNS0_4arch9wavefront6targetE0EEEvT1_ ; -- Begin function _ZN7rocprim17ROCPRIM_400000_NS6detail17trampoline_kernelINS0_14default_configENS1_25transform_config_selectorIlLb0EEEZNS1_14transform_implILb0ES3_S5_NS0_18transform_iteratorINS0_17counting_iteratorImlEEZNS1_24adjacent_difference_implIS3_Lb1ELb0EPlSB_ZN2at6native12_GLOBAL__N_124unique_dim_cuda_templateIN3c104HalfEEESt5tupleIJNSC_6TensorESJ_SJ_EERKSJ_lbbbEUlllE1_EE10hipError_tPvRmT2_T3_mT4_P12ihipStream_tbEUlmE_lEESB_NS0_8identityIvEEEESO_SR_SS_mST_SV_bEUlT_E_NS1_11comp_targetILNS1_3genE5ELNS1_11target_archE942ELNS1_3gpuE9ELNS1_3repE0EEENS1_30default_config_static_selectorELNS0_4arch9wavefront6targetE0EEEvT1_
	.p2align	8
	.type	_ZN7rocprim17ROCPRIM_400000_NS6detail17trampoline_kernelINS0_14default_configENS1_25transform_config_selectorIlLb0EEEZNS1_14transform_implILb0ES3_S5_NS0_18transform_iteratorINS0_17counting_iteratorImlEEZNS1_24adjacent_difference_implIS3_Lb1ELb0EPlSB_ZN2at6native12_GLOBAL__N_124unique_dim_cuda_templateIN3c104HalfEEESt5tupleIJNSC_6TensorESJ_SJ_EERKSJ_lbbbEUlllE1_EE10hipError_tPvRmT2_T3_mT4_P12ihipStream_tbEUlmE_lEESB_NS0_8identityIvEEEESO_SR_SS_mST_SV_bEUlT_E_NS1_11comp_targetILNS1_3genE5ELNS1_11target_archE942ELNS1_3gpuE9ELNS1_3repE0EEENS1_30default_config_static_selectorELNS0_4arch9wavefront6targetE0EEEvT1_,@function
_ZN7rocprim17ROCPRIM_400000_NS6detail17trampoline_kernelINS0_14default_configENS1_25transform_config_selectorIlLb0EEEZNS1_14transform_implILb0ES3_S5_NS0_18transform_iteratorINS0_17counting_iteratorImlEEZNS1_24adjacent_difference_implIS3_Lb1ELb0EPlSB_ZN2at6native12_GLOBAL__N_124unique_dim_cuda_templateIN3c104HalfEEESt5tupleIJNSC_6TensorESJ_SJ_EERKSJ_lbbbEUlllE1_EE10hipError_tPvRmT2_T3_mT4_P12ihipStream_tbEUlmE_lEESB_NS0_8identityIvEEEESO_SR_SS_mST_SV_bEUlT_E_NS1_11comp_targetILNS1_3genE5ELNS1_11target_archE942ELNS1_3gpuE9ELNS1_3repE0EEENS1_30default_config_static_selectorELNS0_4arch9wavefront6targetE0EEEvT1_: ; @_ZN7rocprim17ROCPRIM_400000_NS6detail17trampoline_kernelINS0_14default_configENS1_25transform_config_selectorIlLb0EEEZNS1_14transform_implILb0ES3_S5_NS0_18transform_iteratorINS0_17counting_iteratorImlEEZNS1_24adjacent_difference_implIS3_Lb1ELb0EPlSB_ZN2at6native12_GLOBAL__N_124unique_dim_cuda_templateIN3c104HalfEEESt5tupleIJNSC_6TensorESJ_SJ_EERKSJ_lbbbEUlllE1_EE10hipError_tPvRmT2_T3_mT4_P12ihipStream_tbEUlmE_lEESB_NS0_8identityIvEEEESO_SR_SS_mST_SV_bEUlT_E_NS1_11comp_targetILNS1_3genE5ELNS1_11target_archE942ELNS1_3gpuE9ELNS1_3repE0EEENS1_30default_config_static_selectorELNS0_4arch9wavefront6targetE0EEEvT1_
; %bb.0:
	.section	.rodata,"a",@progbits
	.p2align	6, 0x0
	.amdhsa_kernel _ZN7rocprim17ROCPRIM_400000_NS6detail17trampoline_kernelINS0_14default_configENS1_25transform_config_selectorIlLb0EEEZNS1_14transform_implILb0ES3_S5_NS0_18transform_iteratorINS0_17counting_iteratorImlEEZNS1_24adjacent_difference_implIS3_Lb1ELb0EPlSB_ZN2at6native12_GLOBAL__N_124unique_dim_cuda_templateIN3c104HalfEEESt5tupleIJNSC_6TensorESJ_SJ_EERKSJ_lbbbEUlllE1_EE10hipError_tPvRmT2_T3_mT4_P12ihipStream_tbEUlmE_lEESB_NS0_8identityIvEEEESO_SR_SS_mST_SV_bEUlT_E_NS1_11comp_targetILNS1_3genE5ELNS1_11target_archE942ELNS1_3gpuE9ELNS1_3repE0EEENS1_30default_config_static_selectorELNS0_4arch9wavefront6targetE0EEEvT1_
		.amdhsa_group_segment_fixed_size 0
		.amdhsa_private_segment_fixed_size 0
		.amdhsa_kernarg_size 56
		.amdhsa_user_sgpr_count 15
		.amdhsa_user_sgpr_dispatch_ptr 0
		.amdhsa_user_sgpr_queue_ptr 0
		.amdhsa_user_sgpr_kernarg_segment_ptr 1
		.amdhsa_user_sgpr_dispatch_id 0
		.amdhsa_user_sgpr_private_segment_size 0
		.amdhsa_wavefront_size32 1
		.amdhsa_uses_dynamic_stack 0
		.amdhsa_enable_private_segment 0
		.amdhsa_system_sgpr_workgroup_id_x 1
		.amdhsa_system_sgpr_workgroup_id_y 0
		.amdhsa_system_sgpr_workgroup_id_z 0
		.amdhsa_system_sgpr_workgroup_info 0
		.amdhsa_system_vgpr_workitem_id 0
		.amdhsa_next_free_vgpr 1
		.amdhsa_next_free_sgpr 1
		.amdhsa_reserve_vcc 0
		.amdhsa_float_round_mode_32 0
		.amdhsa_float_round_mode_16_64 0
		.amdhsa_float_denorm_mode_32 3
		.amdhsa_float_denorm_mode_16_64 3
		.amdhsa_dx10_clamp 1
		.amdhsa_ieee_mode 1
		.amdhsa_fp16_overflow 0
		.amdhsa_workgroup_processor_mode 1
		.amdhsa_memory_ordered 1
		.amdhsa_forward_progress 0
		.amdhsa_shared_vgpr_count 0
		.amdhsa_exception_fp_ieee_invalid_op 0
		.amdhsa_exception_fp_denorm_src 0
		.amdhsa_exception_fp_ieee_div_zero 0
		.amdhsa_exception_fp_ieee_overflow 0
		.amdhsa_exception_fp_ieee_underflow 0
		.amdhsa_exception_fp_ieee_inexact 0
		.amdhsa_exception_int_div_zero 0
	.end_amdhsa_kernel
	.section	.text._ZN7rocprim17ROCPRIM_400000_NS6detail17trampoline_kernelINS0_14default_configENS1_25transform_config_selectorIlLb0EEEZNS1_14transform_implILb0ES3_S5_NS0_18transform_iteratorINS0_17counting_iteratorImlEEZNS1_24adjacent_difference_implIS3_Lb1ELb0EPlSB_ZN2at6native12_GLOBAL__N_124unique_dim_cuda_templateIN3c104HalfEEESt5tupleIJNSC_6TensorESJ_SJ_EERKSJ_lbbbEUlllE1_EE10hipError_tPvRmT2_T3_mT4_P12ihipStream_tbEUlmE_lEESB_NS0_8identityIvEEEESO_SR_SS_mST_SV_bEUlT_E_NS1_11comp_targetILNS1_3genE5ELNS1_11target_archE942ELNS1_3gpuE9ELNS1_3repE0EEENS1_30default_config_static_selectorELNS0_4arch9wavefront6targetE0EEEvT1_,"axG",@progbits,_ZN7rocprim17ROCPRIM_400000_NS6detail17trampoline_kernelINS0_14default_configENS1_25transform_config_selectorIlLb0EEEZNS1_14transform_implILb0ES3_S5_NS0_18transform_iteratorINS0_17counting_iteratorImlEEZNS1_24adjacent_difference_implIS3_Lb1ELb0EPlSB_ZN2at6native12_GLOBAL__N_124unique_dim_cuda_templateIN3c104HalfEEESt5tupleIJNSC_6TensorESJ_SJ_EERKSJ_lbbbEUlllE1_EE10hipError_tPvRmT2_T3_mT4_P12ihipStream_tbEUlmE_lEESB_NS0_8identityIvEEEESO_SR_SS_mST_SV_bEUlT_E_NS1_11comp_targetILNS1_3genE5ELNS1_11target_archE942ELNS1_3gpuE9ELNS1_3repE0EEENS1_30default_config_static_selectorELNS0_4arch9wavefront6targetE0EEEvT1_,comdat
.Lfunc_end1279:
	.size	_ZN7rocprim17ROCPRIM_400000_NS6detail17trampoline_kernelINS0_14default_configENS1_25transform_config_selectorIlLb0EEEZNS1_14transform_implILb0ES3_S5_NS0_18transform_iteratorINS0_17counting_iteratorImlEEZNS1_24adjacent_difference_implIS3_Lb1ELb0EPlSB_ZN2at6native12_GLOBAL__N_124unique_dim_cuda_templateIN3c104HalfEEESt5tupleIJNSC_6TensorESJ_SJ_EERKSJ_lbbbEUlllE1_EE10hipError_tPvRmT2_T3_mT4_P12ihipStream_tbEUlmE_lEESB_NS0_8identityIvEEEESO_SR_SS_mST_SV_bEUlT_E_NS1_11comp_targetILNS1_3genE5ELNS1_11target_archE942ELNS1_3gpuE9ELNS1_3repE0EEENS1_30default_config_static_selectorELNS0_4arch9wavefront6targetE0EEEvT1_, .Lfunc_end1279-_ZN7rocprim17ROCPRIM_400000_NS6detail17trampoline_kernelINS0_14default_configENS1_25transform_config_selectorIlLb0EEEZNS1_14transform_implILb0ES3_S5_NS0_18transform_iteratorINS0_17counting_iteratorImlEEZNS1_24adjacent_difference_implIS3_Lb1ELb0EPlSB_ZN2at6native12_GLOBAL__N_124unique_dim_cuda_templateIN3c104HalfEEESt5tupleIJNSC_6TensorESJ_SJ_EERKSJ_lbbbEUlllE1_EE10hipError_tPvRmT2_T3_mT4_P12ihipStream_tbEUlmE_lEESB_NS0_8identityIvEEEESO_SR_SS_mST_SV_bEUlT_E_NS1_11comp_targetILNS1_3genE5ELNS1_11target_archE942ELNS1_3gpuE9ELNS1_3repE0EEENS1_30default_config_static_selectorELNS0_4arch9wavefront6targetE0EEEvT1_
                                        ; -- End function
	.section	.AMDGPU.csdata,"",@progbits
; Kernel info:
; codeLenInByte = 0
; NumSgprs: 0
; NumVgprs: 0
; ScratchSize: 0
; MemoryBound: 0
; FloatMode: 240
; IeeeMode: 1
; LDSByteSize: 0 bytes/workgroup (compile time only)
; SGPRBlocks: 0
; VGPRBlocks: 0
; NumSGPRsForWavesPerEU: 1
; NumVGPRsForWavesPerEU: 1
; Occupancy: 16
; WaveLimiterHint : 0
; COMPUTE_PGM_RSRC2:SCRATCH_EN: 0
; COMPUTE_PGM_RSRC2:USER_SGPR: 15
; COMPUTE_PGM_RSRC2:TRAP_HANDLER: 0
; COMPUTE_PGM_RSRC2:TGID_X_EN: 1
; COMPUTE_PGM_RSRC2:TGID_Y_EN: 0
; COMPUTE_PGM_RSRC2:TGID_Z_EN: 0
; COMPUTE_PGM_RSRC2:TIDIG_COMP_CNT: 0
	.section	.text._ZN7rocprim17ROCPRIM_400000_NS6detail17trampoline_kernelINS0_14default_configENS1_25transform_config_selectorIlLb0EEEZNS1_14transform_implILb0ES3_S5_NS0_18transform_iteratorINS0_17counting_iteratorImlEEZNS1_24adjacent_difference_implIS3_Lb1ELb0EPlSB_ZN2at6native12_GLOBAL__N_124unique_dim_cuda_templateIN3c104HalfEEESt5tupleIJNSC_6TensorESJ_SJ_EERKSJ_lbbbEUlllE1_EE10hipError_tPvRmT2_T3_mT4_P12ihipStream_tbEUlmE_lEESB_NS0_8identityIvEEEESO_SR_SS_mST_SV_bEUlT_E_NS1_11comp_targetILNS1_3genE4ELNS1_11target_archE910ELNS1_3gpuE8ELNS1_3repE0EEENS1_30default_config_static_selectorELNS0_4arch9wavefront6targetE0EEEvT1_,"axG",@progbits,_ZN7rocprim17ROCPRIM_400000_NS6detail17trampoline_kernelINS0_14default_configENS1_25transform_config_selectorIlLb0EEEZNS1_14transform_implILb0ES3_S5_NS0_18transform_iteratorINS0_17counting_iteratorImlEEZNS1_24adjacent_difference_implIS3_Lb1ELb0EPlSB_ZN2at6native12_GLOBAL__N_124unique_dim_cuda_templateIN3c104HalfEEESt5tupleIJNSC_6TensorESJ_SJ_EERKSJ_lbbbEUlllE1_EE10hipError_tPvRmT2_T3_mT4_P12ihipStream_tbEUlmE_lEESB_NS0_8identityIvEEEESO_SR_SS_mST_SV_bEUlT_E_NS1_11comp_targetILNS1_3genE4ELNS1_11target_archE910ELNS1_3gpuE8ELNS1_3repE0EEENS1_30default_config_static_selectorELNS0_4arch9wavefront6targetE0EEEvT1_,comdat
	.globl	_ZN7rocprim17ROCPRIM_400000_NS6detail17trampoline_kernelINS0_14default_configENS1_25transform_config_selectorIlLb0EEEZNS1_14transform_implILb0ES3_S5_NS0_18transform_iteratorINS0_17counting_iteratorImlEEZNS1_24adjacent_difference_implIS3_Lb1ELb0EPlSB_ZN2at6native12_GLOBAL__N_124unique_dim_cuda_templateIN3c104HalfEEESt5tupleIJNSC_6TensorESJ_SJ_EERKSJ_lbbbEUlllE1_EE10hipError_tPvRmT2_T3_mT4_P12ihipStream_tbEUlmE_lEESB_NS0_8identityIvEEEESO_SR_SS_mST_SV_bEUlT_E_NS1_11comp_targetILNS1_3genE4ELNS1_11target_archE910ELNS1_3gpuE8ELNS1_3repE0EEENS1_30default_config_static_selectorELNS0_4arch9wavefront6targetE0EEEvT1_ ; -- Begin function _ZN7rocprim17ROCPRIM_400000_NS6detail17trampoline_kernelINS0_14default_configENS1_25transform_config_selectorIlLb0EEEZNS1_14transform_implILb0ES3_S5_NS0_18transform_iteratorINS0_17counting_iteratorImlEEZNS1_24adjacent_difference_implIS3_Lb1ELb0EPlSB_ZN2at6native12_GLOBAL__N_124unique_dim_cuda_templateIN3c104HalfEEESt5tupleIJNSC_6TensorESJ_SJ_EERKSJ_lbbbEUlllE1_EE10hipError_tPvRmT2_T3_mT4_P12ihipStream_tbEUlmE_lEESB_NS0_8identityIvEEEESO_SR_SS_mST_SV_bEUlT_E_NS1_11comp_targetILNS1_3genE4ELNS1_11target_archE910ELNS1_3gpuE8ELNS1_3repE0EEENS1_30default_config_static_selectorELNS0_4arch9wavefront6targetE0EEEvT1_
	.p2align	8
	.type	_ZN7rocprim17ROCPRIM_400000_NS6detail17trampoline_kernelINS0_14default_configENS1_25transform_config_selectorIlLb0EEEZNS1_14transform_implILb0ES3_S5_NS0_18transform_iteratorINS0_17counting_iteratorImlEEZNS1_24adjacent_difference_implIS3_Lb1ELb0EPlSB_ZN2at6native12_GLOBAL__N_124unique_dim_cuda_templateIN3c104HalfEEESt5tupleIJNSC_6TensorESJ_SJ_EERKSJ_lbbbEUlllE1_EE10hipError_tPvRmT2_T3_mT4_P12ihipStream_tbEUlmE_lEESB_NS0_8identityIvEEEESO_SR_SS_mST_SV_bEUlT_E_NS1_11comp_targetILNS1_3genE4ELNS1_11target_archE910ELNS1_3gpuE8ELNS1_3repE0EEENS1_30default_config_static_selectorELNS0_4arch9wavefront6targetE0EEEvT1_,@function
_ZN7rocprim17ROCPRIM_400000_NS6detail17trampoline_kernelINS0_14default_configENS1_25transform_config_selectorIlLb0EEEZNS1_14transform_implILb0ES3_S5_NS0_18transform_iteratorINS0_17counting_iteratorImlEEZNS1_24adjacent_difference_implIS3_Lb1ELb0EPlSB_ZN2at6native12_GLOBAL__N_124unique_dim_cuda_templateIN3c104HalfEEESt5tupleIJNSC_6TensorESJ_SJ_EERKSJ_lbbbEUlllE1_EE10hipError_tPvRmT2_T3_mT4_P12ihipStream_tbEUlmE_lEESB_NS0_8identityIvEEEESO_SR_SS_mST_SV_bEUlT_E_NS1_11comp_targetILNS1_3genE4ELNS1_11target_archE910ELNS1_3gpuE8ELNS1_3repE0EEENS1_30default_config_static_selectorELNS0_4arch9wavefront6targetE0EEEvT1_: ; @_ZN7rocprim17ROCPRIM_400000_NS6detail17trampoline_kernelINS0_14default_configENS1_25transform_config_selectorIlLb0EEEZNS1_14transform_implILb0ES3_S5_NS0_18transform_iteratorINS0_17counting_iteratorImlEEZNS1_24adjacent_difference_implIS3_Lb1ELb0EPlSB_ZN2at6native12_GLOBAL__N_124unique_dim_cuda_templateIN3c104HalfEEESt5tupleIJNSC_6TensorESJ_SJ_EERKSJ_lbbbEUlllE1_EE10hipError_tPvRmT2_T3_mT4_P12ihipStream_tbEUlmE_lEESB_NS0_8identityIvEEEESO_SR_SS_mST_SV_bEUlT_E_NS1_11comp_targetILNS1_3genE4ELNS1_11target_archE910ELNS1_3gpuE8ELNS1_3repE0EEENS1_30default_config_static_selectorELNS0_4arch9wavefront6targetE0EEEvT1_
; %bb.0:
	.section	.rodata,"a",@progbits
	.p2align	6, 0x0
	.amdhsa_kernel _ZN7rocprim17ROCPRIM_400000_NS6detail17trampoline_kernelINS0_14default_configENS1_25transform_config_selectorIlLb0EEEZNS1_14transform_implILb0ES3_S5_NS0_18transform_iteratorINS0_17counting_iteratorImlEEZNS1_24adjacent_difference_implIS3_Lb1ELb0EPlSB_ZN2at6native12_GLOBAL__N_124unique_dim_cuda_templateIN3c104HalfEEESt5tupleIJNSC_6TensorESJ_SJ_EERKSJ_lbbbEUlllE1_EE10hipError_tPvRmT2_T3_mT4_P12ihipStream_tbEUlmE_lEESB_NS0_8identityIvEEEESO_SR_SS_mST_SV_bEUlT_E_NS1_11comp_targetILNS1_3genE4ELNS1_11target_archE910ELNS1_3gpuE8ELNS1_3repE0EEENS1_30default_config_static_selectorELNS0_4arch9wavefront6targetE0EEEvT1_
		.amdhsa_group_segment_fixed_size 0
		.amdhsa_private_segment_fixed_size 0
		.amdhsa_kernarg_size 56
		.amdhsa_user_sgpr_count 15
		.amdhsa_user_sgpr_dispatch_ptr 0
		.amdhsa_user_sgpr_queue_ptr 0
		.amdhsa_user_sgpr_kernarg_segment_ptr 1
		.amdhsa_user_sgpr_dispatch_id 0
		.amdhsa_user_sgpr_private_segment_size 0
		.amdhsa_wavefront_size32 1
		.amdhsa_uses_dynamic_stack 0
		.amdhsa_enable_private_segment 0
		.amdhsa_system_sgpr_workgroup_id_x 1
		.amdhsa_system_sgpr_workgroup_id_y 0
		.amdhsa_system_sgpr_workgroup_id_z 0
		.amdhsa_system_sgpr_workgroup_info 0
		.amdhsa_system_vgpr_workitem_id 0
		.amdhsa_next_free_vgpr 1
		.amdhsa_next_free_sgpr 1
		.amdhsa_reserve_vcc 0
		.amdhsa_float_round_mode_32 0
		.amdhsa_float_round_mode_16_64 0
		.amdhsa_float_denorm_mode_32 3
		.amdhsa_float_denorm_mode_16_64 3
		.amdhsa_dx10_clamp 1
		.amdhsa_ieee_mode 1
		.amdhsa_fp16_overflow 0
		.amdhsa_workgroup_processor_mode 1
		.amdhsa_memory_ordered 1
		.amdhsa_forward_progress 0
		.amdhsa_shared_vgpr_count 0
		.amdhsa_exception_fp_ieee_invalid_op 0
		.amdhsa_exception_fp_denorm_src 0
		.amdhsa_exception_fp_ieee_div_zero 0
		.amdhsa_exception_fp_ieee_overflow 0
		.amdhsa_exception_fp_ieee_underflow 0
		.amdhsa_exception_fp_ieee_inexact 0
		.amdhsa_exception_int_div_zero 0
	.end_amdhsa_kernel
	.section	.text._ZN7rocprim17ROCPRIM_400000_NS6detail17trampoline_kernelINS0_14default_configENS1_25transform_config_selectorIlLb0EEEZNS1_14transform_implILb0ES3_S5_NS0_18transform_iteratorINS0_17counting_iteratorImlEEZNS1_24adjacent_difference_implIS3_Lb1ELb0EPlSB_ZN2at6native12_GLOBAL__N_124unique_dim_cuda_templateIN3c104HalfEEESt5tupleIJNSC_6TensorESJ_SJ_EERKSJ_lbbbEUlllE1_EE10hipError_tPvRmT2_T3_mT4_P12ihipStream_tbEUlmE_lEESB_NS0_8identityIvEEEESO_SR_SS_mST_SV_bEUlT_E_NS1_11comp_targetILNS1_3genE4ELNS1_11target_archE910ELNS1_3gpuE8ELNS1_3repE0EEENS1_30default_config_static_selectorELNS0_4arch9wavefront6targetE0EEEvT1_,"axG",@progbits,_ZN7rocprim17ROCPRIM_400000_NS6detail17trampoline_kernelINS0_14default_configENS1_25transform_config_selectorIlLb0EEEZNS1_14transform_implILb0ES3_S5_NS0_18transform_iteratorINS0_17counting_iteratorImlEEZNS1_24adjacent_difference_implIS3_Lb1ELb0EPlSB_ZN2at6native12_GLOBAL__N_124unique_dim_cuda_templateIN3c104HalfEEESt5tupleIJNSC_6TensorESJ_SJ_EERKSJ_lbbbEUlllE1_EE10hipError_tPvRmT2_T3_mT4_P12ihipStream_tbEUlmE_lEESB_NS0_8identityIvEEEESO_SR_SS_mST_SV_bEUlT_E_NS1_11comp_targetILNS1_3genE4ELNS1_11target_archE910ELNS1_3gpuE8ELNS1_3repE0EEENS1_30default_config_static_selectorELNS0_4arch9wavefront6targetE0EEEvT1_,comdat
.Lfunc_end1280:
	.size	_ZN7rocprim17ROCPRIM_400000_NS6detail17trampoline_kernelINS0_14default_configENS1_25transform_config_selectorIlLb0EEEZNS1_14transform_implILb0ES3_S5_NS0_18transform_iteratorINS0_17counting_iteratorImlEEZNS1_24adjacent_difference_implIS3_Lb1ELb0EPlSB_ZN2at6native12_GLOBAL__N_124unique_dim_cuda_templateIN3c104HalfEEESt5tupleIJNSC_6TensorESJ_SJ_EERKSJ_lbbbEUlllE1_EE10hipError_tPvRmT2_T3_mT4_P12ihipStream_tbEUlmE_lEESB_NS0_8identityIvEEEESO_SR_SS_mST_SV_bEUlT_E_NS1_11comp_targetILNS1_3genE4ELNS1_11target_archE910ELNS1_3gpuE8ELNS1_3repE0EEENS1_30default_config_static_selectorELNS0_4arch9wavefront6targetE0EEEvT1_, .Lfunc_end1280-_ZN7rocprim17ROCPRIM_400000_NS6detail17trampoline_kernelINS0_14default_configENS1_25transform_config_selectorIlLb0EEEZNS1_14transform_implILb0ES3_S5_NS0_18transform_iteratorINS0_17counting_iteratorImlEEZNS1_24adjacent_difference_implIS3_Lb1ELb0EPlSB_ZN2at6native12_GLOBAL__N_124unique_dim_cuda_templateIN3c104HalfEEESt5tupleIJNSC_6TensorESJ_SJ_EERKSJ_lbbbEUlllE1_EE10hipError_tPvRmT2_T3_mT4_P12ihipStream_tbEUlmE_lEESB_NS0_8identityIvEEEESO_SR_SS_mST_SV_bEUlT_E_NS1_11comp_targetILNS1_3genE4ELNS1_11target_archE910ELNS1_3gpuE8ELNS1_3repE0EEENS1_30default_config_static_selectorELNS0_4arch9wavefront6targetE0EEEvT1_
                                        ; -- End function
	.section	.AMDGPU.csdata,"",@progbits
; Kernel info:
; codeLenInByte = 0
; NumSgprs: 0
; NumVgprs: 0
; ScratchSize: 0
; MemoryBound: 0
; FloatMode: 240
; IeeeMode: 1
; LDSByteSize: 0 bytes/workgroup (compile time only)
; SGPRBlocks: 0
; VGPRBlocks: 0
; NumSGPRsForWavesPerEU: 1
; NumVGPRsForWavesPerEU: 1
; Occupancy: 16
; WaveLimiterHint : 0
; COMPUTE_PGM_RSRC2:SCRATCH_EN: 0
; COMPUTE_PGM_RSRC2:USER_SGPR: 15
; COMPUTE_PGM_RSRC2:TRAP_HANDLER: 0
; COMPUTE_PGM_RSRC2:TGID_X_EN: 1
; COMPUTE_PGM_RSRC2:TGID_Y_EN: 0
; COMPUTE_PGM_RSRC2:TGID_Z_EN: 0
; COMPUTE_PGM_RSRC2:TIDIG_COMP_CNT: 0
	.section	.text._ZN7rocprim17ROCPRIM_400000_NS6detail17trampoline_kernelINS0_14default_configENS1_25transform_config_selectorIlLb0EEEZNS1_14transform_implILb0ES3_S5_NS0_18transform_iteratorINS0_17counting_iteratorImlEEZNS1_24adjacent_difference_implIS3_Lb1ELb0EPlSB_ZN2at6native12_GLOBAL__N_124unique_dim_cuda_templateIN3c104HalfEEESt5tupleIJNSC_6TensorESJ_SJ_EERKSJ_lbbbEUlllE1_EE10hipError_tPvRmT2_T3_mT4_P12ihipStream_tbEUlmE_lEESB_NS0_8identityIvEEEESO_SR_SS_mST_SV_bEUlT_E_NS1_11comp_targetILNS1_3genE3ELNS1_11target_archE908ELNS1_3gpuE7ELNS1_3repE0EEENS1_30default_config_static_selectorELNS0_4arch9wavefront6targetE0EEEvT1_,"axG",@progbits,_ZN7rocprim17ROCPRIM_400000_NS6detail17trampoline_kernelINS0_14default_configENS1_25transform_config_selectorIlLb0EEEZNS1_14transform_implILb0ES3_S5_NS0_18transform_iteratorINS0_17counting_iteratorImlEEZNS1_24adjacent_difference_implIS3_Lb1ELb0EPlSB_ZN2at6native12_GLOBAL__N_124unique_dim_cuda_templateIN3c104HalfEEESt5tupleIJNSC_6TensorESJ_SJ_EERKSJ_lbbbEUlllE1_EE10hipError_tPvRmT2_T3_mT4_P12ihipStream_tbEUlmE_lEESB_NS0_8identityIvEEEESO_SR_SS_mST_SV_bEUlT_E_NS1_11comp_targetILNS1_3genE3ELNS1_11target_archE908ELNS1_3gpuE7ELNS1_3repE0EEENS1_30default_config_static_selectorELNS0_4arch9wavefront6targetE0EEEvT1_,comdat
	.globl	_ZN7rocprim17ROCPRIM_400000_NS6detail17trampoline_kernelINS0_14default_configENS1_25transform_config_selectorIlLb0EEEZNS1_14transform_implILb0ES3_S5_NS0_18transform_iteratorINS0_17counting_iteratorImlEEZNS1_24adjacent_difference_implIS3_Lb1ELb0EPlSB_ZN2at6native12_GLOBAL__N_124unique_dim_cuda_templateIN3c104HalfEEESt5tupleIJNSC_6TensorESJ_SJ_EERKSJ_lbbbEUlllE1_EE10hipError_tPvRmT2_T3_mT4_P12ihipStream_tbEUlmE_lEESB_NS0_8identityIvEEEESO_SR_SS_mST_SV_bEUlT_E_NS1_11comp_targetILNS1_3genE3ELNS1_11target_archE908ELNS1_3gpuE7ELNS1_3repE0EEENS1_30default_config_static_selectorELNS0_4arch9wavefront6targetE0EEEvT1_ ; -- Begin function _ZN7rocprim17ROCPRIM_400000_NS6detail17trampoline_kernelINS0_14default_configENS1_25transform_config_selectorIlLb0EEEZNS1_14transform_implILb0ES3_S5_NS0_18transform_iteratorINS0_17counting_iteratorImlEEZNS1_24adjacent_difference_implIS3_Lb1ELb0EPlSB_ZN2at6native12_GLOBAL__N_124unique_dim_cuda_templateIN3c104HalfEEESt5tupleIJNSC_6TensorESJ_SJ_EERKSJ_lbbbEUlllE1_EE10hipError_tPvRmT2_T3_mT4_P12ihipStream_tbEUlmE_lEESB_NS0_8identityIvEEEESO_SR_SS_mST_SV_bEUlT_E_NS1_11comp_targetILNS1_3genE3ELNS1_11target_archE908ELNS1_3gpuE7ELNS1_3repE0EEENS1_30default_config_static_selectorELNS0_4arch9wavefront6targetE0EEEvT1_
	.p2align	8
	.type	_ZN7rocprim17ROCPRIM_400000_NS6detail17trampoline_kernelINS0_14default_configENS1_25transform_config_selectorIlLb0EEEZNS1_14transform_implILb0ES3_S5_NS0_18transform_iteratorINS0_17counting_iteratorImlEEZNS1_24adjacent_difference_implIS3_Lb1ELb0EPlSB_ZN2at6native12_GLOBAL__N_124unique_dim_cuda_templateIN3c104HalfEEESt5tupleIJNSC_6TensorESJ_SJ_EERKSJ_lbbbEUlllE1_EE10hipError_tPvRmT2_T3_mT4_P12ihipStream_tbEUlmE_lEESB_NS0_8identityIvEEEESO_SR_SS_mST_SV_bEUlT_E_NS1_11comp_targetILNS1_3genE3ELNS1_11target_archE908ELNS1_3gpuE7ELNS1_3repE0EEENS1_30default_config_static_selectorELNS0_4arch9wavefront6targetE0EEEvT1_,@function
_ZN7rocprim17ROCPRIM_400000_NS6detail17trampoline_kernelINS0_14default_configENS1_25transform_config_selectorIlLb0EEEZNS1_14transform_implILb0ES3_S5_NS0_18transform_iteratorINS0_17counting_iteratorImlEEZNS1_24adjacent_difference_implIS3_Lb1ELb0EPlSB_ZN2at6native12_GLOBAL__N_124unique_dim_cuda_templateIN3c104HalfEEESt5tupleIJNSC_6TensorESJ_SJ_EERKSJ_lbbbEUlllE1_EE10hipError_tPvRmT2_T3_mT4_P12ihipStream_tbEUlmE_lEESB_NS0_8identityIvEEEESO_SR_SS_mST_SV_bEUlT_E_NS1_11comp_targetILNS1_3genE3ELNS1_11target_archE908ELNS1_3gpuE7ELNS1_3repE0EEENS1_30default_config_static_selectorELNS0_4arch9wavefront6targetE0EEEvT1_: ; @_ZN7rocprim17ROCPRIM_400000_NS6detail17trampoline_kernelINS0_14default_configENS1_25transform_config_selectorIlLb0EEEZNS1_14transform_implILb0ES3_S5_NS0_18transform_iteratorINS0_17counting_iteratorImlEEZNS1_24adjacent_difference_implIS3_Lb1ELb0EPlSB_ZN2at6native12_GLOBAL__N_124unique_dim_cuda_templateIN3c104HalfEEESt5tupleIJNSC_6TensorESJ_SJ_EERKSJ_lbbbEUlllE1_EE10hipError_tPvRmT2_T3_mT4_P12ihipStream_tbEUlmE_lEESB_NS0_8identityIvEEEESO_SR_SS_mST_SV_bEUlT_E_NS1_11comp_targetILNS1_3genE3ELNS1_11target_archE908ELNS1_3gpuE7ELNS1_3repE0EEENS1_30default_config_static_selectorELNS0_4arch9wavefront6targetE0EEEvT1_
; %bb.0:
	.section	.rodata,"a",@progbits
	.p2align	6, 0x0
	.amdhsa_kernel _ZN7rocprim17ROCPRIM_400000_NS6detail17trampoline_kernelINS0_14default_configENS1_25transform_config_selectorIlLb0EEEZNS1_14transform_implILb0ES3_S5_NS0_18transform_iteratorINS0_17counting_iteratorImlEEZNS1_24adjacent_difference_implIS3_Lb1ELb0EPlSB_ZN2at6native12_GLOBAL__N_124unique_dim_cuda_templateIN3c104HalfEEESt5tupleIJNSC_6TensorESJ_SJ_EERKSJ_lbbbEUlllE1_EE10hipError_tPvRmT2_T3_mT4_P12ihipStream_tbEUlmE_lEESB_NS0_8identityIvEEEESO_SR_SS_mST_SV_bEUlT_E_NS1_11comp_targetILNS1_3genE3ELNS1_11target_archE908ELNS1_3gpuE7ELNS1_3repE0EEENS1_30default_config_static_selectorELNS0_4arch9wavefront6targetE0EEEvT1_
		.amdhsa_group_segment_fixed_size 0
		.amdhsa_private_segment_fixed_size 0
		.amdhsa_kernarg_size 56
		.amdhsa_user_sgpr_count 15
		.amdhsa_user_sgpr_dispatch_ptr 0
		.amdhsa_user_sgpr_queue_ptr 0
		.amdhsa_user_sgpr_kernarg_segment_ptr 1
		.amdhsa_user_sgpr_dispatch_id 0
		.amdhsa_user_sgpr_private_segment_size 0
		.amdhsa_wavefront_size32 1
		.amdhsa_uses_dynamic_stack 0
		.amdhsa_enable_private_segment 0
		.amdhsa_system_sgpr_workgroup_id_x 1
		.amdhsa_system_sgpr_workgroup_id_y 0
		.amdhsa_system_sgpr_workgroup_id_z 0
		.amdhsa_system_sgpr_workgroup_info 0
		.amdhsa_system_vgpr_workitem_id 0
		.amdhsa_next_free_vgpr 1
		.amdhsa_next_free_sgpr 1
		.amdhsa_reserve_vcc 0
		.amdhsa_float_round_mode_32 0
		.amdhsa_float_round_mode_16_64 0
		.amdhsa_float_denorm_mode_32 3
		.amdhsa_float_denorm_mode_16_64 3
		.amdhsa_dx10_clamp 1
		.amdhsa_ieee_mode 1
		.amdhsa_fp16_overflow 0
		.amdhsa_workgroup_processor_mode 1
		.amdhsa_memory_ordered 1
		.amdhsa_forward_progress 0
		.amdhsa_shared_vgpr_count 0
		.amdhsa_exception_fp_ieee_invalid_op 0
		.amdhsa_exception_fp_denorm_src 0
		.amdhsa_exception_fp_ieee_div_zero 0
		.amdhsa_exception_fp_ieee_overflow 0
		.amdhsa_exception_fp_ieee_underflow 0
		.amdhsa_exception_fp_ieee_inexact 0
		.amdhsa_exception_int_div_zero 0
	.end_amdhsa_kernel
	.section	.text._ZN7rocprim17ROCPRIM_400000_NS6detail17trampoline_kernelINS0_14default_configENS1_25transform_config_selectorIlLb0EEEZNS1_14transform_implILb0ES3_S5_NS0_18transform_iteratorINS0_17counting_iteratorImlEEZNS1_24adjacent_difference_implIS3_Lb1ELb0EPlSB_ZN2at6native12_GLOBAL__N_124unique_dim_cuda_templateIN3c104HalfEEESt5tupleIJNSC_6TensorESJ_SJ_EERKSJ_lbbbEUlllE1_EE10hipError_tPvRmT2_T3_mT4_P12ihipStream_tbEUlmE_lEESB_NS0_8identityIvEEEESO_SR_SS_mST_SV_bEUlT_E_NS1_11comp_targetILNS1_3genE3ELNS1_11target_archE908ELNS1_3gpuE7ELNS1_3repE0EEENS1_30default_config_static_selectorELNS0_4arch9wavefront6targetE0EEEvT1_,"axG",@progbits,_ZN7rocprim17ROCPRIM_400000_NS6detail17trampoline_kernelINS0_14default_configENS1_25transform_config_selectorIlLb0EEEZNS1_14transform_implILb0ES3_S5_NS0_18transform_iteratorINS0_17counting_iteratorImlEEZNS1_24adjacent_difference_implIS3_Lb1ELb0EPlSB_ZN2at6native12_GLOBAL__N_124unique_dim_cuda_templateIN3c104HalfEEESt5tupleIJNSC_6TensorESJ_SJ_EERKSJ_lbbbEUlllE1_EE10hipError_tPvRmT2_T3_mT4_P12ihipStream_tbEUlmE_lEESB_NS0_8identityIvEEEESO_SR_SS_mST_SV_bEUlT_E_NS1_11comp_targetILNS1_3genE3ELNS1_11target_archE908ELNS1_3gpuE7ELNS1_3repE0EEENS1_30default_config_static_selectorELNS0_4arch9wavefront6targetE0EEEvT1_,comdat
.Lfunc_end1281:
	.size	_ZN7rocprim17ROCPRIM_400000_NS6detail17trampoline_kernelINS0_14default_configENS1_25transform_config_selectorIlLb0EEEZNS1_14transform_implILb0ES3_S5_NS0_18transform_iteratorINS0_17counting_iteratorImlEEZNS1_24adjacent_difference_implIS3_Lb1ELb0EPlSB_ZN2at6native12_GLOBAL__N_124unique_dim_cuda_templateIN3c104HalfEEESt5tupleIJNSC_6TensorESJ_SJ_EERKSJ_lbbbEUlllE1_EE10hipError_tPvRmT2_T3_mT4_P12ihipStream_tbEUlmE_lEESB_NS0_8identityIvEEEESO_SR_SS_mST_SV_bEUlT_E_NS1_11comp_targetILNS1_3genE3ELNS1_11target_archE908ELNS1_3gpuE7ELNS1_3repE0EEENS1_30default_config_static_selectorELNS0_4arch9wavefront6targetE0EEEvT1_, .Lfunc_end1281-_ZN7rocprim17ROCPRIM_400000_NS6detail17trampoline_kernelINS0_14default_configENS1_25transform_config_selectorIlLb0EEEZNS1_14transform_implILb0ES3_S5_NS0_18transform_iteratorINS0_17counting_iteratorImlEEZNS1_24adjacent_difference_implIS3_Lb1ELb0EPlSB_ZN2at6native12_GLOBAL__N_124unique_dim_cuda_templateIN3c104HalfEEESt5tupleIJNSC_6TensorESJ_SJ_EERKSJ_lbbbEUlllE1_EE10hipError_tPvRmT2_T3_mT4_P12ihipStream_tbEUlmE_lEESB_NS0_8identityIvEEEESO_SR_SS_mST_SV_bEUlT_E_NS1_11comp_targetILNS1_3genE3ELNS1_11target_archE908ELNS1_3gpuE7ELNS1_3repE0EEENS1_30default_config_static_selectorELNS0_4arch9wavefront6targetE0EEEvT1_
                                        ; -- End function
	.section	.AMDGPU.csdata,"",@progbits
; Kernel info:
; codeLenInByte = 0
; NumSgprs: 0
; NumVgprs: 0
; ScratchSize: 0
; MemoryBound: 0
; FloatMode: 240
; IeeeMode: 1
; LDSByteSize: 0 bytes/workgroup (compile time only)
; SGPRBlocks: 0
; VGPRBlocks: 0
; NumSGPRsForWavesPerEU: 1
; NumVGPRsForWavesPerEU: 1
; Occupancy: 16
; WaveLimiterHint : 0
; COMPUTE_PGM_RSRC2:SCRATCH_EN: 0
; COMPUTE_PGM_RSRC2:USER_SGPR: 15
; COMPUTE_PGM_RSRC2:TRAP_HANDLER: 0
; COMPUTE_PGM_RSRC2:TGID_X_EN: 1
; COMPUTE_PGM_RSRC2:TGID_Y_EN: 0
; COMPUTE_PGM_RSRC2:TGID_Z_EN: 0
; COMPUTE_PGM_RSRC2:TIDIG_COMP_CNT: 0
	.section	.text._ZN7rocprim17ROCPRIM_400000_NS6detail17trampoline_kernelINS0_14default_configENS1_25transform_config_selectorIlLb0EEEZNS1_14transform_implILb0ES3_S5_NS0_18transform_iteratorINS0_17counting_iteratorImlEEZNS1_24adjacent_difference_implIS3_Lb1ELb0EPlSB_ZN2at6native12_GLOBAL__N_124unique_dim_cuda_templateIN3c104HalfEEESt5tupleIJNSC_6TensorESJ_SJ_EERKSJ_lbbbEUlllE1_EE10hipError_tPvRmT2_T3_mT4_P12ihipStream_tbEUlmE_lEESB_NS0_8identityIvEEEESO_SR_SS_mST_SV_bEUlT_E_NS1_11comp_targetILNS1_3genE2ELNS1_11target_archE906ELNS1_3gpuE6ELNS1_3repE0EEENS1_30default_config_static_selectorELNS0_4arch9wavefront6targetE0EEEvT1_,"axG",@progbits,_ZN7rocprim17ROCPRIM_400000_NS6detail17trampoline_kernelINS0_14default_configENS1_25transform_config_selectorIlLb0EEEZNS1_14transform_implILb0ES3_S5_NS0_18transform_iteratorINS0_17counting_iteratorImlEEZNS1_24adjacent_difference_implIS3_Lb1ELb0EPlSB_ZN2at6native12_GLOBAL__N_124unique_dim_cuda_templateIN3c104HalfEEESt5tupleIJNSC_6TensorESJ_SJ_EERKSJ_lbbbEUlllE1_EE10hipError_tPvRmT2_T3_mT4_P12ihipStream_tbEUlmE_lEESB_NS0_8identityIvEEEESO_SR_SS_mST_SV_bEUlT_E_NS1_11comp_targetILNS1_3genE2ELNS1_11target_archE906ELNS1_3gpuE6ELNS1_3repE0EEENS1_30default_config_static_selectorELNS0_4arch9wavefront6targetE0EEEvT1_,comdat
	.globl	_ZN7rocprim17ROCPRIM_400000_NS6detail17trampoline_kernelINS0_14default_configENS1_25transform_config_selectorIlLb0EEEZNS1_14transform_implILb0ES3_S5_NS0_18transform_iteratorINS0_17counting_iteratorImlEEZNS1_24adjacent_difference_implIS3_Lb1ELb0EPlSB_ZN2at6native12_GLOBAL__N_124unique_dim_cuda_templateIN3c104HalfEEESt5tupleIJNSC_6TensorESJ_SJ_EERKSJ_lbbbEUlllE1_EE10hipError_tPvRmT2_T3_mT4_P12ihipStream_tbEUlmE_lEESB_NS0_8identityIvEEEESO_SR_SS_mST_SV_bEUlT_E_NS1_11comp_targetILNS1_3genE2ELNS1_11target_archE906ELNS1_3gpuE6ELNS1_3repE0EEENS1_30default_config_static_selectorELNS0_4arch9wavefront6targetE0EEEvT1_ ; -- Begin function _ZN7rocprim17ROCPRIM_400000_NS6detail17trampoline_kernelINS0_14default_configENS1_25transform_config_selectorIlLb0EEEZNS1_14transform_implILb0ES3_S5_NS0_18transform_iteratorINS0_17counting_iteratorImlEEZNS1_24adjacent_difference_implIS3_Lb1ELb0EPlSB_ZN2at6native12_GLOBAL__N_124unique_dim_cuda_templateIN3c104HalfEEESt5tupleIJNSC_6TensorESJ_SJ_EERKSJ_lbbbEUlllE1_EE10hipError_tPvRmT2_T3_mT4_P12ihipStream_tbEUlmE_lEESB_NS0_8identityIvEEEESO_SR_SS_mST_SV_bEUlT_E_NS1_11comp_targetILNS1_3genE2ELNS1_11target_archE906ELNS1_3gpuE6ELNS1_3repE0EEENS1_30default_config_static_selectorELNS0_4arch9wavefront6targetE0EEEvT1_
	.p2align	8
	.type	_ZN7rocprim17ROCPRIM_400000_NS6detail17trampoline_kernelINS0_14default_configENS1_25transform_config_selectorIlLb0EEEZNS1_14transform_implILb0ES3_S5_NS0_18transform_iteratorINS0_17counting_iteratorImlEEZNS1_24adjacent_difference_implIS3_Lb1ELb0EPlSB_ZN2at6native12_GLOBAL__N_124unique_dim_cuda_templateIN3c104HalfEEESt5tupleIJNSC_6TensorESJ_SJ_EERKSJ_lbbbEUlllE1_EE10hipError_tPvRmT2_T3_mT4_P12ihipStream_tbEUlmE_lEESB_NS0_8identityIvEEEESO_SR_SS_mST_SV_bEUlT_E_NS1_11comp_targetILNS1_3genE2ELNS1_11target_archE906ELNS1_3gpuE6ELNS1_3repE0EEENS1_30default_config_static_selectorELNS0_4arch9wavefront6targetE0EEEvT1_,@function
_ZN7rocprim17ROCPRIM_400000_NS6detail17trampoline_kernelINS0_14default_configENS1_25transform_config_selectorIlLb0EEEZNS1_14transform_implILb0ES3_S5_NS0_18transform_iteratorINS0_17counting_iteratorImlEEZNS1_24adjacent_difference_implIS3_Lb1ELb0EPlSB_ZN2at6native12_GLOBAL__N_124unique_dim_cuda_templateIN3c104HalfEEESt5tupleIJNSC_6TensorESJ_SJ_EERKSJ_lbbbEUlllE1_EE10hipError_tPvRmT2_T3_mT4_P12ihipStream_tbEUlmE_lEESB_NS0_8identityIvEEEESO_SR_SS_mST_SV_bEUlT_E_NS1_11comp_targetILNS1_3genE2ELNS1_11target_archE906ELNS1_3gpuE6ELNS1_3repE0EEENS1_30default_config_static_selectorELNS0_4arch9wavefront6targetE0EEEvT1_: ; @_ZN7rocprim17ROCPRIM_400000_NS6detail17trampoline_kernelINS0_14default_configENS1_25transform_config_selectorIlLb0EEEZNS1_14transform_implILb0ES3_S5_NS0_18transform_iteratorINS0_17counting_iteratorImlEEZNS1_24adjacent_difference_implIS3_Lb1ELb0EPlSB_ZN2at6native12_GLOBAL__N_124unique_dim_cuda_templateIN3c104HalfEEESt5tupleIJNSC_6TensorESJ_SJ_EERKSJ_lbbbEUlllE1_EE10hipError_tPvRmT2_T3_mT4_P12ihipStream_tbEUlmE_lEESB_NS0_8identityIvEEEESO_SR_SS_mST_SV_bEUlT_E_NS1_11comp_targetILNS1_3genE2ELNS1_11target_archE906ELNS1_3gpuE6ELNS1_3repE0EEENS1_30default_config_static_selectorELNS0_4arch9wavefront6targetE0EEEvT1_
; %bb.0:
	.section	.rodata,"a",@progbits
	.p2align	6, 0x0
	.amdhsa_kernel _ZN7rocprim17ROCPRIM_400000_NS6detail17trampoline_kernelINS0_14default_configENS1_25transform_config_selectorIlLb0EEEZNS1_14transform_implILb0ES3_S5_NS0_18transform_iteratorINS0_17counting_iteratorImlEEZNS1_24adjacent_difference_implIS3_Lb1ELb0EPlSB_ZN2at6native12_GLOBAL__N_124unique_dim_cuda_templateIN3c104HalfEEESt5tupleIJNSC_6TensorESJ_SJ_EERKSJ_lbbbEUlllE1_EE10hipError_tPvRmT2_T3_mT4_P12ihipStream_tbEUlmE_lEESB_NS0_8identityIvEEEESO_SR_SS_mST_SV_bEUlT_E_NS1_11comp_targetILNS1_3genE2ELNS1_11target_archE906ELNS1_3gpuE6ELNS1_3repE0EEENS1_30default_config_static_selectorELNS0_4arch9wavefront6targetE0EEEvT1_
		.amdhsa_group_segment_fixed_size 0
		.amdhsa_private_segment_fixed_size 0
		.amdhsa_kernarg_size 56
		.amdhsa_user_sgpr_count 15
		.amdhsa_user_sgpr_dispatch_ptr 0
		.amdhsa_user_sgpr_queue_ptr 0
		.amdhsa_user_sgpr_kernarg_segment_ptr 1
		.amdhsa_user_sgpr_dispatch_id 0
		.amdhsa_user_sgpr_private_segment_size 0
		.amdhsa_wavefront_size32 1
		.amdhsa_uses_dynamic_stack 0
		.amdhsa_enable_private_segment 0
		.amdhsa_system_sgpr_workgroup_id_x 1
		.amdhsa_system_sgpr_workgroup_id_y 0
		.amdhsa_system_sgpr_workgroup_id_z 0
		.amdhsa_system_sgpr_workgroup_info 0
		.amdhsa_system_vgpr_workitem_id 0
		.amdhsa_next_free_vgpr 1
		.amdhsa_next_free_sgpr 1
		.amdhsa_reserve_vcc 0
		.amdhsa_float_round_mode_32 0
		.amdhsa_float_round_mode_16_64 0
		.amdhsa_float_denorm_mode_32 3
		.amdhsa_float_denorm_mode_16_64 3
		.amdhsa_dx10_clamp 1
		.amdhsa_ieee_mode 1
		.amdhsa_fp16_overflow 0
		.amdhsa_workgroup_processor_mode 1
		.amdhsa_memory_ordered 1
		.amdhsa_forward_progress 0
		.amdhsa_shared_vgpr_count 0
		.amdhsa_exception_fp_ieee_invalid_op 0
		.amdhsa_exception_fp_denorm_src 0
		.amdhsa_exception_fp_ieee_div_zero 0
		.amdhsa_exception_fp_ieee_overflow 0
		.amdhsa_exception_fp_ieee_underflow 0
		.amdhsa_exception_fp_ieee_inexact 0
		.amdhsa_exception_int_div_zero 0
	.end_amdhsa_kernel
	.section	.text._ZN7rocprim17ROCPRIM_400000_NS6detail17trampoline_kernelINS0_14default_configENS1_25transform_config_selectorIlLb0EEEZNS1_14transform_implILb0ES3_S5_NS0_18transform_iteratorINS0_17counting_iteratorImlEEZNS1_24adjacent_difference_implIS3_Lb1ELb0EPlSB_ZN2at6native12_GLOBAL__N_124unique_dim_cuda_templateIN3c104HalfEEESt5tupleIJNSC_6TensorESJ_SJ_EERKSJ_lbbbEUlllE1_EE10hipError_tPvRmT2_T3_mT4_P12ihipStream_tbEUlmE_lEESB_NS0_8identityIvEEEESO_SR_SS_mST_SV_bEUlT_E_NS1_11comp_targetILNS1_3genE2ELNS1_11target_archE906ELNS1_3gpuE6ELNS1_3repE0EEENS1_30default_config_static_selectorELNS0_4arch9wavefront6targetE0EEEvT1_,"axG",@progbits,_ZN7rocprim17ROCPRIM_400000_NS6detail17trampoline_kernelINS0_14default_configENS1_25transform_config_selectorIlLb0EEEZNS1_14transform_implILb0ES3_S5_NS0_18transform_iteratorINS0_17counting_iteratorImlEEZNS1_24adjacent_difference_implIS3_Lb1ELb0EPlSB_ZN2at6native12_GLOBAL__N_124unique_dim_cuda_templateIN3c104HalfEEESt5tupleIJNSC_6TensorESJ_SJ_EERKSJ_lbbbEUlllE1_EE10hipError_tPvRmT2_T3_mT4_P12ihipStream_tbEUlmE_lEESB_NS0_8identityIvEEEESO_SR_SS_mST_SV_bEUlT_E_NS1_11comp_targetILNS1_3genE2ELNS1_11target_archE906ELNS1_3gpuE6ELNS1_3repE0EEENS1_30default_config_static_selectorELNS0_4arch9wavefront6targetE0EEEvT1_,comdat
.Lfunc_end1282:
	.size	_ZN7rocprim17ROCPRIM_400000_NS6detail17trampoline_kernelINS0_14default_configENS1_25transform_config_selectorIlLb0EEEZNS1_14transform_implILb0ES3_S5_NS0_18transform_iteratorINS0_17counting_iteratorImlEEZNS1_24adjacent_difference_implIS3_Lb1ELb0EPlSB_ZN2at6native12_GLOBAL__N_124unique_dim_cuda_templateIN3c104HalfEEESt5tupleIJNSC_6TensorESJ_SJ_EERKSJ_lbbbEUlllE1_EE10hipError_tPvRmT2_T3_mT4_P12ihipStream_tbEUlmE_lEESB_NS0_8identityIvEEEESO_SR_SS_mST_SV_bEUlT_E_NS1_11comp_targetILNS1_3genE2ELNS1_11target_archE906ELNS1_3gpuE6ELNS1_3repE0EEENS1_30default_config_static_selectorELNS0_4arch9wavefront6targetE0EEEvT1_, .Lfunc_end1282-_ZN7rocprim17ROCPRIM_400000_NS6detail17trampoline_kernelINS0_14default_configENS1_25transform_config_selectorIlLb0EEEZNS1_14transform_implILb0ES3_S5_NS0_18transform_iteratorINS0_17counting_iteratorImlEEZNS1_24adjacent_difference_implIS3_Lb1ELb0EPlSB_ZN2at6native12_GLOBAL__N_124unique_dim_cuda_templateIN3c104HalfEEESt5tupleIJNSC_6TensorESJ_SJ_EERKSJ_lbbbEUlllE1_EE10hipError_tPvRmT2_T3_mT4_P12ihipStream_tbEUlmE_lEESB_NS0_8identityIvEEEESO_SR_SS_mST_SV_bEUlT_E_NS1_11comp_targetILNS1_3genE2ELNS1_11target_archE906ELNS1_3gpuE6ELNS1_3repE0EEENS1_30default_config_static_selectorELNS0_4arch9wavefront6targetE0EEEvT1_
                                        ; -- End function
	.section	.AMDGPU.csdata,"",@progbits
; Kernel info:
; codeLenInByte = 0
; NumSgprs: 0
; NumVgprs: 0
; ScratchSize: 0
; MemoryBound: 0
; FloatMode: 240
; IeeeMode: 1
; LDSByteSize: 0 bytes/workgroup (compile time only)
; SGPRBlocks: 0
; VGPRBlocks: 0
; NumSGPRsForWavesPerEU: 1
; NumVGPRsForWavesPerEU: 1
; Occupancy: 16
; WaveLimiterHint : 0
; COMPUTE_PGM_RSRC2:SCRATCH_EN: 0
; COMPUTE_PGM_RSRC2:USER_SGPR: 15
; COMPUTE_PGM_RSRC2:TRAP_HANDLER: 0
; COMPUTE_PGM_RSRC2:TGID_X_EN: 1
; COMPUTE_PGM_RSRC2:TGID_Y_EN: 0
; COMPUTE_PGM_RSRC2:TGID_Z_EN: 0
; COMPUTE_PGM_RSRC2:TIDIG_COMP_CNT: 0
	.section	.text._ZN7rocprim17ROCPRIM_400000_NS6detail17trampoline_kernelINS0_14default_configENS1_25transform_config_selectorIlLb0EEEZNS1_14transform_implILb0ES3_S5_NS0_18transform_iteratorINS0_17counting_iteratorImlEEZNS1_24adjacent_difference_implIS3_Lb1ELb0EPlSB_ZN2at6native12_GLOBAL__N_124unique_dim_cuda_templateIN3c104HalfEEESt5tupleIJNSC_6TensorESJ_SJ_EERKSJ_lbbbEUlllE1_EE10hipError_tPvRmT2_T3_mT4_P12ihipStream_tbEUlmE_lEESB_NS0_8identityIvEEEESO_SR_SS_mST_SV_bEUlT_E_NS1_11comp_targetILNS1_3genE10ELNS1_11target_archE1201ELNS1_3gpuE5ELNS1_3repE0EEENS1_30default_config_static_selectorELNS0_4arch9wavefront6targetE0EEEvT1_,"axG",@progbits,_ZN7rocprim17ROCPRIM_400000_NS6detail17trampoline_kernelINS0_14default_configENS1_25transform_config_selectorIlLb0EEEZNS1_14transform_implILb0ES3_S5_NS0_18transform_iteratorINS0_17counting_iteratorImlEEZNS1_24adjacent_difference_implIS3_Lb1ELb0EPlSB_ZN2at6native12_GLOBAL__N_124unique_dim_cuda_templateIN3c104HalfEEESt5tupleIJNSC_6TensorESJ_SJ_EERKSJ_lbbbEUlllE1_EE10hipError_tPvRmT2_T3_mT4_P12ihipStream_tbEUlmE_lEESB_NS0_8identityIvEEEESO_SR_SS_mST_SV_bEUlT_E_NS1_11comp_targetILNS1_3genE10ELNS1_11target_archE1201ELNS1_3gpuE5ELNS1_3repE0EEENS1_30default_config_static_selectorELNS0_4arch9wavefront6targetE0EEEvT1_,comdat
	.globl	_ZN7rocprim17ROCPRIM_400000_NS6detail17trampoline_kernelINS0_14default_configENS1_25transform_config_selectorIlLb0EEEZNS1_14transform_implILb0ES3_S5_NS0_18transform_iteratorINS0_17counting_iteratorImlEEZNS1_24adjacent_difference_implIS3_Lb1ELb0EPlSB_ZN2at6native12_GLOBAL__N_124unique_dim_cuda_templateIN3c104HalfEEESt5tupleIJNSC_6TensorESJ_SJ_EERKSJ_lbbbEUlllE1_EE10hipError_tPvRmT2_T3_mT4_P12ihipStream_tbEUlmE_lEESB_NS0_8identityIvEEEESO_SR_SS_mST_SV_bEUlT_E_NS1_11comp_targetILNS1_3genE10ELNS1_11target_archE1201ELNS1_3gpuE5ELNS1_3repE0EEENS1_30default_config_static_selectorELNS0_4arch9wavefront6targetE0EEEvT1_ ; -- Begin function _ZN7rocprim17ROCPRIM_400000_NS6detail17trampoline_kernelINS0_14default_configENS1_25transform_config_selectorIlLb0EEEZNS1_14transform_implILb0ES3_S5_NS0_18transform_iteratorINS0_17counting_iteratorImlEEZNS1_24adjacent_difference_implIS3_Lb1ELb0EPlSB_ZN2at6native12_GLOBAL__N_124unique_dim_cuda_templateIN3c104HalfEEESt5tupleIJNSC_6TensorESJ_SJ_EERKSJ_lbbbEUlllE1_EE10hipError_tPvRmT2_T3_mT4_P12ihipStream_tbEUlmE_lEESB_NS0_8identityIvEEEESO_SR_SS_mST_SV_bEUlT_E_NS1_11comp_targetILNS1_3genE10ELNS1_11target_archE1201ELNS1_3gpuE5ELNS1_3repE0EEENS1_30default_config_static_selectorELNS0_4arch9wavefront6targetE0EEEvT1_
	.p2align	8
	.type	_ZN7rocprim17ROCPRIM_400000_NS6detail17trampoline_kernelINS0_14default_configENS1_25transform_config_selectorIlLb0EEEZNS1_14transform_implILb0ES3_S5_NS0_18transform_iteratorINS0_17counting_iteratorImlEEZNS1_24adjacent_difference_implIS3_Lb1ELb0EPlSB_ZN2at6native12_GLOBAL__N_124unique_dim_cuda_templateIN3c104HalfEEESt5tupleIJNSC_6TensorESJ_SJ_EERKSJ_lbbbEUlllE1_EE10hipError_tPvRmT2_T3_mT4_P12ihipStream_tbEUlmE_lEESB_NS0_8identityIvEEEESO_SR_SS_mST_SV_bEUlT_E_NS1_11comp_targetILNS1_3genE10ELNS1_11target_archE1201ELNS1_3gpuE5ELNS1_3repE0EEENS1_30default_config_static_selectorELNS0_4arch9wavefront6targetE0EEEvT1_,@function
_ZN7rocprim17ROCPRIM_400000_NS6detail17trampoline_kernelINS0_14default_configENS1_25transform_config_selectorIlLb0EEEZNS1_14transform_implILb0ES3_S5_NS0_18transform_iteratorINS0_17counting_iteratorImlEEZNS1_24adjacent_difference_implIS3_Lb1ELb0EPlSB_ZN2at6native12_GLOBAL__N_124unique_dim_cuda_templateIN3c104HalfEEESt5tupleIJNSC_6TensorESJ_SJ_EERKSJ_lbbbEUlllE1_EE10hipError_tPvRmT2_T3_mT4_P12ihipStream_tbEUlmE_lEESB_NS0_8identityIvEEEESO_SR_SS_mST_SV_bEUlT_E_NS1_11comp_targetILNS1_3genE10ELNS1_11target_archE1201ELNS1_3gpuE5ELNS1_3repE0EEENS1_30default_config_static_selectorELNS0_4arch9wavefront6targetE0EEEvT1_: ; @_ZN7rocprim17ROCPRIM_400000_NS6detail17trampoline_kernelINS0_14default_configENS1_25transform_config_selectorIlLb0EEEZNS1_14transform_implILb0ES3_S5_NS0_18transform_iteratorINS0_17counting_iteratorImlEEZNS1_24adjacent_difference_implIS3_Lb1ELb0EPlSB_ZN2at6native12_GLOBAL__N_124unique_dim_cuda_templateIN3c104HalfEEESt5tupleIJNSC_6TensorESJ_SJ_EERKSJ_lbbbEUlllE1_EE10hipError_tPvRmT2_T3_mT4_P12ihipStream_tbEUlmE_lEESB_NS0_8identityIvEEEESO_SR_SS_mST_SV_bEUlT_E_NS1_11comp_targetILNS1_3genE10ELNS1_11target_archE1201ELNS1_3gpuE5ELNS1_3repE0EEENS1_30default_config_static_selectorELNS0_4arch9wavefront6targetE0EEEvT1_
; %bb.0:
	.section	.rodata,"a",@progbits
	.p2align	6, 0x0
	.amdhsa_kernel _ZN7rocprim17ROCPRIM_400000_NS6detail17trampoline_kernelINS0_14default_configENS1_25transform_config_selectorIlLb0EEEZNS1_14transform_implILb0ES3_S5_NS0_18transform_iteratorINS0_17counting_iteratorImlEEZNS1_24adjacent_difference_implIS3_Lb1ELb0EPlSB_ZN2at6native12_GLOBAL__N_124unique_dim_cuda_templateIN3c104HalfEEESt5tupleIJNSC_6TensorESJ_SJ_EERKSJ_lbbbEUlllE1_EE10hipError_tPvRmT2_T3_mT4_P12ihipStream_tbEUlmE_lEESB_NS0_8identityIvEEEESO_SR_SS_mST_SV_bEUlT_E_NS1_11comp_targetILNS1_3genE10ELNS1_11target_archE1201ELNS1_3gpuE5ELNS1_3repE0EEENS1_30default_config_static_selectorELNS0_4arch9wavefront6targetE0EEEvT1_
		.amdhsa_group_segment_fixed_size 0
		.amdhsa_private_segment_fixed_size 0
		.amdhsa_kernarg_size 56
		.amdhsa_user_sgpr_count 15
		.amdhsa_user_sgpr_dispatch_ptr 0
		.amdhsa_user_sgpr_queue_ptr 0
		.amdhsa_user_sgpr_kernarg_segment_ptr 1
		.amdhsa_user_sgpr_dispatch_id 0
		.amdhsa_user_sgpr_private_segment_size 0
		.amdhsa_wavefront_size32 1
		.amdhsa_uses_dynamic_stack 0
		.amdhsa_enable_private_segment 0
		.amdhsa_system_sgpr_workgroup_id_x 1
		.amdhsa_system_sgpr_workgroup_id_y 0
		.amdhsa_system_sgpr_workgroup_id_z 0
		.amdhsa_system_sgpr_workgroup_info 0
		.amdhsa_system_vgpr_workitem_id 0
		.amdhsa_next_free_vgpr 1
		.amdhsa_next_free_sgpr 1
		.amdhsa_reserve_vcc 0
		.amdhsa_float_round_mode_32 0
		.amdhsa_float_round_mode_16_64 0
		.amdhsa_float_denorm_mode_32 3
		.amdhsa_float_denorm_mode_16_64 3
		.amdhsa_dx10_clamp 1
		.amdhsa_ieee_mode 1
		.amdhsa_fp16_overflow 0
		.amdhsa_workgroup_processor_mode 1
		.amdhsa_memory_ordered 1
		.amdhsa_forward_progress 0
		.amdhsa_shared_vgpr_count 0
		.amdhsa_exception_fp_ieee_invalid_op 0
		.amdhsa_exception_fp_denorm_src 0
		.amdhsa_exception_fp_ieee_div_zero 0
		.amdhsa_exception_fp_ieee_overflow 0
		.amdhsa_exception_fp_ieee_underflow 0
		.amdhsa_exception_fp_ieee_inexact 0
		.amdhsa_exception_int_div_zero 0
	.end_amdhsa_kernel
	.section	.text._ZN7rocprim17ROCPRIM_400000_NS6detail17trampoline_kernelINS0_14default_configENS1_25transform_config_selectorIlLb0EEEZNS1_14transform_implILb0ES3_S5_NS0_18transform_iteratorINS0_17counting_iteratorImlEEZNS1_24adjacent_difference_implIS3_Lb1ELb0EPlSB_ZN2at6native12_GLOBAL__N_124unique_dim_cuda_templateIN3c104HalfEEESt5tupleIJNSC_6TensorESJ_SJ_EERKSJ_lbbbEUlllE1_EE10hipError_tPvRmT2_T3_mT4_P12ihipStream_tbEUlmE_lEESB_NS0_8identityIvEEEESO_SR_SS_mST_SV_bEUlT_E_NS1_11comp_targetILNS1_3genE10ELNS1_11target_archE1201ELNS1_3gpuE5ELNS1_3repE0EEENS1_30default_config_static_selectorELNS0_4arch9wavefront6targetE0EEEvT1_,"axG",@progbits,_ZN7rocprim17ROCPRIM_400000_NS6detail17trampoline_kernelINS0_14default_configENS1_25transform_config_selectorIlLb0EEEZNS1_14transform_implILb0ES3_S5_NS0_18transform_iteratorINS0_17counting_iteratorImlEEZNS1_24adjacent_difference_implIS3_Lb1ELb0EPlSB_ZN2at6native12_GLOBAL__N_124unique_dim_cuda_templateIN3c104HalfEEESt5tupleIJNSC_6TensorESJ_SJ_EERKSJ_lbbbEUlllE1_EE10hipError_tPvRmT2_T3_mT4_P12ihipStream_tbEUlmE_lEESB_NS0_8identityIvEEEESO_SR_SS_mST_SV_bEUlT_E_NS1_11comp_targetILNS1_3genE10ELNS1_11target_archE1201ELNS1_3gpuE5ELNS1_3repE0EEENS1_30default_config_static_selectorELNS0_4arch9wavefront6targetE0EEEvT1_,comdat
.Lfunc_end1283:
	.size	_ZN7rocprim17ROCPRIM_400000_NS6detail17trampoline_kernelINS0_14default_configENS1_25transform_config_selectorIlLb0EEEZNS1_14transform_implILb0ES3_S5_NS0_18transform_iteratorINS0_17counting_iteratorImlEEZNS1_24adjacent_difference_implIS3_Lb1ELb0EPlSB_ZN2at6native12_GLOBAL__N_124unique_dim_cuda_templateIN3c104HalfEEESt5tupleIJNSC_6TensorESJ_SJ_EERKSJ_lbbbEUlllE1_EE10hipError_tPvRmT2_T3_mT4_P12ihipStream_tbEUlmE_lEESB_NS0_8identityIvEEEESO_SR_SS_mST_SV_bEUlT_E_NS1_11comp_targetILNS1_3genE10ELNS1_11target_archE1201ELNS1_3gpuE5ELNS1_3repE0EEENS1_30default_config_static_selectorELNS0_4arch9wavefront6targetE0EEEvT1_, .Lfunc_end1283-_ZN7rocprim17ROCPRIM_400000_NS6detail17trampoline_kernelINS0_14default_configENS1_25transform_config_selectorIlLb0EEEZNS1_14transform_implILb0ES3_S5_NS0_18transform_iteratorINS0_17counting_iteratorImlEEZNS1_24adjacent_difference_implIS3_Lb1ELb0EPlSB_ZN2at6native12_GLOBAL__N_124unique_dim_cuda_templateIN3c104HalfEEESt5tupleIJNSC_6TensorESJ_SJ_EERKSJ_lbbbEUlllE1_EE10hipError_tPvRmT2_T3_mT4_P12ihipStream_tbEUlmE_lEESB_NS0_8identityIvEEEESO_SR_SS_mST_SV_bEUlT_E_NS1_11comp_targetILNS1_3genE10ELNS1_11target_archE1201ELNS1_3gpuE5ELNS1_3repE0EEENS1_30default_config_static_selectorELNS0_4arch9wavefront6targetE0EEEvT1_
                                        ; -- End function
	.section	.AMDGPU.csdata,"",@progbits
; Kernel info:
; codeLenInByte = 0
; NumSgprs: 0
; NumVgprs: 0
; ScratchSize: 0
; MemoryBound: 0
; FloatMode: 240
; IeeeMode: 1
; LDSByteSize: 0 bytes/workgroup (compile time only)
; SGPRBlocks: 0
; VGPRBlocks: 0
; NumSGPRsForWavesPerEU: 1
; NumVGPRsForWavesPerEU: 1
; Occupancy: 16
; WaveLimiterHint : 0
; COMPUTE_PGM_RSRC2:SCRATCH_EN: 0
; COMPUTE_PGM_RSRC2:USER_SGPR: 15
; COMPUTE_PGM_RSRC2:TRAP_HANDLER: 0
; COMPUTE_PGM_RSRC2:TGID_X_EN: 1
; COMPUTE_PGM_RSRC2:TGID_Y_EN: 0
; COMPUTE_PGM_RSRC2:TGID_Z_EN: 0
; COMPUTE_PGM_RSRC2:TIDIG_COMP_CNT: 0
	.section	.text._ZN7rocprim17ROCPRIM_400000_NS6detail17trampoline_kernelINS0_14default_configENS1_25transform_config_selectorIlLb0EEEZNS1_14transform_implILb0ES3_S5_NS0_18transform_iteratorINS0_17counting_iteratorImlEEZNS1_24adjacent_difference_implIS3_Lb1ELb0EPlSB_ZN2at6native12_GLOBAL__N_124unique_dim_cuda_templateIN3c104HalfEEESt5tupleIJNSC_6TensorESJ_SJ_EERKSJ_lbbbEUlllE1_EE10hipError_tPvRmT2_T3_mT4_P12ihipStream_tbEUlmE_lEESB_NS0_8identityIvEEEESO_SR_SS_mST_SV_bEUlT_E_NS1_11comp_targetILNS1_3genE10ELNS1_11target_archE1200ELNS1_3gpuE4ELNS1_3repE0EEENS1_30default_config_static_selectorELNS0_4arch9wavefront6targetE0EEEvT1_,"axG",@progbits,_ZN7rocprim17ROCPRIM_400000_NS6detail17trampoline_kernelINS0_14default_configENS1_25transform_config_selectorIlLb0EEEZNS1_14transform_implILb0ES3_S5_NS0_18transform_iteratorINS0_17counting_iteratorImlEEZNS1_24adjacent_difference_implIS3_Lb1ELb0EPlSB_ZN2at6native12_GLOBAL__N_124unique_dim_cuda_templateIN3c104HalfEEESt5tupleIJNSC_6TensorESJ_SJ_EERKSJ_lbbbEUlllE1_EE10hipError_tPvRmT2_T3_mT4_P12ihipStream_tbEUlmE_lEESB_NS0_8identityIvEEEESO_SR_SS_mST_SV_bEUlT_E_NS1_11comp_targetILNS1_3genE10ELNS1_11target_archE1200ELNS1_3gpuE4ELNS1_3repE0EEENS1_30default_config_static_selectorELNS0_4arch9wavefront6targetE0EEEvT1_,comdat
	.globl	_ZN7rocprim17ROCPRIM_400000_NS6detail17trampoline_kernelINS0_14default_configENS1_25transform_config_selectorIlLb0EEEZNS1_14transform_implILb0ES3_S5_NS0_18transform_iteratorINS0_17counting_iteratorImlEEZNS1_24adjacent_difference_implIS3_Lb1ELb0EPlSB_ZN2at6native12_GLOBAL__N_124unique_dim_cuda_templateIN3c104HalfEEESt5tupleIJNSC_6TensorESJ_SJ_EERKSJ_lbbbEUlllE1_EE10hipError_tPvRmT2_T3_mT4_P12ihipStream_tbEUlmE_lEESB_NS0_8identityIvEEEESO_SR_SS_mST_SV_bEUlT_E_NS1_11comp_targetILNS1_3genE10ELNS1_11target_archE1200ELNS1_3gpuE4ELNS1_3repE0EEENS1_30default_config_static_selectorELNS0_4arch9wavefront6targetE0EEEvT1_ ; -- Begin function _ZN7rocprim17ROCPRIM_400000_NS6detail17trampoline_kernelINS0_14default_configENS1_25transform_config_selectorIlLb0EEEZNS1_14transform_implILb0ES3_S5_NS0_18transform_iteratorINS0_17counting_iteratorImlEEZNS1_24adjacent_difference_implIS3_Lb1ELb0EPlSB_ZN2at6native12_GLOBAL__N_124unique_dim_cuda_templateIN3c104HalfEEESt5tupleIJNSC_6TensorESJ_SJ_EERKSJ_lbbbEUlllE1_EE10hipError_tPvRmT2_T3_mT4_P12ihipStream_tbEUlmE_lEESB_NS0_8identityIvEEEESO_SR_SS_mST_SV_bEUlT_E_NS1_11comp_targetILNS1_3genE10ELNS1_11target_archE1200ELNS1_3gpuE4ELNS1_3repE0EEENS1_30default_config_static_selectorELNS0_4arch9wavefront6targetE0EEEvT1_
	.p2align	8
	.type	_ZN7rocprim17ROCPRIM_400000_NS6detail17trampoline_kernelINS0_14default_configENS1_25transform_config_selectorIlLb0EEEZNS1_14transform_implILb0ES3_S5_NS0_18transform_iteratorINS0_17counting_iteratorImlEEZNS1_24adjacent_difference_implIS3_Lb1ELb0EPlSB_ZN2at6native12_GLOBAL__N_124unique_dim_cuda_templateIN3c104HalfEEESt5tupleIJNSC_6TensorESJ_SJ_EERKSJ_lbbbEUlllE1_EE10hipError_tPvRmT2_T3_mT4_P12ihipStream_tbEUlmE_lEESB_NS0_8identityIvEEEESO_SR_SS_mST_SV_bEUlT_E_NS1_11comp_targetILNS1_3genE10ELNS1_11target_archE1200ELNS1_3gpuE4ELNS1_3repE0EEENS1_30default_config_static_selectorELNS0_4arch9wavefront6targetE0EEEvT1_,@function
_ZN7rocprim17ROCPRIM_400000_NS6detail17trampoline_kernelINS0_14default_configENS1_25transform_config_selectorIlLb0EEEZNS1_14transform_implILb0ES3_S5_NS0_18transform_iteratorINS0_17counting_iteratorImlEEZNS1_24adjacent_difference_implIS3_Lb1ELb0EPlSB_ZN2at6native12_GLOBAL__N_124unique_dim_cuda_templateIN3c104HalfEEESt5tupleIJNSC_6TensorESJ_SJ_EERKSJ_lbbbEUlllE1_EE10hipError_tPvRmT2_T3_mT4_P12ihipStream_tbEUlmE_lEESB_NS0_8identityIvEEEESO_SR_SS_mST_SV_bEUlT_E_NS1_11comp_targetILNS1_3genE10ELNS1_11target_archE1200ELNS1_3gpuE4ELNS1_3repE0EEENS1_30default_config_static_selectorELNS0_4arch9wavefront6targetE0EEEvT1_: ; @_ZN7rocprim17ROCPRIM_400000_NS6detail17trampoline_kernelINS0_14default_configENS1_25transform_config_selectorIlLb0EEEZNS1_14transform_implILb0ES3_S5_NS0_18transform_iteratorINS0_17counting_iteratorImlEEZNS1_24adjacent_difference_implIS3_Lb1ELb0EPlSB_ZN2at6native12_GLOBAL__N_124unique_dim_cuda_templateIN3c104HalfEEESt5tupleIJNSC_6TensorESJ_SJ_EERKSJ_lbbbEUlllE1_EE10hipError_tPvRmT2_T3_mT4_P12ihipStream_tbEUlmE_lEESB_NS0_8identityIvEEEESO_SR_SS_mST_SV_bEUlT_E_NS1_11comp_targetILNS1_3genE10ELNS1_11target_archE1200ELNS1_3gpuE4ELNS1_3repE0EEENS1_30default_config_static_selectorELNS0_4arch9wavefront6targetE0EEEvT1_
; %bb.0:
	.section	.rodata,"a",@progbits
	.p2align	6, 0x0
	.amdhsa_kernel _ZN7rocprim17ROCPRIM_400000_NS6detail17trampoline_kernelINS0_14default_configENS1_25transform_config_selectorIlLb0EEEZNS1_14transform_implILb0ES3_S5_NS0_18transform_iteratorINS0_17counting_iteratorImlEEZNS1_24adjacent_difference_implIS3_Lb1ELb0EPlSB_ZN2at6native12_GLOBAL__N_124unique_dim_cuda_templateIN3c104HalfEEESt5tupleIJNSC_6TensorESJ_SJ_EERKSJ_lbbbEUlllE1_EE10hipError_tPvRmT2_T3_mT4_P12ihipStream_tbEUlmE_lEESB_NS0_8identityIvEEEESO_SR_SS_mST_SV_bEUlT_E_NS1_11comp_targetILNS1_3genE10ELNS1_11target_archE1200ELNS1_3gpuE4ELNS1_3repE0EEENS1_30default_config_static_selectorELNS0_4arch9wavefront6targetE0EEEvT1_
		.amdhsa_group_segment_fixed_size 0
		.amdhsa_private_segment_fixed_size 0
		.amdhsa_kernarg_size 56
		.amdhsa_user_sgpr_count 15
		.amdhsa_user_sgpr_dispatch_ptr 0
		.amdhsa_user_sgpr_queue_ptr 0
		.amdhsa_user_sgpr_kernarg_segment_ptr 1
		.amdhsa_user_sgpr_dispatch_id 0
		.amdhsa_user_sgpr_private_segment_size 0
		.amdhsa_wavefront_size32 1
		.amdhsa_uses_dynamic_stack 0
		.amdhsa_enable_private_segment 0
		.amdhsa_system_sgpr_workgroup_id_x 1
		.amdhsa_system_sgpr_workgroup_id_y 0
		.amdhsa_system_sgpr_workgroup_id_z 0
		.amdhsa_system_sgpr_workgroup_info 0
		.amdhsa_system_vgpr_workitem_id 0
		.amdhsa_next_free_vgpr 1
		.amdhsa_next_free_sgpr 1
		.amdhsa_reserve_vcc 0
		.amdhsa_float_round_mode_32 0
		.amdhsa_float_round_mode_16_64 0
		.amdhsa_float_denorm_mode_32 3
		.amdhsa_float_denorm_mode_16_64 3
		.amdhsa_dx10_clamp 1
		.amdhsa_ieee_mode 1
		.amdhsa_fp16_overflow 0
		.amdhsa_workgroup_processor_mode 1
		.amdhsa_memory_ordered 1
		.amdhsa_forward_progress 0
		.amdhsa_shared_vgpr_count 0
		.amdhsa_exception_fp_ieee_invalid_op 0
		.amdhsa_exception_fp_denorm_src 0
		.amdhsa_exception_fp_ieee_div_zero 0
		.amdhsa_exception_fp_ieee_overflow 0
		.amdhsa_exception_fp_ieee_underflow 0
		.amdhsa_exception_fp_ieee_inexact 0
		.amdhsa_exception_int_div_zero 0
	.end_amdhsa_kernel
	.section	.text._ZN7rocprim17ROCPRIM_400000_NS6detail17trampoline_kernelINS0_14default_configENS1_25transform_config_selectorIlLb0EEEZNS1_14transform_implILb0ES3_S5_NS0_18transform_iteratorINS0_17counting_iteratorImlEEZNS1_24adjacent_difference_implIS3_Lb1ELb0EPlSB_ZN2at6native12_GLOBAL__N_124unique_dim_cuda_templateIN3c104HalfEEESt5tupleIJNSC_6TensorESJ_SJ_EERKSJ_lbbbEUlllE1_EE10hipError_tPvRmT2_T3_mT4_P12ihipStream_tbEUlmE_lEESB_NS0_8identityIvEEEESO_SR_SS_mST_SV_bEUlT_E_NS1_11comp_targetILNS1_3genE10ELNS1_11target_archE1200ELNS1_3gpuE4ELNS1_3repE0EEENS1_30default_config_static_selectorELNS0_4arch9wavefront6targetE0EEEvT1_,"axG",@progbits,_ZN7rocprim17ROCPRIM_400000_NS6detail17trampoline_kernelINS0_14default_configENS1_25transform_config_selectorIlLb0EEEZNS1_14transform_implILb0ES3_S5_NS0_18transform_iteratorINS0_17counting_iteratorImlEEZNS1_24adjacent_difference_implIS3_Lb1ELb0EPlSB_ZN2at6native12_GLOBAL__N_124unique_dim_cuda_templateIN3c104HalfEEESt5tupleIJNSC_6TensorESJ_SJ_EERKSJ_lbbbEUlllE1_EE10hipError_tPvRmT2_T3_mT4_P12ihipStream_tbEUlmE_lEESB_NS0_8identityIvEEEESO_SR_SS_mST_SV_bEUlT_E_NS1_11comp_targetILNS1_3genE10ELNS1_11target_archE1200ELNS1_3gpuE4ELNS1_3repE0EEENS1_30default_config_static_selectorELNS0_4arch9wavefront6targetE0EEEvT1_,comdat
.Lfunc_end1284:
	.size	_ZN7rocprim17ROCPRIM_400000_NS6detail17trampoline_kernelINS0_14default_configENS1_25transform_config_selectorIlLb0EEEZNS1_14transform_implILb0ES3_S5_NS0_18transform_iteratorINS0_17counting_iteratorImlEEZNS1_24adjacent_difference_implIS3_Lb1ELb0EPlSB_ZN2at6native12_GLOBAL__N_124unique_dim_cuda_templateIN3c104HalfEEESt5tupleIJNSC_6TensorESJ_SJ_EERKSJ_lbbbEUlllE1_EE10hipError_tPvRmT2_T3_mT4_P12ihipStream_tbEUlmE_lEESB_NS0_8identityIvEEEESO_SR_SS_mST_SV_bEUlT_E_NS1_11comp_targetILNS1_3genE10ELNS1_11target_archE1200ELNS1_3gpuE4ELNS1_3repE0EEENS1_30default_config_static_selectorELNS0_4arch9wavefront6targetE0EEEvT1_, .Lfunc_end1284-_ZN7rocprim17ROCPRIM_400000_NS6detail17trampoline_kernelINS0_14default_configENS1_25transform_config_selectorIlLb0EEEZNS1_14transform_implILb0ES3_S5_NS0_18transform_iteratorINS0_17counting_iteratorImlEEZNS1_24adjacent_difference_implIS3_Lb1ELb0EPlSB_ZN2at6native12_GLOBAL__N_124unique_dim_cuda_templateIN3c104HalfEEESt5tupleIJNSC_6TensorESJ_SJ_EERKSJ_lbbbEUlllE1_EE10hipError_tPvRmT2_T3_mT4_P12ihipStream_tbEUlmE_lEESB_NS0_8identityIvEEEESO_SR_SS_mST_SV_bEUlT_E_NS1_11comp_targetILNS1_3genE10ELNS1_11target_archE1200ELNS1_3gpuE4ELNS1_3repE0EEENS1_30default_config_static_selectorELNS0_4arch9wavefront6targetE0EEEvT1_
                                        ; -- End function
	.section	.AMDGPU.csdata,"",@progbits
; Kernel info:
; codeLenInByte = 0
; NumSgprs: 0
; NumVgprs: 0
; ScratchSize: 0
; MemoryBound: 0
; FloatMode: 240
; IeeeMode: 1
; LDSByteSize: 0 bytes/workgroup (compile time only)
; SGPRBlocks: 0
; VGPRBlocks: 0
; NumSGPRsForWavesPerEU: 1
; NumVGPRsForWavesPerEU: 1
; Occupancy: 16
; WaveLimiterHint : 0
; COMPUTE_PGM_RSRC2:SCRATCH_EN: 0
; COMPUTE_PGM_RSRC2:USER_SGPR: 15
; COMPUTE_PGM_RSRC2:TRAP_HANDLER: 0
; COMPUTE_PGM_RSRC2:TGID_X_EN: 1
; COMPUTE_PGM_RSRC2:TGID_Y_EN: 0
; COMPUTE_PGM_RSRC2:TGID_Z_EN: 0
; COMPUTE_PGM_RSRC2:TIDIG_COMP_CNT: 0
	.section	.text._ZN7rocprim17ROCPRIM_400000_NS6detail17trampoline_kernelINS0_14default_configENS1_25transform_config_selectorIlLb0EEEZNS1_14transform_implILb0ES3_S5_NS0_18transform_iteratorINS0_17counting_iteratorImlEEZNS1_24adjacent_difference_implIS3_Lb1ELb0EPlSB_ZN2at6native12_GLOBAL__N_124unique_dim_cuda_templateIN3c104HalfEEESt5tupleIJNSC_6TensorESJ_SJ_EERKSJ_lbbbEUlllE1_EE10hipError_tPvRmT2_T3_mT4_P12ihipStream_tbEUlmE_lEESB_NS0_8identityIvEEEESO_SR_SS_mST_SV_bEUlT_E_NS1_11comp_targetILNS1_3genE9ELNS1_11target_archE1100ELNS1_3gpuE3ELNS1_3repE0EEENS1_30default_config_static_selectorELNS0_4arch9wavefront6targetE0EEEvT1_,"axG",@progbits,_ZN7rocprim17ROCPRIM_400000_NS6detail17trampoline_kernelINS0_14default_configENS1_25transform_config_selectorIlLb0EEEZNS1_14transform_implILb0ES3_S5_NS0_18transform_iteratorINS0_17counting_iteratorImlEEZNS1_24adjacent_difference_implIS3_Lb1ELb0EPlSB_ZN2at6native12_GLOBAL__N_124unique_dim_cuda_templateIN3c104HalfEEESt5tupleIJNSC_6TensorESJ_SJ_EERKSJ_lbbbEUlllE1_EE10hipError_tPvRmT2_T3_mT4_P12ihipStream_tbEUlmE_lEESB_NS0_8identityIvEEEESO_SR_SS_mST_SV_bEUlT_E_NS1_11comp_targetILNS1_3genE9ELNS1_11target_archE1100ELNS1_3gpuE3ELNS1_3repE0EEENS1_30default_config_static_selectorELNS0_4arch9wavefront6targetE0EEEvT1_,comdat
	.globl	_ZN7rocprim17ROCPRIM_400000_NS6detail17trampoline_kernelINS0_14default_configENS1_25transform_config_selectorIlLb0EEEZNS1_14transform_implILb0ES3_S5_NS0_18transform_iteratorINS0_17counting_iteratorImlEEZNS1_24adjacent_difference_implIS3_Lb1ELb0EPlSB_ZN2at6native12_GLOBAL__N_124unique_dim_cuda_templateIN3c104HalfEEESt5tupleIJNSC_6TensorESJ_SJ_EERKSJ_lbbbEUlllE1_EE10hipError_tPvRmT2_T3_mT4_P12ihipStream_tbEUlmE_lEESB_NS0_8identityIvEEEESO_SR_SS_mST_SV_bEUlT_E_NS1_11comp_targetILNS1_3genE9ELNS1_11target_archE1100ELNS1_3gpuE3ELNS1_3repE0EEENS1_30default_config_static_selectorELNS0_4arch9wavefront6targetE0EEEvT1_ ; -- Begin function _ZN7rocprim17ROCPRIM_400000_NS6detail17trampoline_kernelINS0_14default_configENS1_25transform_config_selectorIlLb0EEEZNS1_14transform_implILb0ES3_S5_NS0_18transform_iteratorINS0_17counting_iteratorImlEEZNS1_24adjacent_difference_implIS3_Lb1ELb0EPlSB_ZN2at6native12_GLOBAL__N_124unique_dim_cuda_templateIN3c104HalfEEESt5tupleIJNSC_6TensorESJ_SJ_EERKSJ_lbbbEUlllE1_EE10hipError_tPvRmT2_T3_mT4_P12ihipStream_tbEUlmE_lEESB_NS0_8identityIvEEEESO_SR_SS_mST_SV_bEUlT_E_NS1_11comp_targetILNS1_3genE9ELNS1_11target_archE1100ELNS1_3gpuE3ELNS1_3repE0EEENS1_30default_config_static_selectorELNS0_4arch9wavefront6targetE0EEEvT1_
	.p2align	8
	.type	_ZN7rocprim17ROCPRIM_400000_NS6detail17trampoline_kernelINS0_14default_configENS1_25transform_config_selectorIlLb0EEEZNS1_14transform_implILb0ES3_S5_NS0_18transform_iteratorINS0_17counting_iteratorImlEEZNS1_24adjacent_difference_implIS3_Lb1ELb0EPlSB_ZN2at6native12_GLOBAL__N_124unique_dim_cuda_templateIN3c104HalfEEESt5tupleIJNSC_6TensorESJ_SJ_EERKSJ_lbbbEUlllE1_EE10hipError_tPvRmT2_T3_mT4_P12ihipStream_tbEUlmE_lEESB_NS0_8identityIvEEEESO_SR_SS_mST_SV_bEUlT_E_NS1_11comp_targetILNS1_3genE9ELNS1_11target_archE1100ELNS1_3gpuE3ELNS1_3repE0EEENS1_30default_config_static_selectorELNS0_4arch9wavefront6targetE0EEEvT1_,@function
_ZN7rocprim17ROCPRIM_400000_NS6detail17trampoline_kernelINS0_14default_configENS1_25transform_config_selectorIlLb0EEEZNS1_14transform_implILb0ES3_S5_NS0_18transform_iteratorINS0_17counting_iteratorImlEEZNS1_24adjacent_difference_implIS3_Lb1ELb0EPlSB_ZN2at6native12_GLOBAL__N_124unique_dim_cuda_templateIN3c104HalfEEESt5tupleIJNSC_6TensorESJ_SJ_EERKSJ_lbbbEUlllE1_EE10hipError_tPvRmT2_T3_mT4_P12ihipStream_tbEUlmE_lEESB_NS0_8identityIvEEEESO_SR_SS_mST_SV_bEUlT_E_NS1_11comp_targetILNS1_3genE9ELNS1_11target_archE1100ELNS1_3gpuE3ELNS1_3repE0EEENS1_30default_config_static_selectorELNS0_4arch9wavefront6targetE0EEEvT1_: ; @_ZN7rocprim17ROCPRIM_400000_NS6detail17trampoline_kernelINS0_14default_configENS1_25transform_config_selectorIlLb0EEEZNS1_14transform_implILb0ES3_S5_NS0_18transform_iteratorINS0_17counting_iteratorImlEEZNS1_24adjacent_difference_implIS3_Lb1ELb0EPlSB_ZN2at6native12_GLOBAL__N_124unique_dim_cuda_templateIN3c104HalfEEESt5tupleIJNSC_6TensorESJ_SJ_EERKSJ_lbbbEUlllE1_EE10hipError_tPvRmT2_T3_mT4_P12ihipStream_tbEUlmE_lEESB_NS0_8identityIvEEEESO_SR_SS_mST_SV_bEUlT_E_NS1_11comp_targetILNS1_3genE9ELNS1_11target_archE1100ELNS1_3gpuE3ELNS1_3repE0EEENS1_30default_config_static_selectorELNS0_4arch9wavefront6targetE0EEEvT1_
; %bb.0:
	s_clause 0x4
	s_load_b128 s[4:7], s[0:1], 0x0
	s_load_b64 s[2:3], s[0:1], 0x18
	s_load_b64 s[12:13], s[0:1], 0x28
	s_load_b32 s11, s[0:1], 0x38
	s_load_b32 s8, s[0:1], 0x10
	s_waitcnt lgkmcnt(0)
	s_add_u32 s9, s2, s4
	s_addc_u32 s10, s3, s5
	s_lshl_b64 s[2:3], s[2:3], 3
	s_delay_alu instid0(SALU_CYCLE_1)
	s_add_u32 s4, s12, s2
	s_addc_u32 s5, s13, s3
	s_add_i32 s11, s11, -1
	s_lshl_b32 s2, s15, 9
	s_mov_b32 s3, 0
	s_cmp_lg_u32 s15, s11
	s_mov_b32 s11, -1
	s_cbranch_scc0 .LBB1285_2
; %bb.1:
	s_add_u32 s11, s9, s2
	s_addc_u32 s12, s10, 0
	v_add_co_u32 v3, s11, s11, v0
	s_delay_alu instid0(VALU_DEP_1) | instskip(SKIP_1) | instid1(VALU_DEP_2)
	v_add_co_ci_u32_e64 v5, null, s12, 0, s11
	s_lshl_b64 s[12:13], s[2:3], 3
	v_mad_u64_u32 v[1:2], null, v3, s8, 0
	s_add_u32 s12, s4, s12
	s_addc_u32 s13, s5, s13
	s_mov_b32 s11, s3
	s_delay_alu instid0(VALU_DEP_1) | instskip(NEXT) | instid1(VALU_DEP_1)
	v_mad_u64_u32 v[3:4], null, v5, s8, v[2:3]
	v_dual_mov_b32 v2, v3 :: v_dual_lshlrev_b32 v3, 3, v0
	s_delay_alu instid0(VALU_DEP_1) | instskip(NEXT) | instid1(VALU_DEP_1)
	v_lshlrev_b64 v[1:2], 3, v[1:2]
	v_add_co_u32 v1, vcc_lo, s6, v1
	s_delay_alu instid0(VALU_DEP_2)
	v_add_co_ci_u32_e32 v2, vcc_lo, s7, v2, vcc_lo
	global_load_b64 v[1:2], v[1:2], off
	s_waitcnt vmcnt(0)
	global_store_b64 v3, v[1:2], s[12:13]
.LBB1285_2:
	s_and_not1_b32 vcc_lo, exec_lo, s11
	s_cbranch_vccnz .LBB1285_7
; %bb.3:
	s_load_b32 s0, s[0:1], 0x20
                                        ; implicit-def: $vgpr1_vgpr2
	s_waitcnt lgkmcnt(0)
	s_sub_i32 s0, s0, s2
	s_delay_alu instid0(SALU_CYCLE_1)
	v_cmp_gt_u32_e32 vcc_lo, s0, v0
	s_and_saveexec_b32 s1, vcc_lo
	s_cbranch_execz .LBB1285_5
; %bb.4:
	s_add_u32 s0, s9, s2
	s_addc_u32 s9, s10, 0
	v_add_co_u32 v3, s0, s0, v0
	s_delay_alu instid0(VALU_DEP_1) | instskip(NEXT) | instid1(VALU_DEP_2)
	v_add_co_ci_u32_e64 v5, null, s9, 0, s0
	v_mad_u64_u32 v[1:2], null, v3, s8, 0
	s_delay_alu instid0(VALU_DEP_1) | instskip(NEXT) | instid1(VALU_DEP_1)
	v_mad_u64_u32 v[3:4], null, v5, s8, v[2:3]
	v_mov_b32_e32 v2, v3
	s_delay_alu instid0(VALU_DEP_1) | instskip(NEXT) | instid1(VALU_DEP_1)
	v_lshlrev_b64 v[1:2], 3, v[1:2]
	v_add_co_u32 v1, s0, s6, v1
	s_delay_alu instid0(VALU_DEP_1)
	v_add_co_ci_u32_e64 v2, s0, s7, v2, s0
	global_load_b64 v[1:2], v[1:2], off
.LBB1285_5:
	s_or_b32 exec_lo, exec_lo, s1
	s_and_saveexec_b32 s0, vcc_lo
	s_cbranch_execz .LBB1285_7
; %bb.6:
	s_lshl_b64 s[0:1], s[2:3], 3
	v_lshlrev_b32_e32 v0, 3, v0
	s_add_u32 s0, s4, s0
	s_addc_u32 s1, s5, s1
	s_waitcnt vmcnt(0)
	global_store_b64 v0, v[1:2], s[0:1]
.LBB1285_7:
	s_nop 0
	s_sendmsg sendmsg(MSG_DEALLOC_VGPRS)
	s_endpgm
	.section	.rodata,"a",@progbits
	.p2align	6, 0x0
	.amdhsa_kernel _ZN7rocprim17ROCPRIM_400000_NS6detail17trampoline_kernelINS0_14default_configENS1_25transform_config_selectorIlLb0EEEZNS1_14transform_implILb0ES3_S5_NS0_18transform_iteratorINS0_17counting_iteratorImlEEZNS1_24adjacent_difference_implIS3_Lb1ELb0EPlSB_ZN2at6native12_GLOBAL__N_124unique_dim_cuda_templateIN3c104HalfEEESt5tupleIJNSC_6TensorESJ_SJ_EERKSJ_lbbbEUlllE1_EE10hipError_tPvRmT2_T3_mT4_P12ihipStream_tbEUlmE_lEESB_NS0_8identityIvEEEESO_SR_SS_mST_SV_bEUlT_E_NS1_11comp_targetILNS1_3genE9ELNS1_11target_archE1100ELNS1_3gpuE3ELNS1_3repE0EEENS1_30default_config_static_selectorELNS0_4arch9wavefront6targetE0EEEvT1_
		.amdhsa_group_segment_fixed_size 0
		.amdhsa_private_segment_fixed_size 0
		.amdhsa_kernarg_size 312
		.amdhsa_user_sgpr_count 15
		.amdhsa_user_sgpr_dispatch_ptr 0
		.amdhsa_user_sgpr_queue_ptr 0
		.amdhsa_user_sgpr_kernarg_segment_ptr 1
		.amdhsa_user_sgpr_dispatch_id 0
		.amdhsa_user_sgpr_private_segment_size 0
		.amdhsa_wavefront_size32 1
		.amdhsa_uses_dynamic_stack 0
		.amdhsa_enable_private_segment 0
		.amdhsa_system_sgpr_workgroup_id_x 1
		.amdhsa_system_sgpr_workgroup_id_y 0
		.amdhsa_system_sgpr_workgroup_id_z 0
		.amdhsa_system_sgpr_workgroup_info 0
		.amdhsa_system_vgpr_workitem_id 0
		.amdhsa_next_free_vgpr 6
		.amdhsa_next_free_sgpr 16
		.amdhsa_reserve_vcc 1
		.amdhsa_float_round_mode_32 0
		.amdhsa_float_round_mode_16_64 0
		.amdhsa_float_denorm_mode_32 3
		.amdhsa_float_denorm_mode_16_64 3
		.amdhsa_dx10_clamp 1
		.amdhsa_ieee_mode 1
		.amdhsa_fp16_overflow 0
		.amdhsa_workgroup_processor_mode 1
		.amdhsa_memory_ordered 1
		.amdhsa_forward_progress 0
		.amdhsa_shared_vgpr_count 0
		.amdhsa_exception_fp_ieee_invalid_op 0
		.amdhsa_exception_fp_denorm_src 0
		.amdhsa_exception_fp_ieee_div_zero 0
		.amdhsa_exception_fp_ieee_overflow 0
		.amdhsa_exception_fp_ieee_underflow 0
		.amdhsa_exception_fp_ieee_inexact 0
		.amdhsa_exception_int_div_zero 0
	.end_amdhsa_kernel
	.section	.text._ZN7rocprim17ROCPRIM_400000_NS6detail17trampoline_kernelINS0_14default_configENS1_25transform_config_selectorIlLb0EEEZNS1_14transform_implILb0ES3_S5_NS0_18transform_iteratorINS0_17counting_iteratorImlEEZNS1_24adjacent_difference_implIS3_Lb1ELb0EPlSB_ZN2at6native12_GLOBAL__N_124unique_dim_cuda_templateIN3c104HalfEEESt5tupleIJNSC_6TensorESJ_SJ_EERKSJ_lbbbEUlllE1_EE10hipError_tPvRmT2_T3_mT4_P12ihipStream_tbEUlmE_lEESB_NS0_8identityIvEEEESO_SR_SS_mST_SV_bEUlT_E_NS1_11comp_targetILNS1_3genE9ELNS1_11target_archE1100ELNS1_3gpuE3ELNS1_3repE0EEENS1_30default_config_static_selectorELNS0_4arch9wavefront6targetE0EEEvT1_,"axG",@progbits,_ZN7rocprim17ROCPRIM_400000_NS6detail17trampoline_kernelINS0_14default_configENS1_25transform_config_selectorIlLb0EEEZNS1_14transform_implILb0ES3_S5_NS0_18transform_iteratorINS0_17counting_iteratorImlEEZNS1_24adjacent_difference_implIS3_Lb1ELb0EPlSB_ZN2at6native12_GLOBAL__N_124unique_dim_cuda_templateIN3c104HalfEEESt5tupleIJNSC_6TensorESJ_SJ_EERKSJ_lbbbEUlllE1_EE10hipError_tPvRmT2_T3_mT4_P12ihipStream_tbEUlmE_lEESB_NS0_8identityIvEEEESO_SR_SS_mST_SV_bEUlT_E_NS1_11comp_targetILNS1_3genE9ELNS1_11target_archE1100ELNS1_3gpuE3ELNS1_3repE0EEENS1_30default_config_static_selectorELNS0_4arch9wavefront6targetE0EEEvT1_,comdat
.Lfunc_end1285:
	.size	_ZN7rocprim17ROCPRIM_400000_NS6detail17trampoline_kernelINS0_14default_configENS1_25transform_config_selectorIlLb0EEEZNS1_14transform_implILb0ES3_S5_NS0_18transform_iteratorINS0_17counting_iteratorImlEEZNS1_24adjacent_difference_implIS3_Lb1ELb0EPlSB_ZN2at6native12_GLOBAL__N_124unique_dim_cuda_templateIN3c104HalfEEESt5tupleIJNSC_6TensorESJ_SJ_EERKSJ_lbbbEUlllE1_EE10hipError_tPvRmT2_T3_mT4_P12ihipStream_tbEUlmE_lEESB_NS0_8identityIvEEEESO_SR_SS_mST_SV_bEUlT_E_NS1_11comp_targetILNS1_3genE9ELNS1_11target_archE1100ELNS1_3gpuE3ELNS1_3repE0EEENS1_30default_config_static_selectorELNS0_4arch9wavefront6targetE0EEEvT1_, .Lfunc_end1285-_ZN7rocprim17ROCPRIM_400000_NS6detail17trampoline_kernelINS0_14default_configENS1_25transform_config_selectorIlLb0EEEZNS1_14transform_implILb0ES3_S5_NS0_18transform_iteratorINS0_17counting_iteratorImlEEZNS1_24adjacent_difference_implIS3_Lb1ELb0EPlSB_ZN2at6native12_GLOBAL__N_124unique_dim_cuda_templateIN3c104HalfEEESt5tupleIJNSC_6TensorESJ_SJ_EERKSJ_lbbbEUlllE1_EE10hipError_tPvRmT2_T3_mT4_P12ihipStream_tbEUlmE_lEESB_NS0_8identityIvEEEESO_SR_SS_mST_SV_bEUlT_E_NS1_11comp_targetILNS1_3genE9ELNS1_11target_archE1100ELNS1_3gpuE3ELNS1_3repE0EEENS1_30default_config_static_selectorELNS0_4arch9wavefront6targetE0EEEvT1_
                                        ; -- End function
	.section	.AMDGPU.csdata,"",@progbits
; Kernel info:
; codeLenInByte = 400
; NumSgprs: 18
; NumVgprs: 6
; ScratchSize: 0
; MemoryBound: 0
; FloatMode: 240
; IeeeMode: 1
; LDSByteSize: 0 bytes/workgroup (compile time only)
; SGPRBlocks: 2
; VGPRBlocks: 0
; NumSGPRsForWavesPerEU: 18
; NumVGPRsForWavesPerEU: 6
; Occupancy: 16
; WaveLimiterHint : 0
; COMPUTE_PGM_RSRC2:SCRATCH_EN: 0
; COMPUTE_PGM_RSRC2:USER_SGPR: 15
; COMPUTE_PGM_RSRC2:TRAP_HANDLER: 0
; COMPUTE_PGM_RSRC2:TGID_X_EN: 1
; COMPUTE_PGM_RSRC2:TGID_Y_EN: 0
; COMPUTE_PGM_RSRC2:TGID_Z_EN: 0
; COMPUTE_PGM_RSRC2:TIDIG_COMP_CNT: 0
	.section	.text._ZN7rocprim17ROCPRIM_400000_NS6detail17trampoline_kernelINS0_14default_configENS1_25transform_config_selectorIlLb0EEEZNS1_14transform_implILb0ES3_S5_NS0_18transform_iteratorINS0_17counting_iteratorImlEEZNS1_24adjacent_difference_implIS3_Lb1ELb0EPlSB_ZN2at6native12_GLOBAL__N_124unique_dim_cuda_templateIN3c104HalfEEESt5tupleIJNSC_6TensorESJ_SJ_EERKSJ_lbbbEUlllE1_EE10hipError_tPvRmT2_T3_mT4_P12ihipStream_tbEUlmE_lEESB_NS0_8identityIvEEEESO_SR_SS_mST_SV_bEUlT_E_NS1_11comp_targetILNS1_3genE8ELNS1_11target_archE1030ELNS1_3gpuE2ELNS1_3repE0EEENS1_30default_config_static_selectorELNS0_4arch9wavefront6targetE0EEEvT1_,"axG",@progbits,_ZN7rocprim17ROCPRIM_400000_NS6detail17trampoline_kernelINS0_14default_configENS1_25transform_config_selectorIlLb0EEEZNS1_14transform_implILb0ES3_S5_NS0_18transform_iteratorINS0_17counting_iteratorImlEEZNS1_24adjacent_difference_implIS3_Lb1ELb0EPlSB_ZN2at6native12_GLOBAL__N_124unique_dim_cuda_templateIN3c104HalfEEESt5tupleIJNSC_6TensorESJ_SJ_EERKSJ_lbbbEUlllE1_EE10hipError_tPvRmT2_T3_mT4_P12ihipStream_tbEUlmE_lEESB_NS0_8identityIvEEEESO_SR_SS_mST_SV_bEUlT_E_NS1_11comp_targetILNS1_3genE8ELNS1_11target_archE1030ELNS1_3gpuE2ELNS1_3repE0EEENS1_30default_config_static_selectorELNS0_4arch9wavefront6targetE0EEEvT1_,comdat
	.globl	_ZN7rocprim17ROCPRIM_400000_NS6detail17trampoline_kernelINS0_14default_configENS1_25transform_config_selectorIlLb0EEEZNS1_14transform_implILb0ES3_S5_NS0_18transform_iteratorINS0_17counting_iteratorImlEEZNS1_24adjacent_difference_implIS3_Lb1ELb0EPlSB_ZN2at6native12_GLOBAL__N_124unique_dim_cuda_templateIN3c104HalfEEESt5tupleIJNSC_6TensorESJ_SJ_EERKSJ_lbbbEUlllE1_EE10hipError_tPvRmT2_T3_mT4_P12ihipStream_tbEUlmE_lEESB_NS0_8identityIvEEEESO_SR_SS_mST_SV_bEUlT_E_NS1_11comp_targetILNS1_3genE8ELNS1_11target_archE1030ELNS1_3gpuE2ELNS1_3repE0EEENS1_30default_config_static_selectorELNS0_4arch9wavefront6targetE0EEEvT1_ ; -- Begin function _ZN7rocprim17ROCPRIM_400000_NS6detail17trampoline_kernelINS0_14default_configENS1_25transform_config_selectorIlLb0EEEZNS1_14transform_implILb0ES3_S5_NS0_18transform_iteratorINS0_17counting_iteratorImlEEZNS1_24adjacent_difference_implIS3_Lb1ELb0EPlSB_ZN2at6native12_GLOBAL__N_124unique_dim_cuda_templateIN3c104HalfEEESt5tupleIJNSC_6TensorESJ_SJ_EERKSJ_lbbbEUlllE1_EE10hipError_tPvRmT2_T3_mT4_P12ihipStream_tbEUlmE_lEESB_NS0_8identityIvEEEESO_SR_SS_mST_SV_bEUlT_E_NS1_11comp_targetILNS1_3genE8ELNS1_11target_archE1030ELNS1_3gpuE2ELNS1_3repE0EEENS1_30default_config_static_selectorELNS0_4arch9wavefront6targetE0EEEvT1_
	.p2align	8
	.type	_ZN7rocprim17ROCPRIM_400000_NS6detail17trampoline_kernelINS0_14default_configENS1_25transform_config_selectorIlLb0EEEZNS1_14transform_implILb0ES3_S5_NS0_18transform_iteratorINS0_17counting_iteratorImlEEZNS1_24adjacent_difference_implIS3_Lb1ELb0EPlSB_ZN2at6native12_GLOBAL__N_124unique_dim_cuda_templateIN3c104HalfEEESt5tupleIJNSC_6TensorESJ_SJ_EERKSJ_lbbbEUlllE1_EE10hipError_tPvRmT2_T3_mT4_P12ihipStream_tbEUlmE_lEESB_NS0_8identityIvEEEESO_SR_SS_mST_SV_bEUlT_E_NS1_11comp_targetILNS1_3genE8ELNS1_11target_archE1030ELNS1_3gpuE2ELNS1_3repE0EEENS1_30default_config_static_selectorELNS0_4arch9wavefront6targetE0EEEvT1_,@function
_ZN7rocprim17ROCPRIM_400000_NS6detail17trampoline_kernelINS0_14default_configENS1_25transform_config_selectorIlLb0EEEZNS1_14transform_implILb0ES3_S5_NS0_18transform_iteratorINS0_17counting_iteratorImlEEZNS1_24adjacent_difference_implIS3_Lb1ELb0EPlSB_ZN2at6native12_GLOBAL__N_124unique_dim_cuda_templateIN3c104HalfEEESt5tupleIJNSC_6TensorESJ_SJ_EERKSJ_lbbbEUlllE1_EE10hipError_tPvRmT2_T3_mT4_P12ihipStream_tbEUlmE_lEESB_NS0_8identityIvEEEESO_SR_SS_mST_SV_bEUlT_E_NS1_11comp_targetILNS1_3genE8ELNS1_11target_archE1030ELNS1_3gpuE2ELNS1_3repE0EEENS1_30default_config_static_selectorELNS0_4arch9wavefront6targetE0EEEvT1_: ; @_ZN7rocprim17ROCPRIM_400000_NS6detail17trampoline_kernelINS0_14default_configENS1_25transform_config_selectorIlLb0EEEZNS1_14transform_implILb0ES3_S5_NS0_18transform_iteratorINS0_17counting_iteratorImlEEZNS1_24adjacent_difference_implIS3_Lb1ELb0EPlSB_ZN2at6native12_GLOBAL__N_124unique_dim_cuda_templateIN3c104HalfEEESt5tupleIJNSC_6TensorESJ_SJ_EERKSJ_lbbbEUlllE1_EE10hipError_tPvRmT2_T3_mT4_P12ihipStream_tbEUlmE_lEESB_NS0_8identityIvEEEESO_SR_SS_mST_SV_bEUlT_E_NS1_11comp_targetILNS1_3genE8ELNS1_11target_archE1030ELNS1_3gpuE2ELNS1_3repE0EEENS1_30default_config_static_selectorELNS0_4arch9wavefront6targetE0EEEvT1_
; %bb.0:
	.section	.rodata,"a",@progbits
	.p2align	6, 0x0
	.amdhsa_kernel _ZN7rocprim17ROCPRIM_400000_NS6detail17trampoline_kernelINS0_14default_configENS1_25transform_config_selectorIlLb0EEEZNS1_14transform_implILb0ES3_S5_NS0_18transform_iteratorINS0_17counting_iteratorImlEEZNS1_24adjacent_difference_implIS3_Lb1ELb0EPlSB_ZN2at6native12_GLOBAL__N_124unique_dim_cuda_templateIN3c104HalfEEESt5tupleIJNSC_6TensorESJ_SJ_EERKSJ_lbbbEUlllE1_EE10hipError_tPvRmT2_T3_mT4_P12ihipStream_tbEUlmE_lEESB_NS0_8identityIvEEEESO_SR_SS_mST_SV_bEUlT_E_NS1_11comp_targetILNS1_3genE8ELNS1_11target_archE1030ELNS1_3gpuE2ELNS1_3repE0EEENS1_30default_config_static_selectorELNS0_4arch9wavefront6targetE0EEEvT1_
		.amdhsa_group_segment_fixed_size 0
		.amdhsa_private_segment_fixed_size 0
		.amdhsa_kernarg_size 56
		.amdhsa_user_sgpr_count 15
		.amdhsa_user_sgpr_dispatch_ptr 0
		.amdhsa_user_sgpr_queue_ptr 0
		.amdhsa_user_sgpr_kernarg_segment_ptr 1
		.amdhsa_user_sgpr_dispatch_id 0
		.amdhsa_user_sgpr_private_segment_size 0
		.amdhsa_wavefront_size32 1
		.amdhsa_uses_dynamic_stack 0
		.amdhsa_enable_private_segment 0
		.amdhsa_system_sgpr_workgroup_id_x 1
		.amdhsa_system_sgpr_workgroup_id_y 0
		.amdhsa_system_sgpr_workgroup_id_z 0
		.amdhsa_system_sgpr_workgroup_info 0
		.amdhsa_system_vgpr_workitem_id 0
		.amdhsa_next_free_vgpr 1
		.amdhsa_next_free_sgpr 1
		.amdhsa_reserve_vcc 0
		.amdhsa_float_round_mode_32 0
		.amdhsa_float_round_mode_16_64 0
		.amdhsa_float_denorm_mode_32 3
		.amdhsa_float_denorm_mode_16_64 3
		.amdhsa_dx10_clamp 1
		.amdhsa_ieee_mode 1
		.amdhsa_fp16_overflow 0
		.amdhsa_workgroup_processor_mode 1
		.amdhsa_memory_ordered 1
		.amdhsa_forward_progress 0
		.amdhsa_shared_vgpr_count 0
		.amdhsa_exception_fp_ieee_invalid_op 0
		.amdhsa_exception_fp_denorm_src 0
		.amdhsa_exception_fp_ieee_div_zero 0
		.amdhsa_exception_fp_ieee_overflow 0
		.amdhsa_exception_fp_ieee_underflow 0
		.amdhsa_exception_fp_ieee_inexact 0
		.amdhsa_exception_int_div_zero 0
	.end_amdhsa_kernel
	.section	.text._ZN7rocprim17ROCPRIM_400000_NS6detail17trampoline_kernelINS0_14default_configENS1_25transform_config_selectorIlLb0EEEZNS1_14transform_implILb0ES3_S5_NS0_18transform_iteratorINS0_17counting_iteratorImlEEZNS1_24adjacent_difference_implIS3_Lb1ELb0EPlSB_ZN2at6native12_GLOBAL__N_124unique_dim_cuda_templateIN3c104HalfEEESt5tupleIJNSC_6TensorESJ_SJ_EERKSJ_lbbbEUlllE1_EE10hipError_tPvRmT2_T3_mT4_P12ihipStream_tbEUlmE_lEESB_NS0_8identityIvEEEESO_SR_SS_mST_SV_bEUlT_E_NS1_11comp_targetILNS1_3genE8ELNS1_11target_archE1030ELNS1_3gpuE2ELNS1_3repE0EEENS1_30default_config_static_selectorELNS0_4arch9wavefront6targetE0EEEvT1_,"axG",@progbits,_ZN7rocprim17ROCPRIM_400000_NS6detail17trampoline_kernelINS0_14default_configENS1_25transform_config_selectorIlLb0EEEZNS1_14transform_implILb0ES3_S5_NS0_18transform_iteratorINS0_17counting_iteratorImlEEZNS1_24adjacent_difference_implIS3_Lb1ELb0EPlSB_ZN2at6native12_GLOBAL__N_124unique_dim_cuda_templateIN3c104HalfEEESt5tupleIJNSC_6TensorESJ_SJ_EERKSJ_lbbbEUlllE1_EE10hipError_tPvRmT2_T3_mT4_P12ihipStream_tbEUlmE_lEESB_NS0_8identityIvEEEESO_SR_SS_mST_SV_bEUlT_E_NS1_11comp_targetILNS1_3genE8ELNS1_11target_archE1030ELNS1_3gpuE2ELNS1_3repE0EEENS1_30default_config_static_selectorELNS0_4arch9wavefront6targetE0EEEvT1_,comdat
.Lfunc_end1286:
	.size	_ZN7rocprim17ROCPRIM_400000_NS6detail17trampoline_kernelINS0_14default_configENS1_25transform_config_selectorIlLb0EEEZNS1_14transform_implILb0ES3_S5_NS0_18transform_iteratorINS0_17counting_iteratorImlEEZNS1_24adjacent_difference_implIS3_Lb1ELb0EPlSB_ZN2at6native12_GLOBAL__N_124unique_dim_cuda_templateIN3c104HalfEEESt5tupleIJNSC_6TensorESJ_SJ_EERKSJ_lbbbEUlllE1_EE10hipError_tPvRmT2_T3_mT4_P12ihipStream_tbEUlmE_lEESB_NS0_8identityIvEEEESO_SR_SS_mST_SV_bEUlT_E_NS1_11comp_targetILNS1_3genE8ELNS1_11target_archE1030ELNS1_3gpuE2ELNS1_3repE0EEENS1_30default_config_static_selectorELNS0_4arch9wavefront6targetE0EEEvT1_, .Lfunc_end1286-_ZN7rocprim17ROCPRIM_400000_NS6detail17trampoline_kernelINS0_14default_configENS1_25transform_config_selectorIlLb0EEEZNS1_14transform_implILb0ES3_S5_NS0_18transform_iteratorINS0_17counting_iteratorImlEEZNS1_24adjacent_difference_implIS3_Lb1ELb0EPlSB_ZN2at6native12_GLOBAL__N_124unique_dim_cuda_templateIN3c104HalfEEESt5tupleIJNSC_6TensorESJ_SJ_EERKSJ_lbbbEUlllE1_EE10hipError_tPvRmT2_T3_mT4_P12ihipStream_tbEUlmE_lEESB_NS0_8identityIvEEEESO_SR_SS_mST_SV_bEUlT_E_NS1_11comp_targetILNS1_3genE8ELNS1_11target_archE1030ELNS1_3gpuE2ELNS1_3repE0EEENS1_30default_config_static_selectorELNS0_4arch9wavefront6targetE0EEEvT1_
                                        ; -- End function
	.section	.AMDGPU.csdata,"",@progbits
; Kernel info:
; codeLenInByte = 0
; NumSgprs: 0
; NumVgprs: 0
; ScratchSize: 0
; MemoryBound: 0
; FloatMode: 240
; IeeeMode: 1
; LDSByteSize: 0 bytes/workgroup (compile time only)
; SGPRBlocks: 0
; VGPRBlocks: 0
; NumSGPRsForWavesPerEU: 1
; NumVGPRsForWavesPerEU: 1
; Occupancy: 16
; WaveLimiterHint : 0
; COMPUTE_PGM_RSRC2:SCRATCH_EN: 0
; COMPUTE_PGM_RSRC2:USER_SGPR: 15
; COMPUTE_PGM_RSRC2:TRAP_HANDLER: 0
; COMPUTE_PGM_RSRC2:TGID_X_EN: 1
; COMPUTE_PGM_RSRC2:TGID_Y_EN: 0
; COMPUTE_PGM_RSRC2:TGID_Z_EN: 0
; COMPUTE_PGM_RSRC2:TIDIG_COMP_CNT: 0
	.section	.text._ZN7rocprim17ROCPRIM_400000_NS6detail17trampoline_kernelINS0_14default_configENS1_35adjacent_difference_config_selectorILb1ElEEZNS1_24adjacent_difference_implIS3_Lb1ELb0EPlS7_ZN2at6native12_GLOBAL__N_124unique_dim_cuda_templateIN3c104HalfEEESt5tupleIJNS8_6TensorESF_SF_EERKSF_lbbbEUlllE1_EE10hipError_tPvRmT2_T3_mT4_P12ihipStream_tbEUlT_E_NS1_11comp_targetILNS1_3genE0ELNS1_11target_archE4294967295ELNS1_3gpuE0ELNS1_3repE0EEENS1_30default_config_static_selectorELNS0_4arch9wavefront6targetE0EEEvT1_,"axG",@progbits,_ZN7rocprim17ROCPRIM_400000_NS6detail17trampoline_kernelINS0_14default_configENS1_35adjacent_difference_config_selectorILb1ElEEZNS1_24adjacent_difference_implIS3_Lb1ELb0EPlS7_ZN2at6native12_GLOBAL__N_124unique_dim_cuda_templateIN3c104HalfEEESt5tupleIJNS8_6TensorESF_SF_EERKSF_lbbbEUlllE1_EE10hipError_tPvRmT2_T3_mT4_P12ihipStream_tbEUlT_E_NS1_11comp_targetILNS1_3genE0ELNS1_11target_archE4294967295ELNS1_3gpuE0ELNS1_3repE0EEENS1_30default_config_static_selectorELNS0_4arch9wavefront6targetE0EEEvT1_,comdat
	.globl	_ZN7rocprim17ROCPRIM_400000_NS6detail17trampoline_kernelINS0_14default_configENS1_35adjacent_difference_config_selectorILb1ElEEZNS1_24adjacent_difference_implIS3_Lb1ELb0EPlS7_ZN2at6native12_GLOBAL__N_124unique_dim_cuda_templateIN3c104HalfEEESt5tupleIJNS8_6TensorESF_SF_EERKSF_lbbbEUlllE1_EE10hipError_tPvRmT2_T3_mT4_P12ihipStream_tbEUlT_E_NS1_11comp_targetILNS1_3genE0ELNS1_11target_archE4294967295ELNS1_3gpuE0ELNS1_3repE0EEENS1_30default_config_static_selectorELNS0_4arch9wavefront6targetE0EEEvT1_ ; -- Begin function _ZN7rocprim17ROCPRIM_400000_NS6detail17trampoline_kernelINS0_14default_configENS1_35adjacent_difference_config_selectorILb1ElEEZNS1_24adjacent_difference_implIS3_Lb1ELb0EPlS7_ZN2at6native12_GLOBAL__N_124unique_dim_cuda_templateIN3c104HalfEEESt5tupleIJNS8_6TensorESF_SF_EERKSF_lbbbEUlllE1_EE10hipError_tPvRmT2_T3_mT4_P12ihipStream_tbEUlT_E_NS1_11comp_targetILNS1_3genE0ELNS1_11target_archE4294967295ELNS1_3gpuE0ELNS1_3repE0EEENS1_30default_config_static_selectorELNS0_4arch9wavefront6targetE0EEEvT1_
	.p2align	8
	.type	_ZN7rocprim17ROCPRIM_400000_NS6detail17trampoline_kernelINS0_14default_configENS1_35adjacent_difference_config_selectorILb1ElEEZNS1_24adjacent_difference_implIS3_Lb1ELb0EPlS7_ZN2at6native12_GLOBAL__N_124unique_dim_cuda_templateIN3c104HalfEEESt5tupleIJNS8_6TensorESF_SF_EERKSF_lbbbEUlllE1_EE10hipError_tPvRmT2_T3_mT4_P12ihipStream_tbEUlT_E_NS1_11comp_targetILNS1_3genE0ELNS1_11target_archE4294967295ELNS1_3gpuE0ELNS1_3repE0EEENS1_30default_config_static_selectorELNS0_4arch9wavefront6targetE0EEEvT1_,@function
_ZN7rocprim17ROCPRIM_400000_NS6detail17trampoline_kernelINS0_14default_configENS1_35adjacent_difference_config_selectorILb1ElEEZNS1_24adjacent_difference_implIS3_Lb1ELb0EPlS7_ZN2at6native12_GLOBAL__N_124unique_dim_cuda_templateIN3c104HalfEEESt5tupleIJNS8_6TensorESF_SF_EERKSF_lbbbEUlllE1_EE10hipError_tPvRmT2_T3_mT4_P12ihipStream_tbEUlT_E_NS1_11comp_targetILNS1_3genE0ELNS1_11target_archE4294967295ELNS1_3gpuE0ELNS1_3repE0EEENS1_30default_config_static_selectorELNS0_4arch9wavefront6targetE0EEEvT1_: ; @_ZN7rocprim17ROCPRIM_400000_NS6detail17trampoline_kernelINS0_14default_configENS1_35adjacent_difference_config_selectorILb1ElEEZNS1_24adjacent_difference_implIS3_Lb1ELb0EPlS7_ZN2at6native12_GLOBAL__N_124unique_dim_cuda_templateIN3c104HalfEEESt5tupleIJNS8_6TensorESF_SF_EERKSF_lbbbEUlllE1_EE10hipError_tPvRmT2_T3_mT4_P12ihipStream_tbEUlT_E_NS1_11comp_targetILNS1_3genE0ELNS1_11target_archE4294967295ELNS1_3gpuE0ELNS1_3repE0EEENS1_30default_config_static_selectorELNS0_4arch9wavefront6targetE0EEEvT1_
; %bb.0:
	.section	.rodata,"a",@progbits
	.p2align	6, 0x0
	.amdhsa_kernel _ZN7rocprim17ROCPRIM_400000_NS6detail17trampoline_kernelINS0_14default_configENS1_35adjacent_difference_config_selectorILb1ElEEZNS1_24adjacent_difference_implIS3_Lb1ELb0EPlS7_ZN2at6native12_GLOBAL__N_124unique_dim_cuda_templateIN3c104HalfEEESt5tupleIJNS8_6TensorESF_SF_EERKSF_lbbbEUlllE1_EE10hipError_tPvRmT2_T3_mT4_P12ihipStream_tbEUlT_E_NS1_11comp_targetILNS1_3genE0ELNS1_11target_archE4294967295ELNS1_3gpuE0ELNS1_3repE0EEENS1_30default_config_static_selectorELNS0_4arch9wavefront6targetE0EEEvT1_
		.amdhsa_group_segment_fixed_size 0
		.amdhsa_private_segment_fixed_size 0
		.amdhsa_kernarg_size 64
		.amdhsa_user_sgpr_count 15
		.amdhsa_user_sgpr_dispatch_ptr 0
		.amdhsa_user_sgpr_queue_ptr 0
		.amdhsa_user_sgpr_kernarg_segment_ptr 1
		.amdhsa_user_sgpr_dispatch_id 0
		.amdhsa_user_sgpr_private_segment_size 0
		.amdhsa_wavefront_size32 1
		.amdhsa_uses_dynamic_stack 0
		.amdhsa_enable_private_segment 0
		.amdhsa_system_sgpr_workgroup_id_x 1
		.amdhsa_system_sgpr_workgroup_id_y 0
		.amdhsa_system_sgpr_workgroup_id_z 0
		.amdhsa_system_sgpr_workgroup_info 0
		.amdhsa_system_vgpr_workitem_id 0
		.amdhsa_next_free_vgpr 1
		.amdhsa_next_free_sgpr 1
		.amdhsa_reserve_vcc 0
		.amdhsa_float_round_mode_32 0
		.amdhsa_float_round_mode_16_64 0
		.amdhsa_float_denorm_mode_32 3
		.amdhsa_float_denorm_mode_16_64 3
		.amdhsa_dx10_clamp 1
		.amdhsa_ieee_mode 1
		.amdhsa_fp16_overflow 0
		.amdhsa_workgroup_processor_mode 1
		.amdhsa_memory_ordered 1
		.amdhsa_forward_progress 0
		.amdhsa_shared_vgpr_count 0
		.amdhsa_exception_fp_ieee_invalid_op 0
		.amdhsa_exception_fp_denorm_src 0
		.amdhsa_exception_fp_ieee_div_zero 0
		.amdhsa_exception_fp_ieee_overflow 0
		.amdhsa_exception_fp_ieee_underflow 0
		.amdhsa_exception_fp_ieee_inexact 0
		.amdhsa_exception_int_div_zero 0
	.end_amdhsa_kernel
	.section	.text._ZN7rocprim17ROCPRIM_400000_NS6detail17trampoline_kernelINS0_14default_configENS1_35adjacent_difference_config_selectorILb1ElEEZNS1_24adjacent_difference_implIS3_Lb1ELb0EPlS7_ZN2at6native12_GLOBAL__N_124unique_dim_cuda_templateIN3c104HalfEEESt5tupleIJNS8_6TensorESF_SF_EERKSF_lbbbEUlllE1_EE10hipError_tPvRmT2_T3_mT4_P12ihipStream_tbEUlT_E_NS1_11comp_targetILNS1_3genE0ELNS1_11target_archE4294967295ELNS1_3gpuE0ELNS1_3repE0EEENS1_30default_config_static_selectorELNS0_4arch9wavefront6targetE0EEEvT1_,"axG",@progbits,_ZN7rocprim17ROCPRIM_400000_NS6detail17trampoline_kernelINS0_14default_configENS1_35adjacent_difference_config_selectorILb1ElEEZNS1_24adjacent_difference_implIS3_Lb1ELb0EPlS7_ZN2at6native12_GLOBAL__N_124unique_dim_cuda_templateIN3c104HalfEEESt5tupleIJNS8_6TensorESF_SF_EERKSF_lbbbEUlllE1_EE10hipError_tPvRmT2_T3_mT4_P12ihipStream_tbEUlT_E_NS1_11comp_targetILNS1_3genE0ELNS1_11target_archE4294967295ELNS1_3gpuE0ELNS1_3repE0EEENS1_30default_config_static_selectorELNS0_4arch9wavefront6targetE0EEEvT1_,comdat
.Lfunc_end1287:
	.size	_ZN7rocprim17ROCPRIM_400000_NS6detail17trampoline_kernelINS0_14default_configENS1_35adjacent_difference_config_selectorILb1ElEEZNS1_24adjacent_difference_implIS3_Lb1ELb0EPlS7_ZN2at6native12_GLOBAL__N_124unique_dim_cuda_templateIN3c104HalfEEESt5tupleIJNS8_6TensorESF_SF_EERKSF_lbbbEUlllE1_EE10hipError_tPvRmT2_T3_mT4_P12ihipStream_tbEUlT_E_NS1_11comp_targetILNS1_3genE0ELNS1_11target_archE4294967295ELNS1_3gpuE0ELNS1_3repE0EEENS1_30default_config_static_selectorELNS0_4arch9wavefront6targetE0EEEvT1_, .Lfunc_end1287-_ZN7rocprim17ROCPRIM_400000_NS6detail17trampoline_kernelINS0_14default_configENS1_35adjacent_difference_config_selectorILb1ElEEZNS1_24adjacent_difference_implIS3_Lb1ELb0EPlS7_ZN2at6native12_GLOBAL__N_124unique_dim_cuda_templateIN3c104HalfEEESt5tupleIJNS8_6TensorESF_SF_EERKSF_lbbbEUlllE1_EE10hipError_tPvRmT2_T3_mT4_P12ihipStream_tbEUlT_E_NS1_11comp_targetILNS1_3genE0ELNS1_11target_archE4294967295ELNS1_3gpuE0ELNS1_3repE0EEENS1_30default_config_static_selectorELNS0_4arch9wavefront6targetE0EEEvT1_
                                        ; -- End function
	.section	.AMDGPU.csdata,"",@progbits
; Kernel info:
; codeLenInByte = 0
; NumSgprs: 0
; NumVgprs: 0
; ScratchSize: 0
; MemoryBound: 0
; FloatMode: 240
; IeeeMode: 1
; LDSByteSize: 0 bytes/workgroup (compile time only)
; SGPRBlocks: 0
; VGPRBlocks: 0
; NumSGPRsForWavesPerEU: 1
; NumVGPRsForWavesPerEU: 1
; Occupancy: 16
; WaveLimiterHint : 0
; COMPUTE_PGM_RSRC2:SCRATCH_EN: 0
; COMPUTE_PGM_RSRC2:USER_SGPR: 15
; COMPUTE_PGM_RSRC2:TRAP_HANDLER: 0
; COMPUTE_PGM_RSRC2:TGID_X_EN: 1
; COMPUTE_PGM_RSRC2:TGID_Y_EN: 0
; COMPUTE_PGM_RSRC2:TGID_Z_EN: 0
; COMPUTE_PGM_RSRC2:TIDIG_COMP_CNT: 0
	.section	.text._ZN7rocprim17ROCPRIM_400000_NS6detail17trampoline_kernelINS0_14default_configENS1_35adjacent_difference_config_selectorILb1ElEEZNS1_24adjacent_difference_implIS3_Lb1ELb0EPlS7_ZN2at6native12_GLOBAL__N_124unique_dim_cuda_templateIN3c104HalfEEESt5tupleIJNS8_6TensorESF_SF_EERKSF_lbbbEUlllE1_EE10hipError_tPvRmT2_T3_mT4_P12ihipStream_tbEUlT_E_NS1_11comp_targetILNS1_3genE10ELNS1_11target_archE1201ELNS1_3gpuE5ELNS1_3repE0EEENS1_30default_config_static_selectorELNS0_4arch9wavefront6targetE0EEEvT1_,"axG",@progbits,_ZN7rocprim17ROCPRIM_400000_NS6detail17trampoline_kernelINS0_14default_configENS1_35adjacent_difference_config_selectorILb1ElEEZNS1_24adjacent_difference_implIS3_Lb1ELb0EPlS7_ZN2at6native12_GLOBAL__N_124unique_dim_cuda_templateIN3c104HalfEEESt5tupleIJNS8_6TensorESF_SF_EERKSF_lbbbEUlllE1_EE10hipError_tPvRmT2_T3_mT4_P12ihipStream_tbEUlT_E_NS1_11comp_targetILNS1_3genE10ELNS1_11target_archE1201ELNS1_3gpuE5ELNS1_3repE0EEENS1_30default_config_static_selectorELNS0_4arch9wavefront6targetE0EEEvT1_,comdat
	.globl	_ZN7rocprim17ROCPRIM_400000_NS6detail17trampoline_kernelINS0_14default_configENS1_35adjacent_difference_config_selectorILb1ElEEZNS1_24adjacent_difference_implIS3_Lb1ELb0EPlS7_ZN2at6native12_GLOBAL__N_124unique_dim_cuda_templateIN3c104HalfEEESt5tupleIJNS8_6TensorESF_SF_EERKSF_lbbbEUlllE1_EE10hipError_tPvRmT2_T3_mT4_P12ihipStream_tbEUlT_E_NS1_11comp_targetILNS1_3genE10ELNS1_11target_archE1201ELNS1_3gpuE5ELNS1_3repE0EEENS1_30default_config_static_selectorELNS0_4arch9wavefront6targetE0EEEvT1_ ; -- Begin function _ZN7rocprim17ROCPRIM_400000_NS6detail17trampoline_kernelINS0_14default_configENS1_35adjacent_difference_config_selectorILb1ElEEZNS1_24adjacent_difference_implIS3_Lb1ELb0EPlS7_ZN2at6native12_GLOBAL__N_124unique_dim_cuda_templateIN3c104HalfEEESt5tupleIJNS8_6TensorESF_SF_EERKSF_lbbbEUlllE1_EE10hipError_tPvRmT2_T3_mT4_P12ihipStream_tbEUlT_E_NS1_11comp_targetILNS1_3genE10ELNS1_11target_archE1201ELNS1_3gpuE5ELNS1_3repE0EEENS1_30default_config_static_selectorELNS0_4arch9wavefront6targetE0EEEvT1_
	.p2align	8
	.type	_ZN7rocprim17ROCPRIM_400000_NS6detail17trampoline_kernelINS0_14default_configENS1_35adjacent_difference_config_selectorILb1ElEEZNS1_24adjacent_difference_implIS3_Lb1ELb0EPlS7_ZN2at6native12_GLOBAL__N_124unique_dim_cuda_templateIN3c104HalfEEESt5tupleIJNS8_6TensorESF_SF_EERKSF_lbbbEUlllE1_EE10hipError_tPvRmT2_T3_mT4_P12ihipStream_tbEUlT_E_NS1_11comp_targetILNS1_3genE10ELNS1_11target_archE1201ELNS1_3gpuE5ELNS1_3repE0EEENS1_30default_config_static_selectorELNS0_4arch9wavefront6targetE0EEEvT1_,@function
_ZN7rocprim17ROCPRIM_400000_NS6detail17trampoline_kernelINS0_14default_configENS1_35adjacent_difference_config_selectorILb1ElEEZNS1_24adjacent_difference_implIS3_Lb1ELb0EPlS7_ZN2at6native12_GLOBAL__N_124unique_dim_cuda_templateIN3c104HalfEEESt5tupleIJNS8_6TensorESF_SF_EERKSF_lbbbEUlllE1_EE10hipError_tPvRmT2_T3_mT4_P12ihipStream_tbEUlT_E_NS1_11comp_targetILNS1_3genE10ELNS1_11target_archE1201ELNS1_3gpuE5ELNS1_3repE0EEENS1_30default_config_static_selectorELNS0_4arch9wavefront6targetE0EEEvT1_: ; @_ZN7rocprim17ROCPRIM_400000_NS6detail17trampoline_kernelINS0_14default_configENS1_35adjacent_difference_config_selectorILb1ElEEZNS1_24adjacent_difference_implIS3_Lb1ELb0EPlS7_ZN2at6native12_GLOBAL__N_124unique_dim_cuda_templateIN3c104HalfEEESt5tupleIJNS8_6TensorESF_SF_EERKSF_lbbbEUlllE1_EE10hipError_tPvRmT2_T3_mT4_P12ihipStream_tbEUlT_E_NS1_11comp_targetILNS1_3genE10ELNS1_11target_archE1201ELNS1_3gpuE5ELNS1_3repE0EEENS1_30default_config_static_selectorELNS0_4arch9wavefront6targetE0EEEvT1_
; %bb.0:
	.section	.rodata,"a",@progbits
	.p2align	6, 0x0
	.amdhsa_kernel _ZN7rocprim17ROCPRIM_400000_NS6detail17trampoline_kernelINS0_14default_configENS1_35adjacent_difference_config_selectorILb1ElEEZNS1_24adjacent_difference_implIS3_Lb1ELb0EPlS7_ZN2at6native12_GLOBAL__N_124unique_dim_cuda_templateIN3c104HalfEEESt5tupleIJNS8_6TensorESF_SF_EERKSF_lbbbEUlllE1_EE10hipError_tPvRmT2_T3_mT4_P12ihipStream_tbEUlT_E_NS1_11comp_targetILNS1_3genE10ELNS1_11target_archE1201ELNS1_3gpuE5ELNS1_3repE0EEENS1_30default_config_static_selectorELNS0_4arch9wavefront6targetE0EEEvT1_
		.amdhsa_group_segment_fixed_size 0
		.amdhsa_private_segment_fixed_size 0
		.amdhsa_kernarg_size 64
		.amdhsa_user_sgpr_count 15
		.amdhsa_user_sgpr_dispatch_ptr 0
		.amdhsa_user_sgpr_queue_ptr 0
		.amdhsa_user_sgpr_kernarg_segment_ptr 1
		.amdhsa_user_sgpr_dispatch_id 0
		.amdhsa_user_sgpr_private_segment_size 0
		.amdhsa_wavefront_size32 1
		.amdhsa_uses_dynamic_stack 0
		.amdhsa_enable_private_segment 0
		.amdhsa_system_sgpr_workgroup_id_x 1
		.amdhsa_system_sgpr_workgroup_id_y 0
		.amdhsa_system_sgpr_workgroup_id_z 0
		.amdhsa_system_sgpr_workgroup_info 0
		.amdhsa_system_vgpr_workitem_id 0
		.amdhsa_next_free_vgpr 1
		.amdhsa_next_free_sgpr 1
		.amdhsa_reserve_vcc 0
		.amdhsa_float_round_mode_32 0
		.amdhsa_float_round_mode_16_64 0
		.amdhsa_float_denorm_mode_32 3
		.amdhsa_float_denorm_mode_16_64 3
		.amdhsa_dx10_clamp 1
		.amdhsa_ieee_mode 1
		.amdhsa_fp16_overflow 0
		.amdhsa_workgroup_processor_mode 1
		.amdhsa_memory_ordered 1
		.amdhsa_forward_progress 0
		.amdhsa_shared_vgpr_count 0
		.amdhsa_exception_fp_ieee_invalid_op 0
		.amdhsa_exception_fp_denorm_src 0
		.amdhsa_exception_fp_ieee_div_zero 0
		.amdhsa_exception_fp_ieee_overflow 0
		.amdhsa_exception_fp_ieee_underflow 0
		.amdhsa_exception_fp_ieee_inexact 0
		.amdhsa_exception_int_div_zero 0
	.end_amdhsa_kernel
	.section	.text._ZN7rocprim17ROCPRIM_400000_NS6detail17trampoline_kernelINS0_14default_configENS1_35adjacent_difference_config_selectorILb1ElEEZNS1_24adjacent_difference_implIS3_Lb1ELb0EPlS7_ZN2at6native12_GLOBAL__N_124unique_dim_cuda_templateIN3c104HalfEEESt5tupleIJNS8_6TensorESF_SF_EERKSF_lbbbEUlllE1_EE10hipError_tPvRmT2_T3_mT4_P12ihipStream_tbEUlT_E_NS1_11comp_targetILNS1_3genE10ELNS1_11target_archE1201ELNS1_3gpuE5ELNS1_3repE0EEENS1_30default_config_static_selectorELNS0_4arch9wavefront6targetE0EEEvT1_,"axG",@progbits,_ZN7rocprim17ROCPRIM_400000_NS6detail17trampoline_kernelINS0_14default_configENS1_35adjacent_difference_config_selectorILb1ElEEZNS1_24adjacent_difference_implIS3_Lb1ELb0EPlS7_ZN2at6native12_GLOBAL__N_124unique_dim_cuda_templateIN3c104HalfEEESt5tupleIJNS8_6TensorESF_SF_EERKSF_lbbbEUlllE1_EE10hipError_tPvRmT2_T3_mT4_P12ihipStream_tbEUlT_E_NS1_11comp_targetILNS1_3genE10ELNS1_11target_archE1201ELNS1_3gpuE5ELNS1_3repE0EEENS1_30default_config_static_selectorELNS0_4arch9wavefront6targetE0EEEvT1_,comdat
.Lfunc_end1288:
	.size	_ZN7rocprim17ROCPRIM_400000_NS6detail17trampoline_kernelINS0_14default_configENS1_35adjacent_difference_config_selectorILb1ElEEZNS1_24adjacent_difference_implIS3_Lb1ELb0EPlS7_ZN2at6native12_GLOBAL__N_124unique_dim_cuda_templateIN3c104HalfEEESt5tupleIJNS8_6TensorESF_SF_EERKSF_lbbbEUlllE1_EE10hipError_tPvRmT2_T3_mT4_P12ihipStream_tbEUlT_E_NS1_11comp_targetILNS1_3genE10ELNS1_11target_archE1201ELNS1_3gpuE5ELNS1_3repE0EEENS1_30default_config_static_selectorELNS0_4arch9wavefront6targetE0EEEvT1_, .Lfunc_end1288-_ZN7rocprim17ROCPRIM_400000_NS6detail17trampoline_kernelINS0_14default_configENS1_35adjacent_difference_config_selectorILb1ElEEZNS1_24adjacent_difference_implIS3_Lb1ELb0EPlS7_ZN2at6native12_GLOBAL__N_124unique_dim_cuda_templateIN3c104HalfEEESt5tupleIJNS8_6TensorESF_SF_EERKSF_lbbbEUlllE1_EE10hipError_tPvRmT2_T3_mT4_P12ihipStream_tbEUlT_E_NS1_11comp_targetILNS1_3genE10ELNS1_11target_archE1201ELNS1_3gpuE5ELNS1_3repE0EEENS1_30default_config_static_selectorELNS0_4arch9wavefront6targetE0EEEvT1_
                                        ; -- End function
	.section	.AMDGPU.csdata,"",@progbits
; Kernel info:
; codeLenInByte = 0
; NumSgprs: 0
; NumVgprs: 0
; ScratchSize: 0
; MemoryBound: 0
; FloatMode: 240
; IeeeMode: 1
; LDSByteSize: 0 bytes/workgroup (compile time only)
; SGPRBlocks: 0
; VGPRBlocks: 0
; NumSGPRsForWavesPerEU: 1
; NumVGPRsForWavesPerEU: 1
; Occupancy: 16
; WaveLimiterHint : 0
; COMPUTE_PGM_RSRC2:SCRATCH_EN: 0
; COMPUTE_PGM_RSRC2:USER_SGPR: 15
; COMPUTE_PGM_RSRC2:TRAP_HANDLER: 0
; COMPUTE_PGM_RSRC2:TGID_X_EN: 1
; COMPUTE_PGM_RSRC2:TGID_Y_EN: 0
; COMPUTE_PGM_RSRC2:TGID_Z_EN: 0
; COMPUTE_PGM_RSRC2:TIDIG_COMP_CNT: 0
	.section	.text._ZN7rocprim17ROCPRIM_400000_NS6detail17trampoline_kernelINS0_14default_configENS1_35adjacent_difference_config_selectorILb1ElEEZNS1_24adjacent_difference_implIS3_Lb1ELb0EPlS7_ZN2at6native12_GLOBAL__N_124unique_dim_cuda_templateIN3c104HalfEEESt5tupleIJNS8_6TensorESF_SF_EERKSF_lbbbEUlllE1_EE10hipError_tPvRmT2_T3_mT4_P12ihipStream_tbEUlT_E_NS1_11comp_targetILNS1_3genE5ELNS1_11target_archE942ELNS1_3gpuE9ELNS1_3repE0EEENS1_30default_config_static_selectorELNS0_4arch9wavefront6targetE0EEEvT1_,"axG",@progbits,_ZN7rocprim17ROCPRIM_400000_NS6detail17trampoline_kernelINS0_14default_configENS1_35adjacent_difference_config_selectorILb1ElEEZNS1_24adjacent_difference_implIS3_Lb1ELb0EPlS7_ZN2at6native12_GLOBAL__N_124unique_dim_cuda_templateIN3c104HalfEEESt5tupleIJNS8_6TensorESF_SF_EERKSF_lbbbEUlllE1_EE10hipError_tPvRmT2_T3_mT4_P12ihipStream_tbEUlT_E_NS1_11comp_targetILNS1_3genE5ELNS1_11target_archE942ELNS1_3gpuE9ELNS1_3repE0EEENS1_30default_config_static_selectorELNS0_4arch9wavefront6targetE0EEEvT1_,comdat
	.globl	_ZN7rocprim17ROCPRIM_400000_NS6detail17trampoline_kernelINS0_14default_configENS1_35adjacent_difference_config_selectorILb1ElEEZNS1_24adjacent_difference_implIS3_Lb1ELb0EPlS7_ZN2at6native12_GLOBAL__N_124unique_dim_cuda_templateIN3c104HalfEEESt5tupleIJNS8_6TensorESF_SF_EERKSF_lbbbEUlllE1_EE10hipError_tPvRmT2_T3_mT4_P12ihipStream_tbEUlT_E_NS1_11comp_targetILNS1_3genE5ELNS1_11target_archE942ELNS1_3gpuE9ELNS1_3repE0EEENS1_30default_config_static_selectorELNS0_4arch9wavefront6targetE0EEEvT1_ ; -- Begin function _ZN7rocprim17ROCPRIM_400000_NS6detail17trampoline_kernelINS0_14default_configENS1_35adjacent_difference_config_selectorILb1ElEEZNS1_24adjacent_difference_implIS3_Lb1ELb0EPlS7_ZN2at6native12_GLOBAL__N_124unique_dim_cuda_templateIN3c104HalfEEESt5tupleIJNS8_6TensorESF_SF_EERKSF_lbbbEUlllE1_EE10hipError_tPvRmT2_T3_mT4_P12ihipStream_tbEUlT_E_NS1_11comp_targetILNS1_3genE5ELNS1_11target_archE942ELNS1_3gpuE9ELNS1_3repE0EEENS1_30default_config_static_selectorELNS0_4arch9wavefront6targetE0EEEvT1_
	.p2align	8
	.type	_ZN7rocprim17ROCPRIM_400000_NS6detail17trampoline_kernelINS0_14default_configENS1_35adjacent_difference_config_selectorILb1ElEEZNS1_24adjacent_difference_implIS3_Lb1ELb0EPlS7_ZN2at6native12_GLOBAL__N_124unique_dim_cuda_templateIN3c104HalfEEESt5tupleIJNS8_6TensorESF_SF_EERKSF_lbbbEUlllE1_EE10hipError_tPvRmT2_T3_mT4_P12ihipStream_tbEUlT_E_NS1_11comp_targetILNS1_3genE5ELNS1_11target_archE942ELNS1_3gpuE9ELNS1_3repE0EEENS1_30default_config_static_selectorELNS0_4arch9wavefront6targetE0EEEvT1_,@function
_ZN7rocprim17ROCPRIM_400000_NS6detail17trampoline_kernelINS0_14default_configENS1_35adjacent_difference_config_selectorILb1ElEEZNS1_24adjacent_difference_implIS3_Lb1ELb0EPlS7_ZN2at6native12_GLOBAL__N_124unique_dim_cuda_templateIN3c104HalfEEESt5tupleIJNS8_6TensorESF_SF_EERKSF_lbbbEUlllE1_EE10hipError_tPvRmT2_T3_mT4_P12ihipStream_tbEUlT_E_NS1_11comp_targetILNS1_3genE5ELNS1_11target_archE942ELNS1_3gpuE9ELNS1_3repE0EEENS1_30default_config_static_selectorELNS0_4arch9wavefront6targetE0EEEvT1_: ; @_ZN7rocprim17ROCPRIM_400000_NS6detail17trampoline_kernelINS0_14default_configENS1_35adjacent_difference_config_selectorILb1ElEEZNS1_24adjacent_difference_implIS3_Lb1ELb0EPlS7_ZN2at6native12_GLOBAL__N_124unique_dim_cuda_templateIN3c104HalfEEESt5tupleIJNS8_6TensorESF_SF_EERKSF_lbbbEUlllE1_EE10hipError_tPvRmT2_T3_mT4_P12ihipStream_tbEUlT_E_NS1_11comp_targetILNS1_3genE5ELNS1_11target_archE942ELNS1_3gpuE9ELNS1_3repE0EEENS1_30default_config_static_selectorELNS0_4arch9wavefront6targetE0EEEvT1_
; %bb.0:
	.section	.rodata,"a",@progbits
	.p2align	6, 0x0
	.amdhsa_kernel _ZN7rocprim17ROCPRIM_400000_NS6detail17trampoline_kernelINS0_14default_configENS1_35adjacent_difference_config_selectorILb1ElEEZNS1_24adjacent_difference_implIS3_Lb1ELb0EPlS7_ZN2at6native12_GLOBAL__N_124unique_dim_cuda_templateIN3c104HalfEEESt5tupleIJNS8_6TensorESF_SF_EERKSF_lbbbEUlllE1_EE10hipError_tPvRmT2_T3_mT4_P12ihipStream_tbEUlT_E_NS1_11comp_targetILNS1_3genE5ELNS1_11target_archE942ELNS1_3gpuE9ELNS1_3repE0EEENS1_30default_config_static_selectorELNS0_4arch9wavefront6targetE0EEEvT1_
		.amdhsa_group_segment_fixed_size 0
		.amdhsa_private_segment_fixed_size 0
		.amdhsa_kernarg_size 64
		.amdhsa_user_sgpr_count 15
		.amdhsa_user_sgpr_dispatch_ptr 0
		.amdhsa_user_sgpr_queue_ptr 0
		.amdhsa_user_sgpr_kernarg_segment_ptr 1
		.amdhsa_user_sgpr_dispatch_id 0
		.amdhsa_user_sgpr_private_segment_size 0
		.amdhsa_wavefront_size32 1
		.amdhsa_uses_dynamic_stack 0
		.amdhsa_enable_private_segment 0
		.amdhsa_system_sgpr_workgroup_id_x 1
		.amdhsa_system_sgpr_workgroup_id_y 0
		.amdhsa_system_sgpr_workgroup_id_z 0
		.amdhsa_system_sgpr_workgroup_info 0
		.amdhsa_system_vgpr_workitem_id 0
		.amdhsa_next_free_vgpr 1
		.amdhsa_next_free_sgpr 1
		.amdhsa_reserve_vcc 0
		.amdhsa_float_round_mode_32 0
		.amdhsa_float_round_mode_16_64 0
		.amdhsa_float_denorm_mode_32 3
		.amdhsa_float_denorm_mode_16_64 3
		.amdhsa_dx10_clamp 1
		.amdhsa_ieee_mode 1
		.amdhsa_fp16_overflow 0
		.amdhsa_workgroup_processor_mode 1
		.amdhsa_memory_ordered 1
		.amdhsa_forward_progress 0
		.amdhsa_shared_vgpr_count 0
		.amdhsa_exception_fp_ieee_invalid_op 0
		.amdhsa_exception_fp_denorm_src 0
		.amdhsa_exception_fp_ieee_div_zero 0
		.amdhsa_exception_fp_ieee_overflow 0
		.amdhsa_exception_fp_ieee_underflow 0
		.amdhsa_exception_fp_ieee_inexact 0
		.amdhsa_exception_int_div_zero 0
	.end_amdhsa_kernel
	.section	.text._ZN7rocprim17ROCPRIM_400000_NS6detail17trampoline_kernelINS0_14default_configENS1_35adjacent_difference_config_selectorILb1ElEEZNS1_24adjacent_difference_implIS3_Lb1ELb0EPlS7_ZN2at6native12_GLOBAL__N_124unique_dim_cuda_templateIN3c104HalfEEESt5tupleIJNS8_6TensorESF_SF_EERKSF_lbbbEUlllE1_EE10hipError_tPvRmT2_T3_mT4_P12ihipStream_tbEUlT_E_NS1_11comp_targetILNS1_3genE5ELNS1_11target_archE942ELNS1_3gpuE9ELNS1_3repE0EEENS1_30default_config_static_selectorELNS0_4arch9wavefront6targetE0EEEvT1_,"axG",@progbits,_ZN7rocprim17ROCPRIM_400000_NS6detail17trampoline_kernelINS0_14default_configENS1_35adjacent_difference_config_selectorILb1ElEEZNS1_24adjacent_difference_implIS3_Lb1ELb0EPlS7_ZN2at6native12_GLOBAL__N_124unique_dim_cuda_templateIN3c104HalfEEESt5tupleIJNS8_6TensorESF_SF_EERKSF_lbbbEUlllE1_EE10hipError_tPvRmT2_T3_mT4_P12ihipStream_tbEUlT_E_NS1_11comp_targetILNS1_3genE5ELNS1_11target_archE942ELNS1_3gpuE9ELNS1_3repE0EEENS1_30default_config_static_selectorELNS0_4arch9wavefront6targetE0EEEvT1_,comdat
.Lfunc_end1289:
	.size	_ZN7rocprim17ROCPRIM_400000_NS6detail17trampoline_kernelINS0_14default_configENS1_35adjacent_difference_config_selectorILb1ElEEZNS1_24adjacent_difference_implIS3_Lb1ELb0EPlS7_ZN2at6native12_GLOBAL__N_124unique_dim_cuda_templateIN3c104HalfEEESt5tupleIJNS8_6TensorESF_SF_EERKSF_lbbbEUlllE1_EE10hipError_tPvRmT2_T3_mT4_P12ihipStream_tbEUlT_E_NS1_11comp_targetILNS1_3genE5ELNS1_11target_archE942ELNS1_3gpuE9ELNS1_3repE0EEENS1_30default_config_static_selectorELNS0_4arch9wavefront6targetE0EEEvT1_, .Lfunc_end1289-_ZN7rocprim17ROCPRIM_400000_NS6detail17trampoline_kernelINS0_14default_configENS1_35adjacent_difference_config_selectorILb1ElEEZNS1_24adjacent_difference_implIS3_Lb1ELb0EPlS7_ZN2at6native12_GLOBAL__N_124unique_dim_cuda_templateIN3c104HalfEEESt5tupleIJNS8_6TensorESF_SF_EERKSF_lbbbEUlllE1_EE10hipError_tPvRmT2_T3_mT4_P12ihipStream_tbEUlT_E_NS1_11comp_targetILNS1_3genE5ELNS1_11target_archE942ELNS1_3gpuE9ELNS1_3repE0EEENS1_30default_config_static_selectorELNS0_4arch9wavefront6targetE0EEEvT1_
                                        ; -- End function
	.section	.AMDGPU.csdata,"",@progbits
; Kernel info:
; codeLenInByte = 0
; NumSgprs: 0
; NumVgprs: 0
; ScratchSize: 0
; MemoryBound: 0
; FloatMode: 240
; IeeeMode: 1
; LDSByteSize: 0 bytes/workgroup (compile time only)
; SGPRBlocks: 0
; VGPRBlocks: 0
; NumSGPRsForWavesPerEU: 1
; NumVGPRsForWavesPerEU: 1
; Occupancy: 16
; WaveLimiterHint : 0
; COMPUTE_PGM_RSRC2:SCRATCH_EN: 0
; COMPUTE_PGM_RSRC2:USER_SGPR: 15
; COMPUTE_PGM_RSRC2:TRAP_HANDLER: 0
; COMPUTE_PGM_RSRC2:TGID_X_EN: 1
; COMPUTE_PGM_RSRC2:TGID_Y_EN: 0
; COMPUTE_PGM_RSRC2:TGID_Z_EN: 0
; COMPUTE_PGM_RSRC2:TIDIG_COMP_CNT: 0
	.section	.text._ZN7rocprim17ROCPRIM_400000_NS6detail17trampoline_kernelINS0_14default_configENS1_35adjacent_difference_config_selectorILb1ElEEZNS1_24adjacent_difference_implIS3_Lb1ELb0EPlS7_ZN2at6native12_GLOBAL__N_124unique_dim_cuda_templateIN3c104HalfEEESt5tupleIJNS8_6TensorESF_SF_EERKSF_lbbbEUlllE1_EE10hipError_tPvRmT2_T3_mT4_P12ihipStream_tbEUlT_E_NS1_11comp_targetILNS1_3genE4ELNS1_11target_archE910ELNS1_3gpuE8ELNS1_3repE0EEENS1_30default_config_static_selectorELNS0_4arch9wavefront6targetE0EEEvT1_,"axG",@progbits,_ZN7rocprim17ROCPRIM_400000_NS6detail17trampoline_kernelINS0_14default_configENS1_35adjacent_difference_config_selectorILb1ElEEZNS1_24adjacent_difference_implIS3_Lb1ELb0EPlS7_ZN2at6native12_GLOBAL__N_124unique_dim_cuda_templateIN3c104HalfEEESt5tupleIJNS8_6TensorESF_SF_EERKSF_lbbbEUlllE1_EE10hipError_tPvRmT2_T3_mT4_P12ihipStream_tbEUlT_E_NS1_11comp_targetILNS1_3genE4ELNS1_11target_archE910ELNS1_3gpuE8ELNS1_3repE0EEENS1_30default_config_static_selectorELNS0_4arch9wavefront6targetE0EEEvT1_,comdat
	.globl	_ZN7rocprim17ROCPRIM_400000_NS6detail17trampoline_kernelINS0_14default_configENS1_35adjacent_difference_config_selectorILb1ElEEZNS1_24adjacent_difference_implIS3_Lb1ELb0EPlS7_ZN2at6native12_GLOBAL__N_124unique_dim_cuda_templateIN3c104HalfEEESt5tupleIJNS8_6TensorESF_SF_EERKSF_lbbbEUlllE1_EE10hipError_tPvRmT2_T3_mT4_P12ihipStream_tbEUlT_E_NS1_11comp_targetILNS1_3genE4ELNS1_11target_archE910ELNS1_3gpuE8ELNS1_3repE0EEENS1_30default_config_static_selectorELNS0_4arch9wavefront6targetE0EEEvT1_ ; -- Begin function _ZN7rocprim17ROCPRIM_400000_NS6detail17trampoline_kernelINS0_14default_configENS1_35adjacent_difference_config_selectorILb1ElEEZNS1_24adjacent_difference_implIS3_Lb1ELb0EPlS7_ZN2at6native12_GLOBAL__N_124unique_dim_cuda_templateIN3c104HalfEEESt5tupleIJNS8_6TensorESF_SF_EERKSF_lbbbEUlllE1_EE10hipError_tPvRmT2_T3_mT4_P12ihipStream_tbEUlT_E_NS1_11comp_targetILNS1_3genE4ELNS1_11target_archE910ELNS1_3gpuE8ELNS1_3repE0EEENS1_30default_config_static_selectorELNS0_4arch9wavefront6targetE0EEEvT1_
	.p2align	8
	.type	_ZN7rocprim17ROCPRIM_400000_NS6detail17trampoline_kernelINS0_14default_configENS1_35adjacent_difference_config_selectorILb1ElEEZNS1_24adjacent_difference_implIS3_Lb1ELb0EPlS7_ZN2at6native12_GLOBAL__N_124unique_dim_cuda_templateIN3c104HalfEEESt5tupleIJNS8_6TensorESF_SF_EERKSF_lbbbEUlllE1_EE10hipError_tPvRmT2_T3_mT4_P12ihipStream_tbEUlT_E_NS1_11comp_targetILNS1_3genE4ELNS1_11target_archE910ELNS1_3gpuE8ELNS1_3repE0EEENS1_30default_config_static_selectorELNS0_4arch9wavefront6targetE0EEEvT1_,@function
_ZN7rocprim17ROCPRIM_400000_NS6detail17trampoline_kernelINS0_14default_configENS1_35adjacent_difference_config_selectorILb1ElEEZNS1_24adjacent_difference_implIS3_Lb1ELb0EPlS7_ZN2at6native12_GLOBAL__N_124unique_dim_cuda_templateIN3c104HalfEEESt5tupleIJNS8_6TensorESF_SF_EERKSF_lbbbEUlllE1_EE10hipError_tPvRmT2_T3_mT4_P12ihipStream_tbEUlT_E_NS1_11comp_targetILNS1_3genE4ELNS1_11target_archE910ELNS1_3gpuE8ELNS1_3repE0EEENS1_30default_config_static_selectorELNS0_4arch9wavefront6targetE0EEEvT1_: ; @_ZN7rocprim17ROCPRIM_400000_NS6detail17trampoline_kernelINS0_14default_configENS1_35adjacent_difference_config_selectorILb1ElEEZNS1_24adjacent_difference_implIS3_Lb1ELb0EPlS7_ZN2at6native12_GLOBAL__N_124unique_dim_cuda_templateIN3c104HalfEEESt5tupleIJNS8_6TensorESF_SF_EERKSF_lbbbEUlllE1_EE10hipError_tPvRmT2_T3_mT4_P12ihipStream_tbEUlT_E_NS1_11comp_targetILNS1_3genE4ELNS1_11target_archE910ELNS1_3gpuE8ELNS1_3repE0EEENS1_30default_config_static_selectorELNS0_4arch9wavefront6targetE0EEEvT1_
; %bb.0:
	.section	.rodata,"a",@progbits
	.p2align	6, 0x0
	.amdhsa_kernel _ZN7rocprim17ROCPRIM_400000_NS6detail17trampoline_kernelINS0_14default_configENS1_35adjacent_difference_config_selectorILb1ElEEZNS1_24adjacent_difference_implIS3_Lb1ELb0EPlS7_ZN2at6native12_GLOBAL__N_124unique_dim_cuda_templateIN3c104HalfEEESt5tupleIJNS8_6TensorESF_SF_EERKSF_lbbbEUlllE1_EE10hipError_tPvRmT2_T3_mT4_P12ihipStream_tbEUlT_E_NS1_11comp_targetILNS1_3genE4ELNS1_11target_archE910ELNS1_3gpuE8ELNS1_3repE0EEENS1_30default_config_static_selectorELNS0_4arch9wavefront6targetE0EEEvT1_
		.amdhsa_group_segment_fixed_size 0
		.amdhsa_private_segment_fixed_size 0
		.amdhsa_kernarg_size 64
		.amdhsa_user_sgpr_count 15
		.amdhsa_user_sgpr_dispatch_ptr 0
		.amdhsa_user_sgpr_queue_ptr 0
		.amdhsa_user_sgpr_kernarg_segment_ptr 1
		.amdhsa_user_sgpr_dispatch_id 0
		.amdhsa_user_sgpr_private_segment_size 0
		.amdhsa_wavefront_size32 1
		.amdhsa_uses_dynamic_stack 0
		.amdhsa_enable_private_segment 0
		.amdhsa_system_sgpr_workgroup_id_x 1
		.amdhsa_system_sgpr_workgroup_id_y 0
		.amdhsa_system_sgpr_workgroup_id_z 0
		.amdhsa_system_sgpr_workgroup_info 0
		.amdhsa_system_vgpr_workitem_id 0
		.amdhsa_next_free_vgpr 1
		.amdhsa_next_free_sgpr 1
		.amdhsa_reserve_vcc 0
		.amdhsa_float_round_mode_32 0
		.amdhsa_float_round_mode_16_64 0
		.amdhsa_float_denorm_mode_32 3
		.amdhsa_float_denorm_mode_16_64 3
		.amdhsa_dx10_clamp 1
		.amdhsa_ieee_mode 1
		.amdhsa_fp16_overflow 0
		.amdhsa_workgroup_processor_mode 1
		.amdhsa_memory_ordered 1
		.amdhsa_forward_progress 0
		.amdhsa_shared_vgpr_count 0
		.amdhsa_exception_fp_ieee_invalid_op 0
		.amdhsa_exception_fp_denorm_src 0
		.amdhsa_exception_fp_ieee_div_zero 0
		.amdhsa_exception_fp_ieee_overflow 0
		.amdhsa_exception_fp_ieee_underflow 0
		.amdhsa_exception_fp_ieee_inexact 0
		.amdhsa_exception_int_div_zero 0
	.end_amdhsa_kernel
	.section	.text._ZN7rocprim17ROCPRIM_400000_NS6detail17trampoline_kernelINS0_14default_configENS1_35adjacent_difference_config_selectorILb1ElEEZNS1_24adjacent_difference_implIS3_Lb1ELb0EPlS7_ZN2at6native12_GLOBAL__N_124unique_dim_cuda_templateIN3c104HalfEEESt5tupleIJNS8_6TensorESF_SF_EERKSF_lbbbEUlllE1_EE10hipError_tPvRmT2_T3_mT4_P12ihipStream_tbEUlT_E_NS1_11comp_targetILNS1_3genE4ELNS1_11target_archE910ELNS1_3gpuE8ELNS1_3repE0EEENS1_30default_config_static_selectorELNS0_4arch9wavefront6targetE0EEEvT1_,"axG",@progbits,_ZN7rocprim17ROCPRIM_400000_NS6detail17trampoline_kernelINS0_14default_configENS1_35adjacent_difference_config_selectorILb1ElEEZNS1_24adjacent_difference_implIS3_Lb1ELb0EPlS7_ZN2at6native12_GLOBAL__N_124unique_dim_cuda_templateIN3c104HalfEEESt5tupleIJNS8_6TensorESF_SF_EERKSF_lbbbEUlllE1_EE10hipError_tPvRmT2_T3_mT4_P12ihipStream_tbEUlT_E_NS1_11comp_targetILNS1_3genE4ELNS1_11target_archE910ELNS1_3gpuE8ELNS1_3repE0EEENS1_30default_config_static_selectorELNS0_4arch9wavefront6targetE0EEEvT1_,comdat
.Lfunc_end1290:
	.size	_ZN7rocprim17ROCPRIM_400000_NS6detail17trampoline_kernelINS0_14default_configENS1_35adjacent_difference_config_selectorILb1ElEEZNS1_24adjacent_difference_implIS3_Lb1ELb0EPlS7_ZN2at6native12_GLOBAL__N_124unique_dim_cuda_templateIN3c104HalfEEESt5tupleIJNS8_6TensorESF_SF_EERKSF_lbbbEUlllE1_EE10hipError_tPvRmT2_T3_mT4_P12ihipStream_tbEUlT_E_NS1_11comp_targetILNS1_3genE4ELNS1_11target_archE910ELNS1_3gpuE8ELNS1_3repE0EEENS1_30default_config_static_selectorELNS0_4arch9wavefront6targetE0EEEvT1_, .Lfunc_end1290-_ZN7rocprim17ROCPRIM_400000_NS6detail17trampoline_kernelINS0_14default_configENS1_35adjacent_difference_config_selectorILb1ElEEZNS1_24adjacent_difference_implIS3_Lb1ELb0EPlS7_ZN2at6native12_GLOBAL__N_124unique_dim_cuda_templateIN3c104HalfEEESt5tupleIJNS8_6TensorESF_SF_EERKSF_lbbbEUlllE1_EE10hipError_tPvRmT2_T3_mT4_P12ihipStream_tbEUlT_E_NS1_11comp_targetILNS1_3genE4ELNS1_11target_archE910ELNS1_3gpuE8ELNS1_3repE0EEENS1_30default_config_static_selectorELNS0_4arch9wavefront6targetE0EEEvT1_
                                        ; -- End function
	.section	.AMDGPU.csdata,"",@progbits
; Kernel info:
; codeLenInByte = 0
; NumSgprs: 0
; NumVgprs: 0
; ScratchSize: 0
; MemoryBound: 0
; FloatMode: 240
; IeeeMode: 1
; LDSByteSize: 0 bytes/workgroup (compile time only)
; SGPRBlocks: 0
; VGPRBlocks: 0
; NumSGPRsForWavesPerEU: 1
; NumVGPRsForWavesPerEU: 1
; Occupancy: 16
; WaveLimiterHint : 0
; COMPUTE_PGM_RSRC2:SCRATCH_EN: 0
; COMPUTE_PGM_RSRC2:USER_SGPR: 15
; COMPUTE_PGM_RSRC2:TRAP_HANDLER: 0
; COMPUTE_PGM_RSRC2:TGID_X_EN: 1
; COMPUTE_PGM_RSRC2:TGID_Y_EN: 0
; COMPUTE_PGM_RSRC2:TGID_Z_EN: 0
; COMPUTE_PGM_RSRC2:TIDIG_COMP_CNT: 0
	.section	.text._ZN7rocprim17ROCPRIM_400000_NS6detail17trampoline_kernelINS0_14default_configENS1_35adjacent_difference_config_selectorILb1ElEEZNS1_24adjacent_difference_implIS3_Lb1ELb0EPlS7_ZN2at6native12_GLOBAL__N_124unique_dim_cuda_templateIN3c104HalfEEESt5tupleIJNS8_6TensorESF_SF_EERKSF_lbbbEUlllE1_EE10hipError_tPvRmT2_T3_mT4_P12ihipStream_tbEUlT_E_NS1_11comp_targetILNS1_3genE3ELNS1_11target_archE908ELNS1_3gpuE7ELNS1_3repE0EEENS1_30default_config_static_selectorELNS0_4arch9wavefront6targetE0EEEvT1_,"axG",@progbits,_ZN7rocprim17ROCPRIM_400000_NS6detail17trampoline_kernelINS0_14default_configENS1_35adjacent_difference_config_selectorILb1ElEEZNS1_24adjacent_difference_implIS3_Lb1ELb0EPlS7_ZN2at6native12_GLOBAL__N_124unique_dim_cuda_templateIN3c104HalfEEESt5tupleIJNS8_6TensorESF_SF_EERKSF_lbbbEUlllE1_EE10hipError_tPvRmT2_T3_mT4_P12ihipStream_tbEUlT_E_NS1_11comp_targetILNS1_3genE3ELNS1_11target_archE908ELNS1_3gpuE7ELNS1_3repE0EEENS1_30default_config_static_selectorELNS0_4arch9wavefront6targetE0EEEvT1_,comdat
	.globl	_ZN7rocprim17ROCPRIM_400000_NS6detail17trampoline_kernelINS0_14default_configENS1_35adjacent_difference_config_selectorILb1ElEEZNS1_24adjacent_difference_implIS3_Lb1ELb0EPlS7_ZN2at6native12_GLOBAL__N_124unique_dim_cuda_templateIN3c104HalfEEESt5tupleIJNS8_6TensorESF_SF_EERKSF_lbbbEUlllE1_EE10hipError_tPvRmT2_T3_mT4_P12ihipStream_tbEUlT_E_NS1_11comp_targetILNS1_3genE3ELNS1_11target_archE908ELNS1_3gpuE7ELNS1_3repE0EEENS1_30default_config_static_selectorELNS0_4arch9wavefront6targetE0EEEvT1_ ; -- Begin function _ZN7rocprim17ROCPRIM_400000_NS6detail17trampoline_kernelINS0_14default_configENS1_35adjacent_difference_config_selectorILb1ElEEZNS1_24adjacent_difference_implIS3_Lb1ELb0EPlS7_ZN2at6native12_GLOBAL__N_124unique_dim_cuda_templateIN3c104HalfEEESt5tupleIJNS8_6TensorESF_SF_EERKSF_lbbbEUlllE1_EE10hipError_tPvRmT2_T3_mT4_P12ihipStream_tbEUlT_E_NS1_11comp_targetILNS1_3genE3ELNS1_11target_archE908ELNS1_3gpuE7ELNS1_3repE0EEENS1_30default_config_static_selectorELNS0_4arch9wavefront6targetE0EEEvT1_
	.p2align	8
	.type	_ZN7rocprim17ROCPRIM_400000_NS6detail17trampoline_kernelINS0_14default_configENS1_35adjacent_difference_config_selectorILb1ElEEZNS1_24adjacent_difference_implIS3_Lb1ELb0EPlS7_ZN2at6native12_GLOBAL__N_124unique_dim_cuda_templateIN3c104HalfEEESt5tupleIJNS8_6TensorESF_SF_EERKSF_lbbbEUlllE1_EE10hipError_tPvRmT2_T3_mT4_P12ihipStream_tbEUlT_E_NS1_11comp_targetILNS1_3genE3ELNS1_11target_archE908ELNS1_3gpuE7ELNS1_3repE0EEENS1_30default_config_static_selectorELNS0_4arch9wavefront6targetE0EEEvT1_,@function
_ZN7rocprim17ROCPRIM_400000_NS6detail17trampoline_kernelINS0_14default_configENS1_35adjacent_difference_config_selectorILb1ElEEZNS1_24adjacent_difference_implIS3_Lb1ELb0EPlS7_ZN2at6native12_GLOBAL__N_124unique_dim_cuda_templateIN3c104HalfEEESt5tupleIJNS8_6TensorESF_SF_EERKSF_lbbbEUlllE1_EE10hipError_tPvRmT2_T3_mT4_P12ihipStream_tbEUlT_E_NS1_11comp_targetILNS1_3genE3ELNS1_11target_archE908ELNS1_3gpuE7ELNS1_3repE0EEENS1_30default_config_static_selectorELNS0_4arch9wavefront6targetE0EEEvT1_: ; @_ZN7rocprim17ROCPRIM_400000_NS6detail17trampoline_kernelINS0_14default_configENS1_35adjacent_difference_config_selectorILb1ElEEZNS1_24adjacent_difference_implIS3_Lb1ELb0EPlS7_ZN2at6native12_GLOBAL__N_124unique_dim_cuda_templateIN3c104HalfEEESt5tupleIJNS8_6TensorESF_SF_EERKSF_lbbbEUlllE1_EE10hipError_tPvRmT2_T3_mT4_P12ihipStream_tbEUlT_E_NS1_11comp_targetILNS1_3genE3ELNS1_11target_archE908ELNS1_3gpuE7ELNS1_3repE0EEENS1_30default_config_static_selectorELNS0_4arch9wavefront6targetE0EEEvT1_
; %bb.0:
	.section	.rodata,"a",@progbits
	.p2align	6, 0x0
	.amdhsa_kernel _ZN7rocprim17ROCPRIM_400000_NS6detail17trampoline_kernelINS0_14default_configENS1_35adjacent_difference_config_selectorILb1ElEEZNS1_24adjacent_difference_implIS3_Lb1ELb0EPlS7_ZN2at6native12_GLOBAL__N_124unique_dim_cuda_templateIN3c104HalfEEESt5tupleIJNS8_6TensorESF_SF_EERKSF_lbbbEUlllE1_EE10hipError_tPvRmT2_T3_mT4_P12ihipStream_tbEUlT_E_NS1_11comp_targetILNS1_3genE3ELNS1_11target_archE908ELNS1_3gpuE7ELNS1_3repE0EEENS1_30default_config_static_selectorELNS0_4arch9wavefront6targetE0EEEvT1_
		.amdhsa_group_segment_fixed_size 0
		.amdhsa_private_segment_fixed_size 0
		.amdhsa_kernarg_size 64
		.amdhsa_user_sgpr_count 15
		.amdhsa_user_sgpr_dispatch_ptr 0
		.amdhsa_user_sgpr_queue_ptr 0
		.amdhsa_user_sgpr_kernarg_segment_ptr 1
		.amdhsa_user_sgpr_dispatch_id 0
		.amdhsa_user_sgpr_private_segment_size 0
		.amdhsa_wavefront_size32 1
		.amdhsa_uses_dynamic_stack 0
		.amdhsa_enable_private_segment 0
		.amdhsa_system_sgpr_workgroup_id_x 1
		.amdhsa_system_sgpr_workgroup_id_y 0
		.amdhsa_system_sgpr_workgroup_id_z 0
		.amdhsa_system_sgpr_workgroup_info 0
		.amdhsa_system_vgpr_workitem_id 0
		.amdhsa_next_free_vgpr 1
		.amdhsa_next_free_sgpr 1
		.amdhsa_reserve_vcc 0
		.amdhsa_float_round_mode_32 0
		.amdhsa_float_round_mode_16_64 0
		.amdhsa_float_denorm_mode_32 3
		.amdhsa_float_denorm_mode_16_64 3
		.amdhsa_dx10_clamp 1
		.amdhsa_ieee_mode 1
		.amdhsa_fp16_overflow 0
		.amdhsa_workgroup_processor_mode 1
		.amdhsa_memory_ordered 1
		.amdhsa_forward_progress 0
		.amdhsa_shared_vgpr_count 0
		.amdhsa_exception_fp_ieee_invalid_op 0
		.amdhsa_exception_fp_denorm_src 0
		.amdhsa_exception_fp_ieee_div_zero 0
		.amdhsa_exception_fp_ieee_overflow 0
		.amdhsa_exception_fp_ieee_underflow 0
		.amdhsa_exception_fp_ieee_inexact 0
		.amdhsa_exception_int_div_zero 0
	.end_amdhsa_kernel
	.section	.text._ZN7rocprim17ROCPRIM_400000_NS6detail17trampoline_kernelINS0_14default_configENS1_35adjacent_difference_config_selectorILb1ElEEZNS1_24adjacent_difference_implIS3_Lb1ELb0EPlS7_ZN2at6native12_GLOBAL__N_124unique_dim_cuda_templateIN3c104HalfEEESt5tupleIJNS8_6TensorESF_SF_EERKSF_lbbbEUlllE1_EE10hipError_tPvRmT2_T3_mT4_P12ihipStream_tbEUlT_E_NS1_11comp_targetILNS1_3genE3ELNS1_11target_archE908ELNS1_3gpuE7ELNS1_3repE0EEENS1_30default_config_static_selectorELNS0_4arch9wavefront6targetE0EEEvT1_,"axG",@progbits,_ZN7rocprim17ROCPRIM_400000_NS6detail17trampoline_kernelINS0_14default_configENS1_35adjacent_difference_config_selectorILb1ElEEZNS1_24adjacent_difference_implIS3_Lb1ELb0EPlS7_ZN2at6native12_GLOBAL__N_124unique_dim_cuda_templateIN3c104HalfEEESt5tupleIJNS8_6TensorESF_SF_EERKSF_lbbbEUlllE1_EE10hipError_tPvRmT2_T3_mT4_P12ihipStream_tbEUlT_E_NS1_11comp_targetILNS1_3genE3ELNS1_11target_archE908ELNS1_3gpuE7ELNS1_3repE0EEENS1_30default_config_static_selectorELNS0_4arch9wavefront6targetE0EEEvT1_,comdat
.Lfunc_end1291:
	.size	_ZN7rocprim17ROCPRIM_400000_NS6detail17trampoline_kernelINS0_14default_configENS1_35adjacent_difference_config_selectorILb1ElEEZNS1_24adjacent_difference_implIS3_Lb1ELb0EPlS7_ZN2at6native12_GLOBAL__N_124unique_dim_cuda_templateIN3c104HalfEEESt5tupleIJNS8_6TensorESF_SF_EERKSF_lbbbEUlllE1_EE10hipError_tPvRmT2_T3_mT4_P12ihipStream_tbEUlT_E_NS1_11comp_targetILNS1_3genE3ELNS1_11target_archE908ELNS1_3gpuE7ELNS1_3repE0EEENS1_30default_config_static_selectorELNS0_4arch9wavefront6targetE0EEEvT1_, .Lfunc_end1291-_ZN7rocprim17ROCPRIM_400000_NS6detail17trampoline_kernelINS0_14default_configENS1_35adjacent_difference_config_selectorILb1ElEEZNS1_24adjacent_difference_implIS3_Lb1ELb0EPlS7_ZN2at6native12_GLOBAL__N_124unique_dim_cuda_templateIN3c104HalfEEESt5tupleIJNS8_6TensorESF_SF_EERKSF_lbbbEUlllE1_EE10hipError_tPvRmT2_T3_mT4_P12ihipStream_tbEUlT_E_NS1_11comp_targetILNS1_3genE3ELNS1_11target_archE908ELNS1_3gpuE7ELNS1_3repE0EEENS1_30default_config_static_selectorELNS0_4arch9wavefront6targetE0EEEvT1_
                                        ; -- End function
	.section	.AMDGPU.csdata,"",@progbits
; Kernel info:
; codeLenInByte = 0
; NumSgprs: 0
; NumVgprs: 0
; ScratchSize: 0
; MemoryBound: 0
; FloatMode: 240
; IeeeMode: 1
; LDSByteSize: 0 bytes/workgroup (compile time only)
; SGPRBlocks: 0
; VGPRBlocks: 0
; NumSGPRsForWavesPerEU: 1
; NumVGPRsForWavesPerEU: 1
; Occupancy: 16
; WaveLimiterHint : 0
; COMPUTE_PGM_RSRC2:SCRATCH_EN: 0
; COMPUTE_PGM_RSRC2:USER_SGPR: 15
; COMPUTE_PGM_RSRC2:TRAP_HANDLER: 0
; COMPUTE_PGM_RSRC2:TGID_X_EN: 1
; COMPUTE_PGM_RSRC2:TGID_Y_EN: 0
; COMPUTE_PGM_RSRC2:TGID_Z_EN: 0
; COMPUTE_PGM_RSRC2:TIDIG_COMP_CNT: 0
	.section	.text._ZN7rocprim17ROCPRIM_400000_NS6detail17trampoline_kernelINS0_14default_configENS1_35adjacent_difference_config_selectorILb1ElEEZNS1_24adjacent_difference_implIS3_Lb1ELb0EPlS7_ZN2at6native12_GLOBAL__N_124unique_dim_cuda_templateIN3c104HalfEEESt5tupleIJNS8_6TensorESF_SF_EERKSF_lbbbEUlllE1_EE10hipError_tPvRmT2_T3_mT4_P12ihipStream_tbEUlT_E_NS1_11comp_targetILNS1_3genE2ELNS1_11target_archE906ELNS1_3gpuE6ELNS1_3repE0EEENS1_30default_config_static_selectorELNS0_4arch9wavefront6targetE0EEEvT1_,"axG",@progbits,_ZN7rocprim17ROCPRIM_400000_NS6detail17trampoline_kernelINS0_14default_configENS1_35adjacent_difference_config_selectorILb1ElEEZNS1_24adjacent_difference_implIS3_Lb1ELb0EPlS7_ZN2at6native12_GLOBAL__N_124unique_dim_cuda_templateIN3c104HalfEEESt5tupleIJNS8_6TensorESF_SF_EERKSF_lbbbEUlllE1_EE10hipError_tPvRmT2_T3_mT4_P12ihipStream_tbEUlT_E_NS1_11comp_targetILNS1_3genE2ELNS1_11target_archE906ELNS1_3gpuE6ELNS1_3repE0EEENS1_30default_config_static_selectorELNS0_4arch9wavefront6targetE0EEEvT1_,comdat
	.globl	_ZN7rocprim17ROCPRIM_400000_NS6detail17trampoline_kernelINS0_14default_configENS1_35adjacent_difference_config_selectorILb1ElEEZNS1_24adjacent_difference_implIS3_Lb1ELb0EPlS7_ZN2at6native12_GLOBAL__N_124unique_dim_cuda_templateIN3c104HalfEEESt5tupleIJNS8_6TensorESF_SF_EERKSF_lbbbEUlllE1_EE10hipError_tPvRmT2_T3_mT4_P12ihipStream_tbEUlT_E_NS1_11comp_targetILNS1_3genE2ELNS1_11target_archE906ELNS1_3gpuE6ELNS1_3repE0EEENS1_30default_config_static_selectorELNS0_4arch9wavefront6targetE0EEEvT1_ ; -- Begin function _ZN7rocprim17ROCPRIM_400000_NS6detail17trampoline_kernelINS0_14default_configENS1_35adjacent_difference_config_selectorILb1ElEEZNS1_24adjacent_difference_implIS3_Lb1ELb0EPlS7_ZN2at6native12_GLOBAL__N_124unique_dim_cuda_templateIN3c104HalfEEESt5tupleIJNS8_6TensorESF_SF_EERKSF_lbbbEUlllE1_EE10hipError_tPvRmT2_T3_mT4_P12ihipStream_tbEUlT_E_NS1_11comp_targetILNS1_3genE2ELNS1_11target_archE906ELNS1_3gpuE6ELNS1_3repE0EEENS1_30default_config_static_selectorELNS0_4arch9wavefront6targetE0EEEvT1_
	.p2align	8
	.type	_ZN7rocprim17ROCPRIM_400000_NS6detail17trampoline_kernelINS0_14default_configENS1_35adjacent_difference_config_selectorILb1ElEEZNS1_24adjacent_difference_implIS3_Lb1ELb0EPlS7_ZN2at6native12_GLOBAL__N_124unique_dim_cuda_templateIN3c104HalfEEESt5tupleIJNS8_6TensorESF_SF_EERKSF_lbbbEUlllE1_EE10hipError_tPvRmT2_T3_mT4_P12ihipStream_tbEUlT_E_NS1_11comp_targetILNS1_3genE2ELNS1_11target_archE906ELNS1_3gpuE6ELNS1_3repE0EEENS1_30default_config_static_selectorELNS0_4arch9wavefront6targetE0EEEvT1_,@function
_ZN7rocprim17ROCPRIM_400000_NS6detail17trampoline_kernelINS0_14default_configENS1_35adjacent_difference_config_selectorILb1ElEEZNS1_24adjacent_difference_implIS3_Lb1ELb0EPlS7_ZN2at6native12_GLOBAL__N_124unique_dim_cuda_templateIN3c104HalfEEESt5tupleIJNS8_6TensorESF_SF_EERKSF_lbbbEUlllE1_EE10hipError_tPvRmT2_T3_mT4_P12ihipStream_tbEUlT_E_NS1_11comp_targetILNS1_3genE2ELNS1_11target_archE906ELNS1_3gpuE6ELNS1_3repE0EEENS1_30default_config_static_selectorELNS0_4arch9wavefront6targetE0EEEvT1_: ; @_ZN7rocprim17ROCPRIM_400000_NS6detail17trampoline_kernelINS0_14default_configENS1_35adjacent_difference_config_selectorILb1ElEEZNS1_24adjacent_difference_implIS3_Lb1ELb0EPlS7_ZN2at6native12_GLOBAL__N_124unique_dim_cuda_templateIN3c104HalfEEESt5tupleIJNS8_6TensorESF_SF_EERKSF_lbbbEUlllE1_EE10hipError_tPvRmT2_T3_mT4_P12ihipStream_tbEUlT_E_NS1_11comp_targetILNS1_3genE2ELNS1_11target_archE906ELNS1_3gpuE6ELNS1_3repE0EEENS1_30default_config_static_selectorELNS0_4arch9wavefront6targetE0EEEvT1_
; %bb.0:
	.section	.rodata,"a",@progbits
	.p2align	6, 0x0
	.amdhsa_kernel _ZN7rocprim17ROCPRIM_400000_NS6detail17trampoline_kernelINS0_14default_configENS1_35adjacent_difference_config_selectorILb1ElEEZNS1_24adjacent_difference_implIS3_Lb1ELb0EPlS7_ZN2at6native12_GLOBAL__N_124unique_dim_cuda_templateIN3c104HalfEEESt5tupleIJNS8_6TensorESF_SF_EERKSF_lbbbEUlllE1_EE10hipError_tPvRmT2_T3_mT4_P12ihipStream_tbEUlT_E_NS1_11comp_targetILNS1_3genE2ELNS1_11target_archE906ELNS1_3gpuE6ELNS1_3repE0EEENS1_30default_config_static_selectorELNS0_4arch9wavefront6targetE0EEEvT1_
		.amdhsa_group_segment_fixed_size 0
		.amdhsa_private_segment_fixed_size 0
		.amdhsa_kernarg_size 64
		.amdhsa_user_sgpr_count 15
		.amdhsa_user_sgpr_dispatch_ptr 0
		.amdhsa_user_sgpr_queue_ptr 0
		.amdhsa_user_sgpr_kernarg_segment_ptr 1
		.amdhsa_user_sgpr_dispatch_id 0
		.amdhsa_user_sgpr_private_segment_size 0
		.amdhsa_wavefront_size32 1
		.amdhsa_uses_dynamic_stack 0
		.amdhsa_enable_private_segment 0
		.amdhsa_system_sgpr_workgroup_id_x 1
		.amdhsa_system_sgpr_workgroup_id_y 0
		.amdhsa_system_sgpr_workgroup_id_z 0
		.amdhsa_system_sgpr_workgroup_info 0
		.amdhsa_system_vgpr_workitem_id 0
		.amdhsa_next_free_vgpr 1
		.amdhsa_next_free_sgpr 1
		.amdhsa_reserve_vcc 0
		.amdhsa_float_round_mode_32 0
		.amdhsa_float_round_mode_16_64 0
		.amdhsa_float_denorm_mode_32 3
		.amdhsa_float_denorm_mode_16_64 3
		.amdhsa_dx10_clamp 1
		.amdhsa_ieee_mode 1
		.amdhsa_fp16_overflow 0
		.amdhsa_workgroup_processor_mode 1
		.amdhsa_memory_ordered 1
		.amdhsa_forward_progress 0
		.amdhsa_shared_vgpr_count 0
		.amdhsa_exception_fp_ieee_invalid_op 0
		.amdhsa_exception_fp_denorm_src 0
		.amdhsa_exception_fp_ieee_div_zero 0
		.amdhsa_exception_fp_ieee_overflow 0
		.amdhsa_exception_fp_ieee_underflow 0
		.amdhsa_exception_fp_ieee_inexact 0
		.amdhsa_exception_int_div_zero 0
	.end_amdhsa_kernel
	.section	.text._ZN7rocprim17ROCPRIM_400000_NS6detail17trampoline_kernelINS0_14default_configENS1_35adjacent_difference_config_selectorILb1ElEEZNS1_24adjacent_difference_implIS3_Lb1ELb0EPlS7_ZN2at6native12_GLOBAL__N_124unique_dim_cuda_templateIN3c104HalfEEESt5tupleIJNS8_6TensorESF_SF_EERKSF_lbbbEUlllE1_EE10hipError_tPvRmT2_T3_mT4_P12ihipStream_tbEUlT_E_NS1_11comp_targetILNS1_3genE2ELNS1_11target_archE906ELNS1_3gpuE6ELNS1_3repE0EEENS1_30default_config_static_selectorELNS0_4arch9wavefront6targetE0EEEvT1_,"axG",@progbits,_ZN7rocprim17ROCPRIM_400000_NS6detail17trampoline_kernelINS0_14default_configENS1_35adjacent_difference_config_selectorILb1ElEEZNS1_24adjacent_difference_implIS3_Lb1ELb0EPlS7_ZN2at6native12_GLOBAL__N_124unique_dim_cuda_templateIN3c104HalfEEESt5tupleIJNS8_6TensorESF_SF_EERKSF_lbbbEUlllE1_EE10hipError_tPvRmT2_T3_mT4_P12ihipStream_tbEUlT_E_NS1_11comp_targetILNS1_3genE2ELNS1_11target_archE906ELNS1_3gpuE6ELNS1_3repE0EEENS1_30default_config_static_selectorELNS0_4arch9wavefront6targetE0EEEvT1_,comdat
.Lfunc_end1292:
	.size	_ZN7rocprim17ROCPRIM_400000_NS6detail17trampoline_kernelINS0_14default_configENS1_35adjacent_difference_config_selectorILb1ElEEZNS1_24adjacent_difference_implIS3_Lb1ELb0EPlS7_ZN2at6native12_GLOBAL__N_124unique_dim_cuda_templateIN3c104HalfEEESt5tupleIJNS8_6TensorESF_SF_EERKSF_lbbbEUlllE1_EE10hipError_tPvRmT2_T3_mT4_P12ihipStream_tbEUlT_E_NS1_11comp_targetILNS1_3genE2ELNS1_11target_archE906ELNS1_3gpuE6ELNS1_3repE0EEENS1_30default_config_static_selectorELNS0_4arch9wavefront6targetE0EEEvT1_, .Lfunc_end1292-_ZN7rocprim17ROCPRIM_400000_NS6detail17trampoline_kernelINS0_14default_configENS1_35adjacent_difference_config_selectorILb1ElEEZNS1_24adjacent_difference_implIS3_Lb1ELb0EPlS7_ZN2at6native12_GLOBAL__N_124unique_dim_cuda_templateIN3c104HalfEEESt5tupleIJNS8_6TensorESF_SF_EERKSF_lbbbEUlllE1_EE10hipError_tPvRmT2_T3_mT4_P12ihipStream_tbEUlT_E_NS1_11comp_targetILNS1_3genE2ELNS1_11target_archE906ELNS1_3gpuE6ELNS1_3repE0EEENS1_30default_config_static_selectorELNS0_4arch9wavefront6targetE0EEEvT1_
                                        ; -- End function
	.section	.AMDGPU.csdata,"",@progbits
; Kernel info:
; codeLenInByte = 0
; NumSgprs: 0
; NumVgprs: 0
; ScratchSize: 0
; MemoryBound: 0
; FloatMode: 240
; IeeeMode: 1
; LDSByteSize: 0 bytes/workgroup (compile time only)
; SGPRBlocks: 0
; VGPRBlocks: 0
; NumSGPRsForWavesPerEU: 1
; NumVGPRsForWavesPerEU: 1
; Occupancy: 16
; WaveLimiterHint : 0
; COMPUTE_PGM_RSRC2:SCRATCH_EN: 0
; COMPUTE_PGM_RSRC2:USER_SGPR: 15
; COMPUTE_PGM_RSRC2:TRAP_HANDLER: 0
; COMPUTE_PGM_RSRC2:TGID_X_EN: 1
; COMPUTE_PGM_RSRC2:TGID_Y_EN: 0
; COMPUTE_PGM_RSRC2:TGID_Z_EN: 0
; COMPUTE_PGM_RSRC2:TIDIG_COMP_CNT: 0
	.section	.text._ZN7rocprim17ROCPRIM_400000_NS6detail17trampoline_kernelINS0_14default_configENS1_35adjacent_difference_config_selectorILb1ElEEZNS1_24adjacent_difference_implIS3_Lb1ELb0EPlS7_ZN2at6native12_GLOBAL__N_124unique_dim_cuda_templateIN3c104HalfEEESt5tupleIJNS8_6TensorESF_SF_EERKSF_lbbbEUlllE1_EE10hipError_tPvRmT2_T3_mT4_P12ihipStream_tbEUlT_E_NS1_11comp_targetILNS1_3genE9ELNS1_11target_archE1100ELNS1_3gpuE3ELNS1_3repE0EEENS1_30default_config_static_selectorELNS0_4arch9wavefront6targetE0EEEvT1_,"axG",@progbits,_ZN7rocprim17ROCPRIM_400000_NS6detail17trampoline_kernelINS0_14default_configENS1_35adjacent_difference_config_selectorILb1ElEEZNS1_24adjacent_difference_implIS3_Lb1ELb0EPlS7_ZN2at6native12_GLOBAL__N_124unique_dim_cuda_templateIN3c104HalfEEESt5tupleIJNS8_6TensorESF_SF_EERKSF_lbbbEUlllE1_EE10hipError_tPvRmT2_T3_mT4_P12ihipStream_tbEUlT_E_NS1_11comp_targetILNS1_3genE9ELNS1_11target_archE1100ELNS1_3gpuE3ELNS1_3repE0EEENS1_30default_config_static_selectorELNS0_4arch9wavefront6targetE0EEEvT1_,comdat
	.globl	_ZN7rocprim17ROCPRIM_400000_NS6detail17trampoline_kernelINS0_14default_configENS1_35adjacent_difference_config_selectorILb1ElEEZNS1_24adjacent_difference_implIS3_Lb1ELb0EPlS7_ZN2at6native12_GLOBAL__N_124unique_dim_cuda_templateIN3c104HalfEEESt5tupleIJNS8_6TensorESF_SF_EERKSF_lbbbEUlllE1_EE10hipError_tPvRmT2_T3_mT4_P12ihipStream_tbEUlT_E_NS1_11comp_targetILNS1_3genE9ELNS1_11target_archE1100ELNS1_3gpuE3ELNS1_3repE0EEENS1_30default_config_static_selectorELNS0_4arch9wavefront6targetE0EEEvT1_ ; -- Begin function _ZN7rocprim17ROCPRIM_400000_NS6detail17trampoline_kernelINS0_14default_configENS1_35adjacent_difference_config_selectorILb1ElEEZNS1_24adjacent_difference_implIS3_Lb1ELb0EPlS7_ZN2at6native12_GLOBAL__N_124unique_dim_cuda_templateIN3c104HalfEEESt5tupleIJNS8_6TensorESF_SF_EERKSF_lbbbEUlllE1_EE10hipError_tPvRmT2_T3_mT4_P12ihipStream_tbEUlT_E_NS1_11comp_targetILNS1_3genE9ELNS1_11target_archE1100ELNS1_3gpuE3ELNS1_3repE0EEENS1_30default_config_static_selectorELNS0_4arch9wavefront6targetE0EEEvT1_
	.p2align	8
	.type	_ZN7rocprim17ROCPRIM_400000_NS6detail17trampoline_kernelINS0_14default_configENS1_35adjacent_difference_config_selectorILb1ElEEZNS1_24adjacent_difference_implIS3_Lb1ELb0EPlS7_ZN2at6native12_GLOBAL__N_124unique_dim_cuda_templateIN3c104HalfEEESt5tupleIJNS8_6TensorESF_SF_EERKSF_lbbbEUlllE1_EE10hipError_tPvRmT2_T3_mT4_P12ihipStream_tbEUlT_E_NS1_11comp_targetILNS1_3genE9ELNS1_11target_archE1100ELNS1_3gpuE3ELNS1_3repE0EEENS1_30default_config_static_selectorELNS0_4arch9wavefront6targetE0EEEvT1_,@function
_ZN7rocprim17ROCPRIM_400000_NS6detail17trampoline_kernelINS0_14default_configENS1_35adjacent_difference_config_selectorILb1ElEEZNS1_24adjacent_difference_implIS3_Lb1ELb0EPlS7_ZN2at6native12_GLOBAL__N_124unique_dim_cuda_templateIN3c104HalfEEESt5tupleIJNS8_6TensorESF_SF_EERKSF_lbbbEUlllE1_EE10hipError_tPvRmT2_T3_mT4_P12ihipStream_tbEUlT_E_NS1_11comp_targetILNS1_3genE9ELNS1_11target_archE1100ELNS1_3gpuE3ELNS1_3repE0EEENS1_30default_config_static_selectorELNS0_4arch9wavefront6targetE0EEEvT1_: ; @_ZN7rocprim17ROCPRIM_400000_NS6detail17trampoline_kernelINS0_14default_configENS1_35adjacent_difference_config_selectorILb1ElEEZNS1_24adjacent_difference_implIS3_Lb1ELb0EPlS7_ZN2at6native12_GLOBAL__N_124unique_dim_cuda_templateIN3c104HalfEEESt5tupleIJNS8_6TensorESF_SF_EERKSF_lbbbEUlllE1_EE10hipError_tPvRmT2_T3_mT4_P12ihipStream_tbEUlT_E_NS1_11comp_targetILNS1_3genE9ELNS1_11target_archE1100ELNS1_3gpuE3ELNS1_3repE0EEENS1_30default_config_static_selectorELNS0_4arch9wavefront6targetE0EEEvT1_
; %bb.0:
	s_mov_b32 s22, s15
	s_load_b512 s[0:15], s[0:1], 0x0
	s_waitcnt lgkmcnt(0)
	s_lshl_b64 s[16:17], s[2:3], 3
	s_mov_b32 s2, 0x411a7a30
	s_add_u32 s27, s0, s16
	s_addc_u32 s28, s1, s17
	s_add_u32 s0, 0x76, s2
	s_addc_u32 s1, 0, 0
	v_add_co_u32 v1, s0, 0x20000000, s0
	s_delay_alu instid0(VALU_DEP_1) | instskip(SKIP_1) | instid1(VALU_DEP_1)
	s_cmp_lg_u32 s0, 0
	s_addc_u32 s1, s1, 0x11a7b9
	v_readfirstlane_b32 s0, v1
	s_mul_i32 s2, s1, 0xfffff180
	s_delay_alu instid0(VALU_DEP_1)
	s_mul_hi_u32 s3, s0, 0xfffff180
	s_mul_i32 s18, s0, 0xfffff180
	s_sub_i32 s3, s3, s0
	s_mul_hi_u32 s19, s0, s18
	s_add_i32 s3, s3, s2
	s_mul_hi_u32 s20, s1, s18
	s_mul_i32 s2, s1, s18
	s_mul_hi_u32 s18, s0, s3
	s_mul_i32 s0, s0, s3
	s_mul_hi_u32 s21, s1, s3
	s_add_u32 s0, s19, s0
	s_addc_u32 s18, 0, s18
	s_add_u32 s0, s0, s2
	s_mul_i32 s3, s1, s3
	s_addc_u32 s0, s18, s20
	s_addc_u32 s2, s21, 0
	s_add_u32 s0, s0, s3
	s_addc_u32 s2, 0, s2
	v_add_co_u32 v1, s0, v1, s0
	s_delay_alu instid0(VALU_DEP_1) | instskip(SKIP_1) | instid1(VALU_DEP_1)
	s_cmp_lg_u32 s0, 0
	s_addc_u32 s0, s1, s2
	v_readfirstlane_b32 s1, v1
	s_mul_i32 s3, s6, s0
	s_mul_hi_u32 s2, s6, s0
	s_mul_hi_u32 s18, s7, s0
	s_mul_i32 s0, s7, s0
	s_mul_hi_u32 s19, s6, s1
	s_mul_hi_u32 s20, s7, s1
	s_mul_i32 s1, s7, s1
	s_add_u32 s3, s19, s3
	s_addc_u32 s2, 0, s2
	s_add_u32 s1, s3, s1
	s_addc_u32 s1, s2, s20
	s_addc_u32 s2, s18, 0
	s_add_u32 s0, s1, s0
	s_addc_u32 s1, 0, s2
	s_mul_i32 s3, s0, 0xe80
	s_add_u32 s2, s0, 1
	v_sub_co_u32 v1, s3, s6, s3
	s_mul_hi_u32 s18, s0, 0xe80
	s_addc_u32 s19, s1, 0
	s_mul_i32 s20, s1, 0xe80
	s_delay_alu instid0(VALU_DEP_1)
	v_subrev_co_u32 v2, s21, 0xe80, v1
	s_add_u32 s23, s0, 2
	s_addc_u32 s24, s1, 0
	s_add_i32 s18, s18, s20
	s_cmp_lg_u32 s3, 0
	v_readfirstlane_b32 s3, v2
	s_subb_u32 s18, s7, s18
	s_cmp_lg_u32 s21, 0
	s_subb_u32 s20, s18, 0
	s_delay_alu instid0(VALU_DEP_1) | instskip(SKIP_4) | instid1(SALU_CYCLE_1)
	s_cmpk_gt_u32 s3, 0xe7f
	s_cselect_b32 s3, -1, 0
	s_cmp_eq_u32 s20, 0
	v_readfirstlane_b32 s20, v1
	s_cselect_b32 s3, s3, -1
	s_cmp_lg_u32 s3, 0
	s_cselect_b32 s2, s23, s2
	s_cselect_b32 s3, s24, s19
	s_cmpk_gt_u32 s20, 0xe7f
	s_mov_b32 s23, 0
	s_cselect_b32 s19, -1, 0
	s_cmp_eq_u32 s18, 0
	s_cselect_b32 s18, s19, -1
	s_delay_alu instid0(SALU_CYCLE_1)
	s_cmp_lg_u32 s18, 0
	s_cselect_b32 s3, s3, s1
	s_cselect_b32 s2, s2, s0
	s_mul_i32 s0, s3, 0xe80
	s_mul_hi_u32 s1, s2, 0xe80
	s_mul_i32 s18, s2, 0xe80
	s_add_i32 s1, s1, s0
	s_sub_u32 s0, s6, s18
	s_subb_u32 s1, s7, s1
	s_delay_alu instid0(SALU_CYCLE_1) | instskip(SKIP_1) | instid1(SALU_CYCLE_1)
	s_cmp_lg_u64 s[0:1], 0
	s_cselect_b32 s0, -1, 0
	v_cndmask_b32_e64 v1, 0, 1, s0
	s_delay_alu instid0(VALU_DEP_1) | instskip(NEXT) | instid1(VALU_DEP_1)
	v_readfirstlane_b32 s0, v1
	s_add_u32 s18, s2, s0
	s_addc_u32 s19, s3, 0
	s_add_u32 s20, s14, s22
	s_addc_u32 s21, s15, 0
	s_add_u32 s0, s18, -1
	s_addc_u32 s1, s19, -1
	s_mul_i32 s2, s22, 0xe80
	v_cmp_ge_u64_e64 s26, s[20:21], s[0:1]
	s_mov_b32 s3, -1
	s_mul_i32 s7, s0, 0xfffff180
	s_delay_alu instid0(VALU_DEP_1)
	s_and_b32 vcc_lo, exec_lo, s26
	s_cbranch_vccz .LBB1293_60
; %bb.1:
	s_mov_b32 s3, s23
	s_add_i32 s29, s7, s6
	s_lshl_b64 s[24:25], s[2:3], 3
	s_mov_b32 s3, exec_lo
	s_add_u32 s24, s27, s24
	s_addc_u32 s25, s28, s25
                                        ; implicit-def: $vgpr1_vgpr2
	v_cmpx_gt_u32_e64 s29, v0
	s_cbranch_execz .LBB1293_3
; %bb.2:
	v_lshlrev_b32_e32 v1, 3, v0
	global_load_b64 v[1:2], v1, s[24:25]
.LBB1293_3:
	s_or_b32 exec_lo, exec_lo, s3
	v_or_b32_e32 v3, 0x80, v0
	s_delay_alu instid0(VALU_DEP_1)
	v_cmp_gt_u32_e32 vcc_lo, s29, v3
                                        ; implicit-def: $vgpr3_vgpr4
	s_and_saveexec_b32 s3, vcc_lo
	s_cbranch_execz .LBB1293_5
; %bb.4:
	v_lshlrev_b32_e32 v3, 3, v0
	global_load_b64 v[3:4], v3, s[24:25] offset:1024
.LBB1293_5:
	s_or_b32 exec_lo, exec_lo, s3
	v_or_b32_e32 v5, 0x100, v0
	s_delay_alu instid0(VALU_DEP_1)
	v_cmp_gt_u32_e32 vcc_lo, s29, v5
                                        ; implicit-def: $vgpr5_vgpr6
	s_and_saveexec_b32 s3, vcc_lo
	s_cbranch_execz .LBB1293_7
; %bb.6:
	v_lshlrev_b32_e32 v5, 3, v0
	global_load_b64 v[5:6], v5, s[24:25] offset:2048
.LBB1293_7:
	s_or_b32 exec_lo, exec_lo, s3
	v_or_b32_e32 v7, 0x180, v0
	s_delay_alu instid0(VALU_DEP_1)
	v_cmp_gt_u32_e32 vcc_lo, s29, v7
                                        ; implicit-def: $vgpr7_vgpr8
	s_and_saveexec_b32 s3, vcc_lo
	s_cbranch_execz .LBB1293_9
; %bb.8:
	v_lshlrev_b32_e32 v7, 3, v0
	global_load_b64 v[7:8], v7, s[24:25] offset:3072
.LBB1293_9:
	s_or_b32 exec_lo, exec_lo, s3
	v_or_b32_e32 v11, 0x200, v0
	s_mov_b32 s3, exec_lo
                                        ; implicit-def: $vgpr9_vgpr10
	s_delay_alu instid0(VALU_DEP_1)
	v_cmpx_gt_u32_e64 s29, v11
	s_cbranch_execz .LBB1293_11
; %bb.10:
	v_lshlrev_b32_e32 v9, 3, v11
	global_load_b64 v[9:10], v9, s[24:25]
.LBB1293_11:
	s_or_b32 exec_lo, exec_lo, s3
	v_or_b32_e32 v13, 0x280, v0
	s_mov_b32 s3, exec_lo
                                        ; implicit-def: $vgpr11_vgpr12
	s_delay_alu instid0(VALU_DEP_1)
	v_cmpx_gt_u32_e64 s29, v13
	s_cbranch_execz .LBB1293_13
; %bb.12:
	v_lshlrev_b32_e32 v11, 3, v13
	global_load_b64 v[11:12], v11, s[24:25]
.LBB1293_13:
	s_or_b32 exec_lo, exec_lo, s3
	v_or_b32_e32 v15, 0x300, v0
	s_mov_b32 s3, exec_lo
                                        ; implicit-def: $vgpr13_vgpr14
	s_delay_alu instid0(VALU_DEP_1)
	v_cmpx_gt_u32_e64 s29, v15
	s_cbranch_execz .LBB1293_15
; %bb.14:
	v_lshlrev_b32_e32 v13, 3, v15
	global_load_b64 v[13:14], v13, s[24:25]
.LBB1293_15:
	s_or_b32 exec_lo, exec_lo, s3
	v_or_b32_e32 v17, 0x380, v0
	s_mov_b32 s3, exec_lo
                                        ; implicit-def: $vgpr15_vgpr16
	s_delay_alu instid0(VALU_DEP_1)
	v_cmpx_gt_u32_e64 s29, v17
	s_cbranch_execz .LBB1293_17
; %bb.16:
	v_lshlrev_b32_e32 v15, 3, v17
	global_load_b64 v[15:16], v15, s[24:25]
.LBB1293_17:
	s_or_b32 exec_lo, exec_lo, s3
	v_or_b32_e32 v19, 0x400, v0
	s_mov_b32 s3, exec_lo
                                        ; implicit-def: $vgpr17_vgpr18
	s_delay_alu instid0(VALU_DEP_1)
	v_cmpx_gt_u32_e64 s29, v19
	s_cbranch_execz .LBB1293_19
; %bb.18:
	v_lshlrev_b32_e32 v17, 3, v19
	global_load_b64 v[17:18], v17, s[24:25]
.LBB1293_19:
	s_or_b32 exec_lo, exec_lo, s3
	v_or_b32_e32 v21, 0x480, v0
	s_mov_b32 s3, exec_lo
                                        ; implicit-def: $vgpr19_vgpr20
	s_delay_alu instid0(VALU_DEP_1)
	v_cmpx_gt_u32_e64 s29, v21
	s_cbranch_execz .LBB1293_21
; %bb.20:
	v_lshlrev_b32_e32 v19, 3, v21
	global_load_b64 v[19:20], v19, s[24:25]
.LBB1293_21:
	s_or_b32 exec_lo, exec_lo, s3
	v_or_b32_e32 v23, 0x500, v0
	s_mov_b32 s3, exec_lo
                                        ; implicit-def: $vgpr21_vgpr22
	s_delay_alu instid0(VALU_DEP_1)
	v_cmpx_gt_u32_e64 s29, v23
	s_cbranch_execz .LBB1293_23
; %bb.22:
	v_lshlrev_b32_e32 v21, 3, v23
	global_load_b64 v[21:22], v21, s[24:25]
.LBB1293_23:
	s_or_b32 exec_lo, exec_lo, s3
	v_or_b32_e32 v25, 0x580, v0
	s_mov_b32 s3, exec_lo
                                        ; implicit-def: $vgpr23_vgpr24
	s_delay_alu instid0(VALU_DEP_1)
	v_cmpx_gt_u32_e64 s29, v25
	s_cbranch_execz .LBB1293_25
; %bb.24:
	v_lshlrev_b32_e32 v23, 3, v25
	global_load_b64 v[23:24], v23, s[24:25]
.LBB1293_25:
	s_or_b32 exec_lo, exec_lo, s3
	v_or_b32_e32 v27, 0x600, v0
	s_mov_b32 s3, exec_lo
                                        ; implicit-def: $vgpr25_vgpr26
	s_delay_alu instid0(VALU_DEP_1)
	v_cmpx_gt_u32_e64 s29, v27
	s_cbranch_execz .LBB1293_27
; %bb.26:
	v_lshlrev_b32_e32 v25, 3, v27
	global_load_b64 v[25:26], v25, s[24:25]
.LBB1293_27:
	s_or_b32 exec_lo, exec_lo, s3
	v_or_b32_e32 v29, 0x680, v0
	s_mov_b32 s3, exec_lo
                                        ; implicit-def: $vgpr27_vgpr28
	s_delay_alu instid0(VALU_DEP_1)
	v_cmpx_gt_u32_e64 s29, v29
	s_cbranch_execz .LBB1293_29
; %bb.28:
	v_lshlrev_b32_e32 v27, 3, v29
	global_load_b64 v[27:28], v27, s[24:25]
.LBB1293_29:
	s_or_b32 exec_lo, exec_lo, s3
	v_or_b32_e32 v31, 0x700, v0
	s_mov_b32 s3, exec_lo
                                        ; implicit-def: $vgpr29_vgpr30
	s_delay_alu instid0(VALU_DEP_1)
	v_cmpx_gt_u32_e64 s29, v31
	s_cbranch_execz .LBB1293_31
; %bb.30:
	v_lshlrev_b32_e32 v29, 3, v31
	global_load_b64 v[29:30], v29, s[24:25]
.LBB1293_31:
	s_or_b32 exec_lo, exec_lo, s3
	v_or_b32_e32 v33, 0x780, v0
	s_mov_b32 s3, exec_lo
                                        ; implicit-def: $vgpr31_vgpr32
	s_delay_alu instid0(VALU_DEP_1)
	v_cmpx_gt_u32_e64 s29, v33
	s_cbranch_execz .LBB1293_33
; %bb.32:
	v_lshlrev_b32_e32 v31, 3, v33
	global_load_b64 v[31:32], v31, s[24:25]
.LBB1293_33:
	s_or_b32 exec_lo, exec_lo, s3
	v_or_b32_e32 v35, 0x800, v0
	s_mov_b32 s3, exec_lo
                                        ; implicit-def: $vgpr33_vgpr34
	s_delay_alu instid0(VALU_DEP_1)
	v_cmpx_gt_u32_e64 s29, v35
	s_cbranch_execz .LBB1293_35
; %bb.34:
	v_lshlrev_b32_e32 v33, 3, v35
	global_load_b64 v[33:34], v33, s[24:25]
.LBB1293_35:
	s_or_b32 exec_lo, exec_lo, s3
	v_or_b32_e32 v37, 0x880, v0
	s_mov_b32 s3, exec_lo
                                        ; implicit-def: $vgpr35_vgpr36
	s_delay_alu instid0(VALU_DEP_1)
	v_cmpx_gt_u32_e64 s29, v37
	s_cbranch_execz .LBB1293_37
; %bb.36:
	v_lshlrev_b32_e32 v35, 3, v37
	global_load_b64 v[35:36], v35, s[24:25]
.LBB1293_37:
	s_or_b32 exec_lo, exec_lo, s3
	v_or_b32_e32 v39, 0x900, v0
	s_mov_b32 s3, exec_lo
                                        ; implicit-def: $vgpr37_vgpr38
	s_delay_alu instid0(VALU_DEP_1)
	v_cmpx_gt_u32_e64 s29, v39
	s_cbranch_execz .LBB1293_39
; %bb.38:
	v_lshlrev_b32_e32 v37, 3, v39
	global_load_b64 v[37:38], v37, s[24:25]
.LBB1293_39:
	s_or_b32 exec_lo, exec_lo, s3
	v_or_b32_e32 v41, 0x980, v0
	s_mov_b32 s3, exec_lo
                                        ; implicit-def: $vgpr39_vgpr40
	s_delay_alu instid0(VALU_DEP_1)
	v_cmpx_gt_u32_e64 s29, v41
	s_cbranch_execz .LBB1293_41
; %bb.40:
	v_lshlrev_b32_e32 v39, 3, v41
	global_load_b64 v[39:40], v39, s[24:25]
.LBB1293_41:
	s_or_b32 exec_lo, exec_lo, s3
	v_or_b32_e32 v43, 0xa00, v0
	s_mov_b32 s3, exec_lo
                                        ; implicit-def: $vgpr41_vgpr42
	s_delay_alu instid0(VALU_DEP_1)
	v_cmpx_gt_u32_e64 s29, v43
	s_cbranch_execz .LBB1293_43
; %bb.42:
	v_lshlrev_b32_e32 v41, 3, v43
	global_load_b64 v[41:42], v41, s[24:25]
.LBB1293_43:
	s_or_b32 exec_lo, exec_lo, s3
	v_or_b32_e32 v45, 0xa80, v0
	s_mov_b32 s3, exec_lo
                                        ; implicit-def: $vgpr43_vgpr44
	s_delay_alu instid0(VALU_DEP_1)
	v_cmpx_gt_u32_e64 s29, v45
	s_cbranch_execz .LBB1293_45
; %bb.44:
	v_lshlrev_b32_e32 v43, 3, v45
	global_load_b64 v[43:44], v43, s[24:25]
.LBB1293_45:
	s_or_b32 exec_lo, exec_lo, s3
	v_or_b32_e32 v47, 0xb00, v0
	s_mov_b32 s3, exec_lo
                                        ; implicit-def: $vgpr45_vgpr46
	s_delay_alu instid0(VALU_DEP_1)
	v_cmpx_gt_u32_e64 s29, v47
	s_cbranch_execz .LBB1293_47
; %bb.46:
	v_lshlrev_b32_e32 v45, 3, v47
	global_load_b64 v[45:46], v45, s[24:25]
.LBB1293_47:
	s_or_b32 exec_lo, exec_lo, s3
	v_or_b32_e32 v49, 0xb80, v0
	s_mov_b32 s3, exec_lo
                                        ; implicit-def: $vgpr47_vgpr48
	s_delay_alu instid0(VALU_DEP_1)
	v_cmpx_gt_u32_e64 s29, v49
	s_cbranch_execz .LBB1293_49
; %bb.48:
	v_lshlrev_b32_e32 v47, 3, v49
	global_load_b64 v[47:48], v47, s[24:25]
.LBB1293_49:
	s_or_b32 exec_lo, exec_lo, s3
	v_or_b32_e32 v51, 0xc00, v0
	s_mov_b32 s3, exec_lo
                                        ; implicit-def: $vgpr49_vgpr50
	s_delay_alu instid0(VALU_DEP_1)
	v_cmpx_gt_u32_e64 s29, v51
	s_cbranch_execz .LBB1293_51
; %bb.50:
	v_lshlrev_b32_e32 v49, 3, v51
	global_load_b64 v[49:50], v49, s[24:25]
.LBB1293_51:
	s_or_b32 exec_lo, exec_lo, s3
	v_or_b32_e32 v53, 0xc80, v0
	s_mov_b32 s3, exec_lo
                                        ; implicit-def: $vgpr51_vgpr52
	s_delay_alu instid0(VALU_DEP_1)
	v_cmpx_gt_u32_e64 s29, v53
	s_cbranch_execz .LBB1293_53
; %bb.52:
	v_lshlrev_b32_e32 v51, 3, v53
	global_load_b64 v[51:52], v51, s[24:25]
.LBB1293_53:
	s_or_b32 exec_lo, exec_lo, s3
	v_or_b32_e32 v55, 0xd00, v0
	s_mov_b32 s3, exec_lo
                                        ; implicit-def: $vgpr53_vgpr54
	s_delay_alu instid0(VALU_DEP_1)
	v_cmpx_gt_u32_e64 s29, v55
	s_cbranch_execz .LBB1293_55
; %bb.54:
	v_lshlrev_b32_e32 v53, 3, v55
	global_load_b64 v[53:54], v53, s[24:25]
.LBB1293_55:
	s_or_b32 exec_lo, exec_lo, s3
	v_or_b32_e32 v57, 0xd80, v0
	s_mov_b32 s3, exec_lo
                                        ; implicit-def: $vgpr55_vgpr56
	s_delay_alu instid0(VALU_DEP_1)
	v_cmpx_gt_u32_e64 s29, v57
	s_cbranch_execz .LBB1293_57
; %bb.56:
	v_lshlrev_b32_e32 v55, 3, v57
	global_load_b64 v[55:56], v55, s[24:25]
.LBB1293_57:
	s_or_b32 exec_lo, exec_lo, s3
	v_or_b32_e32 v59, 0xe00, v0
	s_mov_b32 s3, exec_lo
                                        ; implicit-def: $vgpr57_vgpr58
	s_delay_alu instid0(VALU_DEP_1)
	v_cmpx_gt_u32_e64 s29, v59
	s_cbranch_execz .LBB1293_59
; %bb.58:
	v_lshlrev_b32_e32 v57, 3, v59
	global_load_b64 v[57:58], v57, s[24:25]
.LBB1293_59:
	s_or_b32 exec_lo, exec_lo, s3
	v_lshlrev_b32_e32 v59, 3, v0
	s_mov_b32 s3, 0
	s_waitcnt vmcnt(0)
	ds_store_2addr_stride64_b64 v59, v[1:2], v[3:4] offset1:2
	ds_store_2addr_stride64_b64 v59, v[5:6], v[7:8] offset0:4 offset1:6
	ds_store_2addr_stride64_b64 v59, v[9:10], v[11:12] offset0:8 offset1:10
	;; [unrolled: 1-line block ×13, first 2 shown]
	ds_store_b64 v59, v[57:58] offset:28672
	s_waitcnt lgkmcnt(0)
	s_barrier
.LBB1293_60:
	v_lshlrev_b32_e32 v195, 3, v0
	s_and_b32 vcc_lo, exec_lo, s3
	s_cbranch_vccz .LBB1293_62
; %bb.61:
	s_mov_b32 s3, 0
	s_delay_alu instid0(SALU_CYCLE_1) | instskip(NEXT) | instid1(SALU_CYCLE_1)
	s_lshl_b64 s[24:25], s[2:3], 3
	s_add_u32 s24, s27, s24
	s_addc_u32 s25, s28, s25
	v_add_co_u32 v49, s3, s24, v195
	s_delay_alu instid0(VALU_DEP_1)
	v_add_co_ci_u32_e64 v50, null, s25, 0, s3
	s_clause 0x3
	global_load_b64 v[1:2], v195, s[24:25]
	global_load_b64 v[3:4], v195, s[24:25] offset:1024
	global_load_b64 v[5:6], v195, s[24:25] offset:2048
	;; [unrolled: 1-line block ×3, first 2 shown]
	v_add_co_u32 v9, vcc_lo, 0x1000, v49
	v_add_co_ci_u32_e32 v10, vcc_lo, 0, v50, vcc_lo
	v_add_co_u32 v11, vcc_lo, v49, 0x2000
	v_add_co_ci_u32_e32 v12, vcc_lo, 0, v50, vcc_lo
	;; [unrolled: 2-line block ×10, first 2 shown]
	s_clause 0x18
	global_load_b64 v[15:16], v[11:12], off offset:-4096
	global_load_b64 v[17:18], v[9:10], off offset:1024
	global_load_b64 v[19:20], v[9:10], off offset:2048
	;; [unrolled: 1-line block ×12, first 2 shown]
	global_load_b64 v[11:12], v[11:12], off
	global_load_b64 v[43:44], v[25:26], off offset:-4096
	global_load_b64 v[25:26], v[25:26], off
	global_load_b64 v[45:46], v[39:40], off offset:-4096
	global_load_b64 v[39:40], v[39:40], off
	global_load_b64 v[51:52], v[41:42], off offset:1024
	global_load_b64 v[53:54], v[41:42], off offset:2048
	;; [unrolled: 1-line block ×6, first 2 shown]
	global_load_b64 v[49:50], v[49:50], off
	s_waitcnt vmcnt(27)
	ds_store_2addr_stride64_b64 v195, v[1:2], v[3:4] offset1:2
	s_waitcnt vmcnt(25)
	ds_store_2addr_stride64_b64 v195, v[5:6], v[7:8] offset0:4 offset1:6
	s_waitcnt vmcnt(23)
	ds_store_2addr_stride64_b64 v195, v[15:16], v[17:18] offset0:8 offset1:10
	;; [unrolled: 2-line block ×4, first 2 shown]
	ds_store_2addr_stride64_b64 v195, v[29:30], v[13:14] offset0:20 offset1:22
	s_waitcnt vmcnt(10)
	ds_store_2addr_stride64_b64 v195, v[43:44], v[31:32] offset0:24 offset1:26
	ds_store_2addr_stride64_b64 v195, v[33:34], v[23:24] offset0:28 offset1:30
	s_waitcnt vmcnt(9)
	ds_store_2addr_stride64_b64 v195, v[25:26], v[35:36] offset0:32 offset1:34
	;; [unrolled: 3-line block ×3, first 2 shown]
	s_waitcnt vmcnt(4)
	ds_store_2addr_stride64_b64 v195, v[53:54], v[41:42] offset0:44 offset1:46
	s_waitcnt vmcnt(3)
	ds_store_2addr_stride64_b64 v195, v[39:40], v[55:56] offset0:48 offset1:50
	;; [unrolled: 2-line block ×3, first 2 shown]
	s_waitcnt vmcnt(0)
	ds_store_b64 v195, v[49:50] offset:28672
	s_waitcnt lgkmcnt(0)
	s_barrier
.LBB1293_62:
	v_mul_u32_u24_e32 v1, 29, v0
	buffer_gl0_inv
	s_cmp_eq_u64 s[20:21], 0
	v_lshlrev_b32_e32 v53, 3, v1
	ds_load_b64 v[109:110], v53 offset:224
	ds_load_2addr_b64 v[5:8], v53 offset0:26 offset1:27
	ds_load_2addr_b64 v[9:12], v53 offset0:24 offset1:25
	ds_load_2addr_b64 v[1:4], v53 offset1:1
	ds_load_2addr_b64 v[13:16], v53 offset0:2 offset1:3
	ds_load_2addr_b64 v[17:20], v53 offset0:4 offset1:5
	;; [unrolled: 1-line block ×11, first 2 shown]
	s_waitcnt lgkmcnt(0)
	s_barrier
	buffer_gl0_inv
	s_cbranch_scc1 .LBB1293_71
; %bb.63:
	s_lshl_b64 s[14:15], s[14:15], 3
	s_delay_alu instid0(SALU_CYCLE_1) | instskip(SKIP_2) | instid1(SALU_CYCLE_1)
	s_add_u32 s3, s12, s14
	s_addc_u32 s14, s13, s15
	s_lshl_b64 s[12:13], s[22:23], 3
	s_add_u32 s3, s3, s12
	s_addc_u32 s13, s14, s13
	s_add_u32 s12, s3, -8
	s_addc_u32 s13, s13, -1
	s_cmp_lg_u64 s[20:21], s[0:1]
	s_load_b64 s[12:13], s[12:13], 0x0
	s_cbranch_scc0 .LBB1293_72
; %bb.64:
	v_mul_lo_u32 v59, v8, s8
	v_mul_lo_u32 v60, v7, s9
	v_mad_u64_u32 v[57:58], null, v7, s8, 0
	v_mov_b32_e32 v113, 0
	v_mov_b32_e32 v114, 0
	v_cmp_lt_i64_e64 s0, s[8:9], 1
	v_cmp_gt_i64_e64 s1, s[8:9], 0
	s_delay_alu instid0(VALU_DEP_4) | instskip(SKIP_4) | instid1(VALU_DEP_1)
	v_mov_b32_e32 v111, v113
	ds_store_b64 v195, v[109:110]
	v_mov_b32_e32 v112, v114
	v_add3_u32 v58, v58, v60, v59
	s_and_b32 vcc_lo, exec_lo, s0
	v_lshlrev_b64 v[57:58], 1, v[57:58]
	s_cbranch_vccnz .LBB1293_76
; %bb.65:
	v_mul_lo_u32 v61, v110, s8
	v_mul_lo_u32 v62, v109, s9
	v_mad_u64_u32 v[59:60], null, v109, s8, 0
	v_mov_b32_e32 v111, 1
	v_mov_b32_e32 v112, 0
	s_mov_b32 s3, exec_lo
	s_delay_alu instid0(VALU_DEP_3) | instskip(NEXT) | instid1(VALU_DEP_1)
	v_add3_u32 v60, v60, v62, v61
	v_lshlrev_b64 v[59:60], 1, v[59:60]
	s_delay_alu instid0(VALU_DEP_1) | instskip(NEXT) | instid1(VALU_DEP_2)
	v_add_co_u32 v61, vcc_lo, s10, v59
	v_add_co_ci_u32_e32 v62, vcc_lo, s11, v60, vcc_lo
	v_add_co_u32 v59, vcc_lo, s10, v57
	v_add_co_ci_u32_e32 v60, vcc_lo, s11, v58, vcc_lo
	s_clause 0x1
	global_load_u16 v63, v[61:62], off
	global_load_u16 v64, v[59:60], off
	s_waitcnt vmcnt(0)
	v_cmpx_eq_f16_e32 v63, v64
	s_cbranch_execz .LBB1293_75
; %bb.66:
	v_add_co_u32 v59, vcc_lo, v59, 2
	v_add_co_ci_u32_e32 v60, vcc_lo, 0, v60, vcc_lo
	v_add_co_u32 v61, vcc_lo, v61, 2
	v_add_co_ci_u32_e32 v62, vcc_lo, 0, v62, vcc_lo
	s_add_u32 s14, s8, -1
	s_addc_u32 s15, s9, -1
	s_mov_b64 s[22:23], 0
	s_mov_b32 s21, 0
                                        ; implicit-def: $sgpr24
	s_set_inst_prefetch_distance 0x1
	s_branch .LBB1293_69
	.p2align	6
.LBB1293_67:                            ;   in Loop: Header=BB1293_69 Depth=1
	global_load_u16 v63, v[61:62], off
	global_load_u16 v64, v[59:60], off
	v_add_co_u32 v59, vcc_lo, v59, 2
	v_add_co_ci_u32_e32 v60, vcc_lo, 0, v60, vcc_lo
	v_add_co_u32 v61, s0, v61, 2
	s_delay_alu instid0(VALU_DEP_1)
	v_add_co_ci_u32_e64 v62, s0, 0, v62, s0
	s_add_u32 s22, s22, 1
	s_addc_u32 s23, s23, 0
	s_and_not1_b32 s0, s24, exec_lo
	s_waitcnt vmcnt(0)
	v_cmp_neq_f16_e32 vcc_lo, v63, v64
	s_and_b32 s24, vcc_lo, exec_lo
	s_delay_alu instid0(SALU_CYCLE_1)
	s_or_b32 s24, s0, s24
.LBB1293_68:                            ;   in Loop: Header=BB1293_69 Depth=1
	v_dual_mov_b32 v64, s23 :: v_dual_mov_b32 v63, s22
	s_and_b32 s0, exec_lo, s24
	s_delay_alu instid0(SALU_CYCLE_1) | instskip(NEXT) | instid1(SALU_CYCLE_1)
	s_or_b32 s21, s0, s21
	s_and_not1_b32 exec_lo, exec_lo, s21
	s_cbranch_execz .LBB1293_74
.LBB1293_69:                            ; =>This Inner Loop Header: Depth=1
	s_or_b32 s24, s24, exec_lo
	s_cmp_eq_u64 s[14:15], s[22:23]
	s_cbranch_scc0 .LBB1293_67
; %bb.70:                               ;   in Loop: Header=BB1293_69 Depth=1
	s_mov_b64 s[22:23], s[8:9]
                                        ; implicit-def: $vgpr59_vgpr60
                                        ; implicit-def: $vgpr61_vgpr62
	s_branch .LBB1293_68
.LBB1293_71:
	s_mov_b32 s1, 0
                                        ; implicit-def: $sgpr0
                                        ; implicit-def: $vgpr165_vgpr166
                                        ; implicit-def: $vgpr163_vgpr164
                                        ; implicit-def: $vgpr161_vgpr162
                                        ; implicit-def: $vgpr159_vgpr160
                                        ; implicit-def: $vgpr157_vgpr158
                                        ; implicit-def: $vgpr155_vgpr156
                                        ; implicit-def: $vgpr153_vgpr154
                                        ; implicit-def: $vgpr151_vgpr152
                                        ; implicit-def: $vgpr149_vgpr150
                                        ; implicit-def: $vgpr147_vgpr148
                                        ; implicit-def: $vgpr145_vgpr146
                                        ; implicit-def: $vgpr143_vgpr144
                                        ; implicit-def: $vgpr141_vgpr142
                                        ; implicit-def: $vgpr139_vgpr140
                                        ; implicit-def: $vgpr137_vgpr138
                                        ; implicit-def: $vgpr135_vgpr136
                                        ; implicit-def: $vgpr133_vgpr134
                                        ; implicit-def: $vgpr131_vgpr132
                                        ; implicit-def: $vgpr129_vgpr130
                                        ; implicit-def: $vgpr127_vgpr128
                                        ; implicit-def: $vgpr125_vgpr126
                                        ; implicit-def: $vgpr123_vgpr124
                                        ; implicit-def: $vgpr121_vgpr122
                                        ; implicit-def: $vgpr119_vgpr120
                                        ; implicit-def: $vgpr117_vgpr118
                                        ; implicit-def: $vgpr113_vgpr114
                                        ; implicit-def: $vgpr115_vgpr116
                                        ; implicit-def: $vgpr111_vgpr112
                                        ; implicit-def: $vgpr181_vgpr182
                                        ; implicit-def: $vgpr167_vgpr168
                                        ; implicit-def: $vgpr169_vgpr170
                                        ; implicit-def: $vgpr171_vgpr172
                                        ; implicit-def: $vgpr173_vgpr174
                                        ; implicit-def: $vgpr175_vgpr176
                                        ; implicit-def: $vgpr177_vgpr178
                                        ; implicit-def: $vgpr179_vgpr180
                                        ; implicit-def: $vgpr183_vgpr184
                                        ; implicit-def: $vgpr185_vgpr186
                                        ; implicit-def: $vgpr187_vgpr188
                                        ; implicit-def: $vgpr189_vgpr190
                                        ; implicit-def: $vgpr191_vgpr192
                                        ; implicit-def: $vgpr193_vgpr194
                                        ; implicit-def: $vgpr57_vgpr58_vgpr59_vgpr60
                                        ; implicit-def: $vgpr61_vgpr62_vgpr63_vgpr64
                                        ; implicit-def: $vgpr65_vgpr66_vgpr67_vgpr68
                                        ; implicit-def: $vgpr69_vgpr70_vgpr71_vgpr72
                                        ; implicit-def: $vgpr73_vgpr74_vgpr75_vgpr76
                                        ; implicit-def: $vgpr77_vgpr78_vgpr79_vgpr80
                                        ; implicit-def: $vgpr81_vgpr82_vgpr83_vgpr84
                                        ; implicit-def: $vgpr85_vgpr86_vgpr87_vgpr88
                                        ; implicit-def: $vgpr89_vgpr90_vgpr91_vgpr92
                                        ; implicit-def: $vgpr93_vgpr94_vgpr95_vgpr96
                                        ; implicit-def: $vgpr97_vgpr98_vgpr99_vgpr100
                                        ; implicit-def: $vgpr101_vgpr102_vgpr103_vgpr104
                                        ; implicit-def: $vgpr105_vgpr106_vgpr107_vgpr108
	s_cbranch_execnz .LBB1293_655
	s_branch .LBB1293_1243
.LBB1293_72:
	s_mov_b32 s1, 0
                                        ; implicit-def: $sgpr0
                                        ; implicit-def: $vgpr165_vgpr166
                                        ; implicit-def: $vgpr163_vgpr164
                                        ; implicit-def: $vgpr161_vgpr162
                                        ; implicit-def: $vgpr159_vgpr160
                                        ; implicit-def: $vgpr157_vgpr158
                                        ; implicit-def: $vgpr155_vgpr156
                                        ; implicit-def: $vgpr153_vgpr154
                                        ; implicit-def: $vgpr151_vgpr152
                                        ; implicit-def: $vgpr149_vgpr150
                                        ; implicit-def: $vgpr147_vgpr148
                                        ; implicit-def: $vgpr145_vgpr146
                                        ; implicit-def: $vgpr143_vgpr144
                                        ; implicit-def: $vgpr141_vgpr142
                                        ; implicit-def: $vgpr139_vgpr140
                                        ; implicit-def: $vgpr137_vgpr138
                                        ; implicit-def: $vgpr135_vgpr136
                                        ; implicit-def: $vgpr133_vgpr134
                                        ; implicit-def: $vgpr131_vgpr132
                                        ; implicit-def: $vgpr129_vgpr130
                                        ; implicit-def: $vgpr127_vgpr128
                                        ; implicit-def: $vgpr125_vgpr126
                                        ; implicit-def: $vgpr123_vgpr124
                                        ; implicit-def: $vgpr121_vgpr122
                                        ; implicit-def: $vgpr119_vgpr120
                                        ; implicit-def: $vgpr117_vgpr118
                                        ; implicit-def: $vgpr113_vgpr114
                                        ; implicit-def: $vgpr115_vgpr116
                                        ; implicit-def: $vgpr111_vgpr112
	s_cbranch_execnz .LBB1293_332
.LBB1293_73:
                                        ; implicit-def: $vgpr181_vgpr182
                                        ; implicit-def: $vgpr167_vgpr168
                                        ; implicit-def: $vgpr169_vgpr170
                                        ; implicit-def: $vgpr171_vgpr172
                                        ; implicit-def: $vgpr173_vgpr174
                                        ; implicit-def: $vgpr175_vgpr176
                                        ; implicit-def: $vgpr177_vgpr178
                                        ; implicit-def: $vgpr179_vgpr180
                                        ; implicit-def: $vgpr183_vgpr184
                                        ; implicit-def: $vgpr185_vgpr186
                                        ; implicit-def: $vgpr187_vgpr188
                                        ; implicit-def: $vgpr189_vgpr190
                                        ; implicit-def: $vgpr191_vgpr192
                                        ; implicit-def: $vgpr193_vgpr194
                                        ; implicit-def: $vgpr57_vgpr58_vgpr59_vgpr60
                                        ; implicit-def: $vgpr61_vgpr62_vgpr63_vgpr64
                                        ; implicit-def: $vgpr65_vgpr66_vgpr67_vgpr68
                                        ; implicit-def: $vgpr69_vgpr70_vgpr71_vgpr72
                                        ; implicit-def: $vgpr73_vgpr74_vgpr75_vgpr76
                                        ; implicit-def: $vgpr77_vgpr78_vgpr79_vgpr80
                                        ; implicit-def: $vgpr81_vgpr82_vgpr83_vgpr84
                                        ; implicit-def: $vgpr85_vgpr86_vgpr87_vgpr88
                                        ; implicit-def: $vgpr89_vgpr90_vgpr91_vgpr92
                                        ; implicit-def: $vgpr93_vgpr94_vgpr95_vgpr96
                                        ; implicit-def: $vgpr97_vgpr98_vgpr99_vgpr100
                                        ; implicit-def: $vgpr101_vgpr102_vgpr103_vgpr104
                                        ; implicit-def: $vgpr105_vgpr106_vgpr107_vgpr108
	s_branch .LBB1293_1243
.LBB1293_74:
	s_set_inst_prefetch_distance 0x2
	s_or_b32 exec_lo, exec_lo, s21
	v_cmp_gt_i64_e32 vcc_lo, s[8:9], v[63:64]
	s_mov_b32 s0, 0
	s_delay_alu instid0(SALU_CYCLE_1)
	v_mov_b32_e32 v112, s0
	v_cndmask_b32_e64 v111, 0, 1, vcc_lo
.LBB1293_75:
	s_or_b32 exec_lo, exec_lo, s3
.LBB1293_76:
	v_mul_lo_u32 v61, v6, s8
	v_mul_lo_u32 v62, v5, s9
	v_mad_u64_u32 v[59:60], null, v5, s8, 0
	v_cndmask_b32_e64 v65, 0, 1, s1
	v_dual_mov_b32 v116, v114 :: v_dual_mov_b32 v115, v113
	s_and_not1_b32 vcc_lo, exec_lo, s1
	s_delay_alu instid0(VALU_DEP_3) | instskip(NEXT) | instid1(VALU_DEP_1)
	v_add3_u32 v60, v60, v62, v61
	v_lshlrev_b64 v[59:60], 1, v[59:60]
	s_cbranch_vccnz .LBB1293_85
; %bb.77:
	v_add_co_u32 v61, vcc_lo, s10, v57
	v_add_co_ci_u32_e32 v62, vcc_lo, s11, v58, vcc_lo
	s_delay_alu instid0(VALU_DEP_3) | instskip(NEXT) | instid1(VALU_DEP_4)
	v_add_co_u32 v57, vcc_lo, s10, v59
	v_add_co_ci_u32_e32 v58, vcc_lo, s11, v60, vcc_lo
	v_mov_b32_e32 v115, 1
	s_clause 0x1
	global_load_u16 v63, v[61:62], off
	global_load_u16 v64, v[57:58], off
	v_mov_b32_e32 v116, 0
	s_mov_b32 s1, exec_lo
	s_waitcnt vmcnt(0)
	v_cmpx_eq_f16_e32 v63, v64
	s_cbranch_execz .LBB1293_84
; %bb.78:
	v_add_co_u32 v57, vcc_lo, v57, 2
	v_add_co_ci_u32_e32 v58, vcc_lo, 0, v58, vcc_lo
	v_add_co_u32 v61, vcc_lo, v61, 2
	v_add_co_ci_u32_e32 v62, vcc_lo, 0, v62, vcc_lo
	s_add_u32 s14, s8, -1
	s_addc_u32 s15, s9, -1
	s_mov_b64 s[22:23], 0
	s_mov_b32 s3, 0
                                        ; implicit-def: $sgpr21
	s_set_inst_prefetch_distance 0x1
	s_branch .LBB1293_81
	.p2align	6
.LBB1293_79:                            ;   in Loop: Header=BB1293_81 Depth=1
	global_load_u16 v63, v[61:62], off
	global_load_u16 v64, v[57:58], off
	v_add_co_u32 v57, vcc_lo, v57, 2
	v_add_co_ci_u32_e32 v58, vcc_lo, 0, v58, vcc_lo
	v_add_co_u32 v61, s0, v61, 2
	s_delay_alu instid0(VALU_DEP_1)
	v_add_co_ci_u32_e64 v62, s0, 0, v62, s0
	s_add_u32 s22, s22, 1
	s_addc_u32 s23, s23, 0
	s_and_not1_b32 s0, s21, exec_lo
	s_waitcnt vmcnt(0)
	v_cmp_neq_f16_e32 vcc_lo, v63, v64
	s_and_b32 s21, vcc_lo, exec_lo
	s_delay_alu instid0(SALU_CYCLE_1)
	s_or_b32 s21, s0, s21
.LBB1293_80:                            ;   in Loop: Header=BB1293_81 Depth=1
	v_dual_mov_b32 v64, s23 :: v_dual_mov_b32 v63, s22
	s_and_b32 s0, exec_lo, s21
	s_delay_alu instid0(SALU_CYCLE_1) | instskip(NEXT) | instid1(SALU_CYCLE_1)
	s_or_b32 s3, s0, s3
	s_and_not1_b32 exec_lo, exec_lo, s3
	s_cbranch_execz .LBB1293_83
.LBB1293_81:                            ; =>This Inner Loop Header: Depth=1
	s_or_b32 s21, s21, exec_lo
	s_cmp_eq_u64 s[14:15], s[22:23]
	s_cbranch_scc0 .LBB1293_79
; %bb.82:                               ;   in Loop: Header=BB1293_81 Depth=1
	s_mov_b64 s[22:23], s[8:9]
                                        ; implicit-def: $vgpr57_vgpr58
                                        ; implicit-def: $vgpr61_vgpr62
	s_branch .LBB1293_80
.LBB1293_83:
	s_set_inst_prefetch_distance 0x2
	s_or_b32 exec_lo, exec_lo, s3
	v_cmp_gt_i64_e32 vcc_lo, s[8:9], v[63:64]
	s_mov_b32 s0, 0
	s_delay_alu instid0(SALU_CYCLE_1)
	v_mov_b32_e32 v116, s0
	v_cndmask_b32_e64 v115, 0, 1, vcc_lo
.LBB1293_84:
	s_or_b32 exec_lo, exec_lo, s1
.LBB1293_85:
	v_mul_lo_u32 v61, v12, s8
	v_mul_lo_u32 v62, v11, s9
	v_mad_u64_u32 v[57:58], null, v11, s8, 0
	v_cmp_ne_u32_e32 vcc_lo, 1, v65
	s_delay_alu instid0(VALU_DEP_2) | instskip(NEXT) | instid1(VALU_DEP_1)
	v_add3_u32 v58, v58, v62, v61
	v_lshlrev_b64 v[57:58], 1, v[57:58]
	s_cbranch_vccnz .LBB1293_94
; %bb.86:
	v_add_co_u32 v61, vcc_lo, s10, v59
	v_add_co_ci_u32_e32 v62, vcc_lo, s11, v60, vcc_lo
	s_delay_alu instid0(VALU_DEP_3) | instskip(NEXT) | instid1(VALU_DEP_4)
	v_add_co_u32 v59, vcc_lo, s10, v57
	v_add_co_ci_u32_e32 v60, vcc_lo, s11, v58, vcc_lo
	v_mov_b32_e32 v113, 1
	s_clause 0x1
	global_load_u16 v63, v[61:62], off
	global_load_u16 v64, v[59:60], off
	v_mov_b32_e32 v114, 0
	s_mov_b32 s1, exec_lo
	s_waitcnt vmcnt(0)
	v_cmpx_eq_f16_e32 v63, v64
	s_cbranch_execz .LBB1293_93
; %bb.87:
	v_add_co_u32 v59, vcc_lo, v59, 2
	v_add_co_ci_u32_e32 v60, vcc_lo, 0, v60, vcc_lo
	v_add_co_u32 v61, vcc_lo, v61, 2
	v_add_co_ci_u32_e32 v62, vcc_lo, 0, v62, vcc_lo
	s_add_u32 s14, s8, -1
	s_addc_u32 s15, s9, -1
	s_mov_b64 s[22:23], 0
	s_mov_b32 s3, 0
                                        ; implicit-def: $sgpr21
	s_set_inst_prefetch_distance 0x1
	s_branch .LBB1293_90
	.p2align	6
.LBB1293_88:                            ;   in Loop: Header=BB1293_90 Depth=1
	global_load_u16 v63, v[61:62], off
	global_load_u16 v64, v[59:60], off
	v_add_co_u32 v59, vcc_lo, v59, 2
	v_add_co_ci_u32_e32 v60, vcc_lo, 0, v60, vcc_lo
	v_add_co_u32 v61, s0, v61, 2
	s_delay_alu instid0(VALU_DEP_1)
	v_add_co_ci_u32_e64 v62, s0, 0, v62, s0
	s_add_u32 s22, s22, 1
	s_addc_u32 s23, s23, 0
	s_and_not1_b32 s0, s21, exec_lo
	s_waitcnt vmcnt(0)
	v_cmp_neq_f16_e32 vcc_lo, v63, v64
	s_and_b32 s21, vcc_lo, exec_lo
	s_delay_alu instid0(SALU_CYCLE_1)
	s_or_b32 s21, s0, s21
.LBB1293_89:                            ;   in Loop: Header=BB1293_90 Depth=1
	v_dual_mov_b32 v64, s23 :: v_dual_mov_b32 v63, s22
	s_and_b32 s0, exec_lo, s21
	s_delay_alu instid0(SALU_CYCLE_1) | instskip(NEXT) | instid1(SALU_CYCLE_1)
	s_or_b32 s3, s0, s3
	s_and_not1_b32 exec_lo, exec_lo, s3
	s_cbranch_execz .LBB1293_92
.LBB1293_90:                            ; =>This Inner Loop Header: Depth=1
	s_or_b32 s21, s21, exec_lo
	s_cmp_eq_u64 s[14:15], s[22:23]
	s_cbranch_scc0 .LBB1293_88
; %bb.91:                               ;   in Loop: Header=BB1293_90 Depth=1
	s_mov_b64 s[22:23], s[8:9]
                                        ; implicit-def: $vgpr59_vgpr60
                                        ; implicit-def: $vgpr61_vgpr62
	s_branch .LBB1293_89
.LBB1293_92:
	s_set_inst_prefetch_distance 0x2
	s_or_b32 exec_lo, exec_lo, s3
	v_cmp_gt_i64_e32 vcc_lo, s[8:9], v[63:64]
	s_mov_b32 s0, 0
	s_delay_alu instid0(SALU_CYCLE_1)
	v_mov_b32_e32 v114, s0
	v_cndmask_b32_e64 v113, 0, 1, vcc_lo
.LBB1293_93:
	s_or_b32 exec_lo, exec_lo, s1
.LBB1293_94:
	v_mul_lo_u32 v61, v10, s8
	v_mul_lo_u32 v62, v9, s9
	v_mad_u64_u32 v[59:60], null, v9, s8, 0
	v_mov_b32_e32 v119, 0
	v_mov_b32_e32 v120, 0
	v_cmp_ne_u32_e32 vcc_lo, 1, v65
	s_delay_alu instid0(VALU_DEP_2) | instskip(SKIP_1) | instid1(VALU_DEP_1)
	v_dual_mov_b32 v117, v119 :: v_dual_mov_b32 v118, v120
	v_add3_u32 v60, v60, v62, v61
	v_lshlrev_b64 v[59:60], 1, v[59:60]
	s_cbranch_vccnz .LBB1293_103
; %bb.95:
	v_add_co_u32 v61, vcc_lo, s10, v57
	v_add_co_ci_u32_e32 v62, vcc_lo, s11, v58, vcc_lo
	s_delay_alu instid0(VALU_DEP_3) | instskip(NEXT) | instid1(VALU_DEP_4)
	v_add_co_u32 v57, vcc_lo, s10, v59
	v_add_co_ci_u32_e32 v58, vcc_lo, s11, v60, vcc_lo
	v_mov_b32_e32 v117, 1
	s_clause 0x1
	global_load_u16 v63, v[61:62], off
	global_load_u16 v64, v[57:58], off
	v_mov_b32_e32 v118, 0
	s_mov_b32 s1, exec_lo
	s_waitcnt vmcnt(0)
	v_cmpx_eq_f16_e32 v63, v64
	s_cbranch_execz .LBB1293_102
; %bb.96:
	v_add_co_u32 v57, vcc_lo, v57, 2
	v_add_co_ci_u32_e32 v58, vcc_lo, 0, v58, vcc_lo
	v_add_co_u32 v61, vcc_lo, v61, 2
	v_add_co_ci_u32_e32 v62, vcc_lo, 0, v62, vcc_lo
	s_add_u32 s14, s8, -1
	s_addc_u32 s15, s9, -1
	s_mov_b64 s[22:23], 0
	s_mov_b32 s3, 0
                                        ; implicit-def: $sgpr21
	s_set_inst_prefetch_distance 0x1
	s_branch .LBB1293_99
	.p2align	6
.LBB1293_97:                            ;   in Loop: Header=BB1293_99 Depth=1
	global_load_u16 v63, v[61:62], off
	global_load_u16 v64, v[57:58], off
	v_add_co_u32 v57, vcc_lo, v57, 2
	v_add_co_ci_u32_e32 v58, vcc_lo, 0, v58, vcc_lo
	v_add_co_u32 v61, s0, v61, 2
	s_delay_alu instid0(VALU_DEP_1)
	v_add_co_ci_u32_e64 v62, s0, 0, v62, s0
	s_add_u32 s22, s22, 1
	s_addc_u32 s23, s23, 0
	s_and_not1_b32 s0, s21, exec_lo
	s_waitcnt vmcnt(0)
	v_cmp_neq_f16_e32 vcc_lo, v63, v64
	s_and_b32 s21, vcc_lo, exec_lo
	s_delay_alu instid0(SALU_CYCLE_1)
	s_or_b32 s21, s0, s21
.LBB1293_98:                            ;   in Loop: Header=BB1293_99 Depth=1
	v_dual_mov_b32 v64, s23 :: v_dual_mov_b32 v63, s22
	s_and_b32 s0, exec_lo, s21
	s_delay_alu instid0(SALU_CYCLE_1) | instskip(NEXT) | instid1(SALU_CYCLE_1)
	s_or_b32 s3, s0, s3
	s_and_not1_b32 exec_lo, exec_lo, s3
	s_cbranch_execz .LBB1293_101
.LBB1293_99:                            ; =>This Inner Loop Header: Depth=1
	s_or_b32 s21, s21, exec_lo
	s_cmp_eq_u64 s[14:15], s[22:23]
	s_cbranch_scc0 .LBB1293_97
; %bb.100:                              ;   in Loop: Header=BB1293_99 Depth=1
	s_mov_b64 s[22:23], s[8:9]
                                        ; implicit-def: $vgpr57_vgpr58
                                        ; implicit-def: $vgpr61_vgpr62
	s_branch .LBB1293_98
.LBB1293_101:
	s_set_inst_prefetch_distance 0x2
	s_or_b32 exec_lo, exec_lo, s3
	v_cmp_gt_i64_e32 vcc_lo, s[8:9], v[63:64]
	s_mov_b32 s0, 0
	s_delay_alu instid0(SALU_CYCLE_1)
	v_mov_b32_e32 v118, s0
	v_cndmask_b32_e64 v117, 0, 1, vcc_lo
.LBB1293_102:
	s_or_b32 exec_lo, exec_lo, s1
.LBB1293_103:
	v_mul_lo_u32 v61, v56, s8
	v_mul_lo_u32 v62, v55, s9
	v_mad_u64_u32 v[57:58], null, v55, s8, 0
	v_cmp_ne_u32_e32 vcc_lo, 1, v65
	s_delay_alu instid0(VALU_DEP_2) | instskip(NEXT) | instid1(VALU_DEP_1)
	v_add3_u32 v58, v58, v62, v61
	v_lshlrev_b64 v[57:58], 1, v[57:58]
	s_cbranch_vccnz .LBB1293_112
; %bb.104:
	v_add_co_u32 v61, vcc_lo, s10, v59
	v_add_co_ci_u32_e32 v62, vcc_lo, s11, v60, vcc_lo
	s_delay_alu instid0(VALU_DEP_3) | instskip(NEXT) | instid1(VALU_DEP_4)
	v_add_co_u32 v59, vcc_lo, s10, v57
	v_add_co_ci_u32_e32 v60, vcc_lo, s11, v58, vcc_lo
	v_mov_b32_e32 v119, 1
	s_clause 0x1
	global_load_u16 v63, v[61:62], off
	global_load_u16 v64, v[59:60], off
	v_mov_b32_e32 v120, 0
	s_mov_b32 s1, exec_lo
	s_waitcnt vmcnt(0)
	v_cmpx_eq_f16_e32 v63, v64
	s_cbranch_execz .LBB1293_111
; %bb.105:
	v_add_co_u32 v59, vcc_lo, v59, 2
	v_add_co_ci_u32_e32 v60, vcc_lo, 0, v60, vcc_lo
	v_add_co_u32 v61, vcc_lo, v61, 2
	v_add_co_ci_u32_e32 v62, vcc_lo, 0, v62, vcc_lo
	s_add_u32 s14, s8, -1
	s_addc_u32 s15, s9, -1
	s_mov_b64 s[22:23], 0
	s_mov_b32 s3, 0
                                        ; implicit-def: $sgpr21
	s_set_inst_prefetch_distance 0x1
	s_branch .LBB1293_108
	.p2align	6
.LBB1293_106:                           ;   in Loop: Header=BB1293_108 Depth=1
	global_load_u16 v63, v[61:62], off
	global_load_u16 v64, v[59:60], off
	v_add_co_u32 v59, vcc_lo, v59, 2
	v_add_co_ci_u32_e32 v60, vcc_lo, 0, v60, vcc_lo
	v_add_co_u32 v61, s0, v61, 2
	s_delay_alu instid0(VALU_DEP_1)
	v_add_co_ci_u32_e64 v62, s0, 0, v62, s0
	s_add_u32 s22, s22, 1
	s_addc_u32 s23, s23, 0
	s_and_not1_b32 s0, s21, exec_lo
	s_waitcnt vmcnt(0)
	v_cmp_neq_f16_e32 vcc_lo, v63, v64
	s_and_b32 s21, vcc_lo, exec_lo
	s_delay_alu instid0(SALU_CYCLE_1)
	s_or_b32 s21, s0, s21
.LBB1293_107:                           ;   in Loop: Header=BB1293_108 Depth=1
	v_dual_mov_b32 v64, s23 :: v_dual_mov_b32 v63, s22
	s_and_b32 s0, exec_lo, s21
	s_delay_alu instid0(SALU_CYCLE_1) | instskip(NEXT) | instid1(SALU_CYCLE_1)
	s_or_b32 s3, s0, s3
	s_and_not1_b32 exec_lo, exec_lo, s3
	s_cbranch_execz .LBB1293_110
.LBB1293_108:                           ; =>This Inner Loop Header: Depth=1
	s_or_b32 s21, s21, exec_lo
	s_cmp_eq_u64 s[14:15], s[22:23]
	s_cbranch_scc0 .LBB1293_106
; %bb.109:                              ;   in Loop: Header=BB1293_108 Depth=1
	s_mov_b64 s[22:23], s[8:9]
                                        ; implicit-def: $vgpr59_vgpr60
                                        ; implicit-def: $vgpr61_vgpr62
	s_branch .LBB1293_107
.LBB1293_110:
	s_set_inst_prefetch_distance 0x2
	s_or_b32 exec_lo, exec_lo, s3
	v_cmp_gt_i64_e32 vcc_lo, s[8:9], v[63:64]
	s_mov_b32 s0, 0
	s_delay_alu instid0(SALU_CYCLE_1)
	v_mov_b32_e32 v120, s0
	v_cndmask_b32_e64 v119, 0, 1, vcc_lo
.LBB1293_111:
	s_or_b32 exec_lo, exec_lo, s1
.LBB1293_112:
	v_mul_lo_u32 v61, v54, s8
	v_mul_lo_u32 v62, v53, s9
	v_mad_u64_u32 v[59:60], null, v53, s8, 0
	v_mov_b32_e32 v123, 0
	v_mov_b32_e32 v124, 0
	v_cmp_ne_u32_e32 vcc_lo, 1, v65
	s_delay_alu instid0(VALU_DEP_2) | instskip(SKIP_1) | instid1(VALU_DEP_1)
	v_dual_mov_b32 v121, v123 :: v_dual_mov_b32 v122, v124
	v_add3_u32 v60, v60, v62, v61
	v_lshlrev_b64 v[59:60], 1, v[59:60]
	s_cbranch_vccnz .LBB1293_121
; %bb.113:
	v_add_co_u32 v61, vcc_lo, s10, v57
	v_add_co_ci_u32_e32 v62, vcc_lo, s11, v58, vcc_lo
	s_delay_alu instid0(VALU_DEP_3) | instskip(NEXT) | instid1(VALU_DEP_4)
	v_add_co_u32 v57, vcc_lo, s10, v59
	v_add_co_ci_u32_e32 v58, vcc_lo, s11, v60, vcc_lo
	v_mov_b32_e32 v121, 1
	s_clause 0x1
	global_load_u16 v63, v[61:62], off
	global_load_u16 v64, v[57:58], off
	v_mov_b32_e32 v122, 0
	s_mov_b32 s1, exec_lo
	s_waitcnt vmcnt(0)
	v_cmpx_eq_f16_e32 v63, v64
	s_cbranch_execz .LBB1293_120
; %bb.114:
	v_add_co_u32 v57, vcc_lo, v57, 2
	v_add_co_ci_u32_e32 v58, vcc_lo, 0, v58, vcc_lo
	v_add_co_u32 v61, vcc_lo, v61, 2
	v_add_co_ci_u32_e32 v62, vcc_lo, 0, v62, vcc_lo
	s_add_u32 s14, s8, -1
	s_addc_u32 s15, s9, -1
	s_mov_b64 s[22:23], 0
	s_mov_b32 s3, 0
                                        ; implicit-def: $sgpr21
	s_set_inst_prefetch_distance 0x1
	s_branch .LBB1293_117
	.p2align	6
.LBB1293_115:                           ;   in Loop: Header=BB1293_117 Depth=1
	global_load_u16 v63, v[61:62], off
	global_load_u16 v64, v[57:58], off
	v_add_co_u32 v57, vcc_lo, v57, 2
	v_add_co_ci_u32_e32 v58, vcc_lo, 0, v58, vcc_lo
	v_add_co_u32 v61, s0, v61, 2
	s_delay_alu instid0(VALU_DEP_1)
	v_add_co_ci_u32_e64 v62, s0, 0, v62, s0
	s_add_u32 s22, s22, 1
	s_addc_u32 s23, s23, 0
	s_and_not1_b32 s0, s21, exec_lo
	s_waitcnt vmcnt(0)
	v_cmp_neq_f16_e32 vcc_lo, v63, v64
	s_and_b32 s21, vcc_lo, exec_lo
	s_delay_alu instid0(SALU_CYCLE_1)
	s_or_b32 s21, s0, s21
.LBB1293_116:                           ;   in Loop: Header=BB1293_117 Depth=1
	v_dual_mov_b32 v64, s23 :: v_dual_mov_b32 v63, s22
	s_and_b32 s0, exec_lo, s21
	s_delay_alu instid0(SALU_CYCLE_1) | instskip(NEXT) | instid1(SALU_CYCLE_1)
	s_or_b32 s3, s0, s3
	s_and_not1_b32 exec_lo, exec_lo, s3
	s_cbranch_execz .LBB1293_119
.LBB1293_117:                           ; =>This Inner Loop Header: Depth=1
	s_or_b32 s21, s21, exec_lo
	s_cmp_eq_u64 s[14:15], s[22:23]
	s_cbranch_scc0 .LBB1293_115
; %bb.118:                              ;   in Loop: Header=BB1293_117 Depth=1
	s_mov_b64 s[22:23], s[8:9]
                                        ; implicit-def: $vgpr57_vgpr58
                                        ; implicit-def: $vgpr61_vgpr62
	s_branch .LBB1293_116
.LBB1293_119:
	s_set_inst_prefetch_distance 0x2
	s_or_b32 exec_lo, exec_lo, s3
	v_cmp_gt_i64_e32 vcc_lo, s[8:9], v[63:64]
	s_mov_b32 s0, 0
	s_delay_alu instid0(SALU_CYCLE_1)
	v_mov_b32_e32 v122, s0
	v_cndmask_b32_e64 v121, 0, 1, vcc_lo
.LBB1293_120:
	s_or_b32 exec_lo, exec_lo, s1
.LBB1293_121:
	v_mul_lo_u32 v61, v52, s8
	v_mul_lo_u32 v62, v51, s9
	v_mad_u64_u32 v[57:58], null, v51, s8, 0
	v_cmp_ne_u32_e32 vcc_lo, 1, v65
	s_delay_alu instid0(VALU_DEP_2) | instskip(NEXT) | instid1(VALU_DEP_1)
	v_add3_u32 v58, v58, v62, v61
	v_lshlrev_b64 v[57:58], 1, v[57:58]
	s_cbranch_vccnz .LBB1293_130
; %bb.122:
	v_add_co_u32 v61, vcc_lo, s10, v59
	v_add_co_ci_u32_e32 v62, vcc_lo, s11, v60, vcc_lo
	s_delay_alu instid0(VALU_DEP_3) | instskip(NEXT) | instid1(VALU_DEP_4)
	v_add_co_u32 v59, vcc_lo, s10, v57
	v_add_co_ci_u32_e32 v60, vcc_lo, s11, v58, vcc_lo
	v_mov_b32_e32 v123, 1
	s_clause 0x1
	global_load_u16 v63, v[61:62], off
	global_load_u16 v64, v[59:60], off
	v_mov_b32_e32 v124, 0
	s_mov_b32 s1, exec_lo
	s_waitcnt vmcnt(0)
	v_cmpx_eq_f16_e32 v63, v64
	s_cbranch_execz .LBB1293_129
; %bb.123:
	v_add_co_u32 v59, vcc_lo, v59, 2
	v_add_co_ci_u32_e32 v60, vcc_lo, 0, v60, vcc_lo
	v_add_co_u32 v61, vcc_lo, v61, 2
	v_add_co_ci_u32_e32 v62, vcc_lo, 0, v62, vcc_lo
	s_add_u32 s14, s8, -1
	s_addc_u32 s15, s9, -1
	s_mov_b64 s[22:23], 0
	s_mov_b32 s3, 0
                                        ; implicit-def: $sgpr21
	s_set_inst_prefetch_distance 0x1
	s_branch .LBB1293_126
	.p2align	6
.LBB1293_124:                           ;   in Loop: Header=BB1293_126 Depth=1
	global_load_u16 v63, v[61:62], off
	global_load_u16 v64, v[59:60], off
	v_add_co_u32 v59, vcc_lo, v59, 2
	v_add_co_ci_u32_e32 v60, vcc_lo, 0, v60, vcc_lo
	v_add_co_u32 v61, s0, v61, 2
	s_delay_alu instid0(VALU_DEP_1)
	v_add_co_ci_u32_e64 v62, s0, 0, v62, s0
	s_add_u32 s22, s22, 1
	s_addc_u32 s23, s23, 0
	s_and_not1_b32 s0, s21, exec_lo
	s_waitcnt vmcnt(0)
	v_cmp_neq_f16_e32 vcc_lo, v63, v64
	s_and_b32 s21, vcc_lo, exec_lo
	s_delay_alu instid0(SALU_CYCLE_1)
	s_or_b32 s21, s0, s21
.LBB1293_125:                           ;   in Loop: Header=BB1293_126 Depth=1
	v_dual_mov_b32 v64, s23 :: v_dual_mov_b32 v63, s22
	s_and_b32 s0, exec_lo, s21
	s_delay_alu instid0(SALU_CYCLE_1) | instskip(NEXT) | instid1(SALU_CYCLE_1)
	s_or_b32 s3, s0, s3
	s_and_not1_b32 exec_lo, exec_lo, s3
	s_cbranch_execz .LBB1293_128
.LBB1293_126:                           ; =>This Inner Loop Header: Depth=1
	s_or_b32 s21, s21, exec_lo
	s_cmp_eq_u64 s[14:15], s[22:23]
	s_cbranch_scc0 .LBB1293_124
; %bb.127:                              ;   in Loop: Header=BB1293_126 Depth=1
	s_mov_b64 s[22:23], s[8:9]
                                        ; implicit-def: $vgpr59_vgpr60
                                        ; implicit-def: $vgpr61_vgpr62
	s_branch .LBB1293_125
.LBB1293_128:
	s_set_inst_prefetch_distance 0x2
	s_or_b32 exec_lo, exec_lo, s3
	v_cmp_gt_i64_e32 vcc_lo, s[8:9], v[63:64]
	s_mov_b32 s0, 0
	s_delay_alu instid0(SALU_CYCLE_1)
	v_mov_b32_e32 v124, s0
	v_cndmask_b32_e64 v123, 0, 1, vcc_lo
.LBB1293_129:
	s_or_b32 exec_lo, exec_lo, s1
.LBB1293_130:
	v_mul_lo_u32 v61, v50, s8
	v_mul_lo_u32 v62, v49, s9
	v_mad_u64_u32 v[59:60], null, v49, s8, 0
	v_mov_b32_e32 v127, 0
	v_mov_b32_e32 v128, 0
	v_cmp_ne_u32_e32 vcc_lo, 1, v65
	s_delay_alu instid0(VALU_DEP_2) | instskip(SKIP_1) | instid1(VALU_DEP_1)
	v_dual_mov_b32 v125, v127 :: v_dual_mov_b32 v126, v128
	v_add3_u32 v60, v60, v62, v61
	v_lshlrev_b64 v[59:60], 1, v[59:60]
	s_cbranch_vccnz .LBB1293_139
; %bb.131:
	v_add_co_u32 v61, vcc_lo, s10, v57
	v_add_co_ci_u32_e32 v62, vcc_lo, s11, v58, vcc_lo
	s_delay_alu instid0(VALU_DEP_3) | instskip(NEXT) | instid1(VALU_DEP_4)
	v_add_co_u32 v57, vcc_lo, s10, v59
	v_add_co_ci_u32_e32 v58, vcc_lo, s11, v60, vcc_lo
	v_mov_b32_e32 v125, 1
	s_clause 0x1
	global_load_u16 v63, v[61:62], off
	global_load_u16 v64, v[57:58], off
	v_mov_b32_e32 v126, 0
	s_mov_b32 s1, exec_lo
	s_waitcnt vmcnt(0)
	v_cmpx_eq_f16_e32 v63, v64
	s_cbranch_execz .LBB1293_138
; %bb.132:
	v_add_co_u32 v57, vcc_lo, v57, 2
	v_add_co_ci_u32_e32 v58, vcc_lo, 0, v58, vcc_lo
	v_add_co_u32 v61, vcc_lo, v61, 2
	v_add_co_ci_u32_e32 v62, vcc_lo, 0, v62, vcc_lo
	s_add_u32 s14, s8, -1
	s_addc_u32 s15, s9, -1
	s_mov_b64 s[22:23], 0
	s_mov_b32 s3, 0
                                        ; implicit-def: $sgpr21
	s_set_inst_prefetch_distance 0x1
	s_branch .LBB1293_135
	.p2align	6
.LBB1293_133:                           ;   in Loop: Header=BB1293_135 Depth=1
	global_load_u16 v63, v[61:62], off
	global_load_u16 v64, v[57:58], off
	v_add_co_u32 v57, vcc_lo, v57, 2
	v_add_co_ci_u32_e32 v58, vcc_lo, 0, v58, vcc_lo
	v_add_co_u32 v61, s0, v61, 2
	s_delay_alu instid0(VALU_DEP_1)
	v_add_co_ci_u32_e64 v62, s0, 0, v62, s0
	s_add_u32 s22, s22, 1
	s_addc_u32 s23, s23, 0
	s_and_not1_b32 s0, s21, exec_lo
	s_waitcnt vmcnt(0)
	v_cmp_neq_f16_e32 vcc_lo, v63, v64
	s_and_b32 s21, vcc_lo, exec_lo
	s_delay_alu instid0(SALU_CYCLE_1)
	s_or_b32 s21, s0, s21
.LBB1293_134:                           ;   in Loop: Header=BB1293_135 Depth=1
	v_dual_mov_b32 v64, s23 :: v_dual_mov_b32 v63, s22
	s_and_b32 s0, exec_lo, s21
	s_delay_alu instid0(SALU_CYCLE_1) | instskip(NEXT) | instid1(SALU_CYCLE_1)
	s_or_b32 s3, s0, s3
	s_and_not1_b32 exec_lo, exec_lo, s3
	s_cbranch_execz .LBB1293_137
.LBB1293_135:                           ; =>This Inner Loop Header: Depth=1
	s_or_b32 s21, s21, exec_lo
	s_cmp_eq_u64 s[14:15], s[22:23]
	s_cbranch_scc0 .LBB1293_133
; %bb.136:                              ;   in Loop: Header=BB1293_135 Depth=1
	s_mov_b64 s[22:23], s[8:9]
                                        ; implicit-def: $vgpr57_vgpr58
                                        ; implicit-def: $vgpr61_vgpr62
	s_branch .LBB1293_134
.LBB1293_137:
	s_set_inst_prefetch_distance 0x2
	s_or_b32 exec_lo, exec_lo, s3
	v_cmp_gt_i64_e32 vcc_lo, s[8:9], v[63:64]
	s_mov_b32 s0, 0
	s_delay_alu instid0(SALU_CYCLE_1)
	v_mov_b32_e32 v126, s0
	v_cndmask_b32_e64 v125, 0, 1, vcc_lo
.LBB1293_138:
	s_or_b32 exec_lo, exec_lo, s1
.LBB1293_139:
	v_mul_lo_u32 v61, v48, s8
	v_mul_lo_u32 v62, v47, s9
	v_mad_u64_u32 v[57:58], null, v47, s8, 0
	v_cmp_ne_u32_e32 vcc_lo, 1, v65
	s_delay_alu instid0(VALU_DEP_2) | instskip(NEXT) | instid1(VALU_DEP_1)
	v_add3_u32 v58, v58, v62, v61
	v_lshlrev_b64 v[57:58], 1, v[57:58]
	s_cbranch_vccnz .LBB1293_148
; %bb.140:
	v_add_co_u32 v61, vcc_lo, s10, v59
	v_add_co_ci_u32_e32 v62, vcc_lo, s11, v60, vcc_lo
	s_delay_alu instid0(VALU_DEP_3) | instskip(NEXT) | instid1(VALU_DEP_4)
	v_add_co_u32 v59, vcc_lo, s10, v57
	v_add_co_ci_u32_e32 v60, vcc_lo, s11, v58, vcc_lo
	v_mov_b32_e32 v127, 1
	s_clause 0x1
	global_load_u16 v63, v[61:62], off
	global_load_u16 v64, v[59:60], off
	v_mov_b32_e32 v128, 0
	s_mov_b32 s1, exec_lo
	s_waitcnt vmcnt(0)
	v_cmpx_eq_f16_e32 v63, v64
	s_cbranch_execz .LBB1293_147
; %bb.141:
	v_add_co_u32 v59, vcc_lo, v59, 2
	v_add_co_ci_u32_e32 v60, vcc_lo, 0, v60, vcc_lo
	v_add_co_u32 v61, vcc_lo, v61, 2
	v_add_co_ci_u32_e32 v62, vcc_lo, 0, v62, vcc_lo
	s_add_u32 s14, s8, -1
	s_addc_u32 s15, s9, -1
	s_mov_b64 s[22:23], 0
	s_mov_b32 s3, 0
                                        ; implicit-def: $sgpr21
	s_set_inst_prefetch_distance 0x1
	s_branch .LBB1293_144
	.p2align	6
.LBB1293_142:                           ;   in Loop: Header=BB1293_144 Depth=1
	global_load_u16 v63, v[61:62], off
	global_load_u16 v64, v[59:60], off
	v_add_co_u32 v59, vcc_lo, v59, 2
	v_add_co_ci_u32_e32 v60, vcc_lo, 0, v60, vcc_lo
	v_add_co_u32 v61, s0, v61, 2
	s_delay_alu instid0(VALU_DEP_1)
	v_add_co_ci_u32_e64 v62, s0, 0, v62, s0
	s_add_u32 s22, s22, 1
	s_addc_u32 s23, s23, 0
	s_and_not1_b32 s0, s21, exec_lo
	s_waitcnt vmcnt(0)
	v_cmp_neq_f16_e32 vcc_lo, v63, v64
	s_and_b32 s21, vcc_lo, exec_lo
	s_delay_alu instid0(SALU_CYCLE_1)
	s_or_b32 s21, s0, s21
.LBB1293_143:                           ;   in Loop: Header=BB1293_144 Depth=1
	v_dual_mov_b32 v64, s23 :: v_dual_mov_b32 v63, s22
	s_and_b32 s0, exec_lo, s21
	s_delay_alu instid0(SALU_CYCLE_1) | instskip(NEXT) | instid1(SALU_CYCLE_1)
	s_or_b32 s3, s0, s3
	s_and_not1_b32 exec_lo, exec_lo, s3
	s_cbranch_execz .LBB1293_146
.LBB1293_144:                           ; =>This Inner Loop Header: Depth=1
	s_or_b32 s21, s21, exec_lo
	s_cmp_eq_u64 s[14:15], s[22:23]
	s_cbranch_scc0 .LBB1293_142
; %bb.145:                              ;   in Loop: Header=BB1293_144 Depth=1
	s_mov_b64 s[22:23], s[8:9]
                                        ; implicit-def: $vgpr59_vgpr60
                                        ; implicit-def: $vgpr61_vgpr62
	s_branch .LBB1293_143
.LBB1293_146:
	s_set_inst_prefetch_distance 0x2
	s_or_b32 exec_lo, exec_lo, s3
	v_cmp_gt_i64_e32 vcc_lo, s[8:9], v[63:64]
	s_mov_b32 s0, 0
	s_delay_alu instid0(SALU_CYCLE_1)
	v_mov_b32_e32 v128, s0
	v_cndmask_b32_e64 v127, 0, 1, vcc_lo
.LBB1293_147:
	s_or_b32 exec_lo, exec_lo, s1
.LBB1293_148:
	v_mul_lo_u32 v61, v46, s8
	v_mul_lo_u32 v62, v45, s9
	v_mad_u64_u32 v[59:60], null, v45, s8, 0
	v_mov_b32_e32 v131, 0
	v_mov_b32_e32 v132, 0
	v_cmp_ne_u32_e32 vcc_lo, 1, v65
	s_delay_alu instid0(VALU_DEP_2) | instskip(SKIP_1) | instid1(VALU_DEP_1)
	v_dual_mov_b32 v129, v131 :: v_dual_mov_b32 v130, v132
	v_add3_u32 v60, v60, v62, v61
	v_lshlrev_b64 v[59:60], 1, v[59:60]
	s_cbranch_vccnz .LBB1293_157
; %bb.149:
	v_add_co_u32 v61, vcc_lo, s10, v57
	v_add_co_ci_u32_e32 v62, vcc_lo, s11, v58, vcc_lo
	s_delay_alu instid0(VALU_DEP_3) | instskip(NEXT) | instid1(VALU_DEP_4)
	v_add_co_u32 v57, vcc_lo, s10, v59
	v_add_co_ci_u32_e32 v58, vcc_lo, s11, v60, vcc_lo
	v_mov_b32_e32 v129, 1
	s_clause 0x1
	global_load_u16 v63, v[61:62], off
	global_load_u16 v64, v[57:58], off
	v_mov_b32_e32 v130, 0
	s_mov_b32 s1, exec_lo
	s_waitcnt vmcnt(0)
	v_cmpx_eq_f16_e32 v63, v64
	s_cbranch_execz .LBB1293_156
; %bb.150:
	v_add_co_u32 v57, vcc_lo, v57, 2
	v_add_co_ci_u32_e32 v58, vcc_lo, 0, v58, vcc_lo
	v_add_co_u32 v61, vcc_lo, v61, 2
	v_add_co_ci_u32_e32 v62, vcc_lo, 0, v62, vcc_lo
	s_add_u32 s14, s8, -1
	s_addc_u32 s15, s9, -1
	s_mov_b64 s[22:23], 0
	s_mov_b32 s3, 0
                                        ; implicit-def: $sgpr21
	s_set_inst_prefetch_distance 0x1
	s_branch .LBB1293_153
	.p2align	6
.LBB1293_151:                           ;   in Loop: Header=BB1293_153 Depth=1
	global_load_u16 v63, v[61:62], off
	global_load_u16 v64, v[57:58], off
	v_add_co_u32 v57, vcc_lo, v57, 2
	v_add_co_ci_u32_e32 v58, vcc_lo, 0, v58, vcc_lo
	v_add_co_u32 v61, s0, v61, 2
	s_delay_alu instid0(VALU_DEP_1)
	v_add_co_ci_u32_e64 v62, s0, 0, v62, s0
	s_add_u32 s22, s22, 1
	s_addc_u32 s23, s23, 0
	s_and_not1_b32 s0, s21, exec_lo
	s_waitcnt vmcnt(0)
	v_cmp_neq_f16_e32 vcc_lo, v63, v64
	s_and_b32 s21, vcc_lo, exec_lo
	s_delay_alu instid0(SALU_CYCLE_1)
	s_or_b32 s21, s0, s21
.LBB1293_152:                           ;   in Loop: Header=BB1293_153 Depth=1
	v_dual_mov_b32 v64, s23 :: v_dual_mov_b32 v63, s22
	s_and_b32 s0, exec_lo, s21
	s_delay_alu instid0(SALU_CYCLE_1) | instskip(NEXT) | instid1(SALU_CYCLE_1)
	s_or_b32 s3, s0, s3
	s_and_not1_b32 exec_lo, exec_lo, s3
	s_cbranch_execz .LBB1293_155
.LBB1293_153:                           ; =>This Inner Loop Header: Depth=1
	s_or_b32 s21, s21, exec_lo
	s_cmp_eq_u64 s[14:15], s[22:23]
	s_cbranch_scc0 .LBB1293_151
; %bb.154:                              ;   in Loop: Header=BB1293_153 Depth=1
	s_mov_b64 s[22:23], s[8:9]
                                        ; implicit-def: $vgpr57_vgpr58
                                        ; implicit-def: $vgpr61_vgpr62
	s_branch .LBB1293_152
.LBB1293_155:
	s_set_inst_prefetch_distance 0x2
	s_or_b32 exec_lo, exec_lo, s3
	v_cmp_gt_i64_e32 vcc_lo, s[8:9], v[63:64]
	s_mov_b32 s0, 0
	s_delay_alu instid0(SALU_CYCLE_1)
	v_mov_b32_e32 v130, s0
	v_cndmask_b32_e64 v129, 0, 1, vcc_lo
.LBB1293_156:
	s_or_b32 exec_lo, exec_lo, s1
.LBB1293_157:
	v_mul_lo_u32 v61, v44, s8
	v_mul_lo_u32 v62, v43, s9
	v_mad_u64_u32 v[57:58], null, v43, s8, 0
	v_cmp_ne_u32_e32 vcc_lo, 1, v65
	s_delay_alu instid0(VALU_DEP_2) | instskip(NEXT) | instid1(VALU_DEP_1)
	v_add3_u32 v58, v58, v62, v61
	v_lshlrev_b64 v[57:58], 1, v[57:58]
	s_cbranch_vccnz .LBB1293_166
; %bb.158:
	v_add_co_u32 v61, vcc_lo, s10, v59
	v_add_co_ci_u32_e32 v62, vcc_lo, s11, v60, vcc_lo
	s_delay_alu instid0(VALU_DEP_3) | instskip(NEXT) | instid1(VALU_DEP_4)
	v_add_co_u32 v59, vcc_lo, s10, v57
	v_add_co_ci_u32_e32 v60, vcc_lo, s11, v58, vcc_lo
	v_mov_b32_e32 v131, 1
	s_clause 0x1
	global_load_u16 v63, v[61:62], off
	global_load_u16 v64, v[59:60], off
	v_mov_b32_e32 v132, 0
	s_mov_b32 s1, exec_lo
	s_waitcnt vmcnt(0)
	v_cmpx_eq_f16_e32 v63, v64
	s_cbranch_execz .LBB1293_165
; %bb.159:
	v_add_co_u32 v59, vcc_lo, v59, 2
	v_add_co_ci_u32_e32 v60, vcc_lo, 0, v60, vcc_lo
	v_add_co_u32 v61, vcc_lo, v61, 2
	v_add_co_ci_u32_e32 v62, vcc_lo, 0, v62, vcc_lo
	s_add_u32 s14, s8, -1
	s_addc_u32 s15, s9, -1
	s_mov_b64 s[22:23], 0
	s_mov_b32 s3, 0
                                        ; implicit-def: $sgpr21
	s_set_inst_prefetch_distance 0x1
	s_branch .LBB1293_162
	.p2align	6
.LBB1293_160:                           ;   in Loop: Header=BB1293_162 Depth=1
	global_load_u16 v63, v[61:62], off
	global_load_u16 v64, v[59:60], off
	v_add_co_u32 v59, vcc_lo, v59, 2
	v_add_co_ci_u32_e32 v60, vcc_lo, 0, v60, vcc_lo
	v_add_co_u32 v61, s0, v61, 2
	s_delay_alu instid0(VALU_DEP_1)
	v_add_co_ci_u32_e64 v62, s0, 0, v62, s0
	s_add_u32 s22, s22, 1
	s_addc_u32 s23, s23, 0
	s_and_not1_b32 s0, s21, exec_lo
	s_waitcnt vmcnt(0)
	v_cmp_neq_f16_e32 vcc_lo, v63, v64
	s_and_b32 s21, vcc_lo, exec_lo
	s_delay_alu instid0(SALU_CYCLE_1)
	s_or_b32 s21, s0, s21
.LBB1293_161:                           ;   in Loop: Header=BB1293_162 Depth=1
	v_dual_mov_b32 v64, s23 :: v_dual_mov_b32 v63, s22
	s_and_b32 s0, exec_lo, s21
	s_delay_alu instid0(SALU_CYCLE_1) | instskip(NEXT) | instid1(SALU_CYCLE_1)
	s_or_b32 s3, s0, s3
	s_and_not1_b32 exec_lo, exec_lo, s3
	s_cbranch_execz .LBB1293_164
.LBB1293_162:                           ; =>This Inner Loop Header: Depth=1
	s_or_b32 s21, s21, exec_lo
	s_cmp_eq_u64 s[14:15], s[22:23]
	s_cbranch_scc0 .LBB1293_160
; %bb.163:                              ;   in Loop: Header=BB1293_162 Depth=1
	s_mov_b64 s[22:23], s[8:9]
                                        ; implicit-def: $vgpr59_vgpr60
                                        ; implicit-def: $vgpr61_vgpr62
	s_branch .LBB1293_161
.LBB1293_164:
	s_set_inst_prefetch_distance 0x2
	s_or_b32 exec_lo, exec_lo, s3
	v_cmp_gt_i64_e32 vcc_lo, s[8:9], v[63:64]
	s_mov_b32 s0, 0
	s_delay_alu instid0(SALU_CYCLE_1)
	v_mov_b32_e32 v132, s0
	v_cndmask_b32_e64 v131, 0, 1, vcc_lo
.LBB1293_165:
	s_or_b32 exec_lo, exec_lo, s1
.LBB1293_166:
	v_mul_lo_u32 v61, v42, s8
	v_mul_lo_u32 v62, v41, s9
	v_mad_u64_u32 v[59:60], null, v41, s8, 0
	v_mov_b32_e32 v135, 0
	v_mov_b32_e32 v136, 0
	v_cmp_ne_u32_e32 vcc_lo, 1, v65
	s_delay_alu instid0(VALU_DEP_2) | instskip(SKIP_1) | instid1(VALU_DEP_1)
	v_dual_mov_b32 v133, v135 :: v_dual_mov_b32 v134, v136
	v_add3_u32 v60, v60, v62, v61
	v_lshlrev_b64 v[59:60], 1, v[59:60]
	s_cbranch_vccnz .LBB1293_175
; %bb.167:
	v_add_co_u32 v61, vcc_lo, s10, v57
	v_add_co_ci_u32_e32 v62, vcc_lo, s11, v58, vcc_lo
	s_delay_alu instid0(VALU_DEP_3) | instskip(NEXT) | instid1(VALU_DEP_4)
	v_add_co_u32 v57, vcc_lo, s10, v59
	v_add_co_ci_u32_e32 v58, vcc_lo, s11, v60, vcc_lo
	v_mov_b32_e32 v133, 1
	s_clause 0x1
	global_load_u16 v63, v[61:62], off
	global_load_u16 v64, v[57:58], off
	v_mov_b32_e32 v134, 0
	s_mov_b32 s1, exec_lo
	s_waitcnt vmcnt(0)
	v_cmpx_eq_f16_e32 v63, v64
	s_cbranch_execz .LBB1293_174
; %bb.168:
	v_add_co_u32 v57, vcc_lo, v57, 2
	v_add_co_ci_u32_e32 v58, vcc_lo, 0, v58, vcc_lo
	v_add_co_u32 v61, vcc_lo, v61, 2
	v_add_co_ci_u32_e32 v62, vcc_lo, 0, v62, vcc_lo
	s_add_u32 s14, s8, -1
	s_addc_u32 s15, s9, -1
	s_mov_b64 s[22:23], 0
	s_mov_b32 s3, 0
                                        ; implicit-def: $sgpr21
	s_set_inst_prefetch_distance 0x1
	s_branch .LBB1293_171
	.p2align	6
.LBB1293_169:                           ;   in Loop: Header=BB1293_171 Depth=1
	global_load_u16 v63, v[61:62], off
	global_load_u16 v64, v[57:58], off
	v_add_co_u32 v57, vcc_lo, v57, 2
	v_add_co_ci_u32_e32 v58, vcc_lo, 0, v58, vcc_lo
	v_add_co_u32 v61, s0, v61, 2
	s_delay_alu instid0(VALU_DEP_1)
	v_add_co_ci_u32_e64 v62, s0, 0, v62, s0
	s_add_u32 s22, s22, 1
	s_addc_u32 s23, s23, 0
	s_and_not1_b32 s0, s21, exec_lo
	s_waitcnt vmcnt(0)
	v_cmp_neq_f16_e32 vcc_lo, v63, v64
	s_and_b32 s21, vcc_lo, exec_lo
	s_delay_alu instid0(SALU_CYCLE_1)
	s_or_b32 s21, s0, s21
.LBB1293_170:                           ;   in Loop: Header=BB1293_171 Depth=1
	v_dual_mov_b32 v64, s23 :: v_dual_mov_b32 v63, s22
	s_and_b32 s0, exec_lo, s21
	s_delay_alu instid0(SALU_CYCLE_1) | instskip(NEXT) | instid1(SALU_CYCLE_1)
	s_or_b32 s3, s0, s3
	s_and_not1_b32 exec_lo, exec_lo, s3
	s_cbranch_execz .LBB1293_173
.LBB1293_171:                           ; =>This Inner Loop Header: Depth=1
	s_or_b32 s21, s21, exec_lo
	s_cmp_eq_u64 s[14:15], s[22:23]
	s_cbranch_scc0 .LBB1293_169
; %bb.172:                              ;   in Loop: Header=BB1293_171 Depth=1
	s_mov_b64 s[22:23], s[8:9]
                                        ; implicit-def: $vgpr57_vgpr58
                                        ; implicit-def: $vgpr61_vgpr62
	s_branch .LBB1293_170
.LBB1293_173:
	s_set_inst_prefetch_distance 0x2
	s_or_b32 exec_lo, exec_lo, s3
	v_cmp_gt_i64_e32 vcc_lo, s[8:9], v[63:64]
	s_mov_b32 s0, 0
	s_delay_alu instid0(SALU_CYCLE_1)
	v_mov_b32_e32 v134, s0
	v_cndmask_b32_e64 v133, 0, 1, vcc_lo
.LBB1293_174:
	s_or_b32 exec_lo, exec_lo, s1
.LBB1293_175:
	v_mul_lo_u32 v61, v40, s8
	v_mul_lo_u32 v62, v39, s9
	v_mad_u64_u32 v[57:58], null, v39, s8, 0
	v_cmp_ne_u32_e32 vcc_lo, 1, v65
	s_delay_alu instid0(VALU_DEP_2) | instskip(NEXT) | instid1(VALU_DEP_1)
	v_add3_u32 v58, v58, v62, v61
	v_lshlrev_b64 v[57:58], 1, v[57:58]
	s_cbranch_vccnz .LBB1293_184
; %bb.176:
	v_add_co_u32 v61, vcc_lo, s10, v59
	v_add_co_ci_u32_e32 v62, vcc_lo, s11, v60, vcc_lo
	s_delay_alu instid0(VALU_DEP_3) | instskip(NEXT) | instid1(VALU_DEP_4)
	v_add_co_u32 v59, vcc_lo, s10, v57
	v_add_co_ci_u32_e32 v60, vcc_lo, s11, v58, vcc_lo
	v_mov_b32_e32 v135, 1
	s_clause 0x1
	global_load_u16 v63, v[61:62], off
	global_load_u16 v64, v[59:60], off
	v_mov_b32_e32 v136, 0
	s_mov_b32 s1, exec_lo
	s_waitcnt vmcnt(0)
	v_cmpx_eq_f16_e32 v63, v64
	s_cbranch_execz .LBB1293_183
; %bb.177:
	v_add_co_u32 v59, vcc_lo, v59, 2
	v_add_co_ci_u32_e32 v60, vcc_lo, 0, v60, vcc_lo
	v_add_co_u32 v61, vcc_lo, v61, 2
	v_add_co_ci_u32_e32 v62, vcc_lo, 0, v62, vcc_lo
	s_add_u32 s14, s8, -1
	s_addc_u32 s15, s9, -1
	s_mov_b64 s[22:23], 0
	s_mov_b32 s3, 0
                                        ; implicit-def: $sgpr21
	s_set_inst_prefetch_distance 0x1
	s_branch .LBB1293_180
	.p2align	6
.LBB1293_178:                           ;   in Loop: Header=BB1293_180 Depth=1
	global_load_u16 v63, v[61:62], off
	global_load_u16 v64, v[59:60], off
	v_add_co_u32 v59, vcc_lo, v59, 2
	v_add_co_ci_u32_e32 v60, vcc_lo, 0, v60, vcc_lo
	v_add_co_u32 v61, s0, v61, 2
	s_delay_alu instid0(VALU_DEP_1)
	v_add_co_ci_u32_e64 v62, s0, 0, v62, s0
	s_add_u32 s22, s22, 1
	s_addc_u32 s23, s23, 0
	s_and_not1_b32 s0, s21, exec_lo
	s_waitcnt vmcnt(0)
	v_cmp_neq_f16_e32 vcc_lo, v63, v64
	s_and_b32 s21, vcc_lo, exec_lo
	s_delay_alu instid0(SALU_CYCLE_1)
	s_or_b32 s21, s0, s21
.LBB1293_179:                           ;   in Loop: Header=BB1293_180 Depth=1
	v_dual_mov_b32 v64, s23 :: v_dual_mov_b32 v63, s22
	s_and_b32 s0, exec_lo, s21
	s_delay_alu instid0(SALU_CYCLE_1) | instskip(NEXT) | instid1(SALU_CYCLE_1)
	s_or_b32 s3, s0, s3
	s_and_not1_b32 exec_lo, exec_lo, s3
	s_cbranch_execz .LBB1293_182
.LBB1293_180:                           ; =>This Inner Loop Header: Depth=1
	s_or_b32 s21, s21, exec_lo
	s_cmp_eq_u64 s[14:15], s[22:23]
	s_cbranch_scc0 .LBB1293_178
; %bb.181:                              ;   in Loop: Header=BB1293_180 Depth=1
	s_mov_b64 s[22:23], s[8:9]
                                        ; implicit-def: $vgpr59_vgpr60
                                        ; implicit-def: $vgpr61_vgpr62
	s_branch .LBB1293_179
.LBB1293_182:
	s_set_inst_prefetch_distance 0x2
	s_or_b32 exec_lo, exec_lo, s3
	v_cmp_gt_i64_e32 vcc_lo, s[8:9], v[63:64]
	s_mov_b32 s0, 0
	s_delay_alu instid0(SALU_CYCLE_1)
	v_mov_b32_e32 v136, s0
	v_cndmask_b32_e64 v135, 0, 1, vcc_lo
.LBB1293_183:
	s_or_b32 exec_lo, exec_lo, s1
.LBB1293_184:
	v_mul_lo_u32 v61, v38, s8
	v_mul_lo_u32 v62, v37, s9
	v_mad_u64_u32 v[59:60], null, v37, s8, 0
	v_mov_b32_e32 v139, 0
	v_mov_b32_e32 v140, 0
	v_cmp_ne_u32_e32 vcc_lo, 1, v65
	s_delay_alu instid0(VALU_DEP_2) | instskip(SKIP_1) | instid1(VALU_DEP_1)
	v_dual_mov_b32 v137, v139 :: v_dual_mov_b32 v138, v140
	v_add3_u32 v60, v60, v62, v61
	v_lshlrev_b64 v[59:60], 1, v[59:60]
	s_cbranch_vccnz .LBB1293_193
; %bb.185:
	v_add_co_u32 v61, vcc_lo, s10, v57
	v_add_co_ci_u32_e32 v62, vcc_lo, s11, v58, vcc_lo
	s_delay_alu instid0(VALU_DEP_3) | instskip(NEXT) | instid1(VALU_DEP_4)
	v_add_co_u32 v57, vcc_lo, s10, v59
	v_add_co_ci_u32_e32 v58, vcc_lo, s11, v60, vcc_lo
	v_mov_b32_e32 v137, 1
	s_clause 0x1
	global_load_u16 v63, v[61:62], off
	global_load_u16 v64, v[57:58], off
	v_mov_b32_e32 v138, 0
	s_mov_b32 s1, exec_lo
	s_waitcnt vmcnt(0)
	v_cmpx_eq_f16_e32 v63, v64
	s_cbranch_execz .LBB1293_192
; %bb.186:
	v_add_co_u32 v57, vcc_lo, v57, 2
	v_add_co_ci_u32_e32 v58, vcc_lo, 0, v58, vcc_lo
	v_add_co_u32 v61, vcc_lo, v61, 2
	v_add_co_ci_u32_e32 v62, vcc_lo, 0, v62, vcc_lo
	s_add_u32 s14, s8, -1
	s_addc_u32 s15, s9, -1
	s_mov_b64 s[22:23], 0
	s_mov_b32 s3, 0
                                        ; implicit-def: $sgpr21
	s_set_inst_prefetch_distance 0x1
	s_branch .LBB1293_189
	.p2align	6
.LBB1293_187:                           ;   in Loop: Header=BB1293_189 Depth=1
	global_load_u16 v63, v[61:62], off
	global_load_u16 v64, v[57:58], off
	v_add_co_u32 v57, vcc_lo, v57, 2
	v_add_co_ci_u32_e32 v58, vcc_lo, 0, v58, vcc_lo
	v_add_co_u32 v61, s0, v61, 2
	s_delay_alu instid0(VALU_DEP_1)
	v_add_co_ci_u32_e64 v62, s0, 0, v62, s0
	s_add_u32 s22, s22, 1
	s_addc_u32 s23, s23, 0
	s_and_not1_b32 s0, s21, exec_lo
	s_waitcnt vmcnt(0)
	v_cmp_neq_f16_e32 vcc_lo, v63, v64
	s_and_b32 s21, vcc_lo, exec_lo
	s_delay_alu instid0(SALU_CYCLE_1)
	s_or_b32 s21, s0, s21
.LBB1293_188:                           ;   in Loop: Header=BB1293_189 Depth=1
	v_dual_mov_b32 v64, s23 :: v_dual_mov_b32 v63, s22
	s_and_b32 s0, exec_lo, s21
	s_delay_alu instid0(SALU_CYCLE_1) | instskip(NEXT) | instid1(SALU_CYCLE_1)
	s_or_b32 s3, s0, s3
	s_and_not1_b32 exec_lo, exec_lo, s3
	s_cbranch_execz .LBB1293_191
.LBB1293_189:                           ; =>This Inner Loop Header: Depth=1
	s_or_b32 s21, s21, exec_lo
	s_cmp_eq_u64 s[14:15], s[22:23]
	s_cbranch_scc0 .LBB1293_187
; %bb.190:                              ;   in Loop: Header=BB1293_189 Depth=1
	s_mov_b64 s[22:23], s[8:9]
                                        ; implicit-def: $vgpr57_vgpr58
                                        ; implicit-def: $vgpr61_vgpr62
	s_branch .LBB1293_188
.LBB1293_191:
	s_set_inst_prefetch_distance 0x2
	s_or_b32 exec_lo, exec_lo, s3
	v_cmp_gt_i64_e32 vcc_lo, s[8:9], v[63:64]
	s_mov_b32 s0, 0
	s_delay_alu instid0(SALU_CYCLE_1)
	v_mov_b32_e32 v138, s0
	v_cndmask_b32_e64 v137, 0, 1, vcc_lo
.LBB1293_192:
	s_or_b32 exec_lo, exec_lo, s1
.LBB1293_193:
	v_mul_lo_u32 v61, v36, s8
	v_mul_lo_u32 v62, v35, s9
	v_mad_u64_u32 v[57:58], null, v35, s8, 0
	v_cmp_ne_u32_e32 vcc_lo, 1, v65
	s_delay_alu instid0(VALU_DEP_2) | instskip(NEXT) | instid1(VALU_DEP_1)
	v_add3_u32 v58, v58, v62, v61
	v_lshlrev_b64 v[57:58], 1, v[57:58]
	s_cbranch_vccnz .LBB1293_202
; %bb.194:
	v_add_co_u32 v61, vcc_lo, s10, v59
	v_add_co_ci_u32_e32 v62, vcc_lo, s11, v60, vcc_lo
	s_delay_alu instid0(VALU_DEP_3) | instskip(NEXT) | instid1(VALU_DEP_4)
	v_add_co_u32 v59, vcc_lo, s10, v57
	v_add_co_ci_u32_e32 v60, vcc_lo, s11, v58, vcc_lo
	v_mov_b32_e32 v139, 1
	s_clause 0x1
	global_load_u16 v63, v[61:62], off
	global_load_u16 v64, v[59:60], off
	v_mov_b32_e32 v140, 0
	s_mov_b32 s1, exec_lo
	s_waitcnt vmcnt(0)
	v_cmpx_eq_f16_e32 v63, v64
	s_cbranch_execz .LBB1293_201
; %bb.195:
	v_add_co_u32 v59, vcc_lo, v59, 2
	v_add_co_ci_u32_e32 v60, vcc_lo, 0, v60, vcc_lo
	v_add_co_u32 v61, vcc_lo, v61, 2
	v_add_co_ci_u32_e32 v62, vcc_lo, 0, v62, vcc_lo
	s_add_u32 s14, s8, -1
	s_addc_u32 s15, s9, -1
	s_mov_b64 s[22:23], 0
	s_mov_b32 s3, 0
                                        ; implicit-def: $sgpr21
	s_set_inst_prefetch_distance 0x1
	s_branch .LBB1293_198
	.p2align	6
.LBB1293_196:                           ;   in Loop: Header=BB1293_198 Depth=1
	global_load_u16 v63, v[61:62], off
	global_load_u16 v64, v[59:60], off
	v_add_co_u32 v59, vcc_lo, v59, 2
	v_add_co_ci_u32_e32 v60, vcc_lo, 0, v60, vcc_lo
	v_add_co_u32 v61, s0, v61, 2
	s_delay_alu instid0(VALU_DEP_1)
	v_add_co_ci_u32_e64 v62, s0, 0, v62, s0
	s_add_u32 s22, s22, 1
	s_addc_u32 s23, s23, 0
	s_and_not1_b32 s0, s21, exec_lo
	s_waitcnt vmcnt(0)
	v_cmp_neq_f16_e32 vcc_lo, v63, v64
	s_and_b32 s21, vcc_lo, exec_lo
	s_delay_alu instid0(SALU_CYCLE_1)
	s_or_b32 s21, s0, s21
.LBB1293_197:                           ;   in Loop: Header=BB1293_198 Depth=1
	v_dual_mov_b32 v64, s23 :: v_dual_mov_b32 v63, s22
	s_and_b32 s0, exec_lo, s21
	s_delay_alu instid0(SALU_CYCLE_1) | instskip(NEXT) | instid1(SALU_CYCLE_1)
	s_or_b32 s3, s0, s3
	s_and_not1_b32 exec_lo, exec_lo, s3
	s_cbranch_execz .LBB1293_200
.LBB1293_198:                           ; =>This Inner Loop Header: Depth=1
	s_or_b32 s21, s21, exec_lo
	s_cmp_eq_u64 s[14:15], s[22:23]
	s_cbranch_scc0 .LBB1293_196
; %bb.199:                              ;   in Loop: Header=BB1293_198 Depth=1
	s_mov_b64 s[22:23], s[8:9]
                                        ; implicit-def: $vgpr59_vgpr60
                                        ; implicit-def: $vgpr61_vgpr62
	s_branch .LBB1293_197
.LBB1293_200:
	s_set_inst_prefetch_distance 0x2
	s_or_b32 exec_lo, exec_lo, s3
	v_cmp_gt_i64_e32 vcc_lo, s[8:9], v[63:64]
	s_mov_b32 s0, 0
	s_delay_alu instid0(SALU_CYCLE_1)
	v_mov_b32_e32 v140, s0
	v_cndmask_b32_e64 v139, 0, 1, vcc_lo
.LBB1293_201:
	s_or_b32 exec_lo, exec_lo, s1
.LBB1293_202:
	v_mul_lo_u32 v61, v34, s8
	v_mul_lo_u32 v62, v33, s9
	v_mad_u64_u32 v[59:60], null, v33, s8, 0
	v_mov_b32_e32 v143, 0
	v_mov_b32_e32 v144, 0
	v_cmp_ne_u32_e32 vcc_lo, 1, v65
	s_delay_alu instid0(VALU_DEP_2) | instskip(SKIP_1) | instid1(VALU_DEP_1)
	v_dual_mov_b32 v141, v143 :: v_dual_mov_b32 v142, v144
	v_add3_u32 v60, v60, v62, v61
	v_lshlrev_b64 v[59:60], 1, v[59:60]
	s_cbranch_vccnz .LBB1293_211
; %bb.203:
	v_add_co_u32 v61, vcc_lo, s10, v57
	v_add_co_ci_u32_e32 v62, vcc_lo, s11, v58, vcc_lo
	s_delay_alu instid0(VALU_DEP_3) | instskip(NEXT) | instid1(VALU_DEP_4)
	v_add_co_u32 v57, vcc_lo, s10, v59
	v_add_co_ci_u32_e32 v58, vcc_lo, s11, v60, vcc_lo
	v_mov_b32_e32 v141, 1
	s_clause 0x1
	global_load_u16 v63, v[61:62], off
	global_load_u16 v64, v[57:58], off
	v_mov_b32_e32 v142, 0
	s_mov_b32 s1, exec_lo
	s_waitcnt vmcnt(0)
	v_cmpx_eq_f16_e32 v63, v64
	s_cbranch_execz .LBB1293_210
; %bb.204:
	v_add_co_u32 v57, vcc_lo, v57, 2
	v_add_co_ci_u32_e32 v58, vcc_lo, 0, v58, vcc_lo
	v_add_co_u32 v61, vcc_lo, v61, 2
	v_add_co_ci_u32_e32 v62, vcc_lo, 0, v62, vcc_lo
	s_add_u32 s14, s8, -1
	s_addc_u32 s15, s9, -1
	s_mov_b64 s[22:23], 0
	s_mov_b32 s3, 0
                                        ; implicit-def: $sgpr21
	s_set_inst_prefetch_distance 0x1
	s_branch .LBB1293_207
	.p2align	6
.LBB1293_205:                           ;   in Loop: Header=BB1293_207 Depth=1
	global_load_u16 v63, v[61:62], off
	global_load_u16 v64, v[57:58], off
	v_add_co_u32 v57, vcc_lo, v57, 2
	v_add_co_ci_u32_e32 v58, vcc_lo, 0, v58, vcc_lo
	v_add_co_u32 v61, s0, v61, 2
	s_delay_alu instid0(VALU_DEP_1)
	v_add_co_ci_u32_e64 v62, s0, 0, v62, s0
	s_add_u32 s22, s22, 1
	s_addc_u32 s23, s23, 0
	s_and_not1_b32 s0, s21, exec_lo
	s_waitcnt vmcnt(0)
	v_cmp_neq_f16_e32 vcc_lo, v63, v64
	s_and_b32 s21, vcc_lo, exec_lo
	s_delay_alu instid0(SALU_CYCLE_1)
	s_or_b32 s21, s0, s21
.LBB1293_206:                           ;   in Loop: Header=BB1293_207 Depth=1
	v_dual_mov_b32 v64, s23 :: v_dual_mov_b32 v63, s22
	s_and_b32 s0, exec_lo, s21
	s_delay_alu instid0(SALU_CYCLE_1) | instskip(NEXT) | instid1(SALU_CYCLE_1)
	s_or_b32 s3, s0, s3
	s_and_not1_b32 exec_lo, exec_lo, s3
	s_cbranch_execz .LBB1293_209
.LBB1293_207:                           ; =>This Inner Loop Header: Depth=1
	s_or_b32 s21, s21, exec_lo
	s_cmp_eq_u64 s[14:15], s[22:23]
	s_cbranch_scc0 .LBB1293_205
; %bb.208:                              ;   in Loop: Header=BB1293_207 Depth=1
	s_mov_b64 s[22:23], s[8:9]
                                        ; implicit-def: $vgpr57_vgpr58
                                        ; implicit-def: $vgpr61_vgpr62
	s_branch .LBB1293_206
.LBB1293_209:
	s_set_inst_prefetch_distance 0x2
	s_or_b32 exec_lo, exec_lo, s3
	v_cmp_gt_i64_e32 vcc_lo, s[8:9], v[63:64]
	s_mov_b32 s0, 0
	s_delay_alu instid0(SALU_CYCLE_1)
	v_mov_b32_e32 v142, s0
	v_cndmask_b32_e64 v141, 0, 1, vcc_lo
.LBB1293_210:
	s_or_b32 exec_lo, exec_lo, s1
.LBB1293_211:
	v_mul_lo_u32 v61, v32, s8
	v_mul_lo_u32 v62, v31, s9
	v_mad_u64_u32 v[57:58], null, v31, s8, 0
	v_cmp_ne_u32_e32 vcc_lo, 1, v65
	s_delay_alu instid0(VALU_DEP_2) | instskip(NEXT) | instid1(VALU_DEP_1)
	v_add3_u32 v58, v58, v62, v61
	v_lshlrev_b64 v[57:58], 1, v[57:58]
	s_cbranch_vccnz .LBB1293_220
; %bb.212:
	v_add_co_u32 v61, vcc_lo, s10, v59
	v_add_co_ci_u32_e32 v62, vcc_lo, s11, v60, vcc_lo
	s_delay_alu instid0(VALU_DEP_3) | instskip(NEXT) | instid1(VALU_DEP_4)
	v_add_co_u32 v59, vcc_lo, s10, v57
	v_add_co_ci_u32_e32 v60, vcc_lo, s11, v58, vcc_lo
	v_mov_b32_e32 v143, 1
	s_clause 0x1
	global_load_u16 v63, v[61:62], off
	global_load_u16 v64, v[59:60], off
	v_mov_b32_e32 v144, 0
	s_mov_b32 s1, exec_lo
	s_waitcnt vmcnt(0)
	v_cmpx_eq_f16_e32 v63, v64
	s_cbranch_execz .LBB1293_219
; %bb.213:
	v_add_co_u32 v59, vcc_lo, v59, 2
	v_add_co_ci_u32_e32 v60, vcc_lo, 0, v60, vcc_lo
	v_add_co_u32 v61, vcc_lo, v61, 2
	v_add_co_ci_u32_e32 v62, vcc_lo, 0, v62, vcc_lo
	s_add_u32 s14, s8, -1
	s_addc_u32 s15, s9, -1
	s_mov_b64 s[22:23], 0
	s_mov_b32 s3, 0
                                        ; implicit-def: $sgpr21
	s_set_inst_prefetch_distance 0x1
	s_branch .LBB1293_216
	.p2align	6
.LBB1293_214:                           ;   in Loop: Header=BB1293_216 Depth=1
	global_load_u16 v63, v[61:62], off
	global_load_u16 v64, v[59:60], off
	v_add_co_u32 v59, vcc_lo, v59, 2
	v_add_co_ci_u32_e32 v60, vcc_lo, 0, v60, vcc_lo
	v_add_co_u32 v61, s0, v61, 2
	s_delay_alu instid0(VALU_DEP_1)
	v_add_co_ci_u32_e64 v62, s0, 0, v62, s0
	s_add_u32 s22, s22, 1
	s_addc_u32 s23, s23, 0
	s_and_not1_b32 s0, s21, exec_lo
	s_waitcnt vmcnt(0)
	v_cmp_neq_f16_e32 vcc_lo, v63, v64
	s_and_b32 s21, vcc_lo, exec_lo
	s_delay_alu instid0(SALU_CYCLE_1)
	s_or_b32 s21, s0, s21
.LBB1293_215:                           ;   in Loop: Header=BB1293_216 Depth=1
	v_dual_mov_b32 v64, s23 :: v_dual_mov_b32 v63, s22
	s_and_b32 s0, exec_lo, s21
	s_delay_alu instid0(SALU_CYCLE_1) | instskip(NEXT) | instid1(SALU_CYCLE_1)
	s_or_b32 s3, s0, s3
	s_and_not1_b32 exec_lo, exec_lo, s3
	s_cbranch_execz .LBB1293_218
.LBB1293_216:                           ; =>This Inner Loop Header: Depth=1
	s_or_b32 s21, s21, exec_lo
	s_cmp_eq_u64 s[14:15], s[22:23]
	s_cbranch_scc0 .LBB1293_214
; %bb.217:                              ;   in Loop: Header=BB1293_216 Depth=1
	s_mov_b64 s[22:23], s[8:9]
                                        ; implicit-def: $vgpr59_vgpr60
                                        ; implicit-def: $vgpr61_vgpr62
	s_branch .LBB1293_215
.LBB1293_218:
	s_set_inst_prefetch_distance 0x2
	s_or_b32 exec_lo, exec_lo, s3
	v_cmp_gt_i64_e32 vcc_lo, s[8:9], v[63:64]
	s_mov_b32 s0, 0
	s_delay_alu instid0(SALU_CYCLE_1)
	v_mov_b32_e32 v144, s0
	v_cndmask_b32_e64 v143, 0, 1, vcc_lo
.LBB1293_219:
	s_or_b32 exec_lo, exec_lo, s1
.LBB1293_220:
	v_mul_lo_u32 v61, v30, s8
	v_mul_lo_u32 v62, v29, s9
	v_mad_u64_u32 v[59:60], null, v29, s8, 0
	v_mov_b32_e32 v147, 0
	v_mov_b32_e32 v148, 0
	v_cmp_ne_u32_e32 vcc_lo, 1, v65
	s_delay_alu instid0(VALU_DEP_2) | instskip(SKIP_1) | instid1(VALU_DEP_1)
	v_dual_mov_b32 v145, v147 :: v_dual_mov_b32 v146, v148
	v_add3_u32 v60, v60, v62, v61
	v_lshlrev_b64 v[59:60], 1, v[59:60]
	s_cbranch_vccnz .LBB1293_229
; %bb.221:
	v_add_co_u32 v61, vcc_lo, s10, v57
	v_add_co_ci_u32_e32 v62, vcc_lo, s11, v58, vcc_lo
	s_delay_alu instid0(VALU_DEP_3) | instskip(NEXT) | instid1(VALU_DEP_4)
	v_add_co_u32 v57, vcc_lo, s10, v59
	v_add_co_ci_u32_e32 v58, vcc_lo, s11, v60, vcc_lo
	v_mov_b32_e32 v145, 1
	s_clause 0x1
	global_load_u16 v63, v[61:62], off
	global_load_u16 v64, v[57:58], off
	v_mov_b32_e32 v146, 0
	s_mov_b32 s1, exec_lo
	s_waitcnt vmcnt(0)
	v_cmpx_eq_f16_e32 v63, v64
	s_cbranch_execz .LBB1293_228
; %bb.222:
	v_add_co_u32 v57, vcc_lo, v57, 2
	v_add_co_ci_u32_e32 v58, vcc_lo, 0, v58, vcc_lo
	v_add_co_u32 v61, vcc_lo, v61, 2
	v_add_co_ci_u32_e32 v62, vcc_lo, 0, v62, vcc_lo
	s_add_u32 s14, s8, -1
	s_addc_u32 s15, s9, -1
	s_mov_b64 s[22:23], 0
	s_mov_b32 s3, 0
                                        ; implicit-def: $sgpr21
	s_set_inst_prefetch_distance 0x1
	s_branch .LBB1293_225
	.p2align	6
.LBB1293_223:                           ;   in Loop: Header=BB1293_225 Depth=1
	global_load_u16 v63, v[61:62], off
	global_load_u16 v64, v[57:58], off
	v_add_co_u32 v57, vcc_lo, v57, 2
	v_add_co_ci_u32_e32 v58, vcc_lo, 0, v58, vcc_lo
	v_add_co_u32 v61, s0, v61, 2
	s_delay_alu instid0(VALU_DEP_1)
	v_add_co_ci_u32_e64 v62, s0, 0, v62, s0
	s_add_u32 s22, s22, 1
	s_addc_u32 s23, s23, 0
	s_and_not1_b32 s0, s21, exec_lo
	s_waitcnt vmcnt(0)
	v_cmp_neq_f16_e32 vcc_lo, v63, v64
	s_and_b32 s21, vcc_lo, exec_lo
	s_delay_alu instid0(SALU_CYCLE_1)
	s_or_b32 s21, s0, s21
.LBB1293_224:                           ;   in Loop: Header=BB1293_225 Depth=1
	v_dual_mov_b32 v64, s23 :: v_dual_mov_b32 v63, s22
	s_and_b32 s0, exec_lo, s21
	s_delay_alu instid0(SALU_CYCLE_1) | instskip(NEXT) | instid1(SALU_CYCLE_1)
	s_or_b32 s3, s0, s3
	s_and_not1_b32 exec_lo, exec_lo, s3
	s_cbranch_execz .LBB1293_227
.LBB1293_225:                           ; =>This Inner Loop Header: Depth=1
	s_or_b32 s21, s21, exec_lo
	s_cmp_eq_u64 s[14:15], s[22:23]
	s_cbranch_scc0 .LBB1293_223
; %bb.226:                              ;   in Loop: Header=BB1293_225 Depth=1
	s_mov_b64 s[22:23], s[8:9]
                                        ; implicit-def: $vgpr57_vgpr58
                                        ; implicit-def: $vgpr61_vgpr62
	s_branch .LBB1293_224
.LBB1293_227:
	s_set_inst_prefetch_distance 0x2
	s_or_b32 exec_lo, exec_lo, s3
	v_cmp_gt_i64_e32 vcc_lo, s[8:9], v[63:64]
	s_mov_b32 s0, 0
	s_delay_alu instid0(SALU_CYCLE_1)
	v_mov_b32_e32 v146, s0
	v_cndmask_b32_e64 v145, 0, 1, vcc_lo
.LBB1293_228:
	s_or_b32 exec_lo, exec_lo, s1
.LBB1293_229:
	v_mul_lo_u32 v61, v28, s8
	v_mul_lo_u32 v62, v27, s9
	v_mad_u64_u32 v[57:58], null, v27, s8, 0
	v_cmp_ne_u32_e32 vcc_lo, 1, v65
	s_delay_alu instid0(VALU_DEP_2) | instskip(NEXT) | instid1(VALU_DEP_1)
	v_add3_u32 v58, v58, v62, v61
	v_lshlrev_b64 v[57:58], 1, v[57:58]
	s_cbranch_vccnz .LBB1293_238
; %bb.230:
	v_add_co_u32 v61, vcc_lo, s10, v59
	v_add_co_ci_u32_e32 v62, vcc_lo, s11, v60, vcc_lo
	s_delay_alu instid0(VALU_DEP_3) | instskip(NEXT) | instid1(VALU_DEP_4)
	v_add_co_u32 v59, vcc_lo, s10, v57
	v_add_co_ci_u32_e32 v60, vcc_lo, s11, v58, vcc_lo
	v_mov_b32_e32 v147, 1
	s_clause 0x1
	global_load_u16 v63, v[61:62], off
	global_load_u16 v64, v[59:60], off
	v_mov_b32_e32 v148, 0
	s_mov_b32 s1, exec_lo
	s_waitcnt vmcnt(0)
	v_cmpx_eq_f16_e32 v63, v64
	s_cbranch_execz .LBB1293_237
; %bb.231:
	v_add_co_u32 v59, vcc_lo, v59, 2
	v_add_co_ci_u32_e32 v60, vcc_lo, 0, v60, vcc_lo
	v_add_co_u32 v61, vcc_lo, v61, 2
	v_add_co_ci_u32_e32 v62, vcc_lo, 0, v62, vcc_lo
	s_add_u32 s14, s8, -1
	s_addc_u32 s15, s9, -1
	s_mov_b64 s[22:23], 0
	s_mov_b32 s3, 0
                                        ; implicit-def: $sgpr21
	s_set_inst_prefetch_distance 0x1
	s_branch .LBB1293_234
	.p2align	6
.LBB1293_232:                           ;   in Loop: Header=BB1293_234 Depth=1
	global_load_u16 v63, v[61:62], off
	global_load_u16 v64, v[59:60], off
	v_add_co_u32 v59, vcc_lo, v59, 2
	v_add_co_ci_u32_e32 v60, vcc_lo, 0, v60, vcc_lo
	v_add_co_u32 v61, s0, v61, 2
	s_delay_alu instid0(VALU_DEP_1)
	v_add_co_ci_u32_e64 v62, s0, 0, v62, s0
	s_add_u32 s22, s22, 1
	s_addc_u32 s23, s23, 0
	s_and_not1_b32 s0, s21, exec_lo
	s_waitcnt vmcnt(0)
	v_cmp_neq_f16_e32 vcc_lo, v63, v64
	s_and_b32 s21, vcc_lo, exec_lo
	s_delay_alu instid0(SALU_CYCLE_1)
	s_or_b32 s21, s0, s21
.LBB1293_233:                           ;   in Loop: Header=BB1293_234 Depth=1
	v_dual_mov_b32 v64, s23 :: v_dual_mov_b32 v63, s22
	s_and_b32 s0, exec_lo, s21
	s_delay_alu instid0(SALU_CYCLE_1) | instskip(NEXT) | instid1(SALU_CYCLE_1)
	s_or_b32 s3, s0, s3
	s_and_not1_b32 exec_lo, exec_lo, s3
	s_cbranch_execz .LBB1293_236
.LBB1293_234:                           ; =>This Inner Loop Header: Depth=1
	s_or_b32 s21, s21, exec_lo
	s_cmp_eq_u64 s[14:15], s[22:23]
	s_cbranch_scc0 .LBB1293_232
; %bb.235:                              ;   in Loop: Header=BB1293_234 Depth=1
	s_mov_b64 s[22:23], s[8:9]
                                        ; implicit-def: $vgpr59_vgpr60
                                        ; implicit-def: $vgpr61_vgpr62
	s_branch .LBB1293_233
.LBB1293_236:
	s_set_inst_prefetch_distance 0x2
	s_or_b32 exec_lo, exec_lo, s3
	v_cmp_gt_i64_e32 vcc_lo, s[8:9], v[63:64]
	s_mov_b32 s0, 0
	s_delay_alu instid0(SALU_CYCLE_1)
	v_mov_b32_e32 v148, s0
	v_cndmask_b32_e64 v147, 0, 1, vcc_lo
.LBB1293_237:
	s_or_b32 exec_lo, exec_lo, s1
.LBB1293_238:
	v_mul_lo_u32 v61, v26, s8
	v_mul_lo_u32 v62, v25, s9
	v_mad_u64_u32 v[59:60], null, v25, s8, 0
	v_mov_b32_e32 v151, 0
	v_mov_b32_e32 v152, 0
	v_cmp_ne_u32_e32 vcc_lo, 1, v65
	s_delay_alu instid0(VALU_DEP_2) | instskip(SKIP_1) | instid1(VALU_DEP_1)
	v_dual_mov_b32 v149, v151 :: v_dual_mov_b32 v150, v152
	v_add3_u32 v60, v60, v62, v61
	v_lshlrev_b64 v[59:60], 1, v[59:60]
	s_cbranch_vccnz .LBB1293_247
; %bb.239:
	v_add_co_u32 v61, vcc_lo, s10, v57
	v_add_co_ci_u32_e32 v62, vcc_lo, s11, v58, vcc_lo
	s_delay_alu instid0(VALU_DEP_3) | instskip(NEXT) | instid1(VALU_DEP_4)
	v_add_co_u32 v57, vcc_lo, s10, v59
	v_add_co_ci_u32_e32 v58, vcc_lo, s11, v60, vcc_lo
	v_mov_b32_e32 v149, 1
	s_clause 0x1
	global_load_u16 v63, v[61:62], off
	global_load_u16 v64, v[57:58], off
	v_mov_b32_e32 v150, 0
	s_mov_b32 s1, exec_lo
	s_waitcnt vmcnt(0)
	v_cmpx_eq_f16_e32 v63, v64
	s_cbranch_execz .LBB1293_246
; %bb.240:
	v_add_co_u32 v57, vcc_lo, v57, 2
	v_add_co_ci_u32_e32 v58, vcc_lo, 0, v58, vcc_lo
	v_add_co_u32 v61, vcc_lo, v61, 2
	v_add_co_ci_u32_e32 v62, vcc_lo, 0, v62, vcc_lo
	s_add_u32 s14, s8, -1
	s_addc_u32 s15, s9, -1
	s_mov_b64 s[22:23], 0
	s_mov_b32 s3, 0
                                        ; implicit-def: $sgpr21
	s_set_inst_prefetch_distance 0x1
	s_branch .LBB1293_243
	.p2align	6
.LBB1293_241:                           ;   in Loop: Header=BB1293_243 Depth=1
	global_load_u16 v63, v[61:62], off
	global_load_u16 v64, v[57:58], off
	v_add_co_u32 v57, vcc_lo, v57, 2
	v_add_co_ci_u32_e32 v58, vcc_lo, 0, v58, vcc_lo
	v_add_co_u32 v61, s0, v61, 2
	s_delay_alu instid0(VALU_DEP_1)
	v_add_co_ci_u32_e64 v62, s0, 0, v62, s0
	s_add_u32 s22, s22, 1
	s_addc_u32 s23, s23, 0
	s_and_not1_b32 s0, s21, exec_lo
	s_waitcnt vmcnt(0)
	v_cmp_neq_f16_e32 vcc_lo, v63, v64
	s_and_b32 s21, vcc_lo, exec_lo
	s_delay_alu instid0(SALU_CYCLE_1)
	s_or_b32 s21, s0, s21
.LBB1293_242:                           ;   in Loop: Header=BB1293_243 Depth=1
	v_dual_mov_b32 v64, s23 :: v_dual_mov_b32 v63, s22
	s_and_b32 s0, exec_lo, s21
	s_delay_alu instid0(SALU_CYCLE_1) | instskip(NEXT) | instid1(SALU_CYCLE_1)
	s_or_b32 s3, s0, s3
	s_and_not1_b32 exec_lo, exec_lo, s3
	s_cbranch_execz .LBB1293_245
.LBB1293_243:                           ; =>This Inner Loop Header: Depth=1
	s_or_b32 s21, s21, exec_lo
	s_cmp_eq_u64 s[14:15], s[22:23]
	s_cbranch_scc0 .LBB1293_241
; %bb.244:                              ;   in Loop: Header=BB1293_243 Depth=1
	s_mov_b64 s[22:23], s[8:9]
                                        ; implicit-def: $vgpr57_vgpr58
                                        ; implicit-def: $vgpr61_vgpr62
	s_branch .LBB1293_242
.LBB1293_245:
	s_set_inst_prefetch_distance 0x2
	s_or_b32 exec_lo, exec_lo, s3
	v_cmp_gt_i64_e32 vcc_lo, s[8:9], v[63:64]
	s_mov_b32 s0, 0
	s_delay_alu instid0(SALU_CYCLE_1)
	v_mov_b32_e32 v150, s0
	v_cndmask_b32_e64 v149, 0, 1, vcc_lo
.LBB1293_246:
	s_or_b32 exec_lo, exec_lo, s1
.LBB1293_247:
	v_mul_lo_u32 v61, v24, s8
	v_mul_lo_u32 v62, v23, s9
	v_mad_u64_u32 v[57:58], null, v23, s8, 0
	v_cmp_ne_u32_e32 vcc_lo, 1, v65
	s_delay_alu instid0(VALU_DEP_2) | instskip(NEXT) | instid1(VALU_DEP_1)
	v_add3_u32 v58, v58, v62, v61
	v_lshlrev_b64 v[57:58], 1, v[57:58]
	s_cbranch_vccnz .LBB1293_256
; %bb.248:
	v_add_co_u32 v61, vcc_lo, s10, v59
	v_add_co_ci_u32_e32 v62, vcc_lo, s11, v60, vcc_lo
	s_delay_alu instid0(VALU_DEP_3) | instskip(NEXT) | instid1(VALU_DEP_4)
	v_add_co_u32 v59, vcc_lo, s10, v57
	v_add_co_ci_u32_e32 v60, vcc_lo, s11, v58, vcc_lo
	v_mov_b32_e32 v151, 1
	s_clause 0x1
	global_load_u16 v63, v[61:62], off
	global_load_u16 v64, v[59:60], off
	v_mov_b32_e32 v152, 0
	s_mov_b32 s1, exec_lo
	s_waitcnt vmcnt(0)
	v_cmpx_eq_f16_e32 v63, v64
	s_cbranch_execz .LBB1293_255
; %bb.249:
	v_add_co_u32 v59, vcc_lo, v59, 2
	v_add_co_ci_u32_e32 v60, vcc_lo, 0, v60, vcc_lo
	v_add_co_u32 v61, vcc_lo, v61, 2
	v_add_co_ci_u32_e32 v62, vcc_lo, 0, v62, vcc_lo
	s_add_u32 s14, s8, -1
	s_addc_u32 s15, s9, -1
	s_mov_b64 s[22:23], 0
	s_mov_b32 s3, 0
                                        ; implicit-def: $sgpr21
	s_set_inst_prefetch_distance 0x1
	s_branch .LBB1293_252
	.p2align	6
.LBB1293_250:                           ;   in Loop: Header=BB1293_252 Depth=1
	global_load_u16 v63, v[61:62], off
	global_load_u16 v64, v[59:60], off
	v_add_co_u32 v59, vcc_lo, v59, 2
	v_add_co_ci_u32_e32 v60, vcc_lo, 0, v60, vcc_lo
	v_add_co_u32 v61, s0, v61, 2
	s_delay_alu instid0(VALU_DEP_1)
	v_add_co_ci_u32_e64 v62, s0, 0, v62, s0
	s_add_u32 s22, s22, 1
	s_addc_u32 s23, s23, 0
	s_and_not1_b32 s0, s21, exec_lo
	s_waitcnt vmcnt(0)
	v_cmp_neq_f16_e32 vcc_lo, v63, v64
	s_and_b32 s21, vcc_lo, exec_lo
	s_delay_alu instid0(SALU_CYCLE_1)
	s_or_b32 s21, s0, s21
.LBB1293_251:                           ;   in Loop: Header=BB1293_252 Depth=1
	v_dual_mov_b32 v64, s23 :: v_dual_mov_b32 v63, s22
	s_and_b32 s0, exec_lo, s21
	s_delay_alu instid0(SALU_CYCLE_1) | instskip(NEXT) | instid1(SALU_CYCLE_1)
	s_or_b32 s3, s0, s3
	s_and_not1_b32 exec_lo, exec_lo, s3
	s_cbranch_execz .LBB1293_254
.LBB1293_252:                           ; =>This Inner Loop Header: Depth=1
	s_or_b32 s21, s21, exec_lo
	s_cmp_eq_u64 s[14:15], s[22:23]
	s_cbranch_scc0 .LBB1293_250
; %bb.253:                              ;   in Loop: Header=BB1293_252 Depth=1
	s_mov_b64 s[22:23], s[8:9]
                                        ; implicit-def: $vgpr59_vgpr60
                                        ; implicit-def: $vgpr61_vgpr62
	s_branch .LBB1293_251
.LBB1293_254:
	s_set_inst_prefetch_distance 0x2
	s_or_b32 exec_lo, exec_lo, s3
	v_cmp_gt_i64_e32 vcc_lo, s[8:9], v[63:64]
	s_mov_b32 s0, 0
	s_delay_alu instid0(SALU_CYCLE_1)
	v_mov_b32_e32 v152, s0
	v_cndmask_b32_e64 v151, 0, 1, vcc_lo
.LBB1293_255:
	s_or_b32 exec_lo, exec_lo, s1
.LBB1293_256:
	v_mul_lo_u32 v61, v22, s8
	v_mul_lo_u32 v62, v21, s9
	v_mad_u64_u32 v[59:60], null, v21, s8, 0
	v_mov_b32_e32 v155, 0
	v_mov_b32_e32 v156, 0
	v_cmp_ne_u32_e32 vcc_lo, 1, v65
	s_delay_alu instid0(VALU_DEP_2) | instskip(SKIP_1) | instid1(VALU_DEP_1)
	v_dual_mov_b32 v153, v155 :: v_dual_mov_b32 v154, v156
	v_add3_u32 v60, v60, v62, v61
	v_lshlrev_b64 v[59:60], 1, v[59:60]
	s_cbranch_vccnz .LBB1293_265
; %bb.257:
	v_add_co_u32 v61, vcc_lo, s10, v57
	v_add_co_ci_u32_e32 v62, vcc_lo, s11, v58, vcc_lo
	s_delay_alu instid0(VALU_DEP_3) | instskip(NEXT) | instid1(VALU_DEP_4)
	v_add_co_u32 v57, vcc_lo, s10, v59
	v_add_co_ci_u32_e32 v58, vcc_lo, s11, v60, vcc_lo
	v_mov_b32_e32 v153, 1
	s_clause 0x1
	global_load_u16 v63, v[61:62], off
	global_load_u16 v64, v[57:58], off
	v_mov_b32_e32 v154, 0
	s_mov_b32 s1, exec_lo
	s_waitcnt vmcnt(0)
	v_cmpx_eq_f16_e32 v63, v64
	s_cbranch_execz .LBB1293_264
; %bb.258:
	v_add_co_u32 v57, vcc_lo, v57, 2
	v_add_co_ci_u32_e32 v58, vcc_lo, 0, v58, vcc_lo
	v_add_co_u32 v61, vcc_lo, v61, 2
	v_add_co_ci_u32_e32 v62, vcc_lo, 0, v62, vcc_lo
	s_add_u32 s14, s8, -1
	s_addc_u32 s15, s9, -1
	s_mov_b64 s[22:23], 0
	s_mov_b32 s3, 0
                                        ; implicit-def: $sgpr21
	s_set_inst_prefetch_distance 0x1
	s_branch .LBB1293_261
	.p2align	6
.LBB1293_259:                           ;   in Loop: Header=BB1293_261 Depth=1
	global_load_u16 v63, v[61:62], off
	global_load_u16 v64, v[57:58], off
	v_add_co_u32 v57, vcc_lo, v57, 2
	v_add_co_ci_u32_e32 v58, vcc_lo, 0, v58, vcc_lo
	v_add_co_u32 v61, s0, v61, 2
	s_delay_alu instid0(VALU_DEP_1)
	v_add_co_ci_u32_e64 v62, s0, 0, v62, s0
	s_add_u32 s22, s22, 1
	s_addc_u32 s23, s23, 0
	s_and_not1_b32 s0, s21, exec_lo
	s_waitcnt vmcnt(0)
	v_cmp_neq_f16_e32 vcc_lo, v63, v64
	s_and_b32 s21, vcc_lo, exec_lo
	s_delay_alu instid0(SALU_CYCLE_1)
	s_or_b32 s21, s0, s21
.LBB1293_260:                           ;   in Loop: Header=BB1293_261 Depth=1
	v_dual_mov_b32 v64, s23 :: v_dual_mov_b32 v63, s22
	s_and_b32 s0, exec_lo, s21
	s_delay_alu instid0(SALU_CYCLE_1) | instskip(NEXT) | instid1(SALU_CYCLE_1)
	s_or_b32 s3, s0, s3
	s_and_not1_b32 exec_lo, exec_lo, s3
	s_cbranch_execz .LBB1293_263
.LBB1293_261:                           ; =>This Inner Loop Header: Depth=1
	s_or_b32 s21, s21, exec_lo
	s_cmp_eq_u64 s[14:15], s[22:23]
	s_cbranch_scc0 .LBB1293_259
; %bb.262:                              ;   in Loop: Header=BB1293_261 Depth=1
	s_mov_b64 s[22:23], s[8:9]
                                        ; implicit-def: $vgpr57_vgpr58
                                        ; implicit-def: $vgpr61_vgpr62
	s_branch .LBB1293_260
.LBB1293_263:
	s_set_inst_prefetch_distance 0x2
	s_or_b32 exec_lo, exec_lo, s3
	v_cmp_gt_i64_e32 vcc_lo, s[8:9], v[63:64]
	s_mov_b32 s0, 0
	s_delay_alu instid0(SALU_CYCLE_1)
	v_mov_b32_e32 v154, s0
	v_cndmask_b32_e64 v153, 0, 1, vcc_lo
.LBB1293_264:
	s_or_b32 exec_lo, exec_lo, s1
.LBB1293_265:
	v_mul_lo_u32 v61, v20, s8
	v_mul_lo_u32 v62, v19, s9
	v_mad_u64_u32 v[57:58], null, v19, s8, 0
	v_cmp_ne_u32_e32 vcc_lo, 1, v65
	s_delay_alu instid0(VALU_DEP_2) | instskip(NEXT) | instid1(VALU_DEP_1)
	v_add3_u32 v58, v58, v62, v61
	v_lshlrev_b64 v[57:58], 1, v[57:58]
	s_cbranch_vccnz .LBB1293_274
; %bb.266:
	v_add_co_u32 v61, vcc_lo, s10, v59
	v_add_co_ci_u32_e32 v62, vcc_lo, s11, v60, vcc_lo
	s_delay_alu instid0(VALU_DEP_3) | instskip(NEXT) | instid1(VALU_DEP_4)
	v_add_co_u32 v59, vcc_lo, s10, v57
	v_add_co_ci_u32_e32 v60, vcc_lo, s11, v58, vcc_lo
	v_mov_b32_e32 v155, 1
	s_clause 0x1
	global_load_u16 v63, v[61:62], off
	global_load_u16 v64, v[59:60], off
	v_mov_b32_e32 v156, 0
	s_mov_b32 s1, exec_lo
	s_waitcnt vmcnt(0)
	v_cmpx_eq_f16_e32 v63, v64
	s_cbranch_execz .LBB1293_273
; %bb.267:
	v_add_co_u32 v59, vcc_lo, v59, 2
	v_add_co_ci_u32_e32 v60, vcc_lo, 0, v60, vcc_lo
	v_add_co_u32 v61, vcc_lo, v61, 2
	v_add_co_ci_u32_e32 v62, vcc_lo, 0, v62, vcc_lo
	s_add_u32 s14, s8, -1
	s_addc_u32 s15, s9, -1
	s_mov_b64 s[22:23], 0
	s_mov_b32 s3, 0
                                        ; implicit-def: $sgpr21
	s_set_inst_prefetch_distance 0x1
	s_branch .LBB1293_270
	.p2align	6
.LBB1293_268:                           ;   in Loop: Header=BB1293_270 Depth=1
	global_load_u16 v63, v[61:62], off
	global_load_u16 v64, v[59:60], off
	v_add_co_u32 v59, vcc_lo, v59, 2
	v_add_co_ci_u32_e32 v60, vcc_lo, 0, v60, vcc_lo
	v_add_co_u32 v61, s0, v61, 2
	s_delay_alu instid0(VALU_DEP_1)
	v_add_co_ci_u32_e64 v62, s0, 0, v62, s0
	s_add_u32 s22, s22, 1
	s_addc_u32 s23, s23, 0
	s_and_not1_b32 s0, s21, exec_lo
	s_waitcnt vmcnt(0)
	v_cmp_neq_f16_e32 vcc_lo, v63, v64
	s_and_b32 s21, vcc_lo, exec_lo
	s_delay_alu instid0(SALU_CYCLE_1)
	s_or_b32 s21, s0, s21
.LBB1293_269:                           ;   in Loop: Header=BB1293_270 Depth=1
	v_dual_mov_b32 v64, s23 :: v_dual_mov_b32 v63, s22
	s_and_b32 s0, exec_lo, s21
	s_delay_alu instid0(SALU_CYCLE_1) | instskip(NEXT) | instid1(SALU_CYCLE_1)
	s_or_b32 s3, s0, s3
	s_and_not1_b32 exec_lo, exec_lo, s3
	s_cbranch_execz .LBB1293_272
.LBB1293_270:                           ; =>This Inner Loop Header: Depth=1
	s_or_b32 s21, s21, exec_lo
	s_cmp_eq_u64 s[14:15], s[22:23]
	s_cbranch_scc0 .LBB1293_268
; %bb.271:                              ;   in Loop: Header=BB1293_270 Depth=1
	s_mov_b64 s[22:23], s[8:9]
                                        ; implicit-def: $vgpr59_vgpr60
                                        ; implicit-def: $vgpr61_vgpr62
	s_branch .LBB1293_269
.LBB1293_272:
	s_set_inst_prefetch_distance 0x2
	s_or_b32 exec_lo, exec_lo, s3
	v_cmp_gt_i64_e32 vcc_lo, s[8:9], v[63:64]
	s_mov_b32 s0, 0
	s_delay_alu instid0(SALU_CYCLE_1)
	v_mov_b32_e32 v156, s0
	v_cndmask_b32_e64 v155, 0, 1, vcc_lo
.LBB1293_273:
	s_or_b32 exec_lo, exec_lo, s1
.LBB1293_274:
	v_mul_lo_u32 v61, v18, s8
	v_mul_lo_u32 v62, v17, s9
	v_mad_u64_u32 v[59:60], null, v17, s8, 0
	v_mov_b32_e32 v159, 0
	v_mov_b32_e32 v160, 0
	v_cmp_ne_u32_e32 vcc_lo, 1, v65
	s_delay_alu instid0(VALU_DEP_2) | instskip(SKIP_1) | instid1(VALU_DEP_1)
	v_dual_mov_b32 v157, v159 :: v_dual_mov_b32 v158, v160
	v_add3_u32 v60, v60, v62, v61
	v_lshlrev_b64 v[59:60], 1, v[59:60]
	s_cbranch_vccnz .LBB1293_283
; %bb.275:
	v_add_co_u32 v61, vcc_lo, s10, v57
	v_add_co_ci_u32_e32 v62, vcc_lo, s11, v58, vcc_lo
	s_delay_alu instid0(VALU_DEP_3) | instskip(NEXT) | instid1(VALU_DEP_4)
	v_add_co_u32 v57, vcc_lo, s10, v59
	v_add_co_ci_u32_e32 v58, vcc_lo, s11, v60, vcc_lo
	v_mov_b32_e32 v157, 1
	s_clause 0x1
	global_load_u16 v63, v[61:62], off
	global_load_u16 v64, v[57:58], off
	v_mov_b32_e32 v158, 0
	s_mov_b32 s1, exec_lo
	s_waitcnt vmcnt(0)
	v_cmpx_eq_f16_e32 v63, v64
	s_cbranch_execz .LBB1293_282
; %bb.276:
	v_add_co_u32 v57, vcc_lo, v57, 2
	v_add_co_ci_u32_e32 v58, vcc_lo, 0, v58, vcc_lo
	v_add_co_u32 v61, vcc_lo, v61, 2
	v_add_co_ci_u32_e32 v62, vcc_lo, 0, v62, vcc_lo
	s_add_u32 s14, s8, -1
	s_addc_u32 s15, s9, -1
	s_mov_b64 s[22:23], 0
	s_mov_b32 s3, 0
                                        ; implicit-def: $sgpr21
	s_set_inst_prefetch_distance 0x1
	s_branch .LBB1293_279
	.p2align	6
.LBB1293_277:                           ;   in Loop: Header=BB1293_279 Depth=1
	global_load_u16 v63, v[61:62], off
	global_load_u16 v64, v[57:58], off
	v_add_co_u32 v57, vcc_lo, v57, 2
	v_add_co_ci_u32_e32 v58, vcc_lo, 0, v58, vcc_lo
	v_add_co_u32 v61, s0, v61, 2
	s_delay_alu instid0(VALU_DEP_1)
	v_add_co_ci_u32_e64 v62, s0, 0, v62, s0
	s_add_u32 s22, s22, 1
	s_addc_u32 s23, s23, 0
	s_and_not1_b32 s0, s21, exec_lo
	s_waitcnt vmcnt(0)
	v_cmp_neq_f16_e32 vcc_lo, v63, v64
	s_and_b32 s21, vcc_lo, exec_lo
	s_delay_alu instid0(SALU_CYCLE_1)
	s_or_b32 s21, s0, s21
.LBB1293_278:                           ;   in Loop: Header=BB1293_279 Depth=1
	v_dual_mov_b32 v64, s23 :: v_dual_mov_b32 v63, s22
	s_and_b32 s0, exec_lo, s21
	s_delay_alu instid0(SALU_CYCLE_1) | instskip(NEXT) | instid1(SALU_CYCLE_1)
	s_or_b32 s3, s0, s3
	s_and_not1_b32 exec_lo, exec_lo, s3
	s_cbranch_execz .LBB1293_281
.LBB1293_279:                           ; =>This Inner Loop Header: Depth=1
	s_or_b32 s21, s21, exec_lo
	s_cmp_eq_u64 s[14:15], s[22:23]
	s_cbranch_scc0 .LBB1293_277
; %bb.280:                              ;   in Loop: Header=BB1293_279 Depth=1
	s_mov_b64 s[22:23], s[8:9]
                                        ; implicit-def: $vgpr57_vgpr58
                                        ; implicit-def: $vgpr61_vgpr62
	s_branch .LBB1293_278
.LBB1293_281:
	s_set_inst_prefetch_distance 0x2
	s_or_b32 exec_lo, exec_lo, s3
	v_cmp_gt_i64_e32 vcc_lo, s[8:9], v[63:64]
	s_mov_b32 s0, 0
	s_delay_alu instid0(SALU_CYCLE_1)
	v_mov_b32_e32 v158, s0
	v_cndmask_b32_e64 v157, 0, 1, vcc_lo
.LBB1293_282:
	s_or_b32 exec_lo, exec_lo, s1
.LBB1293_283:
	v_mul_lo_u32 v61, v16, s8
	v_mul_lo_u32 v62, v15, s9
	v_mad_u64_u32 v[57:58], null, v15, s8, 0
	v_cmp_ne_u32_e32 vcc_lo, 1, v65
	s_delay_alu instid0(VALU_DEP_2) | instskip(NEXT) | instid1(VALU_DEP_1)
	v_add3_u32 v58, v58, v62, v61
	v_lshlrev_b64 v[57:58], 1, v[57:58]
	s_cbranch_vccnz .LBB1293_292
; %bb.284:
	v_add_co_u32 v61, vcc_lo, s10, v59
	v_add_co_ci_u32_e32 v62, vcc_lo, s11, v60, vcc_lo
	s_delay_alu instid0(VALU_DEP_3) | instskip(NEXT) | instid1(VALU_DEP_4)
	v_add_co_u32 v59, vcc_lo, s10, v57
	v_add_co_ci_u32_e32 v60, vcc_lo, s11, v58, vcc_lo
	v_mov_b32_e32 v159, 1
	s_clause 0x1
	global_load_u16 v63, v[61:62], off
	global_load_u16 v64, v[59:60], off
	v_mov_b32_e32 v160, 0
	s_mov_b32 s1, exec_lo
	s_waitcnt vmcnt(0)
	v_cmpx_eq_f16_e32 v63, v64
	s_cbranch_execz .LBB1293_291
; %bb.285:
	v_add_co_u32 v59, vcc_lo, v59, 2
	v_add_co_ci_u32_e32 v60, vcc_lo, 0, v60, vcc_lo
	v_add_co_u32 v61, vcc_lo, v61, 2
	v_add_co_ci_u32_e32 v62, vcc_lo, 0, v62, vcc_lo
	s_add_u32 s14, s8, -1
	s_addc_u32 s15, s9, -1
	s_mov_b64 s[22:23], 0
	s_mov_b32 s3, 0
                                        ; implicit-def: $sgpr21
	s_set_inst_prefetch_distance 0x1
	s_branch .LBB1293_288
	.p2align	6
.LBB1293_286:                           ;   in Loop: Header=BB1293_288 Depth=1
	global_load_u16 v63, v[61:62], off
	global_load_u16 v64, v[59:60], off
	v_add_co_u32 v59, vcc_lo, v59, 2
	v_add_co_ci_u32_e32 v60, vcc_lo, 0, v60, vcc_lo
	v_add_co_u32 v61, s0, v61, 2
	s_delay_alu instid0(VALU_DEP_1)
	v_add_co_ci_u32_e64 v62, s0, 0, v62, s0
	s_add_u32 s22, s22, 1
	s_addc_u32 s23, s23, 0
	s_and_not1_b32 s0, s21, exec_lo
	s_waitcnt vmcnt(0)
	v_cmp_neq_f16_e32 vcc_lo, v63, v64
	s_and_b32 s21, vcc_lo, exec_lo
	s_delay_alu instid0(SALU_CYCLE_1)
	s_or_b32 s21, s0, s21
.LBB1293_287:                           ;   in Loop: Header=BB1293_288 Depth=1
	v_dual_mov_b32 v64, s23 :: v_dual_mov_b32 v63, s22
	s_and_b32 s0, exec_lo, s21
	s_delay_alu instid0(SALU_CYCLE_1) | instskip(NEXT) | instid1(SALU_CYCLE_1)
	s_or_b32 s3, s0, s3
	s_and_not1_b32 exec_lo, exec_lo, s3
	s_cbranch_execz .LBB1293_290
.LBB1293_288:                           ; =>This Inner Loop Header: Depth=1
	s_or_b32 s21, s21, exec_lo
	s_cmp_eq_u64 s[14:15], s[22:23]
	s_cbranch_scc0 .LBB1293_286
; %bb.289:                              ;   in Loop: Header=BB1293_288 Depth=1
	s_mov_b64 s[22:23], s[8:9]
                                        ; implicit-def: $vgpr59_vgpr60
                                        ; implicit-def: $vgpr61_vgpr62
	s_branch .LBB1293_287
.LBB1293_290:
	s_set_inst_prefetch_distance 0x2
	s_or_b32 exec_lo, exec_lo, s3
	v_cmp_gt_i64_e32 vcc_lo, s[8:9], v[63:64]
	s_mov_b32 s0, 0
	s_delay_alu instid0(SALU_CYCLE_1)
	v_mov_b32_e32 v160, s0
	v_cndmask_b32_e64 v159, 0, 1, vcc_lo
.LBB1293_291:
	s_or_b32 exec_lo, exec_lo, s1
.LBB1293_292:
	v_mul_lo_u32 v61, v14, s8
	v_mul_lo_u32 v62, v13, s9
	v_mad_u64_u32 v[59:60], null, v13, s8, 0
	v_mov_b32_e32 v163, 0
	v_mov_b32_e32 v164, 0
	v_cmp_ne_u32_e32 vcc_lo, 1, v65
	s_delay_alu instid0(VALU_DEP_2) | instskip(SKIP_1) | instid1(VALU_DEP_1)
	v_dual_mov_b32 v161, v163 :: v_dual_mov_b32 v162, v164
	v_add3_u32 v60, v60, v62, v61
	v_lshlrev_b64 v[59:60], 1, v[59:60]
	s_cbranch_vccnz .LBB1293_301
; %bb.293:
	v_add_co_u32 v61, vcc_lo, s10, v57
	v_add_co_ci_u32_e32 v62, vcc_lo, s11, v58, vcc_lo
	s_delay_alu instid0(VALU_DEP_3) | instskip(NEXT) | instid1(VALU_DEP_4)
	v_add_co_u32 v57, vcc_lo, s10, v59
	v_add_co_ci_u32_e32 v58, vcc_lo, s11, v60, vcc_lo
	v_mov_b32_e32 v161, 1
	s_clause 0x1
	global_load_u16 v63, v[61:62], off
	global_load_u16 v64, v[57:58], off
	v_mov_b32_e32 v162, 0
	s_mov_b32 s1, exec_lo
	s_waitcnt vmcnt(0)
	v_cmpx_eq_f16_e32 v63, v64
	s_cbranch_execz .LBB1293_300
; %bb.294:
	v_add_co_u32 v57, vcc_lo, v57, 2
	v_add_co_ci_u32_e32 v58, vcc_lo, 0, v58, vcc_lo
	v_add_co_u32 v61, vcc_lo, v61, 2
	v_add_co_ci_u32_e32 v62, vcc_lo, 0, v62, vcc_lo
	s_add_u32 s14, s8, -1
	s_addc_u32 s15, s9, -1
	s_mov_b64 s[22:23], 0
	s_mov_b32 s3, 0
                                        ; implicit-def: $sgpr21
	s_set_inst_prefetch_distance 0x1
	s_branch .LBB1293_297
	.p2align	6
.LBB1293_295:                           ;   in Loop: Header=BB1293_297 Depth=1
	global_load_u16 v63, v[61:62], off
	global_load_u16 v64, v[57:58], off
	v_add_co_u32 v57, vcc_lo, v57, 2
	v_add_co_ci_u32_e32 v58, vcc_lo, 0, v58, vcc_lo
	v_add_co_u32 v61, s0, v61, 2
	s_delay_alu instid0(VALU_DEP_1)
	v_add_co_ci_u32_e64 v62, s0, 0, v62, s0
	s_add_u32 s22, s22, 1
	s_addc_u32 s23, s23, 0
	s_and_not1_b32 s0, s21, exec_lo
	s_waitcnt vmcnt(0)
	v_cmp_neq_f16_e32 vcc_lo, v63, v64
	s_and_b32 s21, vcc_lo, exec_lo
	s_delay_alu instid0(SALU_CYCLE_1)
	s_or_b32 s21, s0, s21
.LBB1293_296:                           ;   in Loop: Header=BB1293_297 Depth=1
	v_dual_mov_b32 v64, s23 :: v_dual_mov_b32 v63, s22
	s_and_b32 s0, exec_lo, s21
	s_delay_alu instid0(SALU_CYCLE_1) | instskip(NEXT) | instid1(SALU_CYCLE_1)
	s_or_b32 s3, s0, s3
	s_and_not1_b32 exec_lo, exec_lo, s3
	s_cbranch_execz .LBB1293_299
.LBB1293_297:                           ; =>This Inner Loop Header: Depth=1
	s_or_b32 s21, s21, exec_lo
	s_cmp_eq_u64 s[14:15], s[22:23]
	s_cbranch_scc0 .LBB1293_295
; %bb.298:                              ;   in Loop: Header=BB1293_297 Depth=1
	s_mov_b64 s[22:23], s[8:9]
                                        ; implicit-def: $vgpr57_vgpr58
                                        ; implicit-def: $vgpr61_vgpr62
	s_branch .LBB1293_296
.LBB1293_299:
	s_set_inst_prefetch_distance 0x2
	s_or_b32 exec_lo, exec_lo, s3
	v_cmp_gt_i64_e32 vcc_lo, s[8:9], v[63:64]
	s_mov_b32 s0, 0
	s_delay_alu instid0(SALU_CYCLE_1)
	v_mov_b32_e32 v162, s0
	v_cndmask_b32_e64 v161, 0, 1, vcc_lo
.LBB1293_300:
	s_or_b32 exec_lo, exec_lo, s1
.LBB1293_301:
	v_mul_lo_u32 v61, v4, s8
	v_mul_lo_u32 v62, v3, s9
	v_mad_u64_u32 v[57:58], null, v3, s8, 0
	v_cmp_ne_u32_e32 vcc_lo, 1, v65
	s_delay_alu instid0(VALU_DEP_2) | instskip(NEXT) | instid1(VALU_DEP_1)
	v_add3_u32 v58, v58, v62, v61
	v_lshlrev_b64 v[57:58], 1, v[57:58]
	s_cbranch_vccnz .LBB1293_310
; %bb.302:
	v_add_co_u32 v61, vcc_lo, s10, v59
	v_add_co_ci_u32_e32 v62, vcc_lo, s11, v60, vcc_lo
	s_delay_alu instid0(VALU_DEP_3) | instskip(NEXT) | instid1(VALU_DEP_4)
	v_add_co_u32 v59, vcc_lo, s10, v57
	v_add_co_ci_u32_e32 v60, vcc_lo, s11, v58, vcc_lo
	v_mov_b32_e32 v163, 1
	s_clause 0x1
	global_load_u16 v63, v[61:62], off
	global_load_u16 v64, v[59:60], off
	v_mov_b32_e32 v164, 0
	s_mov_b32 s1, exec_lo
	s_waitcnt vmcnt(0)
	v_cmpx_eq_f16_e32 v63, v64
	s_cbranch_execz .LBB1293_309
; %bb.303:
	v_add_co_u32 v59, vcc_lo, v59, 2
	v_add_co_ci_u32_e32 v60, vcc_lo, 0, v60, vcc_lo
	v_add_co_u32 v61, vcc_lo, v61, 2
	v_add_co_ci_u32_e32 v62, vcc_lo, 0, v62, vcc_lo
	s_add_u32 s14, s8, -1
	s_addc_u32 s15, s9, -1
	s_mov_b64 s[22:23], 0
	s_mov_b32 s3, 0
                                        ; implicit-def: $sgpr21
	s_set_inst_prefetch_distance 0x1
	s_branch .LBB1293_306
	.p2align	6
.LBB1293_304:                           ;   in Loop: Header=BB1293_306 Depth=1
	global_load_u16 v63, v[61:62], off
	global_load_u16 v64, v[59:60], off
	v_add_co_u32 v59, vcc_lo, v59, 2
	v_add_co_ci_u32_e32 v60, vcc_lo, 0, v60, vcc_lo
	v_add_co_u32 v61, s0, v61, 2
	s_delay_alu instid0(VALU_DEP_1)
	v_add_co_ci_u32_e64 v62, s0, 0, v62, s0
	s_add_u32 s22, s22, 1
	s_addc_u32 s23, s23, 0
	s_and_not1_b32 s0, s21, exec_lo
	s_waitcnt vmcnt(0)
	v_cmp_neq_f16_e32 vcc_lo, v63, v64
	s_and_b32 s21, vcc_lo, exec_lo
	s_delay_alu instid0(SALU_CYCLE_1)
	s_or_b32 s21, s0, s21
.LBB1293_305:                           ;   in Loop: Header=BB1293_306 Depth=1
	v_dual_mov_b32 v64, s23 :: v_dual_mov_b32 v63, s22
	s_and_b32 s0, exec_lo, s21
	s_delay_alu instid0(SALU_CYCLE_1) | instskip(NEXT) | instid1(SALU_CYCLE_1)
	s_or_b32 s3, s0, s3
	s_and_not1_b32 exec_lo, exec_lo, s3
	s_cbranch_execz .LBB1293_308
.LBB1293_306:                           ; =>This Inner Loop Header: Depth=1
	s_or_b32 s21, s21, exec_lo
	s_cmp_eq_u64 s[14:15], s[22:23]
	s_cbranch_scc0 .LBB1293_304
; %bb.307:                              ;   in Loop: Header=BB1293_306 Depth=1
	s_mov_b64 s[22:23], s[8:9]
                                        ; implicit-def: $vgpr59_vgpr60
                                        ; implicit-def: $vgpr61_vgpr62
	s_branch .LBB1293_305
.LBB1293_308:
	s_set_inst_prefetch_distance 0x2
	s_or_b32 exec_lo, exec_lo, s3
	v_cmp_gt_i64_e32 vcc_lo, s[8:9], v[63:64]
	s_mov_b32 s0, 0
	s_delay_alu instid0(SALU_CYCLE_1)
	v_mov_b32_e32 v164, s0
	v_cndmask_b32_e64 v163, 0, 1, vcc_lo
.LBB1293_309:
	s_or_b32 exec_lo, exec_lo, s1
.LBB1293_310:
	v_cmp_ne_u32_e32 vcc_lo, 1, v65
	s_cbranch_vccnz .LBB1293_317
; %bb.311:
	v_mul_lo_u32 v61, v2, s8
	v_mul_lo_u32 v62, v1, s9
	v_mad_u64_u32 v[59:60], null, v1, s8, 0
	v_mov_b32_e32 v165, 1
	v_mov_b32_e32 v166, 0
	s_mov_b32 s1, exec_lo
	s_delay_alu instid0(VALU_DEP_3) | instskip(NEXT) | instid1(VALU_DEP_1)
	v_add3_u32 v60, v60, v62, v61
	v_lshlrev_b64 v[61:62], 1, v[59:60]
	v_add_co_u32 v59, vcc_lo, s10, v57
	v_add_co_ci_u32_e32 v60, vcc_lo, s11, v58, vcc_lo
	s_delay_alu instid0(VALU_DEP_3) | instskip(NEXT) | instid1(VALU_DEP_4)
	v_add_co_u32 v57, vcc_lo, s10, v61
	v_add_co_ci_u32_e32 v58, vcc_lo, s11, v62, vcc_lo
	s_clause 0x1
	global_load_u16 v61, v[59:60], off
	global_load_u16 v62, v[57:58], off
	s_waitcnt vmcnt(0)
	v_cmpx_eq_f16_e32 v61, v62
	s_cbranch_execz .LBB1293_319
; %bb.312:
	v_add_co_u32 v57, vcc_lo, v57, 2
	v_add_co_ci_u32_e32 v58, vcc_lo, 0, v58, vcc_lo
	v_add_co_u32 v59, vcc_lo, v59, 2
	v_add_co_ci_u32_e32 v60, vcc_lo, 0, v60, vcc_lo
	s_add_u32 s14, s8, -1
	s_addc_u32 s15, s9, -1
	s_mov_b64 s[22:23], 0
	s_mov_b32 s3, 0
                                        ; implicit-def: $sgpr21
	s_set_inst_prefetch_distance 0x1
	s_branch .LBB1293_315
	.p2align	6
.LBB1293_313:                           ;   in Loop: Header=BB1293_315 Depth=1
	global_load_u16 v61, v[59:60], off
	global_load_u16 v62, v[57:58], off
	v_add_co_u32 v57, vcc_lo, v57, 2
	v_add_co_ci_u32_e32 v58, vcc_lo, 0, v58, vcc_lo
	v_add_co_u32 v59, s0, v59, 2
	s_delay_alu instid0(VALU_DEP_1)
	v_add_co_ci_u32_e64 v60, s0, 0, v60, s0
	s_add_u32 s22, s22, 1
	s_addc_u32 s23, s23, 0
	s_and_not1_b32 s0, s21, exec_lo
	s_waitcnt vmcnt(0)
	v_cmp_neq_f16_e32 vcc_lo, v61, v62
	s_and_b32 s21, vcc_lo, exec_lo
	s_delay_alu instid0(SALU_CYCLE_1)
	s_or_b32 s21, s0, s21
.LBB1293_314:                           ;   in Loop: Header=BB1293_315 Depth=1
	v_dual_mov_b32 v62, s23 :: v_dual_mov_b32 v61, s22
	s_and_b32 s0, exec_lo, s21
	s_delay_alu instid0(SALU_CYCLE_1) | instskip(NEXT) | instid1(SALU_CYCLE_1)
	s_or_b32 s3, s0, s3
	s_and_not1_b32 exec_lo, exec_lo, s3
	s_cbranch_execz .LBB1293_318
.LBB1293_315:                           ; =>This Inner Loop Header: Depth=1
	s_or_b32 s21, s21, exec_lo
	s_cmp_eq_u64 s[14:15], s[22:23]
	s_cbranch_scc0 .LBB1293_313
; %bb.316:                              ;   in Loop: Header=BB1293_315 Depth=1
	s_mov_b64 s[22:23], s[8:9]
                                        ; implicit-def: $vgpr57_vgpr58
                                        ; implicit-def: $vgpr59_vgpr60
	s_branch .LBB1293_314
.LBB1293_317:
	v_mov_b32_e32 v165, 0
	v_mov_b32_e32 v166, 0
	s_branch .LBB1293_320
.LBB1293_318:
	s_set_inst_prefetch_distance 0x2
	s_or_b32 exec_lo, exec_lo, s3
	v_cmp_gt_i64_e32 vcc_lo, s[8:9], v[61:62]
	s_mov_b32 s0, 0
	s_delay_alu instid0(SALU_CYCLE_1)
	v_mov_b32_e32 v166, s0
	v_cndmask_b32_e64 v165, 0, 1, vcc_lo
.LBB1293_319:
	s_or_b32 exec_lo, exec_lo, s1
.LBB1293_320:
	s_waitcnt lgkmcnt(0)
	v_dual_mov_b32 v58, s13 :: v_dual_mov_b32 v57, s12
	s_mov_b32 s0, 0
	s_mov_b32 s1, exec_lo
	s_barrier
	buffer_gl0_inv
	v_cmpx_ne_u32_e32 0, v0
	s_cbranch_execz .LBB1293_322
; %bb.321:
	v_add_nc_u32_e32 v57, -8, v195
	ds_load_b64 v[57:58], v57
.LBB1293_322:
	s_or_b32 exec_lo, exec_lo, s1
	v_cmp_ne_u32_e32 vcc_lo, 1, v65
	s_cbranch_vccnz .LBB1293_331
; %bb.323:
	v_mul_lo_u32 v63, v2, s8
	v_mul_lo_u32 v64, v1, s9
	v_mad_u64_u32 v[59:60], null, v1, s8, 0
	s_waitcnt lgkmcnt(0)
	v_mul_lo_u32 v58, v58, s8
	v_mul_lo_u32 v65, v57, s9
	v_mad_u64_u32 v[61:62], null, v57, s8, 0
	s_mov_b32 s0, -1
	s_mov_b32 s1, exec_lo
	s_delay_alu instid0(VALU_DEP_4) | instskip(NEXT) | instid1(VALU_DEP_2)
	v_add3_u32 v60, v60, v64, v63
	v_add3_u32 v62, v62, v65, v58
	s_delay_alu instid0(VALU_DEP_2) | instskip(NEXT) | instid1(VALU_DEP_2)
	v_lshlrev_b64 v[57:58], 1, v[59:60]
	v_lshlrev_b64 v[61:62], 1, v[61:62]
	s_delay_alu instid0(VALU_DEP_2) | instskip(NEXT) | instid1(VALU_DEP_3)
	v_add_co_u32 v59, vcc_lo, s10, v57
	v_add_co_ci_u32_e32 v60, vcc_lo, s11, v58, vcc_lo
	s_delay_alu instid0(VALU_DEP_3) | instskip(NEXT) | instid1(VALU_DEP_4)
	v_add_co_u32 v57, vcc_lo, s10, v61
	v_add_co_ci_u32_e32 v58, vcc_lo, s11, v62, vcc_lo
	s_clause 0x1
	global_load_u16 v61, v[59:60], off
	global_load_u16 v62, v[57:58], off
	s_waitcnt vmcnt(0)
	v_cmpx_eq_f16_e32 v61, v62
	s_cbranch_execz .LBB1293_330
; %bb.324:
	v_add_co_u32 v57, vcc_lo, v57, 2
	v_add_co_ci_u32_e32 v58, vcc_lo, 0, v58, vcc_lo
	v_add_co_u32 v59, vcc_lo, v59, 2
	v_add_co_ci_u32_e32 v60, vcc_lo, 0, v60, vcc_lo
	s_add_u32 s14, s8, -1
	s_addc_u32 s15, s9, -1
	s_mov_b64 s[22:23], 0
	s_mov_b32 s3, 0
                                        ; implicit-def: $sgpr21
	s_set_inst_prefetch_distance 0x1
	s_branch .LBB1293_327
	.p2align	6
.LBB1293_325:                           ;   in Loop: Header=BB1293_327 Depth=1
	global_load_u16 v61, v[59:60], off
	global_load_u16 v62, v[57:58], off
	v_add_co_u32 v57, vcc_lo, v57, 2
	v_add_co_ci_u32_e32 v58, vcc_lo, 0, v58, vcc_lo
	v_add_co_u32 v59, s0, v59, 2
	s_delay_alu instid0(VALU_DEP_1)
	v_add_co_ci_u32_e64 v60, s0, 0, v60, s0
	s_add_u32 s22, s22, 1
	s_addc_u32 s23, s23, 0
	s_and_not1_b32 s0, s21, exec_lo
	s_waitcnt vmcnt(0)
	v_cmp_neq_f16_e32 vcc_lo, v61, v62
	s_and_b32 s21, vcc_lo, exec_lo
	s_delay_alu instid0(SALU_CYCLE_1)
	s_or_b32 s21, s0, s21
.LBB1293_326:                           ;   in Loop: Header=BB1293_327 Depth=1
	v_dual_mov_b32 v62, s23 :: v_dual_mov_b32 v61, s22
	s_and_b32 s0, exec_lo, s21
	s_delay_alu instid0(SALU_CYCLE_1) | instskip(NEXT) | instid1(SALU_CYCLE_1)
	s_or_b32 s3, s0, s3
	s_and_not1_b32 exec_lo, exec_lo, s3
	s_cbranch_execz .LBB1293_329
.LBB1293_327:                           ; =>This Inner Loop Header: Depth=1
	s_or_b32 s21, s21, exec_lo
	s_cmp_eq_u64 s[14:15], s[22:23]
	s_cbranch_scc0 .LBB1293_325
; %bb.328:                              ;   in Loop: Header=BB1293_327 Depth=1
	s_mov_b64 s[22:23], s[8:9]
                                        ; implicit-def: $vgpr57_vgpr58
                                        ; implicit-def: $vgpr59_vgpr60
	s_branch .LBB1293_326
.LBB1293_329:
	s_set_inst_prefetch_distance 0x2
	s_or_b32 exec_lo, exec_lo, s3
	v_cmp_gt_i64_e32 vcc_lo, s[8:9], v[61:62]
	s_or_not1_b32 s0, vcc_lo, exec_lo
.LBB1293_330:
	s_or_b32 exec_lo, exec_lo, s1
.LBB1293_331:
	s_mov_b32 s1, -1
	s_branch .LBB1293_73
.LBB1293_332:
	v_cmp_gt_i64_e64 s0, s[8:9], 0
	s_waitcnt lgkmcnt(0)
	v_mad_u32_u24 v57, v0, 29, 28
	v_mul_u32_u24_e32 v64, 29, v0
	v_dual_mov_b32 v112, v110 :: v_dual_mov_b32 v111, v109
	s_mul_i32 s3, s20, 0xfffff180
	v_cndmask_b32_e64 v63, 0, 1, s0
	s_add_i32 s3, s3, s6
	s_mov_b32 s22, exec_lo
	ds_store_b64 v195, v[109:110]
	v_cmpx_gt_u32_e64 s3, v57
	s_cbranch_execz .LBB1293_343
; %bb.333:
	s_and_not1_b32 vcc_lo, exec_lo, s0
	s_cbranch_vccnz .LBB1293_340
; %bb.334:
	v_mul_lo_u32 v61, v110, s8
	v_mul_lo_u32 v62, v109, s9
	v_mad_u64_u32 v[57:58], null, v109, s8, 0
	v_mul_lo_u32 v65, v8, s8
	v_mul_lo_u32 v66, v7, s9
	v_mad_u64_u32 v[59:60], null, v7, s8, 0
	v_mov_b32_e32 v111, 1
	v_mov_b32_e32 v112, 0
	v_add3_u32 v58, v58, v62, v61
	s_mov_b32 s23, exec_lo
	s_delay_alu instid0(VALU_DEP_4) | instskip(NEXT) | instid1(VALU_DEP_2)
	v_add3_u32 v60, v60, v66, v65
	v_lshlrev_b64 v[57:58], 1, v[57:58]
	s_delay_alu instid0(VALU_DEP_2) | instskip(NEXT) | instid1(VALU_DEP_2)
	v_lshlrev_b64 v[61:62], 1, v[59:60]
	v_add_co_u32 v59, vcc_lo, s10, v57
	s_delay_alu instid0(VALU_DEP_3) | instskip(NEXT) | instid1(VALU_DEP_3)
	v_add_co_ci_u32_e32 v60, vcc_lo, s11, v58, vcc_lo
	v_add_co_u32 v57, vcc_lo, s10, v61
	s_delay_alu instid0(VALU_DEP_4)
	v_add_co_ci_u32_e32 v58, vcc_lo, s11, v62, vcc_lo
	s_clause 0x1
	global_load_u16 v61, v[59:60], off
	global_load_u16 v62, v[57:58], off
	s_waitcnt vmcnt(0)
	v_cmpx_eq_f16_e32 v61, v62
	s_cbranch_execz .LBB1293_342
; %bb.335:
	v_add_co_u32 v57, vcc_lo, v57, 2
	v_add_co_ci_u32_e32 v58, vcc_lo, 0, v58, vcc_lo
	v_add_co_u32 v59, vcc_lo, v59, 2
	v_add_co_ci_u32_e32 v60, vcc_lo, 0, v60, vcc_lo
	s_add_u32 s14, s8, -1
	s_addc_u32 s15, s9, -1
	s_mov_b64 s[20:21], 0
	s_mov_b32 s24, 0
                                        ; implicit-def: $sgpr25
	s_set_inst_prefetch_distance 0x1
	s_branch .LBB1293_338
	.p2align	6
.LBB1293_336:                           ;   in Loop: Header=BB1293_338 Depth=1
	global_load_u16 v61, v[59:60], off
	global_load_u16 v62, v[57:58], off
	v_add_co_u32 v57, vcc_lo, v57, 2
	v_add_co_ci_u32_e32 v58, vcc_lo, 0, v58, vcc_lo
	v_add_co_u32 v59, s0, v59, 2
	s_delay_alu instid0(VALU_DEP_1)
	v_add_co_ci_u32_e64 v60, s0, 0, v60, s0
	s_add_u32 s20, s20, 1
	s_addc_u32 s21, s21, 0
	s_and_not1_b32 s0, s25, exec_lo
	s_waitcnt vmcnt(0)
	v_cmp_neq_f16_e32 vcc_lo, v61, v62
	s_and_b32 s25, vcc_lo, exec_lo
	s_delay_alu instid0(SALU_CYCLE_1)
	s_or_b32 s25, s0, s25
.LBB1293_337:                           ;   in Loop: Header=BB1293_338 Depth=1
	v_dual_mov_b32 v62, s21 :: v_dual_mov_b32 v61, s20
	s_and_b32 s0, exec_lo, s25
	s_delay_alu instid0(SALU_CYCLE_1) | instskip(NEXT) | instid1(SALU_CYCLE_1)
	s_or_b32 s24, s0, s24
	s_and_not1_b32 exec_lo, exec_lo, s24
	s_cbranch_execz .LBB1293_341
.LBB1293_338:                           ; =>This Inner Loop Header: Depth=1
	s_or_b32 s25, s25, exec_lo
	s_cmp_eq_u64 s[14:15], s[20:21]
	s_cbranch_scc0 .LBB1293_336
; %bb.339:                              ;   in Loop: Header=BB1293_338 Depth=1
	s_mov_b64 s[20:21], s[8:9]
                                        ; implicit-def: $vgpr57_vgpr58
                                        ; implicit-def: $vgpr59_vgpr60
	s_branch .LBB1293_337
.LBB1293_340:
	v_mov_b32_e32 v111, 0
	v_mov_b32_e32 v112, 0
	s_branch .LBB1293_343
.LBB1293_341:
	s_set_inst_prefetch_distance 0x2
	s_or_b32 exec_lo, exec_lo, s24
	v_cmp_gt_i64_e32 vcc_lo, s[8:9], v[61:62]
	s_mov_b32 s0, 0
	s_delay_alu instid0(SALU_CYCLE_1)
	v_mov_b32_e32 v112, s0
	v_cndmask_b32_e64 v111, 0, 1, vcc_lo
.LBB1293_342:
	s_or_b32 exec_lo, exec_lo, s23
.LBB1293_343:
	s_delay_alu instid0(SALU_CYCLE_1) | instskip(SKIP_3) | instid1(VALU_DEP_2)
	s_or_b32 exec_lo, exec_lo, s22
	v_dual_mov_b32 v116, v8 :: v_dual_add_nc_u32 v57, 27, v64
	v_mov_b32_e32 v115, v7
	s_mov_b32 s22, exec_lo
	v_cmpx_gt_u32_e64 s3, v57
	s_cbranch_execz .LBB1293_354
; %bb.344:
	v_cmp_ne_u32_e32 vcc_lo, 1, v63
	s_cbranch_vccnz .LBB1293_351
; %bb.345:
	v_mul_lo_u32 v61, v8, s8
	v_mul_lo_u32 v62, v7, s9
	v_mad_u64_u32 v[57:58], null, v7, s8, 0
	v_mul_lo_u32 v65, v6, s8
	v_mul_lo_u32 v66, v5, s9
	v_mad_u64_u32 v[59:60], null, v5, s8, 0
	v_mov_b32_e32 v115, 1
	v_mov_b32_e32 v116, 0
	v_add3_u32 v58, v58, v62, v61
	s_mov_b32 s23, exec_lo
	s_delay_alu instid0(VALU_DEP_4) | instskip(NEXT) | instid1(VALU_DEP_2)
	v_add3_u32 v60, v60, v66, v65
	v_lshlrev_b64 v[57:58], 1, v[57:58]
	s_delay_alu instid0(VALU_DEP_2) | instskip(NEXT) | instid1(VALU_DEP_2)
	v_lshlrev_b64 v[61:62], 1, v[59:60]
	v_add_co_u32 v59, vcc_lo, s10, v57
	s_delay_alu instid0(VALU_DEP_3) | instskip(NEXT) | instid1(VALU_DEP_3)
	v_add_co_ci_u32_e32 v60, vcc_lo, s11, v58, vcc_lo
	v_add_co_u32 v57, vcc_lo, s10, v61
	s_delay_alu instid0(VALU_DEP_4)
	v_add_co_ci_u32_e32 v58, vcc_lo, s11, v62, vcc_lo
	s_clause 0x1
	global_load_u16 v61, v[59:60], off
	global_load_u16 v62, v[57:58], off
	s_waitcnt vmcnt(0)
	v_cmpx_eq_f16_e32 v61, v62
	s_cbranch_execz .LBB1293_353
; %bb.346:
	v_add_co_u32 v57, vcc_lo, v57, 2
	v_add_co_ci_u32_e32 v58, vcc_lo, 0, v58, vcc_lo
	v_add_co_u32 v59, vcc_lo, v59, 2
	v_add_co_ci_u32_e32 v60, vcc_lo, 0, v60, vcc_lo
	s_add_u32 s14, s8, -1
	s_addc_u32 s15, s9, -1
	s_mov_b64 s[20:21], 0
	s_mov_b32 s24, 0
                                        ; implicit-def: $sgpr25
	s_set_inst_prefetch_distance 0x1
	s_branch .LBB1293_349
	.p2align	6
.LBB1293_347:                           ;   in Loop: Header=BB1293_349 Depth=1
	global_load_u16 v61, v[59:60], off
	global_load_u16 v62, v[57:58], off
	v_add_co_u32 v57, vcc_lo, v57, 2
	v_add_co_ci_u32_e32 v58, vcc_lo, 0, v58, vcc_lo
	v_add_co_u32 v59, s0, v59, 2
	s_delay_alu instid0(VALU_DEP_1)
	v_add_co_ci_u32_e64 v60, s0, 0, v60, s0
	s_add_u32 s20, s20, 1
	s_addc_u32 s21, s21, 0
	s_and_not1_b32 s0, s25, exec_lo
	s_waitcnt vmcnt(0)
	v_cmp_neq_f16_e32 vcc_lo, v61, v62
	s_and_b32 s25, vcc_lo, exec_lo
	s_delay_alu instid0(SALU_CYCLE_1)
	s_or_b32 s25, s0, s25
.LBB1293_348:                           ;   in Loop: Header=BB1293_349 Depth=1
	v_dual_mov_b32 v62, s21 :: v_dual_mov_b32 v61, s20
	s_and_b32 s0, exec_lo, s25
	s_delay_alu instid0(SALU_CYCLE_1) | instskip(NEXT) | instid1(SALU_CYCLE_1)
	s_or_b32 s24, s0, s24
	s_and_not1_b32 exec_lo, exec_lo, s24
	s_cbranch_execz .LBB1293_352
.LBB1293_349:                           ; =>This Inner Loop Header: Depth=1
	s_or_b32 s25, s25, exec_lo
	s_cmp_eq_u64 s[14:15], s[20:21]
	s_cbranch_scc0 .LBB1293_347
; %bb.350:                              ;   in Loop: Header=BB1293_349 Depth=1
	s_mov_b64 s[20:21], s[8:9]
                                        ; implicit-def: $vgpr57_vgpr58
                                        ; implicit-def: $vgpr59_vgpr60
	s_branch .LBB1293_348
.LBB1293_351:
	v_mov_b32_e32 v115, 0
	v_mov_b32_e32 v116, 0
	s_branch .LBB1293_354
.LBB1293_352:
	s_set_inst_prefetch_distance 0x2
	s_or_b32 exec_lo, exec_lo, s24
	v_cmp_gt_i64_e32 vcc_lo, s[8:9], v[61:62]
	s_mov_b32 s0, 0
	s_delay_alu instid0(SALU_CYCLE_1)
	v_mov_b32_e32 v116, s0
	v_cndmask_b32_e64 v115, 0, 1, vcc_lo
.LBB1293_353:
	s_or_b32 exec_lo, exec_lo, s23
.LBB1293_354:
	s_delay_alu instid0(SALU_CYCLE_1) | instskip(SKIP_3) | instid1(VALU_DEP_2)
	s_or_b32 exec_lo, exec_lo, s22
	v_dual_mov_b32 v114, v6 :: v_dual_add_nc_u32 v57, 26, v64
	v_mov_b32_e32 v113, v5
	s_mov_b32 s22, exec_lo
	v_cmpx_gt_u32_e64 s3, v57
	s_cbranch_execz .LBB1293_365
; %bb.355:
	v_cmp_ne_u32_e32 vcc_lo, 1, v63
	s_cbranch_vccnz .LBB1293_362
; %bb.356:
	v_mul_lo_u32 v61, v6, s8
	v_mul_lo_u32 v62, v5, s9
	v_mad_u64_u32 v[57:58], null, v5, s8, 0
	v_mul_lo_u32 v65, v12, s8
	v_mul_lo_u32 v66, v11, s9
	v_mad_u64_u32 v[59:60], null, v11, s8, 0
	v_mov_b32_e32 v113, 1
	v_mov_b32_e32 v114, 0
	v_add3_u32 v58, v58, v62, v61
	s_mov_b32 s23, exec_lo
	s_delay_alu instid0(VALU_DEP_4) | instskip(NEXT) | instid1(VALU_DEP_2)
	v_add3_u32 v60, v60, v66, v65
	v_lshlrev_b64 v[57:58], 1, v[57:58]
	s_delay_alu instid0(VALU_DEP_2) | instskip(NEXT) | instid1(VALU_DEP_2)
	v_lshlrev_b64 v[61:62], 1, v[59:60]
	v_add_co_u32 v59, vcc_lo, s10, v57
	s_delay_alu instid0(VALU_DEP_3) | instskip(NEXT) | instid1(VALU_DEP_3)
	v_add_co_ci_u32_e32 v60, vcc_lo, s11, v58, vcc_lo
	v_add_co_u32 v57, vcc_lo, s10, v61
	s_delay_alu instid0(VALU_DEP_4)
	v_add_co_ci_u32_e32 v58, vcc_lo, s11, v62, vcc_lo
	s_clause 0x1
	global_load_u16 v61, v[59:60], off
	global_load_u16 v62, v[57:58], off
	s_waitcnt vmcnt(0)
	v_cmpx_eq_f16_e32 v61, v62
	s_cbranch_execz .LBB1293_364
; %bb.357:
	v_add_co_u32 v57, vcc_lo, v57, 2
	v_add_co_ci_u32_e32 v58, vcc_lo, 0, v58, vcc_lo
	v_add_co_u32 v59, vcc_lo, v59, 2
	v_add_co_ci_u32_e32 v60, vcc_lo, 0, v60, vcc_lo
	s_add_u32 s14, s8, -1
	s_addc_u32 s15, s9, -1
	s_mov_b64 s[20:21], 0
	s_mov_b32 s24, 0
                                        ; implicit-def: $sgpr25
	s_set_inst_prefetch_distance 0x1
	s_branch .LBB1293_360
	.p2align	6
.LBB1293_358:                           ;   in Loop: Header=BB1293_360 Depth=1
	global_load_u16 v61, v[59:60], off
	global_load_u16 v62, v[57:58], off
	v_add_co_u32 v57, vcc_lo, v57, 2
	v_add_co_ci_u32_e32 v58, vcc_lo, 0, v58, vcc_lo
	v_add_co_u32 v59, s0, v59, 2
	s_delay_alu instid0(VALU_DEP_1)
	v_add_co_ci_u32_e64 v60, s0, 0, v60, s0
	s_add_u32 s20, s20, 1
	s_addc_u32 s21, s21, 0
	s_and_not1_b32 s0, s25, exec_lo
	s_waitcnt vmcnt(0)
	v_cmp_neq_f16_e32 vcc_lo, v61, v62
	s_and_b32 s25, vcc_lo, exec_lo
	s_delay_alu instid0(SALU_CYCLE_1)
	s_or_b32 s25, s0, s25
.LBB1293_359:                           ;   in Loop: Header=BB1293_360 Depth=1
	v_dual_mov_b32 v62, s21 :: v_dual_mov_b32 v61, s20
	s_and_b32 s0, exec_lo, s25
	s_delay_alu instid0(SALU_CYCLE_1) | instskip(NEXT) | instid1(SALU_CYCLE_1)
	s_or_b32 s24, s0, s24
	s_and_not1_b32 exec_lo, exec_lo, s24
	s_cbranch_execz .LBB1293_363
.LBB1293_360:                           ; =>This Inner Loop Header: Depth=1
	s_or_b32 s25, s25, exec_lo
	s_cmp_eq_u64 s[14:15], s[20:21]
	s_cbranch_scc0 .LBB1293_358
; %bb.361:                              ;   in Loop: Header=BB1293_360 Depth=1
	s_mov_b64 s[20:21], s[8:9]
                                        ; implicit-def: $vgpr57_vgpr58
                                        ; implicit-def: $vgpr59_vgpr60
	s_branch .LBB1293_359
.LBB1293_362:
	v_mov_b32_e32 v113, 0
	v_mov_b32_e32 v114, 0
	s_branch .LBB1293_365
.LBB1293_363:
	s_set_inst_prefetch_distance 0x2
	s_or_b32 exec_lo, exec_lo, s24
	v_cmp_gt_i64_e32 vcc_lo, s[8:9], v[61:62]
	s_mov_b32 s0, 0
	s_delay_alu instid0(SALU_CYCLE_1)
	v_mov_b32_e32 v114, s0
	v_cndmask_b32_e64 v113, 0, 1, vcc_lo
.LBB1293_364:
	s_or_b32 exec_lo, exec_lo, s23
.LBB1293_365:
	s_delay_alu instid0(SALU_CYCLE_1) | instskip(SKIP_3) | instid1(VALU_DEP_2)
	s_or_b32 exec_lo, exec_lo, s22
	v_dual_mov_b32 v118, v12 :: v_dual_add_nc_u32 v57, 25, v64
	v_mov_b32_e32 v117, v11
	s_mov_b32 s22, exec_lo
	v_cmpx_gt_u32_e64 s3, v57
	s_cbranch_execz .LBB1293_376
; %bb.366:
	v_cmp_ne_u32_e32 vcc_lo, 1, v63
	s_cbranch_vccnz .LBB1293_373
; %bb.367:
	v_mul_lo_u32 v61, v12, s8
	v_mul_lo_u32 v62, v11, s9
	v_mad_u64_u32 v[57:58], null, v11, s8, 0
	v_mul_lo_u32 v65, v10, s8
	v_mul_lo_u32 v66, v9, s9
	v_mad_u64_u32 v[59:60], null, v9, s8, 0
	v_mov_b32_e32 v117, 1
	v_mov_b32_e32 v118, 0
	v_add3_u32 v58, v58, v62, v61
	s_mov_b32 s23, exec_lo
	s_delay_alu instid0(VALU_DEP_4) | instskip(NEXT) | instid1(VALU_DEP_2)
	v_add3_u32 v60, v60, v66, v65
	v_lshlrev_b64 v[57:58], 1, v[57:58]
	s_delay_alu instid0(VALU_DEP_2) | instskip(NEXT) | instid1(VALU_DEP_2)
	v_lshlrev_b64 v[61:62], 1, v[59:60]
	v_add_co_u32 v59, vcc_lo, s10, v57
	s_delay_alu instid0(VALU_DEP_3) | instskip(NEXT) | instid1(VALU_DEP_3)
	v_add_co_ci_u32_e32 v60, vcc_lo, s11, v58, vcc_lo
	v_add_co_u32 v57, vcc_lo, s10, v61
	s_delay_alu instid0(VALU_DEP_4)
	v_add_co_ci_u32_e32 v58, vcc_lo, s11, v62, vcc_lo
	s_clause 0x1
	global_load_u16 v61, v[59:60], off
	global_load_u16 v62, v[57:58], off
	s_waitcnt vmcnt(0)
	v_cmpx_eq_f16_e32 v61, v62
	s_cbranch_execz .LBB1293_375
; %bb.368:
	v_add_co_u32 v57, vcc_lo, v57, 2
	v_add_co_ci_u32_e32 v58, vcc_lo, 0, v58, vcc_lo
	v_add_co_u32 v59, vcc_lo, v59, 2
	v_add_co_ci_u32_e32 v60, vcc_lo, 0, v60, vcc_lo
	s_add_u32 s14, s8, -1
	s_addc_u32 s15, s9, -1
	s_mov_b64 s[20:21], 0
	s_mov_b32 s24, 0
                                        ; implicit-def: $sgpr25
	s_set_inst_prefetch_distance 0x1
	s_branch .LBB1293_371
	.p2align	6
.LBB1293_369:                           ;   in Loop: Header=BB1293_371 Depth=1
	global_load_u16 v61, v[59:60], off
	global_load_u16 v62, v[57:58], off
	v_add_co_u32 v57, vcc_lo, v57, 2
	v_add_co_ci_u32_e32 v58, vcc_lo, 0, v58, vcc_lo
	v_add_co_u32 v59, s0, v59, 2
	s_delay_alu instid0(VALU_DEP_1)
	v_add_co_ci_u32_e64 v60, s0, 0, v60, s0
	s_add_u32 s20, s20, 1
	s_addc_u32 s21, s21, 0
	s_and_not1_b32 s0, s25, exec_lo
	s_waitcnt vmcnt(0)
	v_cmp_neq_f16_e32 vcc_lo, v61, v62
	s_and_b32 s25, vcc_lo, exec_lo
	s_delay_alu instid0(SALU_CYCLE_1)
	s_or_b32 s25, s0, s25
.LBB1293_370:                           ;   in Loop: Header=BB1293_371 Depth=1
	v_dual_mov_b32 v62, s21 :: v_dual_mov_b32 v61, s20
	s_and_b32 s0, exec_lo, s25
	s_delay_alu instid0(SALU_CYCLE_1) | instskip(NEXT) | instid1(SALU_CYCLE_1)
	s_or_b32 s24, s0, s24
	s_and_not1_b32 exec_lo, exec_lo, s24
	s_cbranch_execz .LBB1293_374
.LBB1293_371:                           ; =>This Inner Loop Header: Depth=1
	s_or_b32 s25, s25, exec_lo
	s_cmp_eq_u64 s[14:15], s[20:21]
	s_cbranch_scc0 .LBB1293_369
; %bb.372:                              ;   in Loop: Header=BB1293_371 Depth=1
	s_mov_b64 s[20:21], s[8:9]
                                        ; implicit-def: $vgpr57_vgpr58
                                        ; implicit-def: $vgpr59_vgpr60
	s_branch .LBB1293_370
.LBB1293_373:
	v_mov_b32_e32 v117, 0
	v_mov_b32_e32 v118, 0
	s_branch .LBB1293_376
.LBB1293_374:
	s_set_inst_prefetch_distance 0x2
	s_or_b32 exec_lo, exec_lo, s24
	v_cmp_gt_i64_e32 vcc_lo, s[8:9], v[61:62]
	s_mov_b32 s0, 0
	s_delay_alu instid0(SALU_CYCLE_1)
	v_mov_b32_e32 v118, s0
	v_cndmask_b32_e64 v117, 0, 1, vcc_lo
.LBB1293_375:
	s_or_b32 exec_lo, exec_lo, s23
.LBB1293_376:
	s_delay_alu instid0(SALU_CYCLE_1) | instskip(SKIP_3) | instid1(VALU_DEP_2)
	s_or_b32 exec_lo, exec_lo, s22
	v_dual_mov_b32 v120, v10 :: v_dual_add_nc_u32 v57, 24, v64
	v_mov_b32_e32 v119, v9
	s_mov_b32 s22, exec_lo
	v_cmpx_gt_u32_e64 s3, v57
	s_cbranch_execz .LBB1293_387
; %bb.377:
	v_cmp_ne_u32_e32 vcc_lo, 1, v63
	s_cbranch_vccnz .LBB1293_384
; %bb.378:
	v_mul_lo_u32 v61, v10, s8
	v_mul_lo_u32 v62, v9, s9
	v_mad_u64_u32 v[57:58], null, v9, s8, 0
	v_mul_lo_u32 v65, v56, s8
	v_mul_lo_u32 v66, v55, s9
	v_mad_u64_u32 v[59:60], null, v55, s8, 0
	v_mov_b32_e32 v119, 1
	v_mov_b32_e32 v120, 0
	v_add3_u32 v58, v58, v62, v61
	s_mov_b32 s23, exec_lo
	s_delay_alu instid0(VALU_DEP_4) | instskip(NEXT) | instid1(VALU_DEP_2)
	v_add3_u32 v60, v60, v66, v65
	v_lshlrev_b64 v[57:58], 1, v[57:58]
	s_delay_alu instid0(VALU_DEP_2) | instskip(NEXT) | instid1(VALU_DEP_2)
	v_lshlrev_b64 v[61:62], 1, v[59:60]
	v_add_co_u32 v59, vcc_lo, s10, v57
	s_delay_alu instid0(VALU_DEP_3) | instskip(NEXT) | instid1(VALU_DEP_3)
	v_add_co_ci_u32_e32 v60, vcc_lo, s11, v58, vcc_lo
	v_add_co_u32 v57, vcc_lo, s10, v61
	s_delay_alu instid0(VALU_DEP_4)
	v_add_co_ci_u32_e32 v58, vcc_lo, s11, v62, vcc_lo
	s_clause 0x1
	global_load_u16 v61, v[59:60], off
	global_load_u16 v62, v[57:58], off
	s_waitcnt vmcnt(0)
	v_cmpx_eq_f16_e32 v61, v62
	s_cbranch_execz .LBB1293_386
; %bb.379:
	v_add_co_u32 v57, vcc_lo, v57, 2
	v_add_co_ci_u32_e32 v58, vcc_lo, 0, v58, vcc_lo
	v_add_co_u32 v59, vcc_lo, v59, 2
	v_add_co_ci_u32_e32 v60, vcc_lo, 0, v60, vcc_lo
	s_add_u32 s14, s8, -1
	s_addc_u32 s15, s9, -1
	s_mov_b64 s[20:21], 0
	s_mov_b32 s24, 0
                                        ; implicit-def: $sgpr25
	s_set_inst_prefetch_distance 0x1
	s_branch .LBB1293_382
	.p2align	6
.LBB1293_380:                           ;   in Loop: Header=BB1293_382 Depth=1
	global_load_u16 v61, v[59:60], off
	global_load_u16 v62, v[57:58], off
	v_add_co_u32 v57, vcc_lo, v57, 2
	v_add_co_ci_u32_e32 v58, vcc_lo, 0, v58, vcc_lo
	v_add_co_u32 v59, s0, v59, 2
	s_delay_alu instid0(VALU_DEP_1)
	v_add_co_ci_u32_e64 v60, s0, 0, v60, s0
	s_add_u32 s20, s20, 1
	s_addc_u32 s21, s21, 0
	s_and_not1_b32 s0, s25, exec_lo
	s_waitcnt vmcnt(0)
	v_cmp_neq_f16_e32 vcc_lo, v61, v62
	s_and_b32 s25, vcc_lo, exec_lo
	s_delay_alu instid0(SALU_CYCLE_1)
	s_or_b32 s25, s0, s25
.LBB1293_381:                           ;   in Loop: Header=BB1293_382 Depth=1
	v_dual_mov_b32 v62, s21 :: v_dual_mov_b32 v61, s20
	s_and_b32 s0, exec_lo, s25
	s_delay_alu instid0(SALU_CYCLE_1) | instskip(NEXT) | instid1(SALU_CYCLE_1)
	s_or_b32 s24, s0, s24
	s_and_not1_b32 exec_lo, exec_lo, s24
	s_cbranch_execz .LBB1293_385
.LBB1293_382:                           ; =>This Inner Loop Header: Depth=1
	s_or_b32 s25, s25, exec_lo
	s_cmp_eq_u64 s[14:15], s[20:21]
	s_cbranch_scc0 .LBB1293_380
; %bb.383:                              ;   in Loop: Header=BB1293_382 Depth=1
	s_mov_b64 s[20:21], s[8:9]
                                        ; implicit-def: $vgpr57_vgpr58
                                        ; implicit-def: $vgpr59_vgpr60
	s_branch .LBB1293_381
.LBB1293_384:
	v_mov_b32_e32 v119, 0
	v_mov_b32_e32 v120, 0
	s_branch .LBB1293_387
.LBB1293_385:
	s_set_inst_prefetch_distance 0x2
	s_or_b32 exec_lo, exec_lo, s24
	v_cmp_gt_i64_e32 vcc_lo, s[8:9], v[61:62]
	s_mov_b32 s0, 0
	s_delay_alu instid0(SALU_CYCLE_1)
	v_mov_b32_e32 v120, s0
	v_cndmask_b32_e64 v119, 0, 1, vcc_lo
.LBB1293_386:
	s_or_b32 exec_lo, exec_lo, s23
.LBB1293_387:
	s_delay_alu instid0(SALU_CYCLE_1) | instskip(SKIP_3) | instid1(VALU_DEP_2)
	s_or_b32 exec_lo, exec_lo, s22
	v_dual_mov_b32 v122, v56 :: v_dual_add_nc_u32 v57, 23, v64
	v_mov_b32_e32 v121, v55
	s_mov_b32 s22, exec_lo
	v_cmpx_gt_u32_e64 s3, v57
	s_cbranch_execz .LBB1293_398
; %bb.388:
	v_cmp_ne_u32_e32 vcc_lo, 1, v63
	s_cbranch_vccnz .LBB1293_395
; %bb.389:
	v_mul_lo_u32 v61, v56, s8
	v_mul_lo_u32 v62, v55, s9
	v_mad_u64_u32 v[57:58], null, v55, s8, 0
	v_mul_lo_u32 v65, v54, s8
	v_mul_lo_u32 v66, v53, s9
	v_mad_u64_u32 v[59:60], null, v53, s8, 0
	v_mov_b32_e32 v121, 1
	v_mov_b32_e32 v122, 0
	v_add3_u32 v58, v58, v62, v61
	s_mov_b32 s23, exec_lo
	s_delay_alu instid0(VALU_DEP_4) | instskip(NEXT) | instid1(VALU_DEP_2)
	v_add3_u32 v60, v60, v66, v65
	v_lshlrev_b64 v[57:58], 1, v[57:58]
	s_delay_alu instid0(VALU_DEP_2) | instskip(NEXT) | instid1(VALU_DEP_2)
	v_lshlrev_b64 v[61:62], 1, v[59:60]
	v_add_co_u32 v59, vcc_lo, s10, v57
	s_delay_alu instid0(VALU_DEP_3) | instskip(NEXT) | instid1(VALU_DEP_3)
	v_add_co_ci_u32_e32 v60, vcc_lo, s11, v58, vcc_lo
	v_add_co_u32 v57, vcc_lo, s10, v61
	s_delay_alu instid0(VALU_DEP_4)
	v_add_co_ci_u32_e32 v58, vcc_lo, s11, v62, vcc_lo
	s_clause 0x1
	global_load_u16 v61, v[59:60], off
	global_load_u16 v62, v[57:58], off
	s_waitcnt vmcnt(0)
	v_cmpx_eq_f16_e32 v61, v62
	s_cbranch_execz .LBB1293_397
; %bb.390:
	v_add_co_u32 v57, vcc_lo, v57, 2
	v_add_co_ci_u32_e32 v58, vcc_lo, 0, v58, vcc_lo
	v_add_co_u32 v59, vcc_lo, v59, 2
	v_add_co_ci_u32_e32 v60, vcc_lo, 0, v60, vcc_lo
	s_add_u32 s14, s8, -1
	s_addc_u32 s15, s9, -1
	s_mov_b64 s[20:21], 0
	s_mov_b32 s24, 0
                                        ; implicit-def: $sgpr25
	s_set_inst_prefetch_distance 0x1
	s_branch .LBB1293_393
	.p2align	6
.LBB1293_391:                           ;   in Loop: Header=BB1293_393 Depth=1
	global_load_u16 v61, v[59:60], off
	global_load_u16 v62, v[57:58], off
	v_add_co_u32 v57, vcc_lo, v57, 2
	v_add_co_ci_u32_e32 v58, vcc_lo, 0, v58, vcc_lo
	v_add_co_u32 v59, s0, v59, 2
	s_delay_alu instid0(VALU_DEP_1)
	v_add_co_ci_u32_e64 v60, s0, 0, v60, s0
	s_add_u32 s20, s20, 1
	s_addc_u32 s21, s21, 0
	s_and_not1_b32 s0, s25, exec_lo
	s_waitcnt vmcnt(0)
	v_cmp_neq_f16_e32 vcc_lo, v61, v62
	s_and_b32 s25, vcc_lo, exec_lo
	s_delay_alu instid0(SALU_CYCLE_1)
	s_or_b32 s25, s0, s25
.LBB1293_392:                           ;   in Loop: Header=BB1293_393 Depth=1
	v_dual_mov_b32 v62, s21 :: v_dual_mov_b32 v61, s20
	s_and_b32 s0, exec_lo, s25
	s_delay_alu instid0(SALU_CYCLE_1) | instskip(NEXT) | instid1(SALU_CYCLE_1)
	s_or_b32 s24, s0, s24
	s_and_not1_b32 exec_lo, exec_lo, s24
	s_cbranch_execz .LBB1293_396
.LBB1293_393:                           ; =>This Inner Loop Header: Depth=1
	s_or_b32 s25, s25, exec_lo
	s_cmp_eq_u64 s[14:15], s[20:21]
	s_cbranch_scc0 .LBB1293_391
; %bb.394:                              ;   in Loop: Header=BB1293_393 Depth=1
	s_mov_b64 s[20:21], s[8:9]
                                        ; implicit-def: $vgpr57_vgpr58
                                        ; implicit-def: $vgpr59_vgpr60
	s_branch .LBB1293_392
.LBB1293_395:
	v_mov_b32_e32 v121, 0
	v_mov_b32_e32 v122, 0
	s_branch .LBB1293_398
.LBB1293_396:
	s_set_inst_prefetch_distance 0x2
	s_or_b32 exec_lo, exec_lo, s24
	v_cmp_gt_i64_e32 vcc_lo, s[8:9], v[61:62]
	s_mov_b32 s0, 0
	s_delay_alu instid0(SALU_CYCLE_1)
	v_mov_b32_e32 v122, s0
	v_cndmask_b32_e64 v121, 0, 1, vcc_lo
.LBB1293_397:
	s_or_b32 exec_lo, exec_lo, s23
.LBB1293_398:
	s_delay_alu instid0(SALU_CYCLE_1) | instskip(SKIP_3) | instid1(VALU_DEP_2)
	s_or_b32 exec_lo, exec_lo, s22
	v_dual_mov_b32 v124, v54 :: v_dual_add_nc_u32 v57, 22, v64
	v_mov_b32_e32 v123, v53
	s_mov_b32 s22, exec_lo
	v_cmpx_gt_u32_e64 s3, v57
	s_cbranch_execz .LBB1293_409
; %bb.399:
	v_cmp_ne_u32_e32 vcc_lo, 1, v63
	s_cbranch_vccnz .LBB1293_406
; %bb.400:
	v_mul_lo_u32 v61, v54, s8
	v_mul_lo_u32 v62, v53, s9
	v_mad_u64_u32 v[57:58], null, v53, s8, 0
	v_mul_lo_u32 v65, v52, s8
	v_mul_lo_u32 v66, v51, s9
	v_mad_u64_u32 v[59:60], null, v51, s8, 0
	v_mov_b32_e32 v123, 1
	v_mov_b32_e32 v124, 0
	v_add3_u32 v58, v58, v62, v61
	s_mov_b32 s23, exec_lo
	s_delay_alu instid0(VALU_DEP_4) | instskip(NEXT) | instid1(VALU_DEP_2)
	v_add3_u32 v60, v60, v66, v65
	v_lshlrev_b64 v[57:58], 1, v[57:58]
	s_delay_alu instid0(VALU_DEP_2) | instskip(NEXT) | instid1(VALU_DEP_2)
	v_lshlrev_b64 v[61:62], 1, v[59:60]
	v_add_co_u32 v59, vcc_lo, s10, v57
	s_delay_alu instid0(VALU_DEP_3) | instskip(NEXT) | instid1(VALU_DEP_3)
	v_add_co_ci_u32_e32 v60, vcc_lo, s11, v58, vcc_lo
	v_add_co_u32 v57, vcc_lo, s10, v61
	s_delay_alu instid0(VALU_DEP_4)
	v_add_co_ci_u32_e32 v58, vcc_lo, s11, v62, vcc_lo
	s_clause 0x1
	global_load_u16 v61, v[59:60], off
	global_load_u16 v62, v[57:58], off
	s_waitcnt vmcnt(0)
	v_cmpx_eq_f16_e32 v61, v62
	s_cbranch_execz .LBB1293_408
; %bb.401:
	v_add_co_u32 v57, vcc_lo, v57, 2
	v_add_co_ci_u32_e32 v58, vcc_lo, 0, v58, vcc_lo
	v_add_co_u32 v59, vcc_lo, v59, 2
	v_add_co_ci_u32_e32 v60, vcc_lo, 0, v60, vcc_lo
	s_add_u32 s14, s8, -1
	s_addc_u32 s15, s9, -1
	s_mov_b64 s[20:21], 0
	s_mov_b32 s24, 0
                                        ; implicit-def: $sgpr25
	s_set_inst_prefetch_distance 0x1
	s_branch .LBB1293_404
	.p2align	6
.LBB1293_402:                           ;   in Loop: Header=BB1293_404 Depth=1
	global_load_u16 v61, v[59:60], off
	global_load_u16 v62, v[57:58], off
	v_add_co_u32 v57, vcc_lo, v57, 2
	v_add_co_ci_u32_e32 v58, vcc_lo, 0, v58, vcc_lo
	v_add_co_u32 v59, s0, v59, 2
	s_delay_alu instid0(VALU_DEP_1)
	v_add_co_ci_u32_e64 v60, s0, 0, v60, s0
	s_add_u32 s20, s20, 1
	s_addc_u32 s21, s21, 0
	s_and_not1_b32 s0, s25, exec_lo
	s_waitcnt vmcnt(0)
	v_cmp_neq_f16_e32 vcc_lo, v61, v62
	s_and_b32 s25, vcc_lo, exec_lo
	s_delay_alu instid0(SALU_CYCLE_1)
	s_or_b32 s25, s0, s25
.LBB1293_403:                           ;   in Loop: Header=BB1293_404 Depth=1
	v_dual_mov_b32 v62, s21 :: v_dual_mov_b32 v61, s20
	s_and_b32 s0, exec_lo, s25
	s_delay_alu instid0(SALU_CYCLE_1) | instskip(NEXT) | instid1(SALU_CYCLE_1)
	s_or_b32 s24, s0, s24
	s_and_not1_b32 exec_lo, exec_lo, s24
	s_cbranch_execz .LBB1293_407
.LBB1293_404:                           ; =>This Inner Loop Header: Depth=1
	s_or_b32 s25, s25, exec_lo
	s_cmp_eq_u64 s[14:15], s[20:21]
	s_cbranch_scc0 .LBB1293_402
; %bb.405:                              ;   in Loop: Header=BB1293_404 Depth=1
	s_mov_b64 s[20:21], s[8:9]
                                        ; implicit-def: $vgpr57_vgpr58
                                        ; implicit-def: $vgpr59_vgpr60
	s_branch .LBB1293_403
.LBB1293_406:
	v_mov_b32_e32 v123, 0
	v_mov_b32_e32 v124, 0
	s_branch .LBB1293_409
.LBB1293_407:
	s_set_inst_prefetch_distance 0x2
	s_or_b32 exec_lo, exec_lo, s24
	v_cmp_gt_i64_e32 vcc_lo, s[8:9], v[61:62]
	s_mov_b32 s0, 0
	s_delay_alu instid0(SALU_CYCLE_1)
	v_mov_b32_e32 v124, s0
	v_cndmask_b32_e64 v123, 0, 1, vcc_lo
.LBB1293_408:
	s_or_b32 exec_lo, exec_lo, s23
.LBB1293_409:
	s_delay_alu instid0(SALU_CYCLE_1) | instskip(SKIP_3) | instid1(VALU_DEP_2)
	s_or_b32 exec_lo, exec_lo, s22
	v_dual_mov_b32 v126, v52 :: v_dual_add_nc_u32 v57, 21, v64
	v_mov_b32_e32 v125, v51
	s_mov_b32 s22, exec_lo
	v_cmpx_gt_u32_e64 s3, v57
	s_cbranch_execz .LBB1293_420
; %bb.410:
	v_cmp_ne_u32_e32 vcc_lo, 1, v63
	s_cbranch_vccnz .LBB1293_417
; %bb.411:
	v_mul_lo_u32 v61, v52, s8
	v_mul_lo_u32 v62, v51, s9
	v_mad_u64_u32 v[57:58], null, v51, s8, 0
	v_mul_lo_u32 v65, v50, s8
	v_mul_lo_u32 v66, v49, s9
	v_mad_u64_u32 v[59:60], null, v49, s8, 0
	v_mov_b32_e32 v125, 1
	v_mov_b32_e32 v126, 0
	v_add3_u32 v58, v58, v62, v61
	s_mov_b32 s23, exec_lo
	s_delay_alu instid0(VALU_DEP_4) | instskip(NEXT) | instid1(VALU_DEP_2)
	v_add3_u32 v60, v60, v66, v65
	v_lshlrev_b64 v[57:58], 1, v[57:58]
	s_delay_alu instid0(VALU_DEP_2) | instskip(NEXT) | instid1(VALU_DEP_2)
	v_lshlrev_b64 v[61:62], 1, v[59:60]
	v_add_co_u32 v59, vcc_lo, s10, v57
	s_delay_alu instid0(VALU_DEP_3) | instskip(NEXT) | instid1(VALU_DEP_3)
	v_add_co_ci_u32_e32 v60, vcc_lo, s11, v58, vcc_lo
	v_add_co_u32 v57, vcc_lo, s10, v61
	s_delay_alu instid0(VALU_DEP_4)
	v_add_co_ci_u32_e32 v58, vcc_lo, s11, v62, vcc_lo
	s_clause 0x1
	global_load_u16 v61, v[59:60], off
	global_load_u16 v62, v[57:58], off
	s_waitcnt vmcnt(0)
	v_cmpx_eq_f16_e32 v61, v62
	s_cbranch_execz .LBB1293_419
; %bb.412:
	v_add_co_u32 v57, vcc_lo, v57, 2
	v_add_co_ci_u32_e32 v58, vcc_lo, 0, v58, vcc_lo
	v_add_co_u32 v59, vcc_lo, v59, 2
	v_add_co_ci_u32_e32 v60, vcc_lo, 0, v60, vcc_lo
	s_add_u32 s14, s8, -1
	s_addc_u32 s15, s9, -1
	s_mov_b64 s[20:21], 0
	s_mov_b32 s24, 0
                                        ; implicit-def: $sgpr25
	s_set_inst_prefetch_distance 0x1
	s_branch .LBB1293_415
	.p2align	6
.LBB1293_413:                           ;   in Loop: Header=BB1293_415 Depth=1
	global_load_u16 v61, v[59:60], off
	global_load_u16 v62, v[57:58], off
	v_add_co_u32 v57, vcc_lo, v57, 2
	v_add_co_ci_u32_e32 v58, vcc_lo, 0, v58, vcc_lo
	v_add_co_u32 v59, s0, v59, 2
	s_delay_alu instid0(VALU_DEP_1)
	v_add_co_ci_u32_e64 v60, s0, 0, v60, s0
	s_add_u32 s20, s20, 1
	s_addc_u32 s21, s21, 0
	s_and_not1_b32 s0, s25, exec_lo
	s_waitcnt vmcnt(0)
	v_cmp_neq_f16_e32 vcc_lo, v61, v62
	s_and_b32 s25, vcc_lo, exec_lo
	s_delay_alu instid0(SALU_CYCLE_1)
	s_or_b32 s25, s0, s25
.LBB1293_414:                           ;   in Loop: Header=BB1293_415 Depth=1
	v_dual_mov_b32 v62, s21 :: v_dual_mov_b32 v61, s20
	s_and_b32 s0, exec_lo, s25
	s_delay_alu instid0(SALU_CYCLE_1) | instskip(NEXT) | instid1(SALU_CYCLE_1)
	s_or_b32 s24, s0, s24
	s_and_not1_b32 exec_lo, exec_lo, s24
	s_cbranch_execz .LBB1293_418
.LBB1293_415:                           ; =>This Inner Loop Header: Depth=1
	s_or_b32 s25, s25, exec_lo
	s_cmp_eq_u64 s[14:15], s[20:21]
	s_cbranch_scc0 .LBB1293_413
; %bb.416:                              ;   in Loop: Header=BB1293_415 Depth=1
	s_mov_b64 s[20:21], s[8:9]
                                        ; implicit-def: $vgpr57_vgpr58
                                        ; implicit-def: $vgpr59_vgpr60
	s_branch .LBB1293_414
.LBB1293_417:
	v_mov_b32_e32 v125, 0
	v_mov_b32_e32 v126, 0
	s_branch .LBB1293_420
.LBB1293_418:
	s_set_inst_prefetch_distance 0x2
	s_or_b32 exec_lo, exec_lo, s24
	v_cmp_gt_i64_e32 vcc_lo, s[8:9], v[61:62]
	s_mov_b32 s0, 0
	s_delay_alu instid0(SALU_CYCLE_1)
	v_mov_b32_e32 v126, s0
	v_cndmask_b32_e64 v125, 0, 1, vcc_lo
.LBB1293_419:
	s_or_b32 exec_lo, exec_lo, s23
.LBB1293_420:
	s_delay_alu instid0(SALU_CYCLE_1) | instskip(SKIP_3) | instid1(VALU_DEP_2)
	s_or_b32 exec_lo, exec_lo, s22
	v_dual_mov_b32 v128, v50 :: v_dual_add_nc_u32 v57, 20, v64
	v_mov_b32_e32 v127, v49
	s_mov_b32 s22, exec_lo
	v_cmpx_gt_u32_e64 s3, v57
	s_cbranch_execz .LBB1293_431
; %bb.421:
	v_cmp_ne_u32_e32 vcc_lo, 1, v63
	s_cbranch_vccnz .LBB1293_428
; %bb.422:
	v_mul_lo_u32 v61, v50, s8
	v_mul_lo_u32 v62, v49, s9
	v_mad_u64_u32 v[57:58], null, v49, s8, 0
	v_mul_lo_u32 v65, v48, s8
	v_mul_lo_u32 v66, v47, s9
	v_mad_u64_u32 v[59:60], null, v47, s8, 0
	v_mov_b32_e32 v127, 1
	v_mov_b32_e32 v128, 0
	v_add3_u32 v58, v58, v62, v61
	s_mov_b32 s23, exec_lo
	s_delay_alu instid0(VALU_DEP_4) | instskip(NEXT) | instid1(VALU_DEP_2)
	v_add3_u32 v60, v60, v66, v65
	v_lshlrev_b64 v[57:58], 1, v[57:58]
	s_delay_alu instid0(VALU_DEP_2) | instskip(NEXT) | instid1(VALU_DEP_2)
	v_lshlrev_b64 v[61:62], 1, v[59:60]
	v_add_co_u32 v59, vcc_lo, s10, v57
	s_delay_alu instid0(VALU_DEP_3) | instskip(NEXT) | instid1(VALU_DEP_3)
	v_add_co_ci_u32_e32 v60, vcc_lo, s11, v58, vcc_lo
	v_add_co_u32 v57, vcc_lo, s10, v61
	s_delay_alu instid0(VALU_DEP_4)
	v_add_co_ci_u32_e32 v58, vcc_lo, s11, v62, vcc_lo
	s_clause 0x1
	global_load_u16 v61, v[59:60], off
	global_load_u16 v62, v[57:58], off
	s_waitcnt vmcnt(0)
	v_cmpx_eq_f16_e32 v61, v62
	s_cbranch_execz .LBB1293_430
; %bb.423:
	v_add_co_u32 v57, vcc_lo, v57, 2
	v_add_co_ci_u32_e32 v58, vcc_lo, 0, v58, vcc_lo
	v_add_co_u32 v59, vcc_lo, v59, 2
	v_add_co_ci_u32_e32 v60, vcc_lo, 0, v60, vcc_lo
	s_add_u32 s14, s8, -1
	s_addc_u32 s15, s9, -1
	s_mov_b64 s[20:21], 0
	s_mov_b32 s24, 0
                                        ; implicit-def: $sgpr25
	s_set_inst_prefetch_distance 0x1
	s_branch .LBB1293_426
	.p2align	6
.LBB1293_424:                           ;   in Loop: Header=BB1293_426 Depth=1
	global_load_u16 v61, v[59:60], off
	global_load_u16 v62, v[57:58], off
	v_add_co_u32 v57, vcc_lo, v57, 2
	v_add_co_ci_u32_e32 v58, vcc_lo, 0, v58, vcc_lo
	v_add_co_u32 v59, s0, v59, 2
	s_delay_alu instid0(VALU_DEP_1)
	v_add_co_ci_u32_e64 v60, s0, 0, v60, s0
	s_add_u32 s20, s20, 1
	s_addc_u32 s21, s21, 0
	s_and_not1_b32 s0, s25, exec_lo
	s_waitcnt vmcnt(0)
	v_cmp_neq_f16_e32 vcc_lo, v61, v62
	s_and_b32 s25, vcc_lo, exec_lo
	s_delay_alu instid0(SALU_CYCLE_1)
	s_or_b32 s25, s0, s25
.LBB1293_425:                           ;   in Loop: Header=BB1293_426 Depth=1
	v_dual_mov_b32 v62, s21 :: v_dual_mov_b32 v61, s20
	s_and_b32 s0, exec_lo, s25
	s_delay_alu instid0(SALU_CYCLE_1) | instskip(NEXT) | instid1(SALU_CYCLE_1)
	s_or_b32 s24, s0, s24
	s_and_not1_b32 exec_lo, exec_lo, s24
	s_cbranch_execz .LBB1293_429
.LBB1293_426:                           ; =>This Inner Loop Header: Depth=1
	s_or_b32 s25, s25, exec_lo
	s_cmp_eq_u64 s[14:15], s[20:21]
	s_cbranch_scc0 .LBB1293_424
; %bb.427:                              ;   in Loop: Header=BB1293_426 Depth=1
	s_mov_b64 s[20:21], s[8:9]
                                        ; implicit-def: $vgpr57_vgpr58
                                        ; implicit-def: $vgpr59_vgpr60
	s_branch .LBB1293_425
.LBB1293_428:
	v_mov_b32_e32 v127, 0
	v_mov_b32_e32 v128, 0
	s_branch .LBB1293_431
.LBB1293_429:
	s_set_inst_prefetch_distance 0x2
	s_or_b32 exec_lo, exec_lo, s24
	v_cmp_gt_i64_e32 vcc_lo, s[8:9], v[61:62]
	s_mov_b32 s0, 0
	s_delay_alu instid0(SALU_CYCLE_1)
	v_mov_b32_e32 v128, s0
	v_cndmask_b32_e64 v127, 0, 1, vcc_lo
.LBB1293_430:
	s_or_b32 exec_lo, exec_lo, s23
.LBB1293_431:
	s_delay_alu instid0(SALU_CYCLE_1) | instskip(SKIP_3) | instid1(VALU_DEP_2)
	s_or_b32 exec_lo, exec_lo, s22
	v_dual_mov_b32 v130, v48 :: v_dual_add_nc_u32 v57, 19, v64
	v_mov_b32_e32 v129, v47
	s_mov_b32 s22, exec_lo
	v_cmpx_gt_u32_e64 s3, v57
	s_cbranch_execz .LBB1293_442
; %bb.432:
	v_cmp_ne_u32_e32 vcc_lo, 1, v63
	s_cbranch_vccnz .LBB1293_439
; %bb.433:
	v_mul_lo_u32 v61, v48, s8
	v_mul_lo_u32 v62, v47, s9
	v_mad_u64_u32 v[57:58], null, v47, s8, 0
	v_mul_lo_u32 v65, v46, s8
	v_mul_lo_u32 v66, v45, s9
	v_mad_u64_u32 v[59:60], null, v45, s8, 0
	v_mov_b32_e32 v129, 1
	v_mov_b32_e32 v130, 0
	v_add3_u32 v58, v58, v62, v61
	s_mov_b32 s23, exec_lo
	s_delay_alu instid0(VALU_DEP_4) | instskip(NEXT) | instid1(VALU_DEP_2)
	v_add3_u32 v60, v60, v66, v65
	v_lshlrev_b64 v[57:58], 1, v[57:58]
	s_delay_alu instid0(VALU_DEP_2) | instskip(NEXT) | instid1(VALU_DEP_2)
	v_lshlrev_b64 v[61:62], 1, v[59:60]
	v_add_co_u32 v59, vcc_lo, s10, v57
	s_delay_alu instid0(VALU_DEP_3) | instskip(NEXT) | instid1(VALU_DEP_3)
	v_add_co_ci_u32_e32 v60, vcc_lo, s11, v58, vcc_lo
	v_add_co_u32 v57, vcc_lo, s10, v61
	s_delay_alu instid0(VALU_DEP_4)
	v_add_co_ci_u32_e32 v58, vcc_lo, s11, v62, vcc_lo
	s_clause 0x1
	global_load_u16 v61, v[59:60], off
	global_load_u16 v62, v[57:58], off
	s_waitcnt vmcnt(0)
	v_cmpx_eq_f16_e32 v61, v62
	s_cbranch_execz .LBB1293_441
; %bb.434:
	v_add_co_u32 v57, vcc_lo, v57, 2
	v_add_co_ci_u32_e32 v58, vcc_lo, 0, v58, vcc_lo
	v_add_co_u32 v59, vcc_lo, v59, 2
	v_add_co_ci_u32_e32 v60, vcc_lo, 0, v60, vcc_lo
	s_add_u32 s14, s8, -1
	s_addc_u32 s15, s9, -1
	s_mov_b64 s[20:21], 0
	s_mov_b32 s24, 0
                                        ; implicit-def: $sgpr25
	s_set_inst_prefetch_distance 0x1
	s_branch .LBB1293_437
	.p2align	6
.LBB1293_435:                           ;   in Loop: Header=BB1293_437 Depth=1
	global_load_u16 v61, v[59:60], off
	global_load_u16 v62, v[57:58], off
	v_add_co_u32 v57, vcc_lo, v57, 2
	v_add_co_ci_u32_e32 v58, vcc_lo, 0, v58, vcc_lo
	v_add_co_u32 v59, s0, v59, 2
	s_delay_alu instid0(VALU_DEP_1)
	v_add_co_ci_u32_e64 v60, s0, 0, v60, s0
	s_add_u32 s20, s20, 1
	s_addc_u32 s21, s21, 0
	s_and_not1_b32 s0, s25, exec_lo
	s_waitcnt vmcnt(0)
	v_cmp_neq_f16_e32 vcc_lo, v61, v62
	s_and_b32 s25, vcc_lo, exec_lo
	s_delay_alu instid0(SALU_CYCLE_1)
	s_or_b32 s25, s0, s25
.LBB1293_436:                           ;   in Loop: Header=BB1293_437 Depth=1
	v_dual_mov_b32 v62, s21 :: v_dual_mov_b32 v61, s20
	s_and_b32 s0, exec_lo, s25
	s_delay_alu instid0(SALU_CYCLE_1) | instskip(NEXT) | instid1(SALU_CYCLE_1)
	s_or_b32 s24, s0, s24
	s_and_not1_b32 exec_lo, exec_lo, s24
	s_cbranch_execz .LBB1293_440
.LBB1293_437:                           ; =>This Inner Loop Header: Depth=1
	s_or_b32 s25, s25, exec_lo
	s_cmp_eq_u64 s[14:15], s[20:21]
	s_cbranch_scc0 .LBB1293_435
; %bb.438:                              ;   in Loop: Header=BB1293_437 Depth=1
	s_mov_b64 s[20:21], s[8:9]
                                        ; implicit-def: $vgpr57_vgpr58
                                        ; implicit-def: $vgpr59_vgpr60
	s_branch .LBB1293_436
.LBB1293_439:
	v_mov_b32_e32 v129, 0
	v_mov_b32_e32 v130, 0
	s_branch .LBB1293_442
.LBB1293_440:
	s_set_inst_prefetch_distance 0x2
	s_or_b32 exec_lo, exec_lo, s24
	v_cmp_gt_i64_e32 vcc_lo, s[8:9], v[61:62]
	s_mov_b32 s0, 0
	s_delay_alu instid0(SALU_CYCLE_1)
	v_mov_b32_e32 v130, s0
	v_cndmask_b32_e64 v129, 0, 1, vcc_lo
.LBB1293_441:
	s_or_b32 exec_lo, exec_lo, s23
.LBB1293_442:
	s_delay_alu instid0(SALU_CYCLE_1) | instskip(SKIP_3) | instid1(VALU_DEP_2)
	s_or_b32 exec_lo, exec_lo, s22
	v_dual_mov_b32 v132, v46 :: v_dual_add_nc_u32 v57, 18, v64
	v_mov_b32_e32 v131, v45
	s_mov_b32 s22, exec_lo
	v_cmpx_gt_u32_e64 s3, v57
	s_cbranch_execz .LBB1293_453
; %bb.443:
	v_cmp_ne_u32_e32 vcc_lo, 1, v63
	s_cbranch_vccnz .LBB1293_450
; %bb.444:
	v_mul_lo_u32 v61, v46, s8
	v_mul_lo_u32 v62, v45, s9
	v_mad_u64_u32 v[57:58], null, v45, s8, 0
	v_mul_lo_u32 v65, v44, s8
	v_mul_lo_u32 v66, v43, s9
	v_mad_u64_u32 v[59:60], null, v43, s8, 0
	v_mov_b32_e32 v131, 1
	v_mov_b32_e32 v132, 0
	v_add3_u32 v58, v58, v62, v61
	s_mov_b32 s23, exec_lo
	s_delay_alu instid0(VALU_DEP_4) | instskip(NEXT) | instid1(VALU_DEP_2)
	v_add3_u32 v60, v60, v66, v65
	v_lshlrev_b64 v[57:58], 1, v[57:58]
	s_delay_alu instid0(VALU_DEP_2) | instskip(NEXT) | instid1(VALU_DEP_2)
	v_lshlrev_b64 v[61:62], 1, v[59:60]
	v_add_co_u32 v59, vcc_lo, s10, v57
	s_delay_alu instid0(VALU_DEP_3) | instskip(NEXT) | instid1(VALU_DEP_3)
	v_add_co_ci_u32_e32 v60, vcc_lo, s11, v58, vcc_lo
	v_add_co_u32 v57, vcc_lo, s10, v61
	s_delay_alu instid0(VALU_DEP_4)
	v_add_co_ci_u32_e32 v58, vcc_lo, s11, v62, vcc_lo
	s_clause 0x1
	global_load_u16 v61, v[59:60], off
	global_load_u16 v62, v[57:58], off
	s_waitcnt vmcnt(0)
	v_cmpx_eq_f16_e32 v61, v62
	s_cbranch_execz .LBB1293_452
; %bb.445:
	v_add_co_u32 v57, vcc_lo, v57, 2
	v_add_co_ci_u32_e32 v58, vcc_lo, 0, v58, vcc_lo
	v_add_co_u32 v59, vcc_lo, v59, 2
	v_add_co_ci_u32_e32 v60, vcc_lo, 0, v60, vcc_lo
	s_add_u32 s14, s8, -1
	s_addc_u32 s15, s9, -1
	s_mov_b64 s[20:21], 0
	s_mov_b32 s24, 0
                                        ; implicit-def: $sgpr25
	s_set_inst_prefetch_distance 0x1
	s_branch .LBB1293_448
	.p2align	6
.LBB1293_446:                           ;   in Loop: Header=BB1293_448 Depth=1
	global_load_u16 v61, v[59:60], off
	global_load_u16 v62, v[57:58], off
	v_add_co_u32 v57, vcc_lo, v57, 2
	v_add_co_ci_u32_e32 v58, vcc_lo, 0, v58, vcc_lo
	v_add_co_u32 v59, s0, v59, 2
	s_delay_alu instid0(VALU_DEP_1)
	v_add_co_ci_u32_e64 v60, s0, 0, v60, s0
	s_add_u32 s20, s20, 1
	s_addc_u32 s21, s21, 0
	s_and_not1_b32 s0, s25, exec_lo
	s_waitcnt vmcnt(0)
	v_cmp_neq_f16_e32 vcc_lo, v61, v62
	s_and_b32 s25, vcc_lo, exec_lo
	s_delay_alu instid0(SALU_CYCLE_1)
	s_or_b32 s25, s0, s25
.LBB1293_447:                           ;   in Loop: Header=BB1293_448 Depth=1
	v_dual_mov_b32 v62, s21 :: v_dual_mov_b32 v61, s20
	s_and_b32 s0, exec_lo, s25
	s_delay_alu instid0(SALU_CYCLE_1) | instskip(NEXT) | instid1(SALU_CYCLE_1)
	s_or_b32 s24, s0, s24
	s_and_not1_b32 exec_lo, exec_lo, s24
	s_cbranch_execz .LBB1293_451
.LBB1293_448:                           ; =>This Inner Loop Header: Depth=1
	s_or_b32 s25, s25, exec_lo
	s_cmp_eq_u64 s[14:15], s[20:21]
	s_cbranch_scc0 .LBB1293_446
; %bb.449:                              ;   in Loop: Header=BB1293_448 Depth=1
	s_mov_b64 s[20:21], s[8:9]
                                        ; implicit-def: $vgpr57_vgpr58
                                        ; implicit-def: $vgpr59_vgpr60
	s_branch .LBB1293_447
.LBB1293_450:
	v_mov_b32_e32 v131, 0
	v_mov_b32_e32 v132, 0
	s_branch .LBB1293_453
.LBB1293_451:
	s_set_inst_prefetch_distance 0x2
	s_or_b32 exec_lo, exec_lo, s24
	v_cmp_gt_i64_e32 vcc_lo, s[8:9], v[61:62]
	s_mov_b32 s0, 0
	s_delay_alu instid0(SALU_CYCLE_1)
	v_mov_b32_e32 v132, s0
	v_cndmask_b32_e64 v131, 0, 1, vcc_lo
.LBB1293_452:
	s_or_b32 exec_lo, exec_lo, s23
.LBB1293_453:
	s_delay_alu instid0(SALU_CYCLE_1) | instskip(SKIP_3) | instid1(VALU_DEP_2)
	s_or_b32 exec_lo, exec_lo, s22
	v_dual_mov_b32 v134, v44 :: v_dual_add_nc_u32 v57, 17, v64
	v_mov_b32_e32 v133, v43
	s_mov_b32 s22, exec_lo
	v_cmpx_gt_u32_e64 s3, v57
	s_cbranch_execz .LBB1293_464
; %bb.454:
	v_cmp_ne_u32_e32 vcc_lo, 1, v63
	s_cbranch_vccnz .LBB1293_461
; %bb.455:
	v_mul_lo_u32 v61, v44, s8
	v_mul_lo_u32 v62, v43, s9
	v_mad_u64_u32 v[57:58], null, v43, s8, 0
	v_mul_lo_u32 v65, v42, s8
	v_mul_lo_u32 v66, v41, s9
	v_mad_u64_u32 v[59:60], null, v41, s8, 0
	v_mov_b32_e32 v133, 1
	v_mov_b32_e32 v134, 0
	v_add3_u32 v58, v58, v62, v61
	s_mov_b32 s23, exec_lo
	s_delay_alu instid0(VALU_DEP_4) | instskip(NEXT) | instid1(VALU_DEP_2)
	v_add3_u32 v60, v60, v66, v65
	v_lshlrev_b64 v[57:58], 1, v[57:58]
	s_delay_alu instid0(VALU_DEP_2) | instskip(NEXT) | instid1(VALU_DEP_2)
	v_lshlrev_b64 v[61:62], 1, v[59:60]
	v_add_co_u32 v59, vcc_lo, s10, v57
	s_delay_alu instid0(VALU_DEP_3) | instskip(NEXT) | instid1(VALU_DEP_3)
	v_add_co_ci_u32_e32 v60, vcc_lo, s11, v58, vcc_lo
	v_add_co_u32 v57, vcc_lo, s10, v61
	s_delay_alu instid0(VALU_DEP_4)
	v_add_co_ci_u32_e32 v58, vcc_lo, s11, v62, vcc_lo
	s_clause 0x1
	global_load_u16 v61, v[59:60], off
	global_load_u16 v62, v[57:58], off
	s_waitcnt vmcnt(0)
	v_cmpx_eq_f16_e32 v61, v62
	s_cbranch_execz .LBB1293_463
; %bb.456:
	v_add_co_u32 v57, vcc_lo, v57, 2
	v_add_co_ci_u32_e32 v58, vcc_lo, 0, v58, vcc_lo
	v_add_co_u32 v59, vcc_lo, v59, 2
	v_add_co_ci_u32_e32 v60, vcc_lo, 0, v60, vcc_lo
	s_add_u32 s14, s8, -1
	s_addc_u32 s15, s9, -1
	s_mov_b64 s[20:21], 0
	s_mov_b32 s24, 0
                                        ; implicit-def: $sgpr25
	s_set_inst_prefetch_distance 0x1
	s_branch .LBB1293_459
	.p2align	6
.LBB1293_457:                           ;   in Loop: Header=BB1293_459 Depth=1
	global_load_u16 v61, v[59:60], off
	global_load_u16 v62, v[57:58], off
	v_add_co_u32 v57, vcc_lo, v57, 2
	v_add_co_ci_u32_e32 v58, vcc_lo, 0, v58, vcc_lo
	v_add_co_u32 v59, s0, v59, 2
	s_delay_alu instid0(VALU_DEP_1)
	v_add_co_ci_u32_e64 v60, s0, 0, v60, s0
	s_add_u32 s20, s20, 1
	s_addc_u32 s21, s21, 0
	s_and_not1_b32 s0, s25, exec_lo
	s_waitcnt vmcnt(0)
	v_cmp_neq_f16_e32 vcc_lo, v61, v62
	s_and_b32 s25, vcc_lo, exec_lo
	s_delay_alu instid0(SALU_CYCLE_1)
	s_or_b32 s25, s0, s25
.LBB1293_458:                           ;   in Loop: Header=BB1293_459 Depth=1
	v_dual_mov_b32 v62, s21 :: v_dual_mov_b32 v61, s20
	s_and_b32 s0, exec_lo, s25
	s_delay_alu instid0(SALU_CYCLE_1) | instskip(NEXT) | instid1(SALU_CYCLE_1)
	s_or_b32 s24, s0, s24
	s_and_not1_b32 exec_lo, exec_lo, s24
	s_cbranch_execz .LBB1293_462
.LBB1293_459:                           ; =>This Inner Loop Header: Depth=1
	s_or_b32 s25, s25, exec_lo
	s_cmp_eq_u64 s[14:15], s[20:21]
	s_cbranch_scc0 .LBB1293_457
; %bb.460:                              ;   in Loop: Header=BB1293_459 Depth=1
	s_mov_b64 s[20:21], s[8:9]
                                        ; implicit-def: $vgpr57_vgpr58
                                        ; implicit-def: $vgpr59_vgpr60
	s_branch .LBB1293_458
.LBB1293_461:
	v_mov_b32_e32 v133, 0
	v_mov_b32_e32 v134, 0
	s_branch .LBB1293_464
.LBB1293_462:
	s_set_inst_prefetch_distance 0x2
	s_or_b32 exec_lo, exec_lo, s24
	v_cmp_gt_i64_e32 vcc_lo, s[8:9], v[61:62]
	s_mov_b32 s0, 0
	s_delay_alu instid0(SALU_CYCLE_1)
	v_mov_b32_e32 v134, s0
	v_cndmask_b32_e64 v133, 0, 1, vcc_lo
.LBB1293_463:
	s_or_b32 exec_lo, exec_lo, s23
.LBB1293_464:
	s_delay_alu instid0(SALU_CYCLE_1) | instskip(SKIP_3) | instid1(VALU_DEP_2)
	s_or_b32 exec_lo, exec_lo, s22
	v_dual_mov_b32 v136, v42 :: v_dual_add_nc_u32 v57, 16, v64
	v_mov_b32_e32 v135, v41
	s_mov_b32 s22, exec_lo
	v_cmpx_gt_u32_e64 s3, v57
	s_cbranch_execz .LBB1293_475
; %bb.465:
	v_cmp_ne_u32_e32 vcc_lo, 1, v63
	s_cbranch_vccnz .LBB1293_472
; %bb.466:
	v_mul_lo_u32 v61, v42, s8
	v_mul_lo_u32 v62, v41, s9
	v_mad_u64_u32 v[57:58], null, v41, s8, 0
	v_mul_lo_u32 v65, v40, s8
	v_mul_lo_u32 v66, v39, s9
	v_mad_u64_u32 v[59:60], null, v39, s8, 0
	v_mov_b32_e32 v135, 1
	v_mov_b32_e32 v136, 0
	v_add3_u32 v58, v58, v62, v61
	s_mov_b32 s23, exec_lo
	s_delay_alu instid0(VALU_DEP_4) | instskip(NEXT) | instid1(VALU_DEP_2)
	v_add3_u32 v60, v60, v66, v65
	v_lshlrev_b64 v[57:58], 1, v[57:58]
	s_delay_alu instid0(VALU_DEP_2) | instskip(NEXT) | instid1(VALU_DEP_2)
	v_lshlrev_b64 v[61:62], 1, v[59:60]
	v_add_co_u32 v59, vcc_lo, s10, v57
	s_delay_alu instid0(VALU_DEP_3) | instskip(NEXT) | instid1(VALU_DEP_3)
	v_add_co_ci_u32_e32 v60, vcc_lo, s11, v58, vcc_lo
	v_add_co_u32 v57, vcc_lo, s10, v61
	s_delay_alu instid0(VALU_DEP_4)
	v_add_co_ci_u32_e32 v58, vcc_lo, s11, v62, vcc_lo
	s_clause 0x1
	global_load_u16 v61, v[59:60], off
	global_load_u16 v62, v[57:58], off
	s_waitcnt vmcnt(0)
	v_cmpx_eq_f16_e32 v61, v62
	s_cbranch_execz .LBB1293_474
; %bb.467:
	v_add_co_u32 v57, vcc_lo, v57, 2
	v_add_co_ci_u32_e32 v58, vcc_lo, 0, v58, vcc_lo
	v_add_co_u32 v59, vcc_lo, v59, 2
	v_add_co_ci_u32_e32 v60, vcc_lo, 0, v60, vcc_lo
	s_add_u32 s14, s8, -1
	s_addc_u32 s15, s9, -1
	s_mov_b64 s[20:21], 0
	s_mov_b32 s24, 0
                                        ; implicit-def: $sgpr25
	s_set_inst_prefetch_distance 0x1
	s_branch .LBB1293_470
	.p2align	6
.LBB1293_468:                           ;   in Loop: Header=BB1293_470 Depth=1
	global_load_u16 v61, v[59:60], off
	global_load_u16 v62, v[57:58], off
	v_add_co_u32 v57, vcc_lo, v57, 2
	v_add_co_ci_u32_e32 v58, vcc_lo, 0, v58, vcc_lo
	v_add_co_u32 v59, s0, v59, 2
	s_delay_alu instid0(VALU_DEP_1)
	v_add_co_ci_u32_e64 v60, s0, 0, v60, s0
	s_add_u32 s20, s20, 1
	s_addc_u32 s21, s21, 0
	s_and_not1_b32 s0, s25, exec_lo
	s_waitcnt vmcnt(0)
	v_cmp_neq_f16_e32 vcc_lo, v61, v62
	s_and_b32 s25, vcc_lo, exec_lo
	s_delay_alu instid0(SALU_CYCLE_1)
	s_or_b32 s25, s0, s25
.LBB1293_469:                           ;   in Loop: Header=BB1293_470 Depth=1
	v_dual_mov_b32 v62, s21 :: v_dual_mov_b32 v61, s20
	s_and_b32 s0, exec_lo, s25
	s_delay_alu instid0(SALU_CYCLE_1) | instskip(NEXT) | instid1(SALU_CYCLE_1)
	s_or_b32 s24, s0, s24
	s_and_not1_b32 exec_lo, exec_lo, s24
	s_cbranch_execz .LBB1293_473
.LBB1293_470:                           ; =>This Inner Loop Header: Depth=1
	s_or_b32 s25, s25, exec_lo
	s_cmp_eq_u64 s[14:15], s[20:21]
	s_cbranch_scc0 .LBB1293_468
; %bb.471:                              ;   in Loop: Header=BB1293_470 Depth=1
	s_mov_b64 s[20:21], s[8:9]
                                        ; implicit-def: $vgpr57_vgpr58
                                        ; implicit-def: $vgpr59_vgpr60
	s_branch .LBB1293_469
.LBB1293_472:
	v_mov_b32_e32 v135, 0
	v_mov_b32_e32 v136, 0
	s_branch .LBB1293_475
.LBB1293_473:
	s_set_inst_prefetch_distance 0x2
	s_or_b32 exec_lo, exec_lo, s24
	v_cmp_gt_i64_e32 vcc_lo, s[8:9], v[61:62]
	s_mov_b32 s0, 0
	s_delay_alu instid0(SALU_CYCLE_1)
	v_mov_b32_e32 v136, s0
	v_cndmask_b32_e64 v135, 0, 1, vcc_lo
.LBB1293_474:
	s_or_b32 exec_lo, exec_lo, s23
.LBB1293_475:
	s_delay_alu instid0(SALU_CYCLE_1) | instskip(SKIP_3) | instid1(VALU_DEP_2)
	s_or_b32 exec_lo, exec_lo, s22
	v_dual_mov_b32 v138, v40 :: v_dual_add_nc_u32 v57, 15, v64
	v_mov_b32_e32 v137, v39
	s_mov_b32 s22, exec_lo
	v_cmpx_gt_u32_e64 s3, v57
	s_cbranch_execz .LBB1293_486
; %bb.476:
	v_cmp_ne_u32_e32 vcc_lo, 1, v63
	s_cbranch_vccnz .LBB1293_483
; %bb.477:
	v_mul_lo_u32 v61, v40, s8
	v_mul_lo_u32 v62, v39, s9
	v_mad_u64_u32 v[57:58], null, v39, s8, 0
	v_mul_lo_u32 v65, v38, s8
	v_mul_lo_u32 v66, v37, s9
	v_mad_u64_u32 v[59:60], null, v37, s8, 0
	v_mov_b32_e32 v137, 1
	v_mov_b32_e32 v138, 0
	v_add3_u32 v58, v58, v62, v61
	s_mov_b32 s23, exec_lo
	s_delay_alu instid0(VALU_DEP_4) | instskip(NEXT) | instid1(VALU_DEP_2)
	v_add3_u32 v60, v60, v66, v65
	v_lshlrev_b64 v[57:58], 1, v[57:58]
	s_delay_alu instid0(VALU_DEP_2) | instskip(NEXT) | instid1(VALU_DEP_2)
	v_lshlrev_b64 v[61:62], 1, v[59:60]
	v_add_co_u32 v59, vcc_lo, s10, v57
	s_delay_alu instid0(VALU_DEP_3) | instskip(NEXT) | instid1(VALU_DEP_3)
	v_add_co_ci_u32_e32 v60, vcc_lo, s11, v58, vcc_lo
	v_add_co_u32 v57, vcc_lo, s10, v61
	s_delay_alu instid0(VALU_DEP_4)
	v_add_co_ci_u32_e32 v58, vcc_lo, s11, v62, vcc_lo
	s_clause 0x1
	global_load_u16 v61, v[59:60], off
	global_load_u16 v62, v[57:58], off
	s_waitcnt vmcnt(0)
	v_cmpx_eq_f16_e32 v61, v62
	s_cbranch_execz .LBB1293_485
; %bb.478:
	v_add_co_u32 v57, vcc_lo, v57, 2
	v_add_co_ci_u32_e32 v58, vcc_lo, 0, v58, vcc_lo
	v_add_co_u32 v59, vcc_lo, v59, 2
	v_add_co_ci_u32_e32 v60, vcc_lo, 0, v60, vcc_lo
	s_add_u32 s14, s8, -1
	s_addc_u32 s15, s9, -1
	s_mov_b64 s[20:21], 0
	s_mov_b32 s24, 0
                                        ; implicit-def: $sgpr25
	s_set_inst_prefetch_distance 0x1
	s_branch .LBB1293_481
	.p2align	6
.LBB1293_479:                           ;   in Loop: Header=BB1293_481 Depth=1
	global_load_u16 v61, v[59:60], off
	global_load_u16 v62, v[57:58], off
	v_add_co_u32 v57, vcc_lo, v57, 2
	v_add_co_ci_u32_e32 v58, vcc_lo, 0, v58, vcc_lo
	v_add_co_u32 v59, s0, v59, 2
	s_delay_alu instid0(VALU_DEP_1)
	v_add_co_ci_u32_e64 v60, s0, 0, v60, s0
	s_add_u32 s20, s20, 1
	s_addc_u32 s21, s21, 0
	s_and_not1_b32 s0, s25, exec_lo
	s_waitcnt vmcnt(0)
	v_cmp_neq_f16_e32 vcc_lo, v61, v62
	s_and_b32 s25, vcc_lo, exec_lo
	s_delay_alu instid0(SALU_CYCLE_1)
	s_or_b32 s25, s0, s25
.LBB1293_480:                           ;   in Loop: Header=BB1293_481 Depth=1
	v_dual_mov_b32 v62, s21 :: v_dual_mov_b32 v61, s20
	s_and_b32 s0, exec_lo, s25
	s_delay_alu instid0(SALU_CYCLE_1) | instskip(NEXT) | instid1(SALU_CYCLE_1)
	s_or_b32 s24, s0, s24
	s_and_not1_b32 exec_lo, exec_lo, s24
	s_cbranch_execz .LBB1293_484
.LBB1293_481:                           ; =>This Inner Loop Header: Depth=1
	s_or_b32 s25, s25, exec_lo
	s_cmp_eq_u64 s[14:15], s[20:21]
	s_cbranch_scc0 .LBB1293_479
; %bb.482:                              ;   in Loop: Header=BB1293_481 Depth=1
	s_mov_b64 s[20:21], s[8:9]
                                        ; implicit-def: $vgpr57_vgpr58
                                        ; implicit-def: $vgpr59_vgpr60
	s_branch .LBB1293_480
.LBB1293_483:
	v_mov_b32_e32 v137, 0
	v_mov_b32_e32 v138, 0
	s_branch .LBB1293_486
.LBB1293_484:
	s_set_inst_prefetch_distance 0x2
	s_or_b32 exec_lo, exec_lo, s24
	v_cmp_gt_i64_e32 vcc_lo, s[8:9], v[61:62]
	s_mov_b32 s0, 0
	s_delay_alu instid0(SALU_CYCLE_1)
	v_mov_b32_e32 v138, s0
	v_cndmask_b32_e64 v137, 0, 1, vcc_lo
.LBB1293_485:
	s_or_b32 exec_lo, exec_lo, s23
.LBB1293_486:
	s_delay_alu instid0(SALU_CYCLE_1) | instskip(SKIP_3) | instid1(VALU_DEP_2)
	s_or_b32 exec_lo, exec_lo, s22
	v_dual_mov_b32 v140, v38 :: v_dual_add_nc_u32 v57, 14, v64
	v_mov_b32_e32 v139, v37
	s_mov_b32 s22, exec_lo
	v_cmpx_gt_u32_e64 s3, v57
	s_cbranch_execz .LBB1293_497
; %bb.487:
	v_cmp_ne_u32_e32 vcc_lo, 1, v63
	s_cbranch_vccnz .LBB1293_494
; %bb.488:
	v_mul_lo_u32 v61, v38, s8
	v_mul_lo_u32 v62, v37, s9
	v_mad_u64_u32 v[57:58], null, v37, s8, 0
	v_mul_lo_u32 v65, v36, s8
	v_mul_lo_u32 v66, v35, s9
	v_mad_u64_u32 v[59:60], null, v35, s8, 0
	v_mov_b32_e32 v139, 1
	v_mov_b32_e32 v140, 0
	v_add3_u32 v58, v58, v62, v61
	s_mov_b32 s23, exec_lo
	s_delay_alu instid0(VALU_DEP_4) | instskip(NEXT) | instid1(VALU_DEP_2)
	v_add3_u32 v60, v60, v66, v65
	v_lshlrev_b64 v[57:58], 1, v[57:58]
	s_delay_alu instid0(VALU_DEP_2) | instskip(NEXT) | instid1(VALU_DEP_2)
	v_lshlrev_b64 v[61:62], 1, v[59:60]
	v_add_co_u32 v59, vcc_lo, s10, v57
	s_delay_alu instid0(VALU_DEP_3) | instskip(NEXT) | instid1(VALU_DEP_3)
	v_add_co_ci_u32_e32 v60, vcc_lo, s11, v58, vcc_lo
	v_add_co_u32 v57, vcc_lo, s10, v61
	s_delay_alu instid0(VALU_DEP_4)
	v_add_co_ci_u32_e32 v58, vcc_lo, s11, v62, vcc_lo
	s_clause 0x1
	global_load_u16 v61, v[59:60], off
	global_load_u16 v62, v[57:58], off
	s_waitcnt vmcnt(0)
	v_cmpx_eq_f16_e32 v61, v62
	s_cbranch_execz .LBB1293_496
; %bb.489:
	v_add_co_u32 v57, vcc_lo, v57, 2
	v_add_co_ci_u32_e32 v58, vcc_lo, 0, v58, vcc_lo
	v_add_co_u32 v59, vcc_lo, v59, 2
	v_add_co_ci_u32_e32 v60, vcc_lo, 0, v60, vcc_lo
	s_add_u32 s14, s8, -1
	s_addc_u32 s15, s9, -1
	s_mov_b64 s[20:21], 0
	s_mov_b32 s24, 0
                                        ; implicit-def: $sgpr25
	s_set_inst_prefetch_distance 0x1
	s_branch .LBB1293_492
	.p2align	6
.LBB1293_490:                           ;   in Loop: Header=BB1293_492 Depth=1
	global_load_u16 v61, v[59:60], off
	global_load_u16 v62, v[57:58], off
	v_add_co_u32 v57, vcc_lo, v57, 2
	v_add_co_ci_u32_e32 v58, vcc_lo, 0, v58, vcc_lo
	v_add_co_u32 v59, s0, v59, 2
	s_delay_alu instid0(VALU_DEP_1)
	v_add_co_ci_u32_e64 v60, s0, 0, v60, s0
	s_add_u32 s20, s20, 1
	s_addc_u32 s21, s21, 0
	s_and_not1_b32 s0, s25, exec_lo
	s_waitcnt vmcnt(0)
	v_cmp_neq_f16_e32 vcc_lo, v61, v62
	s_and_b32 s25, vcc_lo, exec_lo
	s_delay_alu instid0(SALU_CYCLE_1)
	s_or_b32 s25, s0, s25
.LBB1293_491:                           ;   in Loop: Header=BB1293_492 Depth=1
	v_dual_mov_b32 v62, s21 :: v_dual_mov_b32 v61, s20
	s_and_b32 s0, exec_lo, s25
	s_delay_alu instid0(SALU_CYCLE_1) | instskip(NEXT) | instid1(SALU_CYCLE_1)
	s_or_b32 s24, s0, s24
	s_and_not1_b32 exec_lo, exec_lo, s24
	s_cbranch_execz .LBB1293_495
.LBB1293_492:                           ; =>This Inner Loop Header: Depth=1
	s_or_b32 s25, s25, exec_lo
	s_cmp_eq_u64 s[14:15], s[20:21]
	s_cbranch_scc0 .LBB1293_490
; %bb.493:                              ;   in Loop: Header=BB1293_492 Depth=1
	s_mov_b64 s[20:21], s[8:9]
                                        ; implicit-def: $vgpr57_vgpr58
                                        ; implicit-def: $vgpr59_vgpr60
	s_branch .LBB1293_491
.LBB1293_494:
	v_mov_b32_e32 v139, 0
	v_mov_b32_e32 v140, 0
	s_branch .LBB1293_497
.LBB1293_495:
	s_set_inst_prefetch_distance 0x2
	s_or_b32 exec_lo, exec_lo, s24
	v_cmp_gt_i64_e32 vcc_lo, s[8:9], v[61:62]
	s_mov_b32 s0, 0
	s_delay_alu instid0(SALU_CYCLE_1)
	v_mov_b32_e32 v140, s0
	v_cndmask_b32_e64 v139, 0, 1, vcc_lo
.LBB1293_496:
	s_or_b32 exec_lo, exec_lo, s23
.LBB1293_497:
	s_delay_alu instid0(SALU_CYCLE_1) | instskip(SKIP_3) | instid1(VALU_DEP_2)
	s_or_b32 exec_lo, exec_lo, s22
	v_dual_mov_b32 v142, v36 :: v_dual_add_nc_u32 v57, 13, v64
	v_mov_b32_e32 v141, v35
	s_mov_b32 s22, exec_lo
	v_cmpx_gt_u32_e64 s3, v57
	s_cbranch_execz .LBB1293_508
; %bb.498:
	v_cmp_ne_u32_e32 vcc_lo, 1, v63
	s_cbranch_vccnz .LBB1293_505
; %bb.499:
	v_mul_lo_u32 v61, v36, s8
	v_mul_lo_u32 v62, v35, s9
	v_mad_u64_u32 v[57:58], null, v35, s8, 0
	v_mul_lo_u32 v65, v34, s8
	v_mul_lo_u32 v66, v33, s9
	v_mad_u64_u32 v[59:60], null, v33, s8, 0
	v_mov_b32_e32 v141, 1
	v_mov_b32_e32 v142, 0
	v_add3_u32 v58, v58, v62, v61
	s_mov_b32 s23, exec_lo
	s_delay_alu instid0(VALU_DEP_4) | instskip(NEXT) | instid1(VALU_DEP_2)
	v_add3_u32 v60, v60, v66, v65
	v_lshlrev_b64 v[57:58], 1, v[57:58]
	s_delay_alu instid0(VALU_DEP_2) | instskip(NEXT) | instid1(VALU_DEP_2)
	v_lshlrev_b64 v[61:62], 1, v[59:60]
	v_add_co_u32 v59, vcc_lo, s10, v57
	s_delay_alu instid0(VALU_DEP_3) | instskip(NEXT) | instid1(VALU_DEP_3)
	v_add_co_ci_u32_e32 v60, vcc_lo, s11, v58, vcc_lo
	v_add_co_u32 v57, vcc_lo, s10, v61
	s_delay_alu instid0(VALU_DEP_4)
	v_add_co_ci_u32_e32 v58, vcc_lo, s11, v62, vcc_lo
	s_clause 0x1
	global_load_u16 v61, v[59:60], off
	global_load_u16 v62, v[57:58], off
	s_waitcnt vmcnt(0)
	v_cmpx_eq_f16_e32 v61, v62
	s_cbranch_execz .LBB1293_507
; %bb.500:
	v_add_co_u32 v57, vcc_lo, v57, 2
	v_add_co_ci_u32_e32 v58, vcc_lo, 0, v58, vcc_lo
	v_add_co_u32 v59, vcc_lo, v59, 2
	v_add_co_ci_u32_e32 v60, vcc_lo, 0, v60, vcc_lo
	s_add_u32 s14, s8, -1
	s_addc_u32 s15, s9, -1
	s_mov_b64 s[20:21], 0
	s_mov_b32 s24, 0
                                        ; implicit-def: $sgpr25
	s_set_inst_prefetch_distance 0x1
	s_branch .LBB1293_503
	.p2align	6
.LBB1293_501:                           ;   in Loop: Header=BB1293_503 Depth=1
	global_load_u16 v61, v[59:60], off
	global_load_u16 v62, v[57:58], off
	v_add_co_u32 v57, vcc_lo, v57, 2
	v_add_co_ci_u32_e32 v58, vcc_lo, 0, v58, vcc_lo
	v_add_co_u32 v59, s0, v59, 2
	s_delay_alu instid0(VALU_DEP_1)
	v_add_co_ci_u32_e64 v60, s0, 0, v60, s0
	s_add_u32 s20, s20, 1
	s_addc_u32 s21, s21, 0
	s_and_not1_b32 s0, s25, exec_lo
	s_waitcnt vmcnt(0)
	v_cmp_neq_f16_e32 vcc_lo, v61, v62
	s_and_b32 s25, vcc_lo, exec_lo
	s_delay_alu instid0(SALU_CYCLE_1)
	s_or_b32 s25, s0, s25
.LBB1293_502:                           ;   in Loop: Header=BB1293_503 Depth=1
	v_dual_mov_b32 v62, s21 :: v_dual_mov_b32 v61, s20
	s_and_b32 s0, exec_lo, s25
	s_delay_alu instid0(SALU_CYCLE_1) | instskip(NEXT) | instid1(SALU_CYCLE_1)
	s_or_b32 s24, s0, s24
	s_and_not1_b32 exec_lo, exec_lo, s24
	s_cbranch_execz .LBB1293_506
.LBB1293_503:                           ; =>This Inner Loop Header: Depth=1
	s_or_b32 s25, s25, exec_lo
	s_cmp_eq_u64 s[14:15], s[20:21]
	s_cbranch_scc0 .LBB1293_501
; %bb.504:                              ;   in Loop: Header=BB1293_503 Depth=1
	s_mov_b64 s[20:21], s[8:9]
                                        ; implicit-def: $vgpr57_vgpr58
                                        ; implicit-def: $vgpr59_vgpr60
	s_branch .LBB1293_502
.LBB1293_505:
	v_mov_b32_e32 v141, 0
	v_mov_b32_e32 v142, 0
	s_branch .LBB1293_508
.LBB1293_506:
	s_set_inst_prefetch_distance 0x2
	s_or_b32 exec_lo, exec_lo, s24
	v_cmp_gt_i64_e32 vcc_lo, s[8:9], v[61:62]
	s_mov_b32 s0, 0
	s_delay_alu instid0(SALU_CYCLE_1)
	v_mov_b32_e32 v142, s0
	v_cndmask_b32_e64 v141, 0, 1, vcc_lo
.LBB1293_507:
	s_or_b32 exec_lo, exec_lo, s23
.LBB1293_508:
	s_delay_alu instid0(SALU_CYCLE_1) | instskip(SKIP_3) | instid1(VALU_DEP_2)
	s_or_b32 exec_lo, exec_lo, s22
	v_dual_mov_b32 v144, v34 :: v_dual_add_nc_u32 v57, 12, v64
	v_mov_b32_e32 v143, v33
	s_mov_b32 s22, exec_lo
	v_cmpx_gt_u32_e64 s3, v57
	s_cbranch_execz .LBB1293_519
; %bb.509:
	v_cmp_ne_u32_e32 vcc_lo, 1, v63
	s_cbranch_vccnz .LBB1293_516
; %bb.510:
	v_mul_lo_u32 v61, v34, s8
	v_mul_lo_u32 v62, v33, s9
	v_mad_u64_u32 v[57:58], null, v33, s8, 0
	v_mul_lo_u32 v65, v32, s8
	v_mul_lo_u32 v66, v31, s9
	v_mad_u64_u32 v[59:60], null, v31, s8, 0
	v_mov_b32_e32 v143, 1
	v_mov_b32_e32 v144, 0
	v_add3_u32 v58, v58, v62, v61
	s_mov_b32 s23, exec_lo
	s_delay_alu instid0(VALU_DEP_4) | instskip(NEXT) | instid1(VALU_DEP_2)
	v_add3_u32 v60, v60, v66, v65
	v_lshlrev_b64 v[57:58], 1, v[57:58]
	s_delay_alu instid0(VALU_DEP_2) | instskip(NEXT) | instid1(VALU_DEP_2)
	v_lshlrev_b64 v[61:62], 1, v[59:60]
	v_add_co_u32 v59, vcc_lo, s10, v57
	s_delay_alu instid0(VALU_DEP_3) | instskip(NEXT) | instid1(VALU_DEP_3)
	v_add_co_ci_u32_e32 v60, vcc_lo, s11, v58, vcc_lo
	v_add_co_u32 v57, vcc_lo, s10, v61
	s_delay_alu instid0(VALU_DEP_4)
	v_add_co_ci_u32_e32 v58, vcc_lo, s11, v62, vcc_lo
	s_clause 0x1
	global_load_u16 v61, v[59:60], off
	global_load_u16 v62, v[57:58], off
	s_waitcnt vmcnt(0)
	v_cmpx_eq_f16_e32 v61, v62
	s_cbranch_execz .LBB1293_518
; %bb.511:
	v_add_co_u32 v57, vcc_lo, v57, 2
	v_add_co_ci_u32_e32 v58, vcc_lo, 0, v58, vcc_lo
	v_add_co_u32 v59, vcc_lo, v59, 2
	v_add_co_ci_u32_e32 v60, vcc_lo, 0, v60, vcc_lo
	s_add_u32 s14, s8, -1
	s_addc_u32 s15, s9, -1
	s_mov_b64 s[20:21], 0
	s_mov_b32 s24, 0
                                        ; implicit-def: $sgpr25
	s_set_inst_prefetch_distance 0x1
	s_branch .LBB1293_514
	.p2align	6
.LBB1293_512:                           ;   in Loop: Header=BB1293_514 Depth=1
	global_load_u16 v61, v[59:60], off
	global_load_u16 v62, v[57:58], off
	v_add_co_u32 v57, vcc_lo, v57, 2
	v_add_co_ci_u32_e32 v58, vcc_lo, 0, v58, vcc_lo
	v_add_co_u32 v59, s0, v59, 2
	s_delay_alu instid0(VALU_DEP_1)
	v_add_co_ci_u32_e64 v60, s0, 0, v60, s0
	s_add_u32 s20, s20, 1
	s_addc_u32 s21, s21, 0
	s_and_not1_b32 s0, s25, exec_lo
	s_waitcnt vmcnt(0)
	v_cmp_neq_f16_e32 vcc_lo, v61, v62
	s_and_b32 s25, vcc_lo, exec_lo
	s_delay_alu instid0(SALU_CYCLE_1)
	s_or_b32 s25, s0, s25
.LBB1293_513:                           ;   in Loop: Header=BB1293_514 Depth=1
	v_dual_mov_b32 v62, s21 :: v_dual_mov_b32 v61, s20
	s_and_b32 s0, exec_lo, s25
	s_delay_alu instid0(SALU_CYCLE_1) | instskip(NEXT) | instid1(SALU_CYCLE_1)
	s_or_b32 s24, s0, s24
	s_and_not1_b32 exec_lo, exec_lo, s24
	s_cbranch_execz .LBB1293_517
.LBB1293_514:                           ; =>This Inner Loop Header: Depth=1
	s_or_b32 s25, s25, exec_lo
	s_cmp_eq_u64 s[14:15], s[20:21]
	s_cbranch_scc0 .LBB1293_512
; %bb.515:                              ;   in Loop: Header=BB1293_514 Depth=1
	s_mov_b64 s[20:21], s[8:9]
                                        ; implicit-def: $vgpr57_vgpr58
                                        ; implicit-def: $vgpr59_vgpr60
	s_branch .LBB1293_513
.LBB1293_516:
	v_mov_b32_e32 v143, 0
	v_mov_b32_e32 v144, 0
	s_branch .LBB1293_519
.LBB1293_517:
	s_set_inst_prefetch_distance 0x2
	s_or_b32 exec_lo, exec_lo, s24
	v_cmp_gt_i64_e32 vcc_lo, s[8:9], v[61:62]
	s_mov_b32 s0, 0
	s_delay_alu instid0(SALU_CYCLE_1)
	v_mov_b32_e32 v144, s0
	v_cndmask_b32_e64 v143, 0, 1, vcc_lo
.LBB1293_518:
	s_or_b32 exec_lo, exec_lo, s23
.LBB1293_519:
	s_delay_alu instid0(SALU_CYCLE_1) | instskip(SKIP_3) | instid1(VALU_DEP_2)
	s_or_b32 exec_lo, exec_lo, s22
	v_dual_mov_b32 v146, v32 :: v_dual_add_nc_u32 v57, 11, v64
	v_mov_b32_e32 v145, v31
	s_mov_b32 s22, exec_lo
	v_cmpx_gt_u32_e64 s3, v57
	s_cbranch_execz .LBB1293_530
; %bb.520:
	v_cmp_ne_u32_e32 vcc_lo, 1, v63
	s_cbranch_vccnz .LBB1293_527
; %bb.521:
	v_mul_lo_u32 v61, v32, s8
	v_mul_lo_u32 v62, v31, s9
	v_mad_u64_u32 v[57:58], null, v31, s8, 0
	v_mul_lo_u32 v65, v30, s8
	v_mul_lo_u32 v66, v29, s9
	v_mad_u64_u32 v[59:60], null, v29, s8, 0
	v_mov_b32_e32 v145, 1
	v_mov_b32_e32 v146, 0
	v_add3_u32 v58, v58, v62, v61
	s_mov_b32 s23, exec_lo
	s_delay_alu instid0(VALU_DEP_4) | instskip(NEXT) | instid1(VALU_DEP_2)
	v_add3_u32 v60, v60, v66, v65
	v_lshlrev_b64 v[57:58], 1, v[57:58]
	s_delay_alu instid0(VALU_DEP_2) | instskip(NEXT) | instid1(VALU_DEP_2)
	v_lshlrev_b64 v[61:62], 1, v[59:60]
	v_add_co_u32 v59, vcc_lo, s10, v57
	s_delay_alu instid0(VALU_DEP_3) | instskip(NEXT) | instid1(VALU_DEP_3)
	v_add_co_ci_u32_e32 v60, vcc_lo, s11, v58, vcc_lo
	v_add_co_u32 v57, vcc_lo, s10, v61
	s_delay_alu instid0(VALU_DEP_4)
	v_add_co_ci_u32_e32 v58, vcc_lo, s11, v62, vcc_lo
	s_clause 0x1
	global_load_u16 v61, v[59:60], off
	global_load_u16 v62, v[57:58], off
	s_waitcnt vmcnt(0)
	v_cmpx_eq_f16_e32 v61, v62
	s_cbranch_execz .LBB1293_529
; %bb.522:
	v_add_co_u32 v57, vcc_lo, v57, 2
	v_add_co_ci_u32_e32 v58, vcc_lo, 0, v58, vcc_lo
	v_add_co_u32 v59, vcc_lo, v59, 2
	v_add_co_ci_u32_e32 v60, vcc_lo, 0, v60, vcc_lo
	s_add_u32 s14, s8, -1
	s_addc_u32 s15, s9, -1
	s_mov_b64 s[20:21], 0
	s_mov_b32 s24, 0
                                        ; implicit-def: $sgpr25
	s_set_inst_prefetch_distance 0x1
	s_branch .LBB1293_525
	.p2align	6
.LBB1293_523:                           ;   in Loop: Header=BB1293_525 Depth=1
	global_load_u16 v61, v[59:60], off
	global_load_u16 v62, v[57:58], off
	v_add_co_u32 v57, vcc_lo, v57, 2
	v_add_co_ci_u32_e32 v58, vcc_lo, 0, v58, vcc_lo
	v_add_co_u32 v59, s0, v59, 2
	s_delay_alu instid0(VALU_DEP_1)
	v_add_co_ci_u32_e64 v60, s0, 0, v60, s0
	s_add_u32 s20, s20, 1
	s_addc_u32 s21, s21, 0
	s_and_not1_b32 s0, s25, exec_lo
	s_waitcnt vmcnt(0)
	v_cmp_neq_f16_e32 vcc_lo, v61, v62
	s_and_b32 s25, vcc_lo, exec_lo
	s_delay_alu instid0(SALU_CYCLE_1)
	s_or_b32 s25, s0, s25
.LBB1293_524:                           ;   in Loop: Header=BB1293_525 Depth=1
	v_dual_mov_b32 v62, s21 :: v_dual_mov_b32 v61, s20
	s_and_b32 s0, exec_lo, s25
	s_delay_alu instid0(SALU_CYCLE_1) | instskip(NEXT) | instid1(SALU_CYCLE_1)
	s_or_b32 s24, s0, s24
	s_and_not1_b32 exec_lo, exec_lo, s24
	s_cbranch_execz .LBB1293_528
.LBB1293_525:                           ; =>This Inner Loop Header: Depth=1
	s_or_b32 s25, s25, exec_lo
	s_cmp_eq_u64 s[14:15], s[20:21]
	s_cbranch_scc0 .LBB1293_523
; %bb.526:                              ;   in Loop: Header=BB1293_525 Depth=1
	s_mov_b64 s[20:21], s[8:9]
                                        ; implicit-def: $vgpr57_vgpr58
                                        ; implicit-def: $vgpr59_vgpr60
	s_branch .LBB1293_524
.LBB1293_527:
	v_mov_b32_e32 v145, 0
	v_mov_b32_e32 v146, 0
	s_branch .LBB1293_530
.LBB1293_528:
	s_set_inst_prefetch_distance 0x2
	s_or_b32 exec_lo, exec_lo, s24
	v_cmp_gt_i64_e32 vcc_lo, s[8:9], v[61:62]
	s_mov_b32 s0, 0
	s_delay_alu instid0(SALU_CYCLE_1)
	v_mov_b32_e32 v146, s0
	v_cndmask_b32_e64 v145, 0, 1, vcc_lo
.LBB1293_529:
	s_or_b32 exec_lo, exec_lo, s23
.LBB1293_530:
	s_delay_alu instid0(SALU_CYCLE_1) | instskip(SKIP_3) | instid1(VALU_DEP_2)
	s_or_b32 exec_lo, exec_lo, s22
	v_dual_mov_b32 v148, v30 :: v_dual_add_nc_u32 v57, 10, v64
	v_mov_b32_e32 v147, v29
	s_mov_b32 s22, exec_lo
	v_cmpx_gt_u32_e64 s3, v57
	s_cbranch_execz .LBB1293_541
; %bb.531:
	v_cmp_ne_u32_e32 vcc_lo, 1, v63
	s_cbranch_vccnz .LBB1293_538
; %bb.532:
	v_mul_lo_u32 v61, v30, s8
	v_mul_lo_u32 v62, v29, s9
	v_mad_u64_u32 v[57:58], null, v29, s8, 0
	v_mul_lo_u32 v65, v28, s8
	v_mul_lo_u32 v66, v27, s9
	v_mad_u64_u32 v[59:60], null, v27, s8, 0
	v_mov_b32_e32 v147, 1
	v_mov_b32_e32 v148, 0
	v_add3_u32 v58, v58, v62, v61
	s_mov_b32 s23, exec_lo
	s_delay_alu instid0(VALU_DEP_4) | instskip(NEXT) | instid1(VALU_DEP_2)
	v_add3_u32 v60, v60, v66, v65
	v_lshlrev_b64 v[57:58], 1, v[57:58]
	s_delay_alu instid0(VALU_DEP_2) | instskip(NEXT) | instid1(VALU_DEP_2)
	v_lshlrev_b64 v[61:62], 1, v[59:60]
	v_add_co_u32 v59, vcc_lo, s10, v57
	s_delay_alu instid0(VALU_DEP_3) | instskip(NEXT) | instid1(VALU_DEP_3)
	v_add_co_ci_u32_e32 v60, vcc_lo, s11, v58, vcc_lo
	v_add_co_u32 v57, vcc_lo, s10, v61
	s_delay_alu instid0(VALU_DEP_4)
	v_add_co_ci_u32_e32 v58, vcc_lo, s11, v62, vcc_lo
	s_clause 0x1
	global_load_u16 v61, v[59:60], off
	global_load_u16 v62, v[57:58], off
	s_waitcnt vmcnt(0)
	v_cmpx_eq_f16_e32 v61, v62
	s_cbranch_execz .LBB1293_540
; %bb.533:
	v_add_co_u32 v57, vcc_lo, v57, 2
	v_add_co_ci_u32_e32 v58, vcc_lo, 0, v58, vcc_lo
	v_add_co_u32 v59, vcc_lo, v59, 2
	v_add_co_ci_u32_e32 v60, vcc_lo, 0, v60, vcc_lo
	s_add_u32 s14, s8, -1
	s_addc_u32 s15, s9, -1
	s_mov_b64 s[20:21], 0
	s_mov_b32 s24, 0
                                        ; implicit-def: $sgpr25
	s_set_inst_prefetch_distance 0x1
	s_branch .LBB1293_536
	.p2align	6
.LBB1293_534:                           ;   in Loop: Header=BB1293_536 Depth=1
	global_load_u16 v61, v[59:60], off
	global_load_u16 v62, v[57:58], off
	v_add_co_u32 v57, vcc_lo, v57, 2
	v_add_co_ci_u32_e32 v58, vcc_lo, 0, v58, vcc_lo
	v_add_co_u32 v59, s0, v59, 2
	s_delay_alu instid0(VALU_DEP_1)
	v_add_co_ci_u32_e64 v60, s0, 0, v60, s0
	s_add_u32 s20, s20, 1
	s_addc_u32 s21, s21, 0
	s_and_not1_b32 s0, s25, exec_lo
	s_waitcnt vmcnt(0)
	v_cmp_neq_f16_e32 vcc_lo, v61, v62
	s_and_b32 s25, vcc_lo, exec_lo
	s_delay_alu instid0(SALU_CYCLE_1)
	s_or_b32 s25, s0, s25
.LBB1293_535:                           ;   in Loop: Header=BB1293_536 Depth=1
	v_dual_mov_b32 v62, s21 :: v_dual_mov_b32 v61, s20
	s_and_b32 s0, exec_lo, s25
	s_delay_alu instid0(SALU_CYCLE_1) | instskip(NEXT) | instid1(SALU_CYCLE_1)
	s_or_b32 s24, s0, s24
	s_and_not1_b32 exec_lo, exec_lo, s24
	s_cbranch_execz .LBB1293_539
.LBB1293_536:                           ; =>This Inner Loop Header: Depth=1
	s_or_b32 s25, s25, exec_lo
	s_cmp_eq_u64 s[14:15], s[20:21]
	s_cbranch_scc0 .LBB1293_534
; %bb.537:                              ;   in Loop: Header=BB1293_536 Depth=1
	s_mov_b64 s[20:21], s[8:9]
                                        ; implicit-def: $vgpr57_vgpr58
                                        ; implicit-def: $vgpr59_vgpr60
	s_branch .LBB1293_535
.LBB1293_538:
	v_mov_b32_e32 v147, 0
	v_mov_b32_e32 v148, 0
	s_branch .LBB1293_541
.LBB1293_539:
	s_set_inst_prefetch_distance 0x2
	s_or_b32 exec_lo, exec_lo, s24
	v_cmp_gt_i64_e32 vcc_lo, s[8:9], v[61:62]
	s_mov_b32 s0, 0
	s_delay_alu instid0(SALU_CYCLE_1)
	v_mov_b32_e32 v148, s0
	v_cndmask_b32_e64 v147, 0, 1, vcc_lo
.LBB1293_540:
	s_or_b32 exec_lo, exec_lo, s23
.LBB1293_541:
	s_delay_alu instid0(SALU_CYCLE_1) | instskip(SKIP_3) | instid1(VALU_DEP_2)
	s_or_b32 exec_lo, exec_lo, s22
	v_dual_mov_b32 v150, v28 :: v_dual_add_nc_u32 v57, 9, v64
	v_mov_b32_e32 v149, v27
	s_mov_b32 s22, exec_lo
	v_cmpx_gt_u32_e64 s3, v57
	s_cbranch_execz .LBB1293_552
; %bb.542:
	v_cmp_ne_u32_e32 vcc_lo, 1, v63
	s_cbranch_vccnz .LBB1293_549
; %bb.543:
	v_mul_lo_u32 v61, v28, s8
	v_mul_lo_u32 v62, v27, s9
	v_mad_u64_u32 v[57:58], null, v27, s8, 0
	v_mul_lo_u32 v65, v26, s8
	v_mul_lo_u32 v66, v25, s9
	v_mad_u64_u32 v[59:60], null, v25, s8, 0
	v_mov_b32_e32 v149, 1
	v_mov_b32_e32 v150, 0
	v_add3_u32 v58, v58, v62, v61
	s_mov_b32 s23, exec_lo
	s_delay_alu instid0(VALU_DEP_4) | instskip(NEXT) | instid1(VALU_DEP_2)
	v_add3_u32 v60, v60, v66, v65
	v_lshlrev_b64 v[57:58], 1, v[57:58]
	s_delay_alu instid0(VALU_DEP_2) | instskip(NEXT) | instid1(VALU_DEP_2)
	v_lshlrev_b64 v[61:62], 1, v[59:60]
	v_add_co_u32 v59, vcc_lo, s10, v57
	s_delay_alu instid0(VALU_DEP_3) | instskip(NEXT) | instid1(VALU_DEP_3)
	v_add_co_ci_u32_e32 v60, vcc_lo, s11, v58, vcc_lo
	v_add_co_u32 v57, vcc_lo, s10, v61
	s_delay_alu instid0(VALU_DEP_4)
	v_add_co_ci_u32_e32 v58, vcc_lo, s11, v62, vcc_lo
	s_clause 0x1
	global_load_u16 v61, v[59:60], off
	global_load_u16 v62, v[57:58], off
	s_waitcnt vmcnt(0)
	v_cmpx_eq_f16_e32 v61, v62
	s_cbranch_execz .LBB1293_551
; %bb.544:
	v_add_co_u32 v57, vcc_lo, v57, 2
	v_add_co_ci_u32_e32 v58, vcc_lo, 0, v58, vcc_lo
	v_add_co_u32 v59, vcc_lo, v59, 2
	v_add_co_ci_u32_e32 v60, vcc_lo, 0, v60, vcc_lo
	s_add_u32 s14, s8, -1
	s_addc_u32 s15, s9, -1
	s_mov_b64 s[20:21], 0
	s_mov_b32 s24, 0
                                        ; implicit-def: $sgpr25
	s_set_inst_prefetch_distance 0x1
	s_branch .LBB1293_547
	.p2align	6
.LBB1293_545:                           ;   in Loop: Header=BB1293_547 Depth=1
	global_load_u16 v61, v[59:60], off
	global_load_u16 v62, v[57:58], off
	v_add_co_u32 v57, vcc_lo, v57, 2
	v_add_co_ci_u32_e32 v58, vcc_lo, 0, v58, vcc_lo
	v_add_co_u32 v59, s0, v59, 2
	s_delay_alu instid0(VALU_DEP_1)
	v_add_co_ci_u32_e64 v60, s0, 0, v60, s0
	s_add_u32 s20, s20, 1
	s_addc_u32 s21, s21, 0
	s_and_not1_b32 s0, s25, exec_lo
	s_waitcnt vmcnt(0)
	v_cmp_neq_f16_e32 vcc_lo, v61, v62
	s_and_b32 s25, vcc_lo, exec_lo
	s_delay_alu instid0(SALU_CYCLE_1)
	s_or_b32 s25, s0, s25
.LBB1293_546:                           ;   in Loop: Header=BB1293_547 Depth=1
	v_dual_mov_b32 v62, s21 :: v_dual_mov_b32 v61, s20
	s_and_b32 s0, exec_lo, s25
	s_delay_alu instid0(SALU_CYCLE_1) | instskip(NEXT) | instid1(SALU_CYCLE_1)
	s_or_b32 s24, s0, s24
	s_and_not1_b32 exec_lo, exec_lo, s24
	s_cbranch_execz .LBB1293_550
.LBB1293_547:                           ; =>This Inner Loop Header: Depth=1
	s_or_b32 s25, s25, exec_lo
	s_cmp_eq_u64 s[14:15], s[20:21]
	s_cbranch_scc0 .LBB1293_545
; %bb.548:                              ;   in Loop: Header=BB1293_547 Depth=1
	s_mov_b64 s[20:21], s[8:9]
                                        ; implicit-def: $vgpr57_vgpr58
                                        ; implicit-def: $vgpr59_vgpr60
	s_branch .LBB1293_546
.LBB1293_549:
	v_mov_b32_e32 v149, 0
	v_mov_b32_e32 v150, 0
	s_branch .LBB1293_552
.LBB1293_550:
	s_set_inst_prefetch_distance 0x2
	s_or_b32 exec_lo, exec_lo, s24
	v_cmp_gt_i64_e32 vcc_lo, s[8:9], v[61:62]
	s_mov_b32 s0, 0
	s_delay_alu instid0(SALU_CYCLE_1)
	v_mov_b32_e32 v150, s0
	v_cndmask_b32_e64 v149, 0, 1, vcc_lo
.LBB1293_551:
	s_or_b32 exec_lo, exec_lo, s23
.LBB1293_552:
	s_delay_alu instid0(SALU_CYCLE_1) | instskip(SKIP_3) | instid1(VALU_DEP_2)
	s_or_b32 exec_lo, exec_lo, s22
	v_dual_mov_b32 v152, v26 :: v_dual_add_nc_u32 v57, 8, v64
	v_mov_b32_e32 v151, v25
	s_mov_b32 s22, exec_lo
	v_cmpx_gt_u32_e64 s3, v57
	s_cbranch_execz .LBB1293_563
; %bb.553:
	v_cmp_ne_u32_e32 vcc_lo, 1, v63
	s_cbranch_vccnz .LBB1293_560
; %bb.554:
	v_mul_lo_u32 v61, v26, s8
	v_mul_lo_u32 v62, v25, s9
	v_mad_u64_u32 v[57:58], null, v25, s8, 0
	v_mul_lo_u32 v65, v24, s8
	v_mul_lo_u32 v66, v23, s9
	v_mad_u64_u32 v[59:60], null, v23, s8, 0
	v_mov_b32_e32 v151, 1
	v_mov_b32_e32 v152, 0
	v_add3_u32 v58, v58, v62, v61
	s_mov_b32 s23, exec_lo
	s_delay_alu instid0(VALU_DEP_4) | instskip(NEXT) | instid1(VALU_DEP_2)
	v_add3_u32 v60, v60, v66, v65
	v_lshlrev_b64 v[57:58], 1, v[57:58]
	s_delay_alu instid0(VALU_DEP_2) | instskip(NEXT) | instid1(VALU_DEP_2)
	v_lshlrev_b64 v[61:62], 1, v[59:60]
	v_add_co_u32 v59, vcc_lo, s10, v57
	s_delay_alu instid0(VALU_DEP_3) | instskip(NEXT) | instid1(VALU_DEP_3)
	v_add_co_ci_u32_e32 v60, vcc_lo, s11, v58, vcc_lo
	v_add_co_u32 v57, vcc_lo, s10, v61
	s_delay_alu instid0(VALU_DEP_4)
	v_add_co_ci_u32_e32 v58, vcc_lo, s11, v62, vcc_lo
	s_clause 0x1
	global_load_u16 v61, v[59:60], off
	global_load_u16 v62, v[57:58], off
	s_waitcnt vmcnt(0)
	v_cmpx_eq_f16_e32 v61, v62
	s_cbranch_execz .LBB1293_562
; %bb.555:
	v_add_co_u32 v57, vcc_lo, v57, 2
	v_add_co_ci_u32_e32 v58, vcc_lo, 0, v58, vcc_lo
	v_add_co_u32 v59, vcc_lo, v59, 2
	v_add_co_ci_u32_e32 v60, vcc_lo, 0, v60, vcc_lo
	s_add_u32 s14, s8, -1
	s_addc_u32 s15, s9, -1
	s_mov_b64 s[20:21], 0
	s_mov_b32 s24, 0
                                        ; implicit-def: $sgpr25
	s_set_inst_prefetch_distance 0x1
	s_branch .LBB1293_558
	.p2align	6
.LBB1293_556:                           ;   in Loop: Header=BB1293_558 Depth=1
	global_load_u16 v61, v[59:60], off
	global_load_u16 v62, v[57:58], off
	v_add_co_u32 v57, vcc_lo, v57, 2
	v_add_co_ci_u32_e32 v58, vcc_lo, 0, v58, vcc_lo
	v_add_co_u32 v59, s0, v59, 2
	s_delay_alu instid0(VALU_DEP_1)
	v_add_co_ci_u32_e64 v60, s0, 0, v60, s0
	s_add_u32 s20, s20, 1
	s_addc_u32 s21, s21, 0
	s_and_not1_b32 s0, s25, exec_lo
	s_waitcnt vmcnt(0)
	v_cmp_neq_f16_e32 vcc_lo, v61, v62
	s_and_b32 s25, vcc_lo, exec_lo
	s_delay_alu instid0(SALU_CYCLE_1)
	s_or_b32 s25, s0, s25
.LBB1293_557:                           ;   in Loop: Header=BB1293_558 Depth=1
	v_dual_mov_b32 v62, s21 :: v_dual_mov_b32 v61, s20
	s_and_b32 s0, exec_lo, s25
	s_delay_alu instid0(SALU_CYCLE_1) | instskip(NEXT) | instid1(SALU_CYCLE_1)
	s_or_b32 s24, s0, s24
	s_and_not1_b32 exec_lo, exec_lo, s24
	s_cbranch_execz .LBB1293_561
.LBB1293_558:                           ; =>This Inner Loop Header: Depth=1
	s_or_b32 s25, s25, exec_lo
	s_cmp_eq_u64 s[14:15], s[20:21]
	s_cbranch_scc0 .LBB1293_556
; %bb.559:                              ;   in Loop: Header=BB1293_558 Depth=1
	s_mov_b64 s[20:21], s[8:9]
                                        ; implicit-def: $vgpr57_vgpr58
                                        ; implicit-def: $vgpr59_vgpr60
	s_branch .LBB1293_557
.LBB1293_560:
	v_mov_b32_e32 v151, 0
	v_mov_b32_e32 v152, 0
	s_branch .LBB1293_563
.LBB1293_561:
	s_set_inst_prefetch_distance 0x2
	s_or_b32 exec_lo, exec_lo, s24
	v_cmp_gt_i64_e32 vcc_lo, s[8:9], v[61:62]
	s_mov_b32 s0, 0
	s_delay_alu instid0(SALU_CYCLE_1)
	v_mov_b32_e32 v152, s0
	v_cndmask_b32_e64 v151, 0, 1, vcc_lo
.LBB1293_562:
	s_or_b32 exec_lo, exec_lo, s23
.LBB1293_563:
	s_delay_alu instid0(SALU_CYCLE_1) | instskip(SKIP_3) | instid1(VALU_DEP_2)
	s_or_b32 exec_lo, exec_lo, s22
	v_dual_mov_b32 v154, v24 :: v_dual_add_nc_u32 v57, 7, v64
	v_mov_b32_e32 v153, v23
	s_mov_b32 s22, exec_lo
	v_cmpx_gt_u32_e64 s3, v57
	s_cbranch_execz .LBB1293_574
; %bb.564:
	v_cmp_ne_u32_e32 vcc_lo, 1, v63
	s_cbranch_vccnz .LBB1293_571
; %bb.565:
	v_mul_lo_u32 v61, v24, s8
	v_mul_lo_u32 v62, v23, s9
	v_mad_u64_u32 v[57:58], null, v23, s8, 0
	v_mul_lo_u32 v65, v22, s8
	v_mul_lo_u32 v66, v21, s9
	v_mad_u64_u32 v[59:60], null, v21, s8, 0
	v_mov_b32_e32 v153, 1
	v_mov_b32_e32 v154, 0
	v_add3_u32 v58, v58, v62, v61
	s_mov_b32 s23, exec_lo
	s_delay_alu instid0(VALU_DEP_4) | instskip(NEXT) | instid1(VALU_DEP_2)
	v_add3_u32 v60, v60, v66, v65
	v_lshlrev_b64 v[57:58], 1, v[57:58]
	s_delay_alu instid0(VALU_DEP_2) | instskip(NEXT) | instid1(VALU_DEP_2)
	v_lshlrev_b64 v[61:62], 1, v[59:60]
	v_add_co_u32 v59, vcc_lo, s10, v57
	s_delay_alu instid0(VALU_DEP_3) | instskip(NEXT) | instid1(VALU_DEP_3)
	v_add_co_ci_u32_e32 v60, vcc_lo, s11, v58, vcc_lo
	v_add_co_u32 v57, vcc_lo, s10, v61
	s_delay_alu instid0(VALU_DEP_4)
	v_add_co_ci_u32_e32 v58, vcc_lo, s11, v62, vcc_lo
	s_clause 0x1
	global_load_u16 v61, v[59:60], off
	global_load_u16 v62, v[57:58], off
	s_waitcnt vmcnt(0)
	v_cmpx_eq_f16_e32 v61, v62
	s_cbranch_execz .LBB1293_573
; %bb.566:
	v_add_co_u32 v57, vcc_lo, v57, 2
	v_add_co_ci_u32_e32 v58, vcc_lo, 0, v58, vcc_lo
	v_add_co_u32 v59, vcc_lo, v59, 2
	v_add_co_ci_u32_e32 v60, vcc_lo, 0, v60, vcc_lo
	s_add_u32 s14, s8, -1
	s_addc_u32 s15, s9, -1
	s_mov_b64 s[20:21], 0
	s_mov_b32 s24, 0
                                        ; implicit-def: $sgpr25
	s_set_inst_prefetch_distance 0x1
	s_branch .LBB1293_569
	.p2align	6
.LBB1293_567:                           ;   in Loop: Header=BB1293_569 Depth=1
	global_load_u16 v61, v[59:60], off
	global_load_u16 v62, v[57:58], off
	v_add_co_u32 v57, vcc_lo, v57, 2
	v_add_co_ci_u32_e32 v58, vcc_lo, 0, v58, vcc_lo
	v_add_co_u32 v59, s0, v59, 2
	s_delay_alu instid0(VALU_DEP_1)
	v_add_co_ci_u32_e64 v60, s0, 0, v60, s0
	s_add_u32 s20, s20, 1
	s_addc_u32 s21, s21, 0
	s_and_not1_b32 s0, s25, exec_lo
	s_waitcnt vmcnt(0)
	v_cmp_neq_f16_e32 vcc_lo, v61, v62
	s_and_b32 s25, vcc_lo, exec_lo
	s_delay_alu instid0(SALU_CYCLE_1)
	s_or_b32 s25, s0, s25
.LBB1293_568:                           ;   in Loop: Header=BB1293_569 Depth=1
	v_dual_mov_b32 v62, s21 :: v_dual_mov_b32 v61, s20
	s_and_b32 s0, exec_lo, s25
	s_delay_alu instid0(SALU_CYCLE_1) | instskip(NEXT) | instid1(SALU_CYCLE_1)
	s_or_b32 s24, s0, s24
	s_and_not1_b32 exec_lo, exec_lo, s24
	s_cbranch_execz .LBB1293_572
.LBB1293_569:                           ; =>This Inner Loop Header: Depth=1
	s_or_b32 s25, s25, exec_lo
	s_cmp_eq_u64 s[14:15], s[20:21]
	s_cbranch_scc0 .LBB1293_567
; %bb.570:                              ;   in Loop: Header=BB1293_569 Depth=1
	s_mov_b64 s[20:21], s[8:9]
                                        ; implicit-def: $vgpr57_vgpr58
                                        ; implicit-def: $vgpr59_vgpr60
	s_branch .LBB1293_568
.LBB1293_571:
	v_mov_b32_e32 v153, 0
	v_mov_b32_e32 v154, 0
	s_branch .LBB1293_574
.LBB1293_572:
	s_set_inst_prefetch_distance 0x2
	s_or_b32 exec_lo, exec_lo, s24
	v_cmp_gt_i64_e32 vcc_lo, s[8:9], v[61:62]
	s_mov_b32 s0, 0
	s_delay_alu instid0(SALU_CYCLE_1)
	v_mov_b32_e32 v154, s0
	v_cndmask_b32_e64 v153, 0, 1, vcc_lo
.LBB1293_573:
	s_or_b32 exec_lo, exec_lo, s23
.LBB1293_574:
	s_delay_alu instid0(SALU_CYCLE_1) | instskip(SKIP_3) | instid1(VALU_DEP_2)
	s_or_b32 exec_lo, exec_lo, s22
	v_dual_mov_b32 v156, v22 :: v_dual_add_nc_u32 v57, 6, v64
	v_mov_b32_e32 v155, v21
	s_mov_b32 s22, exec_lo
	v_cmpx_gt_u32_e64 s3, v57
	s_cbranch_execz .LBB1293_585
; %bb.575:
	v_cmp_ne_u32_e32 vcc_lo, 1, v63
	s_cbranch_vccnz .LBB1293_582
; %bb.576:
	v_mul_lo_u32 v61, v22, s8
	v_mul_lo_u32 v62, v21, s9
	v_mad_u64_u32 v[57:58], null, v21, s8, 0
	v_mul_lo_u32 v65, v20, s8
	v_mul_lo_u32 v66, v19, s9
	v_mad_u64_u32 v[59:60], null, v19, s8, 0
	v_mov_b32_e32 v155, 1
	v_mov_b32_e32 v156, 0
	v_add3_u32 v58, v58, v62, v61
	s_mov_b32 s23, exec_lo
	s_delay_alu instid0(VALU_DEP_4) | instskip(NEXT) | instid1(VALU_DEP_2)
	v_add3_u32 v60, v60, v66, v65
	v_lshlrev_b64 v[57:58], 1, v[57:58]
	s_delay_alu instid0(VALU_DEP_2) | instskip(NEXT) | instid1(VALU_DEP_2)
	v_lshlrev_b64 v[61:62], 1, v[59:60]
	v_add_co_u32 v59, vcc_lo, s10, v57
	s_delay_alu instid0(VALU_DEP_3) | instskip(NEXT) | instid1(VALU_DEP_3)
	v_add_co_ci_u32_e32 v60, vcc_lo, s11, v58, vcc_lo
	v_add_co_u32 v57, vcc_lo, s10, v61
	s_delay_alu instid0(VALU_DEP_4)
	v_add_co_ci_u32_e32 v58, vcc_lo, s11, v62, vcc_lo
	s_clause 0x1
	global_load_u16 v61, v[59:60], off
	global_load_u16 v62, v[57:58], off
	s_waitcnt vmcnt(0)
	v_cmpx_eq_f16_e32 v61, v62
	s_cbranch_execz .LBB1293_584
; %bb.577:
	v_add_co_u32 v57, vcc_lo, v57, 2
	v_add_co_ci_u32_e32 v58, vcc_lo, 0, v58, vcc_lo
	v_add_co_u32 v59, vcc_lo, v59, 2
	v_add_co_ci_u32_e32 v60, vcc_lo, 0, v60, vcc_lo
	s_add_u32 s14, s8, -1
	s_addc_u32 s15, s9, -1
	s_mov_b64 s[20:21], 0
	s_mov_b32 s24, 0
                                        ; implicit-def: $sgpr25
	s_set_inst_prefetch_distance 0x1
	s_branch .LBB1293_580
	.p2align	6
.LBB1293_578:                           ;   in Loop: Header=BB1293_580 Depth=1
	global_load_u16 v61, v[59:60], off
	global_load_u16 v62, v[57:58], off
	v_add_co_u32 v57, vcc_lo, v57, 2
	v_add_co_ci_u32_e32 v58, vcc_lo, 0, v58, vcc_lo
	v_add_co_u32 v59, s0, v59, 2
	s_delay_alu instid0(VALU_DEP_1)
	v_add_co_ci_u32_e64 v60, s0, 0, v60, s0
	s_add_u32 s20, s20, 1
	s_addc_u32 s21, s21, 0
	s_and_not1_b32 s0, s25, exec_lo
	s_waitcnt vmcnt(0)
	v_cmp_neq_f16_e32 vcc_lo, v61, v62
	s_and_b32 s25, vcc_lo, exec_lo
	s_delay_alu instid0(SALU_CYCLE_1)
	s_or_b32 s25, s0, s25
.LBB1293_579:                           ;   in Loop: Header=BB1293_580 Depth=1
	v_dual_mov_b32 v62, s21 :: v_dual_mov_b32 v61, s20
	s_and_b32 s0, exec_lo, s25
	s_delay_alu instid0(SALU_CYCLE_1) | instskip(NEXT) | instid1(SALU_CYCLE_1)
	s_or_b32 s24, s0, s24
	s_and_not1_b32 exec_lo, exec_lo, s24
	s_cbranch_execz .LBB1293_583
.LBB1293_580:                           ; =>This Inner Loop Header: Depth=1
	s_or_b32 s25, s25, exec_lo
	s_cmp_eq_u64 s[14:15], s[20:21]
	s_cbranch_scc0 .LBB1293_578
; %bb.581:                              ;   in Loop: Header=BB1293_580 Depth=1
	s_mov_b64 s[20:21], s[8:9]
                                        ; implicit-def: $vgpr57_vgpr58
                                        ; implicit-def: $vgpr59_vgpr60
	s_branch .LBB1293_579
.LBB1293_582:
	v_mov_b32_e32 v155, 0
	v_mov_b32_e32 v156, 0
	s_branch .LBB1293_585
.LBB1293_583:
	s_set_inst_prefetch_distance 0x2
	s_or_b32 exec_lo, exec_lo, s24
	v_cmp_gt_i64_e32 vcc_lo, s[8:9], v[61:62]
	s_mov_b32 s0, 0
	s_delay_alu instid0(SALU_CYCLE_1)
	v_mov_b32_e32 v156, s0
	v_cndmask_b32_e64 v155, 0, 1, vcc_lo
.LBB1293_584:
	s_or_b32 exec_lo, exec_lo, s23
.LBB1293_585:
	s_delay_alu instid0(SALU_CYCLE_1) | instskip(SKIP_3) | instid1(VALU_DEP_2)
	s_or_b32 exec_lo, exec_lo, s22
	v_dual_mov_b32 v158, v20 :: v_dual_add_nc_u32 v57, 5, v64
	v_mov_b32_e32 v157, v19
	s_mov_b32 s22, exec_lo
	v_cmpx_gt_u32_e64 s3, v57
	s_cbranch_execz .LBB1293_596
; %bb.586:
	v_cmp_ne_u32_e32 vcc_lo, 1, v63
	s_cbranch_vccnz .LBB1293_593
; %bb.587:
	v_mul_lo_u32 v61, v20, s8
	v_mul_lo_u32 v62, v19, s9
	v_mad_u64_u32 v[57:58], null, v19, s8, 0
	v_mul_lo_u32 v65, v18, s8
	v_mul_lo_u32 v66, v17, s9
	v_mad_u64_u32 v[59:60], null, v17, s8, 0
	v_mov_b32_e32 v157, 1
	v_mov_b32_e32 v158, 0
	v_add3_u32 v58, v58, v62, v61
	s_mov_b32 s23, exec_lo
	s_delay_alu instid0(VALU_DEP_4) | instskip(NEXT) | instid1(VALU_DEP_2)
	v_add3_u32 v60, v60, v66, v65
	v_lshlrev_b64 v[57:58], 1, v[57:58]
	s_delay_alu instid0(VALU_DEP_2) | instskip(NEXT) | instid1(VALU_DEP_2)
	v_lshlrev_b64 v[61:62], 1, v[59:60]
	v_add_co_u32 v59, vcc_lo, s10, v57
	s_delay_alu instid0(VALU_DEP_3) | instskip(NEXT) | instid1(VALU_DEP_3)
	v_add_co_ci_u32_e32 v60, vcc_lo, s11, v58, vcc_lo
	v_add_co_u32 v57, vcc_lo, s10, v61
	s_delay_alu instid0(VALU_DEP_4)
	v_add_co_ci_u32_e32 v58, vcc_lo, s11, v62, vcc_lo
	s_clause 0x1
	global_load_u16 v61, v[59:60], off
	global_load_u16 v62, v[57:58], off
	s_waitcnt vmcnt(0)
	v_cmpx_eq_f16_e32 v61, v62
	s_cbranch_execz .LBB1293_595
; %bb.588:
	v_add_co_u32 v57, vcc_lo, v57, 2
	v_add_co_ci_u32_e32 v58, vcc_lo, 0, v58, vcc_lo
	v_add_co_u32 v59, vcc_lo, v59, 2
	v_add_co_ci_u32_e32 v60, vcc_lo, 0, v60, vcc_lo
	s_add_u32 s14, s8, -1
	s_addc_u32 s15, s9, -1
	s_mov_b64 s[20:21], 0
	s_mov_b32 s24, 0
                                        ; implicit-def: $sgpr25
	s_set_inst_prefetch_distance 0x1
	s_branch .LBB1293_591
	.p2align	6
.LBB1293_589:                           ;   in Loop: Header=BB1293_591 Depth=1
	global_load_u16 v61, v[59:60], off
	global_load_u16 v62, v[57:58], off
	v_add_co_u32 v57, vcc_lo, v57, 2
	v_add_co_ci_u32_e32 v58, vcc_lo, 0, v58, vcc_lo
	v_add_co_u32 v59, s0, v59, 2
	s_delay_alu instid0(VALU_DEP_1)
	v_add_co_ci_u32_e64 v60, s0, 0, v60, s0
	s_add_u32 s20, s20, 1
	s_addc_u32 s21, s21, 0
	s_and_not1_b32 s0, s25, exec_lo
	s_waitcnt vmcnt(0)
	v_cmp_neq_f16_e32 vcc_lo, v61, v62
	s_and_b32 s25, vcc_lo, exec_lo
	s_delay_alu instid0(SALU_CYCLE_1)
	s_or_b32 s25, s0, s25
.LBB1293_590:                           ;   in Loop: Header=BB1293_591 Depth=1
	v_dual_mov_b32 v62, s21 :: v_dual_mov_b32 v61, s20
	s_and_b32 s0, exec_lo, s25
	s_delay_alu instid0(SALU_CYCLE_1) | instskip(NEXT) | instid1(SALU_CYCLE_1)
	s_or_b32 s24, s0, s24
	s_and_not1_b32 exec_lo, exec_lo, s24
	s_cbranch_execz .LBB1293_594
.LBB1293_591:                           ; =>This Inner Loop Header: Depth=1
	s_or_b32 s25, s25, exec_lo
	s_cmp_eq_u64 s[14:15], s[20:21]
	s_cbranch_scc0 .LBB1293_589
; %bb.592:                              ;   in Loop: Header=BB1293_591 Depth=1
	s_mov_b64 s[20:21], s[8:9]
                                        ; implicit-def: $vgpr57_vgpr58
                                        ; implicit-def: $vgpr59_vgpr60
	s_branch .LBB1293_590
.LBB1293_593:
	v_mov_b32_e32 v157, 0
	v_mov_b32_e32 v158, 0
	s_branch .LBB1293_596
.LBB1293_594:
	s_set_inst_prefetch_distance 0x2
	s_or_b32 exec_lo, exec_lo, s24
	v_cmp_gt_i64_e32 vcc_lo, s[8:9], v[61:62]
	s_mov_b32 s0, 0
	s_delay_alu instid0(SALU_CYCLE_1)
	v_mov_b32_e32 v158, s0
	v_cndmask_b32_e64 v157, 0, 1, vcc_lo
.LBB1293_595:
	s_or_b32 exec_lo, exec_lo, s23
.LBB1293_596:
	s_delay_alu instid0(SALU_CYCLE_1) | instskip(SKIP_3) | instid1(VALU_DEP_2)
	s_or_b32 exec_lo, exec_lo, s22
	v_dual_mov_b32 v160, v18 :: v_dual_add_nc_u32 v57, 4, v64
	v_mov_b32_e32 v159, v17
	s_mov_b32 s22, exec_lo
	v_cmpx_gt_u32_e64 s3, v57
	s_cbranch_execz .LBB1293_607
; %bb.597:
	v_cmp_ne_u32_e32 vcc_lo, 1, v63
	s_cbranch_vccnz .LBB1293_604
; %bb.598:
	v_mul_lo_u32 v61, v18, s8
	v_mul_lo_u32 v62, v17, s9
	v_mad_u64_u32 v[57:58], null, v17, s8, 0
	v_mul_lo_u32 v65, v16, s8
	v_mul_lo_u32 v66, v15, s9
	v_mad_u64_u32 v[59:60], null, v15, s8, 0
	v_mov_b32_e32 v159, 1
	v_mov_b32_e32 v160, 0
	v_add3_u32 v58, v58, v62, v61
	s_mov_b32 s23, exec_lo
	s_delay_alu instid0(VALU_DEP_4) | instskip(NEXT) | instid1(VALU_DEP_2)
	v_add3_u32 v60, v60, v66, v65
	v_lshlrev_b64 v[57:58], 1, v[57:58]
	s_delay_alu instid0(VALU_DEP_2) | instskip(NEXT) | instid1(VALU_DEP_2)
	v_lshlrev_b64 v[61:62], 1, v[59:60]
	v_add_co_u32 v59, vcc_lo, s10, v57
	s_delay_alu instid0(VALU_DEP_3) | instskip(NEXT) | instid1(VALU_DEP_3)
	v_add_co_ci_u32_e32 v60, vcc_lo, s11, v58, vcc_lo
	v_add_co_u32 v57, vcc_lo, s10, v61
	s_delay_alu instid0(VALU_DEP_4)
	v_add_co_ci_u32_e32 v58, vcc_lo, s11, v62, vcc_lo
	s_clause 0x1
	global_load_u16 v61, v[59:60], off
	global_load_u16 v62, v[57:58], off
	s_waitcnt vmcnt(0)
	v_cmpx_eq_f16_e32 v61, v62
	s_cbranch_execz .LBB1293_606
; %bb.599:
	v_add_co_u32 v57, vcc_lo, v57, 2
	v_add_co_ci_u32_e32 v58, vcc_lo, 0, v58, vcc_lo
	v_add_co_u32 v59, vcc_lo, v59, 2
	v_add_co_ci_u32_e32 v60, vcc_lo, 0, v60, vcc_lo
	s_add_u32 s14, s8, -1
	s_addc_u32 s15, s9, -1
	s_mov_b64 s[20:21], 0
	s_mov_b32 s24, 0
                                        ; implicit-def: $sgpr25
	s_set_inst_prefetch_distance 0x1
	s_branch .LBB1293_602
	.p2align	6
.LBB1293_600:                           ;   in Loop: Header=BB1293_602 Depth=1
	global_load_u16 v61, v[59:60], off
	global_load_u16 v62, v[57:58], off
	v_add_co_u32 v57, vcc_lo, v57, 2
	v_add_co_ci_u32_e32 v58, vcc_lo, 0, v58, vcc_lo
	v_add_co_u32 v59, s0, v59, 2
	s_delay_alu instid0(VALU_DEP_1)
	v_add_co_ci_u32_e64 v60, s0, 0, v60, s0
	s_add_u32 s20, s20, 1
	s_addc_u32 s21, s21, 0
	s_and_not1_b32 s0, s25, exec_lo
	s_waitcnt vmcnt(0)
	v_cmp_neq_f16_e32 vcc_lo, v61, v62
	s_and_b32 s25, vcc_lo, exec_lo
	s_delay_alu instid0(SALU_CYCLE_1)
	s_or_b32 s25, s0, s25
.LBB1293_601:                           ;   in Loop: Header=BB1293_602 Depth=1
	v_dual_mov_b32 v62, s21 :: v_dual_mov_b32 v61, s20
	s_and_b32 s0, exec_lo, s25
	s_delay_alu instid0(SALU_CYCLE_1) | instskip(NEXT) | instid1(SALU_CYCLE_1)
	s_or_b32 s24, s0, s24
	s_and_not1_b32 exec_lo, exec_lo, s24
	s_cbranch_execz .LBB1293_605
.LBB1293_602:                           ; =>This Inner Loop Header: Depth=1
	s_or_b32 s25, s25, exec_lo
	s_cmp_eq_u64 s[14:15], s[20:21]
	s_cbranch_scc0 .LBB1293_600
; %bb.603:                              ;   in Loop: Header=BB1293_602 Depth=1
	s_mov_b64 s[20:21], s[8:9]
                                        ; implicit-def: $vgpr57_vgpr58
                                        ; implicit-def: $vgpr59_vgpr60
	s_branch .LBB1293_601
.LBB1293_604:
	v_mov_b32_e32 v159, 0
	v_mov_b32_e32 v160, 0
	s_branch .LBB1293_607
.LBB1293_605:
	s_set_inst_prefetch_distance 0x2
	s_or_b32 exec_lo, exec_lo, s24
	v_cmp_gt_i64_e32 vcc_lo, s[8:9], v[61:62]
	s_mov_b32 s0, 0
	s_delay_alu instid0(SALU_CYCLE_1)
	v_mov_b32_e32 v160, s0
	v_cndmask_b32_e64 v159, 0, 1, vcc_lo
.LBB1293_606:
	s_or_b32 exec_lo, exec_lo, s23
.LBB1293_607:
	s_delay_alu instid0(SALU_CYCLE_1) | instskip(SKIP_3) | instid1(VALU_DEP_2)
	s_or_b32 exec_lo, exec_lo, s22
	v_dual_mov_b32 v162, v16 :: v_dual_add_nc_u32 v57, 3, v64
	v_mov_b32_e32 v161, v15
	s_mov_b32 s22, exec_lo
	v_cmpx_gt_u32_e64 s3, v57
	s_cbranch_execz .LBB1293_618
; %bb.608:
	v_cmp_ne_u32_e32 vcc_lo, 1, v63
	s_cbranch_vccnz .LBB1293_615
; %bb.609:
	v_mul_lo_u32 v61, v16, s8
	v_mul_lo_u32 v62, v15, s9
	v_mad_u64_u32 v[57:58], null, v15, s8, 0
	v_mul_lo_u32 v65, v14, s8
	v_mul_lo_u32 v66, v13, s9
	v_mad_u64_u32 v[59:60], null, v13, s8, 0
	v_mov_b32_e32 v161, 1
	v_mov_b32_e32 v162, 0
	v_add3_u32 v58, v58, v62, v61
	s_mov_b32 s23, exec_lo
	s_delay_alu instid0(VALU_DEP_4) | instskip(NEXT) | instid1(VALU_DEP_2)
	v_add3_u32 v60, v60, v66, v65
	v_lshlrev_b64 v[57:58], 1, v[57:58]
	s_delay_alu instid0(VALU_DEP_2) | instskip(NEXT) | instid1(VALU_DEP_2)
	v_lshlrev_b64 v[61:62], 1, v[59:60]
	v_add_co_u32 v59, vcc_lo, s10, v57
	s_delay_alu instid0(VALU_DEP_3) | instskip(NEXT) | instid1(VALU_DEP_3)
	v_add_co_ci_u32_e32 v60, vcc_lo, s11, v58, vcc_lo
	v_add_co_u32 v57, vcc_lo, s10, v61
	s_delay_alu instid0(VALU_DEP_4)
	v_add_co_ci_u32_e32 v58, vcc_lo, s11, v62, vcc_lo
	s_clause 0x1
	global_load_u16 v61, v[59:60], off
	global_load_u16 v62, v[57:58], off
	s_waitcnt vmcnt(0)
	v_cmpx_eq_f16_e32 v61, v62
	s_cbranch_execz .LBB1293_617
; %bb.610:
	v_add_co_u32 v57, vcc_lo, v57, 2
	v_add_co_ci_u32_e32 v58, vcc_lo, 0, v58, vcc_lo
	v_add_co_u32 v59, vcc_lo, v59, 2
	v_add_co_ci_u32_e32 v60, vcc_lo, 0, v60, vcc_lo
	s_add_u32 s14, s8, -1
	s_addc_u32 s15, s9, -1
	s_mov_b64 s[20:21], 0
	s_mov_b32 s24, 0
                                        ; implicit-def: $sgpr25
	s_set_inst_prefetch_distance 0x1
	s_branch .LBB1293_613
	.p2align	6
.LBB1293_611:                           ;   in Loop: Header=BB1293_613 Depth=1
	global_load_u16 v61, v[59:60], off
	global_load_u16 v62, v[57:58], off
	v_add_co_u32 v57, vcc_lo, v57, 2
	v_add_co_ci_u32_e32 v58, vcc_lo, 0, v58, vcc_lo
	v_add_co_u32 v59, s0, v59, 2
	s_delay_alu instid0(VALU_DEP_1)
	v_add_co_ci_u32_e64 v60, s0, 0, v60, s0
	s_add_u32 s20, s20, 1
	s_addc_u32 s21, s21, 0
	s_and_not1_b32 s0, s25, exec_lo
	s_waitcnt vmcnt(0)
	v_cmp_neq_f16_e32 vcc_lo, v61, v62
	s_and_b32 s25, vcc_lo, exec_lo
	s_delay_alu instid0(SALU_CYCLE_1)
	s_or_b32 s25, s0, s25
.LBB1293_612:                           ;   in Loop: Header=BB1293_613 Depth=1
	v_dual_mov_b32 v62, s21 :: v_dual_mov_b32 v61, s20
	s_and_b32 s0, exec_lo, s25
	s_delay_alu instid0(SALU_CYCLE_1) | instskip(NEXT) | instid1(SALU_CYCLE_1)
	s_or_b32 s24, s0, s24
	s_and_not1_b32 exec_lo, exec_lo, s24
	s_cbranch_execz .LBB1293_616
.LBB1293_613:                           ; =>This Inner Loop Header: Depth=1
	s_or_b32 s25, s25, exec_lo
	s_cmp_eq_u64 s[14:15], s[20:21]
	s_cbranch_scc0 .LBB1293_611
; %bb.614:                              ;   in Loop: Header=BB1293_613 Depth=1
	s_mov_b64 s[20:21], s[8:9]
                                        ; implicit-def: $vgpr57_vgpr58
                                        ; implicit-def: $vgpr59_vgpr60
	s_branch .LBB1293_612
.LBB1293_615:
	v_mov_b32_e32 v161, 0
	v_mov_b32_e32 v162, 0
	s_branch .LBB1293_618
.LBB1293_616:
	s_set_inst_prefetch_distance 0x2
	s_or_b32 exec_lo, exec_lo, s24
	v_cmp_gt_i64_e32 vcc_lo, s[8:9], v[61:62]
	s_mov_b32 s0, 0
	s_delay_alu instid0(SALU_CYCLE_1)
	v_mov_b32_e32 v162, s0
	v_cndmask_b32_e64 v161, 0, 1, vcc_lo
.LBB1293_617:
	s_or_b32 exec_lo, exec_lo, s23
.LBB1293_618:
	s_delay_alu instid0(SALU_CYCLE_1) | instskip(SKIP_3) | instid1(VALU_DEP_2)
	s_or_b32 exec_lo, exec_lo, s22
	v_dual_mov_b32 v164, v14 :: v_dual_add_nc_u32 v57, 2, v64
	v_mov_b32_e32 v163, v13
	s_mov_b32 s22, exec_lo
	v_cmpx_gt_u32_e64 s3, v57
	s_cbranch_execz .LBB1293_629
; %bb.619:
	v_cmp_ne_u32_e32 vcc_lo, 1, v63
	s_cbranch_vccnz .LBB1293_626
; %bb.620:
	v_mul_lo_u32 v61, v14, s8
	v_mul_lo_u32 v62, v13, s9
	v_mad_u64_u32 v[57:58], null, v13, s8, 0
	v_mul_lo_u32 v65, v4, s8
	v_mul_lo_u32 v66, v3, s9
	v_mad_u64_u32 v[59:60], null, v3, s8, 0
	v_mov_b32_e32 v163, 1
	v_mov_b32_e32 v164, 0
	v_add3_u32 v58, v58, v62, v61
	s_mov_b32 s23, exec_lo
	s_delay_alu instid0(VALU_DEP_4) | instskip(NEXT) | instid1(VALU_DEP_2)
	v_add3_u32 v60, v60, v66, v65
	v_lshlrev_b64 v[57:58], 1, v[57:58]
	s_delay_alu instid0(VALU_DEP_2) | instskip(NEXT) | instid1(VALU_DEP_2)
	v_lshlrev_b64 v[61:62], 1, v[59:60]
	v_add_co_u32 v59, vcc_lo, s10, v57
	s_delay_alu instid0(VALU_DEP_3) | instskip(NEXT) | instid1(VALU_DEP_3)
	v_add_co_ci_u32_e32 v60, vcc_lo, s11, v58, vcc_lo
	v_add_co_u32 v57, vcc_lo, s10, v61
	s_delay_alu instid0(VALU_DEP_4)
	v_add_co_ci_u32_e32 v58, vcc_lo, s11, v62, vcc_lo
	s_clause 0x1
	global_load_u16 v61, v[59:60], off
	global_load_u16 v62, v[57:58], off
	s_waitcnt vmcnt(0)
	v_cmpx_eq_f16_e32 v61, v62
	s_cbranch_execz .LBB1293_628
; %bb.621:
	v_add_co_u32 v57, vcc_lo, v57, 2
	v_add_co_ci_u32_e32 v58, vcc_lo, 0, v58, vcc_lo
	v_add_co_u32 v59, vcc_lo, v59, 2
	v_add_co_ci_u32_e32 v60, vcc_lo, 0, v60, vcc_lo
	s_add_u32 s14, s8, -1
	s_addc_u32 s15, s9, -1
	s_mov_b64 s[20:21], 0
	s_mov_b32 s24, 0
                                        ; implicit-def: $sgpr25
	s_set_inst_prefetch_distance 0x1
	s_branch .LBB1293_624
	.p2align	6
.LBB1293_622:                           ;   in Loop: Header=BB1293_624 Depth=1
	global_load_u16 v61, v[59:60], off
	global_load_u16 v62, v[57:58], off
	v_add_co_u32 v57, vcc_lo, v57, 2
	v_add_co_ci_u32_e32 v58, vcc_lo, 0, v58, vcc_lo
	v_add_co_u32 v59, s0, v59, 2
	s_delay_alu instid0(VALU_DEP_1)
	v_add_co_ci_u32_e64 v60, s0, 0, v60, s0
	s_add_u32 s20, s20, 1
	s_addc_u32 s21, s21, 0
	s_and_not1_b32 s0, s25, exec_lo
	s_waitcnt vmcnt(0)
	v_cmp_neq_f16_e32 vcc_lo, v61, v62
	s_and_b32 s25, vcc_lo, exec_lo
	s_delay_alu instid0(SALU_CYCLE_1)
	s_or_b32 s25, s0, s25
.LBB1293_623:                           ;   in Loop: Header=BB1293_624 Depth=1
	v_dual_mov_b32 v62, s21 :: v_dual_mov_b32 v61, s20
	s_and_b32 s0, exec_lo, s25
	s_delay_alu instid0(SALU_CYCLE_1) | instskip(NEXT) | instid1(SALU_CYCLE_1)
	s_or_b32 s24, s0, s24
	s_and_not1_b32 exec_lo, exec_lo, s24
	s_cbranch_execz .LBB1293_627
.LBB1293_624:                           ; =>This Inner Loop Header: Depth=1
	s_or_b32 s25, s25, exec_lo
	s_cmp_eq_u64 s[14:15], s[20:21]
	s_cbranch_scc0 .LBB1293_622
; %bb.625:                              ;   in Loop: Header=BB1293_624 Depth=1
	s_mov_b64 s[20:21], s[8:9]
                                        ; implicit-def: $vgpr57_vgpr58
                                        ; implicit-def: $vgpr59_vgpr60
	s_branch .LBB1293_623
.LBB1293_626:
	v_mov_b32_e32 v163, 0
	v_mov_b32_e32 v164, 0
	s_branch .LBB1293_629
.LBB1293_627:
	s_set_inst_prefetch_distance 0x2
	s_or_b32 exec_lo, exec_lo, s24
	v_cmp_gt_i64_e32 vcc_lo, s[8:9], v[61:62]
	s_mov_b32 s0, 0
	s_delay_alu instid0(SALU_CYCLE_1)
	v_mov_b32_e32 v164, s0
	v_cndmask_b32_e64 v163, 0, 1, vcc_lo
.LBB1293_628:
	s_or_b32 exec_lo, exec_lo, s23
.LBB1293_629:
	s_delay_alu instid0(SALU_CYCLE_1) | instskip(SKIP_3) | instid1(VALU_DEP_2)
	s_or_b32 exec_lo, exec_lo, s22
	v_dual_mov_b32 v166, v4 :: v_dual_add_nc_u32 v57, 1, v64
	v_mov_b32_e32 v165, v3
	s_mov_b32 s22, exec_lo
	v_cmpx_gt_u32_e64 s3, v57
	s_cbranch_execz .LBB1293_640
; %bb.630:
	v_cmp_ne_u32_e32 vcc_lo, 1, v63
	s_cbranch_vccnz .LBB1293_637
; %bb.631:
	v_mul_lo_u32 v61, v4, s8
	v_mul_lo_u32 v62, v3, s9
	v_mad_u64_u32 v[57:58], null, v3, s8, 0
	v_mul_lo_u32 v65, v2, s8
	v_mul_lo_u32 v66, v1, s9
	v_mad_u64_u32 v[59:60], null, v1, s8, 0
	v_mov_b32_e32 v165, 1
	v_mov_b32_e32 v166, 0
	v_add3_u32 v58, v58, v62, v61
	s_mov_b32 s23, exec_lo
	s_delay_alu instid0(VALU_DEP_4) | instskip(NEXT) | instid1(VALU_DEP_2)
	v_add3_u32 v60, v60, v66, v65
	v_lshlrev_b64 v[57:58], 1, v[57:58]
	s_delay_alu instid0(VALU_DEP_2) | instskip(NEXT) | instid1(VALU_DEP_2)
	v_lshlrev_b64 v[61:62], 1, v[59:60]
	v_add_co_u32 v59, vcc_lo, s10, v57
	s_delay_alu instid0(VALU_DEP_3) | instskip(NEXT) | instid1(VALU_DEP_3)
	v_add_co_ci_u32_e32 v60, vcc_lo, s11, v58, vcc_lo
	v_add_co_u32 v57, vcc_lo, s10, v61
	s_delay_alu instid0(VALU_DEP_4)
	v_add_co_ci_u32_e32 v58, vcc_lo, s11, v62, vcc_lo
	s_clause 0x1
	global_load_u16 v61, v[59:60], off
	global_load_u16 v62, v[57:58], off
	s_waitcnt vmcnt(0)
	v_cmpx_eq_f16_e32 v61, v62
	s_cbranch_execz .LBB1293_639
; %bb.632:
	v_add_co_u32 v57, vcc_lo, v57, 2
	v_add_co_ci_u32_e32 v58, vcc_lo, 0, v58, vcc_lo
	v_add_co_u32 v59, vcc_lo, v59, 2
	v_add_co_ci_u32_e32 v60, vcc_lo, 0, v60, vcc_lo
	s_add_u32 s14, s8, -1
	s_addc_u32 s15, s9, -1
	s_mov_b64 s[20:21], 0
	s_mov_b32 s24, 0
                                        ; implicit-def: $sgpr25
	s_set_inst_prefetch_distance 0x1
	s_branch .LBB1293_635
	.p2align	6
.LBB1293_633:                           ;   in Loop: Header=BB1293_635 Depth=1
	global_load_u16 v61, v[59:60], off
	global_load_u16 v62, v[57:58], off
	v_add_co_u32 v57, vcc_lo, v57, 2
	v_add_co_ci_u32_e32 v58, vcc_lo, 0, v58, vcc_lo
	v_add_co_u32 v59, s0, v59, 2
	s_delay_alu instid0(VALU_DEP_1)
	v_add_co_ci_u32_e64 v60, s0, 0, v60, s0
	s_add_u32 s20, s20, 1
	s_addc_u32 s21, s21, 0
	s_and_not1_b32 s0, s25, exec_lo
	s_waitcnt vmcnt(0)
	v_cmp_neq_f16_e32 vcc_lo, v61, v62
	s_and_b32 s25, vcc_lo, exec_lo
	s_delay_alu instid0(SALU_CYCLE_1)
	s_or_b32 s25, s0, s25
.LBB1293_634:                           ;   in Loop: Header=BB1293_635 Depth=1
	v_dual_mov_b32 v62, s21 :: v_dual_mov_b32 v61, s20
	s_and_b32 s0, exec_lo, s25
	s_delay_alu instid0(SALU_CYCLE_1) | instskip(NEXT) | instid1(SALU_CYCLE_1)
	s_or_b32 s24, s0, s24
	s_and_not1_b32 exec_lo, exec_lo, s24
	s_cbranch_execz .LBB1293_638
.LBB1293_635:                           ; =>This Inner Loop Header: Depth=1
	s_or_b32 s25, s25, exec_lo
	s_cmp_eq_u64 s[14:15], s[20:21]
	s_cbranch_scc0 .LBB1293_633
; %bb.636:                              ;   in Loop: Header=BB1293_635 Depth=1
	s_mov_b64 s[20:21], s[8:9]
                                        ; implicit-def: $vgpr57_vgpr58
                                        ; implicit-def: $vgpr59_vgpr60
	s_branch .LBB1293_634
.LBB1293_637:
	v_mov_b32_e32 v165, 0
	v_mov_b32_e32 v166, 0
	s_branch .LBB1293_640
.LBB1293_638:
	s_set_inst_prefetch_distance 0x2
	s_or_b32 exec_lo, exec_lo, s24
	v_cmp_gt_i64_e32 vcc_lo, s[8:9], v[61:62]
	s_mov_b32 s0, 0
	s_delay_alu instid0(SALU_CYCLE_1)
	v_mov_b32_e32 v166, s0
	v_cndmask_b32_e64 v165, 0, 1, vcc_lo
.LBB1293_639:
	s_or_b32 exec_lo, exec_lo, s23
.LBB1293_640:
	s_delay_alu instid0(SALU_CYCLE_1)
	s_or_b32 exec_lo, exec_lo, s22
	v_dual_mov_b32 v58, s13 :: v_dual_mov_b32 v57, s12
	s_mov_b32 s0, exec_lo
	s_waitcnt lgkmcnt(0)
	s_barrier
	buffer_gl0_inv
	v_cmpx_ne_u32_e32 0, v0
	s_cbranch_execz .LBB1293_642
; %bb.641:
	v_add_nc_u32_e32 v57, -8, v195
	ds_load_b64 v[57:58], v57
.LBB1293_642:
	s_or_b32 exec_lo, exec_lo, s0
	v_cmp_gt_u32_e32 vcc_lo, s3, v64
                                        ; implicit-def: $sgpr0
	s_and_saveexec_b32 s3, vcc_lo
	s_cbranch_execz .LBB1293_654
; %bb.643:
	v_cmp_ne_u32_e32 vcc_lo, 1, v63
	s_cbranch_vccnz .LBB1293_650
; %bb.644:
	v_mul_lo_u32 v63, v2, s8
	v_mul_lo_u32 v64, v1, s9
	v_mad_u64_u32 v[59:60], null, v1, s8, 0
	s_waitcnt lgkmcnt(0)
	v_mul_lo_u32 v58, v58, s8
	v_mul_lo_u32 v65, v57, s9
	v_mad_u64_u32 v[61:62], null, v57, s8, 0
	s_mov_b32 s0, -1
	s_mov_b32 s20, exec_lo
	s_delay_alu instid0(VALU_DEP_4) | instskip(NEXT) | instid1(VALU_DEP_2)
	v_add3_u32 v60, v60, v64, v63
	v_add3_u32 v62, v62, v65, v58
	s_delay_alu instid0(VALU_DEP_2) | instskip(NEXT) | instid1(VALU_DEP_2)
	v_lshlrev_b64 v[57:58], 1, v[59:60]
	v_lshlrev_b64 v[61:62], 1, v[61:62]
	s_delay_alu instid0(VALU_DEP_2) | instskip(NEXT) | instid1(VALU_DEP_3)
	v_add_co_u32 v59, vcc_lo, s10, v57
	v_add_co_ci_u32_e32 v60, vcc_lo, s11, v58, vcc_lo
	s_delay_alu instid0(VALU_DEP_3) | instskip(NEXT) | instid1(VALU_DEP_4)
	v_add_co_u32 v57, vcc_lo, s10, v61
	v_add_co_ci_u32_e32 v58, vcc_lo, s11, v62, vcc_lo
	s_clause 0x1
	global_load_u16 v61, v[59:60], off
	global_load_u16 v62, v[57:58], off
	s_waitcnt vmcnt(0)
	v_cmpx_eq_f16_e32 v61, v62
	s_cbranch_execz .LBB1293_652
; %bb.645:
	v_add_co_u32 v57, vcc_lo, v57, 2
	v_add_co_ci_u32_e32 v58, vcc_lo, 0, v58, vcc_lo
	v_add_co_u32 v59, vcc_lo, v59, 2
	v_add_co_ci_u32_e32 v60, vcc_lo, 0, v60, vcc_lo
	s_add_u32 s12, s8, -1
	s_addc_u32 s13, s9, -1
	s_mov_b64 s[14:15], 0
	s_mov_b32 s21, 0
                                        ; implicit-def: $sgpr22
	s_set_inst_prefetch_distance 0x1
	s_branch .LBB1293_648
	.p2align	6
.LBB1293_646:                           ;   in Loop: Header=BB1293_648 Depth=1
	global_load_u16 v61, v[59:60], off
	global_load_u16 v62, v[57:58], off
	v_add_co_u32 v57, vcc_lo, v57, 2
	v_add_co_ci_u32_e32 v58, vcc_lo, 0, v58, vcc_lo
	v_add_co_u32 v59, s0, v59, 2
	s_delay_alu instid0(VALU_DEP_1)
	v_add_co_ci_u32_e64 v60, s0, 0, v60, s0
	s_add_u32 s14, s14, 1
	s_addc_u32 s15, s15, 0
	s_and_not1_b32 s0, s22, exec_lo
	s_waitcnt vmcnt(0)
	v_cmp_neq_f16_e32 vcc_lo, v61, v62
	s_and_b32 s22, vcc_lo, exec_lo
	s_delay_alu instid0(SALU_CYCLE_1)
	s_or_b32 s22, s0, s22
.LBB1293_647:                           ;   in Loop: Header=BB1293_648 Depth=1
	v_dual_mov_b32 v62, s15 :: v_dual_mov_b32 v61, s14
	s_and_b32 s0, exec_lo, s22
	s_delay_alu instid0(SALU_CYCLE_1) | instskip(NEXT) | instid1(SALU_CYCLE_1)
	s_or_b32 s21, s0, s21
	s_and_not1_b32 exec_lo, exec_lo, s21
	s_cbranch_execz .LBB1293_651
.LBB1293_648:                           ; =>This Inner Loop Header: Depth=1
	s_or_b32 s22, s22, exec_lo
	s_cmp_eq_u64 s[12:13], s[14:15]
	s_cbranch_scc0 .LBB1293_646
; %bb.649:                              ;   in Loop: Header=BB1293_648 Depth=1
	s_mov_b64 s[14:15], s[8:9]
                                        ; implicit-def: $vgpr57_vgpr58
                                        ; implicit-def: $vgpr59_vgpr60
	s_branch .LBB1293_647
.LBB1293_650:
	s_mov_b32 s0, 0
	s_branch .LBB1293_653
.LBB1293_651:
	s_set_inst_prefetch_distance 0x2
	s_or_b32 exec_lo, exec_lo, s21
	v_cmp_gt_i64_e32 vcc_lo, s[8:9], v[61:62]
	s_or_not1_b32 s0, vcc_lo, exec_lo
.LBB1293_652:
	s_or_b32 exec_lo, exec_lo, s20
.LBB1293_653:
	s_delay_alu instid0(SALU_CYCLE_1)
	s_and_b32 s0, s0, exec_lo
	s_or_b32 s1, s1, exec_lo
.LBB1293_654:
	s_or_b32 exec_lo, exec_lo, s3
	v_dual_mov_b32 v182, v166 :: v_dual_mov_b32 v181, v165
	v_dual_mov_b32 v168, v164 :: v_dual_mov_b32 v167, v163
	;; [unrolled: 1-line block ×27, first 2 shown]
	s_branch .LBB1293_1243
.LBB1293_655:
	s_cmp_lg_u64 s[18:19], 1
	s_cbranch_scc0 .LBB1293_663
; %bb.656:
	v_mul_lo_u32 v59, v8, s8
	v_mul_lo_u32 v60, v7, s9
	s_waitcnt lgkmcnt(0)
	v_mad_u64_u32 v[57:58], null, v7, s8, 0
	v_mov_b32_e32 v113, 0
	v_mov_b32_e32 v114, 0
	v_cmp_lt_i64_e64 s0, s[8:9], 1
	v_cmp_gt_i64_e64 s3, s[8:9], 0
	s_delay_alu instid0(VALU_DEP_4) | instskip(SKIP_4) | instid1(VALU_DEP_1)
	v_mov_b32_e32 v111, v113
	ds_store_b64 v195, v[109:110]
	v_mov_b32_e32 v112, v114
	v_add3_u32 v58, v58, v60, v59
	s_and_b32 vcc_lo, exec_lo, s0
	v_lshlrev_b64 v[57:58], 1, v[57:58]
	s_cbranch_vccnz .LBB1293_666
; %bb.657:
	v_mul_lo_u32 v61, v110, s8
	v_mul_lo_u32 v62, v109, s9
	v_mad_u64_u32 v[59:60], null, v109, s8, 0
	v_mov_b32_e32 v111, 1
	v_mov_b32_e32 v112, 0
	s_mov_b32 s18, exec_lo
	s_delay_alu instid0(VALU_DEP_3) | instskip(NEXT) | instid1(VALU_DEP_1)
	v_add3_u32 v60, v60, v62, v61
	v_lshlrev_b64 v[59:60], 1, v[59:60]
	s_delay_alu instid0(VALU_DEP_1) | instskip(NEXT) | instid1(VALU_DEP_2)
	v_add_co_u32 v61, vcc_lo, s10, v59
	v_add_co_ci_u32_e32 v62, vcc_lo, s11, v60, vcc_lo
	v_add_co_u32 v59, vcc_lo, s10, v57
	v_add_co_ci_u32_e32 v60, vcc_lo, s11, v58, vcc_lo
	s_clause 0x1
	global_load_u16 v63, v[61:62], off
	global_load_u16 v64, v[59:60], off
	s_waitcnt vmcnt(0)
	v_cmpx_eq_f16_e32 v63, v64
	s_cbranch_execz .LBB1293_665
; %bb.658:
	v_add_co_u32 v59, vcc_lo, v59, 2
	v_add_co_ci_u32_e32 v60, vcc_lo, 0, v60, vcc_lo
	v_add_co_u32 v61, vcc_lo, v61, 2
	v_add_co_ci_u32_e32 v62, vcc_lo, 0, v62, vcc_lo
	s_add_u32 s12, s8, -1
	s_addc_u32 s13, s9, -1
	s_mov_b64 s[14:15], 0
	s_mov_b32 s19, 0
                                        ; implicit-def: $sgpr20
	s_set_inst_prefetch_distance 0x1
	s_branch .LBB1293_661
	.p2align	6
.LBB1293_659:                           ;   in Loop: Header=BB1293_661 Depth=1
	global_load_u16 v63, v[61:62], off
	global_load_u16 v64, v[59:60], off
	v_add_co_u32 v59, vcc_lo, v59, 2
	v_add_co_ci_u32_e32 v60, vcc_lo, 0, v60, vcc_lo
	v_add_co_u32 v61, s0, v61, 2
	s_delay_alu instid0(VALU_DEP_1)
	v_add_co_ci_u32_e64 v62, s0, 0, v62, s0
	s_add_u32 s14, s14, 1
	s_addc_u32 s15, s15, 0
	s_and_not1_b32 s0, s20, exec_lo
	s_waitcnt vmcnt(0)
	v_cmp_neq_f16_e32 vcc_lo, v63, v64
	s_and_b32 s20, vcc_lo, exec_lo
	s_delay_alu instid0(SALU_CYCLE_1)
	s_or_b32 s20, s0, s20
.LBB1293_660:                           ;   in Loop: Header=BB1293_661 Depth=1
	v_dual_mov_b32 v64, s15 :: v_dual_mov_b32 v63, s14
	s_and_b32 s0, exec_lo, s20
	s_delay_alu instid0(SALU_CYCLE_1) | instskip(NEXT) | instid1(SALU_CYCLE_1)
	s_or_b32 s19, s0, s19
	s_and_not1_b32 exec_lo, exec_lo, s19
	s_cbranch_execz .LBB1293_664
.LBB1293_661:                           ; =>This Inner Loop Header: Depth=1
	s_or_b32 s20, s20, exec_lo
	s_cmp_eq_u64 s[12:13], s[14:15]
	s_cbranch_scc0 .LBB1293_659
; %bb.662:                              ;   in Loop: Header=BB1293_661 Depth=1
	s_mov_b64 s[14:15], s[8:9]
                                        ; implicit-def: $vgpr59_vgpr60
                                        ; implicit-def: $vgpr61_vgpr62
	s_branch .LBB1293_660
.LBB1293_663:
                                        ; implicit-def: $sgpr0
                                        ; implicit-def: $vgpr165_vgpr166
                                        ; implicit-def: $vgpr163_vgpr164
                                        ; implicit-def: $vgpr161_vgpr162
                                        ; implicit-def: $vgpr159_vgpr160
                                        ; implicit-def: $vgpr157_vgpr158
                                        ; implicit-def: $vgpr155_vgpr156
                                        ; implicit-def: $vgpr153_vgpr154
                                        ; implicit-def: $vgpr151_vgpr152
                                        ; implicit-def: $vgpr149_vgpr150
                                        ; implicit-def: $vgpr147_vgpr148
                                        ; implicit-def: $vgpr145_vgpr146
                                        ; implicit-def: $vgpr143_vgpr144
                                        ; implicit-def: $vgpr141_vgpr142
                                        ; implicit-def: $vgpr139_vgpr140
                                        ; implicit-def: $vgpr137_vgpr138
                                        ; implicit-def: $vgpr135_vgpr136
                                        ; implicit-def: $vgpr133_vgpr134
                                        ; implicit-def: $vgpr131_vgpr132
                                        ; implicit-def: $vgpr129_vgpr130
                                        ; implicit-def: $vgpr127_vgpr128
                                        ; implicit-def: $vgpr125_vgpr126
                                        ; implicit-def: $vgpr123_vgpr124
                                        ; implicit-def: $vgpr121_vgpr122
                                        ; implicit-def: $vgpr119_vgpr120
                                        ; implicit-def: $vgpr117_vgpr118
                                        ; implicit-def: $vgpr113_vgpr114
                                        ; implicit-def: $vgpr115_vgpr116
                                        ; implicit-def: $vgpr111_vgpr112
                                        ; implicit-def: $vgpr181_vgpr182
                                        ; implicit-def: $vgpr167_vgpr168
                                        ; implicit-def: $vgpr169_vgpr170
                                        ; implicit-def: $vgpr171_vgpr172
                                        ; implicit-def: $vgpr173_vgpr174
                                        ; implicit-def: $vgpr175_vgpr176
                                        ; implicit-def: $vgpr177_vgpr178
                                        ; implicit-def: $vgpr179_vgpr180
                                        ; implicit-def: $vgpr183_vgpr184
                                        ; implicit-def: $vgpr185_vgpr186
                                        ; implicit-def: $vgpr187_vgpr188
                                        ; implicit-def: $vgpr189_vgpr190
                                        ; implicit-def: $vgpr191_vgpr192
                                        ; implicit-def: $vgpr193_vgpr194
                                        ; implicit-def: $vgpr57_vgpr58_vgpr59_vgpr60
                                        ; implicit-def: $vgpr61_vgpr62_vgpr63_vgpr64
                                        ; implicit-def: $vgpr65_vgpr66_vgpr67_vgpr68
                                        ; implicit-def: $vgpr69_vgpr70_vgpr71_vgpr72
                                        ; implicit-def: $vgpr73_vgpr74_vgpr75_vgpr76
                                        ; implicit-def: $vgpr77_vgpr78_vgpr79_vgpr80
                                        ; implicit-def: $vgpr81_vgpr82_vgpr83_vgpr84
                                        ; implicit-def: $vgpr85_vgpr86_vgpr87_vgpr88
                                        ; implicit-def: $vgpr89_vgpr90_vgpr91_vgpr92
                                        ; implicit-def: $vgpr93_vgpr94_vgpr95_vgpr96
                                        ; implicit-def: $vgpr97_vgpr98_vgpr99_vgpr100
                                        ; implicit-def: $vgpr101_vgpr102_vgpr103_vgpr104
                                        ; implicit-def: $vgpr105_vgpr106_vgpr107_vgpr108
	s_cbranch_execnz .LBB1293_923
	s_branch .LBB1293_1243
.LBB1293_664:
	s_set_inst_prefetch_distance 0x2
	s_or_b32 exec_lo, exec_lo, s19
	v_cmp_gt_i64_e32 vcc_lo, s[8:9], v[63:64]
	s_mov_b32 s0, 0
	s_delay_alu instid0(SALU_CYCLE_1)
	v_mov_b32_e32 v112, s0
	v_cndmask_b32_e64 v111, 0, 1, vcc_lo
.LBB1293_665:
	s_or_b32 exec_lo, exec_lo, s18
.LBB1293_666:
	v_mul_lo_u32 v61, v6, s8
	v_mul_lo_u32 v62, v5, s9
	v_mad_u64_u32 v[59:60], null, v5, s8, 0
	v_cndmask_b32_e64 v65, 0, 1, s3
	v_dual_mov_b32 v116, v114 :: v_dual_mov_b32 v115, v113
	s_and_not1_b32 vcc_lo, exec_lo, s3
	s_delay_alu instid0(VALU_DEP_3) | instskip(NEXT) | instid1(VALU_DEP_1)
	v_add3_u32 v60, v60, v62, v61
	v_lshlrev_b64 v[59:60], 1, v[59:60]
	s_cbranch_vccnz .LBB1293_675
; %bb.667:
	v_add_co_u32 v61, vcc_lo, s10, v57
	v_add_co_ci_u32_e32 v62, vcc_lo, s11, v58, vcc_lo
	s_delay_alu instid0(VALU_DEP_3) | instskip(NEXT) | instid1(VALU_DEP_4)
	v_add_co_u32 v57, vcc_lo, s10, v59
	v_add_co_ci_u32_e32 v58, vcc_lo, s11, v60, vcc_lo
	v_mov_b32_e32 v115, 1
	s_clause 0x1
	global_load_u16 v63, v[61:62], off
	global_load_u16 v64, v[57:58], off
	v_mov_b32_e32 v116, 0
	s_mov_b32 s3, exec_lo
	s_waitcnt vmcnt(0)
	v_cmpx_eq_f16_e32 v63, v64
	s_cbranch_execz .LBB1293_674
; %bb.668:
	v_add_co_u32 v57, vcc_lo, v57, 2
	v_add_co_ci_u32_e32 v58, vcc_lo, 0, v58, vcc_lo
	v_add_co_u32 v61, vcc_lo, v61, 2
	v_add_co_ci_u32_e32 v62, vcc_lo, 0, v62, vcc_lo
	s_add_u32 s12, s8, -1
	s_addc_u32 s13, s9, -1
	s_mov_b64 s[14:15], 0
	s_mov_b32 s18, 0
                                        ; implicit-def: $sgpr19
	s_set_inst_prefetch_distance 0x1
	s_branch .LBB1293_671
	.p2align	6
.LBB1293_669:                           ;   in Loop: Header=BB1293_671 Depth=1
	global_load_u16 v63, v[61:62], off
	global_load_u16 v64, v[57:58], off
	v_add_co_u32 v57, vcc_lo, v57, 2
	v_add_co_ci_u32_e32 v58, vcc_lo, 0, v58, vcc_lo
	v_add_co_u32 v61, s0, v61, 2
	s_delay_alu instid0(VALU_DEP_1)
	v_add_co_ci_u32_e64 v62, s0, 0, v62, s0
	s_add_u32 s14, s14, 1
	s_addc_u32 s15, s15, 0
	s_and_not1_b32 s0, s19, exec_lo
	s_waitcnt vmcnt(0)
	v_cmp_neq_f16_e32 vcc_lo, v63, v64
	s_and_b32 s19, vcc_lo, exec_lo
	s_delay_alu instid0(SALU_CYCLE_1)
	s_or_b32 s19, s0, s19
.LBB1293_670:                           ;   in Loop: Header=BB1293_671 Depth=1
	v_dual_mov_b32 v64, s15 :: v_dual_mov_b32 v63, s14
	s_and_b32 s0, exec_lo, s19
	s_delay_alu instid0(SALU_CYCLE_1) | instskip(NEXT) | instid1(SALU_CYCLE_1)
	s_or_b32 s18, s0, s18
	s_and_not1_b32 exec_lo, exec_lo, s18
	s_cbranch_execz .LBB1293_673
.LBB1293_671:                           ; =>This Inner Loop Header: Depth=1
	s_or_b32 s19, s19, exec_lo
	s_cmp_eq_u64 s[12:13], s[14:15]
	s_cbranch_scc0 .LBB1293_669
; %bb.672:                              ;   in Loop: Header=BB1293_671 Depth=1
	s_mov_b64 s[14:15], s[8:9]
                                        ; implicit-def: $vgpr57_vgpr58
                                        ; implicit-def: $vgpr61_vgpr62
	s_branch .LBB1293_670
.LBB1293_673:
	s_set_inst_prefetch_distance 0x2
	s_or_b32 exec_lo, exec_lo, s18
	v_cmp_gt_i64_e32 vcc_lo, s[8:9], v[63:64]
	s_mov_b32 s0, 0
	s_delay_alu instid0(SALU_CYCLE_1)
	v_mov_b32_e32 v116, s0
	v_cndmask_b32_e64 v115, 0, 1, vcc_lo
.LBB1293_674:
	s_or_b32 exec_lo, exec_lo, s3
.LBB1293_675:
	v_mul_lo_u32 v61, v12, s8
	v_mul_lo_u32 v62, v11, s9
	v_mad_u64_u32 v[57:58], null, v11, s8, 0
	v_cmp_ne_u32_e32 vcc_lo, 1, v65
	s_delay_alu instid0(VALU_DEP_2) | instskip(NEXT) | instid1(VALU_DEP_1)
	v_add3_u32 v58, v58, v62, v61
	v_lshlrev_b64 v[57:58], 1, v[57:58]
	s_cbranch_vccnz .LBB1293_684
; %bb.676:
	v_add_co_u32 v61, vcc_lo, s10, v59
	v_add_co_ci_u32_e32 v62, vcc_lo, s11, v60, vcc_lo
	s_delay_alu instid0(VALU_DEP_3) | instskip(NEXT) | instid1(VALU_DEP_4)
	v_add_co_u32 v59, vcc_lo, s10, v57
	v_add_co_ci_u32_e32 v60, vcc_lo, s11, v58, vcc_lo
	v_mov_b32_e32 v113, 1
	s_clause 0x1
	global_load_u16 v63, v[61:62], off
	global_load_u16 v64, v[59:60], off
	v_mov_b32_e32 v114, 0
	s_mov_b32 s3, exec_lo
	s_waitcnt vmcnt(0)
	v_cmpx_eq_f16_e32 v63, v64
	s_cbranch_execz .LBB1293_683
; %bb.677:
	v_add_co_u32 v59, vcc_lo, v59, 2
	v_add_co_ci_u32_e32 v60, vcc_lo, 0, v60, vcc_lo
	v_add_co_u32 v61, vcc_lo, v61, 2
	v_add_co_ci_u32_e32 v62, vcc_lo, 0, v62, vcc_lo
	s_add_u32 s12, s8, -1
	s_addc_u32 s13, s9, -1
	s_mov_b64 s[14:15], 0
	s_mov_b32 s18, 0
                                        ; implicit-def: $sgpr19
	s_set_inst_prefetch_distance 0x1
	s_branch .LBB1293_680
	.p2align	6
.LBB1293_678:                           ;   in Loop: Header=BB1293_680 Depth=1
	global_load_u16 v63, v[61:62], off
	global_load_u16 v64, v[59:60], off
	v_add_co_u32 v59, vcc_lo, v59, 2
	v_add_co_ci_u32_e32 v60, vcc_lo, 0, v60, vcc_lo
	v_add_co_u32 v61, s0, v61, 2
	s_delay_alu instid0(VALU_DEP_1)
	v_add_co_ci_u32_e64 v62, s0, 0, v62, s0
	s_add_u32 s14, s14, 1
	s_addc_u32 s15, s15, 0
	s_and_not1_b32 s0, s19, exec_lo
	s_waitcnt vmcnt(0)
	v_cmp_neq_f16_e32 vcc_lo, v63, v64
	s_and_b32 s19, vcc_lo, exec_lo
	s_delay_alu instid0(SALU_CYCLE_1)
	s_or_b32 s19, s0, s19
.LBB1293_679:                           ;   in Loop: Header=BB1293_680 Depth=1
	v_dual_mov_b32 v64, s15 :: v_dual_mov_b32 v63, s14
	s_and_b32 s0, exec_lo, s19
	s_delay_alu instid0(SALU_CYCLE_1) | instskip(NEXT) | instid1(SALU_CYCLE_1)
	s_or_b32 s18, s0, s18
	s_and_not1_b32 exec_lo, exec_lo, s18
	s_cbranch_execz .LBB1293_682
.LBB1293_680:                           ; =>This Inner Loop Header: Depth=1
	s_or_b32 s19, s19, exec_lo
	s_cmp_eq_u64 s[12:13], s[14:15]
	s_cbranch_scc0 .LBB1293_678
; %bb.681:                              ;   in Loop: Header=BB1293_680 Depth=1
	s_mov_b64 s[14:15], s[8:9]
                                        ; implicit-def: $vgpr59_vgpr60
                                        ; implicit-def: $vgpr61_vgpr62
	s_branch .LBB1293_679
.LBB1293_682:
	s_set_inst_prefetch_distance 0x2
	s_or_b32 exec_lo, exec_lo, s18
	v_cmp_gt_i64_e32 vcc_lo, s[8:9], v[63:64]
	s_mov_b32 s0, 0
	s_delay_alu instid0(SALU_CYCLE_1)
	v_mov_b32_e32 v114, s0
	v_cndmask_b32_e64 v113, 0, 1, vcc_lo
.LBB1293_683:
	s_or_b32 exec_lo, exec_lo, s3
.LBB1293_684:
	v_mul_lo_u32 v61, v10, s8
	v_mul_lo_u32 v62, v9, s9
	v_mad_u64_u32 v[59:60], null, v9, s8, 0
	v_mov_b32_e32 v119, 0
	v_mov_b32_e32 v120, 0
	v_cmp_ne_u32_e32 vcc_lo, 1, v65
	s_delay_alu instid0(VALU_DEP_2) | instskip(SKIP_1) | instid1(VALU_DEP_1)
	v_dual_mov_b32 v117, v119 :: v_dual_mov_b32 v118, v120
	v_add3_u32 v60, v60, v62, v61
	v_lshlrev_b64 v[59:60], 1, v[59:60]
	s_cbranch_vccnz .LBB1293_693
; %bb.685:
	v_add_co_u32 v61, vcc_lo, s10, v57
	v_add_co_ci_u32_e32 v62, vcc_lo, s11, v58, vcc_lo
	s_delay_alu instid0(VALU_DEP_3) | instskip(NEXT) | instid1(VALU_DEP_4)
	v_add_co_u32 v57, vcc_lo, s10, v59
	v_add_co_ci_u32_e32 v58, vcc_lo, s11, v60, vcc_lo
	v_mov_b32_e32 v117, 1
	s_clause 0x1
	global_load_u16 v63, v[61:62], off
	global_load_u16 v64, v[57:58], off
	v_mov_b32_e32 v118, 0
	s_mov_b32 s3, exec_lo
	s_waitcnt vmcnt(0)
	v_cmpx_eq_f16_e32 v63, v64
	s_cbranch_execz .LBB1293_692
; %bb.686:
	v_add_co_u32 v57, vcc_lo, v57, 2
	v_add_co_ci_u32_e32 v58, vcc_lo, 0, v58, vcc_lo
	v_add_co_u32 v61, vcc_lo, v61, 2
	v_add_co_ci_u32_e32 v62, vcc_lo, 0, v62, vcc_lo
	s_add_u32 s12, s8, -1
	s_addc_u32 s13, s9, -1
	s_mov_b64 s[14:15], 0
	s_mov_b32 s18, 0
                                        ; implicit-def: $sgpr19
	s_set_inst_prefetch_distance 0x1
	s_branch .LBB1293_689
	.p2align	6
.LBB1293_687:                           ;   in Loop: Header=BB1293_689 Depth=1
	global_load_u16 v63, v[61:62], off
	global_load_u16 v64, v[57:58], off
	v_add_co_u32 v57, vcc_lo, v57, 2
	v_add_co_ci_u32_e32 v58, vcc_lo, 0, v58, vcc_lo
	v_add_co_u32 v61, s0, v61, 2
	s_delay_alu instid0(VALU_DEP_1)
	v_add_co_ci_u32_e64 v62, s0, 0, v62, s0
	s_add_u32 s14, s14, 1
	s_addc_u32 s15, s15, 0
	s_and_not1_b32 s0, s19, exec_lo
	s_waitcnt vmcnt(0)
	v_cmp_neq_f16_e32 vcc_lo, v63, v64
	s_and_b32 s19, vcc_lo, exec_lo
	s_delay_alu instid0(SALU_CYCLE_1)
	s_or_b32 s19, s0, s19
.LBB1293_688:                           ;   in Loop: Header=BB1293_689 Depth=1
	v_dual_mov_b32 v64, s15 :: v_dual_mov_b32 v63, s14
	s_and_b32 s0, exec_lo, s19
	s_delay_alu instid0(SALU_CYCLE_1) | instskip(NEXT) | instid1(SALU_CYCLE_1)
	s_or_b32 s18, s0, s18
	s_and_not1_b32 exec_lo, exec_lo, s18
	s_cbranch_execz .LBB1293_691
.LBB1293_689:                           ; =>This Inner Loop Header: Depth=1
	s_or_b32 s19, s19, exec_lo
	s_cmp_eq_u64 s[12:13], s[14:15]
	s_cbranch_scc0 .LBB1293_687
; %bb.690:                              ;   in Loop: Header=BB1293_689 Depth=1
	s_mov_b64 s[14:15], s[8:9]
                                        ; implicit-def: $vgpr57_vgpr58
                                        ; implicit-def: $vgpr61_vgpr62
	s_branch .LBB1293_688
.LBB1293_691:
	s_set_inst_prefetch_distance 0x2
	s_or_b32 exec_lo, exec_lo, s18
	v_cmp_gt_i64_e32 vcc_lo, s[8:9], v[63:64]
	s_mov_b32 s0, 0
	s_delay_alu instid0(SALU_CYCLE_1)
	v_mov_b32_e32 v118, s0
	v_cndmask_b32_e64 v117, 0, 1, vcc_lo
.LBB1293_692:
	s_or_b32 exec_lo, exec_lo, s3
.LBB1293_693:
	v_mul_lo_u32 v61, v56, s8
	v_mul_lo_u32 v62, v55, s9
	v_mad_u64_u32 v[57:58], null, v55, s8, 0
	v_cmp_ne_u32_e32 vcc_lo, 1, v65
	s_delay_alu instid0(VALU_DEP_2) | instskip(NEXT) | instid1(VALU_DEP_1)
	v_add3_u32 v58, v58, v62, v61
	v_lshlrev_b64 v[57:58], 1, v[57:58]
	s_cbranch_vccnz .LBB1293_702
; %bb.694:
	v_add_co_u32 v61, vcc_lo, s10, v59
	v_add_co_ci_u32_e32 v62, vcc_lo, s11, v60, vcc_lo
	s_delay_alu instid0(VALU_DEP_3) | instskip(NEXT) | instid1(VALU_DEP_4)
	v_add_co_u32 v59, vcc_lo, s10, v57
	v_add_co_ci_u32_e32 v60, vcc_lo, s11, v58, vcc_lo
	v_mov_b32_e32 v119, 1
	s_clause 0x1
	global_load_u16 v63, v[61:62], off
	global_load_u16 v64, v[59:60], off
	v_mov_b32_e32 v120, 0
	s_mov_b32 s3, exec_lo
	s_waitcnt vmcnt(0)
	v_cmpx_eq_f16_e32 v63, v64
	s_cbranch_execz .LBB1293_701
; %bb.695:
	v_add_co_u32 v59, vcc_lo, v59, 2
	v_add_co_ci_u32_e32 v60, vcc_lo, 0, v60, vcc_lo
	v_add_co_u32 v61, vcc_lo, v61, 2
	v_add_co_ci_u32_e32 v62, vcc_lo, 0, v62, vcc_lo
	s_add_u32 s12, s8, -1
	s_addc_u32 s13, s9, -1
	s_mov_b64 s[14:15], 0
	s_mov_b32 s18, 0
                                        ; implicit-def: $sgpr19
	s_set_inst_prefetch_distance 0x1
	s_branch .LBB1293_698
	.p2align	6
.LBB1293_696:                           ;   in Loop: Header=BB1293_698 Depth=1
	global_load_u16 v63, v[61:62], off
	global_load_u16 v64, v[59:60], off
	v_add_co_u32 v59, vcc_lo, v59, 2
	v_add_co_ci_u32_e32 v60, vcc_lo, 0, v60, vcc_lo
	v_add_co_u32 v61, s0, v61, 2
	s_delay_alu instid0(VALU_DEP_1)
	v_add_co_ci_u32_e64 v62, s0, 0, v62, s0
	s_add_u32 s14, s14, 1
	s_addc_u32 s15, s15, 0
	s_and_not1_b32 s0, s19, exec_lo
	s_waitcnt vmcnt(0)
	v_cmp_neq_f16_e32 vcc_lo, v63, v64
	s_and_b32 s19, vcc_lo, exec_lo
	s_delay_alu instid0(SALU_CYCLE_1)
	s_or_b32 s19, s0, s19
.LBB1293_697:                           ;   in Loop: Header=BB1293_698 Depth=1
	v_dual_mov_b32 v64, s15 :: v_dual_mov_b32 v63, s14
	s_and_b32 s0, exec_lo, s19
	s_delay_alu instid0(SALU_CYCLE_1) | instskip(NEXT) | instid1(SALU_CYCLE_1)
	s_or_b32 s18, s0, s18
	s_and_not1_b32 exec_lo, exec_lo, s18
	s_cbranch_execz .LBB1293_700
.LBB1293_698:                           ; =>This Inner Loop Header: Depth=1
	s_or_b32 s19, s19, exec_lo
	s_cmp_eq_u64 s[12:13], s[14:15]
	s_cbranch_scc0 .LBB1293_696
; %bb.699:                              ;   in Loop: Header=BB1293_698 Depth=1
	s_mov_b64 s[14:15], s[8:9]
                                        ; implicit-def: $vgpr59_vgpr60
                                        ; implicit-def: $vgpr61_vgpr62
	s_branch .LBB1293_697
.LBB1293_700:
	s_set_inst_prefetch_distance 0x2
	s_or_b32 exec_lo, exec_lo, s18
	v_cmp_gt_i64_e32 vcc_lo, s[8:9], v[63:64]
	s_mov_b32 s0, 0
	s_delay_alu instid0(SALU_CYCLE_1)
	v_mov_b32_e32 v120, s0
	v_cndmask_b32_e64 v119, 0, 1, vcc_lo
.LBB1293_701:
	s_or_b32 exec_lo, exec_lo, s3
.LBB1293_702:
	v_mul_lo_u32 v61, v54, s8
	v_mul_lo_u32 v62, v53, s9
	v_mad_u64_u32 v[59:60], null, v53, s8, 0
	v_mov_b32_e32 v123, 0
	v_mov_b32_e32 v124, 0
	v_cmp_ne_u32_e32 vcc_lo, 1, v65
	s_delay_alu instid0(VALU_DEP_2) | instskip(SKIP_1) | instid1(VALU_DEP_1)
	v_dual_mov_b32 v121, v123 :: v_dual_mov_b32 v122, v124
	v_add3_u32 v60, v60, v62, v61
	v_lshlrev_b64 v[59:60], 1, v[59:60]
	s_cbranch_vccnz .LBB1293_711
; %bb.703:
	v_add_co_u32 v61, vcc_lo, s10, v57
	v_add_co_ci_u32_e32 v62, vcc_lo, s11, v58, vcc_lo
	s_delay_alu instid0(VALU_DEP_3) | instskip(NEXT) | instid1(VALU_DEP_4)
	v_add_co_u32 v57, vcc_lo, s10, v59
	v_add_co_ci_u32_e32 v58, vcc_lo, s11, v60, vcc_lo
	v_mov_b32_e32 v121, 1
	s_clause 0x1
	global_load_u16 v63, v[61:62], off
	global_load_u16 v64, v[57:58], off
	v_mov_b32_e32 v122, 0
	s_mov_b32 s3, exec_lo
	s_waitcnt vmcnt(0)
	v_cmpx_eq_f16_e32 v63, v64
	s_cbranch_execz .LBB1293_710
; %bb.704:
	v_add_co_u32 v57, vcc_lo, v57, 2
	v_add_co_ci_u32_e32 v58, vcc_lo, 0, v58, vcc_lo
	v_add_co_u32 v61, vcc_lo, v61, 2
	v_add_co_ci_u32_e32 v62, vcc_lo, 0, v62, vcc_lo
	s_add_u32 s12, s8, -1
	s_addc_u32 s13, s9, -1
	s_mov_b64 s[14:15], 0
	s_mov_b32 s18, 0
                                        ; implicit-def: $sgpr19
	s_set_inst_prefetch_distance 0x1
	s_branch .LBB1293_707
	.p2align	6
.LBB1293_705:                           ;   in Loop: Header=BB1293_707 Depth=1
	global_load_u16 v63, v[61:62], off
	global_load_u16 v64, v[57:58], off
	v_add_co_u32 v57, vcc_lo, v57, 2
	v_add_co_ci_u32_e32 v58, vcc_lo, 0, v58, vcc_lo
	v_add_co_u32 v61, s0, v61, 2
	s_delay_alu instid0(VALU_DEP_1)
	v_add_co_ci_u32_e64 v62, s0, 0, v62, s0
	s_add_u32 s14, s14, 1
	s_addc_u32 s15, s15, 0
	s_and_not1_b32 s0, s19, exec_lo
	s_waitcnt vmcnt(0)
	v_cmp_neq_f16_e32 vcc_lo, v63, v64
	s_and_b32 s19, vcc_lo, exec_lo
	s_delay_alu instid0(SALU_CYCLE_1)
	s_or_b32 s19, s0, s19
.LBB1293_706:                           ;   in Loop: Header=BB1293_707 Depth=1
	v_dual_mov_b32 v64, s15 :: v_dual_mov_b32 v63, s14
	s_and_b32 s0, exec_lo, s19
	s_delay_alu instid0(SALU_CYCLE_1) | instskip(NEXT) | instid1(SALU_CYCLE_1)
	s_or_b32 s18, s0, s18
	s_and_not1_b32 exec_lo, exec_lo, s18
	s_cbranch_execz .LBB1293_709
.LBB1293_707:                           ; =>This Inner Loop Header: Depth=1
	s_or_b32 s19, s19, exec_lo
	s_cmp_eq_u64 s[12:13], s[14:15]
	s_cbranch_scc0 .LBB1293_705
; %bb.708:                              ;   in Loop: Header=BB1293_707 Depth=1
	s_mov_b64 s[14:15], s[8:9]
                                        ; implicit-def: $vgpr57_vgpr58
                                        ; implicit-def: $vgpr61_vgpr62
	s_branch .LBB1293_706
.LBB1293_709:
	s_set_inst_prefetch_distance 0x2
	s_or_b32 exec_lo, exec_lo, s18
	v_cmp_gt_i64_e32 vcc_lo, s[8:9], v[63:64]
	s_mov_b32 s0, 0
	s_delay_alu instid0(SALU_CYCLE_1)
	v_mov_b32_e32 v122, s0
	v_cndmask_b32_e64 v121, 0, 1, vcc_lo
.LBB1293_710:
	s_or_b32 exec_lo, exec_lo, s3
.LBB1293_711:
	v_mul_lo_u32 v61, v52, s8
	v_mul_lo_u32 v62, v51, s9
	v_mad_u64_u32 v[57:58], null, v51, s8, 0
	v_cmp_ne_u32_e32 vcc_lo, 1, v65
	s_delay_alu instid0(VALU_DEP_2) | instskip(NEXT) | instid1(VALU_DEP_1)
	v_add3_u32 v58, v58, v62, v61
	v_lshlrev_b64 v[57:58], 1, v[57:58]
	s_cbranch_vccnz .LBB1293_720
; %bb.712:
	v_add_co_u32 v61, vcc_lo, s10, v59
	v_add_co_ci_u32_e32 v62, vcc_lo, s11, v60, vcc_lo
	s_delay_alu instid0(VALU_DEP_3) | instskip(NEXT) | instid1(VALU_DEP_4)
	v_add_co_u32 v59, vcc_lo, s10, v57
	v_add_co_ci_u32_e32 v60, vcc_lo, s11, v58, vcc_lo
	v_mov_b32_e32 v123, 1
	s_clause 0x1
	global_load_u16 v63, v[61:62], off
	global_load_u16 v64, v[59:60], off
	v_mov_b32_e32 v124, 0
	s_mov_b32 s3, exec_lo
	s_waitcnt vmcnt(0)
	v_cmpx_eq_f16_e32 v63, v64
	s_cbranch_execz .LBB1293_719
; %bb.713:
	v_add_co_u32 v59, vcc_lo, v59, 2
	v_add_co_ci_u32_e32 v60, vcc_lo, 0, v60, vcc_lo
	v_add_co_u32 v61, vcc_lo, v61, 2
	v_add_co_ci_u32_e32 v62, vcc_lo, 0, v62, vcc_lo
	s_add_u32 s12, s8, -1
	s_addc_u32 s13, s9, -1
	s_mov_b64 s[14:15], 0
	s_mov_b32 s18, 0
                                        ; implicit-def: $sgpr19
	s_set_inst_prefetch_distance 0x1
	s_branch .LBB1293_716
	.p2align	6
.LBB1293_714:                           ;   in Loop: Header=BB1293_716 Depth=1
	global_load_u16 v63, v[61:62], off
	global_load_u16 v64, v[59:60], off
	v_add_co_u32 v59, vcc_lo, v59, 2
	v_add_co_ci_u32_e32 v60, vcc_lo, 0, v60, vcc_lo
	v_add_co_u32 v61, s0, v61, 2
	s_delay_alu instid0(VALU_DEP_1)
	v_add_co_ci_u32_e64 v62, s0, 0, v62, s0
	s_add_u32 s14, s14, 1
	s_addc_u32 s15, s15, 0
	s_and_not1_b32 s0, s19, exec_lo
	s_waitcnt vmcnt(0)
	v_cmp_neq_f16_e32 vcc_lo, v63, v64
	s_and_b32 s19, vcc_lo, exec_lo
	s_delay_alu instid0(SALU_CYCLE_1)
	s_or_b32 s19, s0, s19
.LBB1293_715:                           ;   in Loop: Header=BB1293_716 Depth=1
	v_dual_mov_b32 v64, s15 :: v_dual_mov_b32 v63, s14
	s_and_b32 s0, exec_lo, s19
	s_delay_alu instid0(SALU_CYCLE_1) | instskip(NEXT) | instid1(SALU_CYCLE_1)
	s_or_b32 s18, s0, s18
	s_and_not1_b32 exec_lo, exec_lo, s18
	s_cbranch_execz .LBB1293_718
.LBB1293_716:                           ; =>This Inner Loop Header: Depth=1
	s_or_b32 s19, s19, exec_lo
	s_cmp_eq_u64 s[12:13], s[14:15]
	s_cbranch_scc0 .LBB1293_714
; %bb.717:                              ;   in Loop: Header=BB1293_716 Depth=1
	s_mov_b64 s[14:15], s[8:9]
                                        ; implicit-def: $vgpr59_vgpr60
                                        ; implicit-def: $vgpr61_vgpr62
	s_branch .LBB1293_715
.LBB1293_718:
	s_set_inst_prefetch_distance 0x2
	s_or_b32 exec_lo, exec_lo, s18
	v_cmp_gt_i64_e32 vcc_lo, s[8:9], v[63:64]
	s_mov_b32 s0, 0
	s_delay_alu instid0(SALU_CYCLE_1)
	v_mov_b32_e32 v124, s0
	v_cndmask_b32_e64 v123, 0, 1, vcc_lo
.LBB1293_719:
	s_or_b32 exec_lo, exec_lo, s3
.LBB1293_720:
	v_mul_lo_u32 v61, v50, s8
	v_mul_lo_u32 v62, v49, s9
	v_mad_u64_u32 v[59:60], null, v49, s8, 0
	v_mov_b32_e32 v127, 0
	v_mov_b32_e32 v128, 0
	v_cmp_ne_u32_e32 vcc_lo, 1, v65
	s_delay_alu instid0(VALU_DEP_2) | instskip(SKIP_1) | instid1(VALU_DEP_1)
	v_dual_mov_b32 v125, v127 :: v_dual_mov_b32 v126, v128
	v_add3_u32 v60, v60, v62, v61
	v_lshlrev_b64 v[59:60], 1, v[59:60]
	s_cbranch_vccnz .LBB1293_729
; %bb.721:
	v_add_co_u32 v61, vcc_lo, s10, v57
	v_add_co_ci_u32_e32 v62, vcc_lo, s11, v58, vcc_lo
	s_delay_alu instid0(VALU_DEP_3) | instskip(NEXT) | instid1(VALU_DEP_4)
	v_add_co_u32 v57, vcc_lo, s10, v59
	v_add_co_ci_u32_e32 v58, vcc_lo, s11, v60, vcc_lo
	v_mov_b32_e32 v125, 1
	s_clause 0x1
	global_load_u16 v63, v[61:62], off
	global_load_u16 v64, v[57:58], off
	v_mov_b32_e32 v126, 0
	s_mov_b32 s3, exec_lo
	s_waitcnt vmcnt(0)
	v_cmpx_eq_f16_e32 v63, v64
	s_cbranch_execz .LBB1293_728
; %bb.722:
	v_add_co_u32 v57, vcc_lo, v57, 2
	v_add_co_ci_u32_e32 v58, vcc_lo, 0, v58, vcc_lo
	v_add_co_u32 v61, vcc_lo, v61, 2
	v_add_co_ci_u32_e32 v62, vcc_lo, 0, v62, vcc_lo
	s_add_u32 s12, s8, -1
	s_addc_u32 s13, s9, -1
	s_mov_b64 s[14:15], 0
	s_mov_b32 s18, 0
                                        ; implicit-def: $sgpr19
	s_set_inst_prefetch_distance 0x1
	s_branch .LBB1293_725
	.p2align	6
.LBB1293_723:                           ;   in Loop: Header=BB1293_725 Depth=1
	global_load_u16 v63, v[61:62], off
	global_load_u16 v64, v[57:58], off
	v_add_co_u32 v57, vcc_lo, v57, 2
	v_add_co_ci_u32_e32 v58, vcc_lo, 0, v58, vcc_lo
	v_add_co_u32 v61, s0, v61, 2
	s_delay_alu instid0(VALU_DEP_1)
	v_add_co_ci_u32_e64 v62, s0, 0, v62, s0
	s_add_u32 s14, s14, 1
	s_addc_u32 s15, s15, 0
	s_and_not1_b32 s0, s19, exec_lo
	s_waitcnt vmcnt(0)
	v_cmp_neq_f16_e32 vcc_lo, v63, v64
	s_and_b32 s19, vcc_lo, exec_lo
	s_delay_alu instid0(SALU_CYCLE_1)
	s_or_b32 s19, s0, s19
.LBB1293_724:                           ;   in Loop: Header=BB1293_725 Depth=1
	v_dual_mov_b32 v64, s15 :: v_dual_mov_b32 v63, s14
	s_and_b32 s0, exec_lo, s19
	s_delay_alu instid0(SALU_CYCLE_1) | instskip(NEXT) | instid1(SALU_CYCLE_1)
	s_or_b32 s18, s0, s18
	s_and_not1_b32 exec_lo, exec_lo, s18
	s_cbranch_execz .LBB1293_727
.LBB1293_725:                           ; =>This Inner Loop Header: Depth=1
	s_or_b32 s19, s19, exec_lo
	s_cmp_eq_u64 s[12:13], s[14:15]
	s_cbranch_scc0 .LBB1293_723
; %bb.726:                              ;   in Loop: Header=BB1293_725 Depth=1
	s_mov_b64 s[14:15], s[8:9]
                                        ; implicit-def: $vgpr57_vgpr58
                                        ; implicit-def: $vgpr61_vgpr62
	s_branch .LBB1293_724
.LBB1293_727:
	s_set_inst_prefetch_distance 0x2
	s_or_b32 exec_lo, exec_lo, s18
	v_cmp_gt_i64_e32 vcc_lo, s[8:9], v[63:64]
	s_mov_b32 s0, 0
	s_delay_alu instid0(SALU_CYCLE_1)
	v_mov_b32_e32 v126, s0
	v_cndmask_b32_e64 v125, 0, 1, vcc_lo
.LBB1293_728:
	s_or_b32 exec_lo, exec_lo, s3
.LBB1293_729:
	v_mul_lo_u32 v61, v48, s8
	v_mul_lo_u32 v62, v47, s9
	v_mad_u64_u32 v[57:58], null, v47, s8, 0
	v_cmp_ne_u32_e32 vcc_lo, 1, v65
	s_delay_alu instid0(VALU_DEP_2) | instskip(NEXT) | instid1(VALU_DEP_1)
	v_add3_u32 v58, v58, v62, v61
	v_lshlrev_b64 v[57:58], 1, v[57:58]
	s_cbranch_vccnz .LBB1293_738
; %bb.730:
	v_add_co_u32 v61, vcc_lo, s10, v59
	v_add_co_ci_u32_e32 v62, vcc_lo, s11, v60, vcc_lo
	s_delay_alu instid0(VALU_DEP_3) | instskip(NEXT) | instid1(VALU_DEP_4)
	v_add_co_u32 v59, vcc_lo, s10, v57
	v_add_co_ci_u32_e32 v60, vcc_lo, s11, v58, vcc_lo
	v_mov_b32_e32 v127, 1
	s_clause 0x1
	global_load_u16 v63, v[61:62], off
	global_load_u16 v64, v[59:60], off
	v_mov_b32_e32 v128, 0
	s_mov_b32 s3, exec_lo
	s_waitcnt vmcnt(0)
	v_cmpx_eq_f16_e32 v63, v64
	s_cbranch_execz .LBB1293_737
; %bb.731:
	v_add_co_u32 v59, vcc_lo, v59, 2
	v_add_co_ci_u32_e32 v60, vcc_lo, 0, v60, vcc_lo
	v_add_co_u32 v61, vcc_lo, v61, 2
	v_add_co_ci_u32_e32 v62, vcc_lo, 0, v62, vcc_lo
	s_add_u32 s12, s8, -1
	s_addc_u32 s13, s9, -1
	s_mov_b64 s[14:15], 0
	s_mov_b32 s18, 0
                                        ; implicit-def: $sgpr19
	s_set_inst_prefetch_distance 0x1
	s_branch .LBB1293_734
	.p2align	6
.LBB1293_732:                           ;   in Loop: Header=BB1293_734 Depth=1
	global_load_u16 v63, v[61:62], off
	global_load_u16 v64, v[59:60], off
	v_add_co_u32 v59, vcc_lo, v59, 2
	v_add_co_ci_u32_e32 v60, vcc_lo, 0, v60, vcc_lo
	v_add_co_u32 v61, s0, v61, 2
	s_delay_alu instid0(VALU_DEP_1)
	v_add_co_ci_u32_e64 v62, s0, 0, v62, s0
	s_add_u32 s14, s14, 1
	s_addc_u32 s15, s15, 0
	s_and_not1_b32 s0, s19, exec_lo
	s_waitcnt vmcnt(0)
	v_cmp_neq_f16_e32 vcc_lo, v63, v64
	s_and_b32 s19, vcc_lo, exec_lo
	s_delay_alu instid0(SALU_CYCLE_1)
	s_or_b32 s19, s0, s19
.LBB1293_733:                           ;   in Loop: Header=BB1293_734 Depth=1
	v_dual_mov_b32 v64, s15 :: v_dual_mov_b32 v63, s14
	s_and_b32 s0, exec_lo, s19
	s_delay_alu instid0(SALU_CYCLE_1) | instskip(NEXT) | instid1(SALU_CYCLE_1)
	s_or_b32 s18, s0, s18
	s_and_not1_b32 exec_lo, exec_lo, s18
	s_cbranch_execz .LBB1293_736
.LBB1293_734:                           ; =>This Inner Loop Header: Depth=1
	s_or_b32 s19, s19, exec_lo
	s_cmp_eq_u64 s[12:13], s[14:15]
	s_cbranch_scc0 .LBB1293_732
; %bb.735:                              ;   in Loop: Header=BB1293_734 Depth=1
	s_mov_b64 s[14:15], s[8:9]
                                        ; implicit-def: $vgpr59_vgpr60
                                        ; implicit-def: $vgpr61_vgpr62
	s_branch .LBB1293_733
.LBB1293_736:
	s_set_inst_prefetch_distance 0x2
	s_or_b32 exec_lo, exec_lo, s18
	v_cmp_gt_i64_e32 vcc_lo, s[8:9], v[63:64]
	s_mov_b32 s0, 0
	s_delay_alu instid0(SALU_CYCLE_1)
	v_mov_b32_e32 v128, s0
	v_cndmask_b32_e64 v127, 0, 1, vcc_lo
.LBB1293_737:
	s_or_b32 exec_lo, exec_lo, s3
.LBB1293_738:
	v_mul_lo_u32 v61, v46, s8
	v_mul_lo_u32 v62, v45, s9
	v_mad_u64_u32 v[59:60], null, v45, s8, 0
	v_mov_b32_e32 v131, 0
	v_mov_b32_e32 v132, 0
	v_cmp_ne_u32_e32 vcc_lo, 1, v65
	s_delay_alu instid0(VALU_DEP_2) | instskip(SKIP_1) | instid1(VALU_DEP_1)
	v_dual_mov_b32 v129, v131 :: v_dual_mov_b32 v130, v132
	v_add3_u32 v60, v60, v62, v61
	v_lshlrev_b64 v[59:60], 1, v[59:60]
	s_cbranch_vccnz .LBB1293_747
; %bb.739:
	v_add_co_u32 v61, vcc_lo, s10, v57
	v_add_co_ci_u32_e32 v62, vcc_lo, s11, v58, vcc_lo
	s_delay_alu instid0(VALU_DEP_3) | instskip(NEXT) | instid1(VALU_DEP_4)
	v_add_co_u32 v57, vcc_lo, s10, v59
	v_add_co_ci_u32_e32 v58, vcc_lo, s11, v60, vcc_lo
	v_mov_b32_e32 v129, 1
	s_clause 0x1
	global_load_u16 v63, v[61:62], off
	global_load_u16 v64, v[57:58], off
	v_mov_b32_e32 v130, 0
	s_mov_b32 s3, exec_lo
	s_waitcnt vmcnt(0)
	v_cmpx_eq_f16_e32 v63, v64
	s_cbranch_execz .LBB1293_746
; %bb.740:
	v_add_co_u32 v57, vcc_lo, v57, 2
	v_add_co_ci_u32_e32 v58, vcc_lo, 0, v58, vcc_lo
	v_add_co_u32 v61, vcc_lo, v61, 2
	v_add_co_ci_u32_e32 v62, vcc_lo, 0, v62, vcc_lo
	s_add_u32 s12, s8, -1
	s_addc_u32 s13, s9, -1
	s_mov_b64 s[14:15], 0
	s_mov_b32 s18, 0
                                        ; implicit-def: $sgpr19
	s_set_inst_prefetch_distance 0x1
	s_branch .LBB1293_743
	.p2align	6
.LBB1293_741:                           ;   in Loop: Header=BB1293_743 Depth=1
	global_load_u16 v63, v[61:62], off
	global_load_u16 v64, v[57:58], off
	v_add_co_u32 v57, vcc_lo, v57, 2
	v_add_co_ci_u32_e32 v58, vcc_lo, 0, v58, vcc_lo
	v_add_co_u32 v61, s0, v61, 2
	s_delay_alu instid0(VALU_DEP_1)
	v_add_co_ci_u32_e64 v62, s0, 0, v62, s0
	s_add_u32 s14, s14, 1
	s_addc_u32 s15, s15, 0
	s_and_not1_b32 s0, s19, exec_lo
	s_waitcnt vmcnt(0)
	v_cmp_neq_f16_e32 vcc_lo, v63, v64
	s_and_b32 s19, vcc_lo, exec_lo
	s_delay_alu instid0(SALU_CYCLE_1)
	s_or_b32 s19, s0, s19
.LBB1293_742:                           ;   in Loop: Header=BB1293_743 Depth=1
	v_dual_mov_b32 v64, s15 :: v_dual_mov_b32 v63, s14
	s_and_b32 s0, exec_lo, s19
	s_delay_alu instid0(SALU_CYCLE_1) | instskip(NEXT) | instid1(SALU_CYCLE_1)
	s_or_b32 s18, s0, s18
	s_and_not1_b32 exec_lo, exec_lo, s18
	s_cbranch_execz .LBB1293_745
.LBB1293_743:                           ; =>This Inner Loop Header: Depth=1
	s_or_b32 s19, s19, exec_lo
	s_cmp_eq_u64 s[12:13], s[14:15]
	s_cbranch_scc0 .LBB1293_741
; %bb.744:                              ;   in Loop: Header=BB1293_743 Depth=1
	s_mov_b64 s[14:15], s[8:9]
                                        ; implicit-def: $vgpr57_vgpr58
                                        ; implicit-def: $vgpr61_vgpr62
	s_branch .LBB1293_742
.LBB1293_745:
	s_set_inst_prefetch_distance 0x2
	s_or_b32 exec_lo, exec_lo, s18
	v_cmp_gt_i64_e32 vcc_lo, s[8:9], v[63:64]
	s_mov_b32 s0, 0
	s_delay_alu instid0(SALU_CYCLE_1)
	v_mov_b32_e32 v130, s0
	v_cndmask_b32_e64 v129, 0, 1, vcc_lo
.LBB1293_746:
	s_or_b32 exec_lo, exec_lo, s3
.LBB1293_747:
	v_mul_lo_u32 v61, v44, s8
	v_mul_lo_u32 v62, v43, s9
	v_mad_u64_u32 v[57:58], null, v43, s8, 0
	v_cmp_ne_u32_e32 vcc_lo, 1, v65
	s_delay_alu instid0(VALU_DEP_2) | instskip(NEXT) | instid1(VALU_DEP_1)
	v_add3_u32 v58, v58, v62, v61
	v_lshlrev_b64 v[57:58], 1, v[57:58]
	s_cbranch_vccnz .LBB1293_756
; %bb.748:
	v_add_co_u32 v61, vcc_lo, s10, v59
	v_add_co_ci_u32_e32 v62, vcc_lo, s11, v60, vcc_lo
	s_delay_alu instid0(VALU_DEP_3) | instskip(NEXT) | instid1(VALU_DEP_4)
	v_add_co_u32 v59, vcc_lo, s10, v57
	v_add_co_ci_u32_e32 v60, vcc_lo, s11, v58, vcc_lo
	v_mov_b32_e32 v131, 1
	s_clause 0x1
	global_load_u16 v63, v[61:62], off
	global_load_u16 v64, v[59:60], off
	v_mov_b32_e32 v132, 0
	s_mov_b32 s3, exec_lo
	s_waitcnt vmcnt(0)
	v_cmpx_eq_f16_e32 v63, v64
	s_cbranch_execz .LBB1293_755
; %bb.749:
	v_add_co_u32 v59, vcc_lo, v59, 2
	v_add_co_ci_u32_e32 v60, vcc_lo, 0, v60, vcc_lo
	v_add_co_u32 v61, vcc_lo, v61, 2
	v_add_co_ci_u32_e32 v62, vcc_lo, 0, v62, vcc_lo
	s_add_u32 s12, s8, -1
	s_addc_u32 s13, s9, -1
	s_mov_b64 s[14:15], 0
	s_mov_b32 s18, 0
                                        ; implicit-def: $sgpr19
	s_set_inst_prefetch_distance 0x1
	s_branch .LBB1293_752
	.p2align	6
.LBB1293_750:                           ;   in Loop: Header=BB1293_752 Depth=1
	global_load_u16 v63, v[61:62], off
	global_load_u16 v64, v[59:60], off
	v_add_co_u32 v59, vcc_lo, v59, 2
	v_add_co_ci_u32_e32 v60, vcc_lo, 0, v60, vcc_lo
	v_add_co_u32 v61, s0, v61, 2
	s_delay_alu instid0(VALU_DEP_1)
	v_add_co_ci_u32_e64 v62, s0, 0, v62, s0
	s_add_u32 s14, s14, 1
	s_addc_u32 s15, s15, 0
	s_and_not1_b32 s0, s19, exec_lo
	s_waitcnt vmcnt(0)
	v_cmp_neq_f16_e32 vcc_lo, v63, v64
	s_and_b32 s19, vcc_lo, exec_lo
	s_delay_alu instid0(SALU_CYCLE_1)
	s_or_b32 s19, s0, s19
.LBB1293_751:                           ;   in Loop: Header=BB1293_752 Depth=1
	v_dual_mov_b32 v64, s15 :: v_dual_mov_b32 v63, s14
	s_and_b32 s0, exec_lo, s19
	s_delay_alu instid0(SALU_CYCLE_1) | instskip(NEXT) | instid1(SALU_CYCLE_1)
	s_or_b32 s18, s0, s18
	s_and_not1_b32 exec_lo, exec_lo, s18
	s_cbranch_execz .LBB1293_754
.LBB1293_752:                           ; =>This Inner Loop Header: Depth=1
	s_or_b32 s19, s19, exec_lo
	s_cmp_eq_u64 s[12:13], s[14:15]
	s_cbranch_scc0 .LBB1293_750
; %bb.753:                              ;   in Loop: Header=BB1293_752 Depth=1
	s_mov_b64 s[14:15], s[8:9]
                                        ; implicit-def: $vgpr59_vgpr60
                                        ; implicit-def: $vgpr61_vgpr62
	s_branch .LBB1293_751
.LBB1293_754:
	s_set_inst_prefetch_distance 0x2
	s_or_b32 exec_lo, exec_lo, s18
	v_cmp_gt_i64_e32 vcc_lo, s[8:9], v[63:64]
	s_mov_b32 s0, 0
	s_delay_alu instid0(SALU_CYCLE_1)
	v_mov_b32_e32 v132, s0
	v_cndmask_b32_e64 v131, 0, 1, vcc_lo
.LBB1293_755:
	s_or_b32 exec_lo, exec_lo, s3
.LBB1293_756:
	v_mul_lo_u32 v61, v42, s8
	v_mul_lo_u32 v62, v41, s9
	v_mad_u64_u32 v[59:60], null, v41, s8, 0
	v_mov_b32_e32 v135, 0
	v_mov_b32_e32 v136, 0
	v_cmp_ne_u32_e32 vcc_lo, 1, v65
	s_delay_alu instid0(VALU_DEP_2) | instskip(SKIP_1) | instid1(VALU_DEP_1)
	v_dual_mov_b32 v133, v135 :: v_dual_mov_b32 v134, v136
	v_add3_u32 v60, v60, v62, v61
	v_lshlrev_b64 v[59:60], 1, v[59:60]
	s_cbranch_vccnz .LBB1293_765
; %bb.757:
	v_add_co_u32 v61, vcc_lo, s10, v57
	v_add_co_ci_u32_e32 v62, vcc_lo, s11, v58, vcc_lo
	s_delay_alu instid0(VALU_DEP_3) | instskip(NEXT) | instid1(VALU_DEP_4)
	v_add_co_u32 v57, vcc_lo, s10, v59
	v_add_co_ci_u32_e32 v58, vcc_lo, s11, v60, vcc_lo
	v_mov_b32_e32 v133, 1
	s_clause 0x1
	global_load_u16 v63, v[61:62], off
	global_load_u16 v64, v[57:58], off
	v_mov_b32_e32 v134, 0
	s_mov_b32 s3, exec_lo
	s_waitcnt vmcnt(0)
	v_cmpx_eq_f16_e32 v63, v64
	s_cbranch_execz .LBB1293_764
; %bb.758:
	v_add_co_u32 v57, vcc_lo, v57, 2
	v_add_co_ci_u32_e32 v58, vcc_lo, 0, v58, vcc_lo
	v_add_co_u32 v61, vcc_lo, v61, 2
	v_add_co_ci_u32_e32 v62, vcc_lo, 0, v62, vcc_lo
	s_add_u32 s12, s8, -1
	s_addc_u32 s13, s9, -1
	s_mov_b64 s[14:15], 0
	s_mov_b32 s18, 0
                                        ; implicit-def: $sgpr19
	s_set_inst_prefetch_distance 0x1
	s_branch .LBB1293_761
	.p2align	6
.LBB1293_759:                           ;   in Loop: Header=BB1293_761 Depth=1
	global_load_u16 v63, v[61:62], off
	global_load_u16 v64, v[57:58], off
	v_add_co_u32 v57, vcc_lo, v57, 2
	v_add_co_ci_u32_e32 v58, vcc_lo, 0, v58, vcc_lo
	v_add_co_u32 v61, s0, v61, 2
	s_delay_alu instid0(VALU_DEP_1)
	v_add_co_ci_u32_e64 v62, s0, 0, v62, s0
	s_add_u32 s14, s14, 1
	s_addc_u32 s15, s15, 0
	s_and_not1_b32 s0, s19, exec_lo
	s_waitcnt vmcnt(0)
	v_cmp_neq_f16_e32 vcc_lo, v63, v64
	s_and_b32 s19, vcc_lo, exec_lo
	s_delay_alu instid0(SALU_CYCLE_1)
	s_or_b32 s19, s0, s19
.LBB1293_760:                           ;   in Loop: Header=BB1293_761 Depth=1
	v_dual_mov_b32 v64, s15 :: v_dual_mov_b32 v63, s14
	s_and_b32 s0, exec_lo, s19
	s_delay_alu instid0(SALU_CYCLE_1) | instskip(NEXT) | instid1(SALU_CYCLE_1)
	s_or_b32 s18, s0, s18
	s_and_not1_b32 exec_lo, exec_lo, s18
	s_cbranch_execz .LBB1293_763
.LBB1293_761:                           ; =>This Inner Loop Header: Depth=1
	s_or_b32 s19, s19, exec_lo
	s_cmp_eq_u64 s[12:13], s[14:15]
	s_cbranch_scc0 .LBB1293_759
; %bb.762:                              ;   in Loop: Header=BB1293_761 Depth=1
	s_mov_b64 s[14:15], s[8:9]
                                        ; implicit-def: $vgpr57_vgpr58
                                        ; implicit-def: $vgpr61_vgpr62
	s_branch .LBB1293_760
.LBB1293_763:
	s_set_inst_prefetch_distance 0x2
	s_or_b32 exec_lo, exec_lo, s18
	v_cmp_gt_i64_e32 vcc_lo, s[8:9], v[63:64]
	s_mov_b32 s0, 0
	s_delay_alu instid0(SALU_CYCLE_1)
	v_mov_b32_e32 v134, s0
	v_cndmask_b32_e64 v133, 0, 1, vcc_lo
.LBB1293_764:
	s_or_b32 exec_lo, exec_lo, s3
.LBB1293_765:
	v_mul_lo_u32 v61, v40, s8
	v_mul_lo_u32 v62, v39, s9
	v_mad_u64_u32 v[57:58], null, v39, s8, 0
	v_cmp_ne_u32_e32 vcc_lo, 1, v65
	s_delay_alu instid0(VALU_DEP_2) | instskip(NEXT) | instid1(VALU_DEP_1)
	v_add3_u32 v58, v58, v62, v61
	v_lshlrev_b64 v[57:58], 1, v[57:58]
	s_cbranch_vccnz .LBB1293_774
; %bb.766:
	v_add_co_u32 v61, vcc_lo, s10, v59
	v_add_co_ci_u32_e32 v62, vcc_lo, s11, v60, vcc_lo
	s_delay_alu instid0(VALU_DEP_3) | instskip(NEXT) | instid1(VALU_DEP_4)
	v_add_co_u32 v59, vcc_lo, s10, v57
	v_add_co_ci_u32_e32 v60, vcc_lo, s11, v58, vcc_lo
	v_mov_b32_e32 v135, 1
	s_clause 0x1
	global_load_u16 v63, v[61:62], off
	global_load_u16 v64, v[59:60], off
	v_mov_b32_e32 v136, 0
	s_mov_b32 s3, exec_lo
	s_waitcnt vmcnt(0)
	v_cmpx_eq_f16_e32 v63, v64
	s_cbranch_execz .LBB1293_773
; %bb.767:
	v_add_co_u32 v59, vcc_lo, v59, 2
	v_add_co_ci_u32_e32 v60, vcc_lo, 0, v60, vcc_lo
	v_add_co_u32 v61, vcc_lo, v61, 2
	v_add_co_ci_u32_e32 v62, vcc_lo, 0, v62, vcc_lo
	s_add_u32 s12, s8, -1
	s_addc_u32 s13, s9, -1
	s_mov_b64 s[14:15], 0
	s_mov_b32 s18, 0
                                        ; implicit-def: $sgpr19
	s_set_inst_prefetch_distance 0x1
	s_branch .LBB1293_770
	.p2align	6
.LBB1293_768:                           ;   in Loop: Header=BB1293_770 Depth=1
	global_load_u16 v63, v[61:62], off
	global_load_u16 v64, v[59:60], off
	v_add_co_u32 v59, vcc_lo, v59, 2
	v_add_co_ci_u32_e32 v60, vcc_lo, 0, v60, vcc_lo
	v_add_co_u32 v61, s0, v61, 2
	s_delay_alu instid0(VALU_DEP_1)
	v_add_co_ci_u32_e64 v62, s0, 0, v62, s0
	s_add_u32 s14, s14, 1
	s_addc_u32 s15, s15, 0
	s_and_not1_b32 s0, s19, exec_lo
	s_waitcnt vmcnt(0)
	v_cmp_neq_f16_e32 vcc_lo, v63, v64
	s_and_b32 s19, vcc_lo, exec_lo
	s_delay_alu instid0(SALU_CYCLE_1)
	s_or_b32 s19, s0, s19
.LBB1293_769:                           ;   in Loop: Header=BB1293_770 Depth=1
	v_dual_mov_b32 v64, s15 :: v_dual_mov_b32 v63, s14
	s_and_b32 s0, exec_lo, s19
	s_delay_alu instid0(SALU_CYCLE_1) | instskip(NEXT) | instid1(SALU_CYCLE_1)
	s_or_b32 s18, s0, s18
	s_and_not1_b32 exec_lo, exec_lo, s18
	s_cbranch_execz .LBB1293_772
.LBB1293_770:                           ; =>This Inner Loop Header: Depth=1
	s_or_b32 s19, s19, exec_lo
	s_cmp_eq_u64 s[12:13], s[14:15]
	s_cbranch_scc0 .LBB1293_768
; %bb.771:                              ;   in Loop: Header=BB1293_770 Depth=1
	s_mov_b64 s[14:15], s[8:9]
                                        ; implicit-def: $vgpr59_vgpr60
                                        ; implicit-def: $vgpr61_vgpr62
	s_branch .LBB1293_769
.LBB1293_772:
	s_set_inst_prefetch_distance 0x2
	s_or_b32 exec_lo, exec_lo, s18
	v_cmp_gt_i64_e32 vcc_lo, s[8:9], v[63:64]
	s_mov_b32 s0, 0
	s_delay_alu instid0(SALU_CYCLE_1)
	v_mov_b32_e32 v136, s0
	v_cndmask_b32_e64 v135, 0, 1, vcc_lo
.LBB1293_773:
	s_or_b32 exec_lo, exec_lo, s3
.LBB1293_774:
	v_mul_lo_u32 v61, v38, s8
	v_mul_lo_u32 v62, v37, s9
	v_mad_u64_u32 v[59:60], null, v37, s8, 0
	v_mov_b32_e32 v139, 0
	v_mov_b32_e32 v140, 0
	v_cmp_ne_u32_e32 vcc_lo, 1, v65
	s_delay_alu instid0(VALU_DEP_2) | instskip(SKIP_1) | instid1(VALU_DEP_1)
	v_dual_mov_b32 v137, v139 :: v_dual_mov_b32 v138, v140
	v_add3_u32 v60, v60, v62, v61
	v_lshlrev_b64 v[59:60], 1, v[59:60]
	s_cbranch_vccnz .LBB1293_783
; %bb.775:
	v_add_co_u32 v61, vcc_lo, s10, v57
	v_add_co_ci_u32_e32 v62, vcc_lo, s11, v58, vcc_lo
	s_delay_alu instid0(VALU_DEP_3) | instskip(NEXT) | instid1(VALU_DEP_4)
	v_add_co_u32 v57, vcc_lo, s10, v59
	v_add_co_ci_u32_e32 v58, vcc_lo, s11, v60, vcc_lo
	v_mov_b32_e32 v137, 1
	s_clause 0x1
	global_load_u16 v63, v[61:62], off
	global_load_u16 v64, v[57:58], off
	v_mov_b32_e32 v138, 0
	s_mov_b32 s3, exec_lo
	s_waitcnt vmcnt(0)
	v_cmpx_eq_f16_e32 v63, v64
	s_cbranch_execz .LBB1293_782
; %bb.776:
	v_add_co_u32 v57, vcc_lo, v57, 2
	v_add_co_ci_u32_e32 v58, vcc_lo, 0, v58, vcc_lo
	v_add_co_u32 v61, vcc_lo, v61, 2
	v_add_co_ci_u32_e32 v62, vcc_lo, 0, v62, vcc_lo
	s_add_u32 s12, s8, -1
	s_addc_u32 s13, s9, -1
	s_mov_b64 s[14:15], 0
	s_mov_b32 s18, 0
                                        ; implicit-def: $sgpr19
	s_set_inst_prefetch_distance 0x1
	s_branch .LBB1293_779
	.p2align	6
.LBB1293_777:                           ;   in Loop: Header=BB1293_779 Depth=1
	global_load_u16 v63, v[61:62], off
	global_load_u16 v64, v[57:58], off
	v_add_co_u32 v57, vcc_lo, v57, 2
	v_add_co_ci_u32_e32 v58, vcc_lo, 0, v58, vcc_lo
	v_add_co_u32 v61, s0, v61, 2
	s_delay_alu instid0(VALU_DEP_1)
	v_add_co_ci_u32_e64 v62, s0, 0, v62, s0
	s_add_u32 s14, s14, 1
	s_addc_u32 s15, s15, 0
	s_and_not1_b32 s0, s19, exec_lo
	s_waitcnt vmcnt(0)
	v_cmp_neq_f16_e32 vcc_lo, v63, v64
	s_and_b32 s19, vcc_lo, exec_lo
	s_delay_alu instid0(SALU_CYCLE_1)
	s_or_b32 s19, s0, s19
.LBB1293_778:                           ;   in Loop: Header=BB1293_779 Depth=1
	v_dual_mov_b32 v64, s15 :: v_dual_mov_b32 v63, s14
	s_and_b32 s0, exec_lo, s19
	s_delay_alu instid0(SALU_CYCLE_1) | instskip(NEXT) | instid1(SALU_CYCLE_1)
	s_or_b32 s18, s0, s18
	s_and_not1_b32 exec_lo, exec_lo, s18
	s_cbranch_execz .LBB1293_781
.LBB1293_779:                           ; =>This Inner Loop Header: Depth=1
	s_or_b32 s19, s19, exec_lo
	s_cmp_eq_u64 s[12:13], s[14:15]
	s_cbranch_scc0 .LBB1293_777
; %bb.780:                              ;   in Loop: Header=BB1293_779 Depth=1
	s_mov_b64 s[14:15], s[8:9]
                                        ; implicit-def: $vgpr57_vgpr58
                                        ; implicit-def: $vgpr61_vgpr62
	s_branch .LBB1293_778
.LBB1293_781:
	s_set_inst_prefetch_distance 0x2
	s_or_b32 exec_lo, exec_lo, s18
	v_cmp_gt_i64_e32 vcc_lo, s[8:9], v[63:64]
	s_mov_b32 s0, 0
	s_delay_alu instid0(SALU_CYCLE_1)
	v_mov_b32_e32 v138, s0
	v_cndmask_b32_e64 v137, 0, 1, vcc_lo
.LBB1293_782:
	s_or_b32 exec_lo, exec_lo, s3
.LBB1293_783:
	v_mul_lo_u32 v61, v36, s8
	v_mul_lo_u32 v62, v35, s9
	v_mad_u64_u32 v[57:58], null, v35, s8, 0
	v_cmp_ne_u32_e32 vcc_lo, 1, v65
	s_delay_alu instid0(VALU_DEP_2) | instskip(NEXT) | instid1(VALU_DEP_1)
	v_add3_u32 v58, v58, v62, v61
	v_lshlrev_b64 v[57:58], 1, v[57:58]
	s_cbranch_vccnz .LBB1293_792
; %bb.784:
	v_add_co_u32 v61, vcc_lo, s10, v59
	v_add_co_ci_u32_e32 v62, vcc_lo, s11, v60, vcc_lo
	s_delay_alu instid0(VALU_DEP_3) | instskip(NEXT) | instid1(VALU_DEP_4)
	v_add_co_u32 v59, vcc_lo, s10, v57
	v_add_co_ci_u32_e32 v60, vcc_lo, s11, v58, vcc_lo
	v_mov_b32_e32 v139, 1
	s_clause 0x1
	global_load_u16 v63, v[61:62], off
	global_load_u16 v64, v[59:60], off
	v_mov_b32_e32 v140, 0
	s_mov_b32 s3, exec_lo
	s_waitcnt vmcnt(0)
	v_cmpx_eq_f16_e32 v63, v64
	s_cbranch_execz .LBB1293_791
; %bb.785:
	v_add_co_u32 v59, vcc_lo, v59, 2
	v_add_co_ci_u32_e32 v60, vcc_lo, 0, v60, vcc_lo
	v_add_co_u32 v61, vcc_lo, v61, 2
	v_add_co_ci_u32_e32 v62, vcc_lo, 0, v62, vcc_lo
	s_add_u32 s12, s8, -1
	s_addc_u32 s13, s9, -1
	s_mov_b64 s[14:15], 0
	s_mov_b32 s18, 0
                                        ; implicit-def: $sgpr19
	s_set_inst_prefetch_distance 0x1
	s_branch .LBB1293_788
	.p2align	6
.LBB1293_786:                           ;   in Loop: Header=BB1293_788 Depth=1
	global_load_u16 v63, v[61:62], off
	global_load_u16 v64, v[59:60], off
	v_add_co_u32 v59, vcc_lo, v59, 2
	v_add_co_ci_u32_e32 v60, vcc_lo, 0, v60, vcc_lo
	v_add_co_u32 v61, s0, v61, 2
	s_delay_alu instid0(VALU_DEP_1)
	v_add_co_ci_u32_e64 v62, s0, 0, v62, s0
	s_add_u32 s14, s14, 1
	s_addc_u32 s15, s15, 0
	s_and_not1_b32 s0, s19, exec_lo
	s_waitcnt vmcnt(0)
	v_cmp_neq_f16_e32 vcc_lo, v63, v64
	s_and_b32 s19, vcc_lo, exec_lo
	s_delay_alu instid0(SALU_CYCLE_1)
	s_or_b32 s19, s0, s19
.LBB1293_787:                           ;   in Loop: Header=BB1293_788 Depth=1
	v_dual_mov_b32 v64, s15 :: v_dual_mov_b32 v63, s14
	s_and_b32 s0, exec_lo, s19
	s_delay_alu instid0(SALU_CYCLE_1) | instskip(NEXT) | instid1(SALU_CYCLE_1)
	s_or_b32 s18, s0, s18
	s_and_not1_b32 exec_lo, exec_lo, s18
	s_cbranch_execz .LBB1293_790
.LBB1293_788:                           ; =>This Inner Loop Header: Depth=1
	s_or_b32 s19, s19, exec_lo
	s_cmp_eq_u64 s[12:13], s[14:15]
	s_cbranch_scc0 .LBB1293_786
; %bb.789:                              ;   in Loop: Header=BB1293_788 Depth=1
	s_mov_b64 s[14:15], s[8:9]
                                        ; implicit-def: $vgpr59_vgpr60
                                        ; implicit-def: $vgpr61_vgpr62
	s_branch .LBB1293_787
.LBB1293_790:
	s_set_inst_prefetch_distance 0x2
	s_or_b32 exec_lo, exec_lo, s18
	v_cmp_gt_i64_e32 vcc_lo, s[8:9], v[63:64]
	s_mov_b32 s0, 0
	s_delay_alu instid0(SALU_CYCLE_1)
	v_mov_b32_e32 v140, s0
	v_cndmask_b32_e64 v139, 0, 1, vcc_lo
.LBB1293_791:
	s_or_b32 exec_lo, exec_lo, s3
.LBB1293_792:
	v_mul_lo_u32 v61, v34, s8
	v_mul_lo_u32 v62, v33, s9
	v_mad_u64_u32 v[59:60], null, v33, s8, 0
	v_mov_b32_e32 v143, 0
	v_mov_b32_e32 v144, 0
	v_cmp_ne_u32_e32 vcc_lo, 1, v65
	s_delay_alu instid0(VALU_DEP_2) | instskip(SKIP_1) | instid1(VALU_DEP_1)
	v_dual_mov_b32 v141, v143 :: v_dual_mov_b32 v142, v144
	v_add3_u32 v60, v60, v62, v61
	v_lshlrev_b64 v[59:60], 1, v[59:60]
	s_cbranch_vccnz .LBB1293_801
; %bb.793:
	v_add_co_u32 v61, vcc_lo, s10, v57
	v_add_co_ci_u32_e32 v62, vcc_lo, s11, v58, vcc_lo
	s_delay_alu instid0(VALU_DEP_3) | instskip(NEXT) | instid1(VALU_DEP_4)
	v_add_co_u32 v57, vcc_lo, s10, v59
	v_add_co_ci_u32_e32 v58, vcc_lo, s11, v60, vcc_lo
	v_mov_b32_e32 v141, 1
	s_clause 0x1
	global_load_u16 v63, v[61:62], off
	global_load_u16 v64, v[57:58], off
	v_mov_b32_e32 v142, 0
	s_mov_b32 s3, exec_lo
	s_waitcnt vmcnt(0)
	v_cmpx_eq_f16_e32 v63, v64
	s_cbranch_execz .LBB1293_800
; %bb.794:
	v_add_co_u32 v57, vcc_lo, v57, 2
	v_add_co_ci_u32_e32 v58, vcc_lo, 0, v58, vcc_lo
	v_add_co_u32 v61, vcc_lo, v61, 2
	v_add_co_ci_u32_e32 v62, vcc_lo, 0, v62, vcc_lo
	s_add_u32 s12, s8, -1
	s_addc_u32 s13, s9, -1
	s_mov_b64 s[14:15], 0
	s_mov_b32 s18, 0
                                        ; implicit-def: $sgpr19
	s_set_inst_prefetch_distance 0x1
	s_branch .LBB1293_797
	.p2align	6
.LBB1293_795:                           ;   in Loop: Header=BB1293_797 Depth=1
	global_load_u16 v63, v[61:62], off
	global_load_u16 v64, v[57:58], off
	v_add_co_u32 v57, vcc_lo, v57, 2
	v_add_co_ci_u32_e32 v58, vcc_lo, 0, v58, vcc_lo
	v_add_co_u32 v61, s0, v61, 2
	s_delay_alu instid0(VALU_DEP_1)
	v_add_co_ci_u32_e64 v62, s0, 0, v62, s0
	s_add_u32 s14, s14, 1
	s_addc_u32 s15, s15, 0
	s_and_not1_b32 s0, s19, exec_lo
	s_waitcnt vmcnt(0)
	v_cmp_neq_f16_e32 vcc_lo, v63, v64
	s_and_b32 s19, vcc_lo, exec_lo
	s_delay_alu instid0(SALU_CYCLE_1)
	s_or_b32 s19, s0, s19
.LBB1293_796:                           ;   in Loop: Header=BB1293_797 Depth=1
	v_dual_mov_b32 v64, s15 :: v_dual_mov_b32 v63, s14
	s_and_b32 s0, exec_lo, s19
	s_delay_alu instid0(SALU_CYCLE_1) | instskip(NEXT) | instid1(SALU_CYCLE_1)
	s_or_b32 s18, s0, s18
	s_and_not1_b32 exec_lo, exec_lo, s18
	s_cbranch_execz .LBB1293_799
.LBB1293_797:                           ; =>This Inner Loop Header: Depth=1
	s_or_b32 s19, s19, exec_lo
	s_cmp_eq_u64 s[12:13], s[14:15]
	s_cbranch_scc0 .LBB1293_795
; %bb.798:                              ;   in Loop: Header=BB1293_797 Depth=1
	s_mov_b64 s[14:15], s[8:9]
                                        ; implicit-def: $vgpr57_vgpr58
                                        ; implicit-def: $vgpr61_vgpr62
	s_branch .LBB1293_796
.LBB1293_799:
	s_set_inst_prefetch_distance 0x2
	s_or_b32 exec_lo, exec_lo, s18
	v_cmp_gt_i64_e32 vcc_lo, s[8:9], v[63:64]
	s_mov_b32 s0, 0
	s_delay_alu instid0(SALU_CYCLE_1)
	v_mov_b32_e32 v142, s0
	v_cndmask_b32_e64 v141, 0, 1, vcc_lo
.LBB1293_800:
	s_or_b32 exec_lo, exec_lo, s3
.LBB1293_801:
	v_mul_lo_u32 v61, v32, s8
	v_mul_lo_u32 v62, v31, s9
	v_mad_u64_u32 v[57:58], null, v31, s8, 0
	v_cmp_ne_u32_e32 vcc_lo, 1, v65
	s_delay_alu instid0(VALU_DEP_2) | instskip(NEXT) | instid1(VALU_DEP_1)
	v_add3_u32 v58, v58, v62, v61
	v_lshlrev_b64 v[57:58], 1, v[57:58]
	s_cbranch_vccnz .LBB1293_810
; %bb.802:
	v_add_co_u32 v61, vcc_lo, s10, v59
	v_add_co_ci_u32_e32 v62, vcc_lo, s11, v60, vcc_lo
	s_delay_alu instid0(VALU_DEP_3) | instskip(NEXT) | instid1(VALU_DEP_4)
	v_add_co_u32 v59, vcc_lo, s10, v57
	v_add_co_ci_u32_e32 v60, vcc_lo, s11, v58, vcc_lo
	v_mov_b32_e32 v143, 1
	s_clause 0x1
	global_load_u16 v63, v[61:62], off
	global_load_u16 v64, v[59:60], off
	v_mov_b32_e32 v144, 0
	s_mov_b32 s3, exec_lo
	s_waitcnt vmcnt(0)
	v_cmpx_eq_f16_e32 v63, v64
	s_cbranch_execz .LBB1293_809
; %bb.803:
	v_add_co_u32 v59, vcc_lo, v59, 2
	v_add_co_ci_u32_e32 v60, vcc_lo, 0, v60, vcc_lo
	v_add_co_u32 v61, vcc_lo, v61, 2
	v_add_co_ci_u32_e32 v62, vcc_lo, 0, v62, vcc_lo
	s_add_u32 s12, s8, -1
	s_addc_u32 s13, s9, -1
	s_mov_b64 s[14:15], 0
	s_mov_b32 s18, 0
                                        ; implicit-def: $sgpr19
	s_set_inst_prefetch_distance 0x1
	s_branch .LBB1293_806
	.p2align	6
.LBB1293_804:                           ;   in Loop: Header=BB1293_806 Depth=1
	global_load_u16 v63, v[61:62], off
	global_load_u16 v64, v[59:60], off
	v_add_co_u32 v59, vcc_lo, v59, 2
	v_add_co_ci_u32_e32 v60, vcc_lo, 0, v60, vcc_lo
	v_add_co_u32 v61, s0, v61, 2
	s_delay_alu instid0(VALU_DEP_1)
	v_add_co_ci_u32_e64 v62, s0, 0, v62, s0
	s_add_u32 s14, s14, 1
	s_addc_u32 s15, s15, 0
	s_and_not1_b32 s0, s19, exec_lo
	s_waitcnt vmcnt(0)
	v_cmp_neq_f16_e32 vcc_lo, v63, v64
	s_and_b32 s19, vcc_lo, exec_lo
	s_delay_alu instid0(SALU_CYCLE_1)
	s_or_b32 s19, s0, s19
.LBB1293_805:                           ;   in Loop: Header=BB1293_806 Depth=1
	v_dual_mov_b32 v64, s15 :: v_dual_mov_b32 v63, s14
	s_and_b32 s0, exec_lo, s19
	s_delay_alu instid0(SALU_CYCLE_1) | instskip(NEXT) | instid1(SALU_CYCLE_1)
	s_or_b32 s18, s0, s18
	s_and_not1_b32 exec_lo, exec_lo, s18
	s_cbranch_execz .LBB1293_808
.LBB1293_806:                           ; =>This Inner Loop Header: Depth=1
	s_or_b32 s19, s19, exec_lo
	s_cmp_eq_u64 s[12:13], s[14:15]
	s_cbranch_scc0 .LBB1293_804
; %bb.807:                              ;   in Loop: Header=BB1293_806 Depth=1
	s_mov_b64 s[14:15], s[8:9]
                                        ; implicit-def: $vgpr59_vgpr60
                                        ; implicit-def: $vgpr61_vgpr62
	s_branch .LBB1293_805
.LBB1293_808:
	s_set_inst_prefetch_distance 0x2
	s_or_b32 exec_lo, exec_lo, s18
	v_cmp_gt_i64_e32 vcc_lo, s[8:9], v[63:64]
	s_mov_b32 s0, 0
	s_delay_alu instid0(SALU_CYCLE_1)
	v_mov_b32_e32 v144, s0
	v_cndmask_b32_e64 v143, 0, 1, vcc_lo
.LBB1293_809:
	s_or_b32 exec_lo, exec_lo, s3
.LBB1293_810:
	v_mul_lo_u32 v61, v30, s8
	v_mul_lo_u32 v62, v29, s9
	v_mad_u64_u32 v[59:60], null, v29, s8, 0
	v_mov_b32_e32 v147, 0
	v_mov_b32_e32 v148, 0
	v_cmp_ne_u32_e32 vcc_lo, 1, v65
	s_delay_alu instid0(VALU_DEP_2) | instskip(SKIP_1) | instid1(VALU_DEP_1)
	v_dual_mov_b32 v145, v147 :: v_dual_mov_b32 v146, v148
	v_add3_u32 v60, v60, v62, v61
	v_lshlrev_b64 v[59:60], 1, v[59:60]
	s_cbranch_vccnz .LBB1293_819
; %bb.811:
	v_add_co_u32 v61, vcc_lo, s10, v57
	v_add_co_ci_u32_e32 v62, vcc_lo, s11, v58, vcc_lo
	s_delay_alu instid0(VALU_DEP_3) | instskip(NEXT) | instid1(VALU_DEP_4)
	v_add_co_u32 v57, vcc_lo, s10, v59
	v_add_co_ci_u32_e32 v58, vcc_lo, s11, v60, vcc_lo
	v_mov_b32_e32 v145, 1
	s_clause 0x1
	global_load_u16 v63, v[61:62], off
	global_load_u16 v64, v[57:58], off
	v_mov_b32_e32 v146, 0
	s_mov_b32 s3, exec_lo
	s_waitcnt vmcnt(0)
	v_cmpx_eq_f16_e32 v63, v64
	s_cbranch_execz .LBB1293_818
; %bb.812:
	v_add_co_u32 v57, vcc_lo, v57, 2
	v_add_co_ci_u32_e32 v58, vcc_lo, 0, v58, vcc_lo
	v_add_co_u32 v61, vcc_lo, v61, 2
	v_add_co_ci_u32_e32 v62, vcc_lo, 0, v62, vcc_lo
	s_add_u32 s12, s8, -1
	s_addc_u32 s13, s9, -1
	s_mov_b64 s[14:15], 0
	s_mov_b32 s18, 0
                                        ; implicit-def: $sgpr19
	s_set_inst_prefetch_distance 0x1
	s_branch .LBB1293_815
	.p2align	6
.LBB1293_813:                           ;   in Loop: Header=BB1293_815 Depth=1
	global_load_u16 v63, v[61:62], off
	global_load_u16 v64, v[57:58], off
	v_add_co_u32 v57, vcc_lo, v57, 2
	v_add_co_ci_u32_e32 v58, vcc_lo, 0, v58, vcc_lo
	v_add_co_u32 v61, s0, v61, 2
	s_delay_alu instid0(VALU_DEP_1)
	v_add_co_ci_u32_e64 v62, s0, 0, v62, s0
	s_add_u32 s14, s14, 1
	s_addc_u32 s15, s15, 0
	s_and_not1_b32 s0, s19, exec_lo
	s_waitcnt vmcnt(0)
	v_cmp_neq_f16_e32 vcc_lo, v63, v64
	s_and_b32 s19, vcc_lo, exec_lo
	s_delay_alu instid0(SALU_CYCLE_1)
	s_or_b32 s19, s0, s19
.LBB1293_814:                           ;   in Loop: Header=BB1293_815 Depth=1
	v_dual_mov_b32 v64, s15 :: v_dual_mov_b32 v63, s14
	s_and_b32 s0, exec_lo, s19
	s_delay_alu instid0(SALU_CYCLE_1) | instskip(NEXT) | instid1(SALU_CYCLE_1)
	s_or_b32 s18, s0, s18
	s_and_not1_b32 exec_lo, exec_lo, s18
	s_cbranch_execz .LBB1293_817
.LBB1293_815:                           ; =>This Inner Loop Header: Depth=1
	s_or_b32 s19, s19, exec_lo
	s_cmp_eq_u64 s[12:13], s[14:15]
	s_cbranch_scc0 .LBB1293_813
; %bb.816:                              ;   in Loop: Header=BB1293_815 Depth=1
	s_mov_b64 s[14:15], s[8:9]
                                        ; implicit-def: $vgpr57_vgpr58
                                        ; implicit-def: $vgpr61_vgpr62
	s_branch .LBB1293_814
.LBB1293_817:
	s_set_inst_prefetch_distance 0x2
	s_or_b32 exec_lo, exec_lo, s18
	v_cmp_gt_i64_e32 vcc_lo, s[8:9], v[63:64]
	s_mov_b32 s0, 0
	s_delay_alu instid0(SALU_CYCLE_1)
	v_mov_b32_e32 v146, s0
	v_cndmask_b32_e64 v145, 0, 1, vcc_lo
.LBB1293_818:
	s_or_b32 exec_lo, exec_lo, s3
.LBB1293_819:
	v_mul_lo_u32 v61, v28, s8
	v_mul_lo_u32 v62, v27, s9
	v_mad_u64_u32 v[57:58], null, v27, s8, 0
	v_cmp_ne_u32_e32 vcc_lo, 1, v65
	s_delay_alu instid0(VALU_DEP_2) | instskip(NEXT) | instid1(VALU_DEP_1)
	v_add3_u32 v58, v58, v62, v61
	v_lshlrev_b64 v[57:58], 1, v[57:58]
	s_cbranch_vccnz .LBB1293_828
; %bb.820:
	v_add_co_u32 v61, vcc_lo, s10, v59
	v_add_co_ci_u32_e32 v62, vcc_lo, s11, v60, vcc_lo
	s_delay_alu instid0(VALU_DEP_3) | instskip(NEXT) | instid1(VALU_DEP_4)
	v_add_co_u32 v59, vcc_lo, s10, v57
	v_add_co_ci_u32_e32 v60, vcc_lo, s11, v58, vcc_lo
	v_mov_b32_e32 v147, 1
	s_clause 0x1
	global_load_u16 v63, v[61:62], off
	global_load_u16 v64, v[59:60], off
	v_mov_b32_e32 v148, 0
	s_mov_b32 s3, exec_lo
	s_waitcnt vmcnt(0)
	v_cmpx_eq_f16_e32 v63, v64
	s_cbranch_execz .LBB1293_827
; %bb.821:
	v_add_co_u32 v59, vcc_lo, v59, 2
	v_add_co_ci_u32_e32 v60, vcc_lo, 0, v60, vcc_lo
	v_add_co_u32 v61, vcc_lo, v61, 2
	v_add_co_ci_u32_e32 v62, vcc_lo, 0, v62, vcc_lo
	s_add_u32 s12, s8, -1
	s_addc_u32 s13, s9, -1
	s_mov_b64 s[14:15], 0
	s_mov_b32 s18, 0
                                        ; implicit-def: $sgpr19
	s_set_inst_prefetch_distance 0x1
	s_branch .LBB1293_824
	.p2align	6
.LBB1293_822:                           ;   in Loop: Header=BB1293_824 Depth=1
	global_load_u16 v63, v[61:62], off
	global_load_u16 v64, v[59:60], off
	v_add_co_u32 v59, vcc_lo, v59, 2
	v_add_co_ci_u32_e32 v60, vcc_lo, 0, v60, vcc_lo
	v_add_co_u32 v61, s0, v61, 2
	s_delay_alu instid0(VALU_DEP_1)
	v_add_co_ci_u32_e64 v62, s0, 0, v62, s0
	s_add_u32 s14, s14, 1
	s_addc_u32 s15, s15, 0
	s_and_not1_b32 s0, s19, exec_lo
	s_waitcnt vmcnt(0)
	v_cmp_neq_f16_e32 vcc_lo, v63, v64
	s_and_b32 s19, vcc_lo, exec_lo
	s_delay_alu instid0(SALU_CYCLE_1)
	s_or_b32 s19, s0, s19
.LBB1293_823:                           ;   in Loop: Header=BB1293_824 Depth=1
	v_dual_mov_b32 v64, s15 :: v_dual_mov_b32 v63, s14
	s_and_b32 s0, exec_lo, s19
	s_delay_alu instid0(SALU_CYCLE_1) | instskip(NEXT) | instid1(SALU_CYCLE_1)
	s_or_b32 s18, s0, s18
	s_and_not1_b32 exec_lo, exec_lo, s18
	s_cbranch_execz .LBB1293_826
.LBB1293_824:                           ; =>This Inner Loop Header: Depth=1
	s_or_b32 s19, s19, exec_lo
	s_cmp_eq_u64 s[12:13], s[14:15]
	s_cbranch_scc0 .LBB1293_822
; %bb.825:                              ;   in Loop: Header=BB1293_824 Depth=1
	s_mov_b64 s[14:15], s[8:9]
                                        ; implicit-def: $vgpr59_vgpr60
                                        ; implicit-def: $vgpr61_vgpr62
	s_branch .LBB1293_823
.LBB1293_826:
	s_set_inst_prefetch_distance 0x2
	s_or_b32 exec_lo, exec_lo, s18
	v_cmp_gt_i64_e32 vcc_lo, s[8:9], v[63:64]
	s_mov_b32 s0, 0
	s_delay_alu instid0(SALU_CYCLE_1)
	v_mov_b32_e32 v148, s0
	v_cndmask_b32_e64 v147, 0, 1, vcc_lo
.LBB1293_827:
	s_or_b32 exec_lo, exec_lo, s3
.LBB1293_828:
	v_mul_lo_u32 v61, v26, s8
	v_mul_lo_u32 v62, v25, s9
	v_mad_u64_u32 v[59:60], null, v25, s8, 0
	v_mov_b32_e32 v151, 0
	v_mov_b32_e32 v152, 0
	v_cmp_ne_u32_e32 vcc_lo, 1, v65
	s_delay_alu instid0(VALU_DEP_2) | instskip(SKIP_1) | instid1(VALU_DEP_1)
	v_dual_mov_b32 v149, v151 :: v_dual_mov_b32 v150, v152
	v_add3_u32 v60, v60, v62, v61
	v_lshlrev_b64 v[59:60], 1, v[59:60]
	s_cbranch_vccnz .LBB1293_837
; %bb.829:
	v_add_co_u32 v61, vcc_lo, s10, v57
	v_add_co_ci_u32_e32 v62, vcc_lo, s11, v58, vcc_lo
	s_delay_alu instid0(VALU_DEP_3) | instskip(NEXT) | instid1(VALU_DEP_4)
	v_add_co_u32 v57, vcc_lo, s10, v59
	v_add_co_ci_u32_e32 v58, vcc_lo, s11, v60, vcc_lo
	v_mov_b32_e32 v149, 1
	s_clause 0x1
	global_load_u16 v63, v[61:62], off
	global_load_u16 v64, v[57:58], off
	v_mov_b32_e32 v150, 0
	s_mov_b32 s3, exec_lo
	s_waitcnt vmcnt(0)
	v_cmpx_eq_f16_e32 v63, v64
	s_cbranch_execz .LBB1293_836
; %bb.830:
	v_add_co_u32 v57, vcc_lo, v57, 2
	v_add_co_ci_u32_e32 v58, vcc_lo, 0, v58, vcc_lo
	v_add_co_u32 v61, vcc_lo, v61, 2
	v_add_co_ci_u32_e32 v62, vcc_lo, 0, v62, vcc_lo
	s_add_u32 s12, s8, -1
	s_addc_u32 s13, s9, -1
	s_mov_b64 s[14:15], 0
	s_mov_b32 s18, 0
                                        ; implicit-def: $sgpr19
	s_set_inst_prefetch_distance 0x1
	s_branch .LBB1293_833
	.p2align	6
.LBB1293_831:                           ;   in Loop: Header=BB1293_833 Depth=1
	global_load_u16 v63, v[61:62], off
	global_load_u16 v64, v[57:58], off
	v_add_co_u32 v57, vcc_lo, v57, 2
	v_add_co_ci_u32_e32 v58, vcc_lo, 0, v58, vcc_lo
	v_add_co_u32 v61, s0, v61, 2
	s_delay_alu instid0(VALU_DEP_1)
	v_add_co_ci_u32_e64 v62, s0, 0, v62, s0
	s_add_u32 s14, s14, 1
	s_addc_u32 s15, s15, 0
	s_and_not1_b32 s0, s19, exec_lo
	s_waitcnt vmcnt(0)
	v_cmp_neq_f16_e32 vcc_lo, v63, v64
	s_and_b32 s19, vcc_lo, exec_lo
	s_delay_alu instid0(SALU_CYCLE_1)
	s_or_b32 s19, s0, s19
.LBB1293_832:                           ;   in Loop: Header=BB1293_833 Depth=1
	v_dual_mov_b32 v64, s15 :: v_dual_mov_b32 v63, s14
	s_and_b32 s0, exec_lo, s19
	s_delay_alu instid0(SALU_CYCLE_1) | instskip(NEXT) | instid1(SALU_CYCLE_1)
	s_or_b32 s18, s0, s18
	s_and_not1_b32 exec_lo, exec_lo, s18
	s_cbranch_execz .LBB1293_835
.LBB1293_833:                           ; =>This Inner Loop Header: Depth=1
	s_or_b32 s19, s19, exec_lo
	s_cmp_eq_u64 s[12:13], s[14:15]
	s_cbranch_scc0 .LBB1293_831
; %bb.834:                              ;   in Loop: Header=BB1293_833 Depth=1
	s_mov_b64 s[14:15], s[8:9]
                                        ; implicit-def: $vgpr57_vgpr58
                                        ; implicit-def: $vgpr61_vgpr62
	s_branch .LBB1293_832
.LBB1293_835:
	s_set_inst_prefetch_distance 0x2
	s_or_b32 exec_lo, exec_lo, s18
	v_cmp_gt_i64_e32 vcc_lo, s[8:9], v[63:64]
	s_mov_b32 s0, 0
	s_delay_alu instid0(SALU_CYCLE_1)
	v_mov_b32_e32 v150, s0
	v_cndmask_b32_e64 v149, 0, 1, vcc_lo
.LBB1293_836:
	s_or_b32 exec_lo, exec_lo, s3
.LBB1293_837:
	v_mul_lo_u32 v61, v24, s8
	v_mul_lo_u32 v62, v23, s9
	v_mad_u64_u32 v[57:58], null, v23, s8, 0
	v_cmp_ne_u32_e32 vcc_lo, 1, v65
	s_delay_alu instid0(VALU_DEP_2) | instskip(NEXT) | instid1(VALU_DEP_1)
	v_add3_u32 v58, v58, v62, v61
	v_lshlrev_b64 v[57:58], 1, v[57:58]
	s_cbranch_vccnz .LBB1293_846
; %bb.838:
	v_add_co_u32 v61, vcc_lo, s10, v59
	v_add_co_ci_u32_e32 v62, vcc_lo, s11, v60, vcc_lo
	s_delay_alu instid0(VALU_DEP_3) | instskip(NEXT) | instid1(VALU_DEP_4)
	v_add_co_u32 v59, vcc_lo, s10, v57
	v_add_co_ci_u32_e32 v60, vcc_lo, s11, v58, vcc_lo
	v_mov_b32_e32 v151, 1
	s_clause 0x1
	global_load_u16 v63, v[61:62], off
	global_load_u16 v64, v[59:60], off
	v_mov_b32_e32 v152, 0
	s_mov_b32 s3, exec_lo
	s_waitcnt vmcnt(0)
	v_cmpx_eq_f16_e32 v63, v64
	s_cbranch_execz .LBB1293_845
; %bb.839:
	v_add_co_u32 v59, vcc_lo, v59, 2
	v_add_co_ci_u32_e32 v60, vcc_lo, 0, v60, vcc_lo
	v_add_co_u32 v61, vcc_lo, v61, 2
	v_add_co_ci_u32_e32 v62, vcc_lo, 0, v62, vcc_lo
	s_add_u32 s12, s8, -1
	s_addc_u32 s13, s9, -1
	s_mov_b64 s[14:15], 0
	s_mov_b32 s18, 0
                                        ; implicit-def: $sgpr19
	s_set_inst_prefetch_distance 0x1
	s_branch .LBB1293_842
	.p2align	6
.LBB1293_840:                           ;   in Loop: Header=BB1293_842 Depth=1
	global_load_u16 v63, v[61:62], off
	global_load_u16 v64, v[59:60], off
	v_add_co_u32 v59, vcc_lo, v59, 2
	v_add_co_ci_u32_e32 v60, vcc_lo, 0, v60, vcc_lo
	v_add_co_u32 v61, s0, v61, 2
	s_delay_alu instid0(VALU_DEP_1)
	v_add_co_ci_u32_e64 v62, s0, 0, v62, s0
	s_add_u32 s14, s14, 1
	s_addc_u32 s15, s15, 0
	s_and_not1_b32 s0, s19, exec_lo
	s_waitcnt vmcnt(0)
	v_cmp_neq_f16_e32 vcc_lo, v63, v64
	s_and_b32 s19, vcc_lo, exec_lo
	s_delay_alu instid0(SALU_CYCLE_1)
	s_or_b32 s19, s0, s19
.LBB1293_841:                           ;   in Loop: Header=BB1293_842 Depth=1
	v_dual_mov_b32 v64, s15 :: v_dual_mov_b32 v63, s14
	s_and_b32 s0, exec_lo, s19
	s_delay_alu instid0(SALU_CYCLE_1) | instskip(NEXT) | instid1(SALU_CYCLE_1)
	s_or_b32 s18, s0, s18
	s_and_not1_b32 exec_lo, exec_lo, s18
	s_cbranch_execz .LBB1293_844
.LBB1293_842:                           ; =>This Inner Loop Header: Depth=1
	s_or_b32 s19, s19, exec_lo
	s_cmp_eq_u64 s[12:13], s[14:15]
	s_cbranch_scc0 .LBB1293_840
; %bb.843:                              ;   in Loop: Header=BB1293_842 Depth=1
	s_mov_b64 s[14:15], s[8:9]
                                        ; implicit-def: $vgpr59_vgpr60
                                        ; implicit-def: $vgpr61_vgpr62
	s_branch .LBB1293_841
.LBB1293_844:
	s_set_inst_prefetch_distance 0x2
	s_or_b32 exec_lo, exec_lo, s18
	v_cmp_gt_i64_e32 vcc_lo, s[8:9], v[63:64]
	s_mov_b32 s0, 0
	s_delay_alu instid0(SALU_CYCLE_1)
	v_mov_b32_e32 v152, s0
	v_cndmask_b32_e64 v151, 0, 1, vcc_lo
.LBB1293_845:
	s_or_b32 exec_lo, exec_lo, s3
.LBB1293_846:
	v_mul_lo_u32 v61, v22, s8
	v_mul_lo_u32 v62, v21, s9
	v_mad_u64_u32 v[59:60], null, v21, s8, 0
	v_mov_b32_e32 v155, 0
	v_mov_b32_e32 v156, 0
	v_cmp_ne_u32_e32 vcc_lo, 1, v65
	s_delay_alu instid0(VALU_DEP_2) | instskip(SKIP_1) | instid1(VALU_DEP_1)
	v_dual_mov_b32 v153, v155 :: v_dual_mov_b32 v154, v156
	v_add3_u32 v60, v60, v62, v61
	v_lshlrev_b64 v[59:60], 1, v[59:60]
	s_cbranch_vccnz .LBB1293_855
; %bb.847:
	v_add_co_u32 v61, vcc_lo, s10, v57
	v_add_co_ci_u32_e32 v62, vcc_lo, s11, v58, vcc_lo
	s_delay_alu instid0(VALU_DEP_3) | instskip(NEXT) | instid1(VALU_DEP_4)
	v_add_co_u32 v57, vcc_lo, s10, v59
	v_add_co_ci_u32_e32 v58, vcc_lo, s11, v60, vcc_lo
	v_mov_b32_e32 v153, 1
	s_clause 0x1
	global_load_u16 v63, v[61:62], off
	global_load_u16 v64, v[57:58], off
	v_mov_b32_e32 v154, 0
	s_mov_b32 s3, exec_lo
	s_waitcnt vmcnt(0)
	v_cmpx_eq_f16_e32 v63, v64
	s_cbranch_execz .LBB1293_854
; %bb.848:
	v_add_co_u32 v57, vcc_lo, v57, 2
	v_add_co_ci_u32_e32 v58, vcc_lo, 0, v58, vcc_lo
	v_add_co_u32 v61, vcc_lo, v61, 2
	v_add_co_ci_u32_e32 v62, vcc_lo, 0, v62, vcc_lo
	s_add_u32 s12, s8, -1
	s_addc_u32 s13, s9, -1
	s_mov_b64 s[14:15], 0
	s_mov_b32 s18, 0
                                        ; implicit-def: $sgpr19
	s_set_inst_prefetch_distance 0x1
	s_branch .LBB1293_851
	.p2align	6
.LBB1293_849:                           ;   in Loop: Header=BB1293_851 Depth=1
	global_load_u16 v63, v[61:62], off
	global_load_u16 v64, v[57:58], off
	v_add_co_u32 v57, vcc_lo, v57, 2
	v_add_co_ci_u32_e32 v58, vcc_lo, 0, v58, vcc_lo
	v_add_co_u32 v61, s0, v61, 2
	s_delay_alu instid0(VALU_DEP_1)
	v_add_co_ci_u32_e64 v62, s0, 0, v62, s0
	s_add_u32 s14, s14, 1
	s_addc_u32 s15, s15, 0
	s_and_not1_b32 s0, s19, exec_lo
	s_waitcnt vmcnt(0)
	v_cmp_neq_f16_e32 vcc_lo, v63, v64
	s_and_b32 s19, vcc_lo, exec_lo
	s_delay_alu instid0(SALU_CYCLE_1)
	s_or_b32 s19, s0, s19
.LBB1293_850:                           ;   in Loop: Header=BB1293_851 Depth=1
	v_dual_mov_b32 v64, s15 :: v_dual_mov_b32 v63, s14
	s_and_b32 s0, exec_lo, s19
	s_delay_alu instid0(SALU_CYCLE_1) | instskip(NEXT) | instid1(SALU_CYCLE_1)
	s_or_b32 s18, s0, s18
	s_and_not1_b32 exec_lo, exec_lo, s18
	s_cbranch_execz .LBB1293_853
.LBB1293_851:                           ; =>This Inner Loop Header: Depth=1
	s_or_b32 s19, s19, exec_lo
	s_cmp_eq_u64 s[12:13], s[14:15]
	s_cbranch_scc0 .LBB1293_849
; %bb.852:                              ;   in Loop: Header=BB1293_851 Depth=1
	s_mov_b64 s[14:15], s[8:9]
                                        ; implicit-def: $vgpr57_vgpr58
                                        ; implicit-def: $vgpr61_vgpr62
	s_branch .LBB1293_850
.LBB1293_853:
	s_set_inst_prefetch_distance 0x2
	s_or_b32 exec_lo, exec_lo, s18
	v_cmp_gt_i64_e32 vcc_lo, s[8:9], v[63:64]
	s_mov_b32 s0, 0
	s_delay_alu instid0(SALU_CYCLE_1)
	v_mov_b32_e32 v154, s0
	v_cndmask_b32_e64 v153, 0, 1, vcc_lo
.LBB1293_854:
	s_or_b32 exec_lo, exec_lo, s3
.LBB1293_855:
	v_mul_lo_u32 v61, v20, s8
	v_mul_lo_u32 v62, v19, s9
	v_mad_u64_u32 v[57:58], null, v19, s8, 0
	v_cmp_ne_u32_e32 vcc_lo, 1, v65
	s_delay_alu instid0(VALU_DEP_2) | instskip(NEXT) | instid1(VALU_DEP_1)
	v_add3_u32 v58, v58, v62, v61
	v_lshlrev_b64 v[57:58], 1, v[57:58]
	s_cbranch_vccnz .LBB1293_864
; %bb.856:
	v_add_co_u32 v61, vcc_lo, s10, v59
	v_add_co_ci_u32_e32 v62, vcc_lo, s11, v60, vcc_lo
	s_delay_alu instid0(VALU_DEP_3) | instskip(NEXT) | instid1(VALU_DEP_4)
	v_add_co_u32 v59, vcc_lo, s10, v57
	v_add_co_ci_u32_e32 v60, vcc_lo, s11, v58, vcc_lo
	v_mov_b32_e32 v155, 1
	s_clause 0x1
	global_load_u16 v63, v[61:62], off
	global_load_u16 v64, v[59:60], off
	v_mov_b32_e32 v156, 0
	s_mov_b32 s3, exec_lo
	s_waitcnt vmcnt(0)
	v_cmpx_eq_f16_e32 v63, v64
	s_cbranch_execz .LBB1293_863
; %bb.857:
	v_add_co_u32 v59, vcc_lo, v59, 2
	v_add_co_ci_u32_e32 v60, vcc_lo, 0, v60, vcc_lo
	v_add_co_u32 v61, vcc_lo, v61, 2
	v_add_co_ci_u32_e32 v62, vcc_lo, 0, v62, vcc_lo
	s_add_u32 s12, s8, -1
	s_addc_u32 s13, s9, -1
	s_mov_b64 s[14:15], 0
	s_mov_b32 s18, 0
                                        ; implicit-def: $sgpr19
	s_set_inst_prefetch_distance 0x1
	s_branch .LBB1293_860
	.p2align	6
.LBB1293_858:                           ;   in Loop: Header=BB1293_860 Depth=1
	global_load_u16 v63, v[61:62], off
	global_load_u16 v64, v[59:60], off
	v_add_co_u32 v59, vcc_lo, v59, 2
	v_add_co_ci_u32_e32 v60, vcc_lo, 0, v60, vcc_lo
	v_add_co_u32 v61, s0, v61, 2
	s_delay_alu instid0(VALU_DEP_1)
	v_add_co_ci_u32_e64 v62, s0, 0, v62, s0
	s_add_u32 s14, s14, 1
	s_addc_u32 s15, s15, 0
	s_and_not1_b32 s0, s19, exec_lo
	s_waitcnt vmcnt(0)
	v_cmp_neq_f16_e32 vcc_lo, v63, v64
	s_and_b32 s19, vcc_lo, exec_lo
	s_delay_alu instid0(SALU_CYCLE_1)
	s_or_b32 s19, s0, s19
.LBB1293_859:                           ;   in Loop: Header=BB1293_860 Depth=1
	v_dual_mov_b32 v64, s15 :: v_dual_mov_b32 v63, s14
	s_and_b32 s0, exec_lo, s19
	s_delay_alu instid0(SALU_CYCLE_1) | instskip(NEXT) | instid1(SALU_CYCLE_1)
	s_or_b32 s18, s0, s18
	s_and_not1_b32 exec_lo, exec_lo, s18
	s_cbranch_execz .LBB1293_862
.LBB1293_860:                           ; =>This Inner Loop Header: Depth=1
	s_or_b32 s19, s19, exec_lo
	s_cmp_eq_u64 s[12:13], s[14:15]
	s_cbranch_scc0 .LBB1293_858
; %bb.861:                              ;   in Loop: Header=BB1293_860 Depth=1
	s_mov_b64 s[14:15], s[8:9]
                                        ; implicit-def: $vgpr59_vgpr60
                                        ; implicit-def: $vgpr61_vgpr62
	s_branch .LBB1293_859
.LBB1293_862:
	s_set_inst_prefetch_distance 0x2
	s_or_b32 exec_lo, exec_lo, s18
	v_cmp_gt_i64_e32 vcc_lo, s[8:9], v[63:64]
	s_mov_b32 s0, 0
	s_delay_alu instid0(SALU_CYCLE_1)
	v_mov_b32_e32 v156, s0
	v_cndmask_b32_e64 v155, 0, 1, vcc_lo
.LBB1293_863:
	s_or_b32 exec_lo, exec_lo, s3
.LBB1293_864:
	v_mul_lo_u32 v61, v18, s8
	v_mul_lo_u32 v62, v17, s9
	v_mad_u64_u32 v[59:60], null, v17, s8, 0
	v_mov_b32_e32 v159, 0
	v_mov_b32_e32 v160, 0
	v_cmp_ne_u32_e32 vcc_lo, 1, v65
	s_delay_alu instid0(VALU_DEP_2) | instskip(SKIP_1) | instid1(VALU_DEP_1)
	v_dual_mov_b32 v157, v159 :: v_dual_mov_b32 v158, v160
	v_add3_u32 v60, v60, v62, v61
	v_lshlrev_b64 v[59:60], 1, v[59:60]
	s_cbranch_vccnz .LBB1293_873
; %bb.865:
	v_add_co_u32 v61, vcc_lo, s10, v57
	v_add_co_ci_u32_e32 v62, vcc_lo, s11, v58, vcc_lo
	s_delay_alu instid0(VALU_DEP_3) | instskip(NEXT) | instid1(VALU_DEP_4)
	v_add_co_u32 v57, vcc_lo, s10, v59
	v_add_co_ci_u32_e32 v58, vcc_lo, s11, v60, vcc_lo
	v_mov_b32_e32 v157, 1
	s_clause 0x1
	global_load_u16 v63, v[61:62], off
	global_load_u16 v64, v[57:58], off
	v_mov_b32_e32 v158, 0
	s_mov_b32 s3, exec_lo
	s_waitcnt vmcnt(0)
	v_cmpx_eq_f16_e32 v63, v64
	s_cbranch_execz .LBB1293_872
; %bb.866:
	v_add_co_u32 v57, vcc_lo, v57, 2
	v_add_co_ci_u32_e32 v58, vcc_lo, 0, v58, vcc_lo
	v_add_co_u32 v61, vcc_lo, v61, 2
	v_add_co_ci_u32_e32 v62, vcc_lo, 0, v62, vcc_lo
	s_add_u32 s12, s8, -1
	s_addc_u32 s13, s9, -1
	s_mov_b64 s[14:15], 0
	s_mov_b32 s18, 0
                                        ; implicit-def: $sgpr19
	s_set_inst_prefetch_distance 0x1
	s_branch .LBB1293_869
	.p2align	6
.LBB1293_867:                           ;   in Loop: Header=BB1293_869 Depth=1
	global_load_u16 v63, v[61:62], off
	global_load_u16 v64, v[57:58], off
	v_add_co_u32 v57, vcc_lo, v57, 2
	v_add_co_ci_u32_e32 v58, vcc_lo, 0, v58, vcc_lo
	v_add_co_u32 v61, s0, v61, 2
	s_delay_alu instid0(VALU_DEP_1)
	v_add_co_ci_u32_e64 v62, s0, 0, v62, s0
	s_add_u32 s14, s14, 1
	s_addc_u32 s15, s15, 0
	s_and_not1_b32 s0, s19, exec_lo
	s_waitcnt vmcnt(0)
	v_cmp_neq_f16_e32 vcc_lo, v63, v64
	s_and_b32 s19, vcc_lo, exec_lo
	s_delay_alu instid0(SALU_CYCLE_1)
	s_or_b32 s19, s0, s19
.LBB1293_868:                           ;   in Loop: Header=BB1293_869 Depth=1
	v_dual_mov_b32 v64, s15 :: v_dual_mov_b32 v63, s14
	s_and_b32 s0, exec_lo, s19
	s_delay_alu instid0(SALU_CYCLE_1) | instskip(NEXT) | instid1(SALU_CYCLE_1)
	s_or_b32 s18, s0, s18
	s_and_not1_b32 exec_lo, exec_lo, s18
	s_cbranch_execz .LBB1293_871
.LBB1293_869:                           ; =>This Inner Loop Header: Depth=1
	s_or_b32 s19, s19, exec_lo
	s_cmp_eq_u64 s[12:13], s[14:15]
	s_cbranch_scc0 .LBB1293_867
; %bb.870:                              ;   in Loop: Header=BB1293_869 Depth=1
	s_mov_b64 s[14:15], s[8:9]
                                        ; implicit-def: $vgpr57_vgpr58
                                        ; implicit-def: $vgpr61_vgpr62
	s_branch .LBB1293_868
.LBB1293_871:
	s_set_inst_prefetch_distance 0x2
	s_or_b32 exec_lo, exec_lo, s18
	v_cmp_gt_i64_e32 vcc_lo, s[8:9], v[63:64]
	s_mov_b32 s0, 0
	s_delay_alu instid0(SALU_CYCLE_1)
	v_mov_b32_e32 v158, s0
	v_cndmask_b32_e64 v157, 0, 1, vcc_lo
.LBB1293_872:
	s_or_b32 exec_lo, exec_lo, s3
.LBB1293_873:
	v_mul_lo_u32 v61, v16, s8
	v_mul_lo_u32 v62, v15, s9
	v_mad_u64_u32 v[57:58], null, v15, s8, 0
	v_cmp_ne_u32_e32 vcc_lo, 1, v65
	s_delay_alu instid0(VALU_DEP_2) | instskip(NEXT) | instid1(VALU_DEP_1)
	v_add3_u32 v58, v58, v62, v61
	v_lshlrev_b64 v[57:58], 1, v[57:58]
	s_cbranch_vccnz .LBB1293_882
; %bb.874:
	v_add_co_u32 v61, vcc_lo, s10, v59
	v_add_co_ci_u32_e32 v62, vcc_lo, s11, v60, vcc_lo
	s_delay_alu instid0(VALU_DEP_3) | instskip(NEXT) | instid1(VALU_DEP_4)
	v_add_co_u32 v59, vcc_lo, s10, v57
	v_add_co_ci_u32_e32 v60, vcc_lo, s11, v58, vcc_lo
	v_mov_b32_e32 v159, 1
	s_clause 0x1
	global_load_u16 v63, v[61:62], off
	global_load_u16 v64, v[59:60], off
	v_mov_b32_e32 v160, 0
	s_mov_b32 s3, exec_lo
	s_waitcnt vmcnt(0)
	v_cmpx_eq_f16_e32 v63, v64
	s_cbranch_execz .LBB1293_881
; %bb.875:
	v_add_co_u32 v59, vcc_lo, v59, 2
	v_add_co_ci_u32_e32 v60, vcc_lo, 0, v60, vcc_lo
	v_add_co_u32 v61, vcc_lo, v61, 2
	v_add_co_ci_u32_e32 v62, vcc_lo, 0, v62, vcc_lo
	s_add_u32 s12, s8, -1
	s_addc_u32 s13, s9, -1
	s_mov_b64 s[14:15], 0
	s_mov_b32 s18, 0
                                        ; implicit-def: $sgpr19
	s_set_inst_prefetch_distance 0x1
	s_branch .LBB1293_878
	.p2align	6
.LBB1293_876:                           ;   in Loop: Header=BB1293_878 Depth=1
	global_load_u16 v63, v[61:62], off
	global_load_u16 v64, v[59:60], off
	v_add_co_u32 v59, vcc_lo, v59, 2
	v_add_co_ci_u32_e32 v60, vcc_lo, 0, v60, vcc_lo
	v_add_co_u32 v61, s0, v61, 2
	s_delay_alu instid0(VALU_DEP_1)
	v_add_co_ci_u32_e64 v62, s0, 0, v62, s0
	s_add_u32 s14, s14, 1
	s_addc_u32 s15, s15, 0
	s_and_not1_b32 s0, s19, exec_lo
	s_waitcnt vmcnt(0)
	v_cmp_neq_f16_e32 vcc_lo, v63, v64
	s_and_b32 s19, vcc_lo, exec_lo
	s_delay_alu instid0(SALU_CYCLE_1)
	s_or_b32 s19, s0, s19
.LBB1293_877:                           ;   in Loop: Header=BB1293_878 Depth=1
	v_dual_mov_b32 v64, s15 :: v_dual_mov_b32 v63, s14
	s_and_b32 s0, exec_lo, s19
	s_delay_alu instid0(SALU_CYCLE_1) | instskip(NEXT) | instid1(SALU_CYCLE_1)
	s_or_b32 s18, s0, s18
	s_and_not1_b32 exec_lo, exec_lo, s18
	s_cbranch_execz .LBB1293_880
.LBB1293_878:                           ; =>This Inner Loop Header: Depth=1
	s_or_b32 s19, s19, exec_lo
	s_cmp_eq_u64 s[12:13], s[14:15]
	s_cbranch_scc0 .LBB1293_876
; %bb.879:                              ;   in Loop: Header=BB1293_878 Depth=1
	s_mov_b64 s[14:15], s[8:9]
                                        ; implicit-def: $vgpr59_vgpr60
                                        ; implicit-def: $vgpr61_vgpr62
	s_branch .LBB1293_877
.LBB1293_880:
	s_set_inst_prefetch_distance 0x2
	s_or_b32 exec_lo, exec_lo, s18
	v_cmp_gt_i64_e32 vcc_lo, s[8:9], v[63:64]
	s_mov_b32 s0, 0
	s_delay_alu instid0(SALU_CYCLE_1)
	v_mov_b32_e32 v160, s0
	v_cndmask_b32_e64 v159, 0, 1, vcc_lo
.LBB1293_881:
	s_or_b32 exec_lo, exec_lo, s3
.LBB1293_882:
	v_mul_lo_u32 v61, v14, s8
	v_mul_lo_u32 v62, v13, s9
	v_mad_u64_u32 v[59:60], null, v13, s8, 0
	v_mov_b32_e32 v163, 0
	v_mov_b32_e32 v164, 0
	v_cmp_ne_u32_e32 vcc_lo, 1, v65
	s_delay_alu instid0(VALU_DEP_2) | instskip(SKIP_1) | instid1(VALU_DEP_1)
	v_dual_mov_b32 v161, v163 :: v_dual_mov_b32 v162, v164
	v_add3_u32 v60, v60, v62, v61
	v_lshlrev_b64 v[59:60], 1, v[59:60]
	s_cbranch_vccnz .LBB1293_891
; %bb.883:
	v_add_co_u32 v61, vcc_lo, s10, v57
	v_add_co_ci_u32_e32 v62, vcc_lo, s11, v58, vcc_lo
	s_delay_alu instid0(VALU_DEP_3) | instskip(NEXT) | instid1(VALU_DEP_4)
	v_add_co_u32 v57, vcc_lo, s10, v59
	v_add_co_ci_u32_e32 v58, vcc_lo, s11, v60, vcc_lo
	v_mov_b32_e32 v161, 1
	s_clause 0x1
	global_load_u16 v63, v[61:62], off
	global_load_u16 v64, v[57:58], off
	v_mov_b32_e32 v162, 0
	s_mov_b32 s3, exec_lo
	s_waitcnt vmcnt(0)
	v_cmpx_eq_f16_e32 v63, v64
	s_cbranch_execz .LBB1293_890
; %bb.884:
	v_add_co_u32 v57, vcc_lo, v57, 2
	v_add_co_ci_u32_e32 v58, vcc_lo, 0, v58, vcc_lo
	v_add_co_u32 v61, vcc_lo, v61, 2
	v_add_co_ci_u32_e32 v62, vcc_lo, 0, v62, vcc_lo
	s_add_u32 s12, s8, -1
	s_addc_u32 s13, s9, -1
	s_mov_b64 s[14:15], 0
	s_mov_b32 s18, 0
                                        ; implicit-def: $sgpr19
	s_set_inst_prefetch_distance 0x1
	s_branch .LBB1293_887
	.p2align	6
.LBB1293_885:                           ;   in Loop: Header=BB1293_887 Depth=1
	global_load_u16 v63, v[61:62], off
	global_load_u16 v64, v[57:58], off
	v_add_co_u32 v57, vcc_lo, v57, 2
	v_add_co_ci_u32_e32 v58, vcc_lo, 0, v58, vcc_lo
	v_add_co_u32 v61, s0, v61, 2
	s_delay_alu instid0(VALU_DEP_1)
	v_add_co_ci_u32_e64 v62, s0, 0, v62, s0
	s_add_u32 s14, s14, 1
	s_addc_u32 s15, s15, 0
	s_and_not1_b32 s0, s19, exec_lo
	s_waitcnt vmcnt(0)
	v_cmp_neq_f16_e32 vcc_lo, v63, v64
	s_and_b32 s19, vcc_lo, exec_lo
	s_delay_alu instid0(SALU_CYCLE_1)
	s_or_b32 s19, s0, s19
.LBB1293_886:                           ;   in Loop: Header=BB1293_887 Depth=1
	v_dual_mov_b32 v64, s15 :: v_dual_mov_b32 v63, s14
	s_and_b32 s0, exec_lo, s19
	s_delay_alu instid0(SALU_CYCLE_1) | instskip(NEXT) | instid1(SALU_CYCLE_1)
	s_or_b32 s18, s0, s18
	s_and_not1_b32 exec_lo, exec_lo, s18
	s_cbranch_execz .LBB1293_889
.LBB1293_887:                           ; =>This Inner Loop Header: Depth=1
	s_or_b32 s19, s19, exec_lo
	s_cmp_eq_u64 s[12:13], s[14:15]
	s_cbranch_scc0 .LBB1293_885
; %bb.888:                              ;   in Loop: Header=BB1293_887 Depth=1
	s_mov_b64 s[14:15], s[8:9]
                                        ; implicit-def: $vgpr57_vgpr58
                                        ; implicit-def: $vgpr61_vgpr62
	s_branch .LBB1293_886
.LBB1293_889:
	s_set_inst_prefetch_distance 0x2
	s_or_b32 exec_lo, exec_lo, s18
	v_cmp_gt_i64_e32 vcc_lo, s[8:9], v[63:64]
	s_mov_b32 s0, 0
	s_delay_alu instid0(SALU_CYCLE_1)
	v_mov_b32_e32 v162, s0
	v_cndmask_b32_e64 v161, 0, 1, vcc_lo
.LBB1293_890:
	s_or_b32 exec_lo, exec_lo, s3
.LBB1293_891:
	v_mul_lo_u32 v61, v4, s8
	v_mul_lo_u32 v62, v3, s9
	v_mad_u64_u32 v[57:58], null, v3, s8, 0
	v_cmp_ne_u32_e32 vcc_lo, 1, v65
	s_delay_alu instid0(VALU_DEP_2) | instskip(NEXT) | instid1(VALU_DEP_1)
	v_add3_u32 v58, v58, v62, v61
	v_lshlrev_b64 v[57:58], 1, v[57:58]
	s_cbranch_vccnz .LBB1293_900
; %bb.892:
	v_add_co_u32 v61, vcc_lo, s10, v59
	v_add_co_ci_u32_e32 v62, vcc_lo, s11, v60, vcc_lo
	s_delay_alu instid0(VALU_DEP_3) | instskip(NEXT) | instid1(VALU_DEP_4)
	v_add_co_u32 v59, vcc_lo, s10, v57
	v_add_co_ci_u32_e32 v60, vcc_lo, s11, v58, vcc_lo
	v_mov_b32_e32 v163, 1
	s_clause 0x1
	global_load_u16 v63, v[61:62], off
	global_load_u16 v64, v[59:60], off
	v_mov_b32_e32 v164, 0
	s_mov_b32 s3, exec_lo
	s_waitcnt vmcnt(0)
	v_cmpx_eq_f16_e32 v63, v64
	s_cbranch_execz .LBB1293_899
; %bb.893:
	v_add_co_u32 v59, vcc_lo, v59, 2
	v_add_co_ci_u32_e32 v60, vcc_lo, 0, v60, vcc_lo
	v_add_co_u32 v61, vcc_lo, v61, 2
	v_add_co_ci_u32_e32 v62, vcc_lo, 0, v62, vcc_lo
	s_add_u32 s12, s8, -1
	s_addc_u32 s13, s9, -1
	s_mov_b64 s[14:15], 0
	s_mov_b32 s18, 0
                                        ; implicit-def: $sgpr19
	s_set_inst_prefetch_distance 0x1
	s_branch .LBB1293_896
	.p2align	6
.LBB1293_894:                           ;   in Loop: Header=BB1293_896 Depth=1
	global_load_u16 v63, v[61:62], off
	global_load_u16 v64, v[59:60], off
	v_add_co_u32 v59, vcc_lo, v59, 2
	v_add_co_ci_u32_e32 v60, vcc_lo, 0, v60, vcc_lo
	v_add_co_u32 v61, s0, v61, 2
	s_delay_alu instid0(VALU_DEP_1)
	v_add_co_ci_u32_e64 v62, s0, 0, v62, s0
	s_add_u32 s14, s14, 1
	s_addc_u32 s15, s15, 0
	s_and_not1_b32 s0, s19, exec_lo
	s_waitcnt vmcnt(0)
	v_cmp_neq_f16_e32 vcc_lo, v63, v64
	s_and_b32 s19, vcc_lo, exec_lo
	s_delay_alu instid0(SALU_CYCLE_1)
	s_or_b32 s19, s0, s19
.LBB1293_895:                           ;   in Loop: Header=BB1293_896 Depth=1
	v_dual_mov_b32 v64, s15 :: v_dual_mov_b32 v63, s14
	s_and_b32 s0, exec_lo, s19
	s_delay_alu instid0(SALU_CYCLE_1) | instskip(NEXT) | instid1(SALU_CYCLE_1)
	s_or_b32 s18, s0, s18
	s_and_not1_b32 exec_lo, exec_lo, s18
	s_cbranch_execz .LBB1293_898
.LBB1293_896:                           ; =>This Inner Loop Header: Depth=1
	s_or_b32 s19, s19, exec_lo
	s_cmp_eq_u64 s[12:13], s[14:15]
	s_cbranch_scc0 .LBB1293_894
; %bb.897:                              ;   in Loop: Header=BB1293_896 Depth=1
	s_mov_b64 s[14:15], s[8:9]
                                        ; implicit-def: $vgpr59_vgpr60
                                        ; implicit-def: $vgpr61_vgpr62
	s_branch .LBB1293_895
.LBB1293_898:
	s_set_inst_prefetch_distance 0x2
	s_or_b32 exec_lo, exec_lo, s18
	v_cmp_gt_i64_e32 vcc_lo, s[8:9], v[63:64]
	s_mov_b32 s0, 0
	s_delay_alu instid0(SALU_CYCLE_1)
	v_mov_b32_e32 v164, s0
	v_cndmask_b32_e64 v163, 0, 1, vcc_lo
.LBB1293_899:
	s_or_b32 exec_lo, exec_lo, s3
.LBB1293_900:
	v_cmp_ne_u32_e32 vcc_lo, 1, v65
	s_cbranch_vccnz .LBB1293_907
; %bb.901:
	v_mul_lo_u32 v61, v2, s8
	v_mul_lo_u32 v62, v1, s9
	v_mad_u64_u32 v[59:60], null, v1, s8, 0
	v_mov_b32_e32 v165, 1
	v_mov_b32_e32 v166, 0
	s_mov_b32 s3, exec_lo
	s_delay_alu instid0(VALU_DEP_3) | instskip(NEXT) | instid1(VALU_DEP_1)
	v_add3_u32 v60, v60, v62, v61
	v_lshlrev_b64 v[61:62], 1, v[59:60]
	v_add_co_u32 v59, vcc_lo, s10, v57
	v_add_co_ci_u32_e32 v60, vcc_lo, s11, v58, vcc_lo
	s_delay_alu instid0(VALU_DEP_3) | instskip(NEXT) | instid1(VALU_DEP_4)
	v_add_co_u32 v57, vcc_lo, s10, v61
	v_add_co_ci_u32_e32 v58, vcc_lo, s11, v62, vcc_lo
	s_clause 0x1
	global_load_u16 v61, v[59:60], off
	global_load_u16 v62, v[57:58], off
	s_waitcnt vmcnt(0)
	v_cmpx_eq_f16_e32 v61, v62
	s_cbranch_execz .LBB1293_909
; %bb.902:
	v_add_co_u32 v57, vcc_lo, v57, 2
	v_add_co_ci_u32_e32 v58, vcc_lo, 0, v58, vcc_lo
	v_add_co_u32 v59, vcc_lo, v59, 2
	v_add_co_ci_u32_e32 v60, vcc_lo, 0, v60, vcc_lo
	s_add_u32 s12, s8, -1
	s_addc_u32 s13, s9, -1
	s_mov_b64 s[14:15], 0
	s_mov_b32 s18, 0
                                        ; implicit-def: $sgpr19
	s_set_inst_prefetch_distance 0x1
	s_branch .LBB1293_905
	.p2align	6
.LBB1293_903:                           ;   in Loop: Header=BB1293_905 Depth=1
	global_load_u16 v61, v[59:60], off
	global_load_u16 v62, v[57:58], off
	v_add_co_u32 v57, vcc_lo, v57, 2
	v_add_co_ci_u32_e32 v58, vcc_lo, 0, v58, vcc_lo
	v_add_co_u32 v59, s0, v59, 2
	s_delay_alu instid0(VALU_DEP_1)
	v_add_co_ci_u32_e64 v60, s0, 0, v60, s0
	s_add_u32 s14, s14, 1
	s_addc_u32 s15, s15, 0
	s_and_not1_b32 s0, s19, exec_lo
	s_waitcnt vmcnt(0)
	v_cmp_neq_f16_e32 vcc_lo, v61, v62
	s_and_b32 s19, vcc_lo, exec_lo
	s_delay_alu instid0(SALU_CYCLE_1)
	s_or_b32 s19, s0, s19
.LBB1293_904:                           ;   in Loop: Header=BB1293_905 Depth=1
	v_dual_mov_b32 v62, s15 :: v_dual_mov_b32 v61, s14
	s_and_b32 s0, exec_lo, s19
	s_delay_alu instid0(SALU_CYCLE_1) | instskip(NEXT) | instid1(SALU_CYCLE_1)
	s_or_b32 s18, s0, s18
	s_and_not1_b32 exec_lo, exec_lo, s18
	s_cbranch_execz .LBB1293_908
.LBB1293_905:                           ; =>This Inner Loop Header: Depth=1
	s_or_b32 s19, s19, exec_lo
	s_cmp_eq_u64 s[12:13], s[14:15]
	s_cbranch_scc0 .LBB1293_903
; %bb.906:                              ;   in Loop: Header=BB1293_905 Depth=1
	s_mov_b64 s[14:15], s[8:9]
                                        ; implicit-def: $vgpr57_vgpr58
                                        ; implicit-def: $vgpr59_vgpr60
	s_branch .LBB1293_904
.LBB1293_907:
	v_mov_b32_e32 v165, 0
	v_mov_b32_e32 v166, 0
	s_branch .LBB1293_910
.LBB1293_908:
	s_set_inst_prefetch_distance 0x2
	s_or_b32 exec_lo, exec_lo, s18
	v_cmp_gt_i64_e32 vcc_lo, s[8:9], v[61:62]
	s_mov_b32 s0, 0
	s_delay_alu instid0(SALU_CYCLE_1)
	v_mov_b32_e32 v166, s0
	v_cndmask_b32_e64 v165, 0, 1, vcc_lo
.LBB1293_909:
	s_or_b32 exec_lo, exec_lo, s3
.LBB1293_910:
	s_mov_b32 s3, 0
	s_mov_b32 s18, exec_lo
	s_waitcnt lgkmcnt(0)
	s_barrier
	buffer_gl0_inv
                                        ; implicit-def: $sgpr0
	v_cmpx_ne_u32_e32 0, v0
	s_cbranch_execz .LBB1293_922
; %bb.911:
	v_cmp_ne_u32_e32 vcc_lo, 1, v65
	s_cbranch_vccnz .LBB1293_918
; %bb.912:
	v_add_nc_u32_e32 v57, -8, v195
	v_mul_lo_u32 v63, v2, s8
	v_mul_lo_u32 v64, v1, s9
	v_mad_u64_u32 v[59:60], null, v1, s8, 0
	ds_load_b64 v[57:58], v57
	s_mov_b32 s0, -1
	s_mov_b32 s19, exec_lo
	v_add3_u32 v60, v60, v64, v63
	s_waitcnt lgkmcnt(0)
	v_mul_lo_u32 v58, v58, s8
	v_mul_lo_u32 v65, v57, s9
	v_mad_u64_u32 v[61:62], null, v57, s8, 0
	s_delay_alu instid0(VALU_DEP_1) | instskip(SKIP_1) | instid1(VALU_DEP_2)
	v_add3_u32 v62, v62, v65, v58
	v_lshlrev_b64 v[57:58], 1, v[59:60]
	v_lshlrev_b64 v[61:62], 1, v[61:62]
	s_delay_alu instid0(VALU_DEP_2) | instskip(NEXT) | instid1(VALU_DEP_3)
	v_add_co_u32 v59, vcc_lo, s10, v57
	v_add_co_ci_u32_e32 v60, vcc_lo, s11, v58, vcc_lo
	s_delay_alu instid0(VALU_DEP_3) | instskip(NEXT) | instid1(VALU_DEP_4)
	v_add_co_u32 v57, vcc_lo, s10, v61
	v_add_co_ci_u32_e32 v58, vcc_lo, s11, v62, vcc_lo
	s_clause 0x1
	global_load_u16 v61, v[59:60], off
	global_load_u16 v62, v[57:58], off
	s_waitcnt vmcnt(0)
	v_cmpx_eq_f16_e32 v61, v62
	s_cbranch_execz .LBB1293_920
; %bb.913:
	v_add_co_u32 v57, vcc_lo, v57, 2
	v_add_co_ci_u32_e32 v58, vcc_lo, 0, v58, vcc_lo
	v_add_co_u32 v59, vcc_lo, v59, 2
	v_add_co_ci_u32_e32 v60, vcc_lo, 0, v60, vcc_lo
	s_add_u32 s12, s8, -1
	s_addc_u32 s13, s9, -1
	s_mov_b64 s[14:15], 0
	s_mov_b32 s20, 0
                                        ; implicit-def: $sgpr21
	s_set_inst_prefetch_distance 0x1
	s_branch .LBB1293_916
	.p2align	6
.LBB1293_914:                           ;   in Loop: Header=BB1293_916 Depth=1
	global_load_u16 v61, v[59:60], off
	global_load_u16 v62, v[57:58], off
	v_add_co_u32 v57, vcc_lo, v57, 2
	v_add_co_ci_u32_e32 v58, vcc_lo, 0, v58, vcc_lo
	v_add_co_u32 v59, s0, v59, 2
	s_delay_alu instid0(VALU_DEP_1)
	v_add_co_ci_u32_e64 v60, s0, 0, v60, s0
	s_add_u32 s14, s14, 1
	s_addc_u32 s15, s15, 0
	s_and_not1_b32 s0, s21, exec_lo
	s_waitcnt vmcnt(0)
	v_cmp_neq_f16_e32 vcc_lo, v61, v62
	s_and_b32 s21, vcc_lo, exec_lo
	s_delay_alu instid0(SALU_CYCLE_1)
	s_or_b32 s21, s0, s21
.LBB1293_915:                           ;   in Loop: Header=BB1293_916 Depth=1
	v_dual_mov_b32 v62, s15 :: v_dual_mov_b32 v61, s14
	s_and_b32 s0, exec_lo, s21
	s_delay_alu instid0(SALU_CYCLE_1) | instskip(NEXT) | instid1(SALU_CYCLE_1)
	s_or_b32 s20, s0, s20
	s_and_not1_b32 exec_lo, exec_lo, s20
	s_cbranch_execz .LBB1293_919
.LBB1293_916:                           ; =>This Inner Loop Header: Depth=1
	s_or_b32 s21, s21, exec_lo
	s_cmp_eq_u64 s[12:13], s[14:15]
	s_cbranch_scc0 .LBB1293_914
; %bb.917:                              ;   in Loop: Header=BB1293_916 Depth=1
	s_mov_b64 s[14:15], s[8:9]
                                        ; implicit-def: $vgpr57_vgpr58
                                        ; implicit-def: $vgpr59_vgpr60
	s_branch .LBB1293_915
.LBB1293_918:
	s_mov_b32 s0, 0
	s_branch .LBB1293_921
.LBB1293_919:
	s_set_inst_prefetch_distance 0x2
	s_or_b32 exec_lo, exec_lo, s20
	v_cmp_gt_i64_e32 vcc_lo, s[8:9], v[61:62]
	s_or_not1_b32 s0, vcc_lo, exec_lo
.LBB1293_920:
	s_or_b32 exec_lo, exec_lo, s19
.LBB1293_921:
	s_delay_alu instid0(SALU_CYCLE_1)
	s_and_b32 s0, s0, exec_lo
	s_or_b32 s1, s1, exec_lo
.LBB1293_922:
	s_or_b32 exec_lo, exec_lo, s18
	v_dual_mov_b32 v182, v166 :: v_dual_mov_b32 v181, v165
	v_dual_mov_b32 v168, v164 :: v_dual_mov_b32 v167, v163
	;; [unrolled: 1-line block ×27, first 2 shown]
	s_and_b32 vcc_lo, exec_lo, s3
	s_cbranch_vccz .LBB1293_1243
.LBB1293_923:
	v_cmp_gt_i64_e64 s0, s[8:9], 0
	s_waitcnt lgkmcnt(0)
	v_mad_u32_u24 v57, v0, 29, 28
	v_mul_u32_u24_e32 v64, 29, v0
	s_mov_b32 s3, exec_lo
	ds_store_b64 v195, v[109:110]
	v_cndmask_b32_e64 v63, 0, 1, s0
	v_cmpx_gt_u32_e64 s6, v57
	s_cbranch_execz .LBB1293_934
; %bb.924:
	s_and_not1_b32 vcc_lo, exec_lo, s0
	s_cbranch_vccnz .LBB1293_931
; %bb.925:
	v_mul_lo_u32 v61, v110, s8
	v_mul_lo_u32 v62, v109, s9
	v_mad_u64_u32 v[57:58], null, v109, s8, 0
	v_mul_lo_u32 v65, v8, s8
	v_mul_lo_u32 v66, v7, s9
	v_mad_u64_u32 v[59:60], null, v7, s8, 0
	v_mov_b32_e32 v109, 1
	v_mov_b32_e32 v110, 0
	v_add3_u32 v58, v58, v62, v61
	s_mov_b32 s18, exec_lo
	s_delay_alu instid0(VALU_DEP_4) | instskip(NEXT) | instid1(VALU_DEP_2)
	v_add3_u32 v60, v60, v66, v65
	v_lshlrev_b64 v[57:58], 1, v[57:58]
	s_delay_alu instid0(VALU_DEP_2) | instskip(NEXT) | instid1(VALU_DEP_2)
	v_lshlrev_b64 v[61:62], 1, v[59:60]
	v_add_co_u32 v59, vcc_lo, s10, v57
	s_delay_alu instid0(VALU_DEP_3) | instskip(NEXT) | instid1(VALU_DEP_3)
	v_add_co_ci_u32_e32 v60, vcc_lo, s11, v58, vcc_lo
	v_add_co_u32 v57, vcc_lo, s10, v61
	s_delay_alu instid0(VALU_DEP_4)
	v_add_co_ci_u32_e32 v58, vcc_lo, s11, v62, vcc_lo
	s_clause 0x1
	global_load_u16 v61, v[59:60], off
	global_load_u16 v62, v[57:58], off
	s_waitcnt vmcnt(0)
	v_cmpx_eq_f16_e32 v61, v62
	s_cbranch_execz .LBB1293_933
; %bb.926:
	v_add_co_u32 v57, vcc_lo, v57, 2
	v_add_co_ci_u32_e32 v58, vcc_lo, 0, v58, vcc_lo
	v_add_co_u32 v59, vcc_lo, v59, 2
	v_add_co_ci_u32_e32 v60, vcc_lo, 0, v60, vcc_lo
	s_add_u32 s12, s8, -1
	s_addc_u32 s13, s9, -1
	s_mov_b64 s[14:15], 0
	s_mov_b32 s19, 0
                                        ; implicit-def: $sgpr20
	s_set_inst_prefetch_distance 0x1
	s_branch .LBB1293_929
	.p2align	6
.LBB1293_927:                           ;   in Loop: Header=BB1293_929 Depth=1
	global_load_u16 v61, v[59:60], off
	global_load_u16 v62, v[57:58], off
	v_add_co_u32 v57, vcc_lo, v57, 2
	v_add_co_ci_u32_e32 v58, vcc_lo, 0, v58, vcc_lo
	v_add_co_u32 v59, s0, v59, 2
	s_delay_alu instid0(VALU_DEP_1)
	v_add_co_ci_u32_e64 v60, s0, 0, v60, s0
	s_add_u32 s14, s14, 1
	s_addc_u32 s15, s15, 0
	s_and_not1_b32 s0, s20, exec_lo
	s_waitcnt vmcnt(0)
	v_cmp_neq_f16_e32 vcc_lo, v61, v62
	s_and_b32 s20, vcc_lo, exec_lo
	s_delay_alu instid0(SALU_CYCLE_1)
	s_or_b32 s20, s0, s20
.LBB1293_928:                           ;   in Loop: Header=BB1293_929 Depth=1
	v_dual_mov_b32 v62, s15 :: v_dual_mov_b32 v61, s14
	s_and_b32 s0, exec_lo, s20
	s_delay_alu instid0(SALU_CYCLE_1) | instskip(NEXT) | instid1(SALU_CYCLE_1)
	s_or_b32 s19, s0, s19
	s_and_not1_b32 exec_lo, exec_lo, s19
	s_cbranch_execz .LBB1293_932
.LBB1293_929:                           ; =>This Inner Loop Header: Depth=1
	s_or_b32 s20, s20, exec_lo
	s_cmp_eq_u64 s[12:13], s[14:15]
	s_cbranch_scc0 .LBB1293_927
; %bb.930:                              ;   in Loop: Header=BB1293_929 Depth=1
	s_mov_b64 s[14:15], s[8:9]
                                        ; implicit-def: $vgpr57_vgpr58
                                        ; implicit-def: $vgpr59_vgpr60
	s_branch .LBB1293_928
.LBB1293_931:
	v_mov_b32_e32 v109, 0
	v_mov_b32_e32 v110, 0
	s_branch .LBB1293_934
.LBB1293_932:
	s_set_inst_prefetch_distance 0x2
	s_or_b32 exec_lo, exec_lo, s19
	v_cmp_gt_i64_e32 vcc_lo, s[8:9], v[61:62]
	s_mov_b32 s0, 0
	s_delay_alu instid0(SALU_CYCLE_1)
	v_mov_b32_e32 v110, s0
	v_cndmask_b32_e64 v109, 0, 1, vcc_lo
.LBB1293_933:
	s_or_b32 exec_lo, exec_lo, s18
.LBB1293_934:
	s_delay_alu instid0(SALU_CYCLE_1) | instskip(SKIP_2) | instid1(VALU_DEP_1)
	s_or_b32 exec_lo, exec_lo, s3
	v_add_nc_u32_e32 v57, 27, v64
	s_mov_b32 s3, exec_lo
	v_cmpx_gt_u32_e64 s6, v57
	s_cbranch_execz .LBB1293_945
; %bb.935:
	v_cmp_ne_u32_e32 vcc_lo, 1, v63
	s_cbranch_vccnz .LBB1293_942
; %bb.936:
	v_mul_lo_u32 v59, v8, s8
	v_mul_lo_u32 v60, v7, s9
	v_mad_u64_u32 v[57:58], null, v7, s8, 0
	v_mul_lo_u32 v61, v6, s8
	v_mul_lo_u32 v62, v5, s9
	v_mad_u64_u32 v[7:8], null, v5, s8, 0
	s_mov_b32 s18, exec_lo
	s_delay_alu instid0(VALU_DEP_4) | instskip(NEXT) | instid1(VALU_DEP_2)
	v_add3_u32 v58, v58, v60, v59
	v_add3_u32 v8, v8, v62, v61
	s_delay_alu instid0(VALU_DEP_2) | instskip(NEXT) | instid1(VALU_DEP_2)
	v_lshlrev_b64 v[57:58], 1, v[57:58]
	v_lshlrev_b64 v[7:8], 1, v[7:8]
	s_delay_alu instid0(VALU_DEP_2) | instskip(NEXT) | instid1(VALU_DEP_3)
	v_add_co_u32 v57, vcc_lo, s10, v57
	v_add_co_ci_u32_e32 v58, vcc_lo, s11, v58, vcc_lo
	s_delay_alu instid0(VALU_DEP_3) | instskip(NEXT) | instid1(VALU_DEP_4)
	v_add_co_u32 v59, vcc_lo, s10, v7
	v_add_co_ci_u32_e32 v60, vcc_lo, s11, v8, vcc_lo
	s_clause 0x1
	global_load_u16 v61, v[57:58], off
	global_load_u16 v62, v[59:60], off
	v_mov_b32_e32 v7, 1
	v_mov_b32_e32 v8, 0
	s_waitcnt vmcnt(0)
	v_cmpx_eq_f16_e32 v61, v62
	s_cbranch_execz .LBB1293_944
; %bb.937:
	v_add_co_u32 v7, vcc_lo, v59, 2
	v_add_co_ci_u32_e32 v8, vcc_lo, 0, v60, vcc_lo
	v_add_co_u32 v57, vcc_lo, v57, 2
	v_add_co_ci_u32_e32 v58, vcc_lo, 0, v58, vcc_lo
	s_add_u32 s12, s8, -1
	s_addc_u32 s13, s9, -1
	s_mov_b64 s[14:15], 0
	s_mov_b32 s19, 0
                                        ; implicit-def: $sgpr20
	s_set_inst_prefetch_distance 0x1
	s_branch .LBB1293_940
	.p2align	6
.LBB1293_938:                           ;   in Loop: Header=BB1293_940 Depth=1
	global_load_u16 v59, v[57:58], off
	global_load_u16 v60, v[7:8], off
	v_add_co_u32 v7, vcc_lo, v7, 2
	v_add_co_ci_u32_e32 v8, vcc_lo, 0, v8, vcc_lo
	v_add_co_u32 v57, s0, v57, 2
	s_delay_alu instid0(VALU_DEP_1)
	v_add_co_ci_u32_e64 v58, s0, 0, v58, s0
	s_add_u32 s14, s14, 1
	s_addc_u32 s15, s15, 0
	s_and_not1_b32 s0, s20, exec_lo
	s_waitcnt vmcnt(0)
	v_cmp_neq_f16_e32 vcc_lo, v59, v60
	s_and_b32 s20, vcc_lo, exec_lo
	s_delay_alu instid0(SALU_CYCLE_1)
	s_or_b32 s20, s0, s20
.LBB1293_939:                           ;   in Loop: Header=BB1293_940 Depth=1
	v_dual_mov_b32 v60, s15 :: v_dual_mov_b32 v59, s14
	s_and_b32 s0, exec_lo, s20
	s_delay_alu instid0(SALU_CYCLE_1) | instskip(NEXT) | instid1(SALU_CYCLE_1)
	s_or_b32 s19, s0, s19
	s_and_not1_b32 exec_lo, exec_lo, s19
	s_cbranch_execz .LBB1293_943
.LBB1293_940:                           ; =>This Inner Loop Header: Depth=1
	s_or_b32 s20, s20, exec_lo
	s_cmp_eq_u64 s[12:13], s[14:15]
	s_cbranch_scc0 .LBB1293_938
; %bb.941:                              ;   in Loop: Header=BB1293_940 Depth=1
	s_mov_b64 s[14:15], s[8:9]
                                        ; implicit-def: $vgpr7_vgpr8
                                        ; implicit-def: $vgpr57_vgpr58
	s_branch .LBB1293_939
.LBB1293_942:
	v_mov_b32_e32 v7, 0
	v_mov_b32_e32 v8, 0
	s_branch .LBB1293_945
.LBB1293_943:
	s_set_inst_prefetch_distance 0x2
	s_or_b32 exec_lo, exec_lo, s19
	v_cmp_gt_i64_e32 vcc_lo, s[8:9], v[59:60]
	s_mov_b32 s0, 0
	s_delay_alu instid0(SALU_CYCLE_1)
	v_mov_b32_e32 v8, s0
	v_cndmask_b32_e64 v7, 0, 1, vcc_lo
.LBB1293_944:
	s_or_b32 exec_lo, exec_lo, s18
.LBB1293_945:
	s_delay_alu instid0(SALU_CYCLE_1) | instskip(SKIP_2) | instid1(VALU_DEP_1)
	s_or_b32 exec_lo, exec_lo, s3
	v_add_nc_u32_e32 v57, 26, v64
	s_mov_b32 s3, exec_lo
	v_cmpx_gt_u32_e64 s6, v57
	s_cbranch_execz .LBB1293_956
; %bb.946:
	v_cmp_ne_u32_e32 vcc_lo, 1, v63
	s_cbranch_vccnz .LBB1293_953
; %bb.947:
	v_mul_lo_u32 v59, v6, s8
	v_mul_lo_u32 v60, v5, s9
	v_mad_u64_u32 v[57:58], null, v5, s8, 0
	v_mul_lo_u32 v61, v12, s8
	v_mul_lo_u32 v62, v11, s9
	v_mad_u64_u32 v[5:6], null, v11, s8, 0
	s_mov_b32 s18, exec_lo
	s_delay_alu instid0(VALU_DEP_4) | instskip(NEXT) | instid1(VALU_DEP_2)
	v_add3_u32 v58, v58, v60, v59
	v_add3_u32 v6, v6, v62, v61
	s_delay_alu instid0(VALU_DEP_2) | instskip(NEXT) | instid1(VALU_DEP_2)
	v_lshlrev_b64 v[57:58], 1, v[57:58]
	v_lshlrev_b64 v[5:6], 1, v[5:6]
	s_delay_alu instid0(VALU_DEP_2) | instskip(NEXT) | instid1(VALU_DEP_3)
	v_add_co_u32 v57, vcc_lo, s10, v57
	v_add_co_ci_u32_e32 v58, vcc_lo, s11, v58, vcc_lo
	s_delay_alu instid0(VALU_DEP_3) | instskip(NEXT) | instid1(VALU_DEP_4)
	v_add_co_u32 v59, vcc_lo, s10, v5
	v_add_co_ci_u32_e32 v60, vcc_lo, s11, v6, vcc_lo
	s_clause 0x1
	global_load_u16 v61, v[57:58], off
	global_load_u16 v62, v[59:60], off
	v_mov_b32_e32 v5, 1
	v_mov_b32_e32 v6, 0
	s_waitcnt vmcnt(0)
	v_cmpx_eq_f16_e32 v61, v62
	s_cbranch_execz .LBB1293_955
; %bb.948:
	v_add_co_u32 v5, vcc_lo, v59, 2
	v_add_co_ci_u32_e32 v6, vcc_lo, 0, v60, vcc_lo
	v_add_co_u32 v57, vcc_lo, v57, 2
	v_add_co_ci_u32_e32 v58, vcc_lo, 0, v58, vcc_lo
	s_add_u32 s12, s8, -1
	s_addc_u32 s13, s9, -1
	s_mov_b64 s[14:15], 0
	s_mov_b32 s19, 0
                                        ; implicit-def: $sgpr20
	s_set_inst_prefetch_distance 0x1
	s_branch .LBB1293_951
	.p2align	6
.LBB1293_949:                           ;   in Loop: Header=BB1293_951 Depth=1
	global_load_u16 v59, v[57:58], off
	global_load_u16 v60, v[5:6], off
	v_add_co_u32 v5, vcc_lo, v5, 2
	v_add_co_ci_u32_e32 v6, vcc_lo, 0, v6, vcc_lo
	v_add_co_u32 v57, s0, v57, 2
	s_delay_alu instid0(VALU_DEP_1)
	v_add_co_ci_u32_e64 v58, s0, 0, v58, s0
	s_add_u32 s14, s14, 1
	s_addc_u32 s15, s15, 0
	s_and_not1_b32 s0, s20, exec_lo
	s_waitcnt vmcnt(0)
	v_cmp_neq_f16_e32 vcc_lo, v59, v60
	s_and_b32 s20, vcc_lo, exec_lo
	s_delay_alu instid0(SALU_CYCLE_1)
	s_or_b32 s20, s0, s20
.LBB1293_950:                           ;   in Loop: Header=BB1293_951 Depth=1
	v_dual_mov_b32 v60, s15 :: v_dual_mov_b32 v59, s14
	s_and_b32 s0, exec_lo, s20
	s_delay_alu instid0(SALU_CYCLE_1) | instskip(NEXT) | instid1(SALU_CYCLE_1)
	s_or_b32 s19, s0, s19
	s_and_not1_b32 exec_lo, exec_lo, s19
	s_cbranch_execz .LBB1293_954
.LBB1293_951:                           ; =>This Inner Loop Header: Depth=1
	s_or_b32 s20, s20, exec_lo
	s_cmp_eq_u64 s[12:13], s[14:15]
	s_cbranch_scc0 .LBB1293_949
; %bb.952:                              ;   in Loop: Header=BB1293_951 Depth=1
	s_mov_b64 s[14:15], s[8:9]
                                        ; implicit-def: $vgpr5_vgpr6
                                        ; implicit-def: $vgpr57_vgpr58
	s_branch .LBB1293_950
.LBB1293_953:
	v_mov_b32_e32 v5, 0
	v_mov_b32_e32 v6, 0
	s_branch .LBB1293_956
.LBB1293_954:
	s_set_inst_prefetch_distance 0x2
	s_or_b32 exec_lo, exec_lo, s19
	v_cmp_gt_i64_e32 vcc_lo, s[8:9], v[59:60]
	s_mov_b32 s0, 0
	s_delay_alu instid0(SALU_CYCLE_1)
	v_mov_b32_e32 v6, s0
	v_cndmask_b32_e64 v5, 0, 1, vcc_lo
.LBB1293_955:
	s_or_b32 exec_lo, exec_lo, s18
.LBB1293_956:
	s_delay_alu instid0(SALU_CYCLE_1) | instskip(SKIP_2) | instid1(VALU_DEP_1)
	s_or_b32 exec_lo, exec_lo, s3
	v_add_nc_u32_e32 v57, 25, v64
	s_mov_b32 s3, exec_lo
	v_cmpx_gt_u32_e64 s6, v57
	s_cbranch_execz .LBB1293_967
; %bb.957:
	v_cmp_ne_u32_e32 vcc_lo, 1, v63
	s_cbranch_vccnz .LBB1293_964
; %bb.958:
	v_mul_lo_u32 v59, v12, s8
	v_mul_lo_u32 v60, v11, s9
	v_mad_u64_u32 v[57:58], null, v11, s8, 0
	v_mul_lo_u32 v61, v10, s8
	v_mul_lo_u32 v62, v9, s9
	v_mad_u64_u32 v[11:12], null, v9, s8, 0
	s_mov_b32 s18, exec_lo
	s_delay_alu instid0(VALU_DEP_4) | instskip(NEXT) | instid1(VALU_DEP_2)
	v_add3_u32 v58, v58, v60, v59
	v_add3_u32 v12, v12, v62, v61
	s_delay_alu instid0(VALU_DEP_2) | instskip(NEXT) | instid1(VALU_DEP_2)
	v_lshlrev_b64 v[57:58], 1, v[57:58]
	v_lshlrev_b64 v[11:12], 1, v[11:12]
	s_delay_alu instid0(VALU_DEP_2) | instskip(NEXT) | instid1(VALU_DEP_3)
	v_add_co_u32 v57, vcc_lo, s10, v57
	v_add_co_ci_u32_e32 v58, vcc_lo, s11, v58, vcc_lo
	s_delay_alu instid0(VALU_DEP_3) | instskip(NEXT) | instid1(VALU_DEP_4)
	v_add_co_u32 v59, vcc_lo, s10, v11
	v_add_co_ci_u32_e32 v60, vcc_lo, s11, v12, vcc_lo
	s_clause 0x1
	global_load_u16 v61, v[57:58], off
	global_load_u16 v62, v[59:60], off
	v_mov_b32_e32 v11, 1
	v_mov_b32_e32 v12, 0
	s_waitcnt vmcnt(0)
	v_cmpx_eq_f16_e32 v61, v62
	s_cbranch_execz .LBB1293_966
; %bb.959:
	v_add_co_u32 v11, vcc_lo, v59, 2
	v_add_co_ci_u32_e32 v12, vcc_lo, 0, v60, vcc_lo
	v_add_co_u32 v57, vcc_lo, v57, 2
	v_add_co_ci_u32_e32 v58, vcc_lo, 0, v58, vcc_lo
	s_add_u32 s12, s8, -1
	s_addc_u32 s13, s9, -1
	s_mov_b64 s[14:15], 0
	s_mov_b32 s19, 0
                                        ; implicit-def: $sgpr20
	s_set_inst_prefetch_distance 0x1
	s_branch .LBB1293_962
	.p2align	6
.LBB1293_960:                           ;   in Loop: Header=BB1293_962 Depth=1
	global_load_u16 v59, v[57:58], off
	global_load_u16 v60, v[11:12], off
	v_add_co_u32 v11, vcc_lo, v11, 2
	v_add_co_ci_u32_e32 v12, vcc_lo, 0, v12, vcc_lo
	v_add_co_u32 v57, s0, v57, 2
	s_delay_alu instid0(VALU_DEP_1)
	v_add_co_ci_u32_e64 v58, s0, 0, v58, s0
	s_add_u32 s14, s14, 1
	s_addc_u32 s15, s15, 0
	s_and_not1_b32 s0, s20, exec_lo
	s_waitcnt vmcnt(0)
	v_cmp_neq_f16_e32 vcc_lo, v59, v60
	s_and_b32 s20, vcc_lo, exec_lo
	s_delay_alu instid0(SALU_CYCLE_1)
	s_or_b32 s20, s0, s20
.LBB1293_961:                           ;   in Loop: Header=BB1293_962 Depth=1
	v_dual_mov_b32 v60, s15 :: v_dual_mov_b32 v59, s14
	s_and_b32 s0, exec_lo, s20
	s_delay_alu instid0(SALU_CYCLE_1) | instskip(NEXT) | instid1(SALU_CYCLE_1)
	s_or_b32 s19, s0, s19
	s_and_not1_b32 exec_lo, exec_lo, s19
	s_cbranch_execz .LBB1293_965
.LBB1293_962:                           ; =>This Inner Loop Header: Depth=1
	s_or_b32 s20, s20, exec_lo
	s_cmp_eq_u64 s[12:13], s[14:15]
	s_cbranch_scc0 .LBB1293_960
; %bb.963:                              ;   in Loop: Header=BB1293_962 Depth=1
	s_mov_b64 s[14:15], s[8:9]
                                        ; implicit-def: $vgpr11_vgpr12
                                        ; implicit-def: $vgpr57_vgpr58
	s_branch .LBB1293_961
.LBB1293_964:
	v_mov_b32_e32 v11, 0
	v_mov_b32_e32 v12, 0
	s_branch .LBB1293_967
.LBB1293_965:
	s_set_inst_prefetch_distance 0x2
	s_or_b32 exec_lo, exec_lo, s19
	v_cmp_gt_i64_e32 vcc_lo, s[8:9], v[59:60]
	s_mov_b32 s0, 0
	s_delay_alu instid0(SALU_CYCLE_1)
	v_mov_b32_e32 v12, s0
	v_cndmask_b32_e64 v11, 0, 1, vcc_lo
.LBB1293_966:
	s_or_b32 exec_lo, exec_lo, s18
.LBB1293_967:
	s_delay_alu instid0(SALU_CYCLE_1) | instskip(SKIP_2) | instid1(VALU_DEP_1)
	s_or_b32 exec_lo, exec_lo, s3
	v_add_nc_u32_e32 v57, 24, v64
	s_mov_b32 s3, exec_lo
	v_cmpx_gt_u32_e64 s6, v57
	s_cbranch_execz .LBB1293_978
; %bb.968:
	v_cmp_ne_u32_e32 vcc_lo, 1, v63
	s_cbranch_vccnz .LBB1293_975
; %bb.969:
	v_mul_lo_u32 v59, v10, s8
	v_mul_lo_u32 v60, v9, s9
	v_mad_u64_u32 v[57:58], null, v9, s8, 0
	v_mul_lo_u32 v61, v56, s8
	v_mul_lo_u32 v62, v55, s9
	v_mad_u64_u32 v[9:10], null, v55, s8, 0
	s_mov_b32 s18, exec_lo
	s_delay_alu instid0(VALU_DEP_4) | instskip(NEXT) | instid1(VALU_DEP_2)
	v_add3_u32 v58, v58, v60, v59
	v_add3_u32 v10, v10, v62, v61
	s_delay_alu instid0(VALU_DEP_2) | instskip(NEXT) | instid1(VALU_DEP_2)
	v_lshlrev_b64 v[57:58], 1, v[57:58]
	v_lshlrev_b64 v[9:10], 1, v[9:10]
	s_delay_alu instid0(VALU_DEP_2) | instskip(NEXT) | instid1(VALU_DEP_3)
	v_add_co_u32 v57, vcc_lo, s10, v57
	v_add_co_ci_u32_e32 v58, vcc_lo, s11, v58, vcc_lo
	s_delay_alu instid0(VALU_DEP_3) | instskip(NEXT) | instid1(VALU_DEP_4)
	v_add_co_u32 v59, vcc_lo, s10, v9
	v_add_co_ci_u32_e32 v60, vcc_lo, s11, v10, vcc_lo
	s_clause 0x1
	global_load_u16 v61, v[57:58], off
	global_load_u16 v62, v[59:60], off
	v_mov_b32_e32 v9, 1
	v_mov_b32_e32 v10, 0
	s_waitcnt vmcnt(0)
	v_cmpx_eq_f16_e32 v61, v62
	s_cbranch_execz .LBB1293_977
; %bb.970:
	v_add_co_u32 v9, vcc_lo, v59, 2
	v_add_co_ci_u32_e32 v10, vcc_lo, 0, v60, vcc_lo
	v_add_co_u32 v57, vcc_lo, v57, 2
	v_add_co_ci_u32_e32 v58, vcc_lo, 0, v58, vcc_lo
	s_add_u32 s12, s8, -1
	s_addc_u32 s13, s9, -1
	s_mov_b64 s[14:15], 0
	s_mov_b32 s19, 0
                                        ; implicit-def: $sgpr20
	s_set_inst_prefetch_distance 0x1
	s_branch .LBB1293_973
	.p2align	6
.LBB1293_971:                           ;   in Loop: Header=BB1293_973 Depth=1
	global_load_u16 v59, v[57:58], off
	global_load_u16 v60, v[9:10], off
	v_add_co_u32 v9, vcc_lo, v9, 2
	v_add_co_ci_u32_e32 v10, vcc_lo, 0, v10, vcc_lo
	v_add_co_u32 v57, s0, v57, 2
	s_delay_alu instid0(VALU_DEP_1)
	v_add_co_ci_u32_e64 v58, s0, 0, v58, s0
	s_add_u32 s14, s14, 1
	s_addc_u32 s15, s15, 0
	s_and_not1_b32 s0, s20, exec_lo
	s_waitcnt vmcnt(0)
	v_cmp_neq_f16_e32 vcc_lo, v59, v60
	s_and_b32 s20, vcc_lo, exec_lo
	s_delay_alu instid0(SALU_CYCLE_1)
	s_or_b32 s20, s0, s20
.LBB1293_972:                           ;   in Loop: Header=BB1293_973 Depth=1
	v_dual_mov_b32 v60, s15 :: v_dual_mov_b32 v59, s14
	s_and_b32 s0, exec_lo, s20
	s_delay_alu instid0(SALU_CYCLE_1) | instskip(NEXT) | instid1(SALU_CYCLE_1)
	s_or_b32 s19, s0, s19
	s_and_not1_b32 exec_lo, exec_lo, s19
	s_cbranch_execz .LBB1293_976
.LBB1293_973:                           ; =>This Inner Loop Header: Depth=1
	s_or_b32 s20, s20, exec_lo
	s_cmp_eq_u64 s[12:13], s[14:15]
	s_cbranch_scc0 .LBB1293_971
; %bb.974:                              ;   in Loop: Header=BB1293_973 Depth=1
	s_mov_b64 s[14:15], s[8:9]
                                        ; implicit-def: $vgpr9_vgpr10
                                        ; implicit-def: $vgpr57_vgpr58
	s_branch .LBB1293_972
.LBB1293_975:
	v_mov_b32_e32 v9, 0
	v_mov_b32_e32 v10, 0
	s_branch .LBB1293_978
.LBB1293_976:
	s_set_inst_prefetch_distance 0x2
	s_or_b32 exec_lo, exec_lo, s19
	v_cmp_gt_i64_e32 vcc_lo, s[8:9], v[59:60]
	s_mov_b32 s0, 0
	s_delay_alu instid0(SALU_CYCLE_1)
	v_mov_b32_e32 v10, s0
	v_cndmask_b32_e64 v9, 0, 1, vcc_lo
.LBB1293_977:
	s_or_b32 exec_lo, exec_lo, s18
.LBB1293_978:
	s_delay_alu instid0(SALU_CYCLE_1) | instskip(SKIP_2) | instid1(VALU_DEP_1)
	s_or_b32 exec_lo, exec_lo, s3
	v_add_nc_u32_e32 v57, 23, v64
	s_mov_b32 s3, exec_lo
	v_cmpx_gt_u32_e64 s6, v57
	s_cbranch_execz .LBB1293_989
; %bb.979:
	v_cmp_ne_u32_e32 vcc_lo, 1, v63
	s_cbranch_vccnz .LBB1293_986
; %bb.980:
	v_mul_lo_u32 v60, v56, s8
	v_mul_lo_u32 v61, v55, s9
	v_mad_u64_u32 v[56:57], null, v55, s8, 0
	v_mul_lo_u32 v55, v54, s8
	v_mul_lo_u32 v62, v53, s9
	v_mad_u64_u32 v[58:59], null, v53, s8, 0
	s_mov_b32 s18, exec_lo
	s_delay_alu instid0(VALU_DEP_4) | instskip(NEXT) | instid1(VALU_DEP_2)
	v_add3_u32 v57, v57, v61, v60
	v_add3_u32 v59, v59, v62, v55
	s_delay_alu instid0(VALU_DEP_2) | instskip(NEXT) | instid1(VALU_DEP_2)
	v_lshlrev_b64 v[55:56], 1, v[56:57]
	v_lshlrev_b64 v[59:60], 1, v[58:59]
	s_delay_alu instid0(VALU_DEP_2) | instskip(NEXT) | instid1(VALU_DEP_3)
	v_add_co_u32 v57, vcc_lo, s10, v55
	v_add_co_ci_u32_e32 v58, vcc_lo, s11, v56, vcc_lo
	s_delay_alu instid0(VALU_DEP_3) | instskip(NEXT) | instid1(VALU_DEP_4)
	v_add_co_u32 v59, vcc_lo, s10, v59
	v_add_co_ci_u32_e32 v60, vcc_lo, s11, v60, vcc_lo
	s_clause 0x1
	global_load_u16 v61, v[57:58], off
	global_load_u16 v62, v[59:60], off
	v_mov_b32_e32 v55, 1
	v_mov_b32_e32 v56, 0
	s_waitcnt vmcnt(0)
	v_cmpx_eq_f16_e32 v61, v62
	s_cbranch_execz .LBB1293_988
; %bb.981:
	v_add_co_u32 v55, vcc_lo, v59, 2
	v_add_co_ci_u32_e32 v56, vcc_lo, 0, v60, vcc_lo
	v_add_co_u32 v57, vcc_lo, v57, 2
	v_add_co_ci_u32_e32 v58, vcc_lo, 0, v58, vcc_lo
	s_add_u32 s12, s8, -1
	s_addc_u32 s13, s9, -1
	s_mov_b64 s[14:15], 0
	s_mov_b32 s19, 0
                                        ; implicit-def: $sgpr20
	s_set_inst_prefetch_distance 0x1
	s_branch .LBB1293_984
	.p2align	6
.LBB1293_982:                           ;   in Loop: Header=BB1293_984 Depth=1
	global_load_u16 v59, v[57:58], off
	global_load_u16 v60, v[55:56], off
	v_add_co_u32 v55, vcc_lo, v55, 2
	v_add_co_ci_u32_e32 v56, vcc_lo, 0, v56, vcc_lo
	v_add_co_u32 v57, s0, v57, 2
	s_delay_alu instid0(VALU_DEP_1)
	v_add_co_ci_u32_e64 v58, s0, 0, v58, s0
	s_add_u32 s14, s14, 1
	s_addc_u32 s15, s15, 0
	s_and_not1_b32 s0, s20, exec_lo
	s_waitcnt vmcnt(0)
	v_cmp_neq_f16_e32 vcc_lo, v59, v60
	s_and_b32 s20, vcc_lo, exec_lo
	s_delay_alu instid0(SALU_CYCLE_1)
	s_or_b32 s20, s0, s20
.LBB1293_983:                           ;   in Loop: Header=BB1293_984 Depth=1
	v_dual_mov_b32 v60, s15 :: v_dual_mov_b32 v59, s14
	s_and_b32 s0, exec_lo, s20
	s_delay_alu instid0(SALU_CYCLE_1) | instskip(NEXT) | instid1(SALU_CYCLE_1)
	s_or_b32 s19, s0, s19
	s_and_not1_b32 exec_lo, exec_lo, s19
	s_cbranch_execz .LBB1293_987
.LBB1293_984:                           ; =>This Inner Loop Header: Depth=1
	s_or_b32 s20, s20, exec_lo
	s_cmp_eq_u64 s[12:13], s[14:15]
	s_cbranch_scc0 .LBB1293_982
; %bb.985:                              ;   in Loop: Header=BB1293_984 Depth=1
	s_mov_b64 s[14:15], s[8:9]
                                        ; implicit-def: $vgpr55_vgpr56
                                        ; implicit-def: $vgpr57_vgpr58
	s_branch .LBB1293_983
.LBB1293_986:
	v_mov_b32_e32 v55, 0
	v_mov_b32_e32 v56, 0
	s_branch .LBB1293_989
.LBB1293_987:
	s_set_inst_prefetch_distance 0x2
	s_or_b32 exec_lo, exec_lo, s19
	v_cmp_gt_i64_e32 vcc_lo, s[8:9], v[59:60]
	s_mov_b32 s0, 0
	s_delay_alu instid0(SALU_CYCLE_1)
	v_mov_b32_e32 v56, s0
	v_cndmask_b32_e64 v55, 0, 1, vcc_lo
.LBB1293_988:
	s_or_b32 exec_lo, exec_lo, s18
.LBB1293_989:
	s_delay_alu instid0(SALU_CYCLE_1) | instskip(SKIP_2) | instid1(VALU_DEP_1)
	s_or_b32 exec_lo, exec_lo, s3
	v_add_nc_u32_e32 v57, 22, v64
	s_mov_b32 s3, exec_lo
	v_cmpx_gt_u32_e64 s6, v57
	s_cbranch_execz .LBB1293_1000
; %bb.990:
	v_cmp_ne_u32_e32 vcc_lo, 1, v63
	s_cbranch_vccnz .LBB1293_997
; %bb.991:
	v_mul_lo_u32 v59, v54, s8
	v_mul_lo_u32 v60, v53, s9
	v_mad_u64_u32 v[57:58], null, v53, s8, 0
	v_mul_lo_u32 v61, v52, s8
	v_mul_lo_u32 v62, v51, s9
	v_mad_u64_u32 v[53:54], null, v51, s8, 0
	s_mov_b32 s18, exec_lo
	s_delay_alu instid0(VALU_DEP_4) | instskip(NEXT) | instid1(VALU_DEP_2)
	v_add3_u32 v58, v58, v60, v59
	v_add3_u32 v54, v54, v62, v61
	s_delay_alu instid0(VALU_DEP_2) | instskip(NEXT) | instid1(VALU_DEP_2)
	v_lshlrev_b64 v[57:58], 1, v[57:58]
	v_lshlrev_b64 v[53:54], 1, v[53:54]
	s_delay_alu instid0(VALU_DEP_2) | instskip(NEXT) | instid1(VALU_DEP_3)
	v_add_co_u32 v57, vcc_lo, s10, v57
	v_add_co_ci_u32_e32 v58, vcc_lo, s11, v58, vcc_lo
	s_delay_alu instid0(VALU_DEP_3) | instskip(NEXT) | instid1(VALU_DEP_4)
	v_add_co_u32 v59, vcc_lo, s10, v53
	v_add_co_ci_u32_e32 v60, vcc_lo, s11, v54, vcc_lo
	s_clause 0x1
	global_load_u16 v61, v[57:58], off
	global_load_u16 v62, v[59:60], off
	v_mov_b32_e32 v53, 1
	v_mov_b32_e32 v54, 0
	s_waitcnt vmcnt(0)
	v_cmpx_eq_f16_e32 v61, v62
	s_cbranch_execz .LBB1293_999
; %bb.992:
	v_add_co_u32 v53, vcc_lo, v59, 2
	v_add_co_ci_u32_e32 v54, vcc_lo, 0, v60, vcc_lo
	v_add_co_u32 v57, vcc_lo, v57, 2
	v_add_co_ci_u32_e32 v58, vcc_lo, 0, v58, vcc_lo
	s_add_u32 s12, s8, -1
	s_addc_u32 s13, s9, -1
	s_mov_b64 s[14:15], 0
	s_mov_b32 s19, 0
                                        ; implicit-def: $sgpr20
	s_set_inst_prefetch_distance 0x1
	s_branch .LBB1293_995
	.p2align	6
.LBB1293_993:                           ;   in Loop: Header=BB1293_995 Depth=1
	global_load_u16 v59, v[57:58], off
	global_load_u16 v60, v[53:54], off
	v_add_co_u32 v53, vcc_lo, v53, 2
	v_add_co_ci_u32_e32 v54, vcc_lo, 0, v54, vcc_lo
	v_add_co_u32 v57, s0, v57, 2
	s_delay_alu instid0(VALU_DEP_1)
	v_add_co_ci_u32_e64 v58, s0, 0, v58, s0
	s_add_u32 s14, s14, 1
	s_addc_u32 s15, s15, 0
	s_and_not1_b32 s0, s20, exec_lo
	s_waitcnt vmcnt(0)
	v_cmp_neq_f16_e32 vcc_lo, v59, v60
	s_and_b32 s20, vcc_lo, exec_lo
	s_delay_alu instid0(SALU_CYCLE_1)
	s_or_b32 s20, s0, s20
.LBB1293_994:                           ;   in Loop: Header=BB1293_995 Depth=1
	v_dual_mov_b32 v60, s15 :: v_dual_mov_b32 v59, s14
	s_and_b32 s0, exec_lo, s20
	s_delay_alu instid0(SALU_CYCLE_1) | instskip(NEXT) | instid1(SALU_CYCLE_1)
	s_or_b32 s19, s0, s19
	s_and_not1_b32 exec_lo, exec_lo, s19
	s_cbranch_execz .LBB1293_998
.LBB1293_995:                           ; =>This Inner Loop Header: Depth=1
	s_or_b32 s20, s20, exec_lo
	s_cmp_eq_u64 s[12:13], s[14:15]
	s_cbranch_scc0 .LBB1293_993
; %bb.996:                              ;   in Loop: Header=BB1293_995 Depth=1
	s_mov_b64 s[14:15], s[8:9]
                                        ; implicit-def: $vgpr53_vgpr54
                                        ; implicit-def: $vgpr57_vgpr58
	s_branch .LBB1293_994
.LBB1293_997:
	v_mov_b32_e32 v53, 0
	v_mov_b32_e32 v54, 0
	s_branch .LBB1293_1000
.LBB1293_998:
	s_set_inst_prefetch_distance 0x2
	s_or_b32 exec_lo, exec_lo, s19
	v_cmp_gt_i64_e32 vcc_lo, s[8:9], v[59:60]
	s_mov_b32 s0, 0
	s_delay_alu instid0(SALU_CYCLE_1)
	v_mov_b32_e32 v54, s0
	v_cndmask_b32_e64 v53, 0, 1, vcc_lo
.LBB1293_999:
	s_or_b32 exec_lo, exec_lo, s18
.LBB1293_1000:
	s_delay_alu instid0(SALU_CYCLE_1) | instskip(SKIP_2) | instid1(VALU_DEP_1)
	s_or_b32 exec_lo, exec_lo, s3
	v_add_nc_u32_e32 v57, 21, v64
	s_mov_b32 s3, exec_lo
	v_cmpx_gt_u32_e64 s6, v57
	s_cbranch_execz .LBB1293_1011
; %bb.1001:
	v_cmp_ne_u32_e32 vcc_lo, 1, v63
	s_cbranch_vccnz .LBB1293_1008
; %bb.1002:
	v_mul_lo_u32 v59, v52, s8
	v_mul_lo_u32 v60, v51, s9
	v_mad_u64_u32 v[57:58], null, v51, s8, 0
	v_mul_lo_u32 v61, v50, s8
	v_mul_lo_u32 v62, v49, s9
	v_mad_u64_u32 v[51:52], null, v49, s8, 0
	s_mov_b32 s18, exec_lo
	s_delay_alu instid0(VALU_DEP_4) | instskip(NEXT) | instid1(VALU_DEP_2)
	v_add3_u32 v58, v58, v60, v59
	v_add3_u32 v52, v52, v62, v61
	s_delay_alu instid0(VALU_DEP_2) | instskip(NEXT) | instid1(VALU_DEP_2)
	v_lshlrev_b64 v[57:58], 1, v[57:58]
	v_lshlrev_b64 v[51:52], 1, v[51:52]
	s_delay_alu instid0(VALU_DEP_2) | instskip(NEXT) | instid1(VALU_DEP_3)
	v_add_co_u32 v57, vcc_lo, s10, v57
	v_add_co_ci_u32_e32 v58, vcc_lo, s11, v58, vcc_lo
	s_delay_alu instid0(VALU_DEP_3) | instskip(NEXT) | instid1(VALU_DEP_4)
	v_add_co_u32 v59, vcc_lo, s10, v51
	v_add_co_ci_u32_e32 v60, vcc_lo, s11, v52, vcc_lo
	s_clause 0x1
	global_load_u16 v61, v[57:58], off
	global_load_u16 v62, v[59:60], off
	v_mov_b32_e32 v51, 1
	v_mov_b32_e32 v52, 0
	s_waitcnt vmcnt(0)
	v_cmpx_eq_f16_e32 v61, v62
	s_cbranch_execz .LBB1293_1010
; %bb.1003:
	v_add_co_u32 v51, vcc_lo, v59, 2
	v_add_co_ci_u32_e32 v52, vcc_lo, 0, v60, vcc_lo
	v_add_co_u32 v57, vcc_lo, v57, 2
	v_add_co_ci_u32_e32 v58, vcc_lo, 0, v58, vcc_lo
	s_add_u32 s12, s8, -1
	s_addc_u32 s13, s9, -1
	s_mov_b64 s[14:15], 0
	s_mov_b32 s19, 0
                                        ; implicit-def: $sgpr20
	s_set_inst_prefetch_distance 0x1
	s_branch .LBB1293_1006
	.p2align	6
.LBB1293_1004:                          ;   in Loop: Header=BB1293_1006 Depth=1
	global_load_u16 v59, v[57:58], off
	global_load_u16 v60, v[51:52], off
	v_add_co_u32 v51, vcc_lo, v51, 2
	v_add_co_ci_u32_e32 v52, vcc_lo, 0, v52, vcc_lo
	v_add_co_u32 v57, s0, v57, 2
	s_delay_alu instid0(VALU_DEP_1)
	v_add_co_ci_u32_e64 v58, s0, 0, v58, s0
	s_add_u32 s14, s14, 1
	s_addc_u32 s15, s15, 0
	s_and_not1_b32 s0, s20, exec_lo
	s_waitcnt vmcnt(0)
	v_cmp_neq_f16_e32 vcc_lo, v59, v60
	s_and_b32 s20, vcc_lo, exec_lo
	s_delay_alu instid0(SALU_CYCLE_1)
	s_or_b32 s20, s0, s20
.LBB1293_1005:                          ;   in Loop: Header=BB1293_1006 Depth=1
	v_dual_mov_b32 v60, s15 :: v_dual_mov_b32 v59, s14
	s_and_b32 s0, exec_lo, s20
	s_delay_alu instid0(SALU_CYCLE_1) | instskip(NEXT) | instid1(SALU_CYCLE_1)
	s_or_b32 s19, s0, s19
	s_and_not1_b32 exec_lo, exec_lo, s19
	s_cbranch_execz .LBB1293_1009
.LBB1293_1006:                          ; =>This Inner Loop Header: Depth=1
	s_or_b32 s20, s20, exec_lo
	s_cmp_eq_u64 s[12:13], s[14:15]
	s_cbranch_scc0 .LBB1293_1004
; %bb.1007:                             ;   in Loop: Header=BB1293_1006 Depth=1
	s_mov_b64 s[14:15], s[8:9]
                                        ; implicit-def: $vgpr51_vgpr52
                                        ; implicit-def: $vgpr57_vgpr58
	s_branch .LBB1293_1005
.LBB1293_1008:
	v_mov_b32_e32 v51, 0
	v_mov_b32_e32 v52, 0
	s_branch .LBB1293_1011
.LBB1293_1009:
	s_set_inst_prefetch_distance 0x2
	s_or_b32 exec_lo, exec_lo, s19
	v_cmp_gt_i64_e32 vcc_lo, s[8:9], v[59:60]
	s_mov_b32 s0, 0
	s_delay_alu instid0(SALU_CYCLE_1)
	v_mov_b32_e32 v52, s0
	v_cndmask_b32_e64 v51, 0, 1, vcc_lo
.LBB1293_1010:
	s_or_b32 exec_lo, exec_lo, s18
.LBB1293_1011:
	s_delay_alu instid0(SALU_CYCLE_1) | instskip(SKIP_2) | instid1(VALU_DEP_1)
	s_or_b32 exec_lo, exec_lo, s3
	v_add_nc_u32_e32 v57, 20, v64
	s_mov_b32 s3, exec_lo
	v_cmpx_gt_u32_e64 s6, v57
	s_cbranch_execz .LBB1293_1022
; %bb.1012:
	v_cmp_ne_u32_e32 vcc_lo, 1, v63
	s_cbranch_vccnz .LBB1293_1019
; %bb.1013:
	v_mul_lo_u32 v59, v50, s8
	v_mul_lo_u32 v60, v49, s9
	v_mad_u64_u32 v[57:58], null, v49, s8, 0
	v_mul_lo_u32 v61, v48, s8
	v_mul_lo_u32 v62, v47, s9
	v_mad_u64_u32 v[49:50], null, v47, s8, 0
	s_mov_b32 s18, exec_lo
	s_delay_alu instid0(VALU_DEP_4) | instskip(NEXT) | instid1(VALU_DEP_2)
	v_add3_u32 v58, v58, v60, v59
	v_add3_u32 v50, v50, v62, v61
	s_delay_alu instid0(VALU_DEP_2) | instskip(NEXT) | instid1(VALU_DEP_2)
	v_lshlrev_b64 v[57:58], 1, v[57:58]
	v_lshlrev_b64 v[49:50], 1, v[49:50]
	s_delay_alu instid0(VALU_DEP_2) | instskip(NEXT) | instid1(VALU_DEP_3)
	v_add_co_u32 v57, vcc_lo, s10, v57
	v_add_co_ci_u32_e32 v58, vcc_lo, s11, v58, vcc_lo
	s_delay_alu instid0(VALU_DEP_3) | instskip(NEXT) | instid1(VALU_DEP_4)
	v_add_co_u32 v59, vcc_lo, s10, v49
	v_add_co_ci_u32_e32 v60, vcc_lo, s11, v50, vcc_lo
	s_clause 0x1
	global_load_u16 v61, v[57:58], off
	global_load_u16 v62, v[59:60], off
	v_mov_b32_e32 v49, 1
	v_mov_b32_e32 v50, 0
	s_waitcnt vmcnt(0)
	v_cmpx_eq_f16_e32 v61, v62
	s_cbranch_execz .LBB1293_1021
; %bb.1014:
	v_add_co_u32 v49, vcc_lo, v59, 2
	v_add_co_ci_u32_e32 v50, vcc_lo, 0, v60, vcc_lo
	v_add_co_u32 v57, vcc_lo, v57, 2
	v_add_co_ci_u32_e32 v58, vcc_lo, 0, v58, vcc_lo
	s_add_u32 s12, s8, -1
	s_addc_u32 s13, s9, -1
	s_mov_b64 s[14:15], 0
	s_mov_b32 s19, 0
                                        ; implicit-def: $sgpr20
	s_set_inst_prefetch_distance 0x1
	s_branch .LBB1293_1017
	.p2align	6
.LBB1293_1015:                          ;   in Loop: Header=BB1293_1017 Depth=1
	global_load_u16 v59, v[57:58], off
	global_load_u16 v60, v[49:50], off
	v_add_co_u32 v49, vcc_lo, v49, 2
	v_add_co_ci_u32_e32 v50, vcc_lo, 0, v50, vcc_lo
	v_add_co_u32 v57, s0, v57, 2
	s_delay_alu instid0(VALU_DEP_1)
	v_add_co_ci_u32_e64 v58, s0, 0, v58, s0
	s_add_u32 s14, s14, 1
	s_addc_u32 s15, s15, 0
	s_and_not1_b32 s0, s20, exec_lo
	s_waitcnt vmcnt(0)
	v_cmp_neq_f16_e32 vcc_lo, v59, v60
	s_and_b32 s20, vcc_lo, exec_lo
	s_delay_alu instid0(SALU_CYCLE_1)
	s_or_b32 s20, s0, s20
.LBB1293_1016:                          ;   in Loop: Header=BB1293_1017 Depth=1
	v_dual_mov_b32 v60, s15 :: v_dual_mov_b32 v59, s14
	s_and_b32 s0, exec_lo, s20
	s_delay_alu instid0(SALU_CYCLE_1) | instskip(NEXT) | instid1(SALU_CYCLE_1)
	s_or_b32 s19, s0, s19
	s_and_not1_b32 exec_lo, exec_lo, s19
	s_cbranch_execz .LBB1293_1020
.LBB1293_1017:                          ; =>This Inner Loop Header: Depth=1
	s_or_b32 s20, s20, exec_lo
	s_cmp_eq_u64 s[12:13], s[14:15]
	s_cbranch_scc0 .LBB1293_1015
; %bb.1018:                             ;   in Loop: Header=BB1293_1017 Depth=1
	s_mov_b64 s[14:15], s[8:9]
                                        ; implicit-def: $vgpr49_vgpr50
                                        ; implicit-def: $vgpr57_vgpr58
	s_branch .LBB1293_1016
.LBB1293_1019:
	v_mov_b32_e32 v49, 0
	v_mov_b32_e32 v50, 0
	s_branch .LBB1293_1022
.LBB1293_1020:
	s_set_inst_prefetch_distance 0x2
	s_or_b32 exec_lo, exec_lo, s19
	v_cmp_gt_i64_e32 vcc_lo, s[8:9], v[59:60]
	s_mov_b32 s0, 0
	s_delay_alu instid0(SALU_CYCLE_1)
	v_mov_b32_e32 v50, s0
	v_cndmask_b32_e64 v49, 0, 1, vcc_lo
.LBB1293_1021:
	s_or_b32 exec_lo, exec_lo, s18
.LBB1293_1022:
	s_delay_alu instid0(SALU_CYCLE_1) | instskip(SKIP_2) | instid1(VALU_DEP_1)
	s_or_b32 exec_lo, exec_lo, s3
	v_add_nc_u32_e32 v57, 19, v64
	s_mov_b32 s3, exec_lo
	v_cmpx_gt_u32_e64 s6, v57
	s_cbranch_execz .LBB1293_1033
; %bb.1023:
	v_cmp_ne_u32_e32 vcc_lo, 1, v63
	s_cbranch_vccnz .LBB1293_1030
; %bb.1024:
	v_mul_lo_u32 v59, v48, s8
	v_mul_lo_u32 v60, v47, s9
	v_mad_u64_u32 v[57:58], null, v47, s8, 0
	v_mul_lo_u32 v61, v46, s8
	v_mul_lo_u32 v62, v45, s9
	v_mad_u64_u32 v[47:48], null, v45, s8, 0
	s_mov_b32 s18, exec_lo
	s_delay_alu instid0(VALU_DEP_4) | instskip(NEXT) | instid1(VALU_DEP_2)
	v_add3_u32 v58, v58, v60, v59
	v_add3_u32 v48, v48, v62, v61
	s_delay_alu instid0(VALU_DEP_2) | instskip(NEXT) | instid1(VALU_DEP_2)
	v_lshlrev_b64 v[57:58], 1, v[57:58]
	v_lshlrev_b64 v[47:48], 1, v[47:48]
	s_delay_alu instid0(VALU_DEP_2) | instskip(NEXT) | instid1(VALU_DEP_3)
	v_add_co_u32 v57, vcc_lo, s10, v57
	v_add_co_ci_u32_e32 v58, vcc_lo, s11, v58, vcc_lo
	s_delay_alu instid0(VALU_DEP_3) | instskip(NEXT) | instid1(VALU_DEP_4)
	v_add_co_u32 v59, vcc_lo, s10, v47
	v_add_co_ci_u32_e32 v60, vcc_lo, s11, v48, vcc_lo
	s_clause 0x1
	global_load_u16 v61, v[57:58], off
	global_load_u16 v62, v[59:60], off
	v_mov_b32_e32 v47, 1
	v_mov_b32_e32 v48, 0
	s_waitcnt vmcnt(0)
	v_cmpx_eq_f16_e32 v61, v62
	s_cbranch_execz .LBB1293_1032
; %bb.1025:
	v_add_co_u32 v47, vcc_lo, v59, 2
	v_add_co_ci_u32_e32 v48, vcc_lo, 0, v60, vcc_lo
	v_add_co_u32 v57, vcc_lo, v57, 2
	v_add_co_ci_u32_e32 v58, vcc_lo, 0, v58, vcc_lo
	s_add_u32 s12, s8, -1
	s_addc_u32 s13, s9, -1
	s_mov_b64 s[14:15], 0
	s_mov_b32 s19, 0
                                        ; implicit-def: $sgpr20
	s_set_inst_prefetch_distance 0x1
	s_branch .LBB1293_1028
	.p2align	6
.LBB1293_1026:                          ;   in Loop: Header=BB1293_1028 Depth=1
	global_load_u16 v59, v[57:58], off
	global_load_u16 v60, v[47:48], off
	v_add_co_u32 v47, vcc_lo, v47, 2
	v_add_co_ci_u32_e32 v48, vcc_lo, 0, v48, vcc_lo
	v_add_co_u32 v57, s0, v57, 2
	s_delay_alu instid0(VALU_DEP_1)
	v_add_co_ci_u32_e64 v58, s0, 0, v58, s0
	s_add_u32 s14, s14, 1
	s_addc_u32 s15, s15, 0
	s_and_not1_b32 s0, s20, exec_lo
	s_waitcnt vmcnt(0)
	v_cmp_neq_f16_e32 vcc_lo, v59, v60
	s_and_b32 s20, vcc_lo, exec_lo
	s_delay_alu instid0(SALU_CYCLE_1)
	s_or_b32 s20, s0, s20
.LBB1293_1027:                          ;   in Loop: Header=BB1293_1028 Depth=1
	v_dual_mov_b32 v60, s15 :: v_dual_mov_b32 v59, s14
	s_and_b32 s0, exec_lo, s20
	s_delay_alu instid0(SALU_CYCLE_1) | instskip(NEXT) | instid1(SALU_CYCLE_1)
	s_or_b32 s19, s0, s19
	s_and_not1_b32 exec_lo, exec_lo, s19
	s_cbranch_execz .LBB1293_1031
.LBB1293_1028:                          ; =>This Inner Loop Header: Depth=1
	s_or_b32 s20, s20, exec_lo
	s_cmp_eq_u64 s[12:13], s[14:15]
	s_cbranch_scc0 .LBB1293_1026
; %bb.1029:                             ;   in Loop: Header=BB1293_1028 Depth=1
	s_mov_b64 s[14:15], s[8:9]
                                        ; implicit-def: $vgpr47_vgpr48
                                        ; implicit-def: $vgpr57_vgpr58
	s_branch .LBB1293_1027
.LBB1293_1030:
	v_mov_b32_e32 v47, 0
	v_mov_b32_e32 v48, 0
	s_branch .LBB1293_1033
.LBB1293_1031:
	s_set_inst_prefetch_distance 0x2
	s_or_b32 exec_lo, exec_lo, s19
	v_cmp_gt_i64_e32 vcc_lo, s[8:9], v[59:60]
	s_mov_b32 s0, 0
	s_delay_alu instid0(SALU_CYCLE_1)
	v_mov_b32_e32 v48, s0
	v_cndmask_b32_e64 v47, 0, 1, vcc_lo
.LBB1293_1032:
	s_or_b32 exec_lo, exec_lo, s18
.LBB1293_1033:
	s_delay_alu instid0(SALU_CYCLE_1) | instskip(SKIP_2) | instid1(VALU_DEP_1)
	s_or_b32 exec_lo, exec_lo, s3
	v_add_nc_u32_e32 v57, 18, v64
	s_mov_b32 s3, exec_lo
	v_cmpx_gt_u32_e64 s6, v57
	s_cbranch_execz .LBB1293_1044
; %bb.1034:
	v_cmp_ne_u32_e32 vcc_lo, 1, v63
	s_cbranch_vccnz .LBB1293_1041
; %bb.1035:
	v_mul_lo_u32 v59, v46, s8
	v_mul_lo_u32 v60, v45, s9
	v_mad_u64_u32 v[57:58], null, v45, s8, 0
	v_mul_lo_u32 v61, v44, s8
	v_mul_lo_u32 v62, v43, s9
	v_mad_u64_u32 v[45:46], null, v43, s8, 0
	s_mov_b32 s18, exec_lo
	s_delay_alu instid0(VALU_DEP_4) | instskip(NEXT) | instid1(VALU_DEP_2)
	v_add3_u32 v58, v58, v60, v59
	v_add3_u32 v46, v46, v62, v61
	s_delay_alu instid0(VALU_DEP_2) | instskip(NEXT) | instid1(VALU_DEP_2)
	v_lshlrev_b64 v[57:58], 1, v[57:58]
	v_lshlrev_b64 v[45:46], 1, v[45:46]
	s_delay_alu instid0(VALU_DEP_2) | instskip(NEXT) | instid1(VALU_DEP_3)
	v_add_co_u32 v57, vcc_lo, s10, v57
	v_add_co_ci_u32_e32 v58, vcc_lo, s11, v58, vcc_lo
	s_delay_alu instid0(VALU_DEP_3) | instskip(NEXT) | instid1(VALU_DEP_4)
	v_add_co_u32 v59, vcc_lo, s10, v45
	v_add_co_ci_u32_e32 v60, vcc_lo, s11, v46, vcc_lo
	s_clause 0x1
	global_load_u16 v61, v[57:58], off
	global_load_u16 v62, v[59:60], off
	v_mov_b32_e32 v45, 1
	v_mov_b32_e32 v46, 0
	s_waitcnt vmcnt(0)
	v_cmpx_eq_f16_e32 v61, v62
	s_cbranch_execz .LBB1293_1043
; %bb.1036:
	v_add_co_u32 v45, vcc_lo, v59, 2
	v_add_co_ci_u32_e32 v46, vcc_lo, 0, v60, vcc_lo
	v_add_co_u32 v57, vcc_lo, v57, 2
	v_add_co_ci_u32_e32 v58, vcc_lo, 0, v58, vcc_lo
	s_add_u32 s12, s8, -1
	s_addc_u32 s13, s9, -1
	s_mov_b64 s[14:15], 0
	s_mov_b32 s19, 0
                                        ; implicit-def: $sgpr20
	s_set_inst_prefetch_distance 0x1
	s_branch .LBB1293_1039
	.p2align	6
.LBB1293_1037:                          ;   in Loop: Header=BB1293_1039 Depth=1
	global_load_u16 v59, v[57:58], off
	global_load_u16 v60, v[45:46], off
	v_add_co_u32 v45, vcc_lo, v45, 2
	v_add_co_ci_u32_e32 v46, vcc_lo, 0, v46, vcc_lo
	v_add_co_u32 v57, s0, v57, 2
	s_delay_alu instid0(VALU_DEP_1)
	v_add_co_ci_u32_e64 v58, s0, 0, v58, s0
	s_add_u32 s14, s14, 1
	s_addc_u32 s15, s15, 0
	s_and_not1_b32 s0, s20, exec_lo
	s_waitcnt vmcnt(0)
	v_cmp_neq_f16_e32 vcc_lo, v59, v60
	s_and_b32 s20, vcc_lo, exec_lo
	s_delay_alu instid0(SALU_CYCLE_1)
	s_or_b32 s20, s0, s20
.LBB1293_1038:                          ;   in Loop: Header=BB1293_1039 Depth=1
	v_dual_mov_b32 v60, s15 :: v_dual_mov_b32 v59, s14
	s_and_b32 s0, exec_lo, s20
	s_delay_alu instid0(SALU_CYCLE_1) | instskip(NEXT) | instid1(SALU_CYCLE_1)
	s_or_b32 s19, s0, s19
	s_and_not1_b32 exec_lo, exec_lo, s19
	s_cbranch_execz .LBB1293_1042
.LBB1293_1039:                          ; =>This Inner Loop Header: Depth=1
	s_or_b32 s20, s20, exec_lo
	s_cmp_eq_u64 s[12:13], s[14:15]
	s_cbranch_scc0 .LBB1293_1037
; %bb.1040:                             ;   in Loop: Header=BB1293_1039 Depth=1
	s_mov_b64 s[14:15], s[8:9]
                                        ; implicit-def: $vgpr45_vgpr46
                                        ; implicit-def: $vgpr57_vgpr58
	s_branch .LBB1293_1038
.LBB1293_1041:
	v_mov_b32_e32 v45, 0
	v_mov_b32_e32 v46, 0
	s_branch .LBB1293_1044
.LBB1293_1042:
	s_set_inst_prefetch_distance 0x2
	s_or_b32 exec_lo, exec_lo, s19
	v_cmp_gt_i64_e32 vcc_lo, s[8:9], v[59:60]
	s_mov_b32 s0, 0
	s_delay_alu instid0(SALU_CYCLE_1)
	v_mov_b32_e32 v46, s0
	v_cndmask_b32_e64 v45, 0, 1, vcc_lo
.LBB1293_1043:
	s_or_b32 exec_lo, exec_lo, s18
.LBB1293_1044:
	s_delay_alu instid0(SALU_CYCLE_1) | instskip(SKIP_2) | instid1(VALU_DEP_1)
	s_or_b32 exec_lo, exec_lo, s3
	v_add_nc_u32_e32 v57, 17, v64
	s_mov_b32 s3, exec_lo
	v_cmpx_gt_u32_e64 s6, v57
	s_cbranch_execz .LBB1293_1055
; %bb.1045:
	v_cmp_ne_u32_e32 vcc_lo, 1, v63
	s_cbranch_vccnz .LBB1293_1052
; %bb.1046:
	v_mul_lo_u32 v59, v44, s8
	v_mul_lo_u32 v60, v43, s9
	v_mad_u64_u32 v[57:58], null, v43, s8, 0
	v_mul_lo_u32 v61, v42, s8
	v_mul_lo_u32 v62, v41, s9
	v_mad_u64_u32 v[43:44], null, v41, s8, 0
	s_mov_b32 s18, exec_lo
	s_delay_alu instid0(VALU_DEP_4) | instskip(NEXT) | instid1(VALU_DEP_2)
	v_add3_u32 v58, v58, v60, v59
	v_add3_u32 v44, v44, v62, v61
	s_delay_alu instid0(VALU_DEP_2) | instskip(NEXT) | instid1(VALU_DEP_2)
	v_lshlrev_b64 v[57:58], 1, v[57:58]
	v_lshlrev_b64 v[43:44], 1, v[43:44]
	s_delay_alu instid0(VALU_DEP_2) | instskip(NEXT) | instid1(VALU_DEP_3)
	v_add_co_u32 v57, vcc_lo, s10, v57
	v_add_co_ci_u32_e32 v58, vcc_lo, s11, v58, vcc_lo
	s_delay_alu instid0(VALU_DEP_3) | instskip(NEXT) | instid1(VALU_DEP_4)
	v_add_co_u32 v59, vcc_lo, s10, v43
	v_add_co_ci_u32_e32 v60, vcc_lo, s11, v44, vcc_lo
	s_clause 0x1
	global_load_u16 v61, v[57:58], off
	global_load_u16 v62, v[59:60], off
	v_mov_b32_e32 v43, 1
	v_mov_b32_e32 v44, 0
	s_waitcnt vmcnt(0)
	v_cmpx_eq_f16_e32 v61, v62
	s_cbranch_execz .LBB1293_1054
; %bb.1047:
	v_add_co_u32 v43, vcc_lo, v59, 2
	v_add_co_ci_u32_e32 v44, vcc_lo, 0, v60, vcc_lo
	v_add_co_u32 v57, vcc_lo, v57, 2
	v_add_co_ci_u32_e32 v58, vcc_lo, 0, v58, vcc_lo
	s_add_u32 s12, s8, -1
	s_addc_u32 s13, s9, -1
	s_mov_b64 s[14:15], 0
	s_mov_b32 s19, 0
                                        ; implicit-def: $sgpr20
	s_set_inst_prefetch_distance 0x1
	s_branch .LBB1293_1050
	.p2align	6
.LBB1293_1048:                          ;   in Loop: Header=BB1293_1050 Depth=1
	global_load_u16 v59, v[57:58], off
	global_load_u16 v60, v[43:44], off
	v_add_co_u32 v43, vcc_lo, v43, 2
	v_add_co_ci_u32_e32 v44, vcc_lo, 0, v44, vcc_lo
	v_add_co_u32 v57, s0, v57, 2
	s_delay_alu instid0(VALU_DEP_1)
	v_add_co_ci_u32_e64 v58, s0, 0, v58, s0
	s_add_u32 s14, s14, 1
	s_addc_u32 s15, s15, 0
	s_and_not1_b32 s0, s20, exec_lo
	s_waitcnt vmcnt(0)
	v_cmp_neq_f16_e32 vcc_lo, v59, v60
	s_and_b32 s20, vcc_lo, exec_lo
	s_delay_alu instid0(SALU_CYCLE_1)
	s_or_b32 s20, s0, s20
.LBB1293_1049:                          ;   in Loop: Header=BB1293_1050 Depth=1
	v_dual_mov_b32 v60, s15 :: v_dual_mov_b32 v59, s14
	s_and_b32 s0, exec_lo, s20
	s_delay_alu instid0(SALU_CYCLE_1) | instskip(NEXT) | instid1(SALU_CYCLE_1)
	s_or_b32 s19, s0, s19
	s_and_not1_b32 exec_lo, exec_lo, s19
	s_cbranch_execz .LBB1293_1053
.LBB1293_1050:                          ; =>This Inner Loop Header: Depth=1
	s_or_b32 s20, s20, exec_lo
	s_cmp_eq_u64 s[12:13], s[14:15]
	s_cbranch_scc0 .LBB1293_1048
; %bb.1051:                             ;   in Loop: Header=BB1293_1050 Depth=1
	s_mov_b64 s[14:15], s[8:9]
                                        ; implicit-def: $vgpr43_vgpr44
                                        ; implicit-def: $vgpr57_vgpr58
	s_branch .LBB1293_1049
.LBB1293_1052:
	v_mov_b32_e32 v43, 0
	v_mov_b32_e32 v44, 0
	s_branch .LBB1293_1055
.LBB1293_1053:
	s_set_inst_prefetch_distance 0x2
	s_or_b32 exec_lo, exec_lo, s19
	v_cmp_gt_i64_e32 vcc_lo, s[8:9], v[59:60]
	s_mov_b32 s0, 0
	s_delay_alu instid0(SALU_CYCLE_1)
	v_mov_b32_e32 v44, s0
	v_cndmask_b32_e64 v43, 0, 1, vcc_lo
.LBB1293_1054:
	s_or_b32 exec_lo, exec_lo, s18
.LBB1293_1055:
	s_delay_alu instid0(SALU_CYCLE_1) | instskip(SKIP_2) | instid1(VALU_DEP_1)
	s_or_b32 exec_lo, exec_lo, s3
	v_add_nc_u32_e32 v57, 16, v64
	s_mov_b32 s3, exec_lo
	v_cmpx_gt_u32_e64 s6, v57
	s_cbranch_execz .LBB1293_1066
; %bb.1056:
	v_cmp_ne_u32_e32 vcc_lo, 1, v63
	s_cbranch_vccnz .LBB1293_1063
; %bb.1057:
	v_mul_lo_u32 v59, v42, s8
	v_mul_lo_u32 v60, v41, s9
	v_mad_u64_u32 v[57:58], null, v41, s8, 0
	v_mul_lo_u32 v61, v40, s8
	v_mul_lo_u32 v62, v39, s9
	v_mad_u64_u32 v[41:42], null, v39, s8, 0
	s_mov_b32 s18, exec_lo
	s_delay_alu instid0(VALU_DEP_4) | instskip(NEXT) | instid1(VALU_DEP_2)
	v_add3_u32 v58, v58, v60, v59
	v_add3_u32 v42, v42, v62, v61
	s_delay_alu instid0(VALU_DEP_2) | instskip(NEXT) | instid1(VALU_DEP_2)
	v_lshlrev_b64 v[57:58], 1, v[57:58]
	v_lshlrev_b64 v[41:42], 1, v[41:42]
	s_delay_alu instid0(VALU_DEP_2) | instskip(NEXT) | instid1(VALU_DEP_3)
	v_add_co_u32 v57, vcc_lo, s10, v57
	v_add_co_ci_u32_e32 v58, vcc_lo, s11, v58, vcc_lo
	s_delay_alu instid0(VALU_DEP_3) | instskip(NEXT) | instid1(VALU_DEP_4)
	v_add_co_u32 v59, vcc_lo, s10, v41
	v_add_co_ci_u32_e32 v60, vcc_lo, s11, v42, vcc_lo
	s_clause 0x1
	global_load_u16 v61, v[57:58], off
	global_load_u16 v62, v[59:60], off
	v_mov_b32_e32 v41, 1
	v_mov_b32_e32 v42, 0
	s_waitcnt vmcnt(0)
	v_cmpx_eq_f16_e32 v61, v62
	s_cbranch_execz .LBB1293_1065
; %bb.1058:
	v_add_co_u32 v41, vcc_lo, v59, 2
	v_add_co_ci_u32_e32 v42, vcc_lo, 0, v60, vcc_lo
	v_add_co_u32 v57, vcc_lo, v57, 2
	v_add_co_ci_u32_e32 v58, vcc_lo, 0, v58, vcc_lo
	s_add_u32 s12, s8, -1
	s_addc_u32 s13, s9, -1
	s_mov_b64 s[14:15], 0
	s_mov_b32 s19, 0
                                        ; implicit-def: $sgpr20
	s_set_inst_prefetch_distance 0x1
	s_branch .LBB1293_1061
	.p2align	6
.LBB1293_1059:                          ;   in Loop: Header=BB1293_1061 Depth=1
	global_load_u16 v59, v[57:58], off
	global_load_u16 v60, v[41:42], off
	v_add_co_u32 v41, vcc_lo, v41, 2
	v_add_co_ci_u32_e32 v42, vcc_lo, 0, v42, vcc_lo
	v_add_co_u32 v57, s0, v57, 2
	s_delay_alu instid0(VALU_DEP_1)
	v_add_co_ci_u32_e64 v58, s0, 0, v58, s0
	s_add_u32 s14, s14, 1
	s_addc_u32 s15, s15, 0
	s_and_not1_b32 s0, s20, exec_lo
	s_waitcnt vmcnt(0)
	v_cmp_neq_f16_e32 vcc_lo, v59, v60
	s_and_b32 s20, vcc_lo, exec_lo
	s_delay_alu instid0(SALU_CYCLE_1)
	s_or_b32 s20, s0, s20
.LBB1293_1060:                          ;   in Loop: Header=BB1293_1061 Depth=1
	v_dual_mov_b32 v60, s15 :: v_dual_mov_b32 v59, s14
	s_and_b32 s0, exec_lo, s20
	s_delay_alu instid0(SALU_CYCLE_1) | instskip(NEXT) | instid1(SALU_CYCLE_1)
	s_or_b32 s19, s0, s19
	s_and_not1_b32 exec_lo, exec_lo, s19
	s_cbranch_execz .LBB1293_1064
.LBB1293_1061:                          ; =>This Inner Loop Header: Depth=1
	s_or_b32 s20, s20, exec_lo
	s_cmp_eq_u64 s[12:13], s[14:15]
	s_cbranch_scc0 .LBB1293_1059
; %bb.1062:                             ;   in Loop: Header=BB1293_1061 Depth=1
	s_mov_b64 s[14:15], s[8:9]
                                        ; implicit-def: $vgpr41_vgpr42
                                        ; implicit-def: $vgpr57_vgpr58
	s_branch .LBB1293_1060
.LBB1293_1063:
	v_mov_b32_e32 v41, 0
	v_mov_b32_e32 v42, 0
	s_branch .LBB1293_1066
.LBB1293_1064:
	s_set_inst_prefetch_distance 0x2
	s_or_b32 exec_lo, exec_lo, s19
	v_cmp_gt_i64_e32 vcc_lo, s[8:9], v[59:60]
	s_mov_b32 s0, 0
	s_delay_alu instid0(SALU_CYCLE_1)
	v_mov_b32_e32 v42, s0
	v_cndmask_b32_e64 v41, 0, 1, vcc_lo
.LBB1293_1065:
	s_or_b32 exec_lo, exec_lo, s18
.LBB1293_1066:
	s_delay_alu instid0(SALU_CYCLE_1) | instskip(SKIP_2) | instid1(VALU_DEP_1)
	s_or_b32 exec_lo, exec_lo, s3
	v_add_nc_u32_e32 v57, 15, v64
	s_mov_b32 s3, exec_lo
	v_cmpx_gt_u32_e64 s6, v57
	s_cbranch_execz .LBB1293_1077
; %bb.1067:
	v_cmp_ne_u32_e32 vcc_lo, 1, v63
	s_cbranch_vccnz .LBB1293_1074
; %bb.1068:
	v_mul_lo_u32 v59, v40, s8
	v_mul_lo_u32 v60, v39, s9
	v_mad_u64_u32 v[57:58], null, v39, s8, 0
	v_mul_lo_u32 v61, v38, s8
	v_mul_lo_u32 v62, v37, s9
	v_mad_u64_u32 v[39:40], null, v37, s8, 0
	s_mov_b32 s18, exec_lo
	s_delay_alu instid0(VALU_DEP_4) | instskip(NEXT) | instid1(VALU_DEP_2)
	v_add3_u32 v58, v58, v60, v59
	v_add3_u32 v40, v40, v62, v61
	s_delay_alu instid0(VALU_DEP_2) | instskip(NEXT) | instid1(VALU_DEP_2)
	v_lshlrev_b64 v[57:58], 1, v[57:58]
	v_lshlrev_b64 v[39:40], 1, v[39:40]
	s_delay_alu instid0(VALU_DEP_2) | instskip(NEXT) | instid1(VALU_DEP_3)
	v_add_co_u32 v57, vcc_lo, s10, v57
	v_add_co_ci_u32_e32 v58, vcc_lo, s11, v58, vcc_lo
	s_delay_alu instid0(VALU_DEP_3) | instskip(NEXT) | instid1(VALU_DEP_4)
	v_add_co_u32 v59, vcc_lo, s10, v39
	v_add_co_ci_u32_e32 v60, vcc_lo, s11, v40, vcc_lo
	s_clause 0x1
	global_load_u16 v61, v[57:58], off
	global_load_u16 v62, v[59:60], off
	v_mov_b32_e32 v39, 1
	v_mov_b32_e32 v40, 0
	s_waitcnt vmcnt(0)
	v_cmpx_eq_f16_e32 v61, v62
	s_cbranch_execz .LBB1293_1076
; %bb.1069:
	v_add_co_u32 v39, vcc_lo, v59, 2
	v_add_co_ci_u32_e32 v40, vcc_lo, 0, v60, vcc_lo
	v_add_co_u32 v57, vcc_lo, v57, 2
	v_add_co_ci_u32_e32 v58, vcc_lo, 0, v58, vcc_lo
	s_add_u32 s12, s8, -1
	s_addc_u32 s13, s9, -1
	s_mov_b64 s[14:15], 0
	s_mov_b32 s19, 0
                                        ; implicit-def: $sgpr20
	s_set_inst_prefetch_distance 0x1
	s_branch .LBB1293_1072
	.p2align	6
.LBB1293_1070:                          ;   in Loop: Header=BB1293_1072 Depth=1
	global_load_u16 v59, v[57:58], off
	global_load_u16 v60, v[39:40], off
	v_add_co_u32 v39, vcc_lo, v39, 2
	v_add_co_ci_u32_e32 v40, vcc_lo, 0, v40, vcc_lo
	v_add_co_u32 v57, s0, v57, 2
	s_delay_alu instid0(VALU_DEP_1)
	v_add_co_ci_u32_e64 v58, s0, 0, v58, s0
	s_add_u32 s14, s14, 1
	s_addc_u32 s15, s15, 0
	s_and_not1_b32 s0, s20, exec_lo
	s_waitcnt vmcnt(0)
	v_cmp_neq_f16_e32 vcc_lo, v59, v60
	s_and_b32 s20, vcc_lo, exec_lo
	s_delay_alu instid0(SALU_CYCLE_1)
	s_or_b32 s20, s0, s20
.LBB1293_1071:                          ;   in Loop: Header=BB1293_1072 Depth=1
	v_dual_mov_b32 v60, s15 :: v_dual_mov_b32 v59, s14
	s_and_b32 s0, exec_lo, s20
	s_delay_alu instid0(SALU_CYCLE_1) | instskip(NEXT) | instid1(SALU_CYCLE_1)
	s_or_b32 s19, s0, s19
	s_and_not1_b32 exec_lo, exec_lo, s19
	s_cbranch_execz .LBB1293_1075
.LBB1293_1072:                          ; =>This Inner Loop Header: Depth=1
	s_or_b32 s20, s20, exec_lo
	s_cmp_eq_u64 s[12:13], s[14:15]
	s_cbranch_scc0 .LBB1293_1070
; %bb.1073:                             ;   in Loop: Header=BB1293_1072 Depth=1
	s_mov_b64 s[14:15], s[8:9]
                                        ; implicit-def: $vgpr39_vgpr40
                                        ; implicit-def: $vgpr57_vgpr58
	s_branch .LBB1293_1071
.LBB1293_1074:
	v_mov_b32_e32 v39, 0
	v_mov_b32_e32 v40, 0
	s_branch .LBB1293_1077
.LBB1293_1075:
	s_set_inst_prefetch_distance 0x2
	s_or_b32 exec_lo, exec_lo, s19
	v_cmp_gt_i64_e32 vcc_lo, s[8:9], v[59:60]
	s_mov_b32 s0, 0
	s_delay_alu instid0(SALU_CYCLE_1)
	v_mov_b32_e32 v40, s0
	v_cndmask_b32_e64 v39, 0, 1, vcc_lo
.LBB1293_1076:
	s_or_b32 exec_lo, exec_lo, s18
.LBB1293_1077:
	s_delay_alu instid0(SALU_CYCLE_1) | instskip(SKIP_2) | instid1(VALU_DEP_1)
	s_or_b32 exec_lo, exec_lo, s3
	v_add_nc_u32_e32 v57, 14, v64
	s_mov_b32 s3, exec_lo
	v_cmpx_gt_u32_e64 s6, v57
	s_cbranch_execz .LBB1293_1088
; %bb.1078:
	v_cmp_ne_u32_e32 vcc_lo, 1, v63
	s_cbranch_vccnz .LBB1293_1085
; %bb.1079:
	v_mul_lo_u32 v59, v38, s8
	v_mul_lo_u32 v60, v37, s9
	v_mad_u64_u32 v[57:58], null, v37, s8, 0
	v_mul_lo_u32 v61, v36, s8
	v_mul_lo_u32 v62, v35, s9
	v_mad_u64_u32 v[37:38], null, v35, s8, 0
	s_mov_b32 s18, exec_lo
	s_delay_alu instid0(VALU_DEP_4) | instskip(NEXT) | instid1(VALU_DEP_2)
	v_add3_u32 v58, v58, v60, v59
	v_add3_u32 v38, v38, v62, v61
	s_delay_alu instid0(VALU_DEP_2) | instskip(NEXT) | instid1(VALU_DEP_2)
	v_lshlrev_b64 v[57:58], 1, v[57:58]
	v_lshlrev_b64 v[37:38], 1, v[37:38]
	s_delay_alu instid0(VALU_DEP_2) | instskip(NEXT) | instid1(VALU_DEP_3)
	v_add_co_u32 v57, vcc_lo, s10, v57
	v_add_co_ci_u32_e32 v58, vcc_lo, s11, v58, vcc_lo
	s_delay_alu instid0(VALU_DEP_3) | instskip(NEXT) | instid1(VALU_DEP_4)
	v_add_co_u32 v59, vcc_lo, s10, v37
	v_add_co_ci_u32_e32 v60, vcc_lo, s11, v38, vcc_lo
	s_clause 0x1
	global_load_u16 v61, v[57:58], off
	global_load_u16 v62, v[59:60], off
	v_mov_b32_e32 v37, 1
	v_mov_b32_e32 v38, 0
	s_waitcnt vmcnt(0)
	v_cmpx_eq_f16_e32 v61, v62
	s_cbranch_execz .LBB1293_1087
; %bb.1080:
	v_add_co_u32 v37, vcc_lo, v59, 2
	v_add_co_ci_u32_e32 v38, vcc_lo, 0, v60, vcc_lo
	v_add_co_u32 v57, vcc_lo, v57, 2
	v_add_co_ci_u32_e32 v58, vcc_lo, 0, v58, vcc_lo
	s_add_u32 s12, s8, -1
	s_addc_u32 s13, s9, -1
	s_mov_b64 s[14:15], 0
	s_mov_b32 s19, 0
                                        ; implicit-def: $sgpr20
	s_set_inst_prefetch_distance 0x1
	s_branch .LBB1293_1083
	.p2align	6
.LBB1293_1081:                          ;   in Loop: Header=BB1293_1083 Depth=1
	global_load_u16 v59, v[57:58], off
	global_load_u16 v60, v[37:38], off
	v_add_co_u32 v37, vcc_lo, v37, 2
	v_add_co_ci_u32_e32 v38, vcc_lo, 0, v38, vcc_lo
	v_add_co_u32 v57, s0, v57, 2
	s_delay_alu instid0(VALU_DEP_1)
	v_add_co_ci_u32_e64 v58, s0, 0, v58, s0
	s_add_u32 s14, s14, 1
	s_addc_u32 s15, s15, 0
	s_and_not1_b32 s0, s20, exec_lo
	s_waitcnt vmcnt(0)
	v_cmp_neq_f16_e32 vcc_lo, v59, v60
	s_and_b32 s20, vcc_lo, exec_lo
	s_delay_alu instid0(SALU_CYCLE_1)
	s_or_b32 s20, s0, s20
.LBB1293_1082:                          ;   in Loop: Header=BB1293_1083 Depth=1
	v_dual_mov_b32 v60, s15 :: v_dual_mov_b32 v59, s14
	s_and_b32 s0, exec_lo, s20
	s_delay_alu instid0(SALU_CYCLE_1) | instskip(NEXT) | instid1(SALU_CYCLE_1)
	s_or_b32 s19, s0, s19
	s_and_not1_b32 exec_lo, exec_lo, s19
	s_cbranch_execz .LBB1293_1086
.LBB1293_1083:                          ; =>This Inner Loop Header: Depth=1
	s_or_b32 s20, s20, exec_lo
	s_cmp_eq_u64 s[12:13], s[14:15]
	s_cbranch_scc0 .LBB1293_1081
; %bb.1084:                             ;   in Loop: Header=BB1293_1083 Depth=1
	s_mov_b64 s[14:15], s[8:9]
                                        ; implicit-def: $vgpr37_vgpr38
                                        ; implicit-def: $vgpr57_vgpr58
	s_branch .LBB1293_1082
.LBB1293_1085:
	v_mov_b32_e32 v37, 0
	v_mov_b32_e32 v38, 0
	s_branch .LBB1293_1088
.LBB1293_1086:
	s_set_inst_prefetch_distance 0x2
	s_or_b32 exec_lo, exec_lo, s19
	v_cmp_gt_i64_e32 vcc_lo, s[8:9], v[59:60]
	s_mov_b32 s0, 0
	s_delay_alu instid0(SALU_CYCLE_1)
	v_mov_b32_e32 v38, s0
	v_cndmask_b32_e64 v37, 0, 1, vcc_lo
.LBB1293_1087:
	s_or_b32 exec_lo, exec_lo, s18
.LBB1293_1088:
	s_delay_alu instid0(SALU_CYCLE_1) | instskip(SKIP_2) | instid1(VALU_DEP_1)
	s_or_b32 exec_lo, exec_lo, s3
	v_add_nc_u32_e32 v57, 13, v64
	s_mov_b32 s3, exec_lo
	v_cmpx_gt_u32_e64 s6, v57
	s_cbranch_execz .LBB1293_1099
; %bb.1089:
	v_cmp_ne_u32_e32 vcc_lo, 1, v63
	s_cbranch_vccnz .LBB1293_1096
; %bb.1090:
	v_mul_lo_u32 v59, v36, s8
	v_mul_lo_u32 v60, v35, s9
	v_mad_u64_u32 v[57:58], null, v35, s8, 0
	v_mul_lo_u32 v61, v34, s8
	v_mul_lo_u32 v62, v33, s9
	v_mad_u64_u32 v[35:36], null, v33, s8, 0
	s_mov_b32 s18, exec_lo
	s_delay_alu instid0(VALU_DEP_4) | instskip(NEXT) | instid1(VALU_DEP_2)
	v_add3_u32 v58, v58, v60, v59
	v_add3_u32 v36, v36, v62, v61
	s_delay_alu instid0(VALU_DEP_2) | instskip(NEXT) | instid1(VALU_DEP_2)
	v_lshlrev_b64 v[57:58], 1, v[57:58]
	v_lshlrev_b64 v[35:36], 1, v[35:36]
	s_delay_alu instid0(VALU_DEP_2) | instskip(NEXT) | instid1(VALU_DEP_3)
	v_add_co_u32 v57, vcc_lo, s10, v57
	v_add_co_ci_u32_e32 v58, vcc_lo, s11, v58, vcc_lo
	s_delay_alu instid0(VALU_DEP_3) | instskip(NEXT) | instid1(VALU_DEP_4)
	v_add_co_u32 v59, vcc_lo, s10, v35
	v_add_co_ci_u32_e32 v60, vcc_lo, s11, v36, vcc_lo
	s_clause 0x1
	global_load_u16 v61, v[57:58], off
	global_load_u16 v62, v[59:60], off
	v_mov_b32_e32 v35, 1
	v_mov_b32_e32 v36, 0
	s_waitcnt vmcnt(0)
	v_cmpx_eq_f16_e32 v61, v62
	s_cbranch_execz .LBB1293_1098
; %bb.1091:
	v_add_co_u32 v35, vcc_lo, v59, 2
	v_add_co_ci_u32_e32 v36, vcc_lo, 0, v60, vcc_lo
	v_add_co_u32 v57, vcc_lo, v57, 2
	v_add_co_ci_u32_e32 v58, vcc_lo, 0, v58, vcc_lo
	s_add_u32 s12, s8, -1
	s_addc_u32 s13, s9, -1
	s_mov_b64 s[14:15], 0
	s_mov_b32 s19, 0
                                        ; implicit-def: $sgpr20
	s_set_inst_prefetch_distance 0x1
	s_branch .LBB1293_1094
	.p2align	6
.LBB1293_1092:                          ;   in Loop: Header=BB1293_1094 Depth=1
	global_load_u16 v59, v[57:58], off
	global_load_u16 v60, v[35:36], off
	v_add_co_u32 v35, vcc_lo, v35, 2
	v_add_co_ci_u32_e32 v36, vcc_lo, 0, v36, vcc_lo
	v_add_co_u32 v57, s0, v57, 2
	s_delay_alu instid0(VALU_DEP_1)
	v_add_co_ci_u32_e64 v58, s0, 0, v58, s0
	s_add_u32 s14, s14, 1
	s_addc_u32 s15, s15, 0
	s_and_not1_b32 s0, s20, exec_lo
	s_waitcnt vmcnt(0)
	v_cmp_neq_f16_e32 vcc_lo, v59, v60
	s_and_b32 s20, vcc_lo, exec_lo
	s_delay_alu instid0(SALU_CYCLE_1)
	s_or_b32 s20, s0, s20
.LBB1293_1093:                          ;   in Loop: Header=BB1293_1094 Depth=1
	v_dual_mov_b32 v60, s15 :: v_dual_mov_b32 v59, s14
	s_and_b32 s0, exec_lo, s20
	s_delay_alu instid0(SALU_CYCLE_1) | instskip(NEXT) | instid1(SALU_CYCLE_1)
	s_or_b32 s19, s0, s19
	s_and_not1_b32 exec_lo, exec_lo, s19
	s_cbranch_execz .LBB1293_1097
.LBB1293_1094:                          ; =>This Inner Loop Header: Depth=1
	s_or_b32 s20, s20, exec_lo
	s_cmp_eq_u64 s[12:13], s[14:15]
	s_cbranch_scc0 .LBB1293_1092
; %bb.1095:                             ;   in Loop: Header=BB1293_1094 Depth=1
	s_mov_b64 s[14:15], s[8:9]
                                        ; implicit-def: $vgpr35_vgpr36
                                        ; implicit-def: $vgpr57_vgpr58
	s_branch .LBB1293_1093
.LBB1293_1096:
	v_mov_b32_e32 v35, 0
	v_mov_b32_e32 v36, 0
	s_branch .LBB1293_1099
.LBB1293_1097:
	s_set_inst_prefetch_distance 0x2
	s_or_b32 exec_lo, exec_lo, s19
	v_cmp_gt_i64_e32 vcc_lo, s[8:9], v[59:60]
	s_mov_b32 s0, 0
	s_delay_alu instid0(SALU_CYCLE_1)
	v_mov_b32_e32 v36, s0
	v_cndmask_b32_e64 v35, 0, 1, vcc_lo
.LBB1293_1098:
	s_or_b32 exec_lo, exec_lo, s18
.LBB1293_1099:
	s_delay_alu instid0(SALU_CYCLE_1) | instskip(SKIP_2) | instid1(VALU_DEP_1)
	s_or_b32 exec_lo, exec_lo, s3
	v_add_nc_u32_e32 v57, 12, v64
	s_mov_b32 s3, exec_lo
	v_cmpx_gt_u32_e64 s6, v57
	s_cbranch_execz .LBB1293_1110
; %bb.1100:
	v_cmp_ne_u32_e32 vcc_lo, 1, v63
	s_cbranch_vccnz .LBB1293_1107
; %bb.1101:
	v_mul_lo_u32 v59, v34, s8
	v_mul_lo_u32 v60, v33, s9
	v_mad_u64_u32 v[57:58], null, v33, s8, 0
	v_mul_lo_u32 v61, v32, s8
	v_mul_lo_u32 v62, v31, s9
	v_mad_u64_u32 v[33:34], null, v31, s8, 0
	s_mov_b32 s18, exec_lo
	s_delay_alu instid0(VALU_DEP_4) | instskip(NEXT) | instid1(VALU_DEP_2)
	v_add3_u32 v58, v58, v60, v59
	v_add3_u32 v34, v34, v62, v61
	s_delay_alu instid0(VALU_DEP_2) | instskip(NEXT) | instid1(VALU_DEP_2)
	v_lshlrev_b64 v[57:58], 1, v[57:58]
	v_lshlrev_b64 v[33:34], 1, v[33:34]
	s_delay_alu instid0(VALU_DEP_2) | instskip(NEXT) | instid1(VALU_DEP_3)
	v_add_co_u32 v57, vcc_lo, s10, v57
	v_add_co_ci_u32_e32 v58, vcc_lo, s11, v58, vcc_lo
	s_delay_alu instid0(VALU_DEP_3) | instskip(NEXT) | instid1(VALU_DEP_4)
	v_add_co_u32 v59, vcc_lo, s10, v33
	v_add_co_ci_u32_e32 v60, vcc_lo, s11, v34, vcc_lo
	s_clause 0x1
	global_load_u16 v61, v[57:58], off
	global_load_u16 v62, v[59:60], off
	v_mov_b32_e32 v33, 1
	v_mov_b32_e32 v34, 0
	s_waitcnt vmcnt(0)
	v_cmpx_eq_f16_e32 v61, v62
	s_cbranch_execz .LBB1293_1109
; %bb.1102:
	v_add_co_u32 v33, vcc_lo, v59, 2
	v_add_co_ci_u32_e32 v34, vcc_lo, 0, v60, vcc_lo
	v_add_co_u32 v57, vcc_lo, v57, 2
	v_add_co_ci_u32_e32 v58, vcc_lo, 0, v58, vcc_lo
	s_add_u32 s12, s8, -1
	s_addc_u32 s13, s9, -1
	s_mov_b64 s[14:15], 0
	s_mov_b32 s19, 0
                                        ; implicit-def: $sgpr20
	s_set_inst_prefetch_distance 0x1
	s_branch .LBB1293_1105
	.p2align	6
.LBB1293_1103:                          ;   in Loop: Header=BB1293_1105 Depth=1
	global_load_u16 v59, v[57:58], off
	global_load_u16 v60, v[33:34], off
	v_add_co_u32 v33, vcc_lo, v33, 2
	v_add_co_ci_u32_e32 v34, vcc_lo, 0, v34, vcc_lo
	v_add_co_u32 v57, s0, v57, 2
	s_delay_alu instid0(VALU_DEP_1)
	v_add_co_ci_u32_e64 v58, s0, 0, v58, s0
	s_add_u32 s14, s14, 1
	s_addc_u32 s15, s15, 0
	s_and_not1_b32 s0, s20, exec_lo
	s_waitcnt vmcnt(0)
	v_cmp_neq_f16_e32 vcc_lo, v59, v60
	s_and_b32 s20, vcc_lo, exec_lo
	s_delay_alu instid0(SALU_CYCLE_1)
	s_or_b32 s20, s0, s20
.LBB1293_1104:                          ;   in Loop: Header=BB1293_1105 Depth=1
	v_dual_mov_b32 v60, s15 :: v_dual_mov_b32 v59, s14
	s_and_b32 s0, exec_lo, s20
	s_delay_alu instid0(SALU_CYCLE_1) | instskip(NEXT) | instid1(SALU_CYCLE_1)
	s_or_b32 s19, s0, s19
	s_and_not1_b32 exec_lo, exec_lo, s19
	s_cbranch_execz .LBB1293_1108
.LBB1293_1105:                          ; =>This Inner Loop Header: Depth=1
	s_or_b32 s20, s20, exec_lo
	s_cmp_eq_u64 s[12:13], s[14:15]
	s_cbranch_scc0 .LBB1293_1103
; %bb.1106:                             ;   in Loop: Header=BB1293_1105 Depth=1
	s_mov_b64 s[14:15], s[8:9]
                                        ; implicit-def: $vgpr33_vgpr34
                                        ; implicit-def: $vgpr57_vgpr58
	s_branch .LBB1293_1104
.LBB1293_1107:
	v_mov_b32_e32 v33, 0
	v_mov_b32_e32 v34, 0
	s_branch .LBB1293_1110
.LBB1293_1108:
	s_set_inst_prefetch_distance 0x2
	s_or_b32 exec_lo, exec_lo, s19
	v_cmp_gt_i64_e32 vcc_lo, s[8:9], v[59:60]
	s_mov_b32 s0, 0
	s_delay_alu instid0(SALU_CYCLE_1)
	v_mov_b32_e32 v34, s0
	v_cndmask_b32_e64 v33, 0, 1, vcc_lo
.LBB1293_1109:
	s_or_b32 exec_lo, exec_lo, s18
.LBB1293_1110:
	s_delay_alu instid0(SALU_CYCLE_1) | instskip(SKIP_2) | instid1(VALU_DEP_1)
	s_or_b32 exec_lo, exec_lo, s3
	v_add_nc_u32_e32 v57, 11, v64
	s_mov_b32 s3, exec_lo
	v_cmpx_gt_u32_e64 s6, v57
	s_cbranch_execz .LBB1293_1121
; %bb.1111:
	v_cmp_ne_u32_e32 vcc_lo, 1, v63
	s_cbranch_vccnz .LBB1293_1118
; %bb.1112:
	v_mul_lo_u32 v59, v32, s8
	v_mul_lo_u32 v60, v31, s9
	v_mad_u64_u32 v[57:58], null, v31, s8, 0
	v_mul_lo_u32 v61, v30, s8
	v_mul_lo_u32 v62, v29, s9
	v_mad_u64_u32 v[31:32], null, v29, s8, 0
	s_mov_b32 s18, exec_lo
	s_delay_alu instid0(VALU_DEP_4) | instskip(NEXT) | instid1(VALU_DEP_2)
	v_add3_u32 v58, v58, v60, v59
	v_add3_u32 v32, v32, v62, v61
	s_delay_alu instid0(VALU_DEP_2) | instskip(NEXT) | instid1(VALU_DEP_2)
	v_lshlrev_b64 v[57:58], 1, v[57:58]
	v_lshlrev_b64 v[31:32], 1, v[31:32]
	s_delay_alu instid0(VALU_DEP_2) | instskip(NEXT) | instid1(VALU_DEP_3)
	v_add_co_u32 v57, vcc_lo, s10, v57
	v_add_co_ci_u32_e32 v58, vcc_lo, s11, v58, vcc_lo
	s_delay_alu instid0(VALU_DEP_3) | instskip(NEXT) | instid1(VALU_DEP_4)
	v_add_co_u32 v59, vcc_lo, s10, v31
	v_add_co_ci_u32_e32 v60, vcc_lo, s11, v32, vcc_lo
	s_clause 0x1
	global_load_u16 v61, v[57:58], off
	global_load_u16 v62, v[59:60], off
	v_mov_b32_e32 v31, 1
	v_mov_b32_e32 v32, 0
	s_waitcnt vmcnt(0)
	v_cmpx_eq_f16_e32 v61, v62
	s_cbranch_execz .LBB1293_1120
; %bb.1113:
	v_add_co_u32 v31, vcc_lo, v59, 2
	v_add_co_ci_u32_e32 v32, vcc_lo, 0, v60, vcc_lo
	v_add_co_u32 v57, vcc_lo, v57, 2
	v_add_co_ci_u32_e32 v58, vcc_lo, 0, v58, vcc_lo
	s_add_u32 s12, s8, -1
	s_addc_u32 s13, s9, -1
	s_mov_b64 s[14:15], 0
	s_mov_b32 s19, 0
                                        ; implicit-def: $sgpr20
	s_set_inst_prefetch_distance 0x1
	s_branch .LBB1293_1116
	.p2align	6
.LBB1293_1114:                          ;   in Loop: Header=BB1293_1116 Depth=1
	global_load_u16 v59, v[57:58], off
	global_load_u16 v60, v[31:32], off
	v_add_co_u32 v31, vcc_lo, v31, 2
	v_add_co_ci_u32_e32 v32, vcc_lo, 0, v32, vcc_lo
	v_add_co_u32 v57, s0, v57, 2
	s_delay_alu instid0(VALU_DEP_1)
	v_add_co_ci_u32_e64 v58, s0, 0, v58, s0
	s_add_u32 s14, s14, 1
	s_addc_u32 s15, s15, 0
	s_and_not1_b32 s0, s20, exec_lo
	s_waitcnt vmcnt(0)
	v_cmp_neq_f16_e32 vcc_lo, v59, v60
	s_and_b32 s20, vcc_lo, exec_lo
	s_delay_alu instid0(SALU_CYCLE_1)
	s_or_b32 s20, s0, s20
.LBB1293_1115:                          ;   in Loop: Header=BB1293_1116 Depth=1
	v_dual_mov_b32 v60, s15 :: v_dual_mov_b32 v59, s14
	s_and_b32 s0, exec_lo, s20
	s_delay_alu instid0(SALU_CYCLE_1) | instskip(NEXT) | instid1(SALU_CYCLE_1)
	s_or_b32 s19, s0, s19
	s_and_not1_b32 exec_lo, exec_lo, s19
	s_cbranch_execz .LBB1293_1119
.LBB1293_1116:                          ; =>This Inner Loop Header: Depth=1
	s_or_b32 s20, s20, exec_lo
	s_cmp_eq_u64 s[12:13], s[14:15]
	s_cbranch_scc0 .LBB1293_1114
; %bb.1117:                             ;   in Loop: Header=BB1293_1116 Depth=1
	s_mov_b64 s[14:15], s[8:9]
                                        ; implicit-def: $vgpr31_vgpr32
                                        ; implicit-def: $vgpr57_vgpr58
	s_branch .LBB1293_1115
.LBB1293_1118:
	v_mov_b32_e32 v31, 0
	v_mov_b32_e32 v32, 0
	s_branch .LBB1293_1121
.LBB1293_1119:
	s_set_inst_prefetch_distance 0x2
	s_or_b32 exec_lo, exec_lo, s19
	v_cmp_gt_i64_e32 vcc_lo, s[8:9], v[59:60]
	s_mov_b32 s0, 0
	s_delay_alu instid0(SALU_CYCLE_1)
	v_mov_b32_e32 v32, s0
	v_cndmask_b32_e64 v31, 0, 1, vcc_lo
.LBB1293_1120:
	s_or_b32 exec_lo, exec_lo, s18
.LBB1293_1121:
	s_delay_alu instid0(SALU_CYCLE_1) | instskip(SKIP_2) | instid1(VALU_DEP_1)
	s_or_b32 exec_lo, exec_lo, s3
	v_add_nc_u32_e32 v57, 10, v64
	s_mov_b32 s3, exec_lo
	v_cmpx_gt_u32_e64 s6, v57
	s_cbranch_execz .LBB1293_1132
; %bb.1122:
	v_cmp_ne_u32_e32 vcc_lo, 1, v63
	s_cbranch_vccnz .LBB1293_1129
; %bb.1123:
	v_mul_lo_u32 v59, v30, s8
	v_mul_lo_u32 v60, v29, s9
	v_mad_u64_u32 v[57:58], null, v29, s8, 0
	v_mul_lo_u32 v61, v28, s8
	v_mul_lo_u32 v62, v27, s9
	v_mad_u64_u32 v[29:30], null, v27, s8, 0
	s_mov_b32 s18, exec_lo
	s_delay_alu instid0(VALU_DEP_4) | instskip(NEXT) | instid1(VALU_DEP_2)
	v_add3_u32 v58, v58, v60, v59
	v_add3_u32 v30, v30, v62, v61
	s_delay_alu instid0(VALU_DEP_2) | instskip(NEXT) | instid1(VALU_DEP_2)
	v_lshlrev_b64 v[57:58], 1, v[57:58]
	v_lshlrev_b64 v[29:30], 1, v[29:30]
	s_delay_alu instid0(VALU_DEP_2) | instskip(NEXT) | instid1(VALU_DEP_3)
	v_add_co_u32 v57, vcc_lo, s10, v57
	v_add_co_ci_u32_e32 v58, vcc_lo, s11, v58, vcc_lo
	s_delay_alu instid0(VALU_DEP_3) | instskip(NEXT) | instid1(VALU_DEP_4)
	v_add_co_u32 v59, vcc_lo, s10, v29
	v_add_co_ci_u32_e32 v60, vcc_lo, s11, v30, vcc_lo
	s_clause 0x1
	global_load_u16 v61, v[57:58], off
	global_load_u16 v62, v[59:60], off
	v_mov_b32_e32 v29, 1
	v_mov_b32_e32 v30, 0
	s_waitcnt vmcnt(0)
	v_cmpx_eq_f16_e32 v61, v62
	s_cbranch_execz .LBB1293_1131
; %bb.1124:
	v_add_co_u32 v29, vcc_lo, v59, 2
	v_add_co_ci_u32_e32 v30, vcc_lo, 0, v60, vcc_lo
	v_add_co_u32 v57, vcc_lo, v57, 2
	v_add_co_ci_u32_e32 v58, vcc_lo, 0, v58, vcc_lo
	s_add_u32 s12, s8, -1
	s_addc_u32 s13, s9, -1
	s_mov_b64 s[14:15], 0
	s_mov_b32 s19, 0
                                        ; implicit-def: $sgpr20
	s_set_inst_prefetch_distance 0x1
	s_branch .LBB1293_1127
	.p2align	6
.LBB1293_1125:                          ;   in Loop: Header=BB1293_1127 Depth=1
	global_load_u16 v59, v[57:58], off
	global_load_u16 v60, v[29:30], off
	v_add_co_u32 v29, vcc_lo, v29, 2
	v_add_co_ci_u32_e32 v30, vcc_lo, 0, v30, vcc_lo
	v_add_co_u32 v57, s0, v57, 2
	s_delay_alu instid0(VALU_DEP_1)
	v_add_co_ci_u32_e64 v58, s0, 0, v58, s0
	s_add_u32 s14, s14, 1
	s_addc_u32 s15, s15, 0
	s_and_not1_b32 s0, s20, exec_lo
	s_waitcnt vmcnt(0)
	v_cmp_neq_f16_e32 vcc_lo, v59, v60
	s_and_b32 s20, vcc_lo, exec_lo
	s_delay_alu instid0(SALU_CYCLE_1)
	s_or_b32 s20, s0, s20
.LBB1293_1126:                          ;   in Loop: Header=BB1293_1127 Depth=1
	v_dual_mov_b32 v60, s15 :: v_dual_mov_b32 v59, s14
	s_and_b32 s0, exec_lo, s20
	s_delay_alu instid0(SALU_CYCLE_1) | instskip(NEXT) | instid1(SALU_CYCLE_1)
	s_or_b32 s19, s0, s19
	s_and_not1_b32 exec_lo, exec_lo, s19
	s_cbranch_execz .LBB1293_1130
.LBB1293_1127:                          ; =>This Inner Loop Header: Depth=1
	s_or_b32 s20, s20, exec_lo
	s_cmp_eq_u64 s[12:13], s[14:15]
	s_cbranch_scc0 .LBB1293_1125
; %bb.1128:                             ;   in Loop: Header=BB1293_1127 Depth=1
	s_mov_b64 s[14:15], s[8:9]
                                        ; implicit-def: $vgpr29_vgpr30
                                        ; implicit-def: $vgpr57_vgpr58
	s_branch .LBB1293_1126
.LBB1293_1129:
	v_mov_b32_e32 v29, 0
	v_mov_b32_e32 v30, 0
	s_branch .LBB1293_1132
.LBB1293_1130:
	s_set_inst_prefetch_distance 0x2
	s_or_b32 exec_lo, exec_lo, s19
	v_cmp_gt_i64_e32 vcc_lo, s[8:9], v[59:60]
	s_mov_b32 s0, 0
	s_delay_alu instid0(SALU_CYCLE_1)
	v_mov_b32_e32 v30, s0
	v_cndmask_b32_e64 v29, 0, 1, vcc_lo
.LBB1293_1131:
	s_or_b32 exec_lo, exec_lo, s18
.LBB1293_1132:
	s_delay_alu instid0(SALU_CYCLE_1) | instskip(SKIP_2) | instid1(VALU_DEP_1)
	s_or_b32 exec_lo, exec_lo, s3
	v_add_nc_u32_e32 v57, 9, v64
	s_mov_b32 s3, exec_lo
	v_cmpx_gt_u32_e64 s6, v57
	s_cbranch_execz .LBB1293_1143
; %bb.1133:
	v_cmp_ne_u32_e32 vcc_lo, 1, v63
	s_cbranch_vccnz .LBB1293_1140
; %bb.1134:
	v_mul_lo_u32 v59, v28, s8
	v_mul_lo_u32 v60, v27, s9
	v_mad_u64_u32 v[57:58], null, v27, s8, 0
	v_mul_lo_u32 v61, v26, s8
	v_mul_lo_u32 v62, v25, s9
	v_mad_u64_u32 v[27:28], null, v25, s8, 0
	s_mov_b32 s18, exec_lo
	s_delay_alu instid0(VALU_DEP_4) | instskip(NEXT) | instid1(VALU_DEP_2)
	v_add3_u32 v58, v58, v60, v59
	v_add3_u32 v28, v28, v62, v61
	s_delay_alu instid0(VALU_DEP_2) | instskip(NEXT) | instid1(VALU_DEP_2)
	v_lshlrev_b64 v[57:58], 1, v[57:58]
	v_lshlrev_b64 v[27:28], 1, v[27:28]
	s_delay_alu instid0(VALU_DEP_2) | instskip(NEXT) | instid1(VALU_DEP_3)
	v_add_co_u32 v57, vcc_lo, s10, v57
	v_add_co_ci_u32_e32 v58, vcc_lo, s11, v58, vcc_lo
	s_delay_alu instid0(VALU_DEP_3) | instskip(NEXT) | instid1(VALU_DEP_4)
	v_add_co_u32 v59, vcc_lo, s10, v27
	v_add_co_ci_u32_e32 v60, vcc_lo, s11, v28, vcc_lo
	s_clause 0x1
	global_load_u16 v61, v[57:58], off
	global_load_u16 v62, v[59:60], off
	v_mov_b32_e32 v27, 1
	v_mov_b32_e32 v28, 0
	s_waitcnt vmcnt(0)
	v_cmpx_eq_f16_e32 v61, v62
	s_cbranch_execz .LBB1293_1142
; %bb.1135:
	v_add_co_u32 v27, vcc_lo, v59, 2
	v_add_co_ci_u32_e32 v28, vcc_lo, 0, v60, vcc_lo
	v_add_co_u32 v57, vcc_lo, v57, 2
	v_add_co_ci_u32_e32 v58, vcc_lo, 0, v58, vcc_lo
	s_add_u32 s12, s8, -1
	s_addc_u32 s13, s9, -1
	s_mov_b64 s[14:15], 0
	s_mov_b32 s19, 0
                                        ; implicit-def: $sgpr20
	s_set_inst_prefetch_distance 0x1
	s_branch .LBB1293_1138
	.p2align	6
.LBB1293_1136:                          ;   in Loop: Header=BB1293_1138 Depth=1
	global_load_u16 v59, v[57:58], off
	global_load_u16 v60, v[27:28], off
	v_add_co_u32 v27, vcc_lo, v27, 2
	v_add_co_ci_u32_e32 v28, vcc_lo, 0, v28, vcc_lo
	v_add_co_u32 v57, s0, v57, 2
	s_delay_alu instid0(VALU_DEP_1)
	v_add_co_ci_u32_e64 v58, s0, 0, v58, s0
	s_add_u32 s14, s14, 1
	s_addc_u32 s15, s15, 0
	s_and_not1_b32 s0, s20, exec_lo
	s_waitcnt vmcnt(0)
	v_cmp_neq_f16_e32 vcc_lo, v59, v60
	s_and_b32 s20, vcc_lo, exec_lo
	s_delay_alu instid0(SALU_CYCLE_1)
	s_or_b32 s20, s0, s20
.LBB1293_1137:                          ;   in Loop: Header=BB1293_1138 Depth=1
	v_dual_mov_b32 v60, s15 :: v_dual_mov_b32 v59, s14
	s_and_b32 s0, exec_lo, s20
	s_delay_alu instid0(SALU_CYCLE_1) | instskip(NEXT) | instid1(SALU_CYCLE_1)
	s_or_b32 s19, s0, s19
	s_and_not1_b32 exec_lo, exec_lo, s19
	s_cbranch_execz .LBB1293_1141
.LBB1293_1138:                          ; =>This Inner Loop Header: Depth=1
	s_or_b32 s20, s20, exec_lo
	s_cmp_eq_u64 s[12:13], s[14:15]
	s_cbranch_scc0 .LBB1293_1136
; %bb.1139:                             ;   in Loop: Header=BB1293_1138 Depth=1
	s_mov_b64 s[14:15], s[8:9]
                                        ; implicit-def: $vgpr27_vgpr28
                                        ; implicit-def: $vgpr57_vgpr58
	s_branch .LBB1293_1137
.LBB1293_1140:
	v_mov_b32_e32 v27, 0
	v_mov_b32_e32 v28, 0
	s_branch .LBB1293_1143
.LBB1293_1141:
	s_set_inst_prefetch_distance 0x2
	s_or_b32 exec_lo, exec_lo, s19
	v_cmp_gt_i64_e32 vcc_lo, s[8:9], v[59:60]
	s_mov_b32 s0, 0
	s_delay_alu instid0(SALU_CYCLE_1)
	v_mov_b32_e32 v28, s0
	v_cndmask_b32_e64 v27, 0, 1, vcc_lo
.LBB1293_1142:
	s_or_b32 exec_lo, exec_lo, s18
.LBB1293_1143:
	s_delay_alu instid0(SALU_CYCLE_1) | instskip(SKIP_2) | instid1(VALU_DEP_1)
	s_or_b32 exec_lo, exec_lo, s3
	v_add_nc_u32_e32 v57, 8, v64
	s_mov_b32 s3, exec_lo
	v_cmpx_gt_u32_e64 s6, v57
	s_cbranch_execz .LBB1293_1154
; %bb.1144:
	v_cmp_ne_u32_e32 vcc_lo, 1, v63
	s_cbranch_vccnz .LBB1293_1151
; %bb.1145:
	v_mul_lo_u32 v59, v26, s8
	v_mul_lo_u32 v60, v25, s9
	v_mad_u64_u32 v[57:58], null, v25, s8, 0
	v_mul_lo_u32 v61, v24, s8
	v_mul_lo_u32 v62, v23, s9
	v_mad_u64_u32 v[25:26], null, v23, s8, 0
	s_mov_b32 s18, exec_lo
	s_delay_alu instid0(VALU_DEP_4) | instskip(NEXT) | instid1(VALU_DEP_2)
	v_add3_u32 v58, v58, v60, v59
	v_add3_u32 v26, v26, v62, v61
	s_delay_alu instid0(VALU_DEP_2) | instskip(NEXT) | instid1(VALU_DEP_2)
	v_lshlrev_b64 v[57:58], 1, v[57:58]
	v_lshlrev_b64 v[25:26], 1, v[25:26]
	s_delay_alu instid0(VALU_DEP_2) | instskip(NEXT) | instid1(VALU_DEP_3)
	v_add_co_u32 v57, vcc_lo, s10, v57
	v_add_co_ci_u32_e32 v58, vcc_lo, s11, v58, vcc_lo
	s_delay_alu instid0(VALU_DEP_3) | instskip(NEXT) | instid1(VALU_DEP_4)
	v_add_co_u32 v59, vcc_lo, s10, v25
	v_add_co_ci_u32_e32 v60, vcc_lo, s11, v26, vcc_lo
	s_clause 0x1
	global_load_u16 v61, v[57:58], off
	global_load_u16 v62, v[59:60], off
	v_mov_b32_e32 v25, 1
	v_mov_b32_e32 v26, 0
	s_waitcnt vmcnt(0)
	v_cmpx_eq_f16_e32 v61, v62
	s_cbranch_execz .LBB1293_1153
; %bb.1146:
	v_add_co_u32 v25, vcc_lo, v59, 2
	v_add_co_ci_u32_e32 v26, vcc_lo, 0, v60, vcc_lo
	v_add_co_u32 v57, vcc_lo, v57, 2
	v_add_co_ci_u32_e32 v58, vcc_lo, 0, v58, vcc_lo
	s_add_u32 s12, s8, -1
	s_addc_u32 s13, s9, -1
	s_mov_b64 s[14:15], 0
	s_mov_b32 s19, 0
                                        ; implicit-def: $sgpr20
	s_set_inst_prefetch_distance 0x1
	s_branch .LBB1293_1149
	.p2align	6
.LBB1293_1147:                          ;   in Loop: Header=BB1293_1149 Depth=1
	global_load_u16 v59, v[57:58], off
	global_load_u16 v60, v[25:26], off
	v_add_co_u32 v25, vcc_lo, v25, 2
	v_add_co_ci_u32_e32 v26, vcc_lo, 0, v26, vcc_lo
	v_add_co_u32 v57, s0, v57, 2
	s_delay_alu instid0(VALU_DEP_1)
	v_add_co_ci_u32_e64 v58, s0, 0, v58, s0
	s_add_u32 s14, s14, 1
	s_addc_u32 s15, s15, 0
	s_and_not1_b32 s0, s20, exec_lo
	s_waitcnt vmcnt(0)
	v_cmp_neq_f16_e32 vcc_lo, v59, v60
	s_and_b32 s20, vcc_lo, exec_lo
	s_delay_alu instid0(SALU_CYCLE_1)
	s_or_b32 s20, s0, s20
.LBB1293_1148:                          ;   in Loop: Header=BB1293_1149 Depth=1
	v_dual_mov_b32 v60, s15 :: v_dual_mov_b32 v59, s14
	s_and_b32 s0, exec_lo, s20
	s_delay_alu instid0(SALU_CYCLE_1) | instskip(NEXT) | instid1(SALU_CYCLE_1)
	s_or_b32 s19, s0, s19
	s_and_not1_b32 exec_lo, exec_lo, s19
	s_cbranch_execz .LBB1293_1152
.LBB1293_1149:                          ; =>This Inner Loop Header: Depth=1
	s_or_b32 s20, s20, exec_lo
	s_cmp_eq_u64 s[12:13], s[14:15]
	s_cbranch_scc0 .LBB1293_1147
; %bb.1150:                             ;   in Loop: Header=BB1293_1149 Depth=1
	s_mov_b64 s[14:15], s[8:9]
                                        ; implicit-def: $vgpr25_vgpr26
                                        ; implicit-def: $vgpr57_vgpr58
	s_branch .LBB1293_1148
.LBB1293_1151:
	v_mov_b32_e32 v25, 0
	v_mov_b32_e32 v26, 0
	s_branch .LBB1293_1154
.LBB1293_1152:
	s_set_inst_prefetch_distance 0x2
	s_or_b32 exec_lo, exec_lo, s19
	v_cmp_gt_i64_e32 vcc_lo, s[8:9], v[59:60]
	s_mov_b32 s0, 0
	s_delay_alu instid0(SALU_CYCLE_1)
	v_mov_b32_e32 v26, s0
	v_cndmask_b32_e64 v25, 0, 1, vcc_lo
.LBB1293_1153:
	s_or_b32 exec_lo, exec_lo, s18
.LBB1293_1154:
	s_delay_alu instid0(SALU_CYCLE_1) | instskip(SKIP_2) | instid1(VALU_DEP_1)
	s_or_b32 exec_lo, exec_lo, s3
	v_add_nc_u32_e32 v57, 7, v64
	s_mov_b32 s3, exec_lo
	v_cmpx_gt_u32_e64 s6, v57
	s_cbranch_execz .LBB1293_1165
; %bb.1155:
	v_cmp_ne_u32_e32 vcc_lo, 1, v63
	s_cbranch_vccnz .LBB1293_1162
; %bb.1156:
	v_mul_lo_u32 v59, v24, s8
	v_mul_lo_u32 v60, v23, s9
	v_mad_u64_u32 v[57:58], null, v23, s8, 0
	v_mul_lo_u32 v61, v22, s8
	v_mul_lo_u32 v62, v21, s9
	v_mad_u64_u32 v[23:24], null, v21, s8, 0
	s_mov_b32 s18, exec_lo
	s_delay_alu instid0(VALU_DEP_4) | instskip(NEXT) | instid1(VALU_DEP_2)
	v_add3_u32 v58, v58, v60, v59
	v_add3_u32 v24, v24, v62, v61
	s_delay_alu instid0(VALU_DEP_2) | instskip(NEXT) | instid1(VALU_DEP_2)
	v_lshlrev_b64 v[57:58], 1, v[57:58]
	v_lshlrev_b64 v[23:24], 1, v[23:24]
	s_delay_alu instid0(VALU_DEP_2) | instskip(NEXT) | instid1(VALU_DEP_3)
	v_add_co_u32 v57, vcc_lo, s10, v57
	v_add_co_ci_u32_e32 v58, vcc_lo, s11, v58, vcc_lo
	s_delay_alu instid0(VALU_DEP_3) | instskip(NEXT) | instid1(VALU_DEP_4)
	v_add_co_u32 v59, vcc_lo, s10, v23
	v_add_co_ci_u32_e32 v60, vcc_lo, s11, v24, vcc_lo
	s_clause 0x1
	global_load_u16 v61, v[57:58], off
	global_load_u16 v62, v[59:60], off
	v_mov_b32_e32 v23, 1
	v_mov_b32_e32 v24, 0
	s_waitcnt vmcnt(0)
	v_cmpx_eq_f16_e32 v61, v62
	s_cbranch_execz .LBB1293_1164
; %bb.1157:
	v_add_co_u32 v23, vcc_lo, v59, 2
	v_add_co_ci_u32_e32 v24, vcc_lo, 0, v60, vcc_lo
	v_add_co_u32 v57, vcc_lo, v57, 2
	v_add_co_ci_u32_e32 v58, vcc_lo, 0, v58, vcc_lo
	s_add_u32 s12, s8, -1
	s_addc_u32 s13, s9, -1
	s_mov_b64 s[14:15], 0
	s_mov_b32 s19, 0
                                        ; implicit-def: $sgpr20
	s_set_inst_prefetch_distance 0x1
	s_branch .LBB1293_1160
	.p2align	6
.LBB1293_1158:                          ;   in Loop: Header=BB1293_1160 Depth=1
	global_load_u16 v59, v[57:58], off
	global_load_u16 v60, v[23:24], off
	v_add_co_u32 v23, vcc_lo, v23, 2
	v_add_co_ci_u32_e32 v24, vcc_lo, 0, v24, vcc_lo
	v_add_co_u32 v57, s0, v57, 2
	s_delay_alu instid0(VALU_DEP_1)
	v_add_co_ci_u32_e64 v58, s0, 0, v58, s0
	s_add_u32 s14, s14, 1
	s_addc_u32 s15, s15, 0
	s_and_not1_b32 s0, s20, exec_lo
	s_waitcnt vmcnt(0)
	v_cmp_neq_f16_e32 vcc_lo, v59, v60
	s_and_b32 s20, vcc_lo, exec_lo
	s_delay_alu instid0(SALU_CYCLE_1)
	s_or_b32 s20, s0, s20
.LBB1293_1159:                          ;   in Loop: Header=BB1293_1160 Depth=1
	v_dual_mov_b32 v60, s15 :: v_dual_mov_b32 v59, s14
	s_and_b32 s0, exec_lo, s20
	s_delay_alu instid0(SALU_CYCLE_1) | instskip(NEXT) | instid1(SALU_CYCLE_1)
	s_or_b32 s19, s0, s19
	s_and_not1_b32 exec_lo, exec_lo, s19
	s_cbranch_execz .LBB1293_1163
.LBB1293_1160:                          ; =>This Inner Loop Header: Depth=1
	s_or_b32 s20, s20, exec_lo
	s_cmp_eq_u64 s[12:13], s[14:15]
	s_cbranch_scc0 .LBB1293_1158
; %bb.1161:                             ;   in Loop: Header=BB1293_1160 Depth=1
	s_mov_b64 s[14:15], s[8:9]
                                        ; implicit-def: $vgpr23_vgpr24
                                        ; implicit-def: $vgpr57_vgpr58
	s_branch .LBB1293_1159
.LBB1293_1162:
	v_mov_b32_e32 v23, 0
	v_mov_b32_e32 v24, 0
	s_branch .LBB1293_1165
.LBB1293_1163:
	s_set_inst_prefetch_distance 0x2
	s_or_b32 exec_lo, exec_lo, s19
	v_cmp_gt_i64_e32 vcc_lo, s[8:9], v[59:60]
	s_mov_b32 s0, 0
	s_delay_alu instid0(SALU_CYCLE_1)
	v_mov_b32_e32 v24, s0
	v_cndmask_b32_e64 v23, 0, 1, vcc_lo
.LBB1293_1164:
	s_or_b32 exec_lo, exec_lo, s18
.LBB1293_1165:
	s_delay_alu instid0(SALU_CYCLE_1) | instskip(SKIP_2) | instid1(VALU_DEP_1)
	s_or_b32 exec_lo, exec_lo, s3
	v_add_nc_u32_e32 v57, 6, v64
	s_mov_b32 s3, exec_lo
	v_cmpx_gt_u32_e64 s6, v57
	s_cbranch_execz .LBB1293_1176
; %bb.1166:
	v_cmp_ne_u32_e32 vcc_lo, 1, v63
	s_cbranch_vccnz .LBB1293_1173
; %bb.1167:
	v_mul_lo_u32 v59, v22, s8
	v_mul_lo_u32 v60, v21, s9
	v_mad_u64_u32 v[57:58], null, v21, s8, 0
	v_mul_lo_u32 v61, v20, s8
	v_mul_lo_u32 v62, v19, s9
	v_mad_u64_u32 v[21:22], null, v19, s8, 0
	s_mov_b32 s18, exec_lo
	s_delay_alu instid0(VALU_DEP_4) | instskip(NEXT) | instid1(VALU_DEP_2)
	v_add3_u32 v58, v58, v60, v59
	v_add3_u32 v22, v22, v62, v61
	s_delay_alu instid0(VALU_DEP_2) | instskip(NEXT) | instid1(VALU_DEP_2)
	v_lshlrev_b64 v[57:58], 1, v[57:58]
	v_lshlrev_b64 v[21:22], 1, v[21:22]
	s_delay_alu instid0(VALU_DEP_2) | instskip(NEXT) | instid1(VALU_DEP_3)
	v_add_co_u32 v57, vcc_lo, s10, v57
	v_add_co_ci_u32_e32 v58, vcc_lo, s11, v58, vcc_lo
	s_delay_alu instid0(VALU_DEP_3) | instskip(NEXT) | instid1(VALU_DEP_4)
	v_add_co_u32 v59, vcc_lo, s10, v21
	v_add_co_ci_u32_e32 v60, vcc_lo, s11, v22, vcc_lo
	s_clause 0x1
	global_load_u16 v61, v[57:58], off
	global_load_u16 v62, v[59:60], off
	v_mov_b32_e32 v21, 1
	v_mov_b32_e32 v22, 0
	s_waitcnt vmcnt(0)
	v_cmpx_eq_f16_e32 v61, v62
	s_cbranch_execz .LBB1293_1175
; %bb.1168:
	v_add_co_u32 v21, vcc_lo, v59, 2
	v_add_co_ci_u32_e32 v22, vcc_lo, 0, v60, vcc_lo
	v_add_co_u32 v57, vcc_lo, v57, 2
	v_add_co_ci_u32_e32 v58, vcc_lo, 0, v58, vcc_lo
	s_add_u32 s12, s8, -1
	s_addc_u32 s13, s9, -1
	s_mov_b64 s[14:15], 0
	s_mov_b32 s19, 0
                                        ; implicit-def: $sgpr20
	s_set_inst_prefetch_distance 0x1
	s_branch .LBB1293_1171
	.p2align	6
.LBB1293_1169:                          ;   in Loop: Header=BB1293_1171 Depth=1
	global_load_u16 v59, v[57:58], off
	global_load_u16 v60, v[21:22], off
	v_add_co_u32 v21, vcc_lo, v21, 2
	v_add_co_ci_u32_e32 v22, vcc_lo, 0, v22, vcc_lo
	v_add_co_u32 v57, s0, v57, 2
	s_delay_alu instid0(VALU_DEP_1)
	v_add_co_ci_u32_e64 v58, s0, 0, v58, s0
	s_add_u32 s14, s14, 1
	s_addc_u32 s15, s15, 0
	s_and_not1_b32 s0, s20, exec_lo
	s_waitcnt vmcnt(0)
	v_cmp_neq_f16_e32 vcc_lo, v59, v60
	s_and_b32 s20, vcc_lo, exec_lo
	s_delay_alu instid0(SALU_CYCLE_1)
	s_or_b32 s20, s0, s20
.LBB1293_1170:                          ;   in Loop: Header=BB1293_1171 Depth=1
	v_dual_mov_b32 v60, s15 :: v_dual_mov_b32 v59, s14
	s_and_b32 s0, exec_lo, s20
	s_delay_alu instid0(SALU_CYCLE_1) | instskip(NEXT) | instid1(SALU_CYCLE_1)
	s_or_b32 s19, s0, s19
	s_and_not1_b32 exec_lo, exec_lo, s19
	s_cbranch_execz .LBB1293_1174
.LBB1293_1171:                          ; =>This Inner Loop Header: Depth=1
	s_or_b32 s20, s20, exec_lo
	s_cmp_eq_u64 s[12:13], s[14:15]
	s_cbranch_scc0 .LBB1293_1169
; %bb.1172:                             ;   in Loop: Header=BB1293_1171 Depth=1
	s_mov_b64 s[14:15], s[8:9]
                                        ; implicit-def: $vgpr21_vgpr22
                                        ; implicit-def: $vgpr57_vgpr58
	s_branch .LBB1293_1170
.LBB1293_1173:
	v_mov_b32_e32 v21, 0
	v_mov_b32_e32 v22, 0
	s_branch .LBB1293_1176
.LBB1293_1174:
	s_set_inst_prefetch_distance 0x2
	s_or_b32 exec_lo, exec_lo, s19
	v_cmp_gt_i64_e32 vcc_lo, s[8:9], v[59:60]
	s_mov_b32 s0, 0
	s_delay_alu instid0(SALU_CYCLE_1)
	v_mov_b32_e32 v22, s0
	v_cndmask_b32_e64 v21, 0, 1, vcc_lo
.LBB1293_1175:
	s_or_b32 exec_lo, exec_lo, s18
.LBB1293_1176:
	s_delay_alu instid0(SALU_CYCLE_1) | instskip(SKIP_2) | instid1(VALU_DEP_1)
	s_or_b32 exec_lo, exec_lo, s3
	v_add_nc_u32_e32 v57, 5, v64
	s_mov_b32 s3, exec_lo
	v_cmpx_gt_u32_e64 s6, v57
	s_cbranch_execz .LBB1293_1187
; %bb.1177:
	v_cmp_ne_u32_e32 vcc_lo, 1, v63
	s_cbranch_vccnz .LBB1293_1184
; %bb.1178:
	v_mul_lo_u32 v59, v20, s8
	v_mul_lo_u32 v60, v19, s9
	v_mad_u64_u32 v[57:58], null, v19, s8, 0
	v_mul_lo_u32 v61, v18, s8
	v_mul_lo_u32 v62, v17, s9
	v_mad_u64_u32 v[19:20], null, v17, s8, 0
	s_mov_b32 s18, exec_lo
	s_delay_alu instid0(VALU_DEP_4) | instskip(NEXT) | instid1(VALU_DEP_2)
	v_add3_u32 v58, v58, v60, v59
	v_add3_u32 v20, v20, v62, v61
	s_delay_alu instid0(VALU_DEP_2) | instskip(NEXT) | instid1(VALU_DEP_2)
	v_lshlrev_b64 v[57:58], 1, v[57:58]
	v_lshlrev_b64 v[19:20], 1, v[19:20]
	s_delay_alu instid0(VALU_DEP_2) | instskip(NEXT) | instid1(VALU_DEP_3)
	v_add_co_u32 v57, vcc_lo, s10, v57
	v_add_co_ci_u32_e32 v58, vcc_lo, s11, v58, vcc_lo
	s_delay_alu instid0(VALU_DEP_3) | instskip(NEXT) | instid1(VALU_DEP_4)
	v_add_co_u32 v59, vcc_lo, s10, v19
	v_add_co_ci_u32_e32 v60, vcc_lo, s11, v20, vcc_lo
	s_clause 0x1
	global_load_u16 v61, v[57:58], off
	global_load_u16 v62, v[59:60], off
	v_mov_b32_e32 v19, 1
	v_mov_b32_e32 v20, 0
	s_waitcnt vmcnt(0)
	v_cmpx_eq_f16_e32 v61, v62
	s_cbranch_execz .LBB1293_1186
; %bb.1179:
	v_add_co_u32 v19, vcc_lo, v59, 2
	v_add_co_ci_u32_e32 v20, vcc_lo, 0, v60, vcc_lo
	v_add_co_u32 v57, vcc_lo, v57, 2
	v_add_co_ci_u32_e32 v58, vcc_lo, 0, v58, vcc_lo
	s_add_u32 s12, s8, -1
	s_addc_u32 s13, s9, -1
	s_mov_b64 s[14:15], 0
	s_mov_b32 s19, 0
                                        ; implicit-def: $sgpr20
	s_set_inst_prefetch_distance 0x1
	s_branch .LBB1293_1182
	.p2align	6
.LBB1293_1180:                          ;   in Loop: Header=BB1293_1182 Depth=1
	global_load_u16 v59, v[57:58], off
	global_load_u16 v60, v[19:20], off
	v_add_co_u32 v19, vcc_lo, v19, 2
	v_add_co_ci_u32_e32 v20, vcc_lo, 0, v20, vcc_lo
	v_add_co_u32 v57, s0, v57, 2
	s_delay_alu instid0(VALU_DEP_1)
	v_add_co_ci_u32_e64 v58, s0, 0, v58, s0
	s_add_u32 s14, s14, 1
	s_addc_u32 s15, s15, 0
	s_and_not1_b32 s0, s20, exec_lo
	s_waitcnt vmcnt(0)
	v_cmp_neq_f16_e32 vcc_lo, v59, v60
	s_and_b32 s20, vcc_lo, exec_lo
	s_delay_alu instid0(SALU_CYCLE_1)
	s_or_b32 s20, s0, s20
.LBB1293_1181:                          ;   in Loop: Header=BB1293_1182 Depth=1
	v_dual_mov_b32 v60, s15 :: v_dual_mov_b32 v59, s14
	s_and_b32 s0, exec_lo, s20
	s_delay_alu instid0(SALU_CYCLE_1) | instskip(NEXT) | instid1(SALU_CYCLE_1)
	s_or_b32 s19, s0, s19
	s_and_not1_b32 exec_lo, exec_lo, s19
	s_cbranch_execz .LBB1293_1185
.LBB1293_1182:                          ; =>This Inner Loop Header: Depth=1
	s_or_b32 s20, s20, exec_lo
	s_cmp_eq_u64 s[12:13], s[14:15]
	s_cbranch_scc0 .LBB1293_1180
; %bb.1183:                             ;   in Loop: Header=BB1293_1182 Depth=1
	s_mov_b64 s[14:15], s[8:9]
                                        ; implicit-def: $vgpr19_vgpr20
                                        ; implicit-def: $vgpr57_vgpr58
	s_branch .LBB1293_1181
.LBB1293_1184:
	v_mov_b32_e32 v19, 0
	v_mov_b32_e32 v20, 0
	s_branch .LBB1293_1187
.LBB1293_1185:
	s_set_inst_prefetch_distance 0x2
	s_or_b32 exec_lo, exec_lo, s19
	v_cmp_gt_i64_e32 vcc_lo, s[8:9], v[59:60]
	s_mov_b32 s0, 0
	s_delay_alu instid0(SALU_CYCLE_1)
	v_mov_b32_e32 v20, s0
	v_cndmask_b32_e64 v19, 0, 1, vcc_lo
.LBB1293_1186:
	s_or_b32 exec_lo, exec_lo, s18
.LBB1293_1187:
	s_delay_alu instid0(SALU_CYCLE_1) | instskip(SKIP_2) | instid1(VALU_DEP_1)
	s_or_b32 exec_lo, exec_lo, s3
	v_add_nc_u32_e32 v57, 4, v64
	s_mov_b32 s3, exec_lo
	v_cmpx_gt_u32_e64 s6, v57
	s_cbranch_execz .LBB1293_1198
; %bb.1188:
	v_cmp_ne_u32_e32 vcc_lo, 1, v63
	s_cbranch_vccnz .LBB1293_1195
; %bb.1189:
	v_mul_lo_u32 v59, v18, s8
	v_mul_lo_u32 v60, v17, s9
	v_mad_u64_u32 v[57:58], null, v17, s8, 0
	v_mul_lo_u32 v61, v16, s8
	v_mul_lo_u32 v62, v15, s9
	v_mad_u64_u32 v[17:18], null, v15, s8, 0
	s_mov_b32 s18, exec_lo
	s_delay_alu instid0(VALU_DEP_4) | instskip(NEXT) | instid1(VALU_DEP_2)
	v_add3_u32 v58, v58, v60, v59
	v_add3_u32 v18, v18, v62, v61
	s_delay_alu instid0(VALU_DEP_2) | instskip(NEXT) | instid1(VALU_DEP_2)
	v_lshlrev_b64 v[57:58], 1, v[57:58]
	v_lshlrev_b64 v[17:18], 1, v[17:18]
	s_delay_alu instid0(VALU_DEP_2) | instskip(NEXT) | instid1(VALU_DEP_3)
	v_add_co_u32 v57, vcc_lo, s10, v57
	v_add_co_ci_u32_e32 v58, vcc_lo, s11, v58, vcc_lo
	s_delay_alu instid0(VALU_DEP_3) | instskip(NEXT) | instid1(VALU_DEP_4)
	v_add_co_u32 v59, vcc_lo, s10, v17
	v_add_co_ci_u32_e32 v60, vcc_lo, s11, v18, vcc_lo
	s_clause 0x1
	global_load_u16 v61, v[57:58], off
	global_load_u16 v62, v[59:60], off
	v_mov_b32_e32 v17, 1
	v_mov_b32_e32 v18, 0
	s_waitcnt vmcnt(0)
	v_cmpx_eq_f16_e32 v61, v62
	s_cbranch_execz .LBB1293_1197
; %bb.1190:
	v_add_co_u32 v17, vcc_lo, v59, 2
	v_add_co_ci_u32_e32 v18, vcc_lo, 0, v60, vcc_lo
	v_add_co_u32 v57, vcc_lo, v57, 2
	v_add_co_ci_u32_e32 v58, vcc_lo, 0, v58, vcc_lo
	s_add_u32 s12, s8, -1
	s_addc_u32 s13, s9, -1
	s_mov_b64 s[14:15], 0
	s_mov_b32 s19, 0
                                        ; implicit-def: $sgpr20
	s_set_inst_prefetch_distance 0x1
	s_branch .LBB1293_1193
	.p2align	6
.LBB1293_1191:                          ;   in Loop: Header=BB1293_1193 Depth=1
	global_load_u16 v59, v[57:58], off
	global_load_u16 v60, v[17:18], off
	v_add_co_u32 v17, vcc_lo, v17, 2
	v_add_co_ci_u32_e32 v18, vcc_lo, 0, v18, vcc_lo
	v_add_co_u32 v57, s0, v57, 2
	s_delay_alu instid0(VALU_DEP_1)
	v_add_co_ci_u32_e64 v58, s0, 0, v58, s0
	s_add_u32 s14, s14, 1
	s_addc_u32 s15, s15, 0
	s_and_not1_b32 s0, s20, exec_lo
	s_waitcnt vmcnt(0)
	v_cmp_neq_f16_e32 vcc_lo, v59, v60
	s_and_b32 s20, vcc_lo, exec_lo
	s_delay_alu instid0(SALU_CYCLE_1)
	s_or_b32 s20, s0, s20
.LBB1293_1192:                          ;   in Loop: Header=BB1293_1193 Depth=1
	v_dual_mov_b32 v60, s15 :: v_dual_mov_b32 v59, s14
	s_and_b32 s0, exec_lo, s20
	s_delay_alu instid0(SALU_CYCLE_1) | instskip(NEXT) | instid1(SALU_CYCLE_1)
	s_or_b32 s19, s0, s19
	s_and_not1_b32 exec_lo, exec_lo, s19
	s_cbranch_execz .LBB1293_1196
.LBB1293_1193:                          ; =>This Inner Loop Header: Depth=1
	s_or_b32 s20, s20, exec_lo
	s_cmp_eq_u64 s[12:13], s[14:15]
	s_cbranch_scc0 .LBB1293_1191
; %bb.1194:                             ;   in Loop: Header=BB1293_1193 Depth=1
	s_mov_b64 s[14:15], s[8:9]
                                        ; implicit-def: $vgpr17_vgpr18
                                        ; implicit-def: $vgpr57_vgpr58
	s_branch .LBB1293_1192
.LBB1293_1195:
	v_mov_b32_e32 v17, 0
	v_mov_b32_e32 v18, 0
	s_branch .LBB1293_1198
.LBB1293_1196:
	s_set_inst_prefetch_distance 0x2
	s_or_b32 exec_lo, exec_lo, s19
	v_cmp_gt_i64_e32 vcc_lo, s[8:9], v[59:60]
	s_mov_b32 s0, 0
	s_delay_alu instid0(SALU_CYCLE_1)
	v_mov_b32_e32 v18, s0
	v_cndmask_b32_e64 v17, 0, 1, vcc_lo
.LBB1293_1197:
	s_or_b32 exec_lo, exec_lo, s18
.LBB1293_1198:
	s_delay_alu instid0(SALU_CYCLE_1) | instskip(SKIP_2) | instid1(VALU_DEP_1)
	s_or_b32 exec_lo, exec_lo, s3
	v_add_nc_u32_e32 v57, 3, v64
	s_mov_b32 s3, exec_lo
	v_cmpx_gt_u32_e64 s6, v57
	s_cbranch_execz .LBB1293_1209
; %bb.1199:
	v_cmp_ne_u32_e32 vcc_lo, 1, v63
	s_cbranch_vccnz .LBB1293_1206
; %bb.1200:
	v_mul_lo_u32 v59, v16, s8
	v_mul_lo_u32 v60, v15, s9
	v_mad_u64_u32 v[57:58], null, v15, s8, 0
	v_mul_lo_u32 v61, v14, s8
	v_mul_lo_u32 v62, v13, s9
	v_mad_u64_u32 v[15:16], null, v13, s8, 0
	s_mov_b32 s18, exec_lo
	s_delay_alu instid0(VALU_DEP_4) | instskip(NEXT) | instid1(VALU_DEP_2)
	v_add3_u32 v58, v58, v60, v59
	v_add3_u32 v16, v16, v62, v61
	s_delay_alu instid0(VALU_DEP_2) | instskip(NEXT) | instid1(VALU_DEP_2)
	v_lshlrev_b64 v[57:58], 1, v[57:58]
	v_lshlrev_b64 v[15:16], 1, v[15:16]
	s_delay_alu instid0(VALU_DEP_2) | instskip(NEXT) | instid1(VALU_DEP_3)
	v_add_co_u32 v57, vcc_lo, s10, v57
	v_add_co_ci_u32_e32 v58, vcc_lo, s11, v58, vcc_lo
	s_delay_alu instid0(VALU_DEP_3) | instskip(NEXT) | instid1(VALU_DEP_4)
	v_add_co_u32 v59, vcc_lo, s10, v15
	v_add_co_ci_u32_e32 v60, vcc_lo, s11, v16, vcc_lo
	s_clause 0x1
	global_load_u16 v61, v[57:58], off
	global_load_u16 v62, v[59:60], off
	v_mov_b32_e32 v15, 1
	v_mov_b32_e32 v16, 0
	s_waitcnt vmcnt(0)
	v_cmpx_eq_f16_e32 v61, v62
	s_cbranch_execz .LBB1293_1208
; %bb.1201:
	v_add_co_u32 v15, vcc_lo, v59, 2
	v_add_co_ci_u32_e32 v16, vcc_lo, 0, v60, vcc_lo
	v_add_co_u32 v57, vcc_lo, v57, 2
	v_add_co_ci_u32_e32 v58, vcc_lo, 0, v58, vcc_lo
	s_add_u32 s12, s8, -1
	s_addc_u32 s13, s9, -1
	s_mov_b64 s[14:15], 0
	s_mov_b32 s19, 0
                                        ; implicit-def: $sgpr20
	s_set_inst_prefetch_distance 0x1
	s_branch .LBB1293_1204
	.p2align	6
.LBB1293_1202:                          ;   in Loop: Header=BB1293_1204 Depth=1
	global_load_u16 v59, v[57:58], off
	global_load_u16 v60, v[15:16], off
	v_add_co_u32 v15, vcc_lo, v15, 2
	v_add_co_ci_u32_e32 v16, vcc_lo, 0, v16, vcc_lo
	v_add_co_u32 v57, s0, v57, 2
	s_delay_alu instid0(VALU_DEP_1)
	v_add_co_ci_u32_e64 v58, s0, 0, v58, s0
	s_add_u32 s14, s14, 1
	s_addc_u32 s15, s15, 0
	s_and_not1_b32 s0, s20, exec_lo
	s_waitcnt vmcnt(0)
	v_cmp_neq_f16_e32 vcc_lo, v59, v60
	s_and_b32 s20, vcc_lo, exec_lo
	s_delay_alu instid0(SALU_CYCLE_1)
	s_or_b32 s20, s0, s20
.LBB1293_1203:                          ;   in Loop: Header=BB1293_1204 Depth=1
	v_dual_mov_b32 v60, s15 :: v_dual_mov_b32 v59, s14
	s_and_b32 s0, exec_lo, s20
	s_delay_alu instid0(SALU_CYCLE_1) | instskip(NEXT) | instid1(SALU_CYCLE_1)
	s_or_b32 s19, s0, s19
	s_and_not1_b32 exec_lo, exec_lo, s19
	s_cbranch_execz .LBB1293_1207
.LBB1293_1204:                          ; =>This Inner Loop Header: Depth=1
	s_or_b32 s20, s20, exec_lo
	s_cmp_eq_u64 s[12:13], s[14:15]
	s_cbranch_scc0 .LBB1293_1202
; %bb.1205:                             ;   in Loop: Header=BB1293_1204 Depth=1
	s_mov_b64 s[14:15], s[8:9]
                                        ; implicit-def: $vgpr15_vgpr16
                                        ; implicit-def: $vgpr57_vgpr58
	s_branch .LBB1293_1203
.LBB1293_1206:
	v_mov_b32_e32 v15, 0
	v_mov_b32_e32 v16, 0
	s_branch .LBB1293_1209
.LBB1293_1207:
	s_set_inst_prefetch_distance 0x2
	s_or_b32 exec_lo, exec_lo, s19
	v_cmp_gt_i64_e32 vcc_lo, s[8:9], v[59:60]
	s_mov_b32 s0, 0
	s_delay_alu instid0(SALU_CYCLE_1)
	v_mov_b32_e32 v16, s0
	v_cndmask_b32_e64 v15, 0, 1, vcc_lo
.LBB1293_1208:
	s_or_b32 exec_lo, exec_lo, s18
.LBB1293_1209:
	s_delay_alu instid0(SALU_CYCLE_1) | instskip(SKIP_2) | instid1(VALU_DEP_1)
	s_or_b32 exec_lo, exec_lo, s3
	v_add_nc_u32_e32 v57, 2, v64
	s_mov_b32 s3, exec_lo
	v_cmpx_gt_u32_e64 s6, v57
	s_cbranch_execz .LBB1293_1220
; %bb.1210:
	v_cmp_ne_u32_e32 vcc_lo, 1, v63
	s_cbranch_vccnz .LBB1293_1217
; %bb.1211:
	v_mul_lo_u32 v59, v14, s8
	v_mul_lo_u32 v60, v13, s9
	v_mad_u64_u32 v[57:58], null, v13, s8, 0
	v_mul_lo_u32 v61, v4, s8
	v_mul_lo_u32 v62, v3, s9
	v_mad_u64_u32 v[13:14], null, v3, s8, 0
	s_mov_b32 s18, exec_lo
	s_delay_alu instid0(VALU_DEP_4) | instskip(NEXT) | instid1(VALU_DEP_2)
	v_add3_u32 v58, v58, v60, v59
	v_add3_u32 v14, v14, v62, v61
	s_delay_alu instid0(VALU_DEP_2) | instskip(NEXT) | instid1(VALU_DEP_2)
	v_lshlrev_b64 v[57:58], 1, v[57:58]
	v_lshlrev_b64 v[13:14], 1, v[13:14]
	s_delay_alu instid0(VALU_DEP_2) | instskip(NEXT) | instid1(VALU_DEP_3)
	v_add_co_u32 v57, vcc_lo, s10, v57
	v_add_co_ci_u32_e32 v58, vcc_lo, s11, v58, vcc_lo
	s_delay_alu instid0(VALU_DEP_3) | instskip(NEXT) | instid1(VALU_DEP_4)
	v_add_co_u32 v59, vcc_lo, s10, v13
	v_add_co_ci_u32_e32 v60, vcc_lo, s11, v14, vcc_lo
	s_clause 0x1
	global_load_u16 v61, v[57:58], off
	global_load_u16 v62, v[59:60], off
	v_mov_b32_e32 v13, 1
	v_mov_b32_e32 v14, 0
	s_waitcnt vmcnt(0)
	v_cmpx_eq_f16_e32 v61, v62
	s_cbranch_execz .LBB1293_1219
; %bb.1212:
	v_add_co_u32 v13, vcc_lo, v59, 2
	v_add_co_ci_u32_e32 v14, vcc_lo, 0, v60, vcc_lo
	v_add_co_u32 v57, vcc_lo, v57, 2
	v_add_co_ci_u32_e32 v58, vcc_lo, 0, v58, vcc_lo
	s_add_u32 s12, s8, -1
	s_addc_u32 s13, s9, -1
	s_mov_b64 s[14:15], 0
	s_mov_b32 s19, 0
                                        ; implicit-def: $sgpr20
	s_set_inst_prefetch_distance 0x1
	s_branch .LBB1293_1215
	.p2align	6
.LBB1293_1213:                          ;   in Loop: Header=BB1293_1215 Depth=1
	global_load_u16 v59, v[57:58], off
	global_load_u16 v60, v[13:14], off
	v_add_co_u32 v13, vcc_lo, v13, 2
	v_add_co_ci_u32_e32 v14, vcc_lo, 0, v14, vcc_lo
	v_add_co_u32 v57, s0, v57, 2
	s_delay_alu instid0(VALU_DEP_1)
	v_add_co_ci_u32_e64 v58, s0, 0, v58, s0
	s_add_u32 s14, s14, 1
	s_addc_u32 s15, s15, 0
	s_and_not1_b32 s0, s20, exec_lo
	s_waitcnt vmcnt(0)
	v_cmp_neq_f16_e32 vcc_lo, v59, v60
	s_and_b32 s20, vcc_lo, exec_lo
	s_delay_alu instid0(SALU_CYCLE_1)
	s_or_b32 s20, s0, s20
.LBB1293_1214:                          ;   in Loop: Header=BB1293_1215 Depth=1
	v_dual_mov_b32 v60, s15 :: v_dual_mov_b32 v59, s14
	s_and_b32 s0, exec_lo, s20
	s_delay_alu instid0(SALU_CYCLE_1) | instskip(NEXT) | instid1(SALU_CYCLE_1)
	s_or_b32 s19, s0, s19
	s_and_not1_b32 exec_lo, exec_lo, s19
	s_cbranch_execz .LBB1293_1218
.LBB1293_1215:                          ; =>This Inner Loop Header: Depth=1
	s_or_b32 s20, s20, exec_lo
	s_cmp_eq_u64 s[12:13], s[14:15]
	s_cbranch_scc0 .LBB1293_1213
; %bb.1216:                             ;   in Loop: Header=BB1293_1215 Depth=1
	s_mov_b64 s[14:15], s[8:9]
                                        ; implicit-def: $vgpr13_vgpr14
                                        ; implicit-def: $vgpr57_vgpr58
	s_branch .LBB1293_1214
.LBB1293_1217:
	v_mov_b32_e32 v13, 0
	v_mov_b32_e32 v14, 0
	s_branch .LBB1293_1220
.LBB1293_1218:
	s_set_inst_prefetch_distance 0x2
	s_or_b32 exec_lo, exec_lo, s19
	v_cmp_gt_i64_e32 vcc_lo, s[8:9], v[59:60]
	s_mov_b32 s0, 0
	s_delay_alu instid0(SALU_CYCLE_1)
	v_mov_b32_e32 v14, s0
	v_cndmask_b32_e64 v13, 0, 1, vcc_lo
.LBB1293_1219:
	s_or_b32 exec_lo, exec_lo, s18
.LBB1293_1220:
	s_delay_alu instid0(SALU_CYCLE_1) | instskip(SKIP_2) | instid1(VALU_DEP_1)
	s_or_b32 exec_lo, exec_lo, s3
	v_add_nc_u32_e32 v57, 1, v64
	s_mov_b32 s3, exec_lo
	v_cmpx_gt_u32_e64 s6, v57
	s_cbranch_execz .LBB1293_1231
; %bb.1221:
	v_cmp_ne_u32_e32 vcc_lo, 1, v63
	s_cbranch_vccnz .LBB1293_1228
; %bb.1222:
	v_mul_lo_u32 v59, v4, s8
	v_mul_lo_u32 v60, v3, s9
	v_mad_u64_u32 v[57:58], null, v3, s8, 0
	v_mul_lo_u32 v61, v2, s8
	v_mul_lo_u32 v62, v1, s9
	v_mad_u64_u32 v[3:4], null, v1, s8, 0
	s_mov_b32 s18, exec_lo
	s_delay_alu instid0(VALU_DEP_4) | instskip(NEXT) | instid1(VALU_DEP_2)
	v_add3_u32 v58, v58, v60, v59
	v_add3_u32 v4, v4, v62, v61
	s_delay_alu instid0(VALU_DEP_2) | instskip(NEXT) | instid1(VALU_DEP_2)
	v_lshlrev_b64 v[57:58], 1, v[57:58]
	v_lshlrev_b64 v[3:4], 1, v[3:4]
	s_delay_alu instid0(VALU_DEP_2) | instskip(NEXT) | instid1(VALU_DEP_3)
	v_add_co_u32 v57, vcc_lo, s10, v57
	v_add_co_ci_u32_e32 v58, vcc_lo, s11, v58, vcc_lo
	s_delay_alu instid0(VALU_DEP_3) | instskip(NEXT) | instid1(VALU_DEP_4)
	v_add_co_u32 v59, vcc_lo, s10, v3
	v_add_co_ci_u32_e32 v60, vcc_lo, s11, v4, vcc_lo
	s_clause 0x1
	global_load_u16 v61, v[57:58], off
	global_load_u16 v62, v[59:60], off
	v_mov_b32_e32 v3, 1
	v_mov_b32_e32 v4, 0
	s_waitcnt vmcnt(0)
	v_cmpx_eq_f16_e32 v61, v62
	s_cbranch_execz .LBB1293_1230
; %bb.1223:
	v_add_co_u32 v3, vcc_lo, v59, 2
	v_add_co_ci_u32_e32 v4, vcc_lo, 0, v60, vcc_lo
	v_add_co_u32 v57, vcc_lo, v57, 2
	v_add_co_ci_u32_e32 v58, vcc_lo, 0, v58, vcc_lo
	s_add_u32 s12, s8, -1
	s_addc_u32 s13, s9, -1
	s_mov_b64 s[14:15], 0
	s_mov_b32 s19, 0
                                        ; implicit-def: $sgpr20
	s_set_inst_prefetch_distance 0x1
	s_branch .LBB1293_1226
	.p2align	6
.LBB1293_1224:                          ;   in Loop: Header=BB1293_1226 Depth=1
	global_load_u16 v59, v[57:58], off
	global_load_u16 v60, v[3:4], off
	v_add_co_u32 v3, vcc_lo, v3, 2
	v_add_co_ci_u32_e32 v4, vcc_lo, 0, v4, vcc_lo
	v_add_co_u32 v57, s0, v57, 2
	s_delay_alu instid0(VALU_DEP_1)
	v_add_co_ci_u32_e64 v58, s0, 0, v58, s0
	s_add_u32 s14, s14, 1
	s_addc_u32 s15, s15, 0
	s_and_not1_b32 s0, s20, exec_lo
	s_waitcnt vmcnt(0)
	v_cmp_neq_f16_e32 vcc_lo, v59, v60
	s_and_b32 s20, vcc_lo, exec_lo
	s_delay_alu instid0(SALU_CYCLE_1)
	s_or_b32 s20, s0, s20
.LBB1293_1225:                          ;   in Loop: Header=BB1293_1226 Depth=1
	v_dual_mov_b32 v60, s15 :: v_dual_mov_b32 v59, s14
	s_and_b32 s0, exec_lo, s20
	s_delay_alu instid0(SALU_CYCLE_1) | instskip(NEXT) | instid1(SALU_CYCLE_1)
	s_or_b32 s19, s0, s19
	s_and_not1_b32 exec_lo, exec_lo, s19
	s_cbranch_execz .LBB1293_1229
.LBB1293_1226:                          ; =>This Inner Loop Header: Depth=1
	s_or_b32 s20, s20, exec_lo
	s_cmp_eq_u64 s[12:13], s[14:15]
	s_cbranch_scc0 .LBB1293_1224
; %bb.1227:                             ;   in Loop: Header=BB1293_1226 Depth=1
	s_mov_b64 s[14:15], s[8:9]
                                        ; implicit-def: $vgpr3_vgpr4
                                        ; implicit-def: $vgpr57_vgpr58
	s_branch .LBB1293_1225
.LBB1293_1228:
	v_mov_b32_e32 v3, 0
	v_mov_b32_e32 v4, 0
	s_branch .LBB1293_1231
.LBB1293_1229:
	s_set_inst_prefetch_distance 0x2
	s_or_b32 exec_lo, exec_lo, s19
	v_cmp_gt_i64_e32 vcc_lo, s[8:9], v[59:60]
	s_mov_b32 s0, 0
	s_delay_alu instid0(SALU_CYCLE_1)
	v_mov_b32_e32 v4, s0
	v_cndmask_b32_e64 v3, 0, 1, vcc_lo
.LBB1293_1230:
	s_or_b32 exec_lo, exec_lo, s18
.LBB1293_1231:
	s_delay_alu instid0(SALU_CYCLE_1)
	s_or_b32 exec_lo, exec_lo, s3
	v_cmp_ne_u32_e32 vcc_lo, 0, v0
	v_cmp_gt_u32_e64 s0, s6, v64
	s_mov_b32 s12, 0
	s_waitcnt lgkmcnt(0)
	s_barrier
	buffer_gl0_inv
	s_and_b32 s13, vcc_lo, s0
                                        ; implicit-def: $sgpr0
	s_delay_alu instid0(SALU_CYCLE_1)
	s_and_saveexec_b32 s3, s13
	s_cbranch_execz .LBB1293_1242
; %bb.1232:
	v_cmp_ne_u32_e32 vcc_lo, 1, v63
	s_cbranch_vccnz .LBB1293_1241
; %bb.1233:
	v_add_nc_u32_e32 v57, -8, v195
	v_mul_lo_u32 v61, v2, s8
	v_mul_lo_u32 v62, v1, s9
	v_mad_u64_u32 v[59:60], null, v1, s8, 0
	ds_load_b64 v[57:58], v57
	s_mov_b32 s12, -1
	s_mov_b32 s14, exec_lo
	v_add3_u32 v60, v60, v62, v61
	s_waitcnt lgkmcnt(0)
	v_mul_lo_u32 v58, v58, s8
	v_mul_lo_u32 v63, v57, s9
	v_mad_u64_u32 v[1:2], null, v57, s8, 0
	s_delay_alu instid0(VALU_DEP_1) | instskip(SKIP_1) | instid1(VALU_DEP_2)
	v_add3_u32 v2, v2, v63, v58
	v_lshlrev_b64 v[57:58], 1, v[59:60]
	v_lshlrev_b64 v[1:2], 1, v[1:2]
	s_delay_alu instid0(VALU_DEP_2) | instskip(NEXT) | instid1(VALU_DEP_3)
	v_add_co_u32 v57, vcc_lo, s10, v57
	v_add_co_ci_u32_e32 v58, vcc_lo, s11, v58, vcc_lo
	s_delay_alu instid0(VALU_DEP_3) | instskip(NEXT) | instid1(VALU_DEP_4)
	v_add_co_u32 v1, vcc_lo, s10, v1
	v_add_co_ci_u32_e32 v2, vcc_lo, s11, v2, vcc_lo
	s_clause 0x1
	global_load_u16 v59, v[57:58], off
	global_load_u16 v60, v[1:2], off
	s_waitcnt vmcnt(0)
	v_cmpx_eq_f16_e32 v59, v60
	s_cbranch_execz .LBB1293_1240
; %bb.1234:
	v_add_co_u32 v1, vcc_lo, v1, 2
	v_add_co_ci_u32_e32 v2, vcc_lo, 0, v2, vcc_lo
	v_add_co_u32 v57, vcc_lo, v57, 2
	v_add_co_ci_u32_e32 v58, vcc_lo, 0, v58, vcc_lo
	s_add_u32 s10, s8, -1
	s_addc_u32 s11, s9, -1
	s_mov_b64 s[12:13], 0
	s_mov_b32 s15, 0
                                        ; implicit-def: $sgpr18
	s_set_inst_prefetch_distance 0x1
	s_branch .LBB1293_1237
	.p2align	6
.LBB1293_1235:                          ;   in Loop: Header=BB1293_1237 Depth=1
	global_load_u16 v59, v[57:58], off
	global_load_u16 v60, v[1:2], off
	v_add_co_u32 v1, vcc_lo, v1, 2
	v_add_co_ci_u32_e32 v2, vcc_lo, 0, v2, vcc_lo
	v_add_co_u32 v57, s0, v57, 2
	s_delay_alu instid0(VALU_DEP_1)
	v_add_co_ci_u32_e64 v58, s0, 0, v58, s0
	s_add_u32 s12, s12, 1
	s_addc_u32 s13, s13, 0
	s_and_not1_b32 s0, s18, exec_lo
	s_waitcnt vmcnt(0)
	v_cmp_neq_f16_e32 vcc_lo, v59, v60
	s_and_b32 s18, vcc_lo, exec_lo
	s_delay_alu instid0(SALU_CYCLE_1)
	s_or_b32 s18, s0, s18
.LBB1293_1236:                          ;   in Loop: Header=BB1293_1237 Depth=1
	v_dual_mov_b32 v60, s13 :: v_dual_mov_b32 v59, s12
	s_and_b32 s0, exec_lo, s18
	s_delay_alu instid0(SALU_CYCLE_1) | instskip(NEXT) | instid1(SALU_CYCLE_1)
	s_or_b32 s15, s0, s15
	s_and_not1_b32 exec_lo, exec_lo, s15
	s_cbranch_execz .LBB1293_1239
.LBB1293_1237:                          ; =>This Inner Loop Header: Depth=1
	s_or_b32 s18, s18, exec_lo
	s_cmp_eq_u64 s[10:11], s[12:13]
	s_cbranch_scc0 .LBB1293_1235
; %bb.1238:                             ;   in Loop: Header=BB1293_1237 Depth=1
	s_mov_b64 s[12:13], s[8:9]
                                        ; implicit-def: $vgpr1_vgpr2
                                        ; implicit-def: $vgpr57_vgpr58
	s_branch .LBB1293_1236
.LBB1293_1239:
	s_set_inst_prefetch_distance 0x2
	s_or_b32 exec_lo, exec_lo, s15
	v_cmp_gt_i64_e32 vcc_lo, s[8:9], v[59:60]
	s_or_not1_b32 s12, vcc_lo, exec_lo
.LBB1293_1240:
	s_or_b32 exec_lo, exec_lo, s14
.LBB1293_1241:
	s_delay_alu instid0(SALU_CYCLE_1)
	s_and_b32 s0, s12, exec_lo
	s_or_b32 s1, s1, exec_lo
.LBB1293_1242:
	s_or_b32 exec_lo, exec_lo, s3
	v_dual_mov_b32 v166, v4 :: v_dual_mov_b32 v165, v3
	v_dual_mov_b32 v164, v14 :: v_dual_mov_b32 v163, v13
	;; [unrolled: 1-line block ×55, first 2 shown]
.LBB1293_1243:
	s_and_saveexec_b32 s3, s1
	s_cbranch_execz .LBB1293_1245
; %bb.1244:
	s_mov_b32 s1, 0
	v_dual_mov_b32 v194, v114 :: v_dual_mov_b32 v63, v117
	v_dual_mov_b32 v2, s1 :: v_dual_mov_b32 v59, v115
	;; [unrolled: 1-line block ×13, first 2 shown]
	v_mov_b32_e32 v168, v164
	v_dual_mov_b32 v182, v166 :: v_dual_mov_b32 v181, v165
	v_cndmask_b32_e64 v1, 0, 1, s0
	v_dual_mov_b32 v60, v116 :: v_dual_mov_b32 v193, v113
	v_dual_mov_b32 v64, v118 :: v_dual_mov_b32 v191, v119
	;; [unrolled: 1-line block ×13, first 2 shown]
.LBB1293_1245:
	s_or_b32 exec_lo, exec_lo, s3
	v_mul_u32_u24_e32 v65, 0xe8, v0
	v_mul_i32_i24_e32 v66, 0xffffff20, v0
	s_add_u32 s8, s4, s16
	s_addc_u32 s4, s5, s17
	s_and_b32 vcc_lo, exec_lo, s26
	s_waitcnt lgkmcnt(0)
	s_barrier
	buffer_gl0_inv
	s_cbranch_vccz .LBB1293_1303
; %bb.1246:
	v_dual_mov_b32 v3, v181 :: v_dual_mov_b32 v4, v182
	s_mov_b32 s3, 0
	ds_store_2addr_b64 v65, v[169:170], v[103:104] offset0:4 offset1:5
	ds_store_2addr_b64 v65, v[171:172], v[99:100] offset0:6 offset1:7
	ds_store_2addr_b64 v65, v[1:2], v[3:4] offset1:1
	ds_store_2addr_b64 v65, v[167:168], v[107:108] offset0:2 offset1:3
	ds_store_2addr_b64 v65, v[173:174], v[95:96] offset0:8 offset1:9
	;; [unrolled: 1-line block ×11, first 2 shown]
	v_mad_u32_u24 v3, 0xe8, v0, v66
	ds_store_b64 v65, v[111:112] offset:224
	s_waitcnt lgkmcnt(0)
	s_barrier
	buffer_gl0_inv
	ds_load_2addr_stride64_b64 v[55:58], v3 offset0:2 offset1:4
	ds_load_2addr_stride64_b64 v[51:54], v3 offset0:6 offset1:8
	;; [unrolled: 1-line block ×14, first 2 shown]
	s_lshl_b64 s[0:1], s[2:3], 3
	s_add_i32 s7, s7, s6
	s_add_u32 s0, s8, s0
	s_addc_u32 s1, s4, s1
	v_add_co_u32 v61, s0, s0, v195
	s_delay_alu instid0(VALU_DEP_1)
	v_add_co_ci_u32_e64 v62, null, s1, 0, s0
	s_mov_b32 s0, exec_lo
	v_cmpx_gt_u32_e64 s7, v0
	s_cbranch_execz .LBB1293_1248
; %bb.1247:
	v_add_nc_u32_e32 v69, v65, v66
	ds_load_b64 v[69:70], v69
	s_waitcnt lgkmcnt(0)
	global_store_b64 v[61:62], v[69:70], off
.LBB1293_1248:
	s_or_b32 exec_lo, exec_lo, s0
	v_or_b32_e32 v69, 0x80, v0
	s_mov_b32 s0, exec_lo
	s_delay_alu instid0(VALU_DEP_1)
	v_cmpx_gt_u32_e64 s7, v69
	s_cbranch_execz .LBB1293_1250
; %bb.1249:
	s_waitcnt lgkmcnt(13)
	global_store_b64 v[61:62], v[55:56], off offset:1024
.LBB1293_1250:
	s_or_b32 exec_lo, exec_lo, s0
	s_waitcnt lgkmcnt(13)
	v_or_b32_e32 v55, 0x100, v0
	s_mov_b32 s0, exec_lo
	s_delay_alu instid0(VALU_DEP_1)
	v_cmpx_gt_u32_e64 s7, v55
	s_cbranch_execz .LBB1293_1252
; %bb.1251:
	global_store_b64 v[61:62], v[57:58], off offset:2048
.LBB1293_1252:
	s_or_b32 exec_lo, exec_lo, s0
	v_or_b32_e32 v55, 0x180, v0
	s_mov_b32 s0, exec_lo
	s_delay_alu instid0(VALU_DEP_1)
	v_cmpx_gt_u32_e64 s7, v55
	s_cbranch_execz .LBB1293_1254
; %bb.1253:
	s_waitcnt lgkmcnt(12)
	global_store_b64 v[61:62], v[51:52], off offset:3072
.LBB1293_1254:
	s_or_b32 exec_lo, exec_lo, s0
	s_waitcnt lgkmcnt(12)
	v_or_b32_e32 v51, 0x200, v0
	s_mov_b32 s0, exec_lo
	s_delay_alu instid0(VALU_DEP_1)
	v_cmpx_gt_u32_e64 s7, v51
	s_cbranch_execz .LBB1293_1256
; %bb.1255:
	v_add_co_u32 v51, vcc_lo, 0x1000, v61
	v_add_co_ci_u32_e32 v52, vcc_lo, 0, v62, vcc_lo
	global_store_b64 v[51:52], v[53:54], off
.LBB1293_1256:
	s_or_b32 exec_lo, exec_lo, s0
	v_or_b32_e32 v51, 0x280, v0
	s_mov_b32 s0, exec_lo
	s_delay_alu instid0(VALU_DEP_1)
	v_cmpx_gt_u32_e64 s7, v51
	s_cbranch_execz .LBB1293_1258
; %bb.1257:
	v_add_co_u32 v51, vcc_lo, 0x1000, v61
	v_add_co_ci_u32_e32 v52, vcc_lo, 0, v62, vcc_lo
	s_waitcnt lgkmcnt(11)
	global_store_b64 v[51:52], v[47:48], off offset:1024
.LBB1293_1258:
	s_or_b32 exec_lo, exec_lo, s0
	s_waitcnt lgkmcnt(11)
	v_or_b32_e32 v47, 0x300, v0
	s_mov_b32 s0, exec_lo
	s_delay_alu instid0(VALU_DEP_1)
	v_cmpx_gt_u32_e64 s7, v47
	s_cbranch_execz .LBB1293_1260
; %bb.1259:
	v_add_co_u32 v47, vcc_lo, 0x1000, v61
	v_add_co_ci_u32_e32 v48, vcc_lo, 0, v62, vcc_lo
	global_store_b64 v[47:48], v[49:50], off offset:2048
.LBB1293_1260:
	s_or_b32 exec_lo, exec_lo, s0
	v_or_b32_e32 v47, 0x380, v0
	s_mov_b32 s0, exec_lo
	s_delay_alu instid0(VALU_DEP_1)
	v_cmpx_gt_u32_e64 s7, v47
	s_cbranch_execz .LBB1293_1262
; %bb.1261:
	v_add_co_u32 v47, vcc_lo, 0x1000, v61
	v_add_co_ci_u32_e32 v48, vcc_lo, 0, v62, vcc_lo
	s_waitcnt lgkmcnt(10)
	global_store_b64 v[47:48], v[43:44], off offset:3072
.LBB1293_1262:
	s_or_b32 exec_lo, exec_lo, s0
	s_waitcnt lgkmcnt(10)
	v_or_b32_e32 v43, 0x400, v0
	s_mov_b32 s0, exec_lo
	s_delay_alu instid0(VALU_DEP_1)
	v_cmpx_gt_u32_e64 s7, v43
	s_cbranch_execz .LBB1293_1264
; %bb.1263:
	v_add_co_u32 v43, vcc_lo, 0x2000, v61
	v_add_co_ci_u32_e32 v44, vcc_lo, 0, v62, vcc_lo
	global_store_b64 v[43:44], v[45:46], off
.LBB1293_1264:
	s_or_b32 exec_lo, exec_lo, s0
	v_or_b32_e32 v43, 0x480, v0
	s_mov_b32 s0, exec_lo
	s_delay_alu instid0(VALU_DEP_1)
	v_cmpx_gt_u32_e64 s7, v43
	s_cbranch_execz .LBB1293_1266
; %bb.1265:
	v_add_co_u32 v43, vcc_lo, 0x2000, v61
	v_add_co_ci_u32_e32 v44, vcc_lo, 0, v62, vcc_lo
	s_waitcnt lgkmcnt(9)
	global_store_b64 v[43:44], v[39:40], off offset:1024
.LBB1293_1266:
	s_or_b32 exec_lo, exec_lo, s0
	s_waitcnt lgkmcnt(9)
	v_or_b32_e32 v39, 0x500, v0
	s_mov_b32 s0, exec_lo
	s_delay_alu instid0(VALU_DEP_1)
	v_cmpx_gt_u32_e64 s7, v39
	s_cbranch_execz .LBB1293_1268
; %bb.1267:
	v_add_co_u32 v39, vcc_lo, 0x2000, v61
	v_add_co_ci_u32_e32 v40, vcc_lo, 0, v62, vcc_lo
	global_store_b64 v[39:40], v[41:42], off offset:2048
.LBB1293_1268:
	s_or_b32 exec_lo, exec_lo, s0
	v_or_b32_e32 v39, 0x580, v0
	s_mov_b32 s0, exec_lo
	s_delay_alu instid0(VALU_DEP_1)
	v_cmpx_gt_u32_e64 s7, v39
	s_cbranch_execz .LBB1293_1270
; %bb.1269:
	v_add_co_u32 v39, vcc_lo, 0x2000, v61
	v_add_co_ci_u32_e32 v40, vcc_lo, 0, v62, vcc_lo
	s_waitcnt lgkmcnt(8)
	global_store_b64 v[39:40], v[35:36], off offset:3072
.LBB1293_1270:
	;; [unrolled: 48-line block ×6, first 2 shown]
	s_or_b32 exec_lo, exec_lo, s0
	s_waitcnt lgkmcnt(0)
	v_or_b32_e32 v3, 0xe00, v0
	s_delay_alu instid0(VALU_DEP_1)
	v_cmp_gt_u32_e64 s5, s7, v3
	s_branch .LBB1293_1305
.LBB1293_1303:
	s_mov_b32 s5, 0
                                        ; implicit-def: $vgpr5_vgpr6
                                        ; implicit-def: $vgpr61_vgpr62
	s_cbranch_execz .LBB1293_1305
; %bb.1304:
	v_mad_u32_u24 v4, 0xe8, v0, v66
	ds_store_2addr_b64 v65, v[1:2], v[181:182] offset1:1
	ds_store_2addr_b64 v65, v[167:168], v[107:108] offset0:2 offset1:3
	ds_store_2addr_b64 v65, v[169:170], v[103:104] offset0:4 offset1:5
	;; [unrolled: 1-line block ×13, first 2 shown]
	ds_store_b64 v65, v[111:112] offset:224
	s_waitcnt lgkmcnt(0)
	s_waitcnt_vscnt null, 0x0
	s_barrier
	buffer_gl0_inv
	ds_load_2addr_stride64_b64 v[0:3], v4 offset1:2
	s_mov_b32 s3, 0
	ds_load_2addr_stride64_b64 v[7:10], v4 offset0:4 offset1:6
	ds_load_2addr_stride64_b64 v[11:14], v4 offset0:8 offset1:10
	;; [unrolled: 1-line block ×13, first 2 shown]
	ds_load_b64 v[5:6], v4 offset:28672
	s_lshl_b64 s[0:1], s[2:3], 3
	s_delay_alu instid0(SALU_CYCLE_1) | instskip(SKIP_2) | instid1(VALU_DEP_1)
	s_add_u32 s0, s8, s0
	s_addc_u32 s1, s4, s1
	v_add_co_u32 v61, s2, s0, v195
	v_add_co_ci_u32_e64 v62, null, s1, 0, s2
	s_or_b32 s5, s5, exec_lo
	s_waitcnt lgkmcnt(14)
	s_clause 0x1
	global_store_b64 v195, v[0:1], s[0:1]
	global_store_b64 v195, v[2:3], s[0:1] offset:1024
	s_waitcnt lgkmcnt(13)
	s_clause 0x1
	global_store_b64 v195, v[7:8], s[0:1] offset:2048
	global_store_b64 v195, v[9:10], s[0:1] offset:3072
	v_add_co_u32 v0, vcc_lo, 0x1000, v61
	v_add_co_ci_u32_e32 v1, vcc_lo, 0, v62, vcc_lo
	v_add_co_u32 v2, vcc_lo, v61, 0x2000
	v_add_co_ci_u32_e32 v3, vcc_lo, 0, v62, vcc_lo
	;; [unrolled: 2-line block ×3, first 2 shown]
	s_waitcnt lgkmcnt(10)
	s_clause 0x4
	global_store_b64 v[2:3], v[19:20], off
	global_store_b64 v[0:1], v[13:14], off offset:1024
	global_store_b64 v[0:1], v[15:16], off offset:2048
	;; [unrolled: 1-line block ×4, first 2 shown]
	v_add_co_u32 v0, vcc_lo, 0x3000, v61
	v_add_co_ci_u32_e32 v1, vcc_lo, 0, v62, vcc_lo
	v_add_co_u32 v9, vcc_lo, v61, 0x4000
	v_add_co_ci_u32_e32 v10, vcc_lo, 0, v62, vcc_lo
	;; [unrolled: 2-line block ×3, first 2 shown]
	s_waitcnt lgkmcnt(9)
	s_clause 0x1
	global_store_b64 v[7:8], v[23:24], off offset:2048
	global_store_b64 v[7:8], v[25:26], off offset:3072
	s_waitcnt lgkmcnt(8)
	global_store_b64 v[0:1], v[29:30], off offset:1024
	s_waitcnt lgkmcnt(7)
	s_clause 0x1
	global_store_b64 v[0:1], v[31:32], off offset:2048
	global_store_b64 v[0:1], v[33:34], off offset:3072
	s_waitcnt lgkmcnt(6)
	global_store_b64 v[13:14], v[37:38], off offset:1024
	s_waitcnt lgkmcnt(5)
	s_clause 0x1
	global_store_b64 v[13:14], v[39:40], off offset:2048
	global_store_b64 v[13:14], v[41:42], off offset:3072
	v_add_co_u32 v0, vcc_lo, 0x5000, v61
	v_add_co_ci_u32_e32 v1, vcc_lo, 0, v62, vcc_lo
	v_add_co_u32 v7, vcc_lo, v61, 0x6000
	v_add_co_ci_u32_e32 v8, vcc_lo, 0, v62, vcc_lo
	;; [unrolled: 2-line block ×3, first 2 shown]
	s_clause 0x1
	global_store_b64 v[9:10], v[27:28], off offset:-4096
	global_store_b64 v[9:10], v[35:36], off
	s_waitcnt lgkmcnt(4)
	global_store_b64 v[7:8], v[43:44], off offset:-4096
	s_waitcnt lgkmcnt(2)
	s_clause 0x4
	global_store_b64 v[7:8], v[51:52], off
	global_store_b64 v[0:1], v[45:46], off offset:1024
	global_store_b64 v[0:1], v[47:48], off offset:2048
	global_store_b64 v[0:1], v[49:50], off offset:3072
	global_store_b64 v[13:14], v[53:54], off offset:1024
	s_waitcnt lgkmcnt(1)
	s_clause 0x2
	global_store_b64 v[13:14], v[55:56], off offset:2048
	global_store_b64 v[2:3], v[11:12], off offset:-4096
	global_store_b64 v[13:14], v[57:58], off offset:3072
.LBB1293_1305:
	s_delay_alu instid0(VALU_DEP_1)
	s_and_saveexec_b32 s0, s5
	s_cbranch_execnz .LBB1293_1307
; %bb.1306:
	s_nop 0
	s_sendmsg sendmsg(MSG_DEALLOC_VGPRS)
	s_endpgm
.LBB1293_1307:
	v_add_co_u32 v0, vcc_lo, 0x7000, v61
	v_add_co_ci_u32_e32 v1, vcc_lo, 0, v62, vcc_lo
	s_waitcnt lgkmcnt(0)
	global_store_b64 v[0:1], v[5:6], off
	s_nop 0
	s_sendmsg sendmsg(MSG_DEALLOC_VGPRS)
	s_endpgm
	.section	.rodata,"a",@progbits
	.p2align	6, 0x0
	.amdhsa_kernel _ZN7rocprim17ROCPRIM_400000_NS6detail17trampoline_kernelINS0_14default_configENS1_35adjacent_difference_config_selectorILb1ElEEZNS1_24adjacent_difference_implIS3_Lb1ELb0EPlS7_ZN2at6native12_GLOBAL__N_124unique_dim_cuda_templateIN3c104HalfEEESt5tupleIJNS8_6TensorESF_SF_EERKSF_lbbbEUlllE1_EE10hipError_tPvRmT2_T3_mT4_P12ihipStream_tbEUlT_E_NS1_11comp_targetILNS1_3genE9ELNS1_11target_archE1100ELNS1_3gpuE3ELNS1_3repE0EEENS1_30default_config_static_selectorELNS0_4arch9wavefront6targetE0EEEvT1_
		.amdhsa_group_segment_fixed_size 29696
		.amdhsa_private_segment_fixed_size 0
		.amdhsa_kernarg_size 64
		.amdhsa_user_sgpr_count 15
		.amdhsa_user_sgpr_dispatch_ptr 0
		.amdhsa_user_sgpr_queue_ptr 0
		.amdhsa_user_sgpr_kernarg_segment_ptr 1
		.amdhsa_user_sgpr_dispatch_id 0
		.amdhsa_user_sgpr_private_segment_size 0
		.amdhsa_wavefront_size32 1
		.amdhsa_uses_dynamic_stack 0
		.amdhsa_enable_private_segment 0
		.amdhsa_system_sgpr_workgroup_id_x 1
		.amdhsa_system_sgpr_workgroup_id_y 0
		.amdhsa_system_sgpr_workgroup_id_z 0
		.amdhsa_system_sgpr_workgroup_info 0
		.amdhsa_system_vgpr_workitem_id 0
		.amdhsa_next_free_vgpr 196
		.amdhsa_next_free_sgpr 30
		.amdhsa_reserve_vcc 1
		.amdhsa_float_round_mode_32 0
		.amdhsa_float_round_mode_16_64 0
		.amdhsa_float_denorm_mode_32 3
		.amdhsa_float_denorm_mode_16_64 3
		.amdhsa_dx10_clamp 1
		.amdhsa_ieee_mode 1
		.amdhsa_fp16_overflow 0
		.amdhsa_workgroup_processor_mode 1
		.amdhsa_memory_ordered 1
		.amdhsa_forward_progress 0
		.amdhsa_shared_vgpr_count 0
		.amdhsa_exception_fp_ieee_invalid_op 0
		.amdhsa_exception_fp_denorm_src 0
		.amdhsa_exception_fp_ieee_div_zero 0
		.amdhsa_exception_fp_ieee_overflow 0
		.amdhsa_exception_fp_ieee_underflow 0
		.amdhsa_exception_fp_ieee_inexact 0
		.amdhsa_exception_int_div_zero 0
	.end_amdhsa_kernel
	.section	.text._ZN7rocprim17ROCPRIM_400000_NS6detail17trampoline_kernelINS0_14default_configENS1_35adjacent_difference_config_selectorILb1ElEEZNS1_24adjacent_difference_implIS3_Lb1ELb0EPlS7_ZN2at6native12_GLOBAL__N_124unique_dim_cuda_templateIN3c104HalfEEESt5tupleIJNS8_6TensorESF_SF_EERKSF_lbbbEUlllE1_EE10hipError_tPvRmT2_T3_mT4_P12ihipStream_tbEUlT_E_NS1_11comp_targetILNS1_3genE9ELNS1_11target_archE1100ELNS1_3gpuE3ELNS1_3repE0EEENS1_30default_config_static_selectorELNS0_4arch9wavefront6targetE0EEEvT1_,"axG",@progbits,_ZN7rocprim17ROCPRIM_400000_NS6detail17trampoline_kernelINS0_14default_configENS1_35adjacent_difference_config_selectorILb1ElEEZNS1_24adjacent_difference_implIS3_Lb1ELb0EPlS7_ZN2at6native12_GLOBAL__N_124unique_dim_cuda_templateIN3c104HalfEEESt5tupleIJNS8_6TensorESF_SF_EERKSF_lbbbEUlllE1_EE10hipError_tPvRmT2_T3_mT4_P12ihipStream_tbEUlT_E_NS1_11comp_targetILNS1_3genE9ELNS1_11target_archE1100ELNS1_3gpuE3ELNS1_3repE0EEENS1_30default_config_static_selectorELNS0_4arch9wavefront6targetE0EEEvT1_,comdat
.Lfunc_end1293:
	.size	_ZN7rocprim17ROCPRIM_400000_NS6detail17trampoline_kernelINS0_14default_configENS1_35adjacent_difference_config_selectorILb1ElEEZNS1_24adjacent_difference_implIS3_Lb1ELb0EPlS7_ZN2at6native12_GLOBAL__N_124unique_dim_cuda_templateIN3c104HalfEEESt5tupleIJNS8_6TensorESF_SF_EERKSF_lbbbEUlllE1_EE10hipError_tPvRmT2_T3_mT4_P12ihipStream_tbEUlT_E_NS1_11comp_targetILNS1_3genE9ELNS1_11target_archE1100ELNS1_3gpuE3ELNS1_3repE0EEENS1_30default_config_static_selectorELNS0_4arch9wavefront6targetE0EEEvT1_, .Lfunc_end1293-_ZN7rocprim17ROCPRIM_400000_NS6detail17trampoline_kernelINS0_14default_configENS1_35adjacent_difference_config_selectorILb1ElEEZNS1_24adjacent_difference_implIS3_Lb1ELb0EPlS7_ZN2at6native12_GLOBAL__N_124unique_dim_cuda_templateIN3c104HalfEEESt5tupleIJNS8_6TensorESF_SF_EERKSF_lbbbEUlllE1_EE10hipError_tPvRmT2_T3_mT4_P12ihipStream_tbEUlT_E_NS1_11comp_targetILNS1_3genE9ELNS1_11target_archE1100ELNS1_3gpuE3ELNS1_3repE0EEENS1_30default_config_static_selectorELNS0_4arch9wavefront6targetE0EEEvT1_
                                        ; -- End function
	.section	.AMDGPU.csdata,"",@progbits
; Kernel info:
; codeLenInByte = 52032
; NumSgprs: 32
; NumVgprs: 196
; ScratchSize: 0
; MemoryBound: 0
; FloatMode: 240
; IeeeMode: 1
; LDSByteSize: 29696 bytes/workgroup (compile time only)
; SGPRBlocks: 3
; VGPRBlocks: 24
; NumSGPRsForWavesPerEU: 32
; NumVGPRsForWavesPerEU: 196
; Occupancy: 4
; WaveLimiterHint : 1
; COMPUTE_PGM_RSRC2:SCRATCH_EN: 0
; COMPUTE_PGM_RSRC2:USER_SGPR: 15
; COMPUTE_PGM_RSRC2:TRAP_HANDLER: 0
; COMPUTE_PGM_RSRC2:TGID_X_EN: 1
; COMPUTE_PGM_RSRC2:TGID_Y_EN: 0
; COMPUTE_PGM_RSRC2:TGID_Z_EN: 0
; COMPUTE_PGM_RSRC2:TIDIG_COMP_CNT: 0
	.section	.text._ZN7rocprim17ROCPRIM_400000_NS6detail17trampoline_kernelINS0_14default_configENS1_35adjacent_difference_config_selectorILb1ElEEZNS1_24adjacent_difference_implIS3_Lb1ELb0EPlS7_ZN2at6native12_GLOBAL__N_124unique_dim_cuda_templateIN3c104HalfEEESt5tupleIJNS8_6TensorESF_SF_EERKSF_lbbbEUlllE1_EE10hipError_tPvRmT2_T3_mT4_P12ihipStream_tbEUlT_E_NS1_11comp_targetILNS1_3genE8ELNS1_11target_archE1030ELNS1_3gpuE2ELNS1_3repE0EEENS1_30default_config_static_selectorELNS0_4arch9wavefront6targetE0EEEvT1_,"axG",@progbits,_ZN7rocprim17ROCPRIM_400000_NS6detail17trampoline_kernelINS0_14default_configENS1_35adjacent_difference_config_selectorILb1ElEEZNS1_24adjacent_difference_implIS3_Lb1ELb0EPlS7_ZN2at6native12_GLOBAL__N_124unique_dim_cuda_templateIN3c104HalfEEESt5tupleIJNS8_6TensorESF_SF_EERKSF_lbbbEUlllE1_EE10hipError_tPvRmT2_T3_mT4_P12ihipStream_tbEUlT_E_NS1_11comp_targetILNS1_3genE8ELNS1_11target_archE1030ELNS1_3gpuE2ELNS1_3repE0EEENS1_30default_config_static_selectorELNS0_4arch9wavefront6targetE0EEEvT1_,comdat
	.globl	_ZN7rocprim17ROCPRIM_400000_NS6detail17trampoline_kernelINS0_14default_configENS1_35adjacent_difference_config_selectorILb1ElEEZNS1_24adjacent_difference_implIS3_Lb1ELb0EPlS7_ZN2at6native12_GLOBAL__N_124unique_dim_cuda_templateIN3c104HalfEEESt5tupleIJNS8_6TensorESF_SF_EERKSF_lbbbEUlllE1_EE10hipError_tPvRmT2_T3_mT4_P12ihipStream_tbEUlT_E_NS1_11comp_targetILNS1_3genE8ELNS1_11target_archE1030ELNS1_3gpuE2ELNS1_3repE0EEENS1_30default_config_static_selectorELNS0_4arch9wavefront6targetE0EEEvT1_ ; -- Begin function _ZN7rocprim17ROCPRIM_400000_NS6detail17trampoline_kernelINS0_14default_configENS1_35adjacent_difference_config_selectorILb1ElEEZNS1_24adjacent_difference_implIS3_Lb1ELb0EPlS7_ZN2at6native12_GLOBAL__N_124unique_dim_cuda_templateIN3c104HalfEEESt5tupleIJNS8_6TensorESF_SF_EERKSF_lbbbEUlllE1_EE10hipError_tPvRmT2_T3_mT4_P12ihipStream_tbEUlT_E_NS1_11comp_targetILNS1_3genE8ELNS1_11target_archE1030ELNS1_3gpuE2ELNS1_3repE0EEENS1_30default_config_static_selectorELNS0_4arch9wavefront6targetE0EEEvT1_
	.p2align	8
	.type	_ZN7rocprim17ROCPRIM_400000_NS6detail17trampoline_kernelINS0_14default_configENS1_35adjacent_difference_config_selectorILb1ElEEZNS1_24adjacent_difference_implIS3_Lb1ELb0EPlS7_ZN2at6native12_GLOBAL__N_124unique_dim_cuda_templateIN3c104HalfEEESt5tupleIJNS8_6TensorESF_SF_EERKSF_lbbbEUlllE1_EE10hipError_tPvRmT2_T3_mT4_P12ihipStream_tbEUlT_E_NS1_11comp_targetILNS1_3genE8ELNS1_11target_archE1030ELNS1_3gpuE2ELNS1_3repE0EEENS1_30default_config_static_selectorELNS0_4arch9wavefront6targetE0EEEvT1_,@function
_ZN7rocprim17ROCPRIM_400000_NS6detail17trampoline_kernelINS0_14default_configENS1_35adjacent_difference_config_selectorILb1ElEEZNS1_24adjacent_difference_implIS3_Lb1ELb0EPlS7_ZN2at6native12_GLOBAL__N_124unique_dim_cuda_templateIN3c104HalfEEESt5tupleIJNS8_6TensorESF_SF_EERKSF_lbbbEUlllE1_EE10hipError_tPvRmT2_T3_mT4_P12ihipStream_tbEUlT_E_NS1_11comp_targetILNS1_3genE8ELNS1_11target_archE1030ELNS1_3gpuE2ELNS1_3repE0EEENS1_30default_config_static_selectorELNS0_4arch9wavefront6targetE0EEEvT1_: ; @_ZN7rocprim17ROCPRIM_400000_NS6detail17trampoline_kernelINS0_14default_configENS1_35adjacent_difference_config_selectorILb1ElEEZNS1_24adjacent_difference_implIS3_Lb1ELb0EPlS7_ZN2at6native12_GLOBAL__N_124unique_dim_cuda_templateIN3c104HalfEEESt5tupleIJNS8_6TensorESF_SF_EERKSF_lbbbEUlllE1_EE10hipError_tPvRmT2_T3_mT4_P12ihipStream_tbEUlT_E_NS1_11comp_targetILNS1_3genE8ELNS1_11target_archE1030ELNS1_3gpuE2ELNS1_3repE0EEENS1_30default_config_static_selectorELNS0_4arch9wavefront6targetE0EEEvT1_
; %bb.0:
	.section	.rodata,"a",@progbits
	.p2align	6, 0x0
	.amdhsa_kernel _ZN7rocprim17ROCPRIM_400000_NS6detail17trampoline_kernelINS0_14default_configENS1_35adjacent_difference_config_selectorILb1ElEEZNS1_24adjacent_difference_implIS3_Lb1ELb0EPlS7_ZN2at6native12_GLOBAL__N_124unique_dim_cuda_templateIN3c104HalfEEESt5tupleIJNS8_6TensorESF_SF_EERKSF_lbbbEUlllE1_EE10hipError_tPvRmT2_T3_mT4_P12ihipStream_tbEUlT_E_NS1_11comp_targetILNS1_3genE8ELNS1_11target_archE1030ELNS1_3gpuE2ELNS1_3repE0EEENS1_30default_config_static_selectorELNS0_4arch9wavefront6targetE0EEEvT1_
		.amdhsa_group_segment_fixed_size 0
		.amdhsa_private_segment_fixed_size 0
		.amdhsa_kernarg_size 64
		.amdhsa_user_sgpr_count 15
		.amdhsa_user_sgpr_dispatch_ptr 0
		.amdhsa_user_sgpr_queue_ptr 0
		.amdhsa_user_sgpr_kernarg_segment_ptr 1
		.amdhsa_user_sgpr_dispatch_id 0
		.amdhsa_user_sgpr_private_segment_size 0
		.amdhsa_wavefront_size32 1
		.amdhsa_uses_dynamic_stack 0
		.amdhsa_enable_private_segment 0
		.amdhsa_system_sgpr_workgroup_id_x 1
		.amdhsa_system_sgpr_workgroup_id_y 0
		.amdhsa_system_sgpr_workgroup_id_z 0
		.amdhsa_system_sgpr_workgroup_info 0
		.amdhsa_system_vgpr_workitem_id 0
		.amdhsa_next_free_vgpr 1
		.amdhsa_next_free_sgpr 1
		.amdhsa_reserve_vcc 0
		.amdhsa_float_round_mode_32 0
		.amdhsa_float_round_mode_16_64 0
		.amdhsa_float_denorm_mode_32 3
		.amdhsa_float_denorm_mode_16_64 3
		.amdhsa_dx10_clamp 1
		.amdhsa_ieee_mode 1
		.amdhsa_fp16_overflow 0
		.amdhsa_workgroup_processor_mode 1
		.amdhsa_memory_ordered 1
		.amdhsa_forward_progress 0
		.amdhsa_shared_vgpr_count 0
		.amdhsa_exception_fp_ieee_invalid_op 0
		.amdhsa_exception_fp_denorm_src 0
		.amdhsa_exception_fp_ieee_div_zero 0
		.amdhsa_exception_fp_ieee_overflow 0
		.amdhsa_exception_fp_ieee_underflow 0
		.amdhsa_exception_fp_ieee_inexact 0
		.amdhsa_exception_int_div_zero 0
	.end_amdhsa_kernel
	.section	.text._ZN7rocprim17ROCPRIM_400000_NS6detail17trampoline_kernelINS0_14default_configENS1_35adjacent_difference_config_selectorILb1ElEEZNS1_24adjacent_difference_implIS3_Lb1ELb0EPlS7_ZN2at6native12_GLOBAL__N_124unique_dim_cuda_templateIN3c104HalfEEESt5tupleIJNS8_6TensorESF_SF_EERKSF_lbbbEUlllE1_EE10hipError_tPvRmT2_T3_mT4_P12ihipStream_tbEUlT_E_NS1_11comp_targetILNS1_3genE8ELNS1_11target_archE1030ELNS1_3gpuE2ELNS1_3repE0EEENS1_30default_config_static_selectorELNS0_4arch9wavefront6targetE0EEEvT1_,"axG",@progbits,_ZN7rocprim17ROCPRIM_400000_NS6detail17trampoline_kernelINS0_14default_configENS1_35adjacent_difference_config_selectorILb1ElEEZNS1_24adjacent_difference_implIS3_Lb1ELb0EPlS7_ZN2at6native12_GLOBAL__N_124unique_dim_cuda_templateIN3c104HalfEEESt5tupleIJNS8_6TensorESF_SF_EERKSF_lbbbEUlllE1_EE10hipError_tPvRmT2_T3_mT4_P12ihipStream_tbEUlT_E_NS1_11comp_targetILNS1_3genE8ELNS1_11target_archE1030ELNS1_3gpuE2ELNS1_3repE0EEENS1_30default_config_static_selectorELNS0_4arch9wavefront6targetE0EEEvT1_,comdat
.Lfunc_end1294:
	.size	_ZN7rocprim17ROCPRIM_400000_NS6detail17trampoline_kernelINS0_14default_configENS1_35adjacent_difference_config_selectorILb1ElEEZNS1_24adjacent_difference_implIS3_Lb1ELb0EPlS7_ZN2at6native12_GLOBAL__N_124unique_dim_cuda_templateIN3c104HalfEEESt5tupleIJNS8_6TensorESF_SF_EERKSF_lbbbEUlllE1_EE10hipError_tPvRmT2_T3_mT4_P12ihipStream_tbEUlT_E_NS1_11comp_targetILNS1_3genE8ELNS1_11target_archE1030ELNS1_3gpuE2ELNS1_3repE0EEENS1_30default_config_static_selectorELNS0_4arch9wavefront6targetE0EEEvT1_, .Lfunc_end1294-_ZN7rocprim17ROCPRIM_400000_NS6detail17trampoline_kernelINS0_14default_configENS1_35adjacent_difference_config_selectorILb1ElEEZNS1_24adjacent_difference_implIS3_Lb1ELb0EPlS7_ZN2at6native12_GLOBAL__N_124unique_dim_cuda_templateIN3c104HalfEEESt5tupleIJNS8_6TensorESF_SF_EERKSF_lbbbEUlllE1_EE10hipError_tPvRmT2_T3_mT4_P12ihipStream_tbEUlT_E_NS1_11comp_targetILNS1_3genE8ELNS1_11target_archE1030ELNS1_3gpuE2ELNS1_3repE0EEENS1_30default_config_static_selectorELNS0_4arch9wavefront6targetE0EEEvT1_
                                        ; -- End function
	.section	.AMDGPU.csdata,"",@progbits
; Kernel info:
; codeLenInByte = 0
; NumSgprs: 0
; NumVgprs: 0
; ScratchSize: 0
; MemoryBound: 0
; FloatMode: 240
; IeeeMode: 1
; LDSByteSize: 0 bytes/workgroup (compile time only)
; SGPRBlocks: 0
; VGPRBlocks: 0
; NumSGPRsForWavesPerEU: 1
; NumVGPRsForWavesPerEU: 1
; Occupancy: 16
; WaveLimiterHint : 0
; COMPUTE_PGM_RSRC2:SCRATCH_EN: 0
; COMPUTE_PGM_RSRC2:USER_SGPR: 15
; COMPUTE_PGM_RSRC2:TRAP_HANDLER: 0
; COMPUTE_PGM_RSRC2:TGID_X_EN: 1
; COMPUTE_PGM_RSRC2:TGID_Y_EN: 0
; COMPUTE_PGM_RSRC2:TGID_Z_EN: 0
; COMPUTE_PGM_RSRC2:TIDIG_COMP_CNT: 0
	.section	.text._ZN7rocprim17ROCPRIM_400000_NS6detail17trampoline_kernelINS0_14default_configENS1_25partition_config_selectorILNS1_17partition_subalgoE8ElNS0_10empty_typeEbEEZZNS1_14partition_implILS5_8ELb0ES3_jPlPS6_PKS6_NS0_5tupleIJS9_S6_EEENSD_IJSA_SA_EEENS0_18inequality_wrapperIZN2at6native12_GLOBAL__N_124unique_dim_cuda_templateIN3c104HalfEEESt5tupleIJNSH_6TensorESO_SO_EERKSO_lbbbEUlllE0_EEPmJS6_EEE10hipError_tPvRmT3_T4_T5_T6_T7_T9_mT8_P12ihipStream_tbDpT10_ENKUlT_T0_E_clISt17integral_constantIbLb0EES1E_EEDaS19_S1A_EUlS19_E_NS1_11comp_targetILNS1_3genE0ELNS1_11target_archE4294967295ELNS1_3gpuE0ELNS1_3repE0EEENS1_30default_config_static_selectorELNS0_4arch9wavefront6targetE0EEEvT1_,"axG",@progbits,_ZN7rocprim17ROCPRIM_400000_NS6detail17trampoline_kernelINS0_14default_configENS1_25partition_config_selectorILNS1_17partition_subalgoE8ElNS0_10empty_typeEbEEZZNS1_14partition_implILS5_8ELb0ES3_jPlPS6_PKS6_NS0_5tupleIJS9_S6_EEENSD_IJSA_SA_EEENS0_18inequality_wrapperIZN2at6native12_GLOBAL__N_124unique_dim_cuda_templateIN3c104HalfEEESt5tupleIJNSH_6TensorESO_SO_EERKSO_lbbbEUlllE0_EEPmJS6_EEE10hipError_tPvRmT3_T4_T5_T6_T7_T9_mT8_P12ihipStream_tbDpT10_ENKUlT_T0_E_clISt17integral_constantIbLb0EES1E_EEDaS19_S1A_EUlS19_E_NS1_11comp_targetILNS1_3genE0ELNS1_11target_archE4294967295ELNS1_3gpuE0ELNS1_3repE0EEENS1_30default_config_static_selectorELNS0_4arch9wavefront6targetE0EEEvT1_,comdat
	.globl	_ZN7rocprim17ROCPRIM_400000_NS6detail17trampoline_kernelINS0_14default_configENS1_25partition_config_selectorILNS1_17partition_subalgoE8ElNS0_10empty_typeEbEEZZNS1_14partition_implILS5_8ELb0ES3_jPlPS6_PKS6_NS0_5tupleIJS9_S6_EEENSD_IJSA_SA_EEENS0_18inequality_wrapperIZN2at6native12_GLOBAL__N_124unique_dim_cuda_templateIN3c104HalfEEESt5tupleIJNSH_6TensorESO_SO_EERKSO_lbbbEUlllE0_EEPmJS6_EEE10hipError_tPvRmT3_T4_T5_T6_T7_T9_mT8_P12ihipStream_tbDpT10_ENKUlT_T0_E_clISt17integral_constantIbLb0EES1E_EEDaS19_S1A_EUlS19_E_NS1_11comp_targetILNS1_3genE0ELNS1_11target_archE4294967295ELNS1_3gpuE0ELNS1_3repE0EEENS1_30default_config_static_selectorELNS0_4arch9wavefront6targetE0EEEvT1_ ; -- Begin function _ZN7rocprim17ROCPRIM_400000_NS6detail17trampoline_kernelINS0_14default_configENS1_25partition_config_selectorILNS1_17partition_subalgoE8ElNS0_10empty_typeEbEEZZNS1_14partition_implILS5_8ELb0ES3_jPlPS6_PKS6_NS0_5tupleIJS9_S6_EEENSD_IJSA_SA_EEENS0_18inequality_wrapperIZN2at6native12_GLOBAL__N_124unique_dim_cuda_templateIN3c104HalfEEESt5tupleIJNSH_6TensorESO_SO_EERKSO_lbbbEUlllE0_EEPmJS6_EEE10hipError_tPvRmT3_T4_T5_T6_T7_T9_mT8_P12ihipStream_tbDpT10_ENKUlT_T0_E_clISt17integral_constantIbLb0EES1E_EEDaS19_S1A_EUlS19_E_NS1_11comp_targetILNS1_3genE0ELNS1_11target_archE4294967295ELNS1_3gpuE0ELNS1_3repE0EEENS1_30default_config_static_selectorELNS0_4arch9wavefront6targetE0EEEvT1_
	.p2align	8
	.type	_ZN7rocprim17ROCPRIM_400000_NS6detail17trampoline_kernelINS0_14default_configENS1_25partition_config_selectorILNS1_17partition_subalgoE8ElNS0_10empty_typeEbEEZZNS1_14partition_implILS5_8ELb0ES3_jPlPS6_PKS6_NS0_5tupleIJS9_S6_EEENSD_IJSA_SA_EEENS0_18inequality_wrapperIZN2at6native12_GLOBAL__N_124unique_dim_cuda_templateIN3c104HalfEEESt5tupleIJNSH_6TensorESO_SO_EERKSO_lbbbEUlllE0_EEPmJS6_EEE10hipError_tPvRmT3_T4_T5_T6_T7_T9_mT8_P12ihipStream_tbDpT10_ENKUlT_T0_E_clISt17integral_constantIbLb0EES1E_EEDaS19_S1A_EUlS19_E_NS1_11comp_targetILNS1_3genE0ELNS1_11target_archE4294967295ELNS1_3gpuE0ELNS1_3repE0EEENS1_30default_config_static_selectorELNS0_4arch9wavefront6targetE0EEEvT1_,@function
_ZN7rocprim17ROCPRIM_400000_NS6detail17trampoline_kernelINS0_14default_configENS1_25partition_config_selectorILNS1_17partition_subalgoE8ElNS0_10empty_typeEbEEZZNS1_14partition_implILS5_8ELb0ES3_jPlPS6_PKS6_NS0_5tupleIJS9_S6_EEENSD_IJSA_SA_EEENS0_18inequality_wrapperIZN2at6native12_GLOBAL__N_124unique_dim_cuda_templateIN3c104HalfEEESt5tupleIJNSH_6TensorESO_SO_EERKSO_lbbbEUlllE0_EEPmJS6_EEE10hipError_tPvRmT3_T4_T5_T6_T7_T9_mT8_P12ihipStream_tbDpT10_ENKUlT_T0_E_clISt17integral_constantIbLb0EES1E_EEDaS19_S1A_EUlS19_E_NS1_11comp_targetILNS1_3genE0ELNS1_11target_archE4294967295ELNS1_3gpuE0ELNS1_3repE0EEENS1_30default_config_static_selectorELNS0_4arch9wavefront6targetE0EEEvT1_: ; @_ZN7rocprim17ROCPRIM_400000_NS6detail17trampoline_kernelINS0_14default_configENS1_25partition_config_selectorILNS1_17partition_subalgoE8ElNS0_10empty_typeEbEEZZNS1_14partition_implILS5_8ELb0ES3_jPlPS6_PKS6_NS0_5tupleIJS9_S6_EEENSD_IJSA_SA_EEENS0_18inequality_wrapperIZN2at6native12_GLOBAL__N_124unique_dim_cuda_templateIN3c104HalfEEESt5tupleIJNSH_6TensorESO_SO_EERKSO_lbbbEUlllE0_EEPmJS6_EEE10hipError_tPvRmT3_T4_T5_T6_T7_T9_mT8_P12ihipStream_tbDpT10_ENKUlT_T0_E_clISt17integral_constantIbLb0EES1E_EEDaS19_S1A_EUlS19_E_NS1_11comp_targetILNS1_3genE0ELNS1_11target_archE4294967295ELNS1_3gpuE0ELNS1_3repE0EEENS1_30default_config_static_selectorELNS0_4arch9wavefront6targetE0EEEvT1_
; %bb.0:
	.section	.rodata,"a",@progbits
	.p2align	6, 0x0
	.amdhsa_kernel _ZN7rocprim17ROCPRIM_400000_NS6detail17trampoline_kernelINS0_14default_configENS1_25partition_config_selectorILNS1_17partition_subalgoE8ElNS0_10empty_typeEbEEZZNS1_14partition_implILS5_8ELb0ES3_jPlPS6_PKS6_NS0_5tupleIJS9_S6_EEENSD_IJSA_SA_EEENS0_18inequality_wrapperIZN2at6native12_GLOBAL__N_124unique_dim_cuda_templateIN3c104HalfEEESt5tupleIJNSH_6TensorESO_SO_EERKSO_lbbbEUlllE0_EEPmJS6_EEE10hipError_tPvRmT3_T4_T5_T6_T7_T9_mT8_P12ihipStream_tbDpT10_ENKUlT_T0_E_clISt17integral_constantIbLb0EES1E_EEDaS19_S1A_EUlS19_E_NS1_11comp_targetILNS1_3genE0ELNS1_11target_archE4294967295ELNS1_3gpuE0ELNS1_3repE0EEENS1_30default_config_static_selectorELNS0_4arch9wavefront6targetE0EEEvT1_
		.amdhsa_group_segment_fixed_size 0
		.amdhsa_private_segment_fixed_size 0
		.amdhsa_kernarg_size 120
		.amdhsa_user_sgpr_count 15
		.amdhsa_user_sgpr_dispatch_ptr 0
		.amdhsa_user_sgpr_queue_ptr 0
		.amdhsa_user_sgpr_kernarg_segment_ptr 1
		.amdhsa_user_sgpr_dispatch_id 0
		.amdhsa_user_sgpr_private_segment_size 0
		.amdhsa_wavefront_size32 1
		.amdhsa_uses_dynamic_stack 0
		.amdhsa_enable_private_segment 0
		.amdhsa_system_sgpr_workgroup_id_x 1
		.amdhsa_system_sgpr_workgroup_id_y 0
		.amdhsa_system_sgpr_workgroup_id_z 0
		.amdhsa_system_sgpr_workgroup_info 0
		.amdhsa_system_vgpr_workitem_id 0
		.amdhsa_next_free_vgpr 1
		.amdhsa_next_free_sgpr 1
		.amdhsa_reserve_vcc 0
		.amdhsa_float_round_mode_32 0
		.amdhsa_float_round_mode_16_64 0
		.amdhsa_float_denorm_mode_32 3
		.amdhsa_float_denorm_mode_16_64 3
		.amdhsa_dx10_clamp 1
		.amdhsa_ieee_mode 1
		.amdhsa_fp16_overflow 0
		.amdhsa_workgroup_processor_mode 1
		.amdhsa_memory_ordered 1
		.amdhsa_forward_progress 0
		.amdhsa_shared_vgpr_count 0
		.amdhsa_exception_fp_ieee_invalid_op 0
		.amdhsa_exception_fp_denorm_src 0
		.amdhsa_exception_fp_ieee_div_zero 0
		.amdhsa_exception_fp_ieee_overflow 0
		.amdhsa_exception_fp_ieee_underflow 0
		.amdhsa_exception_fp_ieee_inexact 0
		.amdhsa_exception_int_div_zero 0
	.end_amdhsa_kernel
	.section	.text._ZN7rocprim17ROCPRIM_400000_NS6detail17trampoline_kernelINS0_14default_configENS1_25partition_config_selectorILNS1_17partition_subalgoE8ElNS0_10empty_typeEbEEZZNS1_14partition_implILS5_8ELb0ES3_jPlPS6_PKS6_NS0_5tupleIJS9_S6_EEENSD_IJSA_SA_EEENS0_18inequality_wrapperIZN2at6native12_GLOBAL__N_124unique_dim_cuda_templateIN3c104HalfEEESt5tupleIJNSH_6TensorESO_SO_EERKSO_lbbbEUlllE0_EEPmJS6_EEE10hipError_tPvRmT3_T4_T5_T6_T7_T9_mT8_P12ihipStream_tbDpT10_ENKUlT_T0_E_clISt17integral_constantIbLb0EES1E_EEDaS19_S1A_EUlS19_E_NS1_11comp_targetILNS1_3genE0ELNS1_11target_archE4294967295ELNS1_3gpuE0ELNS1_3repE0EEENS1_30default_config_static_selectorELNS0_4arch9wavefront6targetE0EEEvT1_,"axG",@progbits,_ZN7rocprim17ROCPRIM_400000_NS6detail17trampoline_kernelINS0_14default_configENS1_25partition_config_selectorILNS1_17partition_subalgoE8ElNS0_10empty_typeEbEEZZNS1_14partition_implILS5_8ELb0ES3_jPlPS6_PKS6_NS0_5tupleIJS9_S6_EEENSD_IJSA_SA_EEENS0_18inequality_wrapperIZN2at6native12_GLOBAL__N_124unique_dim_cuda_templateIN3c104HalfEEESt5tupleIJNSH_6TensorESO_SO_EERKSO_lbbbEUlllE0_EEPmJS6_EEE10hipError_tPvRmT3_T4_T5_T6_T7_T9_mT8_P12ihipStream_tbDpT10_ENKUlT_T0_E_clISt17integral_constantIbLb0EES1E_EEDaS19_S1A_EUlS19_E_NS1_11comp_targetILNS1_3genE0ELNS1_11target_archE4294967295ELNS1_3gpuE0ELNS1_3repE0EEENS1_30default_config_static_selectorELNS0_4arch9wavefront6targetE0EEEvT1_,comdat
.Lfunc_end1295:
	.size	_ZN7rocprim17ROCPRIM_400000_NS6detail17trampoline_kernelINS0_14default_configENS1_25partition_config_selectorILNS1_17partition_subalgoE8ElNS0_10empty_typeEbEEZZNS1_14partition_implILS5_8ELb0ES3_jPlPS6_PKS6_NS0_5tupleIJS9_S6_EEENSD_IJSA_SA_EEENS0_18inequality_wrapperIZN2at6native12_GLOBAL__N_124unique_dim_cuda_templateIN3c104HalfEEESt5tupleIJNSH_6TensorESO_SO_EERKSO_lbbbEUlllE0_EEPmJS6_EEE10hipError_tPvRmT3_T4_T5_T6_T7_T9_mT8_P12ihipStream_tbDpT10_ENKUlT_T0_E_clISt17integral_constantIbLb0EES1E_EEDaS19_S1A_EUlS19_E_NS1_11comp_targetILNS1_3genE0ELNS1_11target_archE4294967295ELNS1_3gpuE0ELNS1_3repE0EEENS1_30default_config_static_selectorELNS0_4arch9wavefront6targetE0EEEvT1_, .Lfunc_end1295-_ZN7rocprim17ROCPRIM_400000_NS6detail17trampoline_kernelINS0_14default_configENS1_25partition_config_selectorILNS1_17partition_subalgoE8ElNS0_10empty_typeEbEEZZNS1_14partition_implILS5_8ELb0ES3_jPlPS6_PKS6_NS0_5tupleIJS9_S6_EEENSD_IJSA_SA_EEENS0_18inequality_wrapperIZN2at6native12_GLOBAL__N_124unique_dim_cuda_templateIN3c104HalfEEESt5tupleIJNSH_6TensorESO_SO_EERKSO_lbbbEUlllE0_EEPmJS6_EEE10hipError_tPvRmT3_T4_T5_T6_T7_T9_mT8_P12ihipStream_tbDpT10_ENKUlT_T0_E_clISt17integral_constantIbLb0EES1E_EEDaS19_S1A_EUlS19_E_NS1_11comp_targetILNS1_3genE0ELNS1_11target_archE4294967295ELNS1_3gpuE0ELNS1_3repE0EEENS1_30default_config_static_selectorELNS0_4arch9wavefront6targetE0EEEvT1_
                                        ; -- End function
	.section	.AMDGPU.csdata,"",@progbits
; Kernel info:
; codeLenInByte = 0
; NumSgprs: 0
; NumVgprs: 0
; ScratchSize: 0
; MemoryBound: 0
; FloatMode: 240
; IeeeMode: 1
; LDSByteSize: 0 bytes/workgroup (compile time only)
; SGPRBlocks: 0
; VGPRBlocks: 0
; NumSGPRsForWavesPerEU: 1
; NumVGPRsForWavesPerEU: 1
; Occupancy: 16
; WaveLimiterHint : 0
; COMPUTE_PGM_RSRC2:SCRATCH_EN: 0
; COMPUTE_PGM_RSRC2:USER_SGPR: 15
; COMPUTE_PGM_RSRC2:TRAP_HANDLER: 0
; COMPUTE_PGM_RSRC2:TGID_X_EN: 1
; COMPUTE_PGM_RSRC2:TGID_Y_EN: 0
; COMPUTE_PGM_RSRC2:TGID_Z_EN: 0
; COMPUTE_PGM_RSRC2:TIDIG_COMP_CNT: 0
	.section	.text._ZN7rocprim17ROCPRIM_400000_NS6detail17trampoline_kernelINS0_14default_configENS1_25partition_config_selectorILNS1_17partition_subalgoE8ElNS0_10empty_typeEbEEZZNS1_14partition_implILS5_8ELb0ES3_jPlPS6_PKS6_NS0_5tupleIJS9_S6_EEENSD_IJSA_SA_EEENS0_18inequality_wrapperIZN2at6native12_GLOBAL__N_124unique_dim_cuda_templateIN3c104HalfEEESt5tupleIJNSH_6TensorESO_SO_EERKSO_lbbbEUlllE0_EEPmJS6_EEE10hipError_tPvRmT3_T4_T5_T6_T7_T9_mT8_P12ihipStream_tbDpT10_ENKUlT_T0_E_clISt17integral_constantIbLb0EES1E_EEDaS19_S1A_EUlS19_E_NS1_11comp_targetILNS1_3genE5ELNS1_11target_archE942ELNS1_3gpuE9ELNS1_3repE0EEENS1_30default_config_static_selectorELNS0_4arch9wavefront6targetE0EEEvT1_,"axG",@progbits,_ZN7rocprim17ROCPRIM_400000_NS6detail17trampoline_kernelINS0_14default_configENS1_25partition_config_selectorILNS1_17partition_subalgoE8ElNS0_10empty_typeEbEEZZNS1_14partition_implILS5_8ELb0ES3_jPlPS6_PKS6_NS0_5tupleIJS9_S6_EEENSD_IJSA_SA_EEENS0_18inequality_wrapperIZN2at6native12_GLOBAL__N_124unique_dim_cuda_templateIN3c104HalfEEESt5tupleIJNSH_6TensorESO_SO_EERKSO_lbbbEUlllE0_EEPmJS6_EEE10hipError_tPvRmT3_T4_T5_T6_T7_T9_mT8_P12ihipStream_tbDpT10_ENKUlT_T0_E_clISt17integral_constantIbLb0EES1E_EEDaS19_S1A_EUlS19_E_NS1_11comp_targetILNS1_3genE5ELNS1_11target_archE942ELNS1_3gpuE9ELNS1_3repE0EEENS1_30default_config_static_selectorELNS0_4arch9wavefront6targetE0EEEvT1_,comdat
	.globl	_ZN7rocprim17ROCPRIM_400000_NS6detail17trampoline_kernelINS0_14default_configENS1_25partition_config_selectorILNS1_17partition_subalgoE8ElNS0_10empty_typeEbEEZZNS1_14partition_implILS5_8ELb0ES3_jPlPS6_PKS6_NS0_5tupleIJS9_S6_EEENSD_IJSA_SA_EEENS0_18inequality_wrapperIZN2at6native12_GLOBAL__N_124unique_dim_cuda_templateIN3c104HalfEEESt5tupleIJNSH_6TensorESO_SO_EERKSO_lbbbEUlllE0_EEPmJS6_EEE10hipError_tPvRmT3_T4_T5_T6_T7_T9_mT8_P12ihipStream_tbDpT10_ENKUlT_T0_E_clISt17integral_constantIbLb0EES1E_EEDaS19_S1A_EUlS19_E_NS1_11comp_targetILNS1_3genE5ELNS1_11target_archE942ELNS1_3gpuE9ELNS1_3repE0EEENS1_30default_config_static_selectorELNS0_4arch9wavefront6targetE0EEEvT1_ ; -- Begin function _ZN7rocprim17ROCPRIM_400000_NS6detail17trampoline_kernelINS0_14default_configENS1_25partition_config_selectorILNS1_17partition_subalgoE8ElNS0_10empty_typeEbEEZZNS1_14partition_implILS5_8ELb0ES3_jPlPS6_PKS6_NS0_5tupleIJS9_S6_EEENSD_IJSA_SA_EEENS0_18inequality_wrapperIZN2at6native12_GLOBAL__N_124unique_dim_cuda_templateIN3c104HalfEEESt5tupleIJNSH_6TensorESO_SO_EERKSO_lbbbEUlllE0_EEPmJS6_EEE10hipError_tPvRmT3_T4_T5_T6_T7_T9_mT8_P12ihipStream_tbDpT10_ENKUlT_T0_E_clISt17integral_constantIbLb0EES1E_EEDaS19_S1A_EUlS19_E_NS1_11comp_targetILNS1_3genE5ELNS1_11target_archE942ELNS1_3gpuE9ELNS1_3repE0EEENS1_30default_config_static_selectorELNS0_4arch9wavefront6targetE0EEEvT1_
	.p2align	8
	.type	_ZN7rocprim17ROCPRIM_400000_NS6detail17trampoline_kernelINS0_14default_configENS1_25partition_config_selectorILNS1_17partition_subalgoE8ElNS0_10empty_typeEbEEZZNS1_14partition_implILS5_8ELb0ES3_jPlPS6_PKS6_NS0_5tupleIJS9_S6_EEENSD_IJSA_SA_EEENS0_18inequality_wrapperIZN2at6native12_GLOBAL__N_124unique_dim_cuda_templateIN3c104HalfEEESt5tupleIJNSH_6TensorESO_SO_EERKSO_lbbbEUlllE0_EEPmJS6_EEE10hipError_tPvRmT3_T4_T5_T6_T7_T9_mT8_P12ihipStream_tbDpT10_ENKUlT_T0_E_clISt17integral_constantIbLb0EES1E_EEDaS19_S1A_EUlS19_E_NS1_11comp_targetILNS1_3genE5ELNS1_11target_archE942ELNS1_3gpuE9ELNS1_3repE0EEENS1_30default_config_static_selectorELNS0_4arch9wavefront6targetE0EEEvT1_,@function
_ZN7rocprim17ROCPRIM_400000_NS6detail17trampoline_kernelINS0_14default_configENS1_25partition_config_selectorILNS1_17partition_subalgoE8ElNS0_10empty_typeEbEEZZNS1_14partition_implILS5_8ELb0ES3_jPlPS6_PKS6_NS0_5tupleIJS9_S6_EEENSD_IJSA_SA_EEENS0_18inequality_wrapperIZN2at6native12_GLOBAL__N_124unique_dim_cuda_templateIN3c104HalfEEESt5tupleIJNSH_6TensorESO_SO_EERKSO_lbbbEUlllE0_EEPmJS6_EEE10hipError_tPvRmT3_T4_T5_T6_T7_T9_mT8_P12ihipStream_tbDpT10_ENKUlT_T0_E_clISt17integral_constantIbLb0EES1E_EEDaS19_S1A_EUlS19_E_NS1_11comp_targetILNS1_3genE5ELNS1_11target_archE942ELNS1_3gpuE9ELNS1_3repE0EEENS1_30default_config_static_selectorELNS0_4arch9wavefront6targetE0EEEvT1_: ; @_ZN7rocprim17ROCPRIM_400000_NS6detail17trampoline_kernelINS0_14default_configENS1_25partition_config_selectorILNS1_17partition_subalgoE8ElNS0_10empty_typeEbEEZZNS1_14partition_implILS5_8ELb0ES3_jPlPS6_PKS6_NS0_5tupleIJS9_S6_EEENSD_IJSA_SA_EEENS0_18inequality_wrapperIZN2at6native12_GLOBAL__N_124unique_dim_cuda_templateIN3c104HalfEEESt5tupleIJNSH_6TensorESO_SO_EERKSO_lbbbEUlllE0_EEPmJS6_EEE10hipError_tPvRmT3_T4_T5_T6_T7_T9_mT8_P12ihipStream_tbDpT10_ENKUlT_T0_E_clISt17integral_constantIbLb0EES1E_EEDaS19_S1A_EUlS19_E_NS1_11comp_targetILNS1_3genE5ELNS1_11target_archE942ELNS1_3gpuE9ELNS1_3repE0EEENS1_30default_config_static_selectorELNS0_4arch9wavefront6targetE0EEEvT1_
; %bb.0:
	.section	.rodata,"a",@progbits
	.p2align	6, 0x0
	.amdhsa_kernel _ZN7rocprim17ROCPRIM_400000_NS6detail17trampoline_kernelINS0_14default_configENS1_25partition_config_selectorILNS1_17partition_subalgoE8ElNS0_10empty_typeEbEEZZNS1_14partition_implILS5_8ELb0ES3_jPlPS6_PKS6_NS0_5tupleIJS9_S6_EEENSD_IJSA_SA_EEENS0_18inequality_wrapperIZN2at6native12_GLOBAL__N_124unique_dim_cuda_templateIN3c104HalfEEESt5tupleIJNSH_6TensorESO_SO_EERKSO_lbbbEUlllE0_EEPmJS6_EEE10hipError_tPvRmT3_T4_T5_T6_T7_T9_mT8_P12ihipStream_tbDpT10_ENKUlT_T0_E_clISt17integral_constantIbLb0EES1E_EEDaS19_S1A_EUlS19_E_NS1_11comp_targetILNS1_3genE5ELNS1_11target_archE942ELNS1_3gpuE9ELNS1_3repE0EEENS1_30default_config_static_selectorELNS0_4arch9wavefront6targetE0EEEvT1_
		.amdhsa_group_segment_fixed_size 0
		.amdhsa_private_segment_fixed_size 0
		.amdhsa_kernarg_size 120
		.amdhsa_user_sgpr_count 15
		.amdhsa_user_sgpr_dispatch_ptr 0
		.amdhsa_user_sgpr_queue_ptr 0
		.amdhsa_user_sgpr_kernarg_segment_ptr 1
		.amdhsa_user_sgpr_dispatch_id 0
		.amdhsa_user_sgpr_private_segment_size 0
		.amdhsa_wavefront_size32 1
		.amdhsa_uses_dynamic_stack 0
		.amdhsa_enable_private_segment 0
		.amdhsa_system_sgpr_workgroup_id_x 1
		.amdhsa_system_sgpr_workgroup_id_y 0
		.amdhsa_system_sgpr_workgroup_id_z 0
		.amdhsa_system_sgpr_workgroup_info 0
		.amdhsa_system_vgpr_workitem_id 0
		.amdhsa_next_free_vgpr 1
		.amdhsa_next_free_sgpr 1
		.amdhsa_reserve_vcc 0
		.amdhsa_float_round_mode_32 0
		.amdhsa_float_round_mode_16_64 0
		.amdhsa_float_denorm_mode_32 3
		.amdhsa_float_denorm_mode_16_64 3
		.amdhsa_dx10_clamp 1
		.amdhsa_ieee_mode 1
		.amdhsa_fp16_overflow 0
		.amdhsa_workgroup_processor_mode 1
		.amdhsa_memory_ordered 1
		.amdhsa_forward_progress 0
		.amdhsa_shared_vgpr_count 0
		.amdhsa_exception_fp_ieee_invalid_op 0
		.amdhsa_exception_fp_denorm_src 0
		.amdhsa_exception_fp_ieee_div_zero 0
		.amdhsa_exception_fp_ieee_overflow 0
		.amdhsa_exception_fp_ieee_underflow 0
		.amdhsa_exception_fp_ieee_inexact 0
		.amdhsa_exception_int_div_zero 0
	.end_amdhsa_kernel
	.section	.text._ZN7rocprim17ROCPRIM_400000_NS6detail17trampoline_kernelINS0_14default_configENS1_25partition_config_selectorILNS1_17partition_subalgoE8ElNS0_10empty_typeEbEEZZNS1_14partition_implILS5_8ELb0ES3_jPlPS6_PKS6_NS0_5tupleIJS9_S6_EEENSD_IJSA_SA_EEENS0_18inequality_wrapperIZN2at6native12_GLOBAL__N_124unique_dim_cuda_templateIN3c104HalfEEESt5tupleIJNSH_6TensorESO_SO_EERKSO_lbbbEUlllE0_EEPmJS6_EEE10hipError_tPvRmT3_T4_T5_T6_T7_T9_mT8_P12ihipStream_tbDpT10_ENKUlT_T0_E_clISt17integral_constantIbLb0EES1E_EEDaS19_S1A_EUlS19_E_NS1_11comp_targetILNS1_3genE5ELNS1_11target_archE942ELNS1_3gpuE9ELNS1_3repE0EEENS1_30default_config_static_selectorELNS0_4arch9wavefront6targetE0EEEvT1_,"axG",@progbits,_ZN7rocprim17ROCPRIM_400000_NS6detail17trampoline_kernelINS0_14default_configENS1_25partition_config_selectorILNS1_17partition_subalgoE8ElNS0_10empty_typeEbEEZZNS1_14partition_implILS5_8ELb0ES3_jPlPS6_PKS6_NS0_5tupleIJS9_S6_EEENSD_IJSA_SA_EEENS0_18inequality_wrapperIZN2at6native12_GLOBAL__N_124unique_dim_cuda_templateIN3c104HalfEEESt5tupleIJNSH_6TensorESO_SO_EERKSO_lbbbEUlllE0_EEPmJS6_EEE10hipError_tPvRmT3_T4_T5_T6_T7_T9_mT8_P12ihipStream_tbDpT10_ENKUlT_T0_E_clISt17integral_constantIbLb0EES1E_EEDaS19_S1A_EUlS19_E_NS1_11comp_targetILNS1_3genE5ELNS1_11target_archE942ELNS1_3gpuE9ELNS1_3repE0EEENS1_30default_config_static_selectorELNS0_4arch9wavefront6targetE0EEEvT1_,comdat
.Lfunc_end1296:
	.size	_ZN7rocprim17ROCPRIM_400000_NS6detail17trampoline_kernelINS0_14default_configENS1_25partition_config_selectorILNS1_17partition_subalgoE8ElNS0_10empty_typeEbEEZZNS1_14partition_implILS5_8ELb0ES3_jPlPS6_PKS6_NS0_5tupleIJS9_S6_EEENSD_IJSA_SA_EEENS0_18inequality_wrapperIZN2at6native12_GLOBAL__N_124unique_dim_cuda_templateIN3c104HalfEEESt5tupleIJNSH_6TensorESO_SO_EERKSO_lbbbEUlllE0_EEPmJS6_EEE10hipError_tPvRmT3_T4_T5_T6_T7_T9_mT8_P12ihipStream_tbDpT10_ENKUlT_T0_E_clISt17integral_constantIbLb0EES1E_EEDaS19_S1A_EUlS19_E_NS1_11comp_targetILNS1_3genE5ELNS1_11target_archE942ELNS1_3gpuE9ELNS1_3repE0EEENS1_30default_config_static_selectorELNS0_4arch9wavefront6targetE0EEEvT1_, .Lfunc_end1296-_ZN7rocprim17ROCPRIM_400000_NS6detail17trampoline_kernelINS0_14default_configENS1_25partition_config_selectorILNS1_17partition_subalgoE8ElNS0_10empty_typeEbEEZZNS1_14partition_implILS5_8ELb0ES3_jPlPS6_PKS6_NS0_5tupleIJS9_S6_EEENSD_IJSA_SA_EEENS0_18inequality_wrapperIZN2at6native12_GLOBAL__N_124unique_dim_cuda_templateIN3c104HalfEEESt5tupleIJNSH_6TensorESO_SO_EERKSO_lbbbEUlllE0_EEPmJS6_EEE10hipError_tPvRmT3_T4_T5_T6_T7_T9_mT8_P12ihipStream_tbDpT10_ENKUlT_T0_E_clISt17integral_constantIbLb0EES1E_EEDaS19_S1A_EUlS19_E_NS1_11comp_targetILNS1_3genE5ELNS1_11target_archE942ELNS1_3gpuE9ELNS1_3repE0EEENS1_30default_config_static_selectorELNS0_4arch9wavefront6targetE0EEEvT1_
                                        ; -- End function
	.section	.AMDGPU.csdata,"",@progbits
; Kernel info:
; codeLenInByte = 0
; NumSgprs: 0
; NumVgprs: 0
; ScratchSize: 0
; MemoryBound: 0
; FloatMode: 240
; IeeeMode: 1
; LDSByteSize: 0 bytes/workgroup (compile time only)
; SGPRBlocks: 0
; VGPRBlocks: 0
; NumSGPRsForWavesPerEU: 1
; NumVGPRsForWavesPerEU: 1
; Occupancy: 16
; WaveLimiterHint : 0
; COMPUTE_PGM_RSRC2:SCRATCH_EN: 0
; COMPUTE_PGM_RSRC2:USER_SGPR: 15
; COMPUTE_PGM_RSRC2:TRAP_HANDLER: 0
; COMPUTE_PGM_RSRC2:TGID_X_EN: 1
; COMPUTE_PGM_RSRC2:TGID_Y_EN: 0
; COMPUTE_PGM_RSRC2:TGID_Z_EN: 0
; COMPUTE_PGM_RSRC2:TIDIG_COMP_CNT: 0
	.section	.text._ZN7rocprim17ROCPRIM_400000_NS6detail17trampoline_kernelINS0_14default_configENS1_25partition_config_selectorILNS1_17partition_subalgoE8ElNS0_10empty_typeEbEEZZNS1_14partition_implILS5_8ELb0ES3_jPlPS6_PKS6_NS0_5tupleIJS9_S6_EEENSD_IJSA_SA_EEENS0_18inequality_wrapperIZN2at6native12_GLOBAL__N_124unique_dim_cuda_templateIN3c104HalfEEESt5tupleIJNSH_6TensorESO_SO_EERKSO_lbbbEUlllE0_EEPmJS6_EEE10hipError_tPvRmT3_T4_T5_T6_T7_T9_mT8_P12ihipStream_tbDpT10_ENKUlT_T0_E_clISt17integral_constantIbLb0EES1E_EEDaS19_S1A_EUlS19_E_NS1_11comp_targetILNS1_3genE4ELNS1_11target_archE910ELNS1_3gpuE8ELNS1_3repE0EEENS1_30default_config_static_selectorELNS0_4arch9wavefront6targetE0EEEvT1_,"axG",@progbits,_ZN7rocprim17ROCPRIM_400000_NS6detail17trampoline_kernelINS0_14default_configENS1_25partition_config_selectorILNS1_17partition_subalgoE8ElNS0_10empty_typeEbEEZZNS1_14partition_implILS5_8ELb0ES3_jPlPS6_PKS6_NS0_5tupleIJS9_S6_EEENSD_IJSA_SA_EEENS0_18inequality_wrapperIZN2at6native12_GLOBAL__N_124unique_dim_cuda_templateIN3c104HalfEEESt5tupleIJNSH_6TensorESO_SO_EERKSO_lbbbEUlllE0_EEPmJS6_EEE10hipError_tPvRmT3_T4_T5_T6_T7_T9_mT8_P12ihipStream_tbDpT10_ENKUlT_T0_E_clISt17integral_constantIbLb0EES1E_EEDaS19_S1A_EUlS19_E_NS1_11comp_targetILNS1_3genE4ELNS1_11target_archE910ELNS1_3gpuE8ELNS1_3repE0EEENS1_30default_config_static_selectorELNS0_4arch9wavefront6targetE0EEEvT1_,comdat
	.globl	_ZN7rocprim17ROCPRIM_400000_NS6detail17trampoline_kernelINS0_14default_configENS1_25partition_config_selectorILNS1_17partition_subalgoE8ElNS0_10empty_typeEbEEZZNS1_14partition_implILS5_8ELb0ES3_jPlPS6_PKS6_NS0_5tupleIJS9_S6_EEENSD_IJSA_SA_EEENS0_18inequality_wrapperIZN2at6native12_GLOBAL__N_124unique_dim_cuda_templateIN3c104HalfEEESt5tupleIJNSH_6TensorESO_SO_EERKSO_lbbbEUlllE0_EEPmJS6_EEE10hipError_tPvRmT3_T4_T5_T6_T7_T9_mT8_P12ihipStream_tbDpT10_ENKUlT_T0_E_clISt17integral_constantIbLb0EES1E_EEDaS19_S1A_EUlS19_E_NS1_11comp_targetILNS1_3genE4ELNS1_11target_archE910ELNS1_3gpuE8ELNS1_3repE0EEENS1_30default_config_static_selectorELNS0_4arch9wavefront6targetE0EEEvT1_ ; -- Begin function _ZN7rocprim17ROCPRIM_400000_NS6detail17trampoline_kernelINS0_14default_configENS1_25partition_config_selectorILNS1_17partition_subalgoE8ElNS0_10empty_typeEbEEZZNS1_14partition_implILS5_8ELb0ES3_jPlPS6_PKS6_NS0_5tupleIJS9_S6_EEENSD_IJSA_SA_EEENS0_18inequality_wrapperIZN2at6native12_GLOBAL__N_124unique_dim_cuda_templateIN3c104HalfEEESt5tupleIJNSH_6TensorESO_SO_EERKSO_lbbbEUlllE0_EEPmJS6_EEE10hipError_tPvRmT3_T4_T5_T6_T7_T9_mT8_P12ihipStream_tbDpT10_ENKUlT_T0_E_clISt17integral_constantIbLb0EES1E_EEDaS19_S1A_EUlS19_E_NS1_11comp_targetILNS1_3genE4ELNS1_11target_archE910ELNS1_3gpuE8ELNS1_3repE0EEENS1_30default_config_static_selectorELNS0_4arch9wavefront6targetE0EEEvT1_
	.p2align	8
	.type	_ZN7rocprim17ROCPRIM_400000_NS6detail17trampoline_kernelINS0_14default_configENS1_25partition_config_selectorILNS1_17partition_subalgoE8ElNS0_10empty_typeEbEEZZNS1_14partition_implILS5_8ELb0ES3_jPlPS6_PKS6_NS0_5tupleIJS9_S6_EEENSD_IJSA_SA_EEENS0_18inequality_wrapperIZN2at6native12_GLOBAL__N_124unique_dim_cuda_templateIN3c104HalfEEESt5tupleIJNSH_6TensorESO_SO_EERKSO_lbbbEUlllE0_EEPmJS6_EEE10hipError_tPvRmT3_T4_T5_T6_T7_T9_mT8_P12ihipStream_tbDpT10_ENKUlT_T0_E_clISt17integral_constantIbLb0EES1E_EEDaS19_S1A_EUlS19_E_NS1_11comp_targetILNS1_3genE4ELNS1_11target_archE910ELNS1_3gpuE8ELNS1_3repE0EEENS1_30default_config_static_selectorELNS0_4arch9wavefront6targetE0EEEvT1_,@function
_ZN7rocprim17ROCPRIM_400000_NS6detail17trampoline_kernelINS0_14default_configENS1_25partition_config_selectorILNS1_17partition_subalgoE8ElNS0_10empty_typeEbEEZZNS1_14partition_implILS5_8ELb0ES3_jPlPS6_PKS6_NS0_5tupleIJS9_S6_EEENSD_IJSA_SA_EEENS0_18inequality_wrapperIZN2at6native12_GLOBAL__N_124unique_dim_cuda_templateIN3c104HalfEEESt5tupleIJNSH_6TensorESO_SO_EERKSO_lbbbEUlllE0_EEPmJS6_EEE10hipError_tPvRmT3_T4_T5_T6_T7_T9_mT8_P12ihipStream_tbDpT10_ENKUlT_T0_E_clISt17integral_constantIbLb0EES1E_EEDaS19_S1A_EUlS19_E_NS1_11comp_targetILNS1_3genE4ELNS1_11target_archE910ELNS1_3gpuE8ELNS1_3repE0EEENS1_30default_config_static_selectorELNS0_4arch9wavefront6targetE0EEEvT1_: ; @_ZN7rocprim17ROCPRIM_400000_NS6detail17trampoline_kernelINS0_14default_configENS1_25partition_config_selectorILNS1_17partition_subalgoE8ElNS0_10empty_typeEbEEZZNS1_14partition_implILS5_8ELb0ES3_jPlPS6_PKS6_NS0_5tupleIJS9_S6_EEENSD_IJSA_SA_EEENS0_18inequality_wrapperIZN2at6native12_GLOBAL__N_124unique_dim_cuda_templateIN3c104HalfEEESt5tupleIJNSH_6TensorESO_SO_EERKSO_lbbbEUlllE0_EEPmJS6_EEE10hipError_tPvRmT3_T4_T5_T6_T7_T9_mT8_P12ihipStream_tbDpT10_ENKUlT_T0_E_clISt17integral_constantIbLb0EES1E_EEDaS19_S1A_EUlS19_E_NS1_11comp_targetILNS1_3genE4ELNS1_11target_archE910ELNS1_3gpuE8ELNS1_3repE0EEENS1_30default_config_static_selectorELNS0_4arch9wavefront6targetE0EEEvT1_
; %bb.0:
	.section	.rodata,"a",@progbits
	.p2align	6, 0x0
	.amdhsa_kernel _ZN7rocprim17ROCPRIM_400000_NS6detail17trampoline_kernelINS0_14default_configENS1_25partition_config_selectorILNS1_17partition_subalgoE8ElNS0_10empty_typeEbEEZZNS1_14partition_implILS5_8ELb0ES3_jPlPS6_PKS6_NS0_5tupleIJS9_S6_EEENSD_IJSA_SA_EEENS0_18inequality_wrapperIZN2at6native12_GLOBAL__N_124unique_dim_cuda_templateIN3c104HalfEEESt5tupleIJNSH_6TensorESO_SO_EERKSO_lbbbEUlllE0_EEPmJS6_EEE10hipError_tPvRmT3_T4_T5_T6_T7_T9_mT8_P12ihipStream_tbDpT10_ENKUlT_T0_E_clISt17integral_constantIbLb0EES1E_EEDaS19_S1A_EUlS19_E_NS1_11comp_targetILNS1_3genE4ELNS1_11target_archE910ELNS1_3gpuE8ELNS1_3repE0EEENS1_30default_config_static_selectorELNS0_4arch9wavefront6targetE0EEEvT1_
		.amdhsa_group_segment_fixed_size 0
		.amdhsa_private_segment_fixed_size 0
		.amdhsa_kernarg_size 120
		.amdhsa_user_sgpr_count 15
		.amdhsa_user_sgpr_dispatch_ptr 0
		.amdhsa_user_sgpr_queue_ptr 0
		.amdhsa_user_sgpr_kernarg_segment_ptr 1
		.amdhsa_user_sgpr_dispatch_id 0
		.amdhsa_user_sgpr_private_segment_size 0
		.amdhsa_wavefront_size32 1
		.amdhsa_uses_dynamic_stack 0
		.amdhsa_enable_private_segment 0
		.amdhsa_system_sgpr_workgroup_id_x 1
		.amdhsa_system_sgpr_workgroup_id_y 0
		.amdhsa_system_sgpr_workgroup_id_z 0
		.amdhsa_system_sgpr_workgroup_info 0
		.amdhsa_system_vgpr_workitem_id 0
		.amdhsa_next_free_vgpr 1
		.amdhsa_next_free_sgpr 1
		.amdhsa_reserve_vcc 0
		.amdhsa_float_round_mode_32 0
		.amdhsa_float_round_mode_16_64 0
		.amdhsa_float_denorm_mode_32 3
		.amdhsa_float_denorm_mode_16_64 3
		.amdhsa_dx10_clamp 1
		.amdhsa_ieee_mode 1
		.amdhsa_fp16_overflow 0
		.amdhsa_workgroup_processor_mode 1
		.amdhsa_memory_ordered 1
		.amdhsa_forward_progress 0
		.amdhsa_shared_vgpr_count 0
		.amdhsa_exception_fp_ieee_invalid_op 0
		.amdhsa_exception_fp_denorm_src 0
		.amdhsa_exception_fp_ieee_div_zero 0
		.amdhsa_exception_fp_ieee_overflow 0
		.amdhsa_exception_fp_ieee_underflow 0
		.amdhsa_exception_fp_ieee_inexact 0
		.amdhsa_exception_int_div_zero 0
	.end_amdhsa_kernel
	.section	.text._ZN7rocprim17ROCPRIM_400000_NS6detail17trampoline_kernelINS0_14default_configENS1_25partition_config_selectorILNS1_17partition_subalgoE8ElNS0_10empty_typeEbEEZZNS1_14partition_implILS5_8ELb0ES3_jPlPS6_PKS6_NS0_5tupleIJS9_S6_EEENSD_IJSA_SA_EEENS0_18inequality_wrapperIZN2at6native12_GLOBAL__N_124unique_dim_cuda_templateIN3c104HalfEEESt5tupleIJNSH_6TensorESO_SO_EERKSO_lbbbEUlllE0_EEPmJS6_EEE10hipError_tPvRmT3_T4_T5_T6_T7_T9_mT8_P12ihipStream_tbDpT10_ENKUlT_T0_E_clISt17integral_constantIbLb0EES1E_EEDaS19_S1A_EUlS19_E_NS1_11comp_targetILNS1_3genE4ELNS1_11target_archE910ELNS1_3gpuE8ELNS1_3repE0EEENS1_30default_config_static_selectorELNS0_4arch9wavefront6targetE0EEEvT1_,"axG",@progbits,_ZN7rocprim17ROCPRIM_400000_NS6detail17trampoline_kernelINS0_14default_configENS1_25partition_config_selectorILNS1_17partition_subalgoE8ElNS0_10empty_typeEbEEZZNS1_14partition_implILS5_8ELb0ES3_jPlPS6_PKS6_NS0_5tupleIJS9_S6_EEENSD_IJSA_SA_EEENS0_18inequality_wrapperIZN2at6native12_GLOBAL__N_124unique_dim_cuda_templateIN3c104HalfEEESt5tupleIJNSH_6TensorESO_SO_EERKSO_lbbbEUlllE0_EEPmJS6_EEE10hipError_tPvRmT3_T4_T5_T6_T7_T9_mT8_P12ihipStream_tbDpT10_ENKUlT_T0_E_clISt17integral_constantIbLb0EES1E_EEDaS19_S1A_EUlS19_E_NS1_11comp_targetILNS1_3genE4ELNS1_11target_archE910ELNS1_3gpuE8ELNS1_3repE0EEENS1_30default_config_static_selectorELNS0_4arch9wavefront6targetE0EEEvT1_,comdat
.Lfunc_end1297:
	.size	_ZN7rocprim17ROCPRIM_400000_NS6detail17trampoline_kernelINS0_14default_configENS1_25partition_config_selectorILNS1_17partition_subalgoE8ElNS0_10empty_typeEbEEZZNS1_14partition_implILS5_8ELb0ES3_jPlPS6_PKS6_NS0_5tupleIJS9_S6_EEENSD_IJSA_SA_EEENS0_18inequality_wrapperIZN2at6native12_GLOBAL__N_124unique_dim_cuda_templateIN3c104HalfEEESt5tupleIJNSH_6TensorESO_SO_EERKSO_lbbbEUlllE0_EEPmJS6_EEE10hipError_tPvRmT3_T4_T5_T6_T7_T9_mT8_P12ihipStream_tbDpT10_ENKUlT_T0_E_clISt17integral_constantIbLb0EES1E_EEDaS19_S1A_EUlS19_E_NS1_11comp_targetILNS1_3genE4ELNS1_11target_archE910ELNS1_3gpuE8ELNS1_3repE0EEENS1_30default_config_static_selectorELNS0_4arch9wavefront6targetE0EEEvT1_, .Lfunc_end1297-_ZN7rocprim17ROCPRIM_400000_NS6detail17trampoline_kernelINS0_14default_configENS1_25partition_config_selectorILNS1_17partition_subalgoE8ElNS0_10empty_typeEbEEZZNS1_14partition_implILS5_8ELb0ES3_jPlPS6_PKS6_NS0_5tupleIJS9_S6_EEENSD_IJSA_SA_EEENS0_18inequality_wrapperIZN2at6native12_GLOBAL__N_124unique_dim_cuda_templateIN3c104HalfEEESt5tupleIJNSH_6TensorESO_SO_EERKSO_lbbbEUlllE0_EEPmJS6_EEE10hipError_tPvRmT3_T4_T5_T6_T7_T9_mT8_P12ihipStream_tbDpT10_ENKUlT_T0_E_clISt17integral_constantIbLb0EES1E_EEDaS19_S1A_EUlS19_E_NS1_11comp_targetILNS1_3genE4ELNS1_11target_archE910ELNS1_3gpuE8ELNS1_3repE0EEENS1_30default_config_static_selectorELNS0_4arch9wavefront6targetE0EEEvT1_
                                        ; -- End function
	.section	.AMDGPU.csdata,"",@progbits
; Kernel info:
; codeLenInByte = 0
; NumSgprs: 0
; NumVgprs: 0
; ScratchSize: 0
; MemoryBound: 0
; FloatMode: 240
; IeeeMode: 1
; LDSByteSize: 0 bytes/workgroup (compile time only)
; SGPRBlocks: 0
; VGPRBlocks: 0
; NumSGPRsForWavesPerEU: 1
; NumVGPRsForWavesPerEU: 1
; Occupancy: 16
; WaveLimiterHint : 0
; COMPUTE_PGM_RSRC2:SCRATCH_EN: 0
; COMPUTE_PGM_RSRC2:USER_SGPR: 15
; COMPUTE_PGM_RSRC2:TRAP_HANDLER: 0
; COMPUTE_PGM_RSRC2:TGID_X_EN: 1
; COMPUTE_PGM_RSRC2:TGID_Y_EN: 0
; COMPUTE_PGM_RSRC2:TGID_Z_EN: 0
; COMPUTE_PGM_RSRC2:TIDIG_COMP_CNT: 0
	.section	.text._ZN7rocprim17ROCPRIM_400000_NS6detail17trampoline_kernelINS0_14default_configENS1_25partition_config_selectorILNS1_17partition_subalgoE8ElNS0_10empty_typeEbEEZZNS1_14partition_implILS5_8ELb0ES3_jPlPS6_PKS6_NS0_5tupleIJS9_S6_EEENSD_IJSA_SA_EEENS0_18inequality_wrapperIZN2at6native12_GLOBAL__N_124unique_dim_cuda_templateIN3c104HalfEEESt5tupleIJNSH_6TensorESO_SO_EERKSO_lbbbEUlllE0_EEPmJS6_EEE10hipError_tPvRmT3_T4_T5_T6_T7_T9_mT8_P12ihipStream_tbDpT10_ENKUlT_T0_E_clISt17integral_constantIbLb0EES1E_EEDaS19_S1A_EUlS19_E_NS1_11comp_targetILNS1_3genE3ELNS1_11target_archE908ELNS1_3gpuE7ELNS1_3repE0EEENS1_30default_config_static_selectorELNS0_4arch9wavefront6targetE0EEEvT1_,"axG",@progbits,_ZN7rocprim17ROCPRIM_400000_NS6detail17trampoline_kernelINS0_14default_configENS1_25partition_config_selectorILNS1_17partition_subalgoE8ElNS0_10empty_typeEbEEZZNS1_14partition_implILS5_8ELb0ES3_jPlPS6_PKS6_NS0_5tupleIJS9_S6_EEENSD_IJSA_SA_EEENS0_18inequality_wrapperIZN2at6native12_GLOBAL__N_124unique_dim_cuda_templateIN3c104HalfEEESt5tupleIJNSH_6TensorESO_SO_EERKSO_lbbbEUlllE0_EEPmJS6_EEE10hipError_tPvRmT3_T4_T5_T6_T7_T9_mT8_P12ihipStream_tbDpT10_ENKUlT_T0_E_clISt17integral_constantIbLb0EES1E_EEDaS19_S1A_EUlS19_E_NS1_11comp_targetILNS1_3genE3ELNS1_11target_archE908ELNS1_3gpuE7ELNS1_3repE0EEENS1_30default_config_static_selectorELNS0_4arch9wavefront6targetE0EEEvT1_,comdat
	.globl	_ZN7rocprim17ROCPRIM_400000_NS6detail17trampoline_kernelINS0_14default_configENS1_25partition_config_selectorILNS1_17partition_subalgoE8ElNS0_10empty_typeEbEEZZNS1_14partition_implILS5_8ELb0ES3_jPlPS6_PKS6_NS0_5tupleIJS9_S6_EEENSD_IJSA_SA_EEENS0_18inequality_wrapperIZN2at6native12_GLOBAL__N_124unique_dim_cuda_templateIN3c104HalfEEESt5tupleIJNSH_6TensorESO_SO_EERKSO_lbbbEUlllE0_EEPmJS6_EEE10hipError_tPvRmT3_T4_T5_T6_T7_T9_mT8_P12ihipStream_tbDpT10_ENKUlT_T0_E_clISt17integral_constantIbLb0EES1E_EEDaS19_S1A_EUlS19_E_NS1_11comp_targetILNS1_3genE3ELNS1_11target_archE908ELNS1_3gpuE7ELNS1_3repE0EEENS1_30default_config_static_selectorELNS0_4arch9wavefront6targetE0EEEvT1_ ; -- Begin function _ZN7rocprim17ROCPRIM_400000_NS6detail17trampoline_kernelINS0_14default_configENS1_25partition_config_selectorILNS1_17partition_subalgoE8ElNS0_10empty_typeEbEEZZNS1_14partition_implILS5_8ELb0ES3_jPlPS6_PKS6_NS0_5tupleIJS9_S6_EEENSD_IJSA_SA_EEENS0_18inequality_wrapperIZN2at6native12_GLOBAL__N_124unique_dim_cuda_templateIN3c104HalfEEESt5tupleIJNSH_6TensorESO_SO_EERKSO_lbbbEUlllE0_EEPmJS6_EEE10hipError_tPvRmT3_T4_T5_T6_T7_T9_mT8_P12ihipStream_tbDpT10_ENKUlT_T0_E_clISt17integral_constantIbLb0EES1E_EEDaS19_S1A_EUlS19_E_NS1_11comp_targetILNS1_3genE3ELNS1_11target_archE908ELNS1_3gpuE7ELNS1_3repE0EEENS1_30default_config_static_selectorELNS0_4arch9wavefront6targetE0EEEvT1_
	.p2align	8
	.type	_ZN7rocprim17ROCPRIM_400000_NS6detail17trampoline_kernelINS0_14default_configENS1_25partition_config_selectorILNS1_17partition_subalgoE8ElNS0_10empty_typeEbEEZZNS1_14partition_implILS5_8ELb0ES3_jPlPS6_PKS6_NS0_5tupleIJS9_S6_EEENSD_IJSA_SA_EEENS0_18inequality_wrapperIZN2at6native12_GLOBAL__N_124unique_dim_cuda_templateIN3c104HalfEEESt5tupleIJNSH_6TensorESO_SO_EERKSO_lbbbEUlllE0_EEPmJS6_EEE10hipError_tPvRmT3_T4_T5_T6_T7_T9_mT8_P12ihipStream_tbDpT10_ENKUlT_T0_E_clISt17integral_constantIbLb0EES1E_EEDaS19_S1A_EUlS19_E_NS1_11comp_targetILNS1_3genE3ELNS1_11target_archE908ELNS1_3gpuE7ELNS1_3repE0EEENS1_30default_config_static_selectorELNS0_4arch9wavefront6targetE0EEEvT1_,@function
_ZN7rocprim17ROCPRIM_400000_NS6detail17trampoline_kernelINS0_14default_configENS1_25partition_config_selectorILNS1_17partition_subalgoE8ElNS0_10empty_typeEbEEZZNS1_14partition_implILS5_8ELb0ES3_jPlPS6_PKS6_NS0_5tupleIJS9_S6_EEENSD_IJSA_SA_EEENS0_18inequality_wrapperIZN2at6native12_GLOBAL__N_124unique_dim_cuda_templateIN3c104HalfEEESt5tupleIJNSH_6TensorESO_SO_EERKSO_lbbbEUlllE0_EEPmJS6_EEE10hipError_tPvRmT3_T4_T5_T6_T7_T9_mT8_P12ihipStream_tbDpT10_ENKUlT_T0_E_clISt17integral_constantIbLb0EES1E_EEDaS19_S1A_EUlS19_E_NS1_11comp_targetILNS1_3genE3ELNS1_11target_archE908ELNS1_3gpuE7ELNS1_3repE0EEENS1_30default_config_static_selectorELNS0_4arch9wavefront6targetE0EEEvT1_: ; @_ZN7rocprim17ROCPRIM_400000_NS6detail17trampoline_kernelINS0_14default_configENS1_25partition_config_selectorILNS1_17partition_subalgoE8ElNS0_10empty_typeEbEEZZNS1_14partition_implILS5_8ELb0ES3_jPlPS6_PKS6_NS0_5tupleIJS9_S6_EEENSD_IJSA_SA_EEENS0_18inequality_wrapperIZN2at6native12_GLOBAL__N_124unique_dim_cuda_templateIN3c104HalfEEESt5tupleIJNSH_6TensorESO_SO_EERKSO_lbbbEUlllE0_EEPmJS6_EEE10hipError_tPvRmT3_T4_T5_T6_T7_T9_mT8_P12ihipStream_tbDpT10_ENKUlT_T0_E_clISt17integral_constantIbLb0EES1E_EEDaS19_S1A_EUlS19_E_NS1_11comp_targetILNS1_3genE3ELNS1_11target_archE908ELNS1_3gpuE7ELNS1_3repE0EEENS1_30default_config_static_selectorELNS0_4arch9wavefront6targetE0EEEvT1_
; %bb.0:
	.section	.rodata,"a",@progbits
	.p2align	6, 0x0
	.amdhsa_kernel _ZN7rocprim17ROCPRIM_400000_NS6detail17trampoline_kernelINS0_14default_configENS1_25partition_config_selectorILNS1_17partition_subalgoE8ElNS0_10empty_typeEbEEZZNS1_14partition_implILS5_8ELb0ES3_jPlPS6_PKS6_NS0_5tupleIJS9_S6_EEENSD_IJSA_SA_EEENS0_18inequality_wrapperIZN2at6native12_GLOBAL__N_124unique_dim_cuda_templateIN3c104HalfEEESt5tupleIJNSH_6TensorESO_SO_EERKSO_lbbbEUlllE0_EEPmJS6_EEE10hipError_tPvRmT3_T4_T5_T6_T7_T9_mT8_P12ihipStream_tbDpT10_ENKUlT_T0_E_clISt17integral_constantIbLb0EES1E_EEDaS19_S1A_EUlS19_E_NS1_11comp_targetILNS1_3genE3ELNS1_11target_archE908ELNS1_3gpuE7ELNS1_3repE0EEENS1_30default_config_static_selectorELNS0_4arch9wavefront6targetE0EEEvT1_
		.amdhsa_group_segment_fixed_size 0
		.amdhsa_private_segment_fixed_size 0
		.amdhsa_kernarg_size 120
		.amdhsa_user_sgpr_count 15
		.amdhsa_user_sgpr_dispatch_ptr 0
		.amdhsa_user_sgpr_queue_ptr 0
		.amdhsa_user_sgpr_kernarg_segment_ptr 1
		.amdhsa_user_sgpr_dispatch_id 0
		.amdhsa_user_sgpr_private_segment_size 0
		.amdhsa_wavefront_size32 1
		.amdhsa_uses_dynamic_stack 0
		.amdhsa_enable_private_segment 0
		.amdhsa_system_sgpr_workgroup_id_x 1
		.amdhsa_system_sgpr_workgroup_id_y 0
		.amdhsa_system_sgpr_workgroup_id_z 0
		.amdhsa_system_sgpr_workgroup_info 0
		.amdhsa_system_vgpr_workitem_id 0
		.amdhsa_next_free_vgpr 1
		.amdhsa_next_free_sgpr 1
		.amdhsa_reserve_vcc 0
		.amdhsa_float_round_mode_32 0
		.amdhsa_float_round_mode_16_64 0
		.amdhsa_float_denorm_mode_32 3
		.amdhsa_float_denorm_mode_16_64 3
		.amdhsa_dx10_clamp 1
		.amdhsa_ieee_mode 1
		.amdhsa_fp16_overflow 0
		.amdhsa_workgroup_processor_mode 1
		.amdhsa_memory_ordered 1
		.amdhsa_forward_progress 0
		.amdhsa_shared_vgpr_count 0
		.amdhsa_exception_fp_ieee_invalid_op 0
		.amdhsa_exception_fp_denorm_src 0
		.amdhsa_exception_fp_ieee_div_zero 0
		.amdhsa_exception_fp_ieee_overflow 0
		.amdhsa_exception_fp_ieee_underflow 0
		.amdhsa_exception_fp_ieee_inexact 0
		.amdhsa_exception_int_div_zero 0
	.end_amdhsa_kernel
	.section	.text._ZN7rocprim17ROCPRIM_400000_NS6detail17trampoline_kernelINS0_14default_configENS1_25partition_config_selectorILNS1_17partition_subalgoE8ElNS0_10empty_typeEbEEZZNS1_14partition_implILS5_8ELb0ES3_jPlPS6_PKS6_NS0_5tupleIJS9_S6_EEENSD_IJSA_SA_EEENS0_18inequality_wrapperIZN2at6native12_GLOBAL__N_124unique_dim_cuda_templateIN3c104HalfEEESt5tupleIJNSH_6TensorESO_SO_EERKSO_lbbbEUlllE0_EEPmJS6_EEE10hipError_tPvRmT3_T4_T5_T6_T7_T9_mT8_P12ihipStream_tbDpT10_ENKUlT_T0_E_clISt17integral_constantIbLb0EES1E_EEDaS19_S1A_EUlS19_E_NS1_11comp_targetILNS1_3genE3ELNS1_11target_archE908ELNS1_3gpuE7ELNS1_3repE0EEENS1_30default_config_static_selectorELNS0_4arch9wavefront6targetE0EEEvT1_,"axG",@progbits,_ZN7rocprim17ROCPRIM_400000_NS6detail17trampoline_kernelINS0_14default_configENS1_25partition_config_selectorILNS1_17partition_subalgoE8ElNS0_10empty_typeEbEEZZNS1_14partition_implILS5_8ELb0ES3_jPlPS6_PKS6_NS0_5tupleIJS9_S6_EEENSD_IJSA_SA_EEENS0_18inequality_wrapperIZN2at6native12_GLOBAL__N_124unique_dim_cuda_templateIN3c104HalfEEESt5tupleIJNSH_6TensorESO_SO_EERKSO_lbbbEUlllE0_EEPmJS6_EEE10hipError_tPvRmT3_T4_T5_T6_T7_T9_mT8_P12ihipStream_tbDpT10_ENKUlT_T0_E_clISt17integral_constantIbLb0EES1E_EEDaS19_S1A_EUlS19_E_NS1_11comp_targetILNS1_3genE3ELNS1_11target_archE908ELNS1_3gpuE7ELNS1_3repE0EEENS1_30default_config_static_selectorELNS0_4arch9wavefront6targetE0EEEvT1_,comdat
.Lfunc_end1298:
	.size	_ZN7rocprim17ROCPRIM_400000_NS6detail17trampoline_kernelINS0_14default_configENS1_25partition_config_selectorILNS1_17partition_subalgoE8ElNS0_10empty_typeEbEEZZNS1_14partition_implILS5_8ELb0ES3_jPlPS6_PKS6_NS0_5tupleIJS9_S6_EEENSD_IJSA_SA_EEENS0_18inequality_wrapperIZN2at6native12_GLOBAL__N_124unique_dim_cuda_templateIN3c104HalfEEESt5tupleIJNSH_6TensorESO_SO_EERKSO_lbbbEUlllE0_EEPmJS6_EEE10hipError_tPvRmT3_T4_T5_T6_T7_T9_mT8_P12ihipStream_tbDpT10_ENKUlT_T0_E_clISt17integral_constantIbLb0EES1E_EEDaS19_S1A_EUlS19_E_NS1_11comp_targetILNS1_3genE3ELNS1_11target_archE908ELNS1_3gpuE7ELNS1_3repE0EEENS1_30default_config_static_selectorELNS0_4arch9wavefront6targetE0EEEvT1_, .Lfunc_end1298-_ZN7rocprim17ROCPRIM_400000_NS6detail17trampoline_kernelINS0_14default_configENS1_25partition_config_selectorILNS1_17partition_subalgoE8ElNS0_10empty_typeEbEEZZNS1_14partition_implILS5_8ELb0ES3_jPlPS6_PKS6_NS0_5tupleIJS9_S6_EEENSD_IJSA_SA_EEENS0_18inequality_wrapperIZN2at6native12_GLOBAL__N_124unique_dim_cuda_templateIN3c104HalfEEESt5tupleIJNSH_6TensorESO_SO_EERKSO_lbbbEUlllE0_EEPmJS6_EEE10hipError_tPvRmT3_T4_T5_T6_T7_T9_mT8_P12ihipStream_tbDpT10_ENKUlT_T0_E_clISt17integral_constantIbLb0EES1E_EEDaS19_S1A_EUlS19_E_NS1_11comp_targetILNS1_3genE3ELNS1_11target_archE908ELNS1_3gpuE7ELNS1_3repE0EEENS1_30default_config_static_selectorELNS0_4arch9wavefront6targetE0EEEvT1_
                                        ; -- End function
	.section	.AMDGPU.csdata,"",@progbits
; Kernel info:
; codeLenInByte = 0
; NumSgprs: 0
; NumVgprs: 0
; ScratchSize: 0
; MemoryBound: 0
; FloatMode: 240
; IeeeMode: 1
; LDSByteSize: 0 bytes/workgroup (compile time only)
; SGPRBlocks: 0
; VGPRBlocks: 0
; NumSGPRsForWavesPerEU: 1
; NumVGPRsForWavesPerEU: 1
; Occupancy: 16
; WaveLimiterHint : 0
; COMPUTE_PGM_RSRC2:SCRATCH_EN: 0
; COMPUTE_PGM_RSRC2:USER_SGPR: 15
; COMPUTE_PGM_RSRC2:TRAP_HANDLER: 0
; COMPUTE_PGM_RSRC2:TGID_X_EN: 1
; COMPUTE_PGM_RSRC2:TGID_Y_EN: 0
; COMPUTE_PGM_RSRC2:TGID_Z_EN: 0
; COMPUTE_PGM_RSRC2:TIDIG_COMP_CNT: 0
	.section	.text._ZN7rocprim17ROCPRIM_400000_NS6detail17trampoline_kernelINS0_14default_configENS1_25partition_config_selectorILNS1_17partition_subalgoE8ElNS0_10empty_typeEbEEZZNS1_14partition_implILS5_8ELb0ES3_jPlPS6_PKS6_NS0_5tupleIJS9_S6_EEENSD_IJSA_SA_EEENS0_18inequality_wrapperIZN2at6native12_GLOBAL__N_124unique_dim_cuda_templateIN3c104HalfEEESt5tupleIJNSH_6TensorESO_SO_EERKSO_lbbbEUlllE0_EEPmJS6_EEE10hipError_tPvRmT3_T4_T5_T6_T7_T9_mT8_P12ihipStream_tbDpT10_ENKUlT_T0_E_clISt17integral_constantIbLb0EES1E_EEDaS19_S1A_EUlS19_E_NS1_11comp_targetILNS1_3genE2ELNS1_11target_archE906ELNS1_3gpuE6ELNS1_3repE0EEENS1_30default_config_static_selectorELNS0_4arch9wavefront6targetE0EEEvT1_,"axG",@progbits,_ZN7rocprim17ROCPRIM_400000_NS6detail17trampoline_kernelINS0_14default_configENS1_25partition_config_selectorILNS1_17partition_subalgoE8ElNS0_10empty_typeEbEEZZNS1_14partition_implILS5_8ELb0ES3_jPlPS6_PKS6_NS0_5tupleIJS9_S6_EEENSD_IJSA_SA_EEENS0_18inequality_wrapperIZN2at6native12_GLOBAL__N_124unique_dim_cuda_templateIN3c104HalfEEESt5tupleIJNSH_6TensorESO_SO_EERKSO_lbbbEUlllE0_EEPmJS6_EEE10hipError_tPvRmT3_T4_T5_T6_T7_T9_mT8_P12ihipStream_tbDpT10_ENKUlT_T0_E_clISt17integral_constantIbLb0EES1E_EEDaS19_S1A_EUlS19_E_NS1_11comp_targetILNS1_3genE2ELNS1_11target_archE906ELNS1_3gpuE6ELNS1_3repE0EEENS1_30default_config_static_selectorELNS0_4arch9wavefront6targetE0EEEvT1_,comdat
	.globl	_ZN7rocprim17ROCPRIM_400000_NS6detail17trampoline_kernelINS0_14default_configENS1_25partition_config_selectorILNS1_17partition_subalgoE8ElNS0_10empty_typeEbEEZZNS1_14partition_implILS5_8ELb0ES3_jPlPS6_PKS6_NS0_5tupleIJS9_S6_EEENSD_IJSA_SA_EEENS0_18inequality_wrapperIZN2at6native12_GLOBAL__N_124unique_dim_cuda_templateIN3c104HalfEEESt5tupleIJNSH_6TensorESO_SO_EERKSO_lbbbEUlllE0_EEPmJS6_EEE10hipError_tPvRmT3_T4_T5_T6_T7_T9_mT8_P12ihipStream_tbDpT10_ENKUlT_T0_E_clISt17integral_constantIbLb0EES1E_EEDaS19_S1A_EUlS19_E_NS1_11comp_targetILNS1_3genE2ELNS1_11target_archE906ELNS1_3gpuE6ELNS1_3repE0EEENS1_30default_config_static_selectorELNS0_4arch9wavefront6targetE0EEEvT1_ ; -- Begin function _ZN7rocprim17ROCPRIM_400000_NS6detail17trampoline_kernelINS0_14default_configENS1_25partition_config_selectorILNS1_17partition_subalgoE8ElNS0_10empty_typeEbEEZZNS1_14partition_implILS5_8ELb0ES3_jPlPS6_PKS6_NS0_5tupleIJS9_S6_EEENSD_IJSA_SA_EEENS0_18inequality_wrapperIZN2at6native12_GLOBAL__N_124unique_dim_cuda_templateIN3c104HalfEEESt5tupleIJNSH_6TensorESO_SO_EERKSO_lbbbEUlllE0_EEPmJS6_EEE10hipError_tPvRmT3_T4_T5_T6_T7_T9_mT8_P12ihipStream_tbDpT10_ENKUlT_T0_E_clISt17integral_constantIbLb0EES1E_EEDaS19_S1A_EUlS19_E_NS1_11comp_targetILNS1_3genE2ELNS1_11target_archE906ELNS1_3gpuE6ELNS1_3repE0EEENS1_30default_config_static_selectorELNS0_4arch9wavefront6targetE0EEEvT1_
	.p2align	8
	.type	_ZN7rocprim17ROCPRIM_400000_NS6detail17trampoline_kernelINS0_14default_configENS1_25partition_config_selectorILNS1_17partition_subalgoE8ElNS0_10empty_typeEbEEZZNS1_14partition_implILS5_8ELb0ES3_jPlPS6_PKS6_NS0_5tupleIJS9_S6_EEENSD_IJSA_SA_EEENS0_18inequality_wrapperIZN2at6native12_GLOBAL__N_124unique_dim_cuda_templateIN3c104HalfEEESt5tupleIJNSH_6TensorESO_SO_EERKSO_lbbbEUlllE0_EEPmJS6_EEE10hipError_tPvRmT3_T4_T5_T6_T7_T9_mT8_P12ihipStream_tbDpT10_ENKUlT_T0_E_clISt17integral_constantIbLb0EES1E_EEDaS19_S1A_EUlS19_E_NS1_11comp_targetILNS1_3genE2ELNS1_11target_archE906ELNS1_3gpuE6ELNS1_3repE0EEENS1_30default_config_static_selectorELNS0_4arch9wavefront6targetE0EEEvT1_,@function
_ZN7rocprim17ROCPRIM_400000_NS6detail17trampoline_kernelINS0_14default_configENS1_25partition_config_selectorILNS1_17partition_subalgoE8ElNS0_10empty_typeEbEEZZNS1_14partition_implILS5_8ELb0ES3_jPlPS6_PKS6_NS0_5tupleIJS9_S6_EEENSD_IJSA_SA_EEENS0_18inequality_wrapperIZN2at6native12_GLOBAL__N_124unique_dim_cuda_templateIN3c104HalfEEESt5tupleIJNSH_6TensorESO_SO_EERKSO_lbbbEUlllE0_EEPmJS6_EEE10hipError_tPvRmT3_T4_T5_T6_T7_T9_mT8_P12ihipStream_tbDpT10_ENKUlT_T0_E_clISt17integral_constantIbLb0EES1E_EEDaS19_S1A_EUlS19_E_NS1_11comp_targetILNS1_3genE2ELNS1_11target_archE906ELNS1_3gpuE6ELNS1_3repE0EEENS1_30default_config_static_selectorELNS0_4arch9wavefront6targetE0EEEvT1_: ; @_ZN7rocprim17ROCPRIM_400000_NS6detail17trampoline_kernelINS0_14default_configENS1_25partition_config_selectorILNS1_17partition_subalgoE8ElNS0_10empty_typeEbEEZZNS1_14partition_implILS5_8ELb0ES3_jPlPS6_PKS6_NS0_5tupleIJS9_S6_EEENSD_IJSA_SA_EEENS0_18inequality_wrapperIZN2at6native12_GLOBAL__N_124unique_dim_cuda_templateIN3c104HalfEEESt5tupleIJNSH_6TensorESO_SO_EERKSO_lbbbEUlllE0_EEPmJS6_EEE10hipError_tPvRmT3_T4_T5_T6_T7_T9_mT8_P12ihipStream_tbDpT10_ENKUlT_T0_E_clISt17integral_constantIbLb0EES1E_EEDaS19_S1A_EUlS19_E_NS1_11comp_targetILNS1_3genE2ELNS1_11target_archE906ELNS1_3gpuE6ELNS1_3repE0EEENS1_30default_config_static_selectorELNS0_4arch9wavefront6targetE0EEEvT1_
; %bb.0:
	.section	.rodata,"a",@progbits
	.p2align	6, 0x0
	.amdhsa_kernel _ZN7rocprim17ROCPRIM_400000_NS6detail17trampoline_kernelINS0_14default_configENS1_25partition_config_selectorILNS1_17partition_subalgoE8ElNS0_10empty_typeEbEEZZNS1_14partition_implILS5_8ELb0ES3_jPlPS6_PKS6_NS0_5tupleIJS9_S6_EEENSD_IJSA_SA_EEENS0_18inequality_wrapperIZN2at6native12_GLOBAL__N_124unique_dim_cuda_templateIN3c104HalfEEESt5tupleIJNSH_6TensorESO_SO_EERKSO_lbbbEUlllE0_EEPmJS6_EEE10hipError_tPvRmT3_T4_T5_T6_T7_T9_mT8_P12ihipStream_tbDpT10_ENKUlT_T0_E_clISt17integral_constantIbLb0EES1E_EEDaS19_S1A_EUlS19_E_NS1_11comp_targetILNS1_3genE2ELNS1_11target_archE906ELNS1_3gpuE6ELNS1_3repE0EEENS1_30default_config_static_selectorELNS0_4arch9wavefront6targetE0EEEvT1_
		.amdhsa_group_segment_fixed_size 0
		.amdhsa_private_segment_fixed_size 0
		.amdhsa_kernarg_size 120
		.amdhsa_user_sgpr_count 15
		.amdhsa_user_sgpr_dispatch_ptr 0
		.amdhsa_user_sgpr_queue_ptr 0
		.amdhsa_user_sgpr_kernarg_segment_ptr 1
		.amdhsa_user_sgpr_dispatch_id 0
		.amdhsa_user_sgpr_private_segment_size 0
		.amdhsa_wavefront_size32 1
		.amdhsa_uses_dynamic_stack 0
		.amdhsa_enable_private_segment 0
		.amdhsa_system_sgpr_workgroup_id_x 1
		.amdhsa_system_sgpr_workgroup_id_y 0
		.amdhsa_system_sgpr_workgroup_id_z 0
		.amdhsa_system_sgpr_workgroup_info 0
		.amdhsa_system_vgpr_workitem_id 0
		.amdhsa_next_free_vgpr 1
		.amdhsa_next_free_sgpr 1
		.amdhsa_reserve_vcc 0
		.amdhsa_float_round_mode_32 0
		.amdhsa_float_round_mode_16_64 0
		.amdhsa_float_denorm_mode_32 3
		.amdhsa_float_denorm_mode_16_64 3
		.amdhsa_dx10_clamp 1
		.amdhsa_ieee_mode 1
		.amdhsa_fp16_overflow 0
		.amdhsa_workgroup_processor_mode 1
		.amdhsa_memory_ordered 1
		.amdhsa_forward_progress 0
		.amdhsa_shared_vgpr_count 0
		.amdhsa_exception_fp_ieee_invalid_op 0
		.amdhsa_exception_fp_denorm_src 0
		.amdhsa_exception_fp_ieee_div_zero 0
		.amdhsa_exception_fp_ieee_overflow 0
		.amdhsa_exception_fp_ieee_underflow 0
		.amdhsa_exception_fp_ieee_inexact 0
		.amdhsa_exception_int_div_zero 0
	.end_amdhsa_kernel
	.section	.text._ZN7rocprim17ROCPRIM_400000_NS6detail17trampoline_kernelINS0_14default_configENS1_25partition_config_selectorILNS1_17partition_subalgoE8ElNS0_10empty_typeEbEEZZNS1_14partition_implILS5_8ELb0ES3_jPlPS6_PKS6_NS0_5tupleIJS9_S6_EEENSD_IJSA_SA_EEENS0_18inequality_wrapperIZN2at6native12_GLOBAL__N_124unique_dim_cuda_templateIN3c104HalfEEESt5tupleIJNSH_6TensorESO_SO_EERKSO_lbbbEUlllE0_EEPmJS6_EEE10hipError_tPvRmT3_T4_T5_T6_T7_T9_mT8_P12ihipStream_tbDpT10_ENKUlT_T0_E_clISt17integral_constantIbLb0EES1E_EEDaS19_S1A_EUlS19_E_NS1_11comp_targetILNS1_3genE2ELNS1_11target_archE906ELNS1_3gpuE6ELNS1_3repE0EEENS1_30default_config_static_selectorELNS0_4arch9wavefront6targetE0EEEvT1_,"axG",@progbits,_ZN7rocprim17ROCPRIM_400000_NS6detail17trampoline_kernelINS0_14default_configENS1_25partition_config_selectorILNS1_17partition_subalgoE8ElNS0_10empty_typeEbEEZZNS1_14partition_implILS5_8ELb0ES3_jPlPS6_PKS6_NS0_5tupleIJS9_S6_EEENSD_IJSA_SA_EEENS0_18inequality_wrapperIZN2at6native12_GLOBAL__N_124unique_dim_cuda_templateIN3c104HalfEEESt5tupleIJNSH_6TensorESO_SO_EERKSO_lbbbEUlllE0_EEPmJS6_EEE10hipError_tPvRmT3_T4_T5_T6_T7_T9_mT8_P12ihipStream_tbDpT10_ENKUlT_T0_E_clISt17integral_constantIbLb0EES1E_EEDaS19_S1A_EUlS19_E_NS1_11comp_targetILNS1_3genE2ELNS1_11target_archE906ELNS1_3gpuE6ELNS1_3repE0EEENS1_30default_config_static_selectorELNS0_4arch9wavefront6targetE0EEEvT1_,comdat
.Lfunc_end1299:
	.size	_ZN7rocprim17ROCPRIM_400000_NS6detail17trampoline_kernelINS0_14default_configENS1_25partition_config_selectorILNS1_17partition_subalgoE8ElNS0_10empty_typeEbEEZZNS1_14partition_implILS5_8ELb0ES3_jPlPS6_PKS6_NS0_5tupleIJS9_S6_EEENSD_IJSA_SA_EEENS0_18inequality_wrapperIZN2at6native12_GLOBAL__N_124unique_dim_cuda_templateIN3c104HalfEEESt5tupleIJNSH_6TensorESO_SO_EERKSO_lbbbEUlllE0_EEPmJS6_EEE10hipError_tPvRmT3_T4_T5_T6_T7_T9_mT8_P12ihipStream_tbDpT10_ENKUlT_T0_E_clISt17integral_constantIbLb0EES1E_EEDaS19_S1A_EUlS19_E_NS1_11comp_targetILNS1_3genE2ELNS1_11target_archE906ELNS1_3gpuE6ELNS1_3repE0EEENS1_30default_config_static_selectorELNS0_4arch9wavefront6targetE0EEEvT1_, .Lfunc_end1299-_ZN7rocprim17ROCPRIM_400000_NS6detail17trampoline_kernelINS0_14default_configENS1_25partition_config_selectorILNS1_17partition_subalgoE8ElNS0_10empty_typeEbEEZZNS1_14partition_implILS5_8ELb0ES3_jPlPS6_PKS6_NS0_5tupleIJS9_S6_EEENSD_IJSA_SA_EEENS0_18inequality_wrapperIZN2at6native12_GLOBAL__N_124unique_dim_cuda_templateIN3c104HalfEEESt5tupleIJNSH_6TensorESO_SO_EERKSO_lbbbEUlllE0_EEPmJS6_EEE10hipError_tPvRmT3_T4_T5_T6_T7_T9_mT8_P12ihipStream_tbDpT10_ENKUlT_T0_E_clISt17integral_constantIbLb0EES1E_EEDaS19_S1A_EUlS19_E_NS1_11comp_targetILNS1_3genE2ELNS1_11target_archE906ELNS1_3gpuE6ELNS1_3repE0EEENS1_30default_config_static_selectorELNS0_4arch9wavefront6targetE0EEEvT1_
                                        ; -- End function
	.section	.AMDGPU.csdata,"",@progbits
; Kernel info:
; codeLenInByte = 0
; NumSgprs: 0
; NumVgprs: 0
; ScratchSize: 0
; MemoryBound: 0
; FloatMode: 240
; IeeeMode: 1
; LDSByteSize: 0 bytes/workgroup (compile time only)
; SGPRBlocks: 0
; VGPRBlocks: 0
; NumSGPRsForWavesPerEU: 1
; NumVGPRsForWavesPerEU: 1
; Occupancy: 16
; WaveLimiterHint : 0
; COMPUTE_PGM_RSRC2:SCRATCH_EN: 0
; COMPUTE_PGM_RSRC2:USER_SGPR: 15
; COMPUTE_PGM_RSRC2:TRAP_HANDLER: 0
; COMPUTE_PGM_RSRC2:TGID_X_EN: 1
; COMPUTE_PGM_RSRC2:TGID_Y_EN: 0
; COMPUTE_PGM_RSRC2:TGID_Z_EN: 0
; COMPUTE_PGM_RSRC2:TIDIG_COMP_CNT: 0
	.section	.text._ZN7rocprim17ROCPRIM_400000_NS6detail17trampoline_kernelINS0_14default_configENS1_25partition_config_selectorILNS1_17partition_subalgoE8ElNS0_10empty_typeEbEEZZNS1_14partition_implILS5_8ELb0ES3_jPlPS6_PKS6_NS0_5tupleIJS9_S6_EEENSD_IJSA_SA_EEENS0_18inequality_wrapperIZN2at6native12_GLOBAL__N_124unique_dim_cuda_templateIN3c104HalfEEESt5tupleIJNSH_6TensorESO_SO_EERKSO_lbbbEUlllE0_EEPmJS6_EEE10hipError_tPvRmT3_T4_T5_T6_T7_T9_mT8_P12ihipStream_tbDpT10_ENKUlT_T0_E_clISt17integral_constantIbLb0EES1E_EEDaS19_S1A_EUlS19_E_NS1_11comp_targetILNS1_3genE10ELNS1_11target_archE1200ELNS1_3gpuE4ELNS1_3repE0EEENS1_30default_config_static_selectorELNS0_4arch9wavefront6targetE0EEEvT1_,"axG",@progbits,_ZN7rocprim17ROCPRIM_400000_NS6detail17trampoline_kernelINS0_14default_configENS1_25partition_config_selectorILNS1_17partition_subalgoE8ElNS0_10empty_typeEbEEZZNS1_14partition_implILS5_8ELb0ES3_jPlPS6_PKS6_NS0_5tupleIJS9_S6_EEENSD_IJSA_SA_EEENS0_18inequality_wrapperIZN2at6native12_GLOBAL__N_124unique_dim_cuda_templateIN3c104HalfEEESt5tupleIJNSH_6TensorESO_SO_EERKSO_lbbbEUlllE0_EEPmJS6_EEE10hipError_tPvRmT3_T4_T5_T6_T7_T9_mT8_P12ihipStream_tbDpT10_ENKUlT_T0_E_clISt17integral_constantIbLb0EES1E_EEDaS19_S1A_EUlS19_E_NS1_11comp_targetILNS1_3genE10ELNS1_11target_archE1200ELNS1_3gpuE4ELNS1_3repE0EEENS1_30default_config_static_selectorELNS0_4arch9wavefront6targetE0EEEvT1_,comdat
	.globl	_ZN7rocprim17ROCPRIM_400000_NS6detail17trampoline_kernelINS0_14default_configENS1_25partition_config_selectorILNS1_17partition_subalgoE8ElNS0_10empty_typeEbEEZZNS1_14partition_implILS5_8ELb0ES3_jPlPS6_PKS6_NS0_5tupleIJS9_S6_EEENSD_IJSA_SA_EEENS0_18inequality_wrapperIZN2at6native12_GLOBAL__N_124unique_dim_cuda_templateIN3c104HalfEEESt5tupleIJNSH_6TensorESO_SO_EERKSO_lbbbEUlllE0_EEPmJS6_EEE10hipError_tPvRmT3_T4_T5_T6_T7_T9_mT8_P12ihipStream_tbDpT10_ENKUlT_T0_E_clISt17integral_constantIbLb0EES1E_EEDaS19_S1A_EUlS19_E_NS1_11comp_targetILNS1_3genE10ELNS1_11target_archE1200ELNS1_3gpuE4ELNS1_3repE0EEENS1_30default_config_static_selectorELNS0_4arch9wavefront6targetE0EEEvT1_ ; -- Begin function _ZN7rocprim17ROCPRIM_400000_NS6detail17trampoline_kernelINS0_14default_configENS1_25partition_config_selectorILNS1_17partition_subalgoE8ElNS0_10empty_typeEbEEZZNS1_14partition_implILS5_8ELb0ES3_jPlPS6_PKS6_NS0_5tupleIJS9_S6_EEENSD_IJSA_SA_EEENS0_18inequality_wrapperIZN2at6native12_GLOBAL__N_124unique_dim_cuda_templateIN3c104HalfEEESt5tupleIJNSH_6TensorESO_SO_EERKSO_lbbbEUlllE0_EEPmJS6_EEE10hipError_tPvRmT3_T4_T5_T6_T7_T9_mT8_P12ihipStream_tbDpT10_ENKUlT_T0_E_clISt17integral_constantIbLb0EES1E_EEDaS19_S1A_EUlS19_E_NS1_11comp_targetILNS1_3genE10ELNS1_11target_archE1200ELNS1_3gpuE4ELNS1_3repE0EEENS1_30default_config_static_selectorELNS0_4arch9wavefront6targetE0EEEvT1_
	.p2align	8
	.type	_ZN7rocprim17ROCPRIM_400000_NS6detail17trampoline_kernelINS0_14default_configENS1_25partition_config_selectorILNS1_17partition_subalgoE8ElNS0_10empty_typeEbEEZZNS1_14partition_implILS5_8ELb0ES3_jPlPS6_PKS6_NS0_5tupleIJS9_S6_EEENSD_IJSA_SA_EEENS0_18inequality_wrapperIZN2at6native12_GLOBAL__N_124unique_dim_cuda_templateIN3c104HalfEEESt5tupleIJNSH_6TensorESO_SO_EERKSO_lbbbEUlllE0_EEPmJS6_EEE10hipError_tPvRmT3_T4_T5_T6_T7_T9_mT8_P12ihipStream_tbDpT10_ENKUlT_T0_E_clISt17integral_constantIbLb0EES1E_EEDaS19_S1A_EUlS19_E_NS1_11comp_targetILNS1_3genE10ELNS1_11target_archE1200ELNS1_3gpuE4ELNS1_3repE0EEENS1_30default_config_static_selectorELNS0_4arch9wavefront6targetE0EEEvT1_,@function
_ZN7rocprim17ROCPRIM_400000_NS6detail17trampoline_kernelINS0_14default_configENS1_25partition_config_selectorILNS1_17partition_subalgoE8ElNS0_10empty_typeEbEEZZNS1_14partition_implILS5_8ELb0ES3_jPlPS6_PKS6_NS0_5tupleIJS9_S6_EEENSD_IJSA_SA_EEENS0_18inequality_wrapperIZN2at6native12_GLOBAL__N_124unique_dim_cuda_templateIN3c104HalfEEESt5tupleIJNSH_6TensorESO_SO_EERKSO_lbbbEUlllE0_EEPmJS6_EEE10hipError_tPvRmT3_T4_T5_T6_T7_T9_mT8_P12ihipStream_tbDpT10_ENKUlT_T0_E_clISt17integral_constantIbLb0EES1E_EEDaS19_S1A_EUlS19_E_NS1_11comp_targetILNS1_3genE10ELNS1_11target_archE1200ELNS1_3gpuE4ELNS1_3repE0EEENS1_30default_config_static_selectorELNS0_4arch9wavefront6targetE0EEEvT1_: ; @_ZN7rocprim17ROCPRIM_400000_NS6detail17trampoline_kernelINS0_14default_configENS1_25partition_config_selectorILNS1_17partition_subalgoE8ElNS0_10empty_typeEbEEZZNS1_14partition_implILS5_8ELb0ES3_jPlPS6_PKS6_NS0_5tupleIJS9_S6_EEENSD_IJSA_SA_EEENS0_18inequality_wrapperIZN2at6native12_GLOBAL__N_124unique_dim_cuda_templateIN3c104HalfEEESt5tupleIJNSH_6TensorESO_SO_EERKSO_lbbbEUlllE0_EEPmJS6_EEE10hipError_tPvRmT3_T4_T5_T6_T7_T9_mT8_P12ihipStream_tbDpT10_ENKUlT_T0_E_clISt17integral_constantIbLb0EES1E_EEDaS19_S1A_EUlS19_E_NS1_11comp_targetILNS1_3genE10ELNS1_11target_archE1200ELNS1_3gpuE4ELNS1_3repE0EEENS1_30default_config_static_selectorELNS0_4arch9wavefront6targetE0EEEvT1_
; %bb.0:
	.section	.rodata,"a",@progbits
	.p2align	6, 0x0
	.amdhsa_kernel _ZN7rocprim17ROCPRIM_400000_NS6detail17trampoline_kernelINS0_14default_configENS1_25partition_config_selectorILNS1_17partition_subalgoE8ElNS0_10empty_typeEbEEZZNS1_14partition_implILS5_8ELb0ES3_jPlPS6_PKS6_NS0_5tupleIJS9_S6_EEENSD_IJSA_SA_EEENS0_18inequality_wrapperIZN2at6native12_GLOBAL__N_124unique_dim_cuda_templateIN3c104HalfEEESt5tupleIJNSH_6TensorESO_SO_EERKSO_lbbbEUlllE0_EEPmJS6_EEE10hipError_tPvRmT3_T4_T5_T6_T7_T9_mT8_P12ihipStream_tbDpT10_ENKUlT_T0_E_clISt17integral_constantIbLb0EES1E_EEDaS19_S1A_EUlS19_E_NS1_11comp_targetILNS1_3genE10ELNS1_11target_archE1200ELNS1_3gpuE4ELNS1_3repE0EEENS1_30default_config_static_selectorELNS0_4arch9wavefront6targetE0EEEvT1_
		.amdhsa_group_segment_fixed_size 0
		.amdhsa_private_segment_fixed_size 0
		.amdhsa_kernarg_size 120
		.amdhsa_user_sgpr_count 15
		.amdhsa_user_sgpr_dispatch_ptr 0
		.amdhsa_user_sgpr_queue_ptr 0
		.amdhsa_user_sgpr_kernarg_segment_ptr 1
		.amdhsa_user_sgpr_dispatch_id 0
		.amdhsa_user_sgpr_private_segment_size 0
		.amdhsa_wavefront_size32 1
		.amdhsa_uses_dynamic_stack 0
		.amdhsa_enable_private_segment 0
		.amdhsa_system_sgpr_workgroup_id_x 1
		.amdhsa_system_sgpr_workgroup_id_y 0
		.amdhsa_system_sgpr_workgroup_id_z 0
		.amdhsa_system_sgpr_workgroup_info 0
		.amdhsa_system_vgpr_workitem_id 0
		.amdhsa_next_free_vgpr 1
		.amdhsa_next_free_sgpr 1
		.amdhsa_reserve_vcc 0
		.amdhsa_float_round_mode_32 0
		.amdhsa_float_round_mode_16_64 0
		.amdhsa_float_denorm_mode_32 3
		.amdhsa_float_denorm_mode_16_64 3
		.amdhsa_dx10_clamp 1
		.amdhsa_ieee_mode 1
		.amdhsa_fp16_overflow 0
		.amdhsa_workgroup_processor_mode 1
		.amdhsa_memory_ordered 1
		.amdhsa_forward_progress 0
		.amdhsa_shared_vgpr_count 0
		.amdhsa_exception_fp_ieee_invalid_op 0
		.amdhsa_exception_fp_denorm_src 0
		.amdhsa_exception_fp_ieee_div_zero 0
		.amdhsa_exception_fp_ieee_overflow 0
		.amdhsa_exception_fp_ieee_underflow 0
		.amdhsa_exception_fp_ieee_inexact 0
		.amdhsa_exception_int_div_zero 0
	.end_amdhsa_kernel
	.section	.text._ZN7rocprim17ROCPRIM_400000_NS6detail17trampoline_kernelINS0_14default_configENS1_25partition_config_selectorILNS1_17partition_subalgoE8ElNS0_10empty_typeEbEEZZNS1_14partition_implILS5_8ELb0ES3_jPlPS6_PKS6_NS0_5tupleIJS9_S6_EEENSD_IJSA_SA_EEENS0_18inequality_wrapperIZN2at6native12_GLOBAL__N_124unique_dim_cuda_templateIN3c104HalfEEESt5tupleIJNSH_6TensorESO_SO_EERKSO_lbbbEUlllE0_EEPmJS6_EEE10hipError_tPvRmT3_T4_T5_T6_T7_T9_mT8_P12ihipStream_tbDpT10_ENKUlT_T0_E_clISt17integral_constantIbLb0EES1E_EEDaS19_S1A_EUlS19_E_NS1_11comp_targetILNS1_3genE10ELNS1_11target_archE1200ELNS1_3gpuE4ELNS1_3repE0EEENS1_30default_config_static_selectorELNS0_4arch9wavefront6targetE0EEEvT1_,"axG",@progbits,_ZN7rocprim17ROCPRIM_400000_NS6detail17trampoline_kernelINS0_14default_configENS1_25partition_config_selectorILNS1_17partition_subalgoE8ElNS0_10empty_typeEbEEZZNS1_14partition_implILS5_8ELb0ES3_jPlPS6_PKS6_NS0_5tupleIJS9_S6_EEENSD_IJSA_SA_EEENS0_18inequality_wrapperIZN2at6native12_GLOBAL__N_124unique_dim_cuda_templateIN3c104HalfEEESt5tupleIJNSH_6TensorESO_SO_EERKSO_lbbbEUlllE0_EEPmJS6_EEE10hipError_tPvRmT3_T4_T5_T6_T7_T9_mT8_P12ihipStream_tbDpT10_ENKUlT_T0_E_clISt17integral_constantIbLb0EES1E_EEDaS19_S1A_EUlS19_E_NS1_11comp_targetILNS1_3genE10ELNS1_11target_archE1200ELNS1_3gpuE4ELNS1_3repE0EEENS1_30default_config_static_selectorELNS0_4arch9wavefront6targetE0EEEvT1_,comdat
.Lfunc_end1300:
	.size	_ZN7rocprim17ROCPRIM_400000_NS6detail17trampoline_kernelINS0_14default_configENS1_25partition_config_selectorILNS1_17partition_subalgoE8ElNS0_10empty_typeEbEEZZNS1_14partition_implILS5_8ELb0ES3_jPlPS6_PKS6_NS0_5tupleIJS9_S6_EEENSD_IJSA_SA_EEENS0_18inequality_wrapperIZN2at6native12_GLOBAL__N_124unique_dim_cuda_templateIN3c104HalfEEESt5tupleIJNSH_6TensorESO_SO_EERKSO_lbbbEUlllE0_EEPmJS6_EEE10hipError_tPvRmT3_T4_T5_T6_T7_T9_mT8_P12ihipStream_tbDpT10_ENKUlT_T0_E_clISt17integral_constantIbLb0EES1E_EEDaS19_S1A_EUlS19_E_NS1_11comp_targetILNS1_3genE10ELNS1_11target_archE1200ELNS1_3gpuE4ELNS1_3repE0EEENS1_30default_config_static_selectorELNS0_4arch9wavefront6targetE0EEEvT1_, .Lfunc_end1300-_ZN7rocprim17ROCPRIM_400000_NS6detail17trampoline_kernelINS0_14default_configENS1_25partition_config_selectorILNS1_17partition_subalgoE8ElNS0_10empty_typeEbEEZZNS1_14partition_implILS5_8ELb0ES3_jPlPS6_PKS6_NS0_5tupleIJS9_S6_EEENSD_IJSA_SA_EEENS0_18inequality_wrapperIZN2at6native12_GLOBAL__N_124unique_dim_cuda_templateIN3c104HalfEEESt5tupleIJNSH_6TensorESO_SO_EERKSO_lbbbEUlllE0_EEPmJS6_EEE10hipError_tPvRmT3_T4_T5_T6_T7_T9_mT8_P12ihipStream_tbDpT10_ENKUlT_T0_E_clISt17integral_constantIbLb0EES1E_EEDaS19_S1A_EUlS19_E_NS1_11comp_targetILNS1_3genE10ELNS1_11target_archE1200ELNS1_3gpuE4ELNS1_3repE0EEENS1_30default_config_static_selectorELNS0_4arch9wavefront6targetE0EEEvT1_
                                        ; -- End function
	.section	.AMDGPU.csdata,"",@progbits
; Kernel info:
; codeLenInByte = 0
; NumSgprs: 0
; NumVgprs: 0
; ScratchSize: 0
; MemoryBound: 0
; FloatMode: 240
; IeeeMode: 1
; LDSByteSize: 0 bytes/workgroup (compile time only)
; SGPRBlocks: 0
; VGPRBlocks: 0
; NumSGPRsForWavesPerEU: 1
; NumVGPRsForWavesPerEU: 1
; Occupancy: 15
; WaveLimiterHint : 0
; COMPUTE_PGM_RSRC2:SCRATCH_EN: 0
; COMPUTE_PGM_RSRC2:USER_SGPR: 15
; COMPUTE_PGM_RSRC2:TRAP_HANDLER: 0
; COMPUTE_PGM_RSRC2:TGID_X_EN: 1
; COMPUTE_PGM_RSRC2:TGID_Y_EN: 0
; COMPUTE_PGM_RSRC2:TGID_Z_EN: 0
; COMPUTE_PGM_RSRC2:TIDIG_COMP_CNT: 0
	.section	.text._ZN7rocprim17ROCPRIM_400000_NS6detail17trampoline_kernelINS0_14default_configENS1_25partition_config_selectorILNS1_17partition_subalgoE8ElNS0_10empty_typeEbEEZZNS1_14partition_implILS5_8ELb0ES3_jPlPS6_PKS6_NS0_5tupleIJS9_S6_EEENSD_IJSA_SA_EEENS0_18inequality_wrapperIZN2at6native12_GLOBAL__N_124unique_dim_cuda_templateIN3c104HalfEEESt5tupleIJNSH_6TensorESO_SO_EERKSO_lbbbEUlllE0_EEPmJS6_EEE10hipError_tPvRmT3_T4_T5_T6_T7_T9_mT8_P12ihipStream_tbDpT10_ENKUlT_T0_E_clISt17integral_constantIbLb0EES1E_EEDaS19_S1A_EUlS19_E_NS1_11comp_targetILNS1_3genE9ELNS1_11target_archE1100ELNS1_3gpuE3ELNS1_3repE0EEENS1_30default_config_static_selectorELNS0_4arch9wavefront6targetE0EEEvT1_,"axG",@progbits,_ZN7rocprim17ROCPRIM_400000_NS6detail17trampoline_kernelINS0_14default_configENS1_25partition_config_selectorILNS1_17partition_subalgoE8ElNS0_10empty_typeEbEEZZNS1_14partition_implILS5_8ELb0ES3_jPlPS6_PKS6_NS0_5tupleIJS9_S6_EEENSD_IJSA_SA_EEENS0_18inequality_wrapperIZN2at6native12_GLOBAL__N_124unique_dim_cuda_templateIN3c104HalfEEESt5tupleIJNSH_6TensorESO_SO_EERKSO_lbbbEUlllE0_EEPmJS6_EEE10hipError_tPvRmT3_T4_T5_T6_T7_T9_mT8_P12ihipStream_tbDpT10_ENKUlT_T0_E_clISt17integral_constantIbLb0EES1E_EEDaS19_S1A_EUlS19_E_NS1_11comp_targetILNS1_3genE9ELNS1_11target_archE1100ELNS1_3gpuE3ELNS1_3repE0EEENS1_30default_config_static_selectorELNS0_4arch9wavefront6targetE0EEEvT1_,comdat
	.globl	_ZN7rocprim17ROCPRIM_400000_NS6detail17trampoline_kernelINS0_14default_configENS1_25partition_config_selectorILNS1_17partition_subalgoE8ElNS0_10empty_typeEbEEZZNS1_14partition_implILS5_8ELb0ES3_jPlPS6_PKS6_NS0_5tupleIJS9_S6_EEENSD_IJSA_SA_EEENS0_18inequality_wrapperIZN2at6native12_GLOBAL__N_124unique_dim_cuda_templateIN3c104HalfEEESt5tupleIJNSH_6TensorESO_SO_EERKSO_lbbbEUlllE0_EEPmJS6_EEE10hipError_tPvRmT3_T4_T5_T6_T7_T9_mT8_P12ihipStream_tbDpT10_ENKUlT_T0_E_clISt17integral_constantIbLb0EES1E_EEDaS19_S1A_EUlS19_E_NS1_11comp_targetILNS1_3genE9ELNS1_11target_archE1100ELNS1_3gpuE3ELNS1_3repE0EEENS1_30default_config_static_selectorELNS0_4arch9wavefront6targetE0EEEvT1_ ; -- Begin function _ZN7rocprim17ROCPRIM_400000_NS6detail17trampoline_kernelINS0_14default_configENS1_25partition_config_selectorILNS1_17partition_subalgoE8ElNS0_10empty_typeEbEEZZNS1_14partition_implILS5_8ELb0ES3_jPlPS6_PKS6_NS0_5tupleIJS9_S6_EEENSD_IJSA_SA_EEENS0_18inequality_wrapperIZN2at6native12_GLOBAL__N_124unique_dim_cuda_templateIN3c104HalfEEESt5tupleIJNSH_6TensorESO_SO_EERKSO_lbbbEUlllE0_EEPmJS6_EEE10hipError_tPvRmT3_T4_T5_T6_T7_T9_mT8_P12ihipStream_tbDpT10_ENKUlT_T0_E_clISt17integral_constantIbLb0EES1E_EEDaS19_S1A_EUlS19_E_NS1_11comp_targetILNS1_3genE9ELNS1_11target_archE1100ELNS1_3gpuE3ELNS1_3repE0EEENS1_30default_config_static_selectorELNS0_4arch9wavefront6targetE0EEEvT1_
	.p2align	8
	.type	_ZN7rocprim17ROCPRIM_400000_NS6detail17trampoline_kernelINS0_14default_configENS1_25partition_config_selectorILNS1_17partition_subalgoE8ElNS0_10empty_typeEbEEZZNS1_14partition_implILS5_8ELb0ES3_jPlPS6_PKS6_NS0_5tupleIJS9_S6_EEENSD_IJSA_SA_EEENS0_18inequality_wrapperIZN2at6native12_GLOBAL__N_124unique_dim_cuda_templateIN3c104HalfEEESt5tupleIJNSH_6TensorESO_SO_EERKSO_lbbbEUlllE0_EEPmJS6_EEE10hipError_tPvRmT3_T4_T5_T6_T7_T9_mT8_P12ihipStream_tbDpT10_ENKUlT_T0_E_clISt17integral_constantIbLb0EES1E_EEDaS19_S1A_EUlS19_E_NS1_11comp_targetILNS1_3genE9ELNS1_11target_archE1100ELNS1_3gpuE3ELNS1_3repE0EEENS1_30default_config_static_selectorELNS0_4arch9wavefront6targetE0EEEvT1_,@function
_ZN7rocprim17ROCPRIM_400000_NS6detail17trampoline_kernelINS0_14default_configENS1_25partition_config_selectorILNS1_17partition_subalgoE8ElNS0_10empty_typeEbEEZZNS1_14partition_implILS5_8ELb0ES3_jPlPS6_PKS6_NS0_5tupleIJS9_S6_EEENSD_IJSA_SA_EEENS0_18inequality_wrapperIZN2at6native12_GLOBAL__N_124unique_dim_cuda_templateIN3c104HalfEEESt5tupleIJNSH_6TensorESO_SO_EERKSO_lbbbEUlllE0_EEPmJS6_EEE10hipError_tPvRmT3_T4_T5_T6_T7_T9_mT8_P12ihipStream_tbDpT10_ENKUlT_T0_E_clISt17integral_constantIbLb0EES1E_EEDaS19_S1A_EUlS19_E_NS1_11comp_targetILNS1_3genE9ELNS1_11target_archE1100ELNS1_3gpuE3ELNS1_3repE0EEENS1_30default_config_static_selectorELNS0_4arch9wavefront6targetE0EEEvT1_: ; @_ZN7rocprim17ROCPRIM_400000_NS6detail17trampoline_kernelINS0_14default_configENS1_25partition_config_selectorILNS1_17partition_subalgoE8ElNS0_10empty_typeEbEEZZNS1_14partition_implILS5_8ELb0ES3_jPlPS6_PKS6_NS0_5tupleIJS9_S6_EEENSD_IJSA_SA_EEENS0_18inequality_wrapperIZN2at6native12_GLOBAL__N_124unique_dim_cuda_templateIN3c104HalfEEESt5tupleIJNSH_6TensorESO_SO_EERKSO_lbbbEUlllE0_EEPmJS6_EEE10hipError_tPvRmT3_T4_T5_T6_T7_T9_mT8_P12ihipStream_tbDpT10_ENKUlT_T0_E_clISt17integral_constantIbLb0EES1E_EEDaS19_S1A_EUlS19_E_NS1_11comp_targetILNS1_3genE9ELNS1_11target_archE1100ELNS1_3gpuE3ELNS1_3repE0EEENS1_30default_config_static_selectorELNS0_4arch9wavefront6targetE0EEEvT1_
; %bb.0:
	s_clause 0x3
	s_load_b128 s[4:7], s[0:1], 0x8
	s_load_b256 s[16:23], s[0:1], 0x40
	s_load_b32 s14, s[0:1], 0x70
	s_load_b128 s[8:11], s[0:1], 0x60
	s_mov_b32 s3, 0
	v_lshlrev_b32_e32 v39, 3, v0
	v_lshrrev_b32_e32 v17, 2, v0
	v_or_b32_e32 v24, 0x200, v0
	v_or_b32_e32 v22, 0x400, v0
	;; [unrolled: 1-line block ×7, first 2 shown]
	s_waitcnt lgkmcnt(0)
	s_lshl_b64 s[24:25], s[6:7], 3
	s_load_b64 s[12:13], s[18:19], 0x0
	s_add_u32 s26, s4, s24
	s_addc_u32 s5, s5, s25
	s_add_i32 s24, s14, -1
	s_lshl_b32 s14, s14, 12
	s_lshl_b32 s4, s24, 12
	;; [unrolled: 1-line block ×3, first 2 shown]
	s_add_i32 s4, s6, s4
	s_add_u32 s18, s6, s14
	s_addc_u32 s19, s7, 0
	s_cmp_eq_u32 s15, s24
	v_cmp_ge_u64_e64 s18, s[18:19], s[20:21]
	s_cselect_b32 s14, -1, 0
	s_lshl_b64 s[2:3], s[2:3], 3
	s_delay_alu instid0(VALU_DEP_1) | instskip(NEXT) | instid1(SALU_CYCLE_1)
	s_and_b32 s24, s14, s18
	s_xor_b32 s21, s24, -1
	s_add_u32 s2, s26, s2
	s_addc_u32 s3, s5, s3
	s_and_b32 vcc_lo, exec_lo, s21
	s_mov_b32 s5, -1
	s_cbranch_vccz .LBB1301_2
; %bb.1:
	v_add_co_u32 v9, s5, s2, v39
	s_delay_alu instid0(VALU_DEP_1)
	v_add_co_ci_u32_e64 v10, null, s3, 0, s5
	global_load_b64 v[1:2], v39, s[2:3]
	v_add_co_u32 v3, vcc_lo, v9, 0x2000
	v_add_co_ci_u32_e32 v4, vcc_lo, 0, v10, vcc_lo
	v_add_co_u32 v5, vcc_lo, v9, 0x4000
	v_add_co_ci_u32_e32 v6, vcc_lo, 0, v10, vcc_lo
	v_add_co_u32 v7, vcc_lo, v9, 0x6000
	v_add_co_ci_u32_e32 v8, vcc_lo, 0, v10, vcc_lo
	v_add_co_u32 v9, vcc_lo, 0x7000, v9
	v_add_co_ci_u32_e32 v10, vcc_lo, 0, v10, vcc_lo
	s_clause 0x6
	global_load_b64 v[11:12], v[3:4], off offset:-4096
	global_load_b64 v[3:4], v[3:4], off
	global_load_b64 v[13:14], v[5:6], off offset:-4096
	global_load_b64 v[5:6], v[5:6], off
	;; [unrolled: 2-line block ×3, first 2 shown]
	global_load_b64 v[9:10], v[9:10], off
	v_lshrrev_b32_e32 v26, 2, v24
	v_lshrrev_b32_e32 v27, 2, v22
	;; [unrolled: 1-line block ×4, first 2 shown]
	v_and_b32_e32 v25, 0x78, v17
	v_lshrrev_b32_e32 v30, 2, v20
	v_lshrrev_b32_e32 v31, 2, v19
	;; [unrolled: 1-line block ×3, first 2 shown]
	v_and_b32_e32 v26, 0xf8, v26
	v_and_b32_e32 v27, 0x178, v27
	;; [unrolled: 1-line block ×4, first 2 shown]
	v_add_nc_u32_e32 v25, v25, v39
	v_and_b32_e32 v30, 0x2f8, v30
	v_and_b32_e32 v31, 0x378, v31
	;; [unrolled: 1-line block ×3, first 2 shown]
	v_add_nc_u32_e32 v26, v26, v39
	v_add_nc_u32_e32 v27, v27, v39
	;; [unrolled: 1-line block ×4, first 2 shown]
	s_mov_b32 s5, 0
	v_add_nc_u32_e32 v30, v30, v39
	v_add_nc_u32_e32 v31, v31, v39
	;; [unrolled: 1-line block ×3, first 2 shown]
	s_waitcnt vmcnt(7)
	ds_store_b64 v25, v[1:2]
	s_waitcnt vmcnt(6)
	ds_store_b64 v26, v[11:12] offset:4096
	s_waitcnt vmcnt(5)
	ds_store_b64 v27, v[3:4] offset:8192
	;; [unrolled: 2-line block ×7, first 2 shown]
	s_waitcnt lgkmcnt(0)
	s_barrier
.LBB1301_2:
	s_and_not1_b32 vcc_lo, exec_lo, s5
	s_sub_i32 s20, s20, s4
	s_cbranch_vccnz .LBB1301_13
; %bb.3:
	s_mov_b32 s4, exec_lo
                                        ; implicit-def: $vgpr1_vgpr2_vgpr3_vgpr4_vgpr5_vgpr6_vgpr7_vgpr8_vgpr9_vgpr10_vgpr11_vgpr12_vgpr13_vgpr14_vgpr15_vgpr16
	v_cmpx_gt_u32_e64 s20, v0
	s_cbranch_execnz .LBB1301_23
; %bb.4:
	s_or_b32 exec_lo, exec_lo, s4
	s_delay_alu instid0(SALU_CYCLE_1)
	s_mov_b32 s4, exec_lo
	v_cmpx_gt_u32_e64 s20, v24
	s_cbranch_execnz .LBB1301_24
.LBB1301_5:
	s_or_b32 exec_lo, exec_lo, s4
	s_delay_alu instid0(SALU_CYCLE_1)
	s_mov_b32 s4, exec_lo
	v_cmpx_gt_u32_e64 s20, v22
	s_cbranch_execnz .LBB1301_25
.LBB1301_6:
	s_or_b32 exec_lo, exec_lo, s4
	s_delay_alu instid0(SALU_CYCLE_1)
	s_mov_b32 s4, exec_lo
	v_cmpx_gt_u32_e64 s20, v23
	s_cbranch_execnz .LBB1301_26
.LBB1301_7:
	s_or_b32 exec_lo, exec_lo, s4
	s_delay_alu instid0(SALU_CYCLE_1)
	s_mov_b32 s4, exec_lo
	v_cmpx_gt_u32_e64 s20, v21
	s_cbranch_execnz .LBB1301_27
.LBB1301_8:
	s_or_b32 exec_lo, exec_lo, s4
	s_delay_alu instid0(SALU_CYCLE_1)
	s_mov_b32 s4, exec_lo
	v_cmpx_gt_u32_e64 s20, v20
	s_cbranch_execnz .LBB1301_28
.LBB1301_9:
	s_or_b32 exec_lo, exec_lo, s4
	s_delay_alu instid0(SALU_CYCLE_1)
	s_mov_b32 s4, exec_lo
	v_cmpx_gt_u32_e64 s20, v19
	s_cbranch_execnz .LBB1301_29
.LBB1301_10:
	s_or_b32 exec_lo, exec_lo, s4
	s_delay_alu instid0(SALU_CYCLE_1)
	s_mov_b32 s4, exec_lo
	v_cmpx_gt_u32_e64 s20, v18
	s_cbranch_execz .LBB1301_12
.LBB1301_11:
	v_lshlrev_b32_e32 v15, 3, v18
	global_load_b64 v[15:16], v15, s[2:3]
.LBB1301_12:
	s_or_b32 exec_lo, exec_lo, s4
	v_lshrrev_b32_e32 v24, 2, v24
	v_lshrrev_b32_e32 v22, 2, v22
	;; [unrolled: 1-line block ×4, first 2 shown]
	v_and_b32_e32 v25, 0x78, v17
	v_lshrrev_b32_e32 v20, 2, v20
	v_lshrrev_b32_e32 v19, 2, v19
	;; [unrolled: 1-line block ×3, first 2 shown]
	v_and_b32_e32 v24, 0xf8, v24
	v_and_b32_e32 v22, 0x1f8, v22
	;; [unrolled: 1-line block ×4, first 2 shown]
	v_add_nc_u32_e32 v25, v25, v39
	v_and_b32_e32 v20, 0x3f8, v20
	v_and_b32_e32 v19, 0x3f8, v19
	;; [unrolled: 1-line block ×3, first 2 shown]
	v_add_nc_u32_e32 v24, v24, v39
	v_add_nc_u32_e32 v22, v22, v39
	;; [unrolled: 1-line block ×7, first 2 shown]
	s_waitcnt vmcnt(0)
	ds_store_b64 v25, v[1:2]
	ds_store_b64 v24, v[3:4] offset:4096
	ds_store_b64 v22, v[5:6] offset:8192
	;; [unrolled: 1-line block ×7, first 2 shown]
	s_waitcnt lgkmcnt(0)
	s_barrier
.LBB1301_13:
	v_add_lshl_u32 v1, v17, v39, 3
	s_waitcnt lgkmcnt(0)
	buffer_gl0_inv
	s_cmp_lg_u32 s15, 0
	v_cmp_gt_i64_e64 s26, s[22:23], 0
	s_cselect_b32 s25, -1, 0
	ds_load_2addr_b64 v[13:16], v1 offset1:1
	ds_load_2addr_b64 v[9:12], v1 offset0:2 offset1:3
	ds_load_2addr_b64 v[5:8], v1 offset0:4 offset1:5
	;; [unrolled: 1-line block ×3, first 2 shown]
	s_cmp_lg_u64 s[6:7], 0
	s_mov_b32 s18, 0
	s_cselect_b32 s4, -1, 0
	s_waitcnt lgkmcnt(0)
	s_or_b32 s4, s25, s4
	s_barrier
	s_and_b32 vcc_lo, exec_lo, s4
	buffer_gl0_inv
	s_cbranch_vccz .LBB1301_22
; %bb.14:
	s_add_u32 s2, s2, -8
	s_addc_u32 s3, s3, -1
	v_cndmask_b32_e64 v25, 0, 1, s26
	s_load_b64 s[4:5], s[2:3], 0x0
	s_and_b32 vcc_lo, exec_lo, s21
	ds_store_b64 v39, v[3:4]
	v_cmp_ne_u32_e64 s2, 1, v25
	s_cbranch_vccz .LBB1301_30
; %bb.15:
	v_mul_lo_u32 v19, v2, s22
	v_mul_lo_u32 v20, v1, s23
	v_mad_u64_u32 v[17:18], null, v1, s22, 0
	s_mov_b32 s3, 0
	s_and_b32 vcc_lo, exec_lo, s2
	s_mov_b32 s27, 0
	s_delay_alu instid0(VALU_DEP_1) | instskip(NEXT) | instid1(VALU_DEP_1)
	v_add3_u32 v18, v18, v20, v19
	v_lshlrev_b64 v[17:18], 1, v[17:18]
	s_cbranch_vccnz .LBB1301_33
; %bb.16:
	v_mul_lo_u32 v21, v4, s22
	v_mul_lo_u32 v22, v3, s23
	v_mad_u64_u32 v[19:20], null, v3, s22, 0
	s_mov_b32 s27, -1
	s_mov_b32 s28, exec_lo
	s_delay_alu instid0(VALU_DEP_1) | instskip(SKIP_2) | instid1(VALU_DEP_3)
	v_add3_u32 v20, v20, v22, v21
	v_add_co_u32 v21, vcc_lo, s8, v17
	v_add_co_ci_u32_e32 v22, vcc_lo, s9, v18, vcc_lo
	v_lshlrev_b64 v[19:20], 1, v[19:20]
	s_delay_alu instid0(VALU_DEP_1) | instskip(NEXT) | instid1(VALU_DEP_2)
	v_add_co_u32 v19, vcc_lo, s8, v19
	v_add_co_ci_u32_e32 v20, vcc_lo, s9, v20, vcc_lo
	s_clause 0x1
	global_load_u16 v23, v[21:22], off
	global_load_u16 v24, v[19:20], off
	s_waitcnt vmcnt(0)
	v_cmpx_eq_f16_e32 v23, v24
	s_cbranch_execz .LBB1301_32
; %bb.17:
	v_add_co_u32 v19, vcc_lo, v19, 2
	v_add_co_ci_u32_e32 v20, vcc_lo, 0, v20, vcc_lo
	v_add_co_u32 v21, vcc_lo, v21, 2
	v_add_co_ci_u32_e32 v22, vcc_lo, 0, v22, vcc_lo
	s_add_u32 s6, s22, -1
	s_addc_u32 s7, s23, -1
	s_mov_b64 s[18:19], 0
	s_mov_b32 s27, 0
                                        ; implicit-def: $sgpr29
	s_set_inst_prefetch_distance 0x1
	s_branch .LBB1301_20
	.p2align	6
.LBB1301_18:                            ;   in Loop: Header=BB1301_20 Depth=1
	global_load_u16 v23, v[21:22], off
	global_load_u16 v24, v[19:20], off
	v_add_co_u32 v19, vcc_lo, v19, 2
	v_add_co_ci_u32_e32 v20, vcc_lo, 0, v20, vcc_lo
	v_add_co_u32 v21, s2, v21, 2
	s_delay_alu instid0(VALU_DEP_1)
	v_add_co_ci_u32_e64 v22, s2, 0, v22, s2
	s_add_u32 s18, s18, 1
	s_addc_u32 s19, s19, 0
	s_and_not1_b32 s2, s29, exec_lo
	s_waitcnt vmcnt(0)
	v_cmp_neq_f16_e32 vcc_lo, v23, v24
	s_and_b32 s29, vcc_lo, exec_lo
	s_delay_alu instid0(SALU_CYCLE_1)
	s_or_b32 s29, s2, s29
.LBB1301_19:                            ;   in Loop: Header=BB1301_20 Depth=1
	v_dual_mov_b32 v24, s19 :: v_dual_mov_b32 v23, s18
	s_and_b32 s2, exec_lo, s29
	s_delay_alu instid0(SALU_CYCLE_1) | instskip(NEXT) | instid1(SALU_CYCLE_1)
	s_or_b32 s27, s2, s27
	s_and_not1_b32 exec_lo, exec_lo, s27
	s_cbranch_execz .LBB1301_31
.LBB1301_20:                            ; =>This Inner Loop Header: Depth=1
	s_or_b32 s29, s29, exec_lo
	s_cmp_eq_u64 s[6:7], s[18:19]
	s_cbranch_scc0 .LBB1301_18
; %bb.21:                               ;   in Loop: Header=BB1301_20 Depth=1
	s_mov_b64 s[18:19], s[22:23]
                                        ; implicit-def: $vgpr19_vgpr20
                                        ; implicit-def: $vgpr21_vgpr22
	s_branch .LBB1301_19
.LBB1301_22:
                                        ; implicit-def: $sgpr2
                                        ; implicit-def: $vgpr18
	s_branch .LBB1301_191
.LBB1301_23:
	global_load_b64 v[1:2], v39, s[2:3]
	s_or_b32 exec_lo, exec_lo, s4
	s_delay_alu instid0(SALU_CYCLE_1)
	s_mov_b32 s4, exec_lo
	v_cmpx_gt_u32_e64 s20, v24
	s_cbranch_execz .LBB1301_5
.LBB1301_24:
	v_lshlrev_b32_e32 v3, 3, v24
	global_load_b64 v[3:4], v3, s[2:3]
	s_or_b32 exec_lo, exec_lo, s4
	s_delay_alu instid0(SALU_CYCLE_1)
	s_mov_b32 s4, exec_lo
	v_cmpx_gt_u32_e64 s20, v22
	s_cbranch_execz .LBB1301_6
.LBB1301_25:
	v_lshlrev_b32_e32 v5, 3, v22
	global_load_b64 v[5:6], v5, s[2:3]
	s_or_b32 exec_lo, exec_lo, s4
	s_delay_alu instid0(SALU_CYCLE_1)
	s_mov_b32 s4, exec_lo
	v_cmpx_gt_u32_e64 s20, v23
	s_cbranch_execz .LBB1301_7
.LBB1301_26:
	v_lshlrev_b32_e32 v7, 3, v23
	global_load_b64 v[7:8], v7, s[2:3]
	s_or_b32 exec_lo, exec_lo, s4
	s_delay_alu instid0(SALU_CYCLE_1)
	s_mov_b32 s4, exec_lo
	v_cmpx_gt_u32_e64 s20, v21
	s_cbranch_execz .LBB1301_8
.LBB1301_27:
	v_lshlrev_b32_e32 v9, 3, v21
	global_load_b64 v[9:10], v9, s[2:3]
	s_or_b32 exec_lo, exec_lo, s4
	s_delay_alu instid0(SALU_CYCLE_1)
	s_mov_b32 s4, exec_lo
	v_cmpx_gt_u32_e64 s20, v20
	s_cbranch_execz .LBB1301_9
.LBB1301_28:
	v_lshlrev_b32_e32 v11, 3, v20
	global_load_b64 v[11:12], v11, s[2:3]
	s_or_b32 exec_lo, exec_lo, s4
	s_delay_alu instid0(SALU_CYCLE_1)
	s_mov_b32 s4, exec_lo
	v_cmpx_gt_u32_e64 s20, v19
	s_cbranch_execz .LBB1301_10
.LBB1301_29:
	v_lshlrev_b32_e32 v13, 3, v19
	global_load_b64 v[13:14], v13, s[2:3]
	s_or_b32 exec_lo, exec_lo, s4
	s_delay_alu instid0(SALU_CYCLE_1)
	s_mov_b32 s4, exec_lo
	v_cmpx_gt_u32_e64 s20, v18
	s_cbranch_execnz .LBB1301_11
	s_branch .LBB1301_12
.LBB1301_30:
                                        ; implicit-def: $sgpr2
                                        ; implicit-def: $vgpr18
	s_cbranch_execnz .LBB1301_99
	s_branch .LBB1301_190
.LBB1301_31:
	s_set_inst_prefetch_distance 0x2
	s_or_b32 exec_lo, exec_lo, s27
	v_cmp_gt_i64_e32 vcc_lo, s[22:23], v[23:24]
	s_or_not1_b32 s27, vcc_lo, exec_lo
.LBB1301_32:
	s_or_b32 exec_lo, exec_lo, s28
.LBB1301_33:
	v_mul_lo_u32 v21, v8, s22
	v_mul_lo_u32 v22, v7, s23
	v_mad_u64_u32 v[19:20], null, v7, s22, 0
	s_and_not1_b32 vcc_lo, exec_lo, s26
	s_delay_alu instid0(VALU_DEP_1) | instskip(NEXT) | instid1(VALU_DEP_1)
	v_add3_u32 v20, v20, v22, v21
	v_lshlrev_b64 v[19:20], 1, v[19:20]
	s_cbranch_vccnz .LBB1301_42
; %bb.34:
	s_delay_alu instid0(VALU_DEP_1) | instskip(NEXT) | instid1(VALU_DEP_2)
	v_add_co_u32 v21, vcc_lo, s8, v19
	v_add_co_ci_u32_e32 v22, vcc_lo, s9, v20, vcc_lo
	v_add_co_u32 v17, vcc_lo, s8, v17
	v_add_co_ci_u32_e32 v18, vcc_lo, s9, v18, vcc_lo
	s_mov_b32 s3, -1
	s_clause 0x1
	global_load_u16 v23, v[21:22], off
	global_load_u16 v24, v[17:18], off
	s_mov_b32 s28, exec_lo
	s_waitcnt vmcnt(0)
	v_cmpx_eq_f16_e32 v23, v24
	s_cbranch_execz .LBB1301_41
; %bb.35:
	v_add_co_u32 v17, vcc_lo, v17, 2
	v_add_co_ci_u32_e32 v18, vcc_lo, 0, v18, vcc_lo
	v_add_co_u32 v21, vcc_lo, v21, 2
	v_add_co_ci_u32_e32 v22, vcc_lo, 0, v22, vcc_lo
	s_add_u32 s6, s22, -1
	s_addc_u32 s7, s23, -1
	s_mov_b64 s[18:19], 0
	s_mov_b32 s3, 0
                                        ; implicit-def: $sgpr29
	s_set_inst_prefetch_distance 0x1
	s_branch .LBB1301_38
	.p2align	6
.LBB1301_36:                            ;   in Loop: Header=BB1301_38 Depth=1
	global_load_u16 v23, v[21:22], off
	global_load_u16 v24, v[17:18], off
	v_add_co_u32 v17, vcc_lo, v17, 2
	v_add_co_ci_u32_e32 v18, vcc_lo, 0, v18, vcc_lo
	v_add_co_u32 v21, s2, v21, 2
	s_delay_alu instid0(VALU_DEP_1)
	v_add_co_ci_u32_e64 v22, s2, 0, v22, s2
	s_add_u32 s18, s18, 1
	s_addc_u32 s19, s19, 0
	s_and_not1_b32 s2, s29, exec_lo
	s_waitcnt vmcnt(0)
	v_cmp_neq_f16_e32 vcc_lo, v23, v24
	s_and_b32 s29, vcc_lo, exec_lo
	s_delay_alu instid0(SALU_CYCLE_1)
	s_or_b32 s29, s2, s29
.LBB1301_37:                            ;   in Loop: Header=BB1301_38 Depth=1
	v_dual_mov_b32 v24, s19 :: v_dual_mov_b32 v23, s18
	s_and_b32 s2, exec_lo, s29
	s_delay_alu instid0(SALU_CYCLE_1) | instskip(NEXT) | instid1(SALU_CYCLE_1)
	s_or_b32 s3, s2, s3
	s_and_not1_b32 exec_lo, exec_lo, s3
	s_cbranch_execz .LBB1301_40
.LBB1301_38:                            ; =>This Inner Loop Header: Depth=1
	s_or_b32 s29, s29, exec_lo
	s_cmp_eq_u64 s[6:7], s[18:19]
	s_cbranch_scc0 .LBB1301_36
; %bb.39:                               ;   in Loop: Header=BB1301_38 Depth=1
	s_mov_b64 s[18:19], s[22:23]
                                        ; implicit-def: $vgpr17_vgpr18
                                        ; implicit-def: $vgpr21_vgpr22
	s_branch .LBB1301_37
.LBB1301_40:
	s_set_inst_prefetch_distance 0x2
	s_or_b32 exec_lo, exec_lo, s3
	v_cmp_gt_i64_e32 vcc_lo, s[22:23], v[23:24]
	s_or_not1_b32 s3, vcc_lo, exec_lo
.LBB1301_41:
	s_or_b32 exec_lo, exec_lo, s28
.LBB1301_42:
	v_mul_lo_u32 v21, v6, s22
	v_mul_lo_u32 v22, v5, s23
	v_mad_u64_u32 v[17:18], null, v5, s22, 0
	s_mov_b32 s28, 0
	s_and_not1_b32 vcc_lo, exec_lo, s26
	s_mov_b32 s29, 0
	s_delay_alu instid0(VALU_DEP_1) | instskip(NEXT) | instid1(VALU_DEP_1)
	v_add3_u32 v18, v18, v22, v21
	v_lshlrev_b64 v[21:22], 1, v[17:18]
	s_cbranch_vccnz .LBB1301_51
; %bb.43:
	s_delay_alu instid0(VALU_DEP_1) | instskip(NEXT) | instid1(VALU_DEP_2)
	v_add_co_u32 v23, vcc_lo, s8, v21
	v_add_co_ci_u32_e32 v24, vcc_lo, s9, v22, vcc_lo
	v_add_co_u32 v17, vcc_lo, s8, v19
	v_add_co_ci_u32_e32 v18, vcc_lo, s9, v20, vcc_lo
	s_mov_b32 s29, -1
	s_clause 0x1
	global_load_u16 v19, v[23:24], off
	global_load_u16 v20, v[17:18], off
	s_mov_b32 s30, exec_lo
	s_waitcnt vmcnt(0)
	v_cmpx_eq_f16_e32 v19, v20
	s_cbranch_execz .LBB1301_50
; %bb.44:
	v_add_co_u32 v17, vcc_lo, v17, 2
	v_add_co_ci_u32_e32 v18, vcc_lo, 0, v18, vcc_lo
	v_add_co_u32 v19, vcc_lo, v23, 2
	v_add_co_ci_u32_e32 v20, vcc_lo, 0, v24, vcc_lo
	s_add_u32 s6, s22, -1
	s_addc_u32 s7, s23, -1
	s_mov_b64 s[18:19], 0
	s_mov_b32 s29, 0
                                        ; implicit-def: $sgpr31
	s_set_inst_prefetch_distance 0x1
	s_branch .LBB1301_47
	.p2align	6
.LBB1301_45:                            ;   in Loop: Header=BB1301_47 Depth=1
	global_load_u16 v23, v[19:20], off
	global_load_u16 v24, v[17:18], off
	v_add_co_u32 v17, vcc_lo, v17, 2
	v_add_co_ci_u32_e32 v18, vcc_lo, 0, v18, vcc_lo
	v_add_co_u32 v19, s2, v19, 2
	s_delay_alu instid0(VALU_DEP_1)
	v_add_co_ci_u32_e64 v20, s2, 0, v20, s2
	s_add_u32 s18, s18, 1
	s_addc_u32 s19, s19, 0
	s_and_not1_b32 s2, s31, exec_lo
	s_waitcnt vmcnt(0)
	v_cmp_neq_f16_e32 vcc_lo, v23, v24
	s_and_b32 s31, vcc_lo, exec_lo
	s_delay_alu instid0(SALU_CYCLE_1)
	s_or_b32 s31, s2, s31
.LBB1301_46:                            ;   in Loop: Header=BB1301_47 Depth=1
	v_dual_mov_b32 v24, s19 :: v_dual_mov_b32 v23, s18
	s_and_b32 s2, exec_lo, s31
	s_delay_alu instid0(SALU_CYCLE_1) | instskip(NEXT) | instid1(SALU_CYCLE_1)
	s_or_b32 s29, s2, s29
	s_and_not1_b32 exec_lo, exec_lo, s29
	s_cbranch_execz .LBB1301_49
.LBB1301_47:                            ; =>This Inner Loop Header: Depth=1
	s_or_b32 s31, s31, exec_lo
	s_cmp_eq_u64 s[6:7], s[18:19]
	s_cbranch_scc0 .LBB1301_45
; %bb.48:                               ;   in Loop: Header=BB1301_47 Depth=1
	s_mov_b64 s[18:19], s[22:23]
                                        ; implicit-def: $vgpr17_vgpr18
                                        ; implicit-def: $vgpr19_vgpr20
	s_branch .LBB1301_46
.LBB1301_49:
	s_set_inst_prefetch_distance 0x2
	s_or_b32 exec_lo, exec_lo, s29
	v_cmp_gt_i64_e32 vcc_lo, s[22:23], v[23:24]
	s_or_not1_b32 s29, vcc_lo, exec_lo
.LBB1301_50:
	s_or_b32 exec_lo, exec_lo, s30
.LBB1301_51:
	v_mul_lo_u32 v19, v12, s22
	v_mul_lo_u32 v20, v11, s23
	v_mad_u64_u32 v[17:18], null, v11, s22, 0
	s_and_not1_b32 vcc_lo, exec_lo, s26
	s_delay_alu instid0(VALU_DEP_1) | instskip(NEXT) | instid1(VALU_DEP_1)
	v_add3_u32 v18, v18, v20, v19
	v_lshlrev_b64 v[17:18], 1, v[17:18]
	s_cbranch_vccnz .LBB1301_60
; %bb.52:
	s_delay_alu instid0(VALU_DEP_1) | instskip(NEXT) | instid1(VALU_DEP_2)
	v_add_co_u32 v23, vcc_lo, s8, v17
	v_add_co_ci_u32_e32 v24, vcc_lo, s9, v18, vcc_lo
	v_add_co_u32 v19, vcc_lo, s8, v21
	v_add_co_ci_u32_e32 v20, vcc_lo, s9, v22, vcc_lo
	s_mov_b32 s28, -1
	s_clause 0x1
	global_load_u16 v21, v[23:24], off
	global_load_u16 v22, v[19:20], off
	s_mov_b32 s30, exec_lo
	s_waitcnt vmcnt(0)
	v_cmpx_eq_f16_e32 v21, v22
	s_cbranch_execz .LBB1301_59
; %bb.53:
	v_add_co_u32 v19, vcc_lo, v19, 2
	v_add_co_ci_u32_e32 v20, vcc_lo, 0, v20, vcc_lo
	v_add_co_u32 v21, vcc_lo, v23, 2
	v_add_co_ci_u32_e32 v22, vcc_lo, 0, v24, vcc_lo
	s_add_u32 s6, s22, -1
	s_addc_u32 s7, s23, -1
	s_mov_b64 s[18:19], 0
	s_mov_b32 s28, 0
                                        ; implicit-def: $sgpr31
	s_set_inst_prefetch_distance 0x1
	s_branch .LBB1301_56
	.p2align	6
.LBB1301_54:                            ;   in Loop: Header=BB1301_56 Depth=1
	global_load_u16 v23, v[21:22], off
	global_load_u16 v24, v[19:20], off
	v_add_co_u32 v19, vcc_lo, v19, 2
	v_add_co_ci_u32_e32 v20, vcc_lo, 0, v20, vcc_lo
	v_add_co_u32 v21, s2, v21, 2
	s_delay_alu instid0(VALU_DEP_1)
	v_add_co_ci_u32_e64 v22, s2, 0, v22, s2
	s_add_u32 s18, s18, 1
	s_addc_u32 s19, s19, 0
	s_and_not1_b32 s2, s31, exec_lo
	s_waitcnt vmcnt(0)
	v_cmp_neq_f16_e32 vcc_lo, v23, v24
	s_and_b32 s31, vcc_lo, exec_lo
	s_delay_alu instid0(SALU_CYCLE_1)
	s_or_b32 s31, s2, s31
.LBB1301_55:                            ;   in Loop: Header=BB1301_56 Depth=1
	v_dual_mov_b32 v24, s19 :: v_dual_mov_b32 v23, s18
	s_and_b32 s2, exec_lo, s31
	s_delay_alu instid0(SALU_CYCLE_1) | instskip(NEXT) | instid1(SALU_CYCLE_1)
	s_or_b32 s28, s2, s28
	s_and_not1_b32 exec_lo, exec_lo, s28
	s_cbranch_execz .LBB1301_58
.LBB1301_56:                            ; =>This Inner Loop Header: Depth=1
	s_or_b32 s31, s31, exec_lo
	s_cmp_eq_u64 s[6:7], s[18:19]
	s_cbranch_scc0 .LBB1301_54
; %bb.57:                               ;   in Loop: Header=BB1301_56 Depth=1
	s_mov_b64 s[18:19], s[22:23]
                                        ; implicit-def: $vgpr19_vgpr20
                                        ; implicit-def: $vgpr21_vgpr22
	s_branch .LBB1301_55
.LBB1301_58:
	s_set_inst_prefetch_distance 0x2
	s_or_b32 exec_lo, exec_lo, s28
	v_cmp_gt_i64_e32 vcc_lo, s[22:23], v[23:24]
	s_or_not1_b32 s28, vcc_lo, exec_lo
.LBB1301_59:
	s_or_b32 exec_lo, exec_lo, s30
.LBB1301_60:
	v_mul_lo_u32 v21, v10, s22
	v_mul_lo_u32 v22, v9, s23
	v_mad_u64_u32 v[19:20], null, v9, s22, 0
	s_mov_b32 s30, 0
	s_and_not1_b32 vcc_lo, exec_lo, s26
	s_mov_b32 s31, 0
	s_delay_alu instid0(VALU_DEP_1) | instskip(NEXT) | instid1(VALU_DEP_1)
	v_add3_u32 v20, v20, v22, v21
	v_lshlrev_b64 v[21:22], 1, v[19:20]
	s_cbranch_vccnz .LBB1301_69
; %bb.61:
	s_delay_alu instid0(VALU_DEP_1) | instskip(NEXT) | instid1(VALU_DEP_2)
	v_add_co_u32 v19, vcc_lo, s8, v21
	v_add_co_ci_u32_e32 v20, vcc_lo, s9, v22, vcc_lo
	v_add_co_u32 v17, vcc_lo, s8, v17
	v_add_co_ci_u32_e32 v18, vcc_lo, s9, v18, vcc_lo
	s_mov_b32 s31, -1
	s_clause 0x1
	global_load_u16 v23, v[19:20], off
	global_load_u16 v24, v[17:18], off
	s_mov_b32 s33, exec_lo
	s_waitcnt vmcnt(0)
	v_cmpx_eq_f16_e32 v23, v24
	s_cbranch_execz .LBB1301_68
; %bb.62:
	v_add_co_u32 v17, vcc_lo, v17, 2
	v_add_co_ci_u32_e32 v18, vcc_lo, 0, v18, vcc_lo
	v_add_co_u32 v19, vcc_lo, v19, 2
	v_add_co_ci_u32_e32 v20, vcc_lo, 0, v20, vcc_lo
	s_add_u32 s6, s22, -1
	s_addc_u32 s7, s23, -1
	s_mov_b64 s[18:19], 0
	s_mov_b32 s31, 0
                                        ; implicit-def: $sgpr34
	s_set_inst_prefetch_distance 0x1
	s_branch .LBB1301_65
	.p2align	6
.LBB1301_63:                            ;   in Loop: Header=BB1301_65 Depth=1
	global_load_u16 v23, v[19:20], off
	global_load_u16 v24, v[17:18], off
	v_add_co_u32 v17, vcc_lo, v17, 2
	v_add_co_ci_u32_e32 v18, vcc_lo, 0, v18, vcc_lo
	v_add_co_u32 v19, s2, v19, 2
	s_delay_alu instid0(VALU_DEP_1)
	v_add_co_ci_u32_e64 v20, s2, 0, v20, s2
	s_add_u32 s18, s18, 1
	s_addc_u32 s19, s19, 0
	s_and_not1_b32 s2, s34, exec_lo
	s_waitcnt vmcnt(0)
	v_cmp_neq_f16_e32 vcc_lo, v23, v24
	s_and_b32 s34, vcc_lo, exec_lo
	s_delay_alu instid0(SALU_CYCLE_1)
	s_or_b32 s34, s2, s34
.LBB1301_64:                            ;   in Loop: Header=BB1301_65 Depth=1
	v_dual_mov_b32 v24, s19 :: v_dual_mov_b32 v23, s18
	s_and_b32 s2, exec_lo, s34
	s_delay_alu instid0(SALU_CYCLE_1) | instskip(NEXT) | instid1(SALU_CYCLE_1)
	s_or_b32 s31, s2, s31
	s_and_not1_b32 exec_lo, exec_lo, s31
	s_cbranch_execz .LBB1301_67
.LBB1301_65:                            ; =>This Inner Loop Header: Depth=1
	s_or_b32 s34, s34, exec_lo
	s_cmp_eq_u64 s[6:7], s[18:19]
	s_cbranch_scc0 .LBB1301_63
; %bb.66:                               ;   in Loop: Header=BB1301_65 Depth=1
	s_mov_b64 s[18:19], s[22:23]
                                        ; implicit-def: $vgpr17_vgpr18
                                        ; implicit-def: $vgpr19_vgpr20
	s_branch .LBB1301_64
.LBB1301_67:
	s_set_inst_prefetch_distance 0x2
	s_or_b32 exec_lo, exec_lo, s31
	v_cmp_gt_i64_e32 vcc_lo, s[22:23], v[23:24]
	s_or_not1_b32 s31, vcc_lo, exec_lo
.LBB1301_68:
	s_or_b32 exec_lo, exec_lo, s33
.LBB1301_69:
	v_mul_lo_u32 v19, v16, s22
	v_mul_lo_u32 v20, v15, s23
	v_mad_u64_u32 v[17:18], null, v15, s22, 0
	s_and_not1_b32 vcc_lo, exec_lo, s26
	s_delay_alu instid0(VALU_DEP_1) | instskip(NEXT) | instid1(VALU_DEP_1)
	v_add3_u32 v18, v18, v20, v19
	v_lshlrev_b64 v[19:20], 1, v[17:18]
	s_cbranch_vccnz .LBB1301_78
; %bb.70:
	s_delay_alu instid0(VALU_DEP_1) | instskip(NEXT) | instid1(VALU_DEP_2)
	v_add_co_u32 v23, vcc_lo, s8, v19
	v_add_co_ci_u32_e32 v24, vcc_lo, s9, v20, vcc_lo
	v_add_co_u32 v17, vcc_lo, s8, v21
	v_add_co_ci_u32_e32 v18, vcc_lo, s9, v22, vcc_lo
	s_mov_b32 s30, -1
	s_clause 0x1
	global_load_u16 v21, v[23:24], off
	global_load_u16 v22, v[17:18], off
	s_mov_b32 s33, exec_lo
	s_waitcnt vmcnt(0)
	v_cmpx_eq_f16_e32 v21, v22
	s_cbranch_execz .LBB1301_77
; %bb.71:
	v_add_co_u32 v17, vcc_lo, v17, 2
	v_add_co_ci_u32_e32 v18, vcc_lo, 0, v18, vcc_lo
	v_add_co_u32 v21, vcc_lo, v23, 2
	v_add_co_ci_u32_e32 v22, vcc_lo, 0, v24, vcc_lo
	s_add_u32 s6, s22, -1
	s_addc_u32 s7, s23, -1
	s_mov_b64 s[18:19], 0
	s_mov_b32 s30, 0
                                        ; implicit-def: $sgpr34
	s_set_inst_prefetch_distance 0x1
	s_branch .LBB1301_74
	.p2align	6
.LBB1301_72:                            ;   in Loop: Header=BB1301_74 Depth=1
	global_load_u16 v23, v[21:22], off
	global_load_u16 v24, v[17:18], off
	v_add_co_u32 v17, vcc_lo, v17, 2
	v_add_co_ci_u32_e32 v18, vcc_lo, 0, v18, vcc_lo
	v_add_co_u32 v21, s2, v21, 2
	s_delay_alu instid0(VALU_DEP_1)
	v_add_co_ci_u32_e64 v22, s2, 0, v22, s2
	s_add_u32 s18, s18, 1
	s_addc_u32 s19, s19, 0
	s_and_not1_b32 s2, s34, exec_lo
	s_waitcnt vmcnt(0)
	v_cmp_neq_f16_e32 vcc_lo, v23, v24
	s_and_b32 s34, vcc_lo, exec_lo
	s_delay_alu instid0(SALU_CYCLE_1)
	s_or_b32 s34, s2, s34
.LBB1301_73:                            ;   in Loop: Header=BB1301_74 Depth=1
	v_dual_mov_b32 v24, s19 :: v_dual_mov_b32 v23, s18
	s_and_b32 s2, exec_lo, s34
	s_delay_alu instid0(SALU_CYCLE_1) | instskip(NEXT) | instid1(SALU_CYCLE_1)
	s_or_b32 s30, s2, s30
	s_and_not1_b32 exec_lo, exec_lo, s30
	s_cbranch_execz .LBB1301_76
.LBB1301_74:                            ; =>This Inner Loop Header: Depth=1
	s_or_b32 s34, s34, exec_lo
	s_cmp_eq_u64 s[6:7], s[18:19]
	s_cbranch_scc0 .LBB1301_72
; %bb.75:                               ;   in Loop: Header=BB1301_74 Depth=1
	s_mov_b64 s[18:19], s[22:23]
                                        ; implicit-def: $vgpr17_vgpr18
                                        ; implicit-def: $vgpr21_vgpr22
	s_branch .LBB1301_73
.LBB1301_76:
	s_set_inst_prefetch_distance 0x2
	s_or_b32 exec_lo, exec_lo, s30
	v_cmp_gt_i64_e32 vcc_lo, s[22:23], v[23:24]
	s_or_not1_b32 s30, vcc_lo, exec_lo
.LBB1301_77:
	s_or_b32 exec_lo, exec_lo, s33
.LBB1301_78:
	v_mul_lo_u32 v21, v14, s22
	v_mul_lo_u32 v22, v13, s23
	v_mad_u64_u32 v[17:18], null, v13, s22, 0
	s_and_not1_b32 vcc_lo, exec_lo, s26
	s_mov_b32 s2, 0
	s_delay_alu instid0(VALU_DEP_1) | instskip(NEXT) | instid1(VALU_DEP_1)
	v_add3_u32 v18, v18, v22, v21
	v_lshlrev_b64 v[17:18], 1, v[17:18]
	s_cbranch_vccnz .LBB1301_87
; %bb.79:
	s_delay_alu instid0(VALU_DEP_1) | instskip(NEXT) | instid1(VALU_DEP_2)
	v_add_co_u32 v21, vcc_lo, s8, v17
	v_add_co_ci_u32_e32 v22, vcc_lo, s9, v18, vcc_lo
	v_add_co_u32 v19, vcc_lo, s8, v19
	v_add_co_ci_u32_e32 v20, vcc_lo, s9, v20, vcc_lo
	s_mov_b32 s2, -1
	s_clause 0x1
	global_load_u16 v23, v[21:22], off
	global_load_u16 v24, v[19:20], off
	s_mov_b32 s33, exec_lo
	s_waitcnt vmcnt(0)
	v_cmpx_eq_f16_e32 v23, v24
	s_cbranch_execz .LBB1301_86
; %bb.80:
	v_add_co_u32 v19, vcc_lo, v19, 2
	v_add_co_ci_u32_e32 v20, vcc_lo, 0, v20, vcc_lo
	v_add_co_u32 v21, vcc_lo, v21, 2
	v_add_co_ci_u32_e32 v22, vcc_lo, 0, v22, vcc_lo
	s_add_u32 s6, s22, -1
	s_addc_u32 s7, s23, -1
	s_mov_b64 s[18:19], 0
	s_mov_b32 s34, 0
                                        ; implicit-def: $sgpr35
	s_set_inst_prefetch_distance 0x1
	s_branch .LBB1301_83
	.p2align	6
.LBB1301_81:                            ;   in Loop: Header=BB1301_83 Depth=1
	global_load_u16 v23, v[21:22], off
	global_load_u16 v24, v[19:20], off
	v_add_co_u32 v19, vcc_lo, v19, 2
	v_add_co_ci_u32_e32 v20, vcc_lo, 0, v20, vcc_lo
	v_add_co_u32 v21, s2, v21, 2
	s_delay_alu instid0(VALU_DEP_1)
	v_add_co_ci_u32_e64 v22, s2, 0, v22, s2
	s_add_u32 s18, s18, 1
	s_addc_u32 s19, s19, 0
	s_and_not1_b32 s2, s35, exec_lo
	s_waitcnt vmcnt(0)
	v_cmp_neq_f16_e32 vcc_lo, v23, v24
	s_and_b32 s35, vcc_lo, exec_lo
	s_delay_alu instid0(SALU_CYCLE_1)
	s_or_b32 s35, s2, s35
.LBB1301_82:                            ;   in Loop: Header=BB1301_83 Depth=1
	v_dual_mov_b32 v24, s19 :: v_dual_mov_b32 v23, s18
	s_and_b32 s2, exec_lo, s35
	s_delay_alu instid0(SALU_CYCLE_1) | instskip(NEXT) | instid1(SALU_CYCLE_1)
	s_or_b32 s34, s2, s34
	s_and_not1_b32 exec_lo, exec_lo, s34
	s_cbranch_execz .LBB1301_85
.LBB1301_83:                            ; =>This Inner Loop Header: Depth=1
	s_or_b32 s35, s35, exec_lo
	s_cmp_eq_u64 s[6:7], s[18:19]
	s_cbranch_scc0 .LBB1301_81
; %bb.84:                               ;   in Loop: Header=BB1301_83 Depth=1
	s_mov_b64 s[18:19], s[22:23]
                                        ; implicit-def: $vgpr19_vgpr20
                                        ; implicit-def: $vgpr21_vgpr22
	s_branch .LBB1301_82
.LBB1301_85:
	s_set_inst_prefetch_distance 0x2
	s_or_b32 exec_lo, exec_lo, s34
	v_cmp_gt_i64_e32 vcc_lo, s[22:23], v[23:24]
	s_or_not1_b32 s2, vcc_lo, exec_lo
.LBB1301_86:
	s_or_b32 exec_lo, exec_lo, s33
.LBB1301_87:
	s_waitcnt lgkmcnt(0)
	v_dual_mov_b32 v20, s5 :: v_dual_mov_b32 v19, s4
	s_mov_b32 s6, exec_lo
	s_barrier
	buffer_gl0_inv
	v_cmpx_ne_u32_e32 0, v0
	s_cbranch_execz .LBB1301_89
; %bb.88:
	v_add_nc_u32_e32 v19, -8, v39
	ds_load_b64 v[19:20], v19
.LBB1301_89:
	s_or_b32 exec_lo, exec_lo, s6
	v_cndmask_b32_e64 v22, 0, 1, s31
	v_cndmask_b32_e64 v24, 0, 1, s29
	;; [unrolled: 1-line block ×7, first 2 shown]
	v_lshlrev_b16 v22, 8, v22
	v_lshlrev_b16 v24, 8, v24
	;; [unrolled: 1-line block ×4, first 2 shown]
	s_mov_b32 s3, 0
	v_or_b32_e32 v21, v21, v22
	v_or_b32_e32 v22, v23, v24
	;; [unrolled: 1-line block ×3, first 2 shown]
	v_and_b32_e32 v23, 0xffff, v27
	s_and_not1_b32 vcc_lo, exec_lo, s26
	v_lshlrev_b32_e32 v24, 16, v21
	v_and_b32_e32 v26, 0xffff, v22
	v_lshlrev_b32_e32 v27, 16, v28
	s_mov_b32 s2, 0
	s_cbranch_vccnz .LBB1301_98
; %bb.90:
	s_waitcnt lgkmcnt(0)
	v_mul_lo_u32 v22, v20, s22
	v_mul_lo_u32 v28, v19, s23
	v_mad_u64_u32 v[20:21], null, v19, s22, 0
	s_mov_b32 s2, -1
	s_mov_b32 s27, exec_lo
	s_delay_alu instid0(VALU_DEP_1) | instskip(NEXT) | instid1(VALU_DEP_1)
	v_add3_u32 v21, v21, v28, v22
	v_lshlrev_b64 v[19:20], 1, v[20:21]
	s_delay_alu instid0(VALU_DEP_1) | instskip(NEXT) | instid1(VALU_DEP_2)
	v_add_co_u32 v19, vcc_lo, s8, v19
	v_add_co_ci_u32_e32 v20, vcc_lo, s9, v20, vcc_lo
	v_add_co_u32 v17, vcc_lo, s8, v17
	v_add_co_ci_u32_e32 v18, vcc_lo, s9, v18, vcc_lo
	s_clause 0x1
	global_load_u16 v21, v[19:20], off
	global_load_u16 v22, v[17:18], off
	s_waitcnt vmcnt(0)
	v_cmpx_eq_f16_e32 v21, v22
	s_cbranch_execz .LBB1301_97
; %bb.91:
	v_add_co_u32 v17, vcc_lo, v17, 2
	v_add_co_ci_u32_e32 v18, vcc_lo, 0, v18, vcc_lo
	v_add_co_u32 v19, vcc_lo, v19, 2
	v_add_co_ci_u32_e32 v20, vcc_lo, 0, v20, vcc_lo
	s_add_u32 s6, s22, -1
	s_addc_u32 s7, s23, -1
	s_mov_b64 s[18:19], 0
	s_mov_b32 s28, 0
                                        ; implicit-def: $sgpr29
	s_set_inst_prefetch_distance 0x1
	s_branch .LBB1301_94
	.p2align	6
.LBB1301_92:                            ;   in Loop: Header=BB1301_94 Depth=1
	global_load_u16 v21, v[19:20], off
	global_load_u16 v22, v[17:18], off
	v_add_co_u32 v17, vcc_lo, v17, 2
	v_add_co_ci_u32_e32 v18, vcc_lo, 0, v18, vcc_lo
	v_add_co_u32 v19, s2, v19, 2
	s_delay_alu instid0(VALU_DEP_1)
	v_add_co_ci_u32_e64 v20, s2, 0, v20, s2
	s_add_u32 s18, s18, 1
	s_addc_u32 s19, s19, 0
	s_and_not1_b32 s2, s29, exec_lo
	s_waitcnt vmcnt(0)
	v_cmp_neq_f16_e32 vcc_lo, v21, v22
	s_and_b32 s29, vcc_lo, exec_lo
	s_delay_alu instid0(SALU_CYCLE_1)
	s_or_b32 s29, s2, s29
.LBB1301_93:                            ;   in Loop: Header=BB1301_94 Depth=1
	v_dual_mov_b32 v22, s19 :: v_dual_mov_b32 v21, s18
	s_and_b32 s2, exec_lo, s29
	s_delay_alu instid0(SALU_CYCLE_1) | instskip(NEXT) | instid1(SALU_CYCLE_1)
	s_or_b32 s28, s2, s28
	s_and_not1_b32 exec_lo, exec_lo, s28
	s_cbranch_execz .LBB1301_96
.LBB1301_94:                            ; =>This Inner Loop Header: Depth=1
	s_or_b32 s29, s29, exec_lo
	s_cmp_eq_u64 s[6:7], s[18:19]
	s_cbranch_scc0 .LBB1301_92
; %bb.95:                               ;   in Loop: Header=BB1301_94 Depth=1
	s_mov_b64 s[18:19], s[22:23]
                                        ; implicit-def: $vgpr17_vgpr18
                                        ; implicit-def: $vgpr19_vgpr20
	s_branch .LBB1301_93
.LBB1301_96:
	s_set_inst_prefetch_distance 0x2
	s_or_b32 exec_lo, exec_lo, s28
	v_cmp_gt_i64_e32 vcc_lo, s[22:23], v[21:22]
	s_or_not1_b32 s2, vcc_lo, exec_lo
.LBB1301_97:
	s_or_b32 exec_lo, exec_lo, s27
.LBB1301_98:
	v_or_b32_e32 v17, v23, v24
	s_delay_alu instid0(VALU_DEP_2)
	v_or_b32_e32 v18, v26, v27
	s_and_b32 vcc_lo, exec_lo, s3
	s_cbranch_vccz .LBB1301_190
.LBB1301_99:
	v_or_b32_e32 v17, 7, v39
	s_mov_b32 s3, 0
	s_mov_b32 s27, 0
	s_mov_b32 s28, exec_lo
	s_delay_alu instid0(VALU_DEP_1)
	v_cmpx_gt_u32_e64 s20, v17
	s_cbranch_execz .LBB1301_110
; %bb.100:
	s_and_not1_b32 vcc_lo, exec_lo, s26
	s_mov_b32 s2, 0
	s_cbranch_vccnz .LBB1301_109
; %bb.101:
	v_mul_lo_u32 v21, v2, s22
	v_mul_lo_u32 v22, v1, s23
	v_mad_u64_u32 v[17:18], null, v1, s22, 0
	v_mul_lo_u32 v23, v4, s22
	v_mul_lo_u32 v24, v3, s23
	s_waitcnt lgkmcnt(0)
	v_mad_u64_u32 v[19:20], null, v3, s22, 0
	s_mov_b32 s2, -1
	s_mov_b32 s26, exec_lo
	s_delay_alu instid0(VALU_DEP_4) | instskip(NEXT) | instid1(VALU_DEP_2)
	v_add3_u32 v18, v18, v22, v21
	v_add3_u32 v20, v20, v24, v23
	s_delay_alu instid0(VALU_DEP_2) | instskip(NEXT) | instid1(VALU_DEP_2)
	v_lshlrev_b64 v[17:18], 1, v[17:18]
	v_lshlrev_b64 v[21:22], 1, v[19:20]
	s_delay_alu instid0(VALU_DEP_2) | instskip(NEXT) | instid1(VALU_DEP_3)
	v_add_co_u32 v19, vcc_lo, s8, v17
	v_add_co_ci_u32_e32 v20, vcc_lo, s9, v18, vcc_lo
	s_delay_alu instid0(VALU_DEP_3) | instskip(NEXT) | instid1(VALU_DEP_4)
	v_add_co_u32 v17, vcc_lo, s8, v21
	v_add_co_ci_u32_e32 v18, vcc_lo, s9, v22, vcc_lo
	s_clause 0x1
	global_load_u16 v21, v[19:20], off
	global_load_u16 v22, v[17:18], off
	s_waitcnt vmcnt(0)
	v_cmpx_eq_f16_e32 v21, v22
	s_cbranch_execz .LBB1301_108
; %bb.102:
	v_add_co_u32 v17, vcc_lo, v17, 2
	v_add_co_ci_u32_e32 v18, vcc_lo, 0, v18, vcc_lo
	v_add_co_u32 v19, vcc_lo, v19, 2
	v_add_co_ci_u32_e32 v20, vcc_lo, 0, v20, vcc_lo
	s_add_u32 s6, s22, -1
	s_addc_u32 s7, s23, -1
	s_mov_b64 s[18:19], 0
                                        ; implicit-def: $sgpr29
	s_set_inst_prefetch_distance 0x1
	s_branch .LBB1301_105
	.p2align	6
.LBB1301_103:                           ;   in Loop: Header=BB1301_105 Depth=1
	global_load_u16 v21, v[19:20], off
	global_load_u16 v22, v[17:18], off
	v_add_co_u32 v17, vcc_lo, v17, 2
	v_add_co_ci_u32_e32 v18, vcc_lo, 0, v18, vcc_lo
	v_add_co_u32 v19, s2, v19, 2
	s_delay_alu instid0(VALU_DEP_1)
	v_add_co_ci_u32_e64 v20, s2, 0, v20, s2
	s_add_u32 s18, s18, 1
	s_addc_u32 s19, s19, 0
	s_and_not1_b32 s2, s29, exec_lo
	s_waitcnt vmcnt(0)
	v_cmp_neq_f16_e32 vcc_lo, v21, v22
	s_and_b32 s29, vcc_lo, exec_lo
	s_delay_alu instid0(SALU_CYCLE_1)
	s_or_b32 s29, s2, s29
.LBB1301_104:                           ;   in Loop: Header=BB1301_105 Depth=1
	v_dual_mov_b32 v22, s19 :: v_dual_mov_b32 v21, s18
	s_and_b32 s2, exec_lo, s29
	s_delay_alu instid0(SALU_CYCLE_1) | instskip(NEXT) | instid1(SALU_CYCLE_1)
	s_or_b32 s27, s2, s27
	s_and_not1_b32 exec_lo, exec_lo, s27
	s_cbranch_execz .LBB1301_107
.LBB1301_105:                           ; =>This Inner Loop Header: Depth=1
	s_or_b32 s29, s29, exec_lo
	s_cmp_eq_u64 s[6:7], s[18:19]
	s_cbranch_scc0 .LBB1301_103
; %bb.106:                              ;   in Loop: Header=BB1301_105 Depth=1
	s_mov_b64 s[18:19], s[22:23]
                                        ; implicit-def: $vgpr17_vgpr18
                                        ; implicit-def: $vgpr19_vgpr20
	s_branch .LBB1301_104
.LBB1301_107:
	s_set_inst_prefetch_distance 0x2
	s_or_b32 exec_lo, exec_lo, s27
	v_cmp_gt_i64_e32 vcc_lo, s[22:23], v[21:22]
	s_or_not1_b32 s2, vcc_lo, exec_lo
.LBB1301_108:
	s_or_b32 exec_lo, exec_lo, s26
.LBB1301_109:
	s_delay_alu instid0(SALU_CYCLE_1)
	s_and_b32 s27, s2, exec_lo
.LBB1301_110:
	s_or_b32 exec_lo, exec_lo, s28
	v_or_b32_e32 v17, 6, v39
	s_mov_b32 s26, exec_lo
	s_delay_alu instid0(VALU_DEP_1)
	v_cmpx_gt_u32_e64 s20, v17
	s_cbranch_execz .LBB1301_121
; %bb.111:
	v_cmp_ne_u32_e32 vcc_lo, 1, v25
	s_mov_b32 s2, 0
	s_cbranch_vccnz .LBB1301_120
; %bb.112:
	v_mul_lo_u32 v21, v8, s22
	v_mul_lo_u32 v22, v7, s23
	v_mad_u64_u32 v[17:18], null, v7, s22, 0
	v_mul_lo_u32 v23, v2, s22
	v_mul_lo_u32 v24, v1, s23
	s_waitcnt lgkmcnt(0)
	v_mad_u64_u32 v[19:20], null, v1, s22, 0
	s_mov_b32 s2, -1
	s_mov_b32 s3, exec_lo
	s_delay_alu instid0(VALU_DEP_4) | instskip(NEXT) | instid1(VALU_DEP_2)
	v_add3_u32 v18, v18, v22, v21
	v_add3_u32 v20, v20, v24, v23
	s_delay_alu instid0(VALU_DEP_2) | instskip(NEXT) | instid1(VALU_DEP_2)
	v_lshlrev_b64 v[17:18], 1, v[17:18]
	v_lshlrev_b64 v[21:22], 1, v[19:20]
	s_delay_alu instid0(VALU_DEP_2) | instskip(NEXT) | instid1(VALU_DEP_3)
	v_add_co_u32 v19, vcc_lo, s8, v17
	v_add_co_ci_u32_e32 v20, vcc_lo, s9, v18, vcc_lo
	s_delay_alu instid0(VALU_DEP_3) | instskip(NEXT) | instid1(VALU_DEP_4)
	v_add_co_u32 v17, vcc_lo, s8, v21
	v_add_co_ci_u32_e32 v18, vcc_lo, s9, v22, vcc_lo
	s_clause 0x1
	global_load_u16 v21, v[19:20], off
	global_load_u16 v22, v[17:18], off
	s_waitcnt vmcnt(0)
	v_cmpx_eq_f16_e32 v21, v22
	s_cbranch_execz .LBB1301_119
; %bb.113:
	v_add_co_u32 v17, vcc_lo, v17, 2
	v_add_co_ci_u32_e32 v18, vcc_lo, 0, v18, vcc_lo
	v_add_co_u32 v19, vcc_lo, v19, 2
	v_add_co_ci_u32_e32 v20, vcc_lo, 0, v20, vcc_lo
	s_add_u32 s6, s22, -1
	s_addc_u32 s7, s23, -1
	s_mov_b64 s[18:19], 0
	s_mov_b32 s28, 0
                                        ; implicit-def: $sgpr29
	s_set_inst_prefetch_distance 0x1
	s_branch .LBB1301_116
	.p2align	6
.LBB1301_114:                           ;   in Loop: Header=BB1301_116 Depth=1
	global_load_u16 v21, v[19:20], off
	global_load_u16 v22, v[17:18], off
	v_add_co_u32 v17, vcc_lo, v17, 2
	v_add_co_ci_u32_e32 v18, vcc_lo, 0, v18, vcc_lo
	v_add_co_u32 v19, s2, v19, 2
	s_delay_alu instid0(VALU_DEP_1)
	v_add_co_ci_u32_e64 v20, s2, 0, v20, s2
	s_add_u32 s18, s18, 1
	s_addc_u32 s19, s19, 0
	s_and_not1_b32 s2, s29, exec_lo
	s_waitcnt vmcnt(0)
	v_cmp_neq_f16_e32 vcc_lo, v21, v22
	s_and_b32 s29, vcc_lo, exec_lo
	s_delay_alu instid0(SALU_CYCLE_1)
	s_or_b32 s29, s2, s29
.LBB1301_115:                           ;   in Loop: Header=BB1301_116 Depth=1
	v_dual_mov_b32 v22, s19 :: v_dual_mov_b32 v21, s18
	s_and_b32 s2, exec_lo, s29
	s_delay_alu instid0(SALU_CYCLE_1) | instskip(NEXT) | instid1(SALU_CYCLE_1)
	s_or_b32 s28, s2, s28
	s_and_not1_b32 exec_lo, exec_lo, s28
	s_cbranch_execz .LBB1301_118
.LBB1301_116:                           ; =>This Inner Loop Header: Depth=1
	s_or_b32 s29, s29, exec_lo
	s_cmp_eq_u64 s[6:7], s[18:19]
	s_cbranch_scc0 .LBB1301_114
; %bb.117:                              ;   in Loop: Header=BB1301_116 Depth=1
	s_mov_b64 s[18:19], s[22:23]
                                        ; implicit-def: $vgpr17_vgpr18
                                        ; implicit-def: $vgpr19_vgpr20
	s_branch .LBB1301_115
.LBB1301_118:
	s_set_inst_prefetch_distance 0x2
	s_or_b32 exec_lo, exec_lo, s28
	v_cmp_gt_i64_e32 vcc_lo, s[22:23], v[21:22]
	s_or_not1_b32 s2, vcc_lo, exec_lo
.LBB1301_119:
	s_or_b32 exec_lo, exec_lo, s3
.LBB1301_120:
	s_delay_alu instid0(SALU_CYCLE_1)
	s_and_b32 s3, s2, exec_lo
.LBB1301_121:
	s_or_b32 exec_lo, exec_lo, s26
	v_or_b32_e32 v17, 5, v39
	s_mov_b32 s28, 0
	s_mov_b32 s26, 0
	s_mov_b32 s29, exec_lo
	s_delay_alu instid0(VALU_DEP_1)
	v_cmpx_gt_u32_e64 s20, v17
	s_cbranch_execz .LBB1301_132
; %bb.122:
	v_cmp_ne_u32_e32 vcc_lo, 1, v25
	s_mov_b32 s2, 0
	s_cbranch_vccnz .LBB1301_131
; %bb.123:
	v_mul_lo_u32 v21, v6, s22
	v_mul_lo_u32 v22, v5, s23
	v_mad_u64_u32 v[17:18], null, v5, s22, 0
	v_mul_lo_u32 v23, v8, s22
	v_mul_lo_u32 v24, v7, s23
	s_waitcnt lgkmcnt(0)
	v_mad_u64_u32 v[19:20], null, v7, s22, 0
	s_mov_b32 s2, -1
	s_mov_b32 s26, exec_lo
	s_delay_alu instid0(VALU_DEP_4) | instskip(NEXT) | instid1(VALU_DEP_2)
	v_add3_u32 v18, v18, v22, v21
	v_add3_u32 v20, v20, v24, v23
	s_delay_alu instid0(VALU_DEP_2) | instskip(NEXT) | instid1(VALU_DEP_2)
	v_lshlrev_b64 v[17:18], 1, v[17:18]
	v_lshlrev_b64 v[21:22], 1, v[19:20]
	s_delay_alu instid0(VALU_DEP_2) | instskip(NEXT) | instid1(VALU_DEP_3)
	v_add_co_u32 v19, vcc_lo, s8, v17
	v_add_co_ci_u32_e32 v20, vcc_lo, s9, v18, vcc_lo
	s_delay_alu instid0(VALU_DEP_3) | instskip(NEXT) | instid1(VALU_DEP_4)
	v_add_co_u32 v17, vcc_lo, s8, v21
	v_add_co_ci_u32_e32 v18, vcc_lo, s9, v22, vcc_lo
	s_clause 0x1
	global_load_u16 v21, v[19:20], off
	global_load_u16 v22, v[17:18], off
	s_waitcnt vmcnt(0)
	v_cmpx_eq_f16_e32 v21, v22
	s_cbranch_execz .LBB1301_130
; %bb.124:
	v_add_co_u32 v17, vcc_lo, v17, 2
	v_add_co_ci_u32_e32 v18, vcc_lo, 0, v18, vcc_lo
	v_add_co_u32 v19, vcc_lo, v19, 2
	v_add_co_ci_u32_e32 v20, vcc_lo, 0, v20, vcc_lo
	s_add_u32 s6, s22, -1
	s_addc_u32 s7, s23, -1
	s_mov_b64 s[18:19], 0
	s_mov_b32 s30, 0
                                        ; implicit-def: $sgpr31
	s_set_inst_prefetch_distance 0x1
	s_branch .LBB1301_127
	.p2align	6
.LBB1301_125:                           ;   in Loop: Header=BB1301_127 Depth=1
	global_load_u16 v21, v[19:20], off
	global_load_u16 v22, v[17:18], off
	v_add_co_u32 v17, vcc_lo, v17, 2
	v_add_co_ci_u32_e32 v18, vcc_lo, 0, v18, vcc_lo
	v_add_co_u32 v19, s2, v19, 2
	s_delay_alu instid0(VALU_DEP_1)
	v_add_co_ci_u32_e64 v20, s2, 0, v20, s2
	s_add_u32 s18, s18, 1
	s_addc_u32 s19, s19, 0
	s_and_not1_b32 s2, s31, exec_lo
	s_waitcnt vmcnt(0)
	v_cmp_neq_f16_e32 vcc_lo, v21, v22
	s_and_b32 s31, vcc_lo, exec_lo
	s_delay_alu instid0(SALU_CYCLE_1)
	s_or_b32 s31, s2, s31
.LBB1301_126:                           ;   in Loop: Header=BB1301_127 Depth=1
	v_dual_mov_b32 v22, s19 :: v_dual_mov_b32 v21, s18
	s_and_b32 s2, exec_lo, s31
	s_delay_alu instid0(SALU_CYCLE_1) | instskip(NEXT) | instid1(SALU_CYCLE_1)
	s_or_b32 s30, s2, s30
	s_and_not1_b32 exec_lo, exec_lo, s30
	s_cbranch_execz .LBB1301_129
.LBB1301_127:                           ; =>This Inner Loop Header: Depth=1
	s_or_b32 s31, s31, exec_lo
	s_cmp_eq_u64 s[6:7], s[18:19]
	s_cbranch_scc0 .LBB1301_125
; %bb.128:                              ;   in Loop: Header=BB1301_127 Depth=1
	s_mov_b64 s[18:19], s[22:23]
                                        ; implicit-def: $vgpr17_vgpr18
                                        ; implicit-def: $vgpr19_vgpr20
	s_branch .LBB1301_126
.LBB1301_129:
	s_set_inst_prefetch_distance 0x2
	s_or_b32 exec_lo, exec_lo, s30
	v_cmp_gt_i64_e32 vcc_lo, s[22:23], v[21:22]
	s_or_not1_b32 s2, vcc_lo, exec_lo
.LBB1301_130:
	s_or_b32 exec_lo, exec_lo, s26
.LBB1301_131:
	s_delay_alu instid0(SALU_CYCLE_1)
	s_and_b32 s26, s2, exec_lo
.LBB1301_132:
	s_or_b32 exec_lo, exec_lo, s29
	v_or_b32_e32 v17, 4, v39
	s_mov_b32 s29, exec_lo
	s_delay_alu instid0(VALU_DEP_1)
	v_cmpx_gt_u32_e64 s20, v17
	s_cbranch_execz .LBB1301_143
; %bb.133:
	v_cmp_ne_u32_e32 vcc_lo, 1, v25
	s_mov_b32 s2, 0
	s_cbranch_vccnz .LBB1301_142
; %bb.134:
	v_mul_lo_u32 v21, v12, s22
	v_mul_lo_u32 v22, v11, s23
	v_mad_u64_u32 v[17:18], null, v11, s22, 0
	v_mul_lo_u32 v23, v6, s22
	v_mul_lo_u32 v24, v5, s23
	s_waitcnt lgkmcnt(0)
	v_mad_u64_u32 v[19:20], null, v5, s22, 0
	s_mov_b32 s2, -1
	s_mov_b32 s28, exec_lo
	s_delay_alu instid0(VALU_DEP_4) | instskip(NEXT) | instid1(VALU_DEP_2)
	v_add3_u32 v18, v18, v22, v21
	v_add3_u32 v20, v20, v24, v23
	s_delay_alu instid0(VALU_DEP_2) | instskip(NEXT) | instid1(VALU_DEP_2)
	v_lshlrev_b64 v[17:18], 1, v[17:18]
	v_lshlrev_b64 v[21:22], 1, v[19:20]
	s_delay_alu instid0(VALU_DEP_2) | instskip(NEXT) | instid1(VALU_DEP_3)
	v_add_co_u32 v19, vcc_lo, s8, v17
	v_add_co_ci_u32_e32 v20, vcc_lo, s9, v18, vcc_lo
	s_delay_alu instid0(VALU_DEP_3) | instskip(NEXT) | instid1(VALU_DEP_4)
	v_add_co_u32 v17, vcc_lo, s8, v21
	v_add_co_ci_u32_e32 v18, vcc_lo, s9, v22, vcc_lo
	s_clause 0x1
	global_load_u16 v21, v[19:20], off
	global_load_u16 v22, v[17:18], off
	s_waitcnt vmcnt(0)
	v_cmpx_eq_f16_e32 v21, v22
	s_cbranch_execz .LBB1301_141
; %bb.135:
	v_add_co_u32 v17, vcc_lo, v17, 2
	v_add_co_ci_u32_e32 v18, vcc_lo, 0, v18, vcc_lo
	v_add_co_u32 v19, vcc_lo, v19, 2
	v_add_co_ci_u32_e32 v20, vcc_lo, 0, v20, vcc_lo
	s_add_u32 s6, s22, -1
	s_addc_u32 s7, s23, -1
	s_mov_b64 s[18:19], 0
	s_mov_b32 s30, 0
                                        ; implicit-def: $sgpr31
	s_set_inst_prefetch_distance 0x1
	s_branch .LBB1301_138
	.p2align	6
.LBB1301_136:                           ;   in Loop: Header=BB1301_138 Depth=1
	global_load_u16 v21, v[19:20], off
	global_load_u16 v22, v[17:18], off
	v_add_co_u32 v17, vcc_lo, v17, 2
	v_add_co_ci_u32_e32 v18, vcc_lo, 0, v18, vcc_lo
	v_add_co_u32 v19, s2, v19, 2
	s_delay_alu instid0(VALU_DEP_1)
	v_add_co_ci_u32_e64 v20, s2, 0, v20, s2
	s_add_u32 s18, s18, 1
	s_addc_u32 s19, s19, 0
	s_and_not1_b32 s2, s31, exec_lo
	s_waitcnt vmcnt(0)
	v_cmp_neq_f16_e32 vcc_lo, v21, v22
	s_and_b32 s31, vcc_lo, exec_lo
	s_delay_alu instid0(SALU_CYCLE_1)
	s_or_b32 s31, s2, s31
.LBB1301_137:                           ;   in Loop: Header=BB1301_138 Depth=1
	v_dual_mov_b32 v22, s19 :: v_dual_mov_b32 v21, s18
	s_and_b32 s2, exec_lo, s31
	s_delay_alu instid0(SALU_CYCLE_1) | instskip(NEXT) | instid1(SALU_CYCLE_1)
	s_or_b32 s30, s2, s30
	s_and_not1_b32 exec_lo, exec_lo, s30
	s_cbranch_execz .LBB1301_140
.LBB1301_138:                           ; =>This Inner Loop Header: Depth=1
	s_or_b32 s31, s31, exec_lo
	s_cmp_eq_u64 s[6:7], s[18:19]
	s_cbranch_scc0 .LBB1301_136
; %bb.139:                              ;   in Loop: Header=BB1301_138 Depth=1
	s_mov_b64 s[18:19], s[22:23]
                                        ; implicit-def: $vgpr17_vgpr18
                                        ; implicit-def: $vgpr19_vgpr20
	s_branch .LBB1301_137
.LBB1301_140:
	s_set_inst_prefetch_distance 0x2
	s_or_b32 exec_lo, exec_lo, s30
	v_cmp_gt_i64_e32 vcc_lo, s[22:23], v[21:22]
	s_or_not1_b32 s2, vcc_lo, exec_lo
.LBB1301_141:
	s_or_b32 exec_lo, exec_lo, s28
.LBB1301_142:
	s_delay_alu instid0(SALU_CYCLE_1)
	s_and_b32 s28, s2, exec_lo
.LBB1301_143:
	s_or_b32 exec_lo, exec_lo, s29
	v_or_b32_e32 v17, 3, v39
	s_mov_b32 s30, 0
	s_mov_b32 s29, 0
	s_mov_b32 s31, exec_lo
	s_delay_alu instid0(VALU_DEP_1)
	v_cmpx_gt_u32_e64 s20, v17
	s_cbranch_execz .LBB1301_154
; %bb.144:
	v_cmp_ne_u32_e32 vcc_lo, 1, v25
	s_mov_b32 s2, 0
	s_cbranch_vccnz .LBB1301_153
; %bb.145:
	v_mul_lo_u32 v21, v10, s22
	v_mul_lo_u32 v22, v9, s23
	v_mad_u64_u32 v[17:18], null, v9, s22, 0
	v_mul_lo_u32 v23, v12, s22
	v_mul_lo_u32 v24, v11, s23
	s_waitcnt lgkmcnt(0)
	v_mad_u64_u32 v[19:20], null, v11, s22, 0
	s_mov_b32 s2, -1
	s_mov_b32 s29, exec_lo
	s_delay_alu instid0(VALU_DEP_4) | instskip(NEXT) | instid1(VALU_DEP_2)
	v_add3_u32 v18, v18, v22, v21
	v_add3_u32 v20, v20, v24, v23
	s_delay_alu instid0(VALU_DEP_2) | instskip(NEXT) | instid1(VALU_DEP_2)
	v_lshlrev_b64 v[17:18], 1, v[17:18]
	v_lshlrev_b64 v[21:22], 1, v[19:20]
	s_delay_alu instid0(VALU_DEP_2) | instskip(NEXT) | instid1(VALU_DEP_3)
	v_add_co_u32 v19, vcc_lo, s8, v17
	v_add_co_ci_u32_e32 v20, vcc_lo, s9, v18, vcc_lo
	s_delay_alu instid0(VALU_DEP_3) | instskip(NEXT) | instid1(VALU_DEP_4)
	v_add_co_u32 v17, vcc_lo, s8, v21
	v_add_co_ci_u32_e32 v18, vcc_lo, s9, v22, vcc_lo
	s_clause 0x1
	global_load_u16 v21, v[19:20], off
	global_load_u16 v22, v[17:18], off
	s_waitcnt vmcnt(0)
	v_cmpx_eq_f16_e32 v21, v22
	s_cbranch_execz .LBB1301_152
; %bb.146:
	v_add_co_u32 v17, vcc_lo, v17, 2
	v_add_co_ci_u32_e32 v18, vcc_lo, 0, v18, vcc_lo
	v_add_co_u32 v19, vcc_lo, v19, 2
	v_add_co_ci_u32_e32 v20, vcc_lo, 0, v20, vcc_lo
	s_add_u32 s6, s22, -1
	s_addc_u32 s7, s23, -1
	s_mov_b64 s[18:19], 0
	s_mov_b32 s33, 0
                                        ; implicit-def: $sgpr34
	s_set_inst_prefetch_distance 0x1
	s_branch .LBB1301_149
	.p2align	6
.LBB1301_147:                           ;   in Loop: Header=BB1301_149 Depth=1
	global_load_u16 v21, v[19:20], off
	global_load_u16 v22, v[17:18], off
	v_add_co_u32 v17, vcc_lo, v17, 2
	v_add_co_ci_u32_e32 v18, vcc_lo, 0, v18, vcc_lo
	v_add_co_u32 v19, s2, v19, 2
	s_delay_alu instid0(VALU_DEP_1)
	v_add_co_ci_u32_e64 v20, s2, 0, v20, s2
	s_add_u32 s18, s18, 1
	s_addc_u32 s19, s19, 0
	s_and_not1_b32 s2, s34, exec_lo
	s_waitcnt vmcnt(0)
	v_cmp_neq_f16_e32 vcc_lo, v21, v22
	s_and_b32 s34, vcc_lo, exec_lo
	s_delay_alu instid0(SALU_CYCLE_1)
	s_or_b32 s34, s2, s34
.LBB1301_148:                           ;   in Loop: Header=BB1301_149 Depth=1
	v_dual_mov_b32 v22, s19 :: v_dual_mov_b32 v21, s18
	s_and_b32 s2, exec_lo, s34
	s_delay_alu instid0(SALU_CYCLE_1) | instskip(NEXT) | instid1(SALU_CYCLE_1)
	s_or_b32 s33, s2, s33
	s_and_not1_b32 exec_lo, exec_lo, s33
	s_cbranch_execz .LBB1301_151
.LBB1301_149:                           ; =>This Inner Loop Header: Depth=1
	s_or_b32 s34, s34, exec_lo
	s_cmp_eq_u64 s[6:7], s[18:19]
	s_cbranch_scc0 .LBB1301_147
; %bb.150:                              ;   in Loop: Header=BB1301_149 Depth=1
	s_mov_b64 s[18:19], s[22:23]
                                        ; implicit-def: $vgpr17_vgpr18
                                        ; implicit-def: $vgpr19_vgpr20
	s_branch .LBB1301_148
.LBB1301_151:
	s_set_inst_prefetch_distance 0x2
	s_or_b32 exec_lo, exec_lo, s33
	v_cmp_gt_i64_e32 vcc_lo, s[22:23], v[21:22]
	s_or_not1_b32 s2, vcc_lo, exec_lo
.LBB1301_152:
	s_or_b32 exec_lo, exec_lo, s29
.LBB1301_153:
	s_delay_alu instid0(SALU_CYCLE_1)
	s_and_b32 s29, s2, exec_lo
.LBB1301_154:
	s_or_b32 exec_lo, exec_lo, s31
	v_or_b32_e32 v17, 2, v39
	s_mov_b32 s31, exec_lo
	s_delay_alu instid0(VALU_DEP_1)
	v_cmpx_gt_u32_e64 s20, v17
	s_cbranch_execz .LBB1301_165
; %bb.155:
	v_cmp_ne_u32_e32 vcc_lo, 1, v25
	s_mov_b32 s2, 0
	s_cbranch_vccnz .LBB1301_164
; %bb.156:
	v_mul_lo_u32 v21, v16, s22
	v_mul_lo_u32 v22, v15, s23
	v_mad_u64_u32 v[17:18], null, v15, s22, 0
	v_mul_lo_u32 v23, v10, s22
	v_mul_lo_u32 v24, v9, s23
	s_waitcnt lgkmcnt(0)
	v_mad_u64_u32 v[19:20], null, v9, s22, 0
	s_mov_b32 s2, -1
	s_mov_b32 s30, exec_lo
	s_delay_alu instid0(VALU_DEP_4) | instskip(NEXT) | instid1(VALU_DEP_2)
	v_add3_u32 v18, v18, v22, v21
	v_add3_u32 v20, v20, v24, v23
	s_delay_alu instid0(VALU_DEP_2) | instskip(NEXT) | instid1(VALU_DEP_2)
	v_lshlrev_b64 v[17:18], 1, v[17:18]
	v_lshlrev_b64 v[21:22], 1, v[19:20]
	s_delay_alu instid0(VALU_DEP_2) | instskip(NEXT) | instid1(VALU_DEP_3)
	v_add_co_u32 v19, vcc_lo, s8, v17
	v_add_co_ci_u32_e32 v20, vcc_lo, s9, v18, vcc_lo
	s_delay_alu instid0(VALU_DEP_3) | instskip(NEXT) | instid1(VALU_DEP_4)
	v_add_co_u32 v17, vcc_lo, s8, v21
	v_add_co_ci_u32_e32 v18, vcc_lo, s9, v22, vcc_lo
	s_clause 0x1
	global_load_u16 v21, v[19:20], off
	global_load_u16 v22, v[17:18], off
	s_waitcnt vmcnt(0)
	v_cmpx_eq_f16_e32 v21, v22
	s_cbranch_execz .LBB1301_163
; %bb.157:
	v_add_co_u32 v17, vcc_lo, v17, 2
	v_add_co_ci_u32_e32 v18, vcc_lo, 0, v18, vcc_lo
	v_add_co_u32 v19, vcc_lo, v19, 2
	v_add_co_ci_u32_e32 v20, vcc_lo, 0, v20, vcc_lo
	s_add_u32 s6, s22, -1
	s_addc_u32 s7, s23, -1
	s_mov_b64 s[18:19], 0
	s_mov_b32 s33, 0
                                        ; implicit-def: $sgpr34
	s_set_inst_prefetch_distance 0x1
	s_branch .LBB1301_160
	.p2align	6
.LBB1301_158:                           ;   in Loop: Header=BB1301_160 Depth=1
	global_load_u16 v21, v[19:20], off
	global_load_u16 v22, v[17:18], off
	v_add_co_u32 v17, vcc_lo, v17, 2
	v_add_co_ci_u32_e32 v18, vcc_lo, 0, v18, vcc_lo
	v_add_co_u32 v19, s2, v19, 2
	s_delay_alu instid0(VALU_DEP_1)
	v_add_co_ci_u32_e64 v20, s2, 0, v20, s2
	s_add_u32 s18, s18, 1
	s_addc_u32 s19, s19, 0
	s_and_not1_b32 s2, s34, exec_lo
	s_waitcnt vmcnt(0)
	v_cmp_neq_f16_e32 vcc_lo, v21, v22
	s_and_b32 s34, vcc_lo, exec_lo
	s_delay_alu instid0(SALU_CYCLE_1)
	s_or_b32 s34, s2, s34
.LBB1301_159:                           ;   in Loop: Header=BB1301_160 Depth=1
	v_dual_mov_b32 v22, s19 :: v_dual_mov_b32 v21, s18
	s_and_b32 s2, exec_lo, s34
	s_delay_alu instid0(SALU_CYCLE_1) | instskip(NEXT) | instid1(SALU_CYCLE_1)
	s_or_b32 s33, s2, s33
	s_and_not1_b32 exec_lo, exec_lo, s33
	s_cbranch_execz .LBB1301_162
.LBB1301_160:                           ; =>This Inner Loop Header: Depth=1
	s_or_b32 s34, s34, exec_lo
	s_cmp_eq_u64 s[6:7], s[18:19]
	s_cbranch_scc0 .LBB1301_158
; %bb.161:                              ;   in Loop: Header=BB1301_160 Depth=1
	s_mov_b64 s[18:19], s[22:23]
                                        ; implicit-def: $vgpr17_vgpr18
                                        ; implicit-def: $vgpr19_vgpr20
	s_branch .LBB1301_159
.LBB1301_162:
	s_set_inst_prefetch_distance 0x2
	s_or_b32 exec_lo, exec_lo, s33
	v_cmp_gt_i64_e32 vcc_lo, s[22:23], v[21:22]
	s_or_not1_b32 s2, vcc_lo, exec_lo
.LBB1301_163:
	s_or_b32 exec_lo, exec_lo, s30
.LBB1301_164:
	s_delay_alu instid0(SALU_CYCLE_1)
	s_and_b32 s30, s2, exec_lo
.LBB1301_165:
	s_or_b32 exec_lo, exec_lo, s31
	v_or_b32_e32 v17, 1, v39
	s_mov_b32 s2, 0
	s_mov_b32 s31, exec_lo
	s_delay_alu instid0(VALU_DEP_1)
	v_cmpx_gt_u32_e64 s20, v17
	s_cbranch_execz .LBB1301_176
; %bb.166:
	v_cmp_ne_u32_e32 vcc_lo, 1, v25
	s_cbranch_vccnz .LBB1301_175
; %bb.167:
	v_mul_lo_u32 v21, v14, s22
	v_mul_lo_u32 v22, v13, s23
	v_mad_u64_u32 v[17:18], null, v13, s22, 0
	v_mul_lo_u32 v23, v16, s22
	v_mul_lo_u32 v24, v15, s23
	s_waitcnt lgkmcnt(0)
	v_mad_u64_u32 v[19:20], null, v15, s22, 0
	s_mov_b32 s2, -1
	s_mov_b32 s33, exec_lo
	s_delay_alu instid0(VALU_DEP_4) | instskip(NEXT) | instid1(VALU_DEP_2)
	v_add3_u32 v18, v18, v22, v21
	v_add3_u32 v20, v20, v24, v23
	s_delay_alu instid0(VALU_DEP_2) | instskip(NEXT) | instid1(VALU_DEP_2)
	v_lshlrev_b64 v[17:18], 1, v[17:18]
	v_lshlrev_b64 v[21:22], 1, v[19:20]
	s_delay_alu instid0(VALU_DEP_2) | instskip(NEXT) | instid1(VALU_DEP_3)
	v_add_co_u32 v19, vcc_lo, s8, v17
	v_add_co_ci_u32_e32 v20, vcc_lo, s9, v18, vcc_lo
	s_delay_alu instid0(VALU_DEP_3) | instskip(NEXT) | instid1(VALU_DEP_4)
	v_add_co_u32 v17, vcc_lo, s8, v21
	v_add_co_ci_u32_e32 v18, vcc_lo, s9, v22, vcc_lo
	s_clause 0x1
	global_load_u16 v21, v[19:20], off
	global_load_u16 v22, v[17:18], off
	s_waitcnt vmcnt(0)
	v_cmpx_eq_f16_e32 v21, v22
	s_cbranch_execz .LBB1301_174
; %bb.168:
	v_add_co_u32 v17, vcc_lo, v17, 2
	v_add_co_ci_u32_e32 v18, vcc_lo, 0, v18, vcc_lo
	v_add_co_u32 v19, vcc_lo, v19, 2
	v_add_co_ci_u32_e32 v20, vcc_lo, 0, v20, vcc_lo
	s_add_u32 s6, s22, -1
	s_addc_u32 s7, s23, -1
	s_mov_b64 s[18:19], 0
	s_mov_b32 s34, 0
                                        ; implicit-def: $sgpr35
	s_set_inst_prefetch_distance 0x1
	s_branch .LBB1301_171
	.p2align	6
.LBB1301_169:                           ;   in Loop: Header=BB1301_171 Depth=1
	global_load_u16 v21, v[19:20], off
	global_load_u16 v22, v[17:18], off
	v_add_co_u32 v17, vcc_lo, v17, 2
	v_add_co_ci_u32_e32 v18, vcc_lo, 0, v18, vcc_lo
	v_add_co_u32 v19, s2, v19, 2
	s_delay_alu instid0(VALU_DEP_1)
	v_add_co_ci_u32_e64 v20, s2, 0, v20, s2
	s_add_u32 s18, s18, 1
	s_addc_u32 s19, s19, 0
	s_and_not1_b32 s2, s35, exec_lo
	s_waitcnt vmcnt(0)
	v_cmp_neq_f16_e32 vcc_lo, v21, v22
	s_and_b32 s35, vcc_lo, exec_lo
	s_delay_alu instid0(SALU_CYCLE_1)
	s_or_b32 s35, s2, s35
.LBB1301_170:                           ;   in Loop: Header=BB1301_171 Depth=1
	v_dual_mov_b32 v22, s19 :: v_dual_mov_b32 v21, s18
	s_and_b32 s2, exec_lo, s35
	s_delay_alu instid0(SALU_CYCLE_1) | instskip(NEXT) | instid1(SALU_CYCLE_1)
	s_or_b32 s34, s2, s34
	s_and_not1_b32 exec_lo, exec_lo, s34
	s_cbranch_execz .LBB1301_173
.LBB1301_171:                           ; =>This Inner Loop Header: Depth=1
	s_or_b32 s35, s35, exec_lo
	s_cmp_eq_u64 s[6:7], s[18:19]
	s_cbranch_scc0 .LBB1301_169
; %bb.172:                              ;   in Loop: Header=BB1301_171 Depth=1
	s_mov_b64 s[18:19], s[22:23]
                                        ; implicit-def: $vgpr17_vgpr18
                                        ; implicit-def: $vgpr19_vgpr20
	s_branch .LBB1301_170
.LBB1301_173:
	s_set_inst_prefetch_distance 0x2
	s_or_b32 exec_lo, exec_lo, s34
	v_cmp_gt_i64_e32 vcc_lo, s[22:23], v[21:22]
	s_or_not1_b32 s2, vcc_lo, exec_lo
.LBB1301_174:
	s_or_b32 exec_lo, exec_lo, s33
.LBB1301_175:
	s_delay_alu instid0(SALU_CYCLE_1)
	s_and_b32 s2, s2, exec_lo
.LBB1301_176:
	s_or_b32 exec_lo, exec_lo, s31
	s_waitcnt lgkmcnt(0)
	v_dual_mov_b32 v18, s5 :: v_dual_mov_b32 v17, s4
	s_mov_b32 s4, exec_lo
	s_barrier
	buffer_gl0_inv
	v_cmpx_ne_u32_e32 0, v0
	s_cbranch_execz .LBB1301_178
; %bb.177:
	v_add_nc_u32_e32 v17, -8, v39
	ds_load_b64 v[17:18], v17
.LBB1301_178:
	s_or_b32 exec_lo, exec_lo, s4
	v_cndmask_b32_e64 v20, 0, 1, s29
	v_cndmask_b32_e64 v22, 0, 1, s26
	;; [unrolled: 1-line block ×7, first 2 shown]
	v_lshlrev_b16 v20, 8, v20
	v_lshlrev_b16 v22, 8, v22
	;; [unrolled: 1-line block ×3, first 2 shown]
	s_mov_b32 s2, 0
	v_lshlrev_b16 v26, 8, v26
	v_or_b32_e32 v19, v19, v20
	v_or_b32_e32 v20, v21, v22
	;; [unrolled: 1-line block ×3, first 2 shown]
	s_mov_b32 s3, exec_lo
	v_and_b32_e32 v23, 0xffff, v26
	v_lshlrev_b32_e32 v24, 16, v19
	v_and_b32_e32 v26, 0xffff, v20
	v_lshlrev_b32_e32 v27, 16, v21
	v_cmpx_gt_u32_e64 s20, v39
	s_cbranch_execz .LBB1301_189
; %bb.179:
	v_cmp_ne_u32_e32 vcc_lo, 1, v25
	s_cbranch_vccnz .LBB1301_188
; %bb.180:
	s_waitcnt lgkmcnt(0)
	v_mul_lo_u32 v22, v18, s22
	v_mul_lo_u32 v25, v17, s23
	v_mad_u64_u32 v[18:19], null, v17, s22, 0
	v_mul_lo_u32 v17, v14, s22
	v_mul_lo_u32 v28, v13, s23
	v_mad_u64_u32 v[20:21], null, v13, s22, 0
	s_mov_b32 s2, -1
	s_mov_b32 s18, exec_lo
	s_delay_alu instid0(VALU_DEP_4) | instskip(NEXT) | instid1(VALU_DEP_2)
	v_add3_u32 v19, v19, v25, v22
	v_add3_u32 v21, v21, v28, v17
	s_delay_alu instid0(VALU_DEP_2) | instskip(NEXT) | instid1(VALU_DEP_2)
	v_lshlrev_b64 v[17:18], 1, v[18:19]
	v_lshlrev_b64 v[21:22], 1, v[20:21]
	s_delay_alu instid0(VALU_DEP_2) | instskip(NEXT) | instid1(VALU_DEP_3)
	v_add_co_u32 v19, vcc_lo, s8, v17
	v_add_co_ci_u32_e32 v20, vcc_lo, s9, v18, vcc_lo
	s_delay_alu instid0(VALU_DEP_3) | instskip(NEXT) | instid1(VALU_DEP_4)
	v_add_co_u32 v17, vcc_lo, s8, v21
	v_add_co_ci_u32_e32 v18, vcc_lo, s9, v22, vcc_lo
	s_clause 0x1
	global_load_u16 v21, v[19:20], off
	global_load_u16 v22, v[17:18], off
	s_waitcnt vmcnt(0)
	v_cmpx_eq_f16_e32 v21, v22
	s_cbranch_execz .LBB1301_187
; %bb.181:
	v_add_co_u32 v17, vcc_lo, v17, 2
	v_add_co_ci_u32_e32 v18, vcc_lo, 0, v18, vcc_lo
	v_add_co_u32 v19, vcc_lo, v19, 2
	v_add_co_ci_u32_e32 v20, vcc_lo, 0, v20, vcc_lo
	s_add_u32 s4, s22, -1
	s_addc_u32 s5, s23, -1
	s_mov_b64 s[6:7], 0
	s_mov_b32 s19, 0
                                        ; implicit-def: $sgpr26
	s_set_inst_prefetch_distance 0x1
	s_branch .LBB1301_184
	.p2align	6
.LBB1301_182:                           ;   in Loop: Header=BB1301_184 Depth=1
	global_load_u16 v21, v[19:20], off
	global_load_u16 v22, v[17:18], off
	v_add_co_u32 v17, vcc_lo, v17, 2
	v_add_co_ci_u32_e32 v18, vcc_lo, 0, v18, vcc_lo
	v_add_co_u32 v19, s2, v19, 2
	s_delay_alu instid0(VALU_DEP_1)
	v_add_co_ci_u32_e64 v20, s2, 0, v20, s2
	s_add_u32 s6, s6, 1
	s_addc_u32 s7, s7, 0
	s_and_not1_b32 s2, s26, exec_lo
	s_waitcnt vmcnt(0)
	v_cmp_neq_f16_e32 vcc_lo, v21, v22
	s_and_b32 s26, vcc_lo, exec_lo
	s_delay_alu instid0(SALU_CYCLE_1)
	s_or_b32 s26, s2, s26
.LBB1301_183:                           ;   in Loop: Header=BB1301_184 Depth=1
	v_dual_mov_b32 v22, s7 :: v_dual_mov_b32 v21, s6
	s_and_b32 s2, exec_lo, s26
	s_delay_alu instid0(SALU_CYCLE_1) | instskip(NEXT) | instid1(SALU_CYCLE_1)
	s_or_b32 s19, s2, s19
	s_and_not1_b32 exec_lo, exec_lo, s19
	s_cbranch_execz .LBB1301_186
.LBB1301_184:                           ; =>This Inner Loop Header: Depth=1
	s_or_b32 s26, s26, exec_lo
	s_cmp_eq_u64 s[4:5], s[6:7]
	s_cbranch_scc0 .LBB1301_182
; %bb.185:                              ;   in Loop: Header=BB1301_184 Depth=1
	s_mov_b64 s[6:7], s[22:23]
                                        ; implicit-def: $vgpr17_vgpr18
                                        ; implicit-def: $vgpr19_vgpr20
	s_branch .LBB1301_183
.LBB1301_186:
	s_set_inst_prefetch_distance 0x2
	s_or_b32 exec_lo, exec_lo, s19
	v_cmp_gt_i64_e32 vcc_lo, s[22:23], v[21:22]
	s_or_not1_b32 s2, vcc_lo, exec_lo
.LBB1301_187:
	s_or_b32 exec_lo, exec_lo, s18
.LBB1301_188:
	s_delay_alu instid0(SALU_CYCLE_1)
	s_and_b32 s2, s2, exec_lo
.LBB1301_189:
	s_or_b32 exec_lo, exec_lo, s3
	s_waitcnt lgkmcnt(0)
	v_or_b32_e32 v17, v23, v24
	v_or_b32_e32 v18, v26, v27
.LBB1301_190:
	s_mov_b32 s18, -1
	s_cbranch_execnz .LBB1301_359
.LBB1301_191:
	v_cmp_gt_i64_e64 s3, s[22:23], 0
	s_and_b32 vcc_lo, exec_lo, s21
	ds_store_b64 v39, v[3:4]
	s_cbranch_vccz .LBB1301_199
; %bb.192:
	s_waitcnt lgkmcnt(0)
	v_mul_lo_u32 v19, v2, s22
	v_mul_lo_u32 v20, v1, s23
	v_mad_u64_u32 v[17:18], null, v1, s22, 0
	s_mov_b32 s19, 0
	s_and_not1_b32 vcc_lo, exec_lo, s3
	s_mov_b32 s26, 0
	s_delay_alu instid0(VALU_DEP_1) | instskip(NEXT) | instid1(VALU_DEP_1)
	v_add3_u32 v18, v18, v20, v19
	v_lshlrev_b64 v[17:18], 1, v[17:18]
	s_cbranch_vccnz .LBB1301_202
; %bb.193:
	v_mul_lo_u32 v21, v4, s22
	v_mul_lo_u32 v22, v3, s23
	v_mad_u64_u32 v[19:20], null, v3, s22, 0
	s_mov_b32 s26, -1
	s_mov_b32 s27, exec_lo
	s_delay_alu instid0(VALU_DEP_1) | instskip(SKIP_2) | instid1(VALU_DEP_3)
	v_add3_u32 v20, v20, v22, v21
	v_add_co_u32 v21, vcc_lo, s8, v17
	v_add_co_ci_u32_e32 v22, vcc_lo, s9, v18, vcc_lo
	v_lshlrev_b64 v[19:20], 1, v[19:20]
	s_delay_alu instid0(VALU_DEP_1) | instskip(NEXT) | instid1(VALU_DEP_2)
	v_add_co_u32 v19, vcc_lo, s8, v19
	v_add_co_ci_u32_e32 v20, vcc_lo, s9, v20, vcc_lo
	s_clause 0x1
	global_load_u16 v23, v[21:22], off
	global_load_u16 v24, v[19:20], off
	s_waitcnt vmcnt(0)
	v_cmpx_eq_f16_e32 v23, v24
	s_cbranch_execz .LBB1301_201
; %bb.194:
	v_add_co_u32 v19, vcc_lo, v19, 2
	v_add_co_ci_u32_e32 v20, vcc_lo, 0, v20, vcc_lo
	v_add_co_u32 v21, vcc_lo, v21, 2
	v_add_co_ci_u32_e32 v22, vcc_lo, 0, v22, vcc_lo
	s_add_u32 s4, s22, -1
	s_addc_u32 s5, s23, -1
	s_mov_b64 s[6:7], 0
	s_mov_b32 s26, 0
                                        ; implicit-def: $sgpr28
	s_set_inst_prefetch_distance 0x1
	s_branch .LBB1301_197
	.p2align	6
.LBB1301_195:                           ;   in Loop: Header=BB1301_197 Depth=1
	global_load_u16 v23, v[21:22], off
	global_load_u16 v24, v[19:20], off
	v_add_co_u32 v19, vcc_lo, v19, 2
	v_add_co_ci_u32_e32 v20, vcc_lo, 0, v20, vcc_lo
	v_add_co_u32 v21, s2, v21, 2
	s_delay_alu instid0(VALU_DEP_1)
	v_add_co_ci_u32_e64 v22, s2, 0, v22, s2
	s_add_u32 s6, s6, 1
	s_addc_u32 s7, s7, 0
	s_and_not1_b32 s2, s28, exec_lo
	s_waitcnt vmcnt(0)
	v_cmp_neq_f16_e32 vcc_lo, v23, v24
	s_and_b32 s28, vcc_lo, exec_lo
	s_delay_alu instid0(SALU_CYCLE_1)
	s_or_b32 s28, s2, s28
.LBB1301_196:                           ;   in Loop: Header=BB1301_197 Depth=1
	v_dual_mov_b32 v24, s7 :: v_dual_mov_b32 v23, s6
	s_and_b32 s2, exec_lo, s28
	s_delay_alu instid0(SALU_CYCLE_1) | instskip(NEXT) | instid1(SALU_CYCLE_1)
	s_or_b32 s26, s2, s26
	s_and_not1_b32 exec_lo, exec_lo, s26
	s_cbranch_execz .LBB1301_200
.LBB1301_197:                           ; =>This Inner Loop Header: Depth=1
	s_or_b32 s28, s28, exec_lo
	s_cmp_eq_u64 s[4:5], s[6:7]
	s_cbranch_scc0 .LBB1301_195
; %bb.198:                              ;   in Loop: Header=BB1301_197 Depth=1
	s_mov_b64 s[6:7], s[22:23]
                                        ; implicit-def: $vgpr19_vgpr20
                                        ; implicit-def: $vgpr21_vgpr22
	s_branch .LBB1301_196
.LBB1301_199:
	s_waitcnt lgkmcnt(0)
                                        ; implicit-def: $sgpr2
                                        ; implicit-def: $vgpr18
	s_cbranch_execnz .LBB1301_268
	s_branch .LBB1301_359
.LBB1301_200:
	s_set_inst_prefetch_distance 0x2
	s_or_b32 exec_lo, exec_lo, s26
	v_cmp_gt_i64_e32 vcc_lo, s[22:23], v[23:24]
	s_or_not1_b32 s26, vcc_lo, exec_lo
.LBB1301_201:
	s_or_b32 exec_lo, exec_lo, s27
.LBB1301_202:
	v_mul_lo_u32 v21, v8, s22
	v_mul_lo_u32 v22, v7, s23
	v_mad_u64_u32 v[19:20], null, v7, s22, 0
	s_and_not1_b32 vcc_lo, exec_lo, s3
	s_delay_alu instid0(VALU_DEP_1) | instskip(NEXT) | instid1(VALU_DEP_1)
	v_add3_u32 v20, v20, v22, v21
	v_lshlrev_b64 v[19:20], 1, v[19:20]
	s_cbranch_vccnz .LBB1301_211
; %bb.203:
	s_delay_alu instid0(VALU_DEP_1) | instskip(NEXT) | instid1(VALU_DEP_2)
	v_add_co_u32 v21, vcc_lo, s8, v19
	v_add_co_ci_u32_e32 v22, vcc_lo, s9, v20, vcc_lo
	v_add_co_u32 v17, vcc_lo, s8, v17
	v_add_co_ci_u32_e32 v18, vcc_lo, s9, v18, vcc_lo
	s_mov_b32 s19, -1
	s_clause 0x1
	global_load_u16 v23, v[21:22], off
	global_load_u16 v24, v[17:18], off
	s_mov_b32 s27, exec_lo
	s_waitcnt vmcnt(0)
	v_cmpx_eq_f16_e32 v23, v24
	s_cbranch_execz .LBB1301_210
; %bb.204:
	v_add_co_u32 v17, vcc_lo, v17, 2
	v_add_co_ci_u32_e32 v18, vcc_lo, 0, v18, vcc_lo
	v_add_co_u32 v21, vcc_lo, v21, 2
	v_add_co_ci_u32_e32 v22, vcc_lo, 0, v22, vcc_lo
	s_add_u32 s4, s22, -1
	s_addc_u32 s5, s23, -1
	s_mov_b64 s[6:7], 0
	s_mov_b32 s19, 0
                                        ; implicit-def: $sgpr28
	s_set_inst_prefetch_distance 0x1
	s_branch .LBB1301_207
	.p2align	6
.LBB1301_205:                           ;   in Loop: Header=BB1301_207 Depth=1
	global_load_u16 v23, v[21:22], off
	global_load_u16 v24, v[17:18], off
	v_add_co_u32 v17, vcc_lo, v17, 2
	v_add_co_ci_u32_e32 v18, vcc_lo, 0, v18, vcc_lo
	v_add_co_u32 v21, s2, v21, 2
	s_delay_alu instid0(VALU_DEP_1)
	v_add_co_ci_u32_e64 v22, s2, 0, v22, s2
	s_add_u32 s6, s6, 1
	s_addc_u32 s7, s7, 0
	s_and_not1_b32 s2, s28, exec_lo
	s_waitcnt vmcnt(0)
	v_cmp_neq_f16_e32 vcc_lo, v23, v24
	s_and_b32 s28, vcc_lo, exec_lo
	s_delay_alu instid0(SALU_CYCLE_1)
	s_or_b32 s28, s2, s28
.LBB1301_206:                           ;   in Loop: Header=BB1301_207 Depth=1
	v_dual_mov_b32 v24, s7 :: v_dual_mov_b32 v23, s6
	s_and_b32 s2, exec_lo, s28
	s_delay_alu instid0(SALU_CYCLE_1) | instskip(NEXT) | instid1(SALU_CYCLE_1)
	s_or_b32 s19, s2, s19
	s_and_not1_b32 exec_lo, exec_lo, s19
	s_cbranch_execz .LBB1301_209
.LBB1301_207:                           ; =>This Inner Loop Header: Depth=1
	s_or_b32 s28, s28, exec_lo
	s_cmp_eq_u64 s[4:5], s[6:7]
	s_cbranch_scc0 .LBB1301_205
; %bb.208:                              ;   in Loop: Header=BB1301_207 Depth=1
	s_mov_b64 s[6:7], s[22:23]
                                        ; implicit-def: $vgpr17_vgpr18
                                        ; implicit-def: $vgpr21_vgpr22
	s_branch .LBB1301_206
.LBB1301_209:
	s_set_inst_prefetch_distance 0x2
	s_or_b32 exec_lo, exec_lo, s19
	v_cmp_gt_i64_e32 vcc_lo, s[22:23], v[23:24]
	s_or_not1_b32 s19, vcc_lo, exec_lo
.LBB1301_210:
	s_or_b32 exec_lo, exec_lo, s27
.LBB1301_211:
	v_mul_lo_u32 v21, v6, s22
	v_mul_lo_u32 v22, v5, s23
	v_mad_u64_u32 v[17:18], null, v5, s22, 0
	s_mov_b32 s27, 0
	s_and_not1_b32 vcc_lo, exec_lo, s3
	s_mov_b32 s28, 0
	s_delay_alu instid0(VALU_DEP_1) | instskip(NEXT) | instid1(VALU_DEP_1)
	v_add3_u32 v18, v18, v22, v21
	v_lshlrev_b64 v[21:22], 1, v[17:18]
	s_cbranch_vccnz .LBB1301_220
; %bb.212:
	s_delay_alu instid0(VALU_DEP_1) | instskip(NEXT) | instid1(VALU_DEP_2)
	v_add_co_u32 v23, vcc_lo, s8, v21
	v_add_co_ci_u32_e32 v24, vcc_lo, s9, v22, vcc_lo
	v_add_co_u32 v17, vcc_lo, s8, v19
	v_add_co_ci_u32_e32 v18, vcc_lo, s9, v20, vcc_lo
	s_mov_b32 s28, -1
	s_clause 0x1
	global_load_u16 v19, v[23:24], off
	global_load_u16 v20, v[17:18], off
	s_mov_b32 s29, exec_lo
	s_waitcnt vmcnt(0)
	v_cmpx_eq_f16_e32 v19, v20
	s_cbranch_execz .LBB1301_219
; %bb.213:
	v_add_co_u32 v17, vcc_lo, v17, 2
	v_add_co_ci_u32_e32 v18, vcc_lo, 0, v18, vcc_lo
	v_add_co_u32 v19, vcc_lo, v23, 2
	v_add_co_ci_u32_e32 v20, vcc_lo, 0, v24, vcc_lo
	s_add_u32 s4, s22, -1
	s_addc_u32 s5, s23, -1
	s_mov_b64 s[6:7], 0
	s_mov_b32 s28, 0
                                        ; implicit-def: $sgpr30
	s_set_inst_prefetch_distance 0x1
	s_branch .LBB1301_216
	.p2align	6
.LBB1301_214:                           ;   in Loop: Header=BB1301_216 Depth=1
	global_load_u16 v23, v[19:20], off
	global_load_u16 v24, v[17:18], off
	v_add_co_u32 v17, vcc_lo, v17, 2
	v_add_co_ci_u32_e32 v18, vcc_lo, 0, v18, vcc_lo
	v_add_co_u32 v19, s2, v19, 2
	s_delay_alu instid0(VALU_DEP_1)
	v_add_co_ci_u32_e64 v20, s2, 0, v20, s2
	s_add_u32 s6, s6, 1
	s_addc_u32 s7, s7, 0
	s_and_not1_b32 s2, s30, exec_lo
	s_waitcnt vmcnt(0)
	v_cmp_neq_f16_e32 vcc_lo, v23, v24
	s_and_b32 s30, vcc_lo, exec_lo
	s_delay_alu instid0(SALU_CYCLE_1)
	s_or_b32 s30, s2, s30
.LBB1301_215:                           ;   in Loop: Header=BB1301_216 Depth=1
	v_dual_mov_b32 v24, s7 :: v_dual_mov_b32 v23, s6
	s_and_b32 s2, exec_lo, s30
	s_delay_alu instid0(SALU_CYCLE_1) | instskip(NEXT) | instid1(SALU_CYCLE_1)
	s_or_b32 s28, s2, s28
	s_and_not1_b32 exec_lo, exec_lo, s28
	s_cbranch_execz .LBB1301_218
.LBB1301_216:                           ; =>This Inner Loop Header: Depth=1
	s_or_b32 s30, s30, exec_lo
	s_cmp_eq_u64 s[4:5], s[6:7]
	s_cbranch_scc0 .LBB1301_214
; %bb.217:                              ;   in Loop: Header=BB1301_216 Depth=1
	s_mov_b64 s[6:7], s[22:23]
                                        ; implicit-def: $vgpr17_vgpr18
                                        ; implicit-def: $vgpr19_vgpr20
	s_branch .LBB1301_215
.LBB1301_218:
	s_set_inst_prefetch_distance 0x2
	s_or_b32 exec_lo, exec_lo, s28
	v_cmp_gt_i64_e32 vcc_lo, s[22:23], v[23:24]
	s_or_not1_b32 s28, vcc_lo, exec_lo
.LBB1301_219:
	s_or_b32 exec_lo, exec_lo, s29
.LBB1301_220:
	v_mul_lo_u32 v19, v12, s22
	v_mul_lo_u32 v20, v11, s23
	v_mad_u64_u32 v[17:18], null, v11, s22, 0
	s_and_not1_b32 vcc_lo, exec_lo, s3
	s_delay_alu instid0(VALU_DEP_1) | instskip(NEXT) | instid1(VALU_DEP_1)
	v_add3_u32 v18, v18, v20, v19
	v_lshlrev_b64 v[17:18], 1, v[17:18]
	s_cbranch_vccnz .LBB1301_229
; %bb.221:
	s_delay_alu instid0(VALU_DEP_1) | instskip(NEXT) | instid1(VALU_DEP_2)
	v_add_co_u32 v23, vcc_lo, s8, v17
	v_add_co_ci_u32_e32 v24, vcc_lo, s9, v18, vcc_lo
	v_add_co_u32 v19, vcc_lo, s8, v21
	v_add_co_ci_u32_e32 v20, vcc_lo, s9, v22, vcc_lo
	s_mov_b32 s27, -1
	s_clause 0x1
	global_load_u16 v21, v[23:24], off
	global_load_u16 v22, v[19:20], off
	s_mov_b32 s29, exec_lo
	s_waitcnt vmcnt(0)
	v_cmpx_eq_f16_e32 v21, v22
	s_cbranch_execz .LBB1301_228
; %bb.222:
	v_add_co_u32 v19, vcc_lo, v19, 2
	v_add_co_ci_u32_e32 v20, vcc_lo, 0, v20, vcc_lo
	v_add_co_u32 v21, vcc_lo, v23, 2
	v_add_co_ci_u32_e32 v22, vcc_lo, 0, v24, vcc_lo
	s_add_u32 s4, s22, -1
	s_addc_u32 s5, s23, -1
	s_mov_b64 s[6:7], 0
	s_mov_b32 s27, 0
                                        ; implicit-def: $sgpr30
	s_set_inst_prefetch_distance 0x1
	s_branch .LBB1301_225
	.p2align	6
.LBB1301_223:                           ;   in Loop: Header=BB1301_225 Depth=1
	global_load_u16 v23, v[21:22], off
	global_load_u16 v24, v[19:20], off
	v_add_co_u32 v19, vcc_lo, v19, 2
	v_add_co_ci_u32_e32 v20, vcc_lo, 0, v20, vcc_lo
	v_add_co_u32 v21, s2, v21, 2
	s_delay_alu instid0(VALU_DEP_1)
	v_add_co_ci_u32_e64 v22, s2, 0, v22, s2
	s_add_u32 s6, s6, 1
	s_addc_u32 s7, s7, 0
	s_and_not1_b32 s2, s30, exec_lo
	s_waitcnt vmcnt(0)
	v_cmp_neq_f16_e32 vcc_lo, v23, v24
	s_and_b32 s30, vcc_lo, exec_lo
	s_delay_alu instid0(SALU_CYCLE_1)
	s_or_b32 s30, s2, s30
.LBB1301_224:                           ;   in Loop: Header=BB1301_225 Depth=1
	v_dual_mov_b32 v24, s7 :: v_dual_mov_b32 v23, s6
	s_and_b32 s2, exec_lo, s30
	s_delay_alu instid0(SALU_CYCLE_1) | instskip(NEXT) | instid1(SALU_CYCLE_1)
	s_or_b32 s27, s2, s27
	s_and_not1_b32 exec_lo, exec_lo, s27
	s_cbranch_execz .LBB1301_227
.LBB1301_225:                           ; =>This Inner Loop Header: Depth=1
	s_or_b32 s30, s30, exec_lo
	s_cmp_eq_u64 s[4:5], s[6:7]
	s_cbranch_scc0 .LBB1301_223
; %bb.226:                              ;   in Loop: Header=BB1301_225 Depth=1
	s_mov_b64 s[6:7], s[22:23]
                                        ; implicit-def: $vgpr19_vgpr20
                                        ; implicit-def: $vgpr21_vgpr22
	s_branch .LBB1301_224
.LBB1301_227:
	s_set_inst_prefetch_distance 0x2
	s_or_b32 exec_lo, exec_lo, s27
	v_cmp_gt_i64_e32 vcc_lo, s[22:23], v[23:24]
	s_or_not1_b32 s27, vcc_lo, exec_lo
.LBB1301_228:
	s_or_b32 exec_lo, exec_lo, s29
.LBB1301_229:
	v_mul_lo_u32 v21, v10, s22
	v_mul_lo_u32 v22, v9, s23
	v_mad_u64_u32 v[19:20], null, v9, s22, 0
	s_mov_b32 s29, 0
	s_and_not1_b32 vcc_lo, exec_lo, s3
	s_mov_b32 s30, 0
	s_delay_alu instid0(VALU_DEP_1) | instskip(NEXT) | instid1(VALU_DEP_1)
	v_add3_u32 v20, v20, v22, v21
	v_lshlrev_b64 v[19:20], 1, v[19:20]
	s_cbranch_vccnz .LBB1301_238
; %bb.230:
	s_delay_alu instid0(VALU_DEP_1) | instskip(NEXT) | instid1(VALU_DEP_2)
	v_add_co_u32 v21, vcc_lo, s8, v19
	v_add_co_ci_u32_e32 v22, vcc_lo, s9, v20, vcc_lo
	v_add_co_u32 v17, vcc_lo, s8, v17
	v_add_co_ci_u32_e32 v18, vcc_lo, s9, v18, vcc_lo
	s_mov_b32 s30, -1
	s_clause 0x1
	global_load_u16 v23, v[21:22], off
	global_load_u16 v24, v[17:18], off
	s_mov_b32 s31, exec_lo
	s_waitcnt vmcnt(0)
	v_cmpx_eq_f16_e32 v23, v24
	s_cbranch_execz .LBB1301_237
; %bb.231:
	v_add_co_u32 v17, vcc_lo, v17, 2
	v_add_co_ci_u32_e32 v18, vcc_lo, 0, v18, vcc_lo
	v_add_co_u32 v21, vcc_lo, v21, 2
	v_add_co_ci_u32_e32 v22, vcc_lo, 0, v22, vcc_lo
	s_add_u32 s4, s22, -1
	s_addc_u32 s5, s23, -1
	s_mov_b64 s[6:7], 0
	s_mov_b32 s30, 0
                                        ; implicit-def: $sgpr33
	s_set_inst_prefetch_distance 0x1
	s_branch .LBB1301_234
	.p2align	6
.LBB1301_232:                           ;   in Loop: Header=BB1301_234 Depth=1
	global_load_u16 v23, v[21:22], off
	global_load_u16 v24, v[17:18], off
	v_add_co_u32 v17, vcc_lo, v17, 2
	v_add_co_ci_u32_e32 v18, vcc_lo, 0, v18, vcc_lo
	v_add_co_u32 v21, s2, v21, 2
	s_delay_alu instid0(VALU_DEP_1)
	v_add_co_ci_u32_e64 v22, s2, 0, v22, s2
	s_add_u32 s6, s6, 1
	s_addc_u32 s7, s7, 0
	s_and_not1_b32 s2, s33, exec_lo
	s_waitcnt vmcnt(0)
	v_cmp_neq_f16_e32 vcc_lo, v23, v24
	s_and_b32 s33, vcc_lo, exec_lo
	s_delay_alu instid0(SALU_CYCLE_1)
	s_or_b32 s33, s2, s33
.LBB1301_233:                           ;   in Loop: Header=BB1301_234 Depth=1
	v_dual_mov_b32 v24, s7 :: v_dual_mov_b32 v23, s6
	s_and_b32 s2, exec_lo, s33
	s_delay_alu instid0(SALU_CYCLE_1) | instskip(NEXT) | instid1(SALU_CYCLE_1)
	s_or_b32 s30, s2, s30
	s_and_not1_b32 exec_lo, exec_lo, s30
	s_cbranch_execz .LBB1301_236
.LBB1301_234:                           ; =>This Inner Loop Header: Depth=1
	s_or_b32 s33, s33, exec_lo
	s_cmp_eq_u64 s[4:5], s[6:7]
	s_cbranch_scc0 .LBB1301_232
; %bb.235:                              ;   in Loop: Header=BB1301_234 Depth=1
	s_mov_b64 s[6:7], s[22:23]
                                        ; implicit-def: $vgpr17_vgpr18
                                        ; implicit-def: $vgpr21_vgpr22
	s_branch .LBB1301_233
.LBB1301_236:
	s_set_inst_prefetch_distance 0x2
	s_or_b32 exec_lo, exec_lo, s30
	v_cmp_gt_i64_e32 vcc_lo, s[22:23], v[23:24]
	s_or_not1_b32 s30, vcc_lo, exec_lo
.LBB1301_237:
	s_or_b32 exec_lo, exec_lo, s31
.LBB1301_238:
	v_mul_lo_u32 v21, v16, s22
	v_mul_lo_u32 v22, v15, s23
	v_mad_u64_u32 v[17:18], null, v15, s22, 0
	s_and_not1_b32 vcc_lo, exec_lo, s3
	s_delay_alu instid0(VALU_DEP_1) | instskip(NEXT) | instid1(VALU_DEP_1)
	v_add3_u32 v18, v18, v22, v21
	v_lshlrev_b64 v[17:18], 1, v[17:18]
	s_cbranch_vccnz .LBB1301_247
; %bb.239:
	s_delay_alu instid0(VALU_DEP_1) | instskip(NEXT) | instid1(VALU_DEP_2)
	v_add_co_u32 v21, vcc_lo, s8, v17
	v_add_co_ci_u32_e32 v22, vcc_lo, s9, v18, vcc_lo
	v_add_co_u32 v19, vcc_lo, s8, v19
	v_add_co_ci_u32_e32 v20, vcc_lo, s9, v20, vcc_lo
	s_mov_b32 s29, -1
	s_clause 0x1
	global_load_u16 v23, v[21:22], off
	global_load_u16 v24, v[19:20], off
	s_mov_b32 s31, exec_lo
	s_waitcnt vmcnt(0)
	v_cmpx_eq_f16_e32 v23, v24
	s_cbranch_execz .LBB1301_246
; %bb.240:
	v_add_co_u32 v19, vcc_lo, v19, 2
	v_add_co_ci_u32_e32 v20, vcc_lo, 0, v20, vcc_lo
	v_add_co_u32 v21, vcc_lo, v21, 2
	v_add_co_ci_u32_e32 v22, vcc_lo, 0, v22, vcc_lo
	s_add_u32 s4, s22, -1
	s_addc_u32 s5, s23, -1
	s_mov_b64 s[6:7], 0
	s_mov_b32 s29, 0
                                        ; implicit-def: $sgpr33
	s_set_inst_prefetch_distance 0x1
	s_branch .LBB1301_243
	.p2align	6
.LBB1301_241:                           ;   in Loop: Header=BB1301_243 Depth=1
	global_load_u16 v23, v[21:22], off
	global_load_u16 v24, v[19:20], off
	v_add_co_u32 v19, vcc_lo, v19, 2
	v_add_co_ci_u32_e32 v20, vcc_lo, 0, v20, vcc_lo
	v_add_co_u32 v21, s2, v21, 2
	s_delay_alu instid0(VALU_DEP_1)
	v_add_co_ci_u32_e64 v22, s2, 0, v22, s2
	s_add_u32 s6, s6, 1
	s_addc_u32 s7, s7, 0
	s_and_not1_b32 s2, s33, exec_lo
	s_waitcnt vmcnt(0)
	v_cmp_neq_f16_e32 vcc_lo, v23, v24
	s_and_b32 s33, vcc_lo, exec_lo
	s_delay_alu instid0(SALU_CYCLE_1)
	s_or_b32 s33, s2, s33
.LBB1301_242:                           ;   in Loop: Header=BB1301_243 Depth=1
	v_dual_mov_b32 v24, s7 :: v_dual_mov_b32 v23, s6
	s_and_b32 s2, exec_lo, s33
	s_delay_alu instid0(SALU_CYCLE_1) | instskip(NEXT) | instid1(SALU_CYCLE_1)
	s_or_b32 s29, s2, s29
	s_and_not1_b32 exec_lo, exec_lo, s29
	s_cbranch_execz .LBB1301_245
.LBB1301_243:                           ; =>This Inner Loop Header: Depth=1
	s_or_b32 s33, s33, exec_lo
	s_cmp_eq_u64 s[4:5], s[6:7]
	s_cbranch_scc0 .LBB1301_241
; %bb.244:                              ;   in Loop: Header=BB1301_243 Depth=1
	s_mov_b64 s[6:7], s[22:23]
                                        ; implicit-def: $vgpr19_vgpr20
                                        ; implicit-def: $vgpr21_vgpr22
	s_branch .LBB1301_242
.LBB1301_245:
	s_set_inst_prefetch_distance 0x2
	s_or_b32 exec_lo, exec_lo, s29
	v_cmp_gt_i64_e32 vcc_lo, s[22:23], v[23:24]
	s_or_not1_b32 s29, vcc_lo, exec_lo
.LBB1301_246:
	s_or_b32 exec_lo, exec_lo, s31
.LBB1301_247:
	v_mul_lo_u32 v21, v14, s22
	v_mul_lo_u32 v22, v13, s23
	v_mad_u64_u32 v[19:20], null, v13, s22, 0
	s_and_not1_b32 vcc_lo, exec_lo, s3
	s_mov_b32 s2, 0
	s_delay_alu instid0(VALU_DEP_1)
	v_add3_u32 v20, v20, v22, v21
	s_cbranch_vccnz .LBB1301_256
; %bb.248:
	s_delay_alu instid0(VALU_DEP_1) | instskip(SKIP_2) | instid1(VALU_DEP_1)
	v_lshlrev_b64 v[21:22], 1, v[19:20]
	s_mov_b32 s2, -1
	s_mov_b32 s31, exec_lo
	v_add_co_u32 v21, vcc_lo, s8, v21
	s_delay_alu instid0(VALU_DEP_2)
	v_add_co_ci_u32_e32 v22, vcc_lo, s9, v22, vcc_lo
	v_add_co_u32 v17, vcc_lo, s8, v17
	v_add_co_ci_u32_e32 v18, vcc_lo, s9, v18, vcc_lo
	s_clause 0x1
	global_load_u16 v23, v[21:22], off
	global_load_u16 v24, v[17:18], off
	s_waitcnt vmcnt(0)
	v_cmpx_eq_f16_e32 v23, v24
	s_cbranch_execz .LBB1301_255
; %bb.249:
	v_add_co_u32 v17, vcc_lo, v17, 2
	v_add_co_ci_u32_e32 v18, vcc_lo, 0, v18, vcc_lo
	v_add_co_u32 v21, vcc_lo, v21, 2
	v_add_co_ci_u32_e32 v22, vcc_lo, 0, v22, vcc_lo
	s_add_u32 s4, s22, -1
	s_addc_u32 s5, s23, -1
	s_mov_b64 s[6:7], 0
	s_mov_b32 s33, 0
                                        ; implicit-def: $sgpr34
	s_set_inst_prefetch_distance 0x1
	s_branch .LBB1301_252
	.p2align	6
.LBB1301_250:                           ;   in Loop: Header=BB1301_252 Depth=1
	global_load_u16 v23, v[21:22], off
	global_load_u16 v24, v[17:18], off
	v_add_co_u32 v17, vcc_lo, v17, 2
	v_add_co_ci_u32_e32 v18, vcc_lo, 0, v18, vcc_lo
	v_add_co_u32 v21, s2, v21, 2
	s_delay_alu instid0(VALU_DEP_1)
	v_add_co_ci_u32_e64 v22, s2, 0, v22, s2
	s_add_u32 s6, s6, 1
	s_addc_u32 s7, s7, 0
	s_and_not1_b32 s2, s34, exec_lo
	s_waitcnt vmcnt(0)
	v_cmp_neq_f16_e32 vcc_lo, v23, v24
	s_and_b32 s34, vcc_lo, exec_lo
	s_delay_alu instid0(SALU_CYCLE_1)
	s_or_b32 s34, s2, s34
.LBB1301_251:                           ;   in Loop: Header=BB1301_252 Depth=1
	v_dual_mov_b32 v24, s7 :: v_dual_mov_b32 v23, s6
	s_and_b32 s2, exec_lo, s34
	s_delay_alu instid0(SALU_CYCLE_1) | instskip(NEXT) | instid1(SALU_CYCLE_1)
	s_or_b32 s33, s2, s33
	s_and_not1_b32 exec_lo, exec_lo, s33
	s_cbranch_execz .LBB1301_254
.LBB1301_252:                           ; =>This Inner Loop Header: Depth=1
	s_or_b32 s34, s34, exec_lo
	s_cmp_eq_u64 s[4:5], s[6:7]
	s_cbranch_scc0 .LBB1301_250
; %bb.253:                              ;   in Loop: Header=BB1301_252 Depth=1
	s_mov_b64 s[6:7], s[22:23]
                                        ; implicit-def: $vgpr17_vgpr18
                                        ; implicit-def: $vgpr21_vgpr22
	s_branch .LBB1301_251
.LBB1301_254:
	s_set_inst_prefetch_distance 0x2
	s_or_b32 exec_lo, exec_lo, s33
	v_cmp_gt_i64_e32 vcc_lo, s[22:23], v[23:24]
	s_or_not1_b32 s2, vcc_lo, exec_lo
.LBB1301_255:
	s_or_b32 exec_lo, exec_lo, s31
.LBB1301_256:
	v_cndmask_b32_e64 v18, 0, 1, s30
	v_cndmask_b32_e64 v21, 0, 1, s28
	;; [unrolled: 1-line block ×7, first 2 shown]
	v_lshlrev_b16 v21, 8, v21
	v_lshlrev_b16 v22, 8, v22
	;; [unrolled: 1-line block ×4, first 2 shown]
	s_delay_alu instid0(VALU_DEP_4) | instskip(NEXT) | instid1(VALU_DEP_4)
	v_or_b32_e32 v21, v24, v21
	v_or_b32_e32 v22, v25, v22
	s_delay_alu instid0(VALU_DEP_4) | instskip(NEXT) | instid1(VALU_DEP_4)
	v_or_b32_e32 v23, 1, v23
	v_or_b32_e32 v17, v17, v18
	s_barrier
	v_and_b32_e32 v18, 0xffff, v21
	v_lshlrev_b32_e32 v21, 16, v22
	v_and_b32_e32 v22, 0xffff, v23
	v_lshlrev_b32_e32 v17, 16, v17
	buffer_gl0_inv
                                        ; implicit-def: $sgpr2
	s_mov_b32 s4, exec_lo
	v_or_b32_e32 v18, v18, v21
	v_or_b32_e32 v17, v22, v17
	v_cmpx_ne_u32_e32 0, v0
	s_xor_b32 s19, exec_lo, s4
	s_cbranch_execz .LBB1301_267
; %bb.257:
	s_and_not1_b32 vcc_lo, exec_lo, s3
	s_mov_b32 s2, 0
	s_cbranch_vccnz .LBB1301_266
; %bb.258:
	v_add_nc_u32_e32 v21, -8, v39
	v_lshlrev_b64 v[19:20], 1, v[19:20]
	s_mov_b32 s2, -1
	s_mov_b32 s26, exec_lo
	ds_load_b64 v[21:22], v21
	s_waitcnt lgkmcnt(0)
	v_mul_lo_u32 v24, v22, s22
	v_mul_lo_u32 v25, v21, s23
	v_mad_u64_u32 v[22:23], null, v21, s22, 0
	s_delay_alu instid0(VALU_DEP_1) | instskip(NEXT) | instid1(VALU_DEP_1)
	v_add3_u32 v23, v23, v25, v24
	v_lshlrev_b64 v[21:22], 1, v[22:23]
	s_delay_alu instid0(VALU_DEP_1) | instskip(NEXT) | instid1(VALU_DEP_2)
	v_add_co_u32 v21, vcc_lo, s8, v21
	v_add_co_ci_u32_e32 v22, vcc_lo, s9, v22, vcc_lo
	v_add_co_u32 v19, vcc_lo, s8, v19
	v_add_co_ci_u32_e32 v20, vcc_lo, s9, v20, vcc_lo
	s_clause 0x1
	global_load_u16 v23, v[21:22], off
	global_load_u16 v24, v[19:20], off
	s_waitcnt vmcnt(0)
	v_cmpx_eq_f16_e32 v23, v24
	s_cbranch_execz .LBB1301_265
; %bb.259:
	v_add_co_u32 v19, vcc_lo, v19, 2
	v_add_co_ci_u32_e32 v20, vcc_lo, 0, v20, vcc_lo
	v_add_co_u32 v21, vcc_lo, v21, 2
	v_add_co_ci_u32_e32 v22, vcc_lo, 0, v22, vcc_lo
	s_add_u32 s4, s22, -1
	s_addc_u32 s5, s23, -1
	s_mov_b64 s[6:7], 0
	s_mov_b32 s27, 0
                                        ; implicit-def: $sgpr28
	s_set_inst_prefetch_distance 0x1
	s_branch .LBB1301_262
	.p2align	6
.LBB1301_260:                           ;   in Loop: Header=BB1301_262 Depth=1
	global_load_u16 v23, v[21:22], off
	global_load_u16 v24, v[19:20], off
	v_add_co_u32 v19, vcc_lo, v19, 2
	v_add_co_ci_u32_e32 v20, vcc_lo, 0, v20, vcc_lo
	v_add_co_u32 v21, s2, v21, 2
	s_delay_alu instid0(VALU_DEP_1)
	v_add_co_ci_u32_e64 v22, s2, 0, v22, s2
	s_add_u32 s6, s6, 1
	s_addc_u32 s7, s7, 0
	s_and_not1_b32 s2, s28, exec_lo
	s_waitcnt vmcnt(0)
	v_cmp_neq_f16_e32 vcc_lo, v23, v24
	s_and_b32 s28, vcc_lo, exec_lo
	s_delay_alu instid0(SALU_CYCLE_1)
	s_or_b32 s28, s2, s28
.LBB1301_261:                           ;   in Loop: Header=BB1301_262 Depth=1
	v_dual_mov_b32 v24, s7 :: v_dual_mov_b32 v23, s6
	s_and_b32 s2, exec_lo, s28
	s_delay_alu instid0(SALU_CYCLE_1) | instskip(NEXT) | instid1(SALU_CYCLE_1)
	s_or_b32 s27, s2, s27
	s_and_not1_b32 exec_lo, exec_lo, s27
	s_cbranch_execz .LBB1301_264
.LBB1301_262:                           ; =>This Inner Loop Header: Depth=1
	s_or_b32 s28, s28, exec_lo
	s_cmp_eq_u64 s[4:5], s[6:7]
	s_cbranch_scc0 .LBB1301_260
; %bb.263:                              ;   in Loop: Header=BB1301_262 Depth=1
	s_mov_b64 s[6:7], s[22:23]
                                        ; implicit-def: $vgpr19_vgpr20
                                        ; implicit-def: $vgpr21_vgpr22
	s_branch .LBB1301_261
.LBB1301_264:
	s_set_inst_prefetch_distance 0x2
	s_or_b32 exec_lo, exec_lo, s27
	v_cmp_gt_i64_e32 vcc_lo, s[22:23], v[23:24]
	s_or_not1_b32 s2, vcc_lo, exec_lo
.LBB1301_265:
	s_or_b32 exec_lo, exec_lo, s26
.LBB1301_266:
	s_delay_alu instid0(SALU_CYCLE_1)
	s_and_b32 s2, s2, exec_lo
	s_or_b32 s18, s18, exec_lo
.LBB1301_267:
	s_or_b32 exec_lo, exec_lo, s19
	s_branch .LBB1301_359
.LBB1301_268:
	v_or_b32_e32 v17, 7, v39
	s_mov_b32 s19, 0
	s_mov_b32 s26, 0
	s_mov_b32 s27, exec_lo
	s_delay_alu instid0(VALU_DEP_1)
	v_cmpx_gt_u32_e64 s20, v17
	s_cbranch_execz .LBB1301_279
; %bb.269:
	s_and_not1_b32 vcc_lo, exec_lo, s3
	s_mov_b32 s2, 0
	s_cbranch_vccnz .LBB1301_278
; %bb.270:
	v_mul_lo_u32 v21, v2, s22
	v_mul_lo_u32 v22, v1, s23
	v_mad_u64_u32 v[17:18], null, v1, s22, 0
	v_mul_lo_u32 v23, v4, s22
	v_mul_lo_u32 v24, v3, s23
	v_mad_u64_u32 v[19:20], null, v3, s22, 0
	s_mov_b32 s2, -1
	s_mov_b32 s26, exec_lo
	s_delay_alu instid0(VALU_DEP_4) | instskip(NEXT) | instid1(VALU_DEP_2)
	v_add3_u32 v18, v18, v22, v21
	v_add3_u32 v20, v20, v24, v23
	s_delay_alu instid0(VALU_DEP_2) | instskip(NEXT) | instid1(VALU_DEP_2)
	v_lshlrev_b64 v[17:18], 1, v[17:18]
	v_lshlrev_b64 v[21:22], 1, v[19:20]
	s_delay_alu instid0(VALU_DEP_2) | instskip(NEXT) | instid1(VALU_DEP_3)
	v_add_co_u32 v19, vcc_lo, s8, v17
	v_add_co_ci_u32_e32 v20, vcc_lo, s9, v18, vcc_lo
	s_delay_alu instid0(VALU_DEP_3) | instskip(NEXT) | instid1(VALU_DEP_4)
	v_add_co_u32 v17, vcc_lo, s8, v21
	v_add_co_ci_u32_e32 v18, vcc_lo, s9, v22, vcc_lo
	s_clause 0x1
	global_load_u16 v21, v[19:20], off
	global_load_u16 v22, v[17:18], off
	s_waitcnt vmcnt(0)
	v_cmpx_eq_f16_e32 v21, v22
	s_cbranch_execz .LBB1301_277
; %bb.271:
	v_add_co_u32 v17, vcc_lo, v17, 2
	v_add_co_ci_u32_e32 v18, vcc_lo, 0, v18, vcc_lo
	v_add_co_u32 v19, vcc_lo, v19, 2
	v_add_co_ci_u32_e32 v20, vcc_lo, 0, v20, vcc_lo
	s_add_u32 s4, s22, -1
	s_addc_u32 s5, s23, -1
	s_mov_b64 s[6:7], 0
	s_mov_b32 s28, 0
                                        ; implicit-def: $sgpr29
	s_set_inst_prefetch_distance 0x1
	s_branch .LBB1301_274
	.p2align	6
.LBB1301_272:                           ;   in Loop: Header=BB1301_274 Depth=1
	global_load_u16 v21, v[19:20], off
	global_load_u16 v22, v[17:18], off
	v_add_co_u32 v17, vcc_lo, v17, 2
	v_add_co_ci_u32_e32 v18, vcc_lo, 0, v18, vcc_lo
	v_add_co_u32 v19, s2, v19, 2
	s_delay_alu instid0(VALU_DEP_1)
	v_add_co_ci_u32_e64 v20, s2, 0, v20, s2
	s_add_u32 s6, s6, 1
	s_addc_u32 s7, s7, 0
	s_and_not1_b32 s2, s29, exec_lo
	s_waitcnt vmcnt(0)
	v_cmp_neq_f16_e32 vcc_lo, v21, v22
	s_and_b32 s29, vcc_lo, exec_lo
	s_delay_alu instid0(SALU_CYCLE_1)
	s_or_b32 s29, s2, s29
.LBB1301_273:                           ;   in Loop: Header=BB1301_274 Depth=1
	v_dual_mov_b32 v22, s7 :: v_dual_mov_b32 v21, s6
	s_and_b32 s2, exec_lo, s29
	s_delay_alu instid0(SALU_CYCLE_1) | instskip(NEXT) | instid1(SALU_CYCLE_1)
	s_or_b32 s28, s2, s28
	s_and_not1_b32 exec_lo, exec_lo, s28
	s_cbranch_execz .LBB1301_276
.LBB1301_274:                           ; =>This Inner Loop Header: Depth=1
	s_or_b32 s29, s29, exec_lo
	s_cmp_eq_u64 s[4:5], s[6:7]
	s_cbranch_scc0 .LBB1301_272
; %bb.275:                              ;   in Loop: Header=BB1301_274 Depth=1
	s_mov_b64 s[6:7], s[22:23]
                                        ; implicit-def: $vgpr17_vgpr18
                                        ; implicit-def: $vgpr19_vgpr20
	s_branch .LBB1301_273
.LBB1301_276:
	s_set_inst_prefetch_distance 0x2
	s_or_b32 exec_lo, exec_lo, s28
	v_cmp_gt_i64_e32 vcc_lo, s[22:23], v[21:22]
	s_or_not1_b32 s2, vcc_lo, exec_lo
.LBB1301_277:
	s_or_b32 exec_lo, exec_lo, s26
.LBB1301_278:
	s_delay_alu instid0(SALU_CYCLE_1)
	s_and_b32 s26, s2, exec_lo
.LBB1301_279:
	s_or_b32 exec_lo, exec_lo, s27
	v_or_b32_e32 v17, 6, v39
	s_mov_b32 s27, exec_lo
	s_delay_alu instid0(VALU_DEP_1)
	v_cmpx_gt_u32_e64 s20, v17
	s_cbranch_execz .LBB1301_290
; %bb.280:
	s_and_not1_b32 vcc_lo, exec_lo, s3
	s_mov_b32 s2, 0
	s_cbranch_vccnz .LBB1301_289
; %bb.281:
	v_mul_lo_u32 v21, v8, s22
	v_mul_lo_u32 v22, v7, s23
	v_mad_u64_u32 v[17:18], null, v7, s22, 0
	v_mul_lo_u32 v23, v2, s22
	v_mul_lo_u32 v24, v1, s23
	v_mad_u64_u32 v[19:20], null, v1, s22, 0
	s_mov_b32 s2, -1
	s_mov_b32 s19, exec_lo
	s_delay_alu instid0(VALU_DEP_4) | instskip(NEXT) | instid1(VALU_DEP_2)
	v_add3_u32 v18, v18, v22, v21
	v_add3_u32 v20, v20, v24, v23
	s_delay_alu instid0(VALU_DEP_2) | instskip(NEXT) | instid1(VALU_DEP_2)
	v_lshlrev_b64 v[17:18], 1, v[17:18]
	v_lshlrev_b64 v[21:22], 1, v[19:20]
	s_delay_alu instid0(VALU_DEP_2) | instskip(NEXT) | instid1(VALU_DEP_3)
	v_add_co_u32 v19, vcc_lo, s8, v17
	v_add_co_ci_u32_e32 v20, vcc_lo, s9, v18, vcc_lo
	s_delay_alu instid0(VALU_DEP_3) | instskip(NEXT) | instid1(VALU_DEP_4)
	v_add_co_u32 v17, vcc_lo, s8, v21
	v_add_co_ci_u32_e32 v18, vcc_lo, s9, v22, vcc_lo
	s_clause 0x1
	global_load_u16 v21, v[19:20], off
	global_load_u16 v22, v[17:18], off
	s_waitcnt vmcnt(0)
	v_cmpx_eq_f16_e32 v21, v22
	s_cbranch_execz .LBB1301_288
; %bb.282:
	v_add_co_u32 v17, vcc_lo, v17, 2
	v_add_co_ci_u32_e32 v18, vcc_lo, 0, v18, vcc_lo
	v_add_co_u32 v19, vcc_lo, v19, 2
	v_add_co_ci_u32_e32 v20, vcc_lo, 0, v20, vcc_lo
	s_add_u32 s4, s22, -1
	s_addc_u32 s5, s23, -1
	s_mov_b64 s[6:7], 0
	s_mov_b32 s28, 0
                                        ; implicit-def: $sgpr29
	s_set_inst_prefetch_distance 0x1
	s_branch .LBB1301_285
	.p2align	6
.LBB1301_283:                           ;   in Loop: Header=BB1301_285 Depth=1
	global_load_u16 v21, v[19:20], off
	global_load_u16 v22, v[17:18], off
	v_add_co_u32 v17, vcc_lo, v17, 2
	v_add_co_ci_u32_e32 v18, vcc_lo, 0, v18, vcc_lo
	v_add_co_u32 v19, s2, v19, 2
	s_delay_alu instid0(VALU_DEP_1)
	v_add_co_ci_u32_e64 v20, s2, 0, v20, s2
	s_add_u32 s6, s6, 1
	s_addc_u32 s7, s7, 0
	s_and_not1_b32 s2, s29, exec_lo
	s_waitcnt vmcnt(0)
	v_cmp_neq_f16_e32 vcc_lo, v21, v22
	s_and_b32 s29, vcc_lo, exec_lo
	s_delay_alu instid0(SALU_CYCLE_1)
	s_or_b32 s29, s2, s29
.LBB1301_284:                           ;   in Loop: Header=BB1301_285 Depth=1
	v_dual_mov_b32 v22, s7 :: v_dual_mov_b32 v21, s6
	s_and_b32 s2, exec_lo, s29
	s_delay_alu instid0(SALU_CYCLE_1) | instskip(NEXT) | instid1(SALU_CYCLE_1)
	s_or_b32 s28, s2, s28
	s_and_not1_b32 exec_lo, exec_lo, s28
	s_cbranch_execz .LBB1301_287
.LBB1301_285:                           ; =>This Inner Loop Header: Depth=1
	s_or_b32 s29, s29, exec_lo
	s_cmp_eq_u64 s[4:5], s[6:7]
	s_cbranch_scc0 .LBB1301_283
; %bb.286:                              ;   in Loop: Header=BB1301_285 Depth=1
	s_mov_b64 s[6:7], s[22:23]
                                        ; implicit-def: $vgpr17_vgpr18
                                        ; implicit-def: $vgpr19_vgpr20
	s_branch .LBB1301_284
.LBB1301_287:
	s_set_inst_prefetch_distance 0x2
	s_or_b32 exec_lo, exec_lo, s28
	v_cmp_gt_i64_e32 vcc_lo, s[22:23], v[21:22]
	s_or_not1_b32 s2, vcc_lo, exec_lo
.LBB1301_288:
	s_or_b32 exec_lo, exec_lo, s19
.LBB1301_289:
	s_delay_alu instid0(SALU_CYCLE_1)
	s_and_b32 s19, s2, exec_lo
.LBB1301_290:
	s_or_b32 exec_lo, exec_lo, s27
	v_or_b32_e32 v17, 5, v39
	s_mov_b32 s27, 0
	s_mov_b32 s28, 0
	s_mov_b32 s29, exec_lo
	s_delay_alu instid0(VALU_DEP_1)
	v_cmpx_gt_u32_e64 s20, v17
	s_cbranch_execz .LBB1301_301
; %bb.291:
	s_and_not1_b32 vcc_lo, exec_lo, s3
	s_mov_b32 s2, 0
	s_cbranch_vccnz .LBB1301_300
; %bb.292:
	v_mul_lo_u32 v21, v6, s22
	v_mul_lo_u32 v22, v5, s23
	v_mad_u64_u32 v[17:18], null, v5, s22, 0
	v_mul_lo_u32 v23, v8, s22
	v_mul_lo_u32 v24, v7, s23
	v_mad_u64_u32 v[19:20], null, v7, s22, 0
	s_mov_b32 s2, -1
	s_mov_b32 s28, exec_lo
	s_delay_alu instid0(VALU_DEP_4) | instskip(NEXT) | instid1(VALU_DEP_2)
	v_add3_u32 v18, v18, v22, v21
	v_add3_u32 v20, v20, v24, v23
	s_delay_alu instid0(VALU_DEP_2) | instskip(NEXT) | instid1(VALU_DEP_2)
	v_lshlrev_b64 v[17:18], 1, v[17:18]
	v_lshlrev_b64 v[21:22], 1, v[19:20]
	s_delay_alu instid0(VALU_DEP_2) | instskip(NEXT) | instid1(VALU_DEP_3)
	v_add_co_u32 v19, vcc_lo, s8, v17
	v_add_co_ci_u32_e32 v20, vcc_lo, s9, v18, vcc_lo
	s_delay_alu instid0(VALU_DEP_3) | instskip(NEXT) | instid1(VALU_DEP_4)
	v_add_co_u32 v17, vcc_lo, s8, v21
	v_add_co_ci_u32_e32 v18, vcc_lo, s9, v22, vcc_lo
	s_clause 0x1
	global_load_u16 v21, v[19:20], off
	global_load_u16 v22, v[17:18], off
	s_waitcnt vmcnt(0)
	v_cmpx_eq_f16_e32 v21, v22
	s_cbranch_execz .LBB1301_299
; %bb.293:
	v_add_co_u32 v17, vcc_lo, v17, 2
	v_add_co_ci_u32_e32 v18, vcc_lo, 0, v18, vcc_lo
	v_add_co_u32 v19, vcc_lo, v19, 2
	v_add_co_ci_u32_e32 v20, vcc_lo, 0, v20, vcc_lo
	s_add_u32 s4, s22, -1
	s_addc_u32 s5, s23, -1
	s_mov_b64 s[6:7], 0
	s_mov_b32 s30, 0
                                        ; implicit-def: $sgpr31
	s_set_inst_prefetch_distance 0x1
	s_branch .LBB1301_296
	.p2align	6
.LBB1301_294:                           ;   in Loop: Header=BB1301_296 Depth=1
	global_load_u16 v21, v[19:20], off
	global_load_u16 v22, v[17:18], off
	v_add_co_u32 v17, vcc_lo, v17, 2
	v_add_co_ci_u32_e32 v18, vcc_lo, 0, v18, vcc_lo
	v_add_co_u32 v19, s2, v19, 2
	s_delay_alu instid0(VALU_DEP_1)
	v_add_co_ci_u32_e64 v20, s2, 0, v20, s2
	s_add_u32 s6, s6, 1
	s_addc_u32 s7, s7, 0
	s_and_not1_b32 s2, s31, exec_lo
	s_waitcnt vmcnt(0)
	v_cmp_neq_f16_e32 vcc_lo, v21, v22
	s_and_b32 s31, vcc_lo, exec_lo
	s_delay_alu instid0(SALU_CYCLE_1)
	s_or_b32 s31, s2, s31
.LBB1301_295:                           ;   in Loop: Header=BB1301_296 Depth=1
	v_dual_mov_b32 v22, s7 :: v_dual_mov_b32 v21, s6
	s_and_b32 s2, exec_lo, s31
	s_delay_alu instid0(SALU_CYCLE_1) | instskip(NEXT) | instid1(SALU_CYCLE_1)
	s_or_b32 s30, s2, s30
	s_and_not1_b32 exec_lo, exec_lo, s30
	s_cbranch_execz .LBB1301_298
.LBB1301_296:                           ; =>This Inner Loop Header: Depth=1
	s_or_b32 s31, s31, exec_lo
	s_cmp_eq_u64 s[4:5], s[6:7]
	s_cbranch_scc0 .LBB1301_294
; %bb.297:                              ;   in Loop: Header=BB1301_296 Depth=1
	s_mov_b64 s[6:7], s[22:23]
                                        ; implicit-def: $vgpr17_vgpr18
                                        ; implicit-def: $vgpr19_vgpr20
	s_branch .LBB1301_295
.LBB1301_298:
	s_set_inst_prefetch_distance 0x2
	s_or_b32 exec_lo, exec_lo, s30
	v_cmp_gt_i64_e32 vcc_lo, s[22:23], v[21:22]
	s_or_not1_b32 s2, vcc_lo, exec_lo
.LBB1301_299:
	s_or_b32 exec_lo, exec_lo, s28
.LBB1301_300:
	s_delay_alu instid0(SALU_CYCLE_1)
	s_and_b32 s28, s2, exec_lo
.LBB1301_301:
	s_or_b32 exec_lo, exec_lo, s29
	v_or_b32_e32 v17, 4, v39
	s_mov_b32 s29, exec_lo
	s_delay_alu instid0(VALU_DEP_1)
	v_cmpx_gt_u32_e64 s20, v17
	s_cbranch_execz .LBB1301_312
; %bb.302:
	s_and_not1_b32 vcc_lo, exec_lo, s3
	s_mov_b32 s2, 0
	s_cbranch_vccnz .LBB1301_311
; %bb.303:
	v_mul_lo_u32 v21, v12, s22
	v_mul_lo_u32 v22, v11, s23
	v_mad_u64_u32 v[17:18], null, v11, s22, 0
	v_mul_lo_u32 v23, v6, s22
	v_mul_lo_u32 v24, v5, s23
	v_mad_u64_u32 v[19:20], null, v5, s22, 0
	s_mov_b32 s2, -1
	s_mov_b32 s27, exec_lo
	s_delay_alu instid0(VALU_DEP_4) | instskip(NEXT) | instid1(VALU_DEP_2)
	v_add3_u32 v18, v18, v22, v21
	v_add3_u32 v20, v20, v24, v23
	s_delay_alu instid0(VALU_DEP_2) | instskip(NEXT) | instid1(VALU_DEP_2)
	v_lshlrev_b64 v[17:18], 1, v[17:18]
	v_lshlrev_b64 v[21:22], 1, v[19:20]
	s_delay_alu instid0(VALU_DEP_2) | instskip(NEXT) | instid1(VALU_DEP_3)
	v_add_co_u32 v19, vcc_lo, s8, v17
	v_add_co_ci_u32_e32 v20, vcc_lo, s9, v18, vcc_lo
	s_delay_alu instid0(VALU_DEP_3) | instskip(NEXT) | instid1(VALU_DEP_4)
	v_add_co_u32 v17, vcc_lo, s8, v21
	v_add_co_ci_u32_e32 v18, vcc_lo, s9, v22, vcc_lo
	s_clause 0x1
	global_load_u16 v21, v[19:20], off
	global_load_u16 v22, v[17:18], off
	s_waitcnt vmcnt(0)
	v_cmpx_eq_f16_e32 v21, v22
	s_cbranch_execz .LBB1301_310
; %bb.304:
	v_add_co_u32 v17, vcc_lo, v17, 2
	v_add_co_ci_u32_e32 v18, vcc_lo, 0, v18, vcc_lo
	v_add_co_u32 v19, vcc_lo, v19, 2
	v_add_co_ci_u32_e32 v20, vcc_lo, 0, v20, vcc_lo
	s_add_u32 s4, s22, -1
	s_addc_u32 s5, s23, -1
	s_mov_b64 s[6:7], 0
	s_mov_b32 s30, 0
                                        ; implicit-def: $sgpr31
	s_set_inst_prefetch_distance 0x1
	s_branch .LBB1301_307
	.p2align	6
.LBB1301_305:                           ;   in Loop: Header=BB1301_307 Depth=1
	global_load_u16 v21, v[19:20], off
	global_load_u16 v22, v[17:18], off
	v_add_co_u32 v17, vcc_lo, v17, 2
	v_add_co_ci_u32_e32 v18, vcc_lo, 0, v18, vcc_lo
	v_add_co_u32 v19, s2, v19, 2
	s_delay_alu instid0(VALU_DEP_1)
	v_add_co_ci_u32_e64 v20, s2, 0, v20, s2
	s_add_u32 s6, s6, 1
	s_addc_u32 s7, s7, 0
	s_and_not1_b32 s2, s31, exec_lo
	s_waitcnt vmcnt(0)
	v_cmp_neq_f16_e32 vcc_lo, v21, v22
	s_and_b32 s31, vcc_lo, exec_lo
	s_delay_alu instid0(SALU_CYCLE_1)
	s_or_b32 s31, s2, s31
.LBB1301_306:                           ;   in Loop: Header=BB1301_307 Depth=1
	v_dual_mov_b32 v22, s7 :: v_dual_mov_b32 v21, s6
	s_and_b32 s2, exec_lo, s31
	s_delay_alu instid0(SALU_CYCLE_1) | instskip(NEXT) | instid1(SALU_CYCLE_1)
	s_or_b32 s30, s2, s30
	s_and_not1_b32 exec_lo, exec_lo, s30
	s_cbranch_execz .LBB1301_309
.LBB1301_307:                           ; =>This Inner Loop Header: Depth=1
	s_or_b32 s31, s31, exec_lo
	s_cmp_eq_u64 s[4:5], s[6:7]
	s_cbranch_scc0 .LBB1301_305
; %bb.308:                              ;   in Loop: Header=BB1301_307 Depth=1
	s_mov_b64 s[6:7], s[22:23]
                                        ; implicit-def: $vgpr17_vgpr18
                                        ; implicit-def: $vgpr19_vgpr20
	s_branch .LBB1301_306
.LBB1301_309:
	s_set_inst_prefetch_distance 0x2
	s_or_b32 exec_lo, exec_lo, s30
	v_cmp_gt_i64_e32 vcc_lo, s[22:23], v[21:22]
	s_or_not1_b32 s2, vcc_lo, exec_lo
.LBB1301_310:
	s_or_b32 exec_lo, exec_lo, s27
.LBB1301_311:
	s_delay_alu instid0(SALU_CYCLE_1)
	s_and_b32 s27, s2, exec_lo
.LBB1301_312:
	s_or_b32 exec_lo, exec_lo, s29
	v_or_b32_e32 v17, 3, v39
	s_mov_b32 s30, 0
	s_mov_b32 s29, 0
	s_mov_b32 s31, exec_lo
	s_delay_alu instid0(VALU_DEP_1)
	v_cmpx_gt_u32_e64 s20, v17
	s_cbranch_execz .LBB1301_323
; %bb.313:
	s_and_not1_b32 vcc_lo, exec_lo, s3
	s_mov_b32 s2, 0
	s_cbranch_vccnz .LBB1301_322
; %bb.314:
	v_mul_lo_u32 v21, v10, s22
	v_mul_lo_u32 v22, v9, s23
	v_mad_u64_u32 v[17:18], null, v9, s22, 0
	v_mul_lo_u32 v23, v12, s22
	v_mul_lo_u32 v24, v11, s23
	v_mad_u64_u32 v[19:20], null, v11, s22, 0
	s_mov_b32 s2, -1
	s_mov_b32 s29, exec_lo
	s_delay_alu instid0(VALU_DEP_4) | instskip(NEXT) | instid1(VALU_DEP_2)
	v_add3_u32 v18, v18, v22, v21
	v_add3_u32 v20, v20, v24, v23
	s_delay_alu instid0(VALU_DEP_2) | instskip(NEXT) | instid1(VALU_DEP_2)
	v_lshlrev_b64 v[17:18], 1, v[17:18]
	v_lshlrev_b64 v[21:22], 1, v[19:20]
	s_delay_alu instid0(VALU_DEP_2) | instskip(NEXT) | instid1(VALU_DEP_3)
	v_add_co_u32 v19, vcc_lo, s8, v17
	v_add_co_ci_u32_e32 v20, vcc_lo, s9, v18, vcc_lo
	s_delay_alu instid0(VALU_DEP_3) | instskip(NEXT) | instid1(VALU_DEP_4)
	v_add_co_u32 v17, vcc_lo, s8, v21
	v_add_co_ci_u32_e32 v18, vcc_lo, s9, v22, vcc_lo
	s_clause 0x1
	global_load_u16 v21, v[19:20], off
	global_load_u16 v22, v[17:18], off
	s_waitcnt vmcnt(0)
	v_cmpx_eq_f16_e32 v21, v22
	s_cbranch_execz .LBB1301_321
; %bb.315:
	v_add_co_u32 v17, vcc_lo, v17, 2
	v_add_co_ci_u32_e32 v18, vcc_lo, 0, v18, vcc_lo
	v_add_co_u32 v19, vcc_lo, v19, 2
	v_add_co_ci_u32_e32 v20, vcc_lo, 0, v20, vcc_lo
	s_add_u32 s4, s22, -1
	s_addc_u32 s5, s23, -1
	s_mov_b64 s[6:7], 0
	s_mov_b32 s33, 0
                                        ; implicit-def: $sgpr34
	s_set_inst_prefetch_distance 0x1
	s_branch .LBB1301_318
	.p2align	6
.LBB1301_316:                           ;   in Loop: Header=BB1301_318 Depth=1
	global_load_u16 v21, v[19:20], off
	global_load_u16 v22, v[17:18], off
	v_add_co_u32 v17, vcc_lo, v17, 2
	v_add_co_ci_u32_e32 v18, vcc_lo, 0, v18, vcc_lo
	v_add_co_u32 v19, s2, v19, 2
	s_delay_alu instid0(VALU_DEP_1)
	v_add_co_ci_u32_e64 v20, s2, 0, v20, s2
	s_add_u32 s6, s6, 1
	s_addc_u32 s7, s7, 0
	s_and_not1_b32 s2, s34, exec_lo
	s_waitcnt vmcnt(0)
	v_cmp_neq_f16_e32 vcc_lo, v21, v22
	s_and_b32 s34, vcc_lo, exec_lo
	s_delay_alu instid0(SALU_CYCLE_1)
	s_or_b32 s34, s2, s34
.LBB1301_317:                           ;   in Loop: Header=BB1301_318 Depth=1
	v_dual_mov_b32 v22, s7 :: v_dual_mov_b32 v21, s6
	s_and_b32 s2, exec_lo, s34
	s_delay_alu instid0(SALU_CYCLE_1) | instskip(NEXT) | instid1(SALU_CYCLE_1)
	s_or_b32 s33, s2, s33
	s_and_not1_b32 exec_lo, exec_lo, s33
	s_cbranch_execz .LBB1301_320
.LBB1301_318:                           ; =>This Inner Loop Header: Depth=1
	s_or_b32 s34, s34, exec_lo
	s_cmp_eq_u64 s[4:5], s[6:7]
	s_cbranch_scc0 .LBB1301_316
; %bb.319:                              ;   in Loop: Header=BB1301_318 Depth=1
	s_mov_b64 s[6:7], s[22:23]
                                        ; implicit-def: $vgpr17_vgpr18
                                        ; implicit-def: $vgpr19_vgpr20
	s_branch .LBB1301_317
.LBB1301_320:
	s_set_inst_prefetch_distance 0x2
	s_or_b32 exec_lo, exec_lo, s33
	v_cmp_gt_i64_e32 vcc_lo, s[22:23], v[21:22]
	s_or_not1_b32 s2, vcc_lo, exec_lo
.LBB1301_321:
	s_or_b32 exec_lo, exec_lo, s29
.LBB1301_322:
	s_delay_alu instid0(SALU_CYCLE_1)
	s_and_b32 s29, s2, exec_lo
.LBB1301_323:
	s_or_b32 exec_lo, exec_lo, s31
	v_or_b32_e32 v17, 2, v39
	s_mov_b32 s31, exec_lo
	s_delay_alu instid0(VALU_DEP_1)
	v_cmpx_gt_u32_e64 s20, v17
	s_cbranch_execz .LBB1301_334
; %bb.324:
	s_and_not1_b32 vcc_lo, exec_lo, s3
	s_mov_b32 s2, 0
	s_cbranch_vccnz .LBB1301_333
; %bb.325:
	v_mul_lo_u32 v21, v16, s22
	v_mul_lo_u32 v22, v15, s23
	v_mad_u64_u32 v[17:18], null, v15, s22, 0
	v_mul_lo_u32 v23, v10, s22
	v_mul_lo_u32 v24, v9, s23
	v_mad_u64_u32 v[19:20], null, v9, s22, 0
	s_mov_b32 s2, -1
	s_mov_b32 s30, exec_lo
	s_delay_alu instid0(VALU_DEP_4) | instskip(NEXT) | instid1(VALU_DEP_2)
	v_add3_u32 v18, v18, v22, v21
	v_add3_u32 v20, v20, v24, v23
	s_delay_alu instid0(VALU_DEP_2) | instskip(NEXT) | instid1(VALU_DEP_2)
	v_lshlrev_b64 v[17:18], 1, v[17:18]
	v_lshlrev_b64 v[21:22], 1, v[19:20]
	s_delay_alu instid0(VALU_DEP_2) | instskip(NEXT) | instid1(VALU_DEP_3)
	v_add_co_u32 v19, vcc_lo, s8, v17
	v_add_co_ci_u32_e32 v20, vcc_lo, s9, v18, vcc_lo
	s_delay_alu instid0(VALU_DEP_3) | instskip(NEXT) | instid1(VALU_DEP_4)
	v_add_co_u32 v17, vcc_lo, s8, v21
	v_add_co_ci_u32_e32 v18, vcc_lo, s9, v22, vcc_lo
	s_clause 0x1
	global_load_u16 v21, v[19:20], off
	global_load_u16 v22, v[17:18], off
	s_waitcnt vmcnt(0)
	v_cmpx_eq_f16_e32 v21, v22
	s_cbranch_execz .LBB1301_332
; %bb.326:
	v_add_co_u32 v17, vcc_lo, v17, 2
	v_add_co_ci_u32_e32 v18, vcc_lo, 0, v18, vcc_lo
	v_add_co_u32 v19, vcc_lo, v19, 2
	v_add_co_ci_u32_e32 v20, vcc_lo, 0, v20, vcc_lo
	s_add_u32 s4, s22, -1
	s_addc_u32 s5, s23, -1
	s_mov_b64 s[6:7], 0
	s_mov_b32 s33, 0
                                        ; implicit-def: $sgpr34
	s_set_inst_prefetch_distance 0x1
	s_branch .LBB1301_329
	.p2align	6
.LBB1301_327:                           ;   in Loop: Header=BB1301_329 Depth=1
	global_load_u16 v21, v[19:20], off
	global_load_u16 v22, v[17:18], off
	v_add_co_u32 v17, vcc_lo, v17, 2
	v_add_co_ci_u32_e32 v18, vcc_lo, 0, v18, vcc_lo
	v_add_co_u32 v19, s2, v19, 2
	s_delay_alu instid0(VALU_DEP_1)
	v_add_co_ci_u32_e64 v20, s2, 0, v20, s2
	s_add_u32 s6, s6, 1
	s_addc_u32 s7, s7, 0
	s_and_not1_b32 s2, s34, exec_lo
	s_waitcnt vmcnt(0)
	v_cmp_neq_f16_e32 vcc_lo, v21, v22
	s_and_b32 s34, vcc_lo, exec_lo
	s_delay_alu instid0(SALU_CYCLE_1)
	s_or_b32 s34, s2, s34
.LBB1301_328:                           ;   in Loop: Header=BB1301_329 Depth=1
	v_dual_mov_b32 v22, s7 :: v_dual_mov_b32 v21, s6
	s_and_b32 s2, exec_lo, s34
	s_delay_alu instid0(SALU_CYCLE_1) | instskip(NEXT) | instid1(SALU_CYCLE_1)
	s_or_b32 s33, s2, s33
	s_and_not1_b32 exec_lo, exec_lo, s33
	s_cbranch_execz .LBB1301_331
.LBB1301_329:                           ; =>This Inner Loop Header: Depth=1
	s_or_b32 s34, s34, exec_lo
	s_cmp_eq_u64 s[4:5], s[6:7]
	s_cbranch_scc0 .LBB1301_327
; %bb.330:                              ;   in Loop: Header=BB1301_329 Depth=1
	s_mov_b64 s[6:7], s[22:23]
                                        ; implicit-def: $vgpr17_vgpr18
                                        ; implicit-def: $vgpr19_vgpr20
	s_branch .LBB1301_328
.LBB1301_331:
	s_set_inst_prefetch_distance 0x2
	s_or_b32 exec_lo, exec_lo, s33
	v_cmp_gt_i64_e32 vcc_lo, s[22:23], v[21:22]
	s_or_not1_b32 s2, vcc_lo, exec_lo
.LBB1301_332:
	s_or_b32 exec_lo, exec_lo, s30
.LBB1301_333:
	s_delay_alu instid0(SALU_CYCLE_1)
	s_and_b32 s30, s2, exec_lo
.LBB1301_334:
	s_or_b32 exec_lo, exec_lo, s31
	v_or_b32_e32 v17, 1, v39
	s_mov_b32 s2, 0
	s_mov_b32 s31, exec_lo
	s_delay_alu instid0(VALU_DEP_1)
	v_cmpx_gt_u32_e64 s20, v17
	s_cbranch_execz .LBB1301_345
; %bb.335:
	s_and_not1_b32 vcc_lo, exec_lo, s3
	s_cbranch_vccnz .LBB1301_344
; %bb.336:
	v_mul_lo_u32 v21, v14, s22
	v_mul_lo_u32 v22, v13, s23
	v_mad_u64_u32 v[17:18], null, v13, s22, 0
	v_mul_lo_u32 v23, v16, s22
	v_mul_lo_u32 v24, v15, s23
	v_mad_u64_u32 v[19:20], null, v15, s22, 0
	s_mov_b32 s2, -1
	s_mov_b32 s33, exec_lo
	s_delay_alu instid0(VALU_DEP_4) | instskip(NEXT) | instid1(VALU_DEP_2)
	v_add3_u32 v18, v18, v22, v21
	v_add3_u32 v20, v20, v24, v23
	s_delay_alu instid0(VALU_DEP_2) | instskip(NEXT) | instid1(VALU_DEP_2)
	v_lshlrev_b64 v[17:18], 1, v[17:18]
	v_lshlrev_b64 v[21:22], 1, v[19:20]
	s_delay_alu instid0(VALU_DEP_2) | instskip(NEXT) | instid1(VALU_DEP_3)
	v_add_co_u32 v19, vcc_lo, s8, v17
	v_add_co_ci_u32_e32 v20, vcc_lo, s9, v18, vcc_lo
	s_delay_alu instid0(VALU_DEP_3) | instskip(NEXT) | instid1(VALU_DEP_4)
	v_add_co_u32 v17, vcc_lo, s8, v21
	v_add_co_ci_u32_e32 v18, vcc_lo, s9, v22, vcc_lo
	s_clause 0x1
	global_load_u16 v21, v[19:20], off
	global_load_u16 v22, v[17:18], off
	s_waitcnt vmcnt(0)
	v_cmpx_eq_f16_e32 v21, v22
	s_cbranch_execz .LBB1301_343
; %bb.337:
	v_add_co_u32 v17, vcc_lo, v17, 2
	v_add_co_ci_u32_e32 v18, vcc_lo, 0, v18, vcc_lo
	v_add_co_u32 v19, vcc_lo, v19, 2
	v_add_co_ci_u32_e32 v20, vcc_lo, 0, v20, vcc_lo
	s_add_u32 s4, s22, -1
	s_addc_u32 s5, s23, -1
	s_mov_b64 s[6:7], 0
	s_mov_b32 s34, 0
                                        ; implicit-def: $sgpr35
	s_set_inst_prefetch_distance 0x1
	s_branch .LBB1301_340
	.p2align	6
.LBB1301_338:                           ;   in Loop: Header=BB1301_340 Depth=1
	global_load_u16 v21, v[19:20], off
	global_load_u16 v22, v[17:18], off
	v_add_co_u32 v17, vcc_lo, v17, 2
	v_add_co_ci_u32_e32 v18, vcc_lo, 0, v18, vcc_lo
	v_add_co_u32 v19, s2, v19, 2
	s_delay_alu instid0(VALU_DEP_1)
	v_add_co_ci_u32_e64 v20, s2, 0, v20, s2
	s_add_u32 s6, s6, 1
	s_addc_u32 s7, s7, 0
	s_and_not1_b32 s2, s35, exec_lo
	s_waitcnt vmcnt(0)
	v_cmp_neq_f16_e32 vcc_lo, v21, v22
	s_and_b32 s35, vcc_lo, exec_lo
	s_delay_alu instid0(SALU_CYCLE_1)
	s_or_b32 s35, s2, s35
.LBB1301_339:                           ;   in Loop: Header=BB1301_340 Depth=1
	v_dual_mov_b32 v22, s7 :: v_dual_mov_b32 v21, s6
	s_and_b32 s2, exec_lo, s35
	s_delay_alu instid0(SALU_CYCLE_1) | instskip(NEXT) | instid1(SALU_CYCLE_1)
	s_or_b32 s34, s2, s34
	s_and_not1_b32 exec_lo, exec_lo, s34
	s_cbranch_execz .LBB1301_342
.LBB1301_340:                           ; =>This Inner Loop Header: Depth=1
	s_or_b32 s35, s35, exec_lo
	s_cmp_eq_u64 s[4:5], s[6:7]
	s_cbranch_scc0 .LBB1301_338
; %bb.341:                              ;   in Loop: Header=BB1301_340 Depth=1
	s_mov_b64 s[6:7], s[22:23]
                                        ; implicit-def: $vgpr17_vgpr18
                                        ; implicit-def: $vgpr19_vgpr20
	s_branch .LBB1301_339
.LBB1301_342:
	s_set_inst_prefetch_distance 0x2
	s_or_b32 exec_lo, exec_lo, s34
	v_cmp_gt_i64_e32 vcc_lo, s[22:23], v[21:22]
	s_or_not1_b32 s2, vcc_lo, exec_lo
.LBB1301_343:
	s_or_b32 exec_lo, exec_lo, s33
.LBB1301_344:
	s_delay_alu instid0(SALU_CYCLE_1)
	s_and_b32 s2, s2, exec_lo
.LBB1301_345:
	s_or_b32 exec_lo, exec_lo, s31
	v_cndmask_b32_e64 v18, 0, 1, s29
	v_cndmask_b32_e64 v19, 0, 1, s28
	;; [unrolled: 1-line block ×7, first 2 shown]
	v_lshlrev_b16 v19, 8, v19
	v_lshlrev_b16 v20, 8, v20
	;; [unrolled: 1-line block ×4, first 2 shown]
	s_mov_b32 s19, exec_lo
	v_or_b32_e32 v19, v22, v19
	v_or_b32_e32 v20, v23, v20
	;; [unrolled: 1-line block ×4, first 2 shown]
	s_delay_alu instid0(VALU_DEP_4) | instskip(NEXT) | instid1(VALU_DEP_4)
	v_and_b32_e32 v18, 0xffff, v19
	v_lshlrev_b32_e32 v19, 16, v20
	s_delay_alu instid0(VALU_DEP_4) | instskip(NEXT) | instid1(VALU_DEP_4)
	v_and_b32_e32 v20, 0xffff, v21
	v_lshlrev_b32_e32 v17, 16, v17
	s_barrier
	buffer_gl0_inv
	v_or_b32_e32 v18, v18, v19
                                        ; implicit-def: $sgpr2
	v_or_b32_e32 v17, v20, v17
	v_cmpx_ne_u32_e32 0, v0
	s_cbranch_execz .LBB1301_358
; %bb.346:
	s_mov_b32 s2, 0
	s_mov_b32 s26, exec_lo
	v_cmpx_gt_u32_e64 s20, v39
	s_cbranch_execz .LBB1301_357
; %bb.347:
	s_and_not1_b32 vcc_lo, exec_lo, s3
	s_cbranch_vccnz .LBB1301_356
; %bb.348:
	v_add_nc_u32_e32 v19, -8, v39
	v_mul_lo_u32 v26, v13, s23
	v_mad_u64_u32 v[22:23], null, v13, s22, 0
	s_mov_b32 s2, -1
	ds_load_b64 v[19:20], v19
	s_mov_b32 s3, exec_lo
	s_waitcnt lgkmcnt(0)
	v_mul_lo_u32 v24, v20, s22
	v_mul_lo_u32 v25, v19, s23
	v_mad_u64_u32 v[20:21], null, v19, s22, 0
	v_mul_lo_u32 v19, v14, s22
	s_delay_alu instid0(VALU_DEP_2) | instskip(NEXT) | instid1(VALU_DEP_2)
	v_add3_u32 v21, v21, v25, v24
	v_add3_u32 v23, v23, v26, v19
	s_delay_alu instid0(VALU_DEP_2) | instskip(NEXT) | instid1(VALU_DEP_2)
	v_lshlrev_b64 v[19:20], 1, v[20:21]
	v_lshlrev_b64 v[23:24], 1, v[22:23]
	s_delay_alu instid0(VALU_DEP_2) | instskip(NEXT) | instid1(VALU_DEP_3)
	v_add_co_u32 v21, vcc_lo, s8, v19
	v_add_co_ci_u32_e32 v22, vcc_lo, s9, v20, vcc_lo
	s_delay_alu instid0(VALU_DEP_3) | instskip(NEXT) | instid1(VALU_DEP_4)
	v_add_co_u32 v19, vcc_lo, s8, v23
	v_add_co_ci_u32_e32 v20, vcc_lo, s9, v24, vcc_lo
	s_clause 0x1
	global_load_u16 v23, v[21:22], off
	global_load_u16 v24, v[19:20], off
	s_waitcnt vmcnt(0)
	v_cmpx_eq_f16_e32 v23, v24
	s_cbranch_execz .LBB1301_355
; %bb.349:
	v_add_co_u32 v19, vcc_lo, v19, 2
	v_add_co_ci_u32_e32 v20, vcc_lo, 0, v20, vcc_lo
	v_add_co_u32 v21, vcc_lo, v21, 2
	v_add_co_ci_u32_e32 v22, vcc_lo, 0, v22, vcc_lo
	s_add_u32 s4, s22, -1
	s_addc_u32 s5, s23, -1
	s_mov_b64 s[6:7], 0
	s_mov_b32 s8, 0
                                        ; implicit-def: $sgpr9
	s_set_inst_prefetch_distance 0x1
	s_branch .LBB1301_352
	.p2align	6
.LBB1301_350:                           ;   in Loop: Header=BB1301_352 Depth=1
	global_load_u16 v23, v[21:22], off
	global_load_u16 v24, v[19:20], off
	v_add_co_u32 v19, vcc_lo, v19, 2
	v_add_co_ci_u32_e32 v20, vcc_lo, 0, v20, vcc_lo
	v_add_co_u32 v21, s2, v21, 2
	s_delay_alu instid0(VALU_DEP_1)
	v_add_co_ci_u32_e64 v22, s2, 0, v22, s2
	s_add_u32 s6, s6, 1
	s_addc_u32 s7, s7, 0
	s_and_not1_b32 s2, s9, exec_lo
	s_waitcnt vmcnt(0)
	v_cmp_neq_f16_e32 vcc_lo, v23, v24
	s_and_b32 s9, vcc_lo, exec_lo
	s_delay_alu instid0(SALU_CYCLE_1)
	s_or_b32 s9, s2, s9
.LBB1301_351:                           ;   in Loop: Header=BB1301_352 Depth=1
	v_dual_mov_b32 v24, s7 :: v_dual_mov_b32 v23, s6
	s_and_b32 s2, exec_lo, s9
	s_delay_alu instid0(SALU_CYCLE_1) | instskip(NEXT) | instid1(SALU_CYCLE_1)
	s_or_b32 s8, s2, s8
	s_and_not1_b32 exec_lo, exec_lo, s8
	s_cbranch_execz .LBB1301_354
.LBB1301_352:                           ; =>This Inner Loop Header: Depth=1
	s_or_b32 s9, s9, exec_lo
	s_cmp_eq_u64 s[4:5], s[6:7]
	s_cbranch_scc0 .LBB1301_350
; %bb.353:                              ;   in Loop: Header=BB1301_352 Depth=1
	s_mov_b64 s[6:7], s[22:23]
                                        ; implicit-def: $vgpr19_vgpr20
                                        ; implicit-def: $vgpr21_vgpr22
	s_branch .LBB1301_351
.LBB1301_354:
	s_set_inst_prefetch_distance 0x2
	s_or_b32 exec_lo, exec_lo, s8
	v_cmp_gt_i64_e32 vcc_lo, s[22:23], v[23:24]
	s_or_not1_b32 s2, vcc_lo, exec_lo
.LBB1301_355:
	s_or_b32 exec_lo, exec_lo, s3
.LBB1301_356:
	s_delay_alu instid0(SALU_CYCLE_1)
	s_and_b32 s2, s2, exec_lo
.LBB1301_357:
	s_or_b32 exec_lo, exec_lo, s26
	s_delay_alu instid0(SALU_CYCLE_1)
	s_and_b32 s2, s2, exec_lo
	s_or_b32 s18, s18, exec_lo
.LBB1301_358:
	s_or_b32 exec_lo, exec_lo, s19
.LBB1301_359:
	s_and_saveexec_b32 s3, s18
	s_cbranch_execz .LBB1301_361
; %bb.360:
	s_waitcnt lgkmcnt(0)
	v_and_b32_e32 v19, 0xffffff00, v17
	v_cndmask_b32_e64 v20, 0, 1, s2
	s_delay_alu instid0(VALU_DEP_1) | instskip(NEXT) | instid1(VALU_DEP_1)
	v_or_b32_e32 v19, v20, v19
	v_and_b32_e32 v19, 0xffff, v19
	s_delay_alu instid0(VALU_DEP_1)
	v_and_or_b32 v17, 0xffff0000, v17, v19
.LBB1301_361:
	s_or_b32 exec_lo, exec_lo, s3
	s_delay_alu instid0(SALU_CYCLE_1)
	s_and_not1_b32 vcc_lo, exec_lo, s24
	s_cbranch_vccnz .LBB1301_363
; %bb.362:
	v_cmp_gt_u32_e32 vcc_lo, s20, v39
	s_waitcnt lgkmcnt(0)
	v_or_b32_e32 v20, 1, v39
	v_and_b32_e32 v21, 0xffffff00, v18
	v_or_b32_e32 v22, 2, v39
	v_cndmask_b32_e32 v19, 0, v17, vcc_lo
	s_delay_alu instid0(VALU_DEP_4) | instskip(SKIP_1) | instid1(VALU_DEP_4)
	v_cmp_gt_u32_e32 vcc_lo, s20, v20
	v_or_b32_e32 v20, 4, v39
	v_cmp_gt_u32_e64 s2, s20, v22
	v_or_b32_e32 v22, 3, v39
	v_and_b32_e32 v19, 0xff, v19
	s_delay_alu instid0(VALU_DEP_2) | instskip(NEXT) | instid1(VALU_DEP_2)
	v_cmp_gt_u32_e64 s3, s20, v22
	v_cndmask_b32_e32 v19, v19, v17, vcc_lo
	v_cmp_gt_u32_e32 vcc_lo, s20, v20
	v_cndmask_b32_e32 v20, v21, v18, vcc_lo
	v_or_b32_e32 v21, 5, v39
	s_delay_alu instid0(VALU_DEP_2) | instskip(SKIP_1) | instid1(VALU_DEP_1)
	v_and_b32_e32 v20, 0xffff00ff, v20
	v_and_b32_e32 v19, 0xffff, v19
	v_cndmask_b32_e64 v19, v19, v17, s2
	s_delay_alu instid0(VALU_DEP_4) | instskip(SKIP_1) | instid1(VALU_DEP_3)
	v_cmp_gt_u32_e64 s2, s20, v21
	v_or_b32_e32 v21, 6, v39
	v_and_b32_e32 v19, 0xffffff, v19
	s_delay_alu instid0(VALU_DEP_3) | instskip(NEXT) | instid1(VALU_DEP_2)
	v_cndmask_b32_e64 v20, v20, v18, s2
	v_cndmask_b32_e64 v19, v19, v17, s3
	s_delay_alu instid0(VALU_DEP_1) | instskip(SKIP_2) | instid1(VALU_DEP_3)
	v_dual_cndmask_b32 v19, v19, v17 :: v_dual_and_b32 v20, 0xff00ffff, v20
	v_cmp_gt_u32_e32 vcc_lo, s20, v21
	v_or_b32_e32 v21, 7, v39
	v_cndmask_b32_e64 v19, v19, v17, s2
	s_delay_alu instid0(VALU_DEP_1) | instskip(NEXT) | instid1(VALU_DEP_1)
	v_dual_cndmask_b32 v20, v20, v18 :: v_dual_cndmask_b32 v19, v19, v17
	v_and_b32_e32 v20, 0xffffff, v20
	s_delay_alu instid0(VALU_DEP_4) | instskip(NEXT) | instid1(VALU_DEP_2)
	v_cmp_gt_u32_e32 vcc_lo, s20, v21
	v_dual_cndmask_b32 v18, v20, v18 :: v_dual_cndmask_b32 v17, v19, v17
.LBB1301_363:
	s_delay_alu instid0(VALU_DEP_1) | instskip(SKIP_1) | instid1(VALU_DEP_2)
	v_and_b32_e32 v26, 0xff, v17
	s_waitcnt lgkmcnt(0)
	v_alignbit_b32 v19, v18, v17, 24
	v_bfe_u32 v28, v17, 8, 8
	v_bfe_u32 v30, v17, 16, 8
	v_and_b32_e32 v34, 0xff, v18
	v_bfe_u32 v36, v18, 8, 8
	v_and_b32_e32 v32, 0xff, v19
	v_add_nc_u32_e32 v19, v28, v26
	v_mbcnt_lo_u32_b32 v41, -1, 0
	v_bfe_u32 v38, v18, 16, 8
	v_lshrrev_b32_e32 v40, 24, v18
	v_lshrrev_b32_e32 v42, 5, v0
	v_add3_u32 v19, v19, v30, v32
	v_and_b32_e32 v20, 15, v41
	v_and_b32_e32 v21, 16, v41
	s_and_b32 vcc_lo, exec_lo, s25
	s_mov_b32 s18, -1
	v_add3_u32 v19, v19, v34, v36
	v_cmp_eq_u32_e64 s4, 0, v20
	v_cmp_lt_u32_e64 s2, 1, v20
	v_cmp_lt_u32_e64 s5, 3, v20
	;; [unrolled: 1-line block ×3, first 2 shown]
	v_add3_u32 v43, v19, v38, v40
	v_or_b32_e32 v19, 31, v0
	v_cmp_eq_u32_e64 s7, 0, v21
	s_barrier
	buffer_gl0_inv
	v_cmp_eq_u32_e64 s6, v19, v0
	s_cbranch_vccz .LBB1301_389
; %bb.364:
	v_mov_b32_dpp v19, v43 row_shr:1 row_mask:0xf bank_mask:0xf
	s_delay_alu instid0(VALU_DEP_1) | instskip(NEXT) | instid1(VALU_DEP_1)
	v_cndmask_b32_e64 v19, v19, 0, s4
	v_add_nc_u32_e32 v19, v19, v43
	s_delay_alu instid0(VALU_DEP_1) | instskip(NEXT) | instid1(VALU_DEP_1)
	v_mov_b32_dpp v20, v19 row_shr:2 row_mask:0xf bank_mask:0xf
	v_cndmask_b32_e64 v20, 0, v20, s2
	s_delay_alu instid0(VALU_DEP_1) | instskip(NEXT) | instid1(VALU_DEP_1)
	v_add_nc_u32_e32 v19, v19, v20
	v_mov_b32_dpp v20, v19 row_shr:4 row_mask:0xf bank_mask:0xf
	s_delay_alu instid0(VALU_DEP_1) | instskip(NEXT) | instid1(VALU_DEP_1)
	v_cndmask_b32_e64 v20, 0, v20, s5
	v_add_nc_u32_e32 v19, v19, v20
	s_delay_alu instid0(VALU_DEP_1) | instskip(NEXT) | instid1(VALU_DEP_1)
	v_mov_b32_dpp v20, v19 row_shr:8 row_mask:0xf bank_mask:0xf
	v_cndmask_b32_e64 v20, 0, v20, s3
	s_delay_alu instid0(VALU_DEP_1) | instskip(SKIP_3) | instid1(VALU_DEP_1)
	v_add_nc_u32_e32 v19, v19, v20
	ds_swizzle_b32 v20, v19 offset:swizzle(BROADCAST,32,15)
	s_waitcnt lgkmcnt(0)
	v_cndmask_b32_e64 v20, v20, 0, s7
	v_add_nc_u32_e32 v19, v19, v20
	s_and_saveexec_b32 s8, s6
	s_cbranch_execz .LBB1301_366
; %bb.365:
	v_lshlrev_b32_e32 v20, 2, v42
	ds_store_b32 v20, v19
.LBB1301_366:
	s_or_b32 exec_lo, exec_lo, s8
	s_delay_alu instid0(SALU_CYCLE_1)
	s_mov_b32 s8, exec_lo
	s_waitcnt lgkmcnt(0)
	s_barrier
	buffer_gl0_inv
	v_cmpx_gt_u32_e32 16, v0
	s_cbranch_execz .LBB1301_368
; %bb.367:
	v_lshlrev_b32_e32 v20, 2, v0
	ds_load_b32 v21, v20
	s_waitcnt lgkmcnt(0)
	v_mov_b32_dpp v22, v21 row_shr:1 row_mask:0xf bank_mask:0xf
	s_delay_alu instid0(VALU_DEP_1) | instskip(NEXT) | instid1(VALU_DEP_1)
	v_cndmask_b32_e64 v22, v22, 0, s4
	v_add_nc_u32_e32 v21, v22, v21
	s_delay_alu instid0(VALU_DEP_1) | instskip(NEXT) | instid1(VALU_DEP_1)
	v_mov_b32_dpp v22, v21 row_shr:2 row_mask:0xf bank_mask:0xf
	v_cndmask_b32_e64 v22, 0, v22, s2
	s_delay_alu instid0(VALU_DEP_1) | instskip(NEXT) | instid1(VALU_DEP_1)
	v_add_nc_u32_e32 v21, v21, v22
	v_mov_b32_dpp v22, v21 row_shr:4 row_mask:0xf bank_mask:0xf
	s_delay_alu instid0(VALU_DEP_1) | instskip(NEXT) | instid1(VALU_DEP_1)
	v_cndmask_b32_e64 v22, 0, v22, s5
	v_add_nc_u32_e32 v21, v21, v22
	s_delay_alu instid0(VALU_DEP_1) | instskip(NEXT) | instid1(VALU_DEP_1)
	v_mov_b32_dpp v22, v21 row_shr:8 row_mask:0xf bank_mask:0xf
	v_cndmask_b32_e64 v22, 0, v22, s3
	s_delay_alu instid0(VALU_DEP_1)
	v_add_nc_u32_e32 v21, v21, v22
	ds_store_b32 v20, v21
.LBB1301_368:
	s_or_b32 exec_lo, exec_lo, s8
	v_cmp_gt_u32_e32 vcc_lo, 32, v0
	s_mov_b32 s9, exec_lo
	s_waitcnt lgkmcnt(0)
	s_barrier
	buffer_gl0_inv
                                        ; implicit-def: $vgpr27
	v_cmpx_lt_u32_e32 31, v0
	s_cbranch_execz .LBB1301_370
; %bb.369:
	v_lshl_add_u32 v20, v42, 2, -4
	ds_load_b32 v27, v20
	s_waitcnt lgkmcnt(0)
	v_add_nc_u32_e32 v19, v27, v19
.LBB1301_370:
	s_or_b32 exec_lo, exec_lo, s9
	v_add_nc_u32_e32 v20, -1, v41
	s_delay_alu instid0(VALU_DEP_1) | instskip(NEXT) | instid1(VALU_DEP_1)
	v_cmp_gt_i32_e64 s8, 0, v20
	v_cndmask_b32_e64 v20, v20, v41, s8
	v_cmp_eq_u32_e64 s8, 0, v41
	s_delay_alu instid0(VALU_DEP_2)
	v_lshlrev_b32_e32 v20, 2, v20
	ds_bpermute_b32 v29, v20, v19
	s_and_saveexec_b32 s9, vcc_lo
	s_cbranch_execz .LBB1301_388
; %bb.371:
	v_mov_b32_e32 v22, 0
	ds_load_b32 v19, v22 offset:60
	s_and_saveexec_b32 s18, s8
	s_cbranch_execz .LBB1301_373
; %bb.372:
	s_add_i32 s22, s15, 32
	s_mov_b32 s23, 0
	v_mov_b32_e32 v20, 1
	s_lshl_b64 s[22:23], s[22:23], 3
	s_delay_alu instid0(SALU_CYCLE_1)
	s_add_u32 s22, s10, s22
	s_addc_u32 s23, s11, s23
	s_waitcnt lgkmcnt(0)
	global_store_b64 v22, v[19:20], s[22:23]
.LBB1301_373:
	s_or_b32 exec_lo, exec_lo, s18
	v_xad_u32 v20, v41, -1, s15
	s_mov_b32 s19, 0
	s_mov_b32 s18, exec_lo
	s_delay_alu instid0(VALU_DEP_1) | instskip(NEXT) | instid1(VALU_DEP_1)
	v_add_nc_u32_e32 v21, 32, v20
	v_lshlrev_b64 v[21:22], 3, v[21:22]
	s_delay_alu instid0(VALU_DEP_1) | instskip(NEXT) | instid1(VALU_DEP_2)
	v_add_co_u32 v24, vcc_lo, s10, v21
	v_add_co_ci_u32_e32 v25, vcc_lo, s11, v22, vcc_lo
	global_load_b64 v[22:23], v[24:25], off glc
	s_waitcnt vmcnt(0)
	v_and_b32_e32 v21, 0xff, v23
	s_delay_alu instid0(VALU_DEP_1)
	v_cmpx_eq_u16_e32 0, v21
	s_cbranch_execz .LBB1301_376
.LBB1301_374:                           ; =>This Inner Loop Header: Depth=1
	global_load_b64 v[22:23], v[24:25], off glc
	s_waitcnt vmcnt(0)
	v_and_b32_e32 v21, 0xff, v23
	s_delay_alu instid0(VALU_DEP_1) | instskip(SKIP_1) | instid1(SALU_CYCLE_1)
	v_cmp_ne_u16_e32 vcc_lo, 0, v21
	s_or_b32 s19, vcc_lo, s19
	s_and_not1_b32 exec_lo, exec_lo, s19
	s_cbranch_execnz .LBB1301_374
; %bb.375:
	s_or_b32 exec_lo, exec_lo, s19
.LBB1301_376:
	s_delay_alu instid0(SALU_CYCLE_1)
	s_or_b32 exec_lo, exec_lo, s18
	v_cmp_ne_u32_e32 vcc_lo, 31, v41
	v_lshlrev_b32_e64 v33, v41, -1
	v_add_nc_u32_e32 v37, 2, v41
	v_add_nc_u32_e32 v46, 4, v41
	;; [unrolled: 1-line block ×3, first 2 shown]
	v_add_co_ci_u32_e32 v21, vcc_lo, 0, v41, vcc_lo
	v_add_nc_u32_e32 v50, 16, v41
	s_delay_alu instid0(VALU_DEP_2)
	v_lshlrev_b32_e32 v31, 2, v21
	v_and_b32_e32 v21, 0xff, v23
	ds_bpermute_b32 v24, v31, v22
	v_cmp_eq_u16_e32 vcc_lo, 2, v21
	v_and_or_b32 v21, vcc_lo, v33, 0x80000000
	v_cmp_gt_u32_e32 vcc_lo, 30, v41
	s_delay_alu instid0(VALU_DEP_2) | instskip(SKIP_1) | instid1(VALU_DEP_2)
	v_ctz_i32_b32_e32 v21, v21
	v_cndmask_b32_e64 v25, 0, 1, vcc_lo
	v_cmp_lt_u32_e32 vcc_lo, v41, v21
	s_waitcnt lgkmcnt(0)
	s_delay_alu instid0(VALU_DEP_2) | instskip(NEXT) | instid1(VALU_DEP_1)
	v_dual_cndmask_b32 v24, 0, v24 :: v_dual_lshlrev_b32 v25, 1, v25
	v_add_lshl_u32 v35, v25, v41, 2
	v_cmp_gt_u32_e32 vcc_lo, 28, v41
	s_delay_alu instid0(VALU_DEP_3) | instskip(SKIP_4) | instid1(VALU_DEP_1)
	v_add_nc_u32_e32 v22, v24, v22
	v_cndmask_b32_e64 v25, 0, 1, vcc_lo
	v_cmp_le_u32_e32 vcc_lo, v37, v21
	ds_bpermute_b32 v24, v35, v22
	v_lshlrev_b32_e32 v25, 2, v25
	v_add_lshl_u32 v44, v25, v41, 2
	s_waitcnt lgkmcnt(0)
	v_cndmask_b32_e32 v24, 0, v24, vcc_lo
	v_cmp_gt_u32_e32 vcc_lo, 24, v41
	s_delay_alu instid0(VALU_DEP_2) | instskip(SKIP_4) | instid1(VALU_DEP_1)
	v_add_nc_u32_e32 v22, v22, v24
	v_cndmask_b32_e64 v25, 0, 1, vcc_lo
	v_cmp_le_u32_e32 vcc_lo, v46, v21
	ds_bpermute_b32 v24, v44, v22
	v_lshlrev_b32_e32 v25, 3, v25
	v_add_lshl_u32 v47, v25, v41, 2
	s_waitcnt lgkmcnt(0)
	v_cndmask_b32_e32 v24, 0, v24, vcc_lo
	v_cmp_gt_u32_e32 vcc_lo, 16, v41
	s_delay_alu instid0(VALU_DEP_2) | instskip(SKIP_4) | instid1(VALU_DEP_1)
	v_add_nc_u32_e32 v22, v22, v24
	v_cndmask_b32_e64 v25, 0, 1, vcc_lo
	v_cmp_le_u32_e32 vcc_lo, v48, v21
	ds_bpermute_b32 v24, v47, v22
	v_lshlrev_b32_e32 v25, 4, v25
	v_add_lshl_u32 v49, v25, v41, 2
	s_waitcnt lgkmcnt(0)
	v_cndmask_b32_e32 v24, 0, v24, vcc_lo
	v_cmp_le_u32_e32 vcc_lo, v50, v21
	s_delay_alu instid0(VALU_DEP_2) | instskip(SKIP_3) | instid1(VALU_DEP_1)
	v_add_nc_u32_e32 v22, v22, v24
	ds_bpermute_b32 v24, v49, v22
	s_waitcnt lgkmcnt(0)
	v_cndmask_b32_e32 v21, 0, v24, vcc_lo
	v_dual_mov_b32 v21, 0 :: v_dual_add_nc_u32 v22, v22, v21
	s_branch .LBB1301_378
.LBB1301_377:                           ;   in Loop: Header=BB1301_378 Depth=1
	s_or_b32 exec_lo, exec_lo, s18
	ds_bpermute_b32 v25, v31, v22
	v_and_b32_e32 v24, 0xff, v23
	v_subrev_nc_u32_e32 v20, 32, v20
	s_delay_alu instid0(VALU_DEP_2) | instskip(SKIP_1) | instid1(VALU_DEP_1)
	v_cmp_eq_u16_e32 vcc_lo, 2, v24
	v_and_or_b32 v24, vcc_lo, v33, 0x80000000
	v_ctz_i32_b32_e32 v24, v24
	s_delay_alu instid0(VALU_DEP_1) | instskip(SKIP_3) | instid1(VALU_DEP_2)
	v_cmp_lt_u32_e32 vcc_lo, v41, v24
	s_waitcnt lgkmcnt(0)
	v_cndmask_b32_e32 v25, 0, v25, vcc_lo
	v_cmp_le_u32_e32 vcc_lo, v37, v24
	v_add_nc_u32_e32 v22, v25, v22
	ds_bpermute_b32 v25, v35, v22
	s_waitcnt lgkmcnt(0)
	v_cndmask_b32_e32 v25, 0, v25, vcc_lo
	v_cmp_le_u32_e32 vcc_lo, v46, v24
	s_delay_alu instid0(VALU_DEP_2) | instskip(SKIP_4) | instid1(VALU_DEP_2)
	v_add_nc_u32_e32 v22, v22, v25
	ds_bpermute_b32 v25, v44, v22
	s_waitcnt lgkmcnt(0)
	v_cndmask_b32_e32 v25, 0, v25, vcc_lo
	v_cmp_le_u32_e32 vcc_lo, v48, v24
	v_add_nc_u32_e32 v22, v22, v25
	ds_bpermute_b32 v25, v47, v22
	s_waitcnt lgkmcnt(0)
	v_cndmask_b32_e32 v25, 0, v25, vcc_lo
	v_cmp_le_u32_e32 vcc_lo, v50, v24
	s_delay_alu instid0(VALU_DEP_2) | instskip(SKIP_3) | instid1(VALU_DEP_1)
	v_add_nc_u32_e32 v22, v22, v25
	ds_bpermute_b32 v25, v49, v22
	s_waitcnt lgkmcnt(0)
	v_cndmask_b32_e32 v24, 0, v25, vcc_lo
	v_add3_u32 v22, v24, v45, v22
.LBB1301_378:                           ; =>This Loop Header: Depth=1
                                        ;     Child Loop BB1301_381 Depth 2
	v_and_b32_e32 v23, 0xff, v23
	s_delay_alu instid0(VALU_DEP_2) | instskip(NEXT) | instid1(VALU_DEP_2)
	v_mov_b32_e32 v45, v22
	v_cmp_ne_u16_e32 vcc_lo, 2, v23
	v_cndmask_b32_e64 v23, 0, 1, vcc_lo
	;;#ASMSTART
	;;#ASMEND
	s_delay_alu instid0(VALU_DEP_1)
	v_cmp_ne_u32_e32 vcc_lo, 0, v23
	s_cmp_lg_u32 vcc_lo, exec_lo
	s_cbranch_scc1 .LBB1301_383
; %bb.379:                              ;   in Loop: Header=BB1301_378 Depth=1
	v_lshlrev_b64 v[22:23], 3, v[20:21]
	s_mov_b32 s18, exec_lo
	s_delay_alu instid0(VALU_DEP_1) | instskip(NEXT) | instid1(VALU_DEP_2)
	v_add_co_u32 v24, vcc_lo, s10, v22
	v_add_co_ci_u32_e32 v25, vcc_lo, s11, v23, vcc_lo
	global_load_b64 v[22:23], v[24:25], off glc
	s_waitcnt vmcnt(0)
	v_and_b32_e32 v51, 0xff, v23
	s_delay_alu instid0(VALU_DEP_1)
	v_cmpx_eq_u16_e32 0, v51
	s_cbranch_execz .LBB1301_377
; %bb.380:                              ;   in Loop: Header=BB1301_378 Depth=1
	s_mov_b32 s19, 0
.LBB1301_381:                           ;   Parent Loop BB1301_378 Depth=1
                                        ; =>  This Inner Loop Header: Depth=2
	global_load_b64 v[22:23], v[24:25], off glc
	s_waitcnt vmcnt(0)
	v_and_b32_e32 v51, 0xff, v23
	s_delay_alu instid0(VALU_DEP_1) | instskip(SKIP_1) | instid1(SALU_CYCLE_1)
	v_cmp_ne_u16_e32 vcc_lo, 0, v51
	s_or_b32 s19, vcc_lo, s19
	s_and_not1_b32 exec_lo, exec_lo, s19
	s_cbranch_execnz .LBB1301_381
; %bb.382:                              ;   in Loop: Header=BB1301_378 Depth=1
	s_or_b32 exec_lo, exec_lo, s19
	s_branch .LBB1301_377
.LBB1301_383:                           ;   in Loop: Header=BB1301_378 Depth=1
                                        ; implicit-def: $vgpr22
                                        ; implicit-def: $vgpr23
	s_cbranch_execz .LBB1301_378
; %bb.384:
	s_and_saveexec_b32 s18, s8
	s_cbranch_execz .LBB1301_386
; %bb.385:
	s_add_i32 s22, s15, 32
	s_mov_b32 s23, 0
	v_dual_mov_b32 v21, 2 :: v_dual_add_nc_u32 v20, v45, v19
	s_lshl_b64 s[22:23], s[22:23], 3
	v_mov_b32_e32 v22, 0
	v_add_nc_u32_e64 v23, 0x8400, 0
	s_add_u32 s22, s10, s22
	s_addc_u32 s23, s11, s23
	global_store_b64 v22, v[20:21], s[22:23]
	ds_store_2addr_b32 v23, v19, v45 offset1:2
.LBB1301_386:
	s_or_b32 exec_lo, exec_lo, s18
	v_cmp_eq_u32_e32 vcc_lo, 0, v0
	s_and_b32 exec_lo, exec_lo, vcc_lo
	s_cbranch_execz .LBB1301_388
; %bb.387:
	v_mov_b32_e32 v19, 0
	ds_store_b32 v19, v45 offset:60
.LBB1301_388:
	s_or_b32 exec_lo, exec_lo, s9
	s_waitcnt lgkmcnt(0)
	v_cndmask_b32_e64 v20, v29, v27, s8
	v_cmp_ne_u32_e32 vcc_lo, 0, v0
	v_mov_b32_e32 v19, 0
	s_waitcnt_vscnt null, 0x0
	s_barrier
	buffer_gl0_inv
	v_cndmask_b32_e32 v20, 0, v20, vcc_lo
	ds_load_b32 v19, v19 offset:60
	s_waitcnt lgkmcnt(0)
	s_barrier
	buffer_gl0_inv
	v_add_nc_u32_e32 v37, v19, v20
	v_add_nc_u32_e64 v19, 0x8400, 0
	s_delay_alu instid0(VALU_DEP_2) | instskip(SKIP_2) | instid1(VALU_DEP_1)
	v_add_nc_u32_e32 v35, v37, v26
	ds_load_2addr_b32 v[19:20], v19 offset1:2
	v_add_nc_u32_e32 v33, v35, v28
	v_add_nc_u32_e32 v31, v33, v30
	s_delay_alu instid0(VALU_DEP_1) | instskip(NEXT) | instid1(VALU_DEP_1)
	v_add_nc_u32_e32 v29, v31, v32
	v_add_nc_u32_e32 v27, v29, v34
	s_delay_alu instid0(VALU_DEP_1) | instskip(NEXT) | instid1(VALU_DEP_1)
	v_add_nc_u32_e32 v25, v27, v36
	v_add_nc_u32_e32 v23, v25, v38
	s_load_b64 s[8:9], s[0:1], 0x28
	v_lshrrev_b64 v[21:22], 24, v[17:18]
	s_branch .LBB1301_399
.LBB1301_389:
                                        ; implicit-def: $vgpr23
                                        ; implicit-def: $vgpr25
                                        ; implicit-def: $vgpr27
                                        ; implicit-def: $vgpr29
                                        ; implicit-def: $vgpr31
                                        ; implicit-def: $vgpr33
                                        ; implicit-def: $vgpr35
                                        ; implicit-def: $vgpr37
                                        ; implicit-def: $vgpr20
	s_load_b64 s[8:9], s[0:1], 0x28
	v_lshrrev_b64 v[21:22], 24, v[17:18]
	s_and_b32 vcc_lo, exec_lo, s18
	s_cbranch_vccz .LBB1301_399
; %bb.390:
	s_waitcnt lgkmcnt(0)
	v_mov_b32_dpp v19, v43 row_shr:1 row_mask:0xf bank_mask:0xf
	s_delay_alu instid0(VALU_DEP_1) | instskip(NEXT) | instid1(VALU_DEP_1)
	v_cndmask_b32_e64 v19, v19, 0, s4
	v_add_nc_u32_e32 v19, v19, v43
	s_delay_alu instid0(VALU_DEP_1) | instskip(NEXT) | instid1(VALU_DEP_1)
	v_mov_b32_dpp v20, v19 row_shr:2 row_mask:0xf bank_mask:0xf
	v_cndmask_b32_e64 v20, 0, v20, s2
	s_delay_alu instid0(VALU_DEP_1) | instskip(NEXT) | instid1(VALU_DEP_1)
	v_add_nc_u32_e32 v19, v19, v20
	v_mov_b32_dpp v20, v19 row_shr:4 row_mask:0xf bank_mask:0xf
	s_delay_alu instid0(VALU_DEP_1) | instskip(NEXT) | instid1(VALU_DEP_1)
	v_cndmask_b32_e64 v20, 0, v20, s5
	v_add_nc_u32_e32 v19, v19, v20
	s_delay_alu instid0(VALU_DEP_1) | instskip(NEXT) | instid1(VALU_DEP_1)
	v_mov_b32_dpp v20, v19 row_shr:8 row_mask:0xf bank_mask:0xf
	v_cndmask_b32_e64 v20, 0, v20, s3
	s_delay_alu instid0(VALU_DEP_1) | instskip(SKIP_3) | instid1(VALU_DEP_1)
	v_add_nc_u32_e32 v19, v19, v20
	ds_swizzle_b32 v20, v19 offset:swizzle(BROADCAST,32,15)
	s_waitcnt lgkmcnt(0)
	v_cndmask_b32_e64 v20, v20, 0, s7
	v_add_nc_u32_e32 v19, v19, v20
	s_and_saveexec_b32 s0, s6
	s_cbranch_execz .LBB1301_392
; %bb.391:
	v_lshlrev_b32_e32 v20, 2, v42
	ds_store_b32 v20, v19
.LBB1301_392:
	s_or_b32 exec_lo, exec_lo, s0
	s_delay_alu instid0(SALU_CYCLE_1)
	s_mov_b32 s0, exec_lo
	s_waitcnt lgkmcnt(0)
	s_barrier
	buffer_gl0_inv
	v_cmpx_gt_u32_e32 16, v0
	s_cbranch_execz .LBB1301_394
; %bb.393:
	v_lshlrev_b32_e32 v20, 2, v0
	ds_load_b32 v22, v20
	s_waitcnt lgkmcnt(0)
	v_mov_b32_dpp v23, v22 row_shr:1 row_mask:0xf bank_mask:0xf
	s_delay_alu instid0(VALU_DEP_1) | instskip(NEXT) | instid1(VALU_DEP_1)
	v_cndmask_b32_e64 v23, v23, 0, s4
	v_add_nc_u32_e32 v22, v23, v22
	s_delay_alu instid0(VALU_DEP_1) | instskip(NEXT) | instid1(VALU_DEP_1)
	v_mov_b32_dpp v23, v22 row_shr:2 row_mask:0xf bank_mask:0xf
	v_cndmask_b32_e64 v23, 0, v23, s2
	s_delay_alu instid0(VALU_DEP_1) | instskip(NEXT) | instid1(VALU_DEP_1)
	v_add_nc_u32_e32 v22, v22, v23
	v_mov_b32_dpp v23, v22 row_shr:4 row_mask:0xf bank_mask:0xf
	s_delay_alu instid0(VALU_DEP_1) | instskip(NEXT) | instid1(VALU_DEP_1)
	v_cndmask_b32_e64 v23, 0, v23, s5
	v_add_nc_u32_e32 v22, v22, v23
	s_delay_alu instid0(VALU_DEP_1) | instskip(NEXT) | instid1(VALU_DEP_1)
	v_mov_b32_dpp v23, v22 row_shr:8 row_mask:0xf bank_mask:0xf
	v_cndmask_b32_e64 v23, 0, v23, s3
	s_delay_alu instid0(VALU_DEP_1)
	v_add_nc_u32_e32 v22, v22, v23
	ds_store_b32 v20, v22
.LBB1301_394:
	s_or_b32 exec_lo, exec_lo, s0
	v_mov_b32_e32 v20, 0
	v_mov_b32_e32 v22, 0
	s_mov_b32 s0, exec_lo
	s_waitcnt lgkmcnt(0)
	s_barrier
	buffer_gl0_inv
	v_cmpx_lt_u32_e32 31, v0
	s_cbranch_execz .LBB1301_396
; %bb.395:
	v_lshl_add_u32 v22, v42, 2, -4
	ds_load_b32 v22, v22
.LBB1301_396:
	s_or_b32 exec_lo, exec_lo, s0
	v_add_nc_u32_e32 v23, -1, v41
	s_waitcnt lgkmcnt(0)
	v_add_nc_u32_e32 v19, v22, v19
	s_delay_alu instid0(VALU_DEP_2) | instskip(SKIP_2) | instid1(VALU_DEP_2)
	v_cmp_gt_i32_e32 vcc_lo, 0, v23
	v_cndmask_b32_e32 v23, v23, v41, vcc_lo
	v_cmp_eq_u32_e32 vcc_lo, 0, v0
	v_lshlrev_b32_e32 v23, 2, v23
	ds_bpermute_b32 v23, v23, v19
	ds_load_b32 v19, v20 offset:60
	s_and_saveexec_b32 s0, vcc_lo
	s_cbranch_execz .LBB1301_398
; %bb.397:
	v_mov_b32_e32 v24, 0
	v_mov_b32_e32 v20, 2
	s_waitcnt lgkmcnt(0)
	global_store_b64 v24, v[19:20], s[10:11] offset:256
.LBB1301_398:
	s_or_b32 exec_lo, exec_lo, s0
	v_cmp_eq_u32_e64 s0, 0, v41
	s_waitcnt lgkmcnt(0)
	s_waitcnt_vscnt null, 0x0
	s_barrier
	buffer_gl0_inv
	v_cndmask_b32_e64 v20, v23, v22, s0
	s_delay_alu instid0(VALU_DEP_1) | instskip(NEXT) | instid1(VALU_DEP_1)
	v_cndmask_b32_e64 v37, v20, 0, vcc_lo
	v_dual_mov_b32 v20, 0 :: v_dual_add_nc_u32 v35, v37, v26
	s_delay_alu instid0(VALU_DEP_1) | instskip(NEXT) | instid1(VALU_DEP_1)
	v_add_nc_u32_e32 v33, v35, v28
	v_add_nc_u32_e32 v31, v33, v30
	s_delay_alu instid0(VALU_DEP_1) | instskip(NEXT) | instid1(VALU_DEP_1)
	v_add_nc_u32_e32 v29, v31, v32
	v_add_nc_u32_e32 v27, v29, v34
	;; [unrolled: 3-line block ×3, first 2 shown]
.LBB1301_399:
	s_waitcnt lgkmcnt(0)
	v_cmp_gt_u32_e32 vcc_lo, 0x201, v19
	v_lshrrev_b32_e32 v43, 8, v17
	v_lshrrev_b32_e32 v42, 16, v17
	v_lshrrev_b32_e32 v41, 8, v18
	v_lshrrev_b32_e32 v22, 16, v18
	s_mov_b32 s0, -1
	s_cbranch_vccnz .LBB1301_403
; %bb.400:
	s_and_b32 vcc_lo, exec_lo, s0
	s_cbranch_vccnz .LBB1301_428
.LBB1301_401:
	v_cmp_eq_u32_e32 vcc_lo, 0, v0
	s_and_b32 s0, vcc_lo, s14
	s_delay_alu instid0(SALU_CYCLE_1)
	s_and_saveexec_b32 s1, s0
	s_cbranch_execnz .LBB1301_448
.LBB1301_402:
	s_nop 0
	s_sendmsg sendmsg(MSG_DEALLOC_VGPRS)
	s_endpgm
.LBB1301_403:
	v_add_nc_u32_e32 v24, v20, v19
	s_delay_alu instid0(VALU_DEP_1) | instskip(SKIP_1) | instid1(SALU_CYCLE_1)
	v_cmp_lt_u32_e32 vcc_lo, v37, v24
	s_or_b32 s1, s21, vcc_lo
	s_and_saveexec_b32 s0, s1
	s_cbranch_execz .LBB1301_406
; %bb.404:
	v_and_b32_e32 v26, 1, v17
	s_delay_alu instid0(VALU_DEP_1)
	v_cmp_eq_u32_e32 vcc_lo, 1, v26
	s_and_b32 exec_lo, exec_lo, vcc_lo
	s_cbranch_execz .LBB1301_406
; %bb.405:
	v_mov_b32_e32 v38, 0
	s_lshl_b64 s[2:3], s[12:13], 3
	s_delay_alu instid0(SALU_CYCLE_1) | instskip(SKIP_1) | instid1(VALU_DEP_1)
	s_add_u32 s1, s8, s2
	s_addc_u32 s2, s9, s3
	v_lshlrev_b64 v[44:45], 3, v[37:38]
	s_delay_alu instid0(VALU_DEP_1) | instskip(NEXT) | instid1(VALU_DEP_2)
	v_add_co_u32 v44, vcc_lo, s1, v44
	v_add_co_ci_u32_e32 v45, vcc_lo, s2, v45, vcc_lo
	global_store_b64 v[44:45], v[13:14], off
.LBB1301_406:
	s_or_b32 exec_lo, exec_lo, s0
	v_cmp_lt_u32_e32 vcc_lo, v35, v24
	s_or_b32 s1, s21, vcc_lo
	s_delay_alu instid0(SALU_CYCLE_1)
	s_and_saveexec_b32 s0, s1
	s_cbranch_execz .LBB1301_409
; %bb.407:
	v_and_b32_e32 v26, 1, v43
	s_delay_alu instid0(VALU_DEP_1)
	v_cmp_eq_u32_e32 vcc_lo, 1, v26
	s_and_b32 exec_lo, exec_lo, vcc_lo
	s_cbranch_execz .LBB1301_409
; %bb.408:
	v_mov_b32_e32 v36, 0
	s_lshl_b64 s[2:3], s[12:13], 3
	s_delay_alu instid0(SALU_CYCLE_1) | instskip(SKIP_1) | instid1(VALU_DEP_1)
	s_add_u32 s1, s8, s2
	s_addc_u32 s2, s9, s3
	v_lshlrev_b64 v[44:45], 3, v[35:36]
	s_delay_alu instid0(VALU_DEP_1) | instskip(NEXT) | instid1(VALU_DEP_2)
	v_add_co_u32 v44, vcc_lo, s1, v44
	v_add_co_ci_u32_e32 v45, vcc_lo, s2, v45, vcc_lo
	global_store_b64 v[44:45], v[15:16], off
.LBB1301_409:
	s_or_b32 exec_lo, exec_lo, s0
	v_cmp_lt_u32_e32 vcc_lo, v33, v24
	s_or_b32 s1, s21, vcc_lo
	s_delay_alu instid0(SALU_CYCLE_1)
	;; [unrolled: 24-line block ×7, first 2 shown]
	s_and_saveexec_b32 s0, s1
	s_cbranch_execz .LBB1301_427
; %bb.425:
	v_and_b32_e32 v24, 1, v40
	s_delay_alu instid0(VALU_DEP_1)
	v_cmp_eq_u32_e32 vcc_lo, 1, v24
	s_and_b32 exec_lo, exec_lo, vcc_lo
	s_cbranch_execz .LBB1301_427
; %bb.426:
	v_mov_b32_e32 v24, 0
	s_lshl_b64 s[2:3], s[12:13], 3
	s_delay_alu instid0(SALU_CYCLE_1) | instskip(SKIP_1) | instid1(VALU_DEP_1)
	s_add_u32 s1, s8, s2
	s_addc_u32 s2, s9, s3
	v_lshlrev_b64 v[44:45], 3, v[23:24]
	s_delay_alu instid0(VALU_DEP_1) | instskip(NEXT) | instid1(VALU_DEP_2)
	v_add_co_u32 v44, vcc_lo, s1, v44
	v_add_co_ci_u32_e32 v45, vcc_lo, s2, v45, vcc_lo
	global_store_b64 v[44:45], v[3:4], off
.LBB1301_427:
	s_or_b32 exec_lo, exec_lo, s0
	s_branch .LBB1301_401
.LBB1301_428:
	v_and_b32_e32 v17, 1, v17
	s_mov_b32 s0, exec_lo
	s_delay_alu instid0(VALU_DEP_1)
	v_cmpx_eq_u32_e32 1, v17
	s_cbranch_execz .LBB1301_430
; %bb.429:
	v_sub_nc_u32_e32 v17, v37, v20
	s_delay_alu instid0(VALU_DEP_1)
	v_lshlrev_b32_e32 v17, 3, v17
	ds_store_b64 v17, v[13:14]
.LBB1301_430:
	s_or_b32 exec_lo, exec_lo, s0
	v_and_b32_e32 v13, 1, v43
	s_mov_b32 s0, exec_lo
	s_delay_alu instid0(VALU_DEP_1)
	v_cmpx_eq_u32_e32 1, v13
	s_cbranch_execz .LBB1301_432
; %bb.431:
	v_sub_nc_u32_e32 v13, v35, v20
	s_delay_alu instid0(VALU_DEP_1)
	v_lshlrev_b32_e32 v13, 3, v13
	ds_store_b64 v13, v[15:16]
.LBB1301_432:
	s_or_b32 exec_lo, exec_lo, s0
	v_and_b32_e32 v13, 1, v42
	s_mov_b32 s0, exec_lo
	s_delay_alu instid0(VALU_DEP_1)
	v_cmpx_eq_u32_e32 1, v13
	s_cbranch_execz .LBB1301_434
; %bb.433:
	v_sub_nc_u32_e32 v13, v33, v20
	s_delay_alu instid0(VALU_DEP_1)
	v_lshlrev_b32_e32 v13, 3, v13
	ds_store_b64 v13, v[9:10]
.LBB1301_434:
	s_or_b32 exec_lo, exec_lo, s0
	v_and_b32_e32 v9, 1, v21
	s_mov_b32 s0, exec_lo
	s_delay_alu instid0(VALU_DEP_1)
	v_cmpx_eq_u32_e32 1, v9
	s_cbranch_execz .LBB1301_436
; %bb.435:
	v_sub_nc_u32_e32 v9, v31, v20
	s_delay_alu instid0(VALU_DEP_1)
	v_lshlrev_b32_e32 v9, 3, v9
	ds_store_b64 v9, v[11:12]
.LBB1301_436:
	s_or_b32 exec_lo, exec_lo, s0
	v_and_b32_e32 v9, 1, v18
	s_mov_b32 s0, exec_lo
	s_delay_alu instid0(VALU_DEP_1)
	v_cmpx_eq_u32_e32 1, v9
	s_cbranch_execz .LBB1301_438
; %bb.437:
	v_sub_nc_u32_e32 v9, v29, v20
	s_delay_alu instid0(VALU_DEP_1)
	v_lshlrev_b32_e32 v9, 3, v9
	ds_store_b64 v9, v[5:6]
.LBB1301_438:
	s_or_b32 exec_lo, exec_lo, s0
	v_and_b32_e32 v5, 1, v41
	s_mov_b32 s0, exec_lo
	s_delay_alu instid0(VALU_DEP_1)
	v_cmpx_eq_u32_e32 1, v5
	s_cbranch_execz .LBB1301_440
; %bb.439:
	v_sub_nc_u32_e32 v5, v27, v20
	s_delay_alu instid0(VALU_DEP_1)
	v_lshlrev_b32_e32 v5, 3, v5
	ds_store_b64 v5, v[7:8]
.LBB1301_440:
	s_or_b32 exec_lo, exec_lo, s0
	v_and_b32_e32 v5, 1, v22
	s_mov_b32 s0, exec_lo
	s_delay_alu instid0(VALU_DEP_1)
	v_cmpx_eq_u32_e32 1, v5
	s_cbranch_execz .LBB1301_442
; %bb.441:
	v_sub_nc_u32_e32 v5, v25, v20
	s_delay_alu instid0(VALU_DEP_1)
	v_lshlrev_b32_e32 v5, 3, v5
	ds_store_b64 v5, v[1:2]
.LBB1301_442:
	s_or_b32 exec_lo, exec_lo, s0
	v_and_b32_e32 v1, 1, v40
	s_mov_b32 s0, exec_lo
	s_delay_alu instid0(VALU_DEP_1)
	v_cmpx_eq_u32_e32 1, v1
	s_cbranch_execz .LBB1301_444
; %bb.443:
	v_sub_nc_u32_e32 v1, v23, v20
	s_delay_alu instid0(VALU_DEP_1)
	v_lshlrev_b32_e32 v1, 3, v1
	ds_store_b64 v1, v[3:4]
.LBB1301_444:
	s_or_b32 exec_lo, exec_lo, s0
	s_delay_alu instid0(SALU_CYCLE_1)
	s_mov_b32 s1, exec_lo
	s_waitcnt lgkmcnt(0)
	s_waitcnt_vscnt null, 0x0
	s_barrier
	buffer_gl0_inv
	v_cmpx_lt_u32_e64 v0, v19
	s_cbranch_execz .LBB1301_447
; %bb.445:
	v_dual_mov_b32 v2, 0 :: v_dual_mov_b32 v1, v20
	s_lshl_b64 s[2:3], s[12:13], 3
	v_mov_b32_e32 v3, v0
	s_delay_alu instid0(VALU_DEP_2) | instskip(NEXT) | instid1(VALU_DEP_1)
	v_lshlrev_b64 v[1:2], 3, v[1:2]
	v_add_co_u32 v1, vcc_lo, s2, v1
	s_delay_alu instid0(VALU_DEP_2) | instskip(SKIP_1) | instid1(VALU_DEP_2)
	v_add_co_ci_u32_e32 v2, vcc_lo, s3, v2, vcc_lo
	s_mov_b32 s2, 0
	v_add_co_u32 v1, vcc_lo, s8, v1
	s_delay_alu instid0(VALU_DEP_2) | instskip(NEXT) | instid1(VALU_DEP_2)
	v_add_co_ci_u32_e32 v2, vcc_lo, s9, v2, vcc_lo
	v_add_co_u32 v1, vcc_lo, v1, v39
	s_delay_alu instid0(VALU_DEP_2)
	v_add_co_ci_u32_e32 v2, vcc_lo, 0, v2, vcc_lo
	.p2align	6
.LBB1301_446:                           ; =>This Inner Loop Header: Depth=1
	ds_load_b64 v[4:5], v39
	v_add_nc_u32_e32 v3, 0x200, v3
	v_add_nc_u32_e32 v39, 0x1000, v39
	s_delay_alu instid0(VALU_DEP_2) | instskip(SKIP_4) | instid1(VALU_DEP_1)
	v_cmp_ge_u32_e32 vcc_lo, v3, v19
	s_or_b32 s2, vcc_lo, s2
	s_waitcnt lgkmcnt(0)
	global_store_b64 v[1:2], v[4:5], off
	v_add_co_u32 v1, s0, 0x1000, v1
	v_add_co_ci_u32_e64 v2, s0, 0, v2, s0
	s_and_not1_b32 exec_lo, exec_lo, s2
	s_cbranch_execnz .LBB1301_446
.LBB1301_447:
	s_or_b32 exec_lo, exec_lo, s1
	v_cmp_eq_u32_e32 vcc_lo, 0, v0
	s_and_b32 s0, vcc_lo, s14
	s_delay_alu instid0(SALU_CYCLE_1)
	s_and_saveexec_b32 s1, s0
	s_cbranch_execz .LBB1301_402
.LBB1301_448:
	v_add_co_u32 v0, s0, s12, v19
	s_delay_alu instid0(VALU_DEP_1) | instskip(SKIP_1) | instid1(VALU_DEP_3)
	v_add_co_ci_u32_e64 v1, null, s13, 0, s0
	v_mov_b32_e32 v2, 0
	v_add_co_u32 v0, vcc_lo, v0, v20
	s_delay_alu instid0(VALU_DEP_3)
	v_add_co_ci_u32_e32 v1, vcc_lo, 0, v1, vcc_lo
	global_store_b64 v2, v[0:1], s[16:17]
	s_nop 0
	s_sendmsg sendmsg(MSG_DEALLOC_VGPRS)
	s_endpgm
	.section	.rodata,"a",@progbits
	.p2align	6, 0x0
	.amdhsa_kernel _ZN7rocprim17ROCPRIM_400000_NS6detail17trampoline_kernelINS0_14default_configENS1_25partition_config_selectorILNS1_17partition_subalgoE8ElNS0_10empty_typeEbEEZZNS1_14partition_implILS5_8ELb0ES3_jPlPS6_PKS6_NS0_5tupleIJS9_S6_EEENSD_IJSA_SA_EEENS0_18inequality_wrapperIZN2at6native12_GLOBAL__N_124unique_dim_cuda_templateIN3c104HalfEEESt5tupleIJNSH_6TensorESO_SO_EERKSO_lbbbEUlllE0_EEPmJS6_EEE10hipError_tPvRmT3_T4_T5_T6_T7_T9_mT8_P12ihipStream_tbDpT10_ENKUlT_T0_E_clISt17integral_constantIbLb0EES1E_EEDaS19_S1A_EUlS19_E_NS1_11comp_targetILNS1_3genE9ELNS1_11target_archE1100ELNS1_3gpuE3ELNS1_3repE0EEENS1_30default_config_static_selectorELNS0_4arch9wavefront6targetE0EEEvT1_
		.amdhsa_group_segment_fixed_size 33804
		.amdhsa_private_segment_fixed_size 0
		.amdhsa_kernarg_size 120
		.amdhsa_user_sgpr_count 15
		.amdhsa_user_sgpr_dispatch_ptr 0
		.amdhsa_user_sgpr_queue_ptr 0
		.amdhsa_user_sgpr_kernarg_segment_ptr 1
		.amdhsa_user_sgpr_dispatch_id 0
		.amdhsa_user_sgpr_private_segment_size 0
		.amdhsa_wavefront_size32 1
		.amdhsa_uses_dynamic_stack 0
		.amdhsa_enable_private_segment 0
		.amdhsa_system_sgpr_workgroup_id_x 1
		.amdhsa_system_sgpr_workgroup_id_y 0
		.amdhsa_system_sgpr_workgroup_id_z 0
		.amdhsa_system_sgpr_workgroup_info 0
		.amdhsa_system_vgpr_workitem_id 0
		.amdhsa_next_free_vgpr 52
		.amdhsa_next_free_sgpr 36
		.amdhsa_reserve_vcc 1
		.amdhsa_float_round_mode_32 0
		.amdhsa_float_round_mode_16_64 0
		.amdhsa_float_denorm_mode_32 3
		.amdhsa_float_denorm_mode_16_64 3
		.amdhsa_dx10_clamp 1
		.amdhsa_ieee_mode 1
		.amdhsa_fp16_overflow 0
		.amdhsa_workgroup_processor_mode 1
		.amdhsa_memory_ordered 1
		.amdhsa_forward_progress 0
		.amdhsa_shared_vgpr_count 0
		.amdhsa_exception_fp_ieee_invalid_op 0
		.amdhsa_exception_fp_denorm_src 0
		.amdhsa_exception_fp_ieee_div_zero 0
		.amdhsa_exception_fp_ieee_overflow 0
		.amdhsa_exception_fp_ieee_underflow 0
		.amdhsa_exception_fp_ieee_inexact 0
		.amdhsa_exception_int_div_zero 0
	.end_amdhsa_kernel
	.section	.text._ZN7rocprim17ROCPRIM_400000_NS6detail17trampoline_kernelINS0_14default_configENS1_25partition_config_selectorILNS1_17partition_subalgoE8ElNS0_10empty_typeEbEEZZNS1_14partition_implILS5_8ELb0ES3_jPlPS6_PKS6_NS0_5tupleIJS9_S6_EEENSD_IJSA_SA_EEENS0_18inequality_wrapperIZN2at6native12_GLOBAL__N_124unique_dim_cuda_templateIN3c104HalfEEESt5tupleIJNSH_6TensorESO_SO_EERKSO_lbbbEUlllE0_EEPmJS6_EEE10hipError_tPvRmT3_T4_T5_T6_T7_T9_mT8_P12ihipStream_tbDpT10_ENKUlT_T0_E_clISt17integral_constantIbLb0EES1E_EEDaS19_S1A_EUlS19_E_NS1_11comp_targetILNS1_3genE9ELNS1_11target_archE1100ELNS1_3gpuE3ELNS1_3repE0EEENS1_30default_config_static_selectorELNS0_4arch9wavefront6targetE0EEEvT1_,"axG",@progbits,_ZN7rocprim17ROCPRIM_400000_NS6detail17trampoline_kernelINS0_14default_configENS1_25partition_config_selectorILNS1_17partition_subalgoE8ElNS0_10empty_typeEbEEZZNS1_14partition_implILS5_8ELb0ES3_jPlPS6_PKS6_NS0_5tupleIJS9_S6_EEENSD_IJSA_SA_EEENS0_18inequality_wrapperIZN2at6native12_GLOBAL__N_124unique_dim_cuda_templateIN3c104HalfEEESt5tupleIJNSH_6TensorESO_SO_EERKSO_lbbbEUlllE0_EEPmJS6_EEE10hipError_tPvRmT3_T4_T5_T6_T7_T9_mT8_P12ihipStream_tbDpT10_ENKUlT_T0_E_clISt17integral_constantIbLb0EES1E_EEDaS19_S1A_EUlS19_E_NS1_11comp_targetILNS1_3genE9ELNS1_11target_archE1100ELNS1_3gpuE3ELNS1_3repE0EEENS1_30default_config_static_selectorELNS0_4arch9wavefront6targetE0EEEvT1_,comdat
.Lfunc_end1301:
	.size	_ZN7rocprim17ROCPRIM_400000_NS6detail17trampoline_kernelINS0_14default_configENS1_25partition_config_selectorILNS1_17partition_subalgoE8ElNS0_10empty_typeEbEEZZNS1_14partition_implILS5_8ELb0ES3_jPlPS6_PKS6_NS0_5tupleIJS9_S6_EEENSD_IJSA_SA_EEENS0_18inequality_wrapperIZN2at6native12_GLOBAL__N_124unique_dim_cuda_templateIN3c104HalfEEESt5tupleIJNSH_6TensorESO_SO_EERKSO_lbbbEUlllE0_EEPmJS6_EEE10hipError_tPvRmT3_T4_T5_T6_T7_T9_mT8_P12ihipStream_tbDpT10_ENKUlT_T0_E_clISt17integral_constantIbLb0EES1E_EEDaS19_S1A_EUlS19_E_NS1_11comp_targetILNS1_3genE9ELNS1_11target_archE1100ELNS1_3gpuE3ELNS1_3repE0EEENS1_30default_config_static_selectorELNS0_4arch9wavefront6targetE0EEEvT1_, .Lfunc_end1301-_ZN7rocprim17ROCPRIM_400000_NS6detail17trampoline_kernelINS0_14default_configENS1_25partition_config_selectorILNS1_17partition_subalgoE8ElNS0_10empty_typeEbEEZZNS1_14partition_implILS5_8ELb0ES3_jPlPS6_PKS6_NS0_5tupleIJS9_S6_EEENSD_IJSA_SA_EEENS0_18inequality_wrapperIZN2at6native12_GLOBAL__N_124unique_dim_cuda_templateIN3c104HalfEEESt5tupleIJNSH_6TensorESO_SO_EERKSO_lbbbEUlllE0_EEPmJS6_EEE10hipError_tPvRmT3_T4_T5_T6_T7_T9_mT8_P12ihipStream_tbDpT10_ENKUlT_T0_E_clISt17integral_constantIbLb0EES1E_EEDaS19_S1A_EUlS19_E_NS1_11comp_targetILNS1_3genE9ELNS1_11target_archE1100ELNS1_3gpuE3ELNS1_3repE0EEENS1_30default_config_static_selectorELNS0_4arch9wavefront6targetE0EEEvT1_
                                        ; -- End function
	.section	.AMDGPU.csdata,"",@progbits
; Kernel info:
; codeLenInByte = 18104
; NumSgprs: 38
; NumVgprs: 52
; ScratchSize: 0
; MemoryBound: 0
; FloatMode: 240
; IeeeMode: 1
; LDSByteSize: 33804 bytes/workgroup (compile time only)
; SGPRBlocks: 4
; VGPRBlocks: 6
; NumSGPRsForWavesPerEU: 38
; NumVGPRsForWavesPerEU: 52
; Occupancy: 12
; WaveLimiterHint : 1
; COMPUTE_PGM_RSRC2:SCRATCH_EN: 0
; COMPUTE_PGM_RSRC2:USER_SGPR: 15
; COMPUTE_PGM_RSRC2:TRAP_HANDLER: 0
; COMPUTE_PGM_RSRC2:TGID_X_EN: 1
; COMPUTE_PGM_RSRC2:TGID_Y_EN: 0
; COMPUTE_PGM_RSRC2:TGID_Z_EN: 0
; COMPUTE_PGM_RSRC2:TIDIG_COMP_CNT: 0
	.section	.text._ZN7rocprim17ROCPRIM_400000_NS6detail17trampoline_kernelINS0_14default_configENS1_25partition_config_selectorILNS1_17partition_subalgoE8ElNS0_10empty_typeEbEEZZNS1_14partition_implILS5_8ELb0ES3_jPlPS6_PKS6_NS0_5tupleIJS9_S6_EEENSD_IJSA_SA_EEENS0_18inequality_wrapperIZN2at6native12_GLOBAL__N_124unique_dim_cuda_templateIN3c104HalfEEESt5tupleIJNSH_6TensorESO_SO_EERKSO_lbbbEUlllE0_EEPmJS6_EEE10hipError_tPvRmT3_T4_T5_T6_T7_T9_mT8_P12ihipStream_tbDpT10_ENKUlT_T0_E_clISt17integral_constantIbLb0EES1E_EEDaS19_S1A_EUlS19_E_NS1_11comp_targetILNS1_3genE8ELNS1_11target_archE1030ELNS1_3gpuE2ELNS1_3repE0EEENS1_30default_config_static_selectorELNS0_4arch9wavefront6targetE0EEEvT1_,"axG",@progbits,_ZN7rocprim17ROCPRIM_400000_NS6detail17trampoline_kernelINS0_14default_configENS1_25partition_config_selectorILNS1_17partition_subalgoE8ElNS0_10empty_typeEbEEZZNS1_14partition_implILS5_8ELb0ES3_jPlPS6_PKS6_NS0_5tupleIJS9_S6_EEENSD_IJSA_SA_EEENS0_18inequality_wrapperIZN2at6native12_GLOBAL__N_124unique_dim_cuda_templateIN3c104HalfEEESt5tupleIJNSH_6TensorESO_SO_EERKSO_lbbbEUlllE0_EEPmJS6_EEE10hipError_tPvRmT3_T4_T5_T6_T7_T9_mT8_P12ihipStream_tbDpT10_ENKUlT_T0_E_clISt17integral_constantIbLb0EES1E_EEDaS19_S1A_EUlS19_E_NS1_11comp_targetILNS1_3genE8ELNS1_11target_archE1030ELNS1_3gpuE2ELNS1_3repE0EEENS1_30default_config_static_selectorELNS0_4arch9wavefront6targetE0EEEvT1_,comdat
	.globl	_ZN7rocprim17ROCPRIM_400000_NS6detail17trampoline_kernelINS0_14default_configENS1_25partition_config_selectorILNS1_17partition_subalgoE8ElNS0_10empty_typeEbEEZZNS1_14partition_implILS5_8ELb0ES3_jPlPS6_PKS6_NS0_5tupleIJS9_S6_EEENSD_IJSA_SA_EEENS0_18inequality_wrapperIZN2at6native12_GLOBAL__N_124unique_dim_cuda_templateIN3c104HalfEEESt5tupleIJNSH_6TensorESO_SO_EERKSO_lbbbEUlllE0_EEPmJS6_EEE10hipError_tPvRmT3_T4_T5_T6_T7_T9_mT8_P12ihipStream_tbDpT10_ENKUlT_T0_E_clISt17integral_constantIbLb0EES1E_EEDaS19_S1A_EUlS19_E_NS1_11comp_targetILNS1_3genE8ELNS1_11target_archE1030ELNS1_3gpuE2ELNS1_3repE0EEENS1_30default_config_static_selectorELNS0_4arch9wavefront6targetE0EEEvT1_ ; -- Begin function _ZN7rocprim17ROCPRIM_400000_NS6detail17trampoline_kernelINS0_14default_configENS1_25partition_config_selectorILNS1_17partition_subalgoE8ElNS0_10empty_typeEbEEZZNS1_14partition_implILS5_8ELb0ES3_jPlPS6_PKS6_NS0_5tupleIJS9_S6_EEENSD_IJSA_SA_EEENS0_18inequality_wrapperIZN2at6native12_GLOBAL__N_124unique_dim_cuda_templateIN3c104HalfEEESt5tupleIJNSH_6TensorESO_SO_EERKSO_lbbbEUlllE0_EEPmJS6_EEE10hipError_tPvRmT3_T4_T5_T6_T7_T9_mT8_P12ihipStream_tbDpT10_ENKUlT_T0_E_clISt17integral_constantIbLb0EES1E_EEDaS19_S1A_EUlS19_E_NS1_11comp_targetILNS1_3genE8ELNS1_11target_archE1030ELNS1_3gpuE2ELNS1_3repE0EEENS1_30default_config_static_selectorELNS0_4arch9wavefront6targetE0EEEvT1_
	.p2align	8
	.type	_ZN7rocprim17ROCPRIM_400000_NS6detail17trampoline_kernelINS0_14default_configENS1_25partition_config_selectorILNS1_17partition_subalgoE8ElNS0_10empty_typeEbEEZZNS1_14partition_implILS5_8ELb0ES3_jPlPS6_PKS6_NS0_5tupleIJS9_S6_EEENSD_IJSA_SA_EEENS0_18inequality_wrapperIZN2at6native12_GLOBAL__N_124unique_dim_cuda_templateIN3c104HalfEEESt5tupleIJNSH_6TensorESO_SO_EERKSO_lbbbEUlllE0_EEPmJS6_EEE10hipError_tPvRmT3_T4_T5_T6_T7_T9_mT8_P12ihipStream_tbDpT10_ENKUlT_T0_E_clISt17integral_constantIbLb0EES1E_EEDaS19_S1A_EUlS19_E_NS1_11comp_targetILNS1_3genE8ELNS1_11target_archE1030ELNS1_3gpuE2ELNS1_3repE0EEENS1_30default_config_static_selectorELNS0_4arch9wavefront6targetE0EEEvT1_,@function
_ZN7rocprim17ROCPRIM_400000_NS6detail17trampoline_kernelINS0_14default_configENS1_25partition_config_selectorILNS1_17partition_subalgoE8ElNS0_10empty_typeEbEEZZNS1_14partition_implILS5_8ELb0ES3_jPlPS6_PKS6_NS0_5tupleIJS9_S6_EEENSD_IJSA_SA_EEENS0_18inequality_wrapperIZN2at6native12_GLOBAL__N_124unique_dim_cuda_templateIN3c104HalfEEESt5tupleIJNSH_6TensorESO_SO_EERKSO_lbbbEUlllE0_EEPmJS6_EEE10hipError_tPvRmT3_T4_T5_T6_T7_T9_mT8_P12ihipStream_tbDpT10_ENKUlT_T0_E_clISt17integral_constantIbLb0EES1E_EEDaS19_S1A_EUlS19_E_NS1_11comp_targetILNS1_3genE8ELNS1_11target_archE1030ELNS1_3gpuE2ELNS1_3repE0EEENS1_30default_config_static_selectorELNS0_4arch9wavefront6targetE0EEEvT1_: ; @_ZN7rocprim17ROCPRIM_400000_NS6detail17trampoline_kernelINS0_14default_configENS1_25partition_config_selectorILNS1_17partition_subalgoE8ElNS0_10empty_typeEbEEZZNS1_14partition_implILS5_8ELb0ES3_jPlPS6_PKS6_NS0_5tupleIJS9_S6_EEENSD_IJSA_SA_EEENS0_18inequality_wrapperIZN2at6native12_GLOBAL__N_124unique_dim_cuda_templateIN3c104HalfEEESt5tupleIJNSH_6TensorESO_SO_EERKSO_lbbbEUlllE0_EEPmJS6_EEE10hipError_tPvRmT3_T4_T5_T6_T7_T9_mT8_P12ihipStream_tbDpT10_ENKUlT_T0_E_clISt17integral_constantIbLb0EES1E_EEDaS19_S1A_EUlS19_E_NS1_11comp_targetILNS1_3genE8ELNS1_11target_archE1030ELNS1_3gpuE2ELNS1_3repE0EEENS1_30default_config_static_selectorELNS0_4arch9wavefront6targetE0EEEvT1_
; %bb.0:
	.section	.rodata,"a",@progbits
	.p2align	6, 0x0
	.amdhsa_kernel _ZN7rocprim17ROCPRIM_400000_NS6detail17trampoline_kernelINS0_14default_configENS1_25partition_config_selectorILNS1_17partition_subalgoE8ElNS0_10empty_typeEbEEZZNS1_14partition_implILS5_8ELb0ES3_jPlPS6_PKS6_NS0_5tupleIJS9_S6_EEENSD_IJSA_SA_EEENS0_18inequality_wrapperIZN2at6native12_GLOBAL__N_124unique_dim_cuda_templateIN3c104HalfEEESt5tupleIJNSH_6TensorESO_SO_EERKSO_lbbbEUlllE0_EEPmJS6_EEE10hipError_tPvRmT3_T4_T5_T6_T7_T9_mT8_P12ihipStream_tbDpT10_ENKUlT_T0_E_clISt17integral_constantIbLb0EES1E_EEDaS19_S1A_EUlS19_E_NS1_11comp_targetILNS1_3genE8ELNS1_11target_archE1030ELNS1_3gpuE2ELNS1_3repE0EEENS1_30default_config_static_selectorELNS0_4arch9wavefront6targetE0EEEvT1_
		.amdhsa_group_segment_fixed_size 0
		.amdhsa_private_segment_fixed_size 0
		.amdhsa_kernarg_size 120
		.amdhsa_user_sgpr_count 15
		.amdhsa_user_sgpr_dispatch_ptr 0
		.amdhsa_user_sgpr_queue_ptr 0
		.amdhsa_user_sgpr_kernarg_segment_ptr 1
		.amdhsa_user_sgpr_dispatch_id 0
		.amdhsa_user_sgpr_private_segment_size 0
		.amdhsa_wavefront_size32 1
		.amdhsa_uses_dynamic_stack 0
		.amdhsa_enable_private_segment 0
		.amdhsa_system_sgpr_workgroup_id_x 1
		.amdhsa_system_sgpr_workgroup_id_y 0
		.amdhsa_system_sgpr_workgroup_id_z 0
		.amdhsa_system_sgpr_workgroup_info 0
		.amdhsa_system_vgpr_workitem_id 0
		.amdhsa_next_free_vgpr 1
		.amdhsa_next_free_sgpr 1
		.amdhsa_reserve_vcc 0
		.amdhsa_float_round_mode_32 0
		.amdhsa_float_round_mode_16_64 0
		.amdhsa_float_denorm_mode_32 3
		.amdhsa_float_denorm_mode_16_64 3
		.amdhsa_dx10_clamp 1
		.amdhsa_ieee_mode 1
		.amdhsa_fp16_overflow 0
		.amdhsa_workgroup_processor_mode 1
		.amdhsa_memory_ordered 1
		.amdhsa_forward_progress 0
		.amdhsa_shared_vgpr_count 0
		.amdhsa_exception_fp_ieee_invalid_op 0
		.amdhsa_exception_fp_denorm_src 0
		.amdhsa_exception_fp_ieee_div_zero 0
		.amdhsa_exception_fp_ieee_overflow 0
		.amdhsa_exception_fp_ieee_underflow 0
		.amdhsa_exception_fp_ieee_inexact 0
		.amdhsa_exception_int_div_zero 0
	.end_amdhsa_kernel
	.section	.text._ZN7rocprim17ROCPRIM_400000_NS6detail17trampoline_kernelINS0_14default_configENS1_25partition_config_selectorILNS1_17partition_subalgoE8ElNS0_10empty_typeEbEEZZNS1_14partition_implILS5_8ELb0ES3_jPlPS6_PKS6_NS0_5tupleIJS9_S6_EEENSD_IJSA_SA_EEENS0_18inequality_wrapperIZN2at6native12_GLOBAL__N_124unique_dim_cuda_templateIN3c104HalfEEESt5tupleIJNSH_6TensorESO_SO_EERKSO_lbbbEUlllE0_EEPmJS6_EEE10hipError_tPvRmT3_T4_T5_T6_T7_T9_mT8_P12ihipStream_tbDpT10_ENKUlT_T0_E_clISt17integral_constantIbLb0EES1E_EEDaS19_S1A_EUlS19_E_NS1_11comp_targetILNS1_3genE8ELNS1_11target_archE1030ELNS1_3gpuE2ELNS1_3repE0EEENS1_30default_config_static_selectorELNS0_4arch9wavefront6targetE0EEEvT1_,"axG",@progbits,_ZN7rocprim17ROCPRIM_400000_NS6detail17trampoline_kernelINS0_14default_configENS1_25partition_config_selectorILNS1_17partition_subalgoE8ElNS0_10empty_typeEbEEZZNS1_14partition_implILS5_8ELb0ES3_jPlPS6_PKS6_NS0_5tupleIJS9_S6_EEENSD_IJSA_SA_EEENS0_18inequality_wrapperIZN2at6native12_GLOBAL__N_124unique_dim_cuda_templateIN3c104HalfEEESt5tupleIJNSH_6TensorESO_SO_EERKSO_lbbbEUlllE0_EEPmJS6_EEE10hipError_tPvRmT3_T4_T5_T6_T7_T9_mT8_P12ihipStream_tbDpT10_ENKUlT_T0_E_clISt17integral_constantIbLb0EES1E_EEDaS19_S1A_EUlS19_E_NS1_11comp_targetILNS1_3genE8ELNS1_11target_archE1030ELNS1_3gpuE2ELNS1_3repE0EEENS1_30default_config_static_selectorELNS0_4arch9wavefront6targetE0EEEvT1_,comdat
.Lfunc_end1302:
	.size	_ZN7rocprim17ROCPRIM_400000_NS6detail17trampoline_kernelINS0_14default_configENS1_25partition_config_selectorILNS1_17partition_subalgoE8ElNS0_10empty_typeEbEEZZNS1_14partition_implILS5_8ELb0ES3_jPlPS6_PKS6_NS0_5tupleIJS9_S6_EEENSD_IJSA_SA_EEENS0_18inequality_wrapperIZN2at6native12_GLOBAL__N_124unique_dim_cuda_templateIN3c104HalfEEESt5tupleIJNSH_6TensorESO_SO_EERKSO_lbbbEUlllE0_EEPmJS6_EEE10hipError_tPvRmT3_T4_T5_T6_T7_T9_mT8_P12ihipStream_tbDpT10_ENKUlT_T0_E_clISt17integral_constantIbLb0EES1E_EEDaS19_S1A_EUlS19_E_NS1_11comp_targetILNS1_3genE8ELNS1_11target_archE1030ELNS1_3gpuE2ELNS1_3repE0EEENS1_30default_config_static_selectorELNS0_4arch9wavefront6targetE0EEEvT1_, .Lfunc_end1302-_ZN7rocprim17ROCPRIM_400000_NS6detail17trampoline_kernelINS0_14default_configENS1_25partition_config_selectorILNS1_17partition_subalgoE8ElNS0_10empty_typeEbEEZZNS1_14partition_implILS5_8ELb0ES3_jPlPS6_PKS6_NS0_5tupleIJS9_S6_EEENSD_IJSA_SA_EEENS0_18inequality_wrapperIZN2at6native12_GLOBAL__N_124unique_dim_cuda_templateIN3c104HalfEEESt5tupleIJNSH_6TensorESO_SO_EERKSO_lbbbEUlllE0_EEPmJS6_EEE10hipError_tPvRmT3_T4_T5_T6_T7_T9_mT8_P12ihipStream_tbDpT10_ENKUlT_T0_E_clISt17integral_constantIbLb0EES1E_EEDaS19_S1A_EUlS19_E_NS1_11comp_targetILNS1_3genE8ELNS1_11target_archE1030ELNS1_3gpuE2ELNS1_3repE0EEENS1_30default_config_static_selectorELNS0_4arch9wavefront6targetE0EEEvT1_
                                        ; -- End function
	.section	.AMDGPU.csdata,"",@progbits
; Kernel info:
; codeLenInByte = 0
; NumSgprs: 0
; NumVgprs: 0
; ScratchSize: 0
; MemoryBound: 0
; FloatMode: 240
; IeeeMode: 1
; LDSByteSize: 0 bytes/workgroup (compile time only)
; SGPRBlocks: 0
; VGPRBlocks: 0
; NumSGPRsForWavesPerEU: 1
; NumVGPRsForWavesPerEU: 1
; Occupancy: 16
; WaveLimiterHint : 0
; COMPUTE_PGM_RSRC2:SCRATCH_EN: 0
; COMPUTE_PGM_RSRC2:USER_SGPR: 15
; COMPUTE_PGM_RSRC2:TRAP_HANDLER: 0
; COMPUTE_PGM_RSRC2:TGID_X_EN: 1
; COMPUTE_PGM_RSRC2:TGID_Y_EN: 0
; COMPUTE_PGM_RSRC2:TGID_Z_EN: 0
; COMPUTE_PGM_RSRC2:TIDIG_COMP_CNT: 0
	.section	.text._ZN7rocprim17ROCPRIM_400000_NS6detail17trampoline_kernelINS0_14default_configENS1_25partition_config_selectorILNS1_17partition_subalgoE8ElNS0_10empty_typeEbEEZZNS1_14partition_implILS5_8ELb0ES3_jPlPS6_PKS6_NS0_5tupleIJS9_S6_EEENSD_IJSA_SA_EEENS0_18inequality_wrapperIZN2at6native12_GLOBAL__N_124unique_dim_cuda_templateIN3c104HalfEEESt5tupleIJNSH_6TensorESO_SO_EERKSO_lbbbEUlllE0_EEPmJS6_EEE10hipError_tPvRmT3_T4_T5_T6_T7_T9_mT8_P12ihipStream_tbDpT10_ENKUlT_T0_E_clISt17integral_constantIbLb1EES1E_EEDaS19_S1A_EUlS19_E_NS1_11comp_targetILNS1_3genE0ELNS1_11target_archE4294967295ELNS1_3gpuE0ELNS1_3repE0EEENS1_30default_config_static_selectorELNS0_4arch9wavefront6targetE0EEEvT1_,"axG",@progbits,_ZN7rocprim17ROCPRIM_400000_NS6detail17trampoline_kernelINS0_14default_configENS1_25partition_config_selectorILNS1_17partition_subalgoE8ElNS0_10empty_typeEbEEZZNS1_14partition_implILS5_8ELb0ES3_jPlPS6_PKS6_NS0_5tupleIJS9_S6_EEENSD_IJSA_SA_EEENS0_18inequality_wrapperIZN2at6native12_GLOBAL__N_124unique_dim_cuda_templateIN3c104HalfEEESt5tupleIJNSH_6TensorESO_SO_EERKSO_lbbbEUlllE0_EEPmJS6_EEE10hipError_tPvRmT3_T4_T5_T6_T7_T9_mT8_P12ihipStream_tbDpT10_ENKUlT_T0_E_clISt17integral_constantIbLb1EES1E_EEDaS19_S1A_EUlS19_E_NS1_11comp_targetILNS1_3genE0ELNS1_11target_archE4294967295ELNS1_3gpuE0ELNS1_3repE0EEENS1_30default_config_static_selectorELNS0_4arch9wavefront6targetE0EEEvT1_,comdat
	.globl	_ZN7rocprim17ROCPRIM_400000_NS6detail17trampoline_kernelINS0_14default_configENS1_25partition_config_selectorILNS1_17partition_subalgoE8ElNS0_10empty_typeEbEEZZNS1_14partition_implILS5_8ELb0ES3_jPlPS6_PKS6_NS0_5tupleIJS9_S6_EEENSD_IJSA_SA_EEENS0_18inequality_wrapperIZN2at6native12_GLOBAL__N_124unique_dim_cuda_templateIN3c104HalfEEESt5tupleIJNSH_6TensorESO_SO_EERKSO_lbbbEUlllE0_EEPmJS6_EEE10hipError_tPvRmT3_T4_T5_T6_T7_T9_mT8_P12ihipStream_tbDpT10_ENKUlT_T0_E_clISt17integral_constantIbLb1EES1E_EEDaS19_S1A_EUlS19_E_NS1_11comp_targetILNS1_3genE0ELNS1_11target_archE4294967295ELNS1_3gpuE0ELNS1_3repE0EEENS1_30default_config_static_selectorELNS0_4arch9wavefront6targetE0EEEvT1_ ; -- Begin function _ZN7rocprim17ROCPRIM_400000_NS6detail17trampoline_kernelINS0_14default_configENS1_25partition_config_selectorILNS1_17partition_subalgoE8ElNS0_10empty_typeEbEEZZNS1_14partition_implILS5_8ELb0ES3_jPlPS6_PKS6_NS0_5tupleIJS9_S6_EEENSD_IJSA_SA_EEENS0_18inequality_wrapperIZN2at6native12_GLOBAL__N_124unique_dim_cuda_templateIN3c104HalfEEESt5tupleIJNSH_6TensorESO_SO_EERKSO_lbbbEUlllE0_EEPmJS6_EEE10hipError_tPvRmT3_T4_T5_T6_T7_T9_mT8_P12ihipStream_tbDpT10_ENKUlT_T0_E_clISt17integral_constantIbLb1EES1E_EEDaS19_S1A_EUlS19_E_NS1_11comp_targetILNS1_3genE0ELNS1_11target_archE4294967295ELNS1_3gpuE0ELNS1_3repE0EEENS1_30default_config_static_selectorELNS0_4arch9wavefront6targetE0EEEvT1_
	.p2align	8
	.type	_ZN7rocprim17ROCPRIM_400000_NS6detail17trampoline_kernelINS0_14default_configENS1_25partition_config_selectorILNS1_17partition_subalgoE8ElNS0_10empty_typeEbEEZZNS1_14partition_implILS5_8ELb0ES3_jPlPS6_PKS6_NS0_5tupleIJS9_S6_EEENSD_IJSA_SA_EEENS0_18inequality_wrapperIZN2at6native12_GLOBAL__N_124unique_dim_cuda_templateIN3c104HalfEEESt5tupleIJNSH_6TensorESO_SO_EERKSO_lbbbEUlllE0_EEPmJS6_EEE10hipError_tPvRmT3_T4_T5_T6_T7_T9_mT8_P12ihipStream_tbDpT10_ENKUlT_T0_E_clISt17integral_constantIbLb1EES1E_EEDaS19_S1A_EUlS19_E_NS1_11comp_targetILNS1_3genE0ELNS1_11target_archE4294967295ELNS1_3gpuE0ELNS1_3repE0EEENS1_30default_config_static_selectorELNS0_4arch9wavefront6targetE0EEEvT1_,@function
_ZN7rocprim17ROCPRIM_400000_NS6detail17trampoline_kernelINS0_14default_configENS1_25partition_config_selectorILNS1_17partition_subalgoE8ElNS0_10empty_typeEbEEZZNS1_14partition_implILS5_8ELb0ES3_jPlPS6_PKS6_NS0_5tupleIJS9_S6_EEENSD_IJSA_SA_EEENS0_18inequality_wrapperIZN2at6native12_GLOBAL__N_124unique_dim_cuda_templateIN3c104HalfEEESt5tupleIJNSH_6TensorESO_SO_EERKSO_lbbbEUlllE0_EEPmJS6_EEE10hipError_tPvRmT3_T4_T5_T6_T7_T9_mT8_P12ihipStream_tbDpT10_ENKUlT_T0_E_clISt17integral_constantIbLb1EES1E_EEDaS19_S1A_EUlS19_E_NS1_11comp_targetILNS1_3genE0ELNS1_11target_archE4294967295ELNS1_3gpuE0ELNS1_3repE0EEENS1_30default_config_static_selectorELNS0_4arch9wavefront6targetE0EEEvT1_: ; @_ZN7rocprim17ROCPRIM_400000_NS6detail17trampoline_kernelINS0_14default_configENS1_25partition_config_selectorILNS1_17partition_subalgoE8ElNS0_10empty_typeEbEEZZNS1_14partition_implILS5_8ELb0ES3_jPlPS6_PKS6_NS0_5tupleIJS9_S6_EEENSD_IJSA_SA_EEENS0_18inequality_wrapperIZN2at6native12_GLOBAL__N_124unique_dim_cuda_templateIN3c104HalfEEESt5tupleIJNSH_6TensorESO_SO_EERKSO_lbbbEUlllE0_EEPmJS6_EEE10hipError_tPvRmT3_T4_T5_T6_T7_T9_mT8_P12ihipStream_tbDpT10_ENKUlT_T0_E_clISt17integral_constantIbLb1EES1E_EEDaS19_S1A_EUlS19_E_NS1_11comp_targetILNS1_3genE0ELNS1_11target_archE4294967295ELNS1_3gpuE0ELNS1_3repE0EEENS1_30default_config_static_selectorELNS0_4arch9wavefront6targetE0EEEvT1_
; %bb.0:
	.section	.rodata,"a",@progbits
	.p2align	6, 0x0
	.amdhsa_kernel _ZN7rocprim17ROCPRIM_400000_NS6detail17trampoline_kernelINS0_14default_configENS1_25partition_config_selectorILNS1_17partition_subalgoE8ElNS0_10empty_typeEbEEZZNS1_14partition_implILS5_8ELb0ES3_jPlPS6_PKS6_NS0_5tupleIJS9_S6_EEENSD_IJSA_SA_EEENS0_18inequality_wrapperIZN2at6native12_GLOBAL__N_124unique_dim_cuda_templateIN3c104HalfEEESt5tupleIJNSH_6TensorESO_SO_EERKSO_lbbbEUlllE0_EEPmJS6_EEE10hipError_tPvRmT3_T4_T5_T6_T7_T9_mT8_P12ihipStream_tbDpT10_ENKUlT_T0_E_clISt17integral_constantIbLb1EES1E_EEDaS19_S1A_EUlS19_E_NS1_11comp_targetILNS1_3genE0ELNS1_11target_archE4294967295ELNS1_3gpuE0ELNS1_3repE0EEENS1_30default_config_static_selectorELNS0_4arch9wavefront6targetE0EEEvT1_
		.amdhsa_group_segment_fixed_size 0
		.amdhsa_private_segment_fixed_size 0
		.amdhsa_kernarg_size 136
		.amdhsa_user_sgpr_count 15
		.amdhsa_user_sgpr_dispatch_ptr 0
		.amdhsa_user_sgpr_queue_ptr 0
		.amdhsa_user_sgpr_kernarg_segment_ptr 1
		.amdhsa_user_sgpr_dispatch_id 0
		.amdhsa_user_sgpr_private_segment_size 0
		.amdhsa_wavefront_size32 1
		.amdhsa_uses_dynamic_stack 0
		.amdhsa_enable_private_segment 0
		.amdhsa_system_sgpr_workgroup_id_x 1
		.amdhsa_system_sgpr_workgroup_id_y 0
		.amdhsa_system_sgpr_workgroup_id_z 0
		.amdhsa_system_sgpr_workgroup_info 0
		.amdhsa_system_vgpr_workitem_id 0
		.amdhsa_next_free_vgpr 1
		.amdhsa_next_free_sgpr 1
		.amdhsa_reserve_vcc 0
		.amdhsa_float_round_mode_32 0
		.amdhsa_float_round_mode_16_64 0
		.amdhsa_float_denorm_mode_32 3
		.amdhsa_float_denorm_mode_16_64 3
		.amdhsa_dx10_clamp 1
		.amdhsa_ieee_mode 1
		.amdhsa_fp16_overflow 0
		.amdhsa_workgroup_processor_mode 1
		.amdhsa_memory_ordered 1
		.amdhsa_forward_progress 0
		.amdhsa_shared_vgpr_count 0
		.amdhsa_exception_fp_ieee_invalid_op 0
		.amdhsa_exception_fp_denorm_src 0
		.amdhsa_exception_fp_ieee_div_zero 0
		.amdhsa_exception_fp_ieee_overflow 0
		.amdhsa_exception_fp_ieee_underflow 0
		.amdhsa_exception_fp_ieee_inexact 0
		.amdhsa_exception_int_div_zero 0
	.end_amdhsa_kernel
	.section	.text._ZN7rocprim17ROCPRIM_400000_NS6detail17trampoline_kernelINS0_14default_configENS1_25partition_config_selectorILNS1_17partition_subalgoE8ElNS0_10empty_typeEbEEZZNS1_14partition_implILS5_8ELb0ES3_jPlPS6_PKS6_NS0_5tupleIJS9_S6_EEENSD_IJSA_SA_EEENS0_18inequality_wrapperIZN2at6native12_GLOBAL__N_124unique_dim_cuda_templateIN3c104HalfEEESt5tupleIJNSH_6TensorESO_SO_EERKSO_lbbbEUlllE0_EEPmJS6_EEE10hipError_tPvRmT3_T4_T5_T6_T7_T9_mT8_P12ihipStream_tbDpT10_ENKUlT_T0_E_clISt17integral_constantIbLb1EES1E_EEDaS19_S1A_EUlS19_E_NS1_11comp_targetILNS1_3genE0ELNS1_11target_archE4294967295ELNS1_3gpuE0ELNS1_3repE0EEENS1_30default_config_static_selectorELNS0_4arch9wavefront6targetE0EEEvT1_,"axG",@progbits,_ZN7rocprim17ROCPRIM_400000_NS6detail17trampoline_kernelINS0_14default_configENS1_25partition_config_selectorILNS1_17partition_subalgoE8ElNS0_10empty_typeEbEEZZNS1_14partition_implILS5_8ELb0ES3_jPlPS6_PKS6_NS0_5tupleIJS9_S6_EEENSD_IJSA_SA_EEENS0_18inequality_wrapperIZN2at6native12_GLOBAL__N_124unique_dim_cuda_templateIN3c104HalfEEESt5tupleIJNSH_6TensorESO_SO_EERKSO_lbbbEUlllE0_EEPmJS6_EEE10hipError_tPvRmT3_T4_T5_T6_T7_T9_mT8_P12ihipStream_tbDpT10_ENKUlT_T0_E_clISt17integral_constantIbLb1EES1E_EEDaS19_S1A_EUlS19_E_NS1_11comp_targetILNS1_3genE0ELNS1_11target_archE4294967295ELNS1_3gpuE0ELNS1_3repE0EEENS1_30default_config_static_selectorELNS0_4arch9wavefront6targetE0EEEvT1_,comdat
.Lfunc_end1303:
	.size	_ZN7rocprim17ROCPRIM_400000_NS6detail17trampoline_kernelINS0_14default_configENS1_25partition_config_selectorILNS1_17partition_subalgoE8ElNS0_10empty_typeEbEEZZNS1_14partition_implILS5_8ELb0ES3_jPlPS6_PKS6_NS0_5tupleIJS9_S6_EEENSD_IJSA_SA_EEENS0_18inequality_wrapperIZN2at6native12_GLOBAL__N_124unique_dim_cuda_templateIN3c104HalfEEESt5tupleIJNSH_6TensorESO_SO_EERKSO_lbbbEUlllE0_EEPmJS6_EEE10hipError_tPvRmT3_T4_T5_T6_T7_T9_mT8_P12ihipStream_tbDpT10_ENKUlT_T0_E_clISt17integral_constantIbLb1EES1E_EEDaS19_S1A_EUlS19_E_NS1_11comp_targetILNS1_3genE0ELNS1_11target_archE4294967295ELNS1_3gpuE0ELNS1_3repE0EEENS1_30default_config_static_selectorELNS0_4arch9wavefront6targetE0EEEvT1_, .Lfunc_end1303-_ZN7rocprim17ROCPRIM_400000_NS6detail17trampoline_kernelINS0_14default_configENS1_25partition_config_selectorILNS1_17partition_subalgoE8ElNS0_10empty_typeEbEEZZNS1_14partition_implILS5_8ELb0ES3_jPlPS6_PKS6_NS0_5tupleIJS9_S6_EEENSD_IJSA_SA_EEENS0_18inequality_wrapperIZN2at6native12_GLOBAL__N_124unique_dim_cuda_templateIN3c104HalfEEESt5tupleIJNSH_6TensorESO_SO_EERKSO_lbbbEUlllE0_EEPmJS6_EEE10hipError_tPvRmT3_T4_T5_T6_T7_T9_mT8_P12ihipStream_tbDpT10_ENKUlT_T0_E_clISt17integral_constantIbLb1EES1E_EEDaS19_S1A_EUlS19_E_NS1_11comp_targetILNS1_3genE0ELNS1_11target_archE4294967295ELNS1_3gpuE0ELNS1_3repE0EEENS1_30default_config_static_selectorELNS0_4arch9wavefront6targetE0EEEvT1_
                                        ; -- End function
	.section	.AMDGPU.csdata,"",@progbits
; Kernel info:
; codeLenInByte = 0
; NumSgprs: 0
; NumVgprs: 0
; ScratchSize: 0
; MemoryBound: 0
; FloatMode: 240
; IeeeMode: 1
; LDSByteSize: 0 bytes/workgroup (compile time only)
; SGPRBlocks: 0
; VGPRBlocks: 0
; NumSGPRsForWavesPerEU: 1
; NumVGPRsForWavesPerEU: 1
; Occupancy: 16
; WaveLimiterHint : 0
; COMPUTE_PGM_RSRC2:SCRATCH_EN: 0
; COMPUTE_PGM_RSRC2:USER_SGPR: 15
; COMPUTE_PGM_RSRC2:TRAP_HANDLER: 0
; COMPUTE_PGM_RSRC2:TGID_X_EN: 1
; COMPUTE_PGM_RSRC2:TGID_Y_EN: 0
; COMPUTE_PGM_RSRC2:TGID_Z_EN: 0
; COMPUTE_PGM_RSRC2:TIDIG_COMP_CNT: 0
	.section	.text._ZN7rocprim17ROCPRIM_400000_NS6detail17trampoline_kernelINS0_14default_configENS1_25partition_config_selectorILNS1_17partition_subalgoE8ElNS0_10empty_typeEbEEZZNS1_14partition_implILS5_8ELb0ES3_jPlPS6_PKS6_NS0_5tupleIJS9_S6_EEENSD_IJSA_SA_EEENS0_18inequality_wrapperIZN2at6native12_GLOBAL__N_124unique_dim_cuda_templateIN3c104HalfEEESt5tupleIJNSH_6TensorESO_SO_EERKSO_lbbbEUlllE0_EEPmJS6_EEE10hipError_tPvRmT3_T4_T5_T6_T7_T9_mT8_P12ihipStream_tbDpT10_ENKUlT_T0_E_clISt17integral_constantIbLb1EES1E_EEDaS19_S1A_EUlS19_E_NS1_11comp_targetILNS1_3genE5ELNS1_11target_archE942ELNS1_3gpuE9ELNS1_3repE0EEENS1_30default_config_static_selectorELNS0_4arch9wavefront6targetE0EEEvT1_,"axG",@progbits,_ZN7rocprim17ROCPRIM_400000_NS6detail17trampoline_kernelINS0_14default_configENS1_25partition_config_selectorILNS1_17partition_subalgoE8ElNS0_10empty_typeEbEEZZNS1_14partition_implILS5_8ELb0ES3_jPlPS6_PKS6_NS0_5tupleIJS9_S6_EEENSD_IJSA_SA_EEENS0_18inequality_wrapperIZN2at6native12_GLOBAL__N_124unique_dim_cuda_templateIN3c104HalfEEESt5tupleIJNSH_6TensorESO_SO_EERKSO_lbbbEUlllE0_EEPmJS6_EEE10hipError_tPvRmT3_T4_T5_T6_T7_T9_mT8_P12ihipStream_tbDpT10_ENKUlT_T0_E_clISt17integral_constantIbLb1EES1E_EEDaS19_S1A_EUlS19_E_NS1_11comp_targetILNS1_3genE5ELNS1_11target_archE942ELNS1_3gpuE9ELNS1_3repE0EEENS1_30default_config_static_selectorELNS0_4arch9wavefront6targetE0EEEvT1_,comdat
	.globl	_ZN7rocprim17ROCPRIM_400000_NS6detail17trampoline_kernelINS0_14default_configENS1_25partition_config_selectorILNS1_17partition_subalgoE8ElNS0_10empty_typeEbEEZZNS1_14partition_implILS5_8ELb0ES3_jPlPS6_PKS6_NS0_5tupleIJS9_S6_EEENSD_IJSA_SA_EEENS0_18inequality_wrapperIZN2at6native12_GLOBAL__N_124unique_dim_cuda_templateIN3c104HalfEEESt5tupleIJNSH_6TensorESO_SO_EERKSO_lbbbEUlllE0_EEPmJS6_EEE10hipError_tPvRmT3_T4_T5_T6_T7_T9_mT8_P12ihipStream_tbDpT10_ENKUlT_T0_E_clISt17integral_constantIbLb1EES1E_EEDaS19_S1A_EUlS19_E_NS1_11comp_targetILNS1_3genE5ELNS1_11target_archE942ELNS1_3gpuE9ELNS1_3repE0EEENS1_30default_config_static_selectorELNS0_4arch9wavefront6targetE0EEEvT1_ ; -- Begin function _ZN7rocprim17ROCPRIM_400000_NS6detail17trampoline_kernelINS0_14default_configENS1_25partition_config_selectorILNS1_17partition_subalgoE8ElNS0_10empty_typeEbEEZZNS1_14partition_implILS5_8ELb0ES3_jPlPS6_PKS6_NS0_5tupleIJS9_S6_EEENSD_IJSA_SA_EEENS0_18inequality_wrapperIZN2at6native12_GLOBAL__N_124unique_dim_cuda_templateIN3c104HalfEEESt5tupleIJNSH_6TensorESO_SO_EERKSO_lbbbEUlllE0_EEPmJS6_EEE10hipError_tPvRmT3_T4_T5_T6_T7_T9_mT8_P12ihipStream_tbDpT10_ENKUlT_T0_E_clISt17integral_constantIbLb1EES1E_EEDaS19_S1A_EUlS19_E_NS1_11comp_targetILNS1_3genE5ELNS1_11target_archE942ELNS1_3gpuE9ELNS1_3repE0EEENS1_30default_config_static_selectorELNS0_4arch9wavefront6targetE0EEEvT1_
	.p2align	8
	.type	_ZN7rocprim17ROCPRIM_400000_NS6detail17trampoline_kernelINS0_14default_configENS1_25partition_config_selectorILNS1_17partition_subalgoE8ElNS0_10empty_typeEbEEZZNS1_14partition_implILS5_8ELb0ES3_jPlPS6_PKS6_NS0_5tupleIJS9_S6_EEENSD_IJSA_SA_EEENS0_18inequality_wrapperIZN2at6native12_GLOBAL__N_124unique_dim_cuda_templateIN3c104HalfEEESt5tupleIJNSH_6TensorESO_SO_EERKSO_lbbbEUlllE0_EEPmJS6_EEE10hipError_tPvRmT3_T4_T5_T6_T7_T9_mT8_P12ihipStream_tbDpT10_ENKUlT_T0_E_clISt17integral_constantIbLb1EES1E_EEDaS19_S1A_EUlS19_E_NS1_11comp_targetILNS1_3genE5ELNS1_11target_archE942ELNS1_3gpuE9ELNS1_3repE0EEENS1_30default_config_static_selectorELNS0_4arch9wavefront6targetE0EEEvT1_,@function
_ZN7rocprim17ROCPRIM_400000_NS6detail17trampoline_kernelINS0_14default_configENS1_25partition_config_selectorILNS1_17partition_subalgoE8ElNS0_10empty_typeEbEEZZNS1_14partition_implILS5_8ELb0ES3_jPlPS6_PKS6_NS0_5tupleIJS9_S6_EEENSD_IJSA_SA_EEENS0_18inequality_wrapperIZN2at6native12_GLOBAL__N_124unique_dim_cuda_templateIN3c104HalfEEESt5tupleIJNSH_6TensorESO_SO_EERKSO_lbbbEUlllE0_EEPmJS6_EEE10hipError_tPvRmT3_T4_T5_T6_T7_T9_mT8_P12ihipStream_tbDpT10_ENKUlT_T0_E_clISt17integral_constantIbLb1EES1E_EEDaS19_S1A_EUlS19_E_NS1_11comp_targetILNS1_3genE5ELNS1_11target_archE942ELNS1_3gpuE9ELNS1_3repE0EEENS1_30default_config_static_selectorELNS0_4arch9wavefront6targetE0EEEvT1_: ; @_ZN7rocprim17ROCPRIM_400000_NS6detail17trampoline_kernelINS0_14default_configENS1_25partition_config_selectorILNS1_17partition_subalgoE8ElNS0_10empty_typeEbEEZZNS1_14partition_implILS5_8ELb0ES3_jPlPS6_PKS6_NS0_5tupleIJS9_S6_EEENSD_IJSA_SA_EEENS0_18inequality_wrapperIZN2at6native12_GLOBAL__N_124unique_dim_cuda_templateIN3c104HalfEEESt5tupleIJNSH_6TensorESO_SO_EERKSO_lbbbEUlllE0_EEPmJS6_EEE10hipError_tPvRmT3_T4_T5_T6_T7_T9_mT8_P12ihipStream_tbDpT10_ENKUlT_T0_E_clISt17integral_constantIbLb1EES1E_EEDaS19_S1A_EUlS19_E_NS1_11comp_targetILNS1_3genE5ELNS1_11target_archE942ELNS1_3gpuE9ELNS1_3repE0EEENS1_30default_config_static_selectorELNS0_4arch9wavefront6targetE0EEEvT1_
; %bb.0:
	.section	.rodata,"a",@progbits
	.p2align	6, 0x0
	.amdhsa_kernel _ZN7rocprim17ROCPRIM_400000_NS6detail17trampoline_kernelINS0_14default_configENS1_25partition_config_selectorILNS1_17partition_subalgoE8ElNS0_10empty_typeEbEEZZNS1_14partition_implILS5_8ELb0ES3_jPlPS6_PKS6_NS0_5tupleIJS9_S6_EEENSD_IJSA_SA_EEENS0_18inequality_wrapperIZN2at6native12_GLOBAL__N_124unique_dim_cuda_templateIN3c104HalfEEESt5tupleIJNSH_6TensorESO_SO_EERKSO_lbbbEUlllE0_EEPmJS6_EEE10hipError_tPvRmT3_T4_T5_T6_T7_T9_mT8_P12ihipStream_tbDpT10_ENKUlT_T0_E_clISt17integral_constantIbLb1EES1E_EEDaS19_S1A_EUlS19_E_NS1_11comp_targetILNS1_3genE5ELNS1_11target_archE942ELNS1_3gpuE9ELNS1_3repE0EEENS1_30default_config_static_selectorELNS0_4arch9wavefront6targetE0EEEvT1_
		.amdhsa_group_segment_fixed_size 0
		.amdhsa_private_segment_fixed_size 0
		.amdhsa_kernarg_size 136
		.amdhsa_user_sgpr_count 15
		.amdhsa_user_sgpr_dispatch_ptr 0
		.amdhsa_user_sgpr_queue_ptr 0
		.amdhsa_user_sgpr_kernarg_segment_ptr 1
		.amdhsa_user_sgpr_dispatch_id 0
		.amdhsa_user_sgpr_private_segment_size 0
		.amdhsa_wavefront_size32 1
		.amdhsa_uses_dynamic_stack 0
		.amdhsa_enable_private_segment 0
		.amdhsa_system_sgpr_workgroup_id_x 1
		.amdhsa_system_sgpr_workgroup_id_y 0
		.amdhsa_system_sgpr_workgroup_id_z 0
		.amdhsa_system_sgpr_workgroup_info 0
		.amdhsa_system_vgpr_workitem_id 0
		.amdhsa_next_free_vgpr 1
		.amdhsa_next_free_sgpr 1
		.amdhsa_reserve_vcc 0
		.amdhsa_float_round_mode_32 0
		.amdhsa_float_round_mode_16_64 0
		.amdhsa_float_denorm_mode_32 3
		.amdhsa_float_denorm_mode_16_64 3
		.amdhsa_dx10_clamp 1
		.amdhsa_ieee_mode 1
		.amdhsa_fp16_overflow 0
		.amdhsa_workgroup_processor_mode 1
		.amdhsa_memory_ordered 1
		.amdhsa_forward_progress 0
		.amdhsa_shared_vgpr_count 0
		.amdhsa_exception_fp_ieee_invalid_op 0
		.amdhsa_exception_fp_denorm_src 0
		.amdhsa_exception_fp_ieee_div_zero 0
		.amdhsa_exception_fp_ieee_overflow 0
		.amdhsa_exception_fp_ieee_underflow 0
		.amdhsa_exception_fp_ieee_inexact 0
		.amdhsa_exception_int_div_zero 0
	.end_amdhsa_kernel
	.section	.text._ZN7rocprim17ROCPRIM_400000_NS6detail17trampoline_kernelINS0_14default_configENS1_25partition_config_selectorILNS1_17partition_subalgoE8ElNS0_10empty_typeEbEEZZNS1_14partition_implILS5_8ELb0ES3_jPlPS6_PKS6_NS0_5tupleIJS9_S6_EEENSD_IJSA_SA_EEENS0_18inequality_wrapperIZN2at6native12_GLOBAL__N_124unique_dim_cuda_templateIN3c104HalfEEESt5tupleIJNSH_6TensorESO_SO_EERKSO_lbbbEUlllE0_EEPmJS6_EEE10hipError_tPvRmT3_T4_T5_T6_T7_T9_mT8_P12ihipStream_tbDpT10_ENKUlT_T0_E_clISt17integral_constantIbLb1EES1E_EEDaS19_S1A_EUlS19_E_NS1_11comp_targetILNS1_3genE5ELNS1_11target_archE942ELNS1_3gpuE9ELNS1_3repE0EEENS1_30default_config_static_selectorELNS0_4arch9wavefront6targetE0EEEvT1_,"axG",@progbits,_ZN7rocprim17ROCPRIM_400000_NS6detail17trampoline_kernelINS0_14default_configENS1_25partition_config_selectorILNS1_17partition_subalgoE8ElNS0_10empty_typeEbEEZZNS1_14partition_implILS5_8ELb0ES3_jPlPS6_PKS6_NS0_5tupleIJS9_S6_EEENSD_IJSA_SA_EEENS0_18inequality_wrapperIZN2at6native12_GLOBAL__N_124unique_dim_cuda_templateIN3c104HalfEEESt5tupleIJNSH_6TensorESO_SO_EERKSO_lbbbEUlllE0_EEPmJS6_EEE10hipError_tPvRmT3_T4_T5_T6_T7_T9_mT8_P12ihipStream_tbDpT10_ENKUlT_T0_E_clISt17integral_constantIbLb1EES1E_EEDaS19_S1A_EUlS19_E_NS1_11comp_targetILNS1_3genE5ELNS1_11target_archE942ELNS1_3gpuE9ELNS1_3repE0EEENS1_30default_config_static_selectorELNS0_4arch9wavefront6targetE0EEEvT1_,comdat
.Lfunc_end1304:
	.size	_ZN7rocprim17ROCPRIM_400000_NS6detail17trampoline_kernelINS0_14default_configENS1_25partition_config_selectorILNS1_17partition_subalgoE8ElNS0_10empty_typeEbEEZZNS1_14partition_implILS5_8ELb0ES3_jPlPS6_PKS6_NS0_5tupleIJS9_S6_EEENSD_IJSA_SA_EEENS0_18inequality_wrapperIZN2at6native12_GLOBAL__N_124unique_dim_cuda_templateIN3c104HalfEEESt5tupleIJNSH_6TensorESO_SO_EERKSO_lbbbEUlllE0_EEPmJS6_EEE10hipError_tPvRmT3_T4_T5_T6_T7_T9_mT8_P12ihipStream_tbDpT10_ENKUlT_T0_E_clISt17integral_constantIbLb1EES1E_EEDaS19_S1A_EUlS19_E_NS1_11comp_targetILNS1_3genE5ELNS1_11target_archE942ELNS1_3gpuE9ELNS1_3repE0EEENS1_30default_config_static_selectorELNS0_4arch9wavefront6targetE0EEEvT1_, .Lfunc_end1304-_ZN7rocprim17ROCPRIM_400000_NS6detail17trampoline_kernelINS0_14default_configENS1_25partition_config_selectorILNS1_17partition_subalgoE8ElNS0_10empty_typeEbEEZZNS1_14partition_implILS5_8ELb0ES3_jPlPS6_PKS6_NS0_5tupleIJS9_S6_EEENSD_IJSA_SA_EEENS0_18inequality_wrapperIZN2at6native12_GLOBAL__N_124unique_dim_cuda_templateIN3c104HalfEEESt5tupleIJNSH_6TensorESO_SO_EERKSO_lbbbEUlllE0_EEPmJS6_EEE10hipError_tPvRmT3_T4_T5_T6_T7_T9_mT8_P12ihipStream_tbDpT10_ENKUlT_T0_E_clISt17integral_constantIbLb1EES1E_EEDaS19_S1A_EUlS19_E_NS1_11comp_targetILNS1_3genE5ELNS1_11target_archE942ELNS1_3gpuE9ELNS1_3repE0EEENS1_30default_config_static_selectorELNS0_4arch9wavefront6targetE0EEEvT1_
                                        ; -- End function
	.section	.AMDGPU.csdata,"",@progbits
; Kernel info:
; codeLenInByte = 0
; NumSgprs: 0
; NumVgprs: 0
; ScratchSize: 0
; MemoryBound: 0
; FloatMode: 240
; IeeeMode: 1
; LDSByteSize: 0 bytes/workgroup (compile time only)
; SGPRBlocks: 0
; VGPRBlocks: 0
; NumSGPRsForWavesPerEU: 1
; NumVGPRsForWavesPerEU: 1
; Occupancy: 16
; WaveLimiterHint : 0
; COMPUTE_PGM_RSRC2:SCRATCH_EN: 0
; COMPUTE_PGM_RSRC2:USER_SGPR: 15
; COMPUTE_PGM_RSRC2:TRAP_HANDLER: 0
; COMPUTE_PGM_RSRC2:TGID_X_EN: 1
; COMPUTE_PGM_RSRC2:TGID_Y_EN: 0
; COMPUTE_PGM_RSRC2:TGID_Z_EN: 0
; COMPUTE_PGM_RSRC2:TIDIG_COMP_CNT: 0
	.section	.text._ZN7rocprim17ROCPRIM_400000_NS6detail17trampoline_kernelINS0_14default_configENS1_25partition_config_selectorILNS1_17partition_subalgoE8ElNS0_10empty_typeEbEEZZNS1_14partition_implILS5_8ELb0ES3_jPlPS6_PKS6_NS0_5tupleIJS9_S6_EEENSD_IJSA_SA_EEENS0_18inequality_wrapperIZN2at6native12_GLOBAL__N_124unique_dim_cuda_templateIN3c104HalfEEESt5tupleIJNSH_6TensorESO_SO_EERKSO_lbbbEUlllE0_EEPmJS6_EEE10hipError_tPvRmT3_T4_T5_T6_T7_T9_mT8_P12ihipStream_tbDpT10_ENKUlT_T0_E_clISt17integral_constantIbLb1EES1E_EEDaS19_S1A_EUlS19_E_NS1_11comp_targetILNS1_3genE4ELNS1_11target_archE910ELNS1_3gpuE8ELNS1_3repE0EEENS1_30default_config_static_selectorELNS0_4arch9wavefront6targetE0EEEvT1_,"axG",@progbits,_ZN7rocprim17ROCPRIM_400000_NS6detail17trampoline_kernelINS0_14default_configENS1_25partition_config_selectorILNS1_17partition_subalgoE8ElNS0_10empty_typeEbEEZZNS1_14partition_implILS5_8ELb0ES3_jPlPS6_PKS6_NS0_5tupleIJS9_S6_EEENSD_IJSA_SA_EEENS0_18inequality_wrapperIZN2at6native12_GLOBAL__N_124unique_dim_cuda_templateIN3c104HalfEEESt5tupleIJNSH_6TensorESO_SO_EERKSO_lbbbEUlllE0_EEPmJS6_EEE10hipError_tPvRmT3_T4_T5_T6_T7_T9_mT8_P12ihipStream_tbDpT10_ENKUlT_T0_E_clISt17integral_constantIbLb1EES1E_EEDaS19_S1A_EUlS19_E_NS1_11comp_targetILNS1_3genE4ELNS1_11target_archE910ELNS1_3gpuE8ELNS1_3repE0EEENS1_30default_config_static_selectorELNS0_4arch9wavefront6targetE0EEEvT1_,comdat
	.globl	_ZN7rocprim17ROCPRIM_400000_NS6detail17trampoline_kernelINS0_14default_configENS1_25partition_config_selectorILNS1_17partition_subalgoE8ElNS0_10empty_typeEbEEZZNS1_14partition_implILS5_8ELb0ES3_jPlPS6_PKS6_NS0_5tupleIJS9_S6_EEENSD_IJSA_SA_EEENS0_18inequality_wrapperIZN2at6native12_GLOBAL__N_124unique_dim_cuda_templateIN3c104HalfEEESt5tupleIJNSH_6TensorESO_SO_EERKSO_lbbbEUlllE0_EEPmJS6_EEE10hipError_tPvRmT3_T4_T5_T6_T7_T9_mT8_P12ihipStream_tbDpT10_ENKUlT_T0_E_clISt17integral_constantIbLb1EES1E_EEDaS19_S1A_EUlS19_E_NS1_11comp_targetILNS1_3genE4ELNS1_11target_archE910ELNS1_3gpuE8ELNS1_3repE0EEENS1_30default_config_static_selectorELNS0_4arch9wavefront6targetE0EEEvT1_ ; -- Begin function _ZN7rocprim17ROCPRIM_400000_NS6detail17trampoline_kernelINS0_14default_configENS1_25partition_config_selectorILNS1_17partition_subalgoE8ElNS0_10empty_typeEbEEZZNS1_14partition_implILS5_8ELb0ES3_jPlPS6_PKS6_NS0_5tupleIJS9_S6_EEENSD_IJSA_SA_EEENS0_18inequality_wrapperIZN2at6native12_GLOBAL__N_124unique_dim_cuda_templateIN3c104HalfEEESt5tupleIJNSH_6TensorESO_SO_EERKSO_lbbbEUlllE0_EEPmJS6_EEE10hipError_tPvRmT3_T4_T5_T6_T7_T9_mT8_P12ihipStream_tbDpT10_ENKUlT_T0_E_clISt17integral_constantIbLb1EES1E_EEDaS19_S1A_EUlS19_E_NS1_11comp_targetILNS1_3genE4ELNS1_11target_archE910ELNS1_3gpuE8ELNS1_3repE0EEENS1_30default_config_static_selectorELNS0_4arch9wavefront6targetE0EEEvT1_
	.p2align	8
	.type	_ZN7rocprim17ROCPRIM_400000_NS6detail17trampoline_kernelINS0_14default_configENS1_25partition_config_selectorILNS1_17partition_subalgoE8ElNS0_10empty_typeEbEEZZNS1_14partition_implILS5_8ELb0ES3_jPlPS6_PKS6_NS0_5tupleIJS9_S6_EEENSD_IJSA_SA_EEENS0_18inequality_wrapperIZN2at6native12_GLOBAL__N_124unique_dim_cuda_templateIN3c104HalfEEESt5tupleIJNSH_6TensorESO_SO_EERKSO_lbbbEUlllE0_EEPmJS6_EEE10hipError_tPvRmT3_T4_T5_T6_T7_T9_mT8_P12ihipStream_tbDpT10_ENKUlT_T0_E_clISt17integral_constantIbLb1EES1E_EEDaS19_S1A_EUlS19_E_NS1_11comp_targetILNS1_3genE4ELNS1_11target_archE910ELNS1_3gpuE8ELNS1_3repE0EEENS1_30default_config_static_selectorELNS0_4arch9wavefront6targetE0EEEvT1_,@function
_ZN7rocprim17ROCPRIM_400000_NS6detail17trampoline_kernelINS0_14default_configENS1_25partition_config_selectorILNS1_17partition_subalgoE8ElNS0_10empty_typeEbEEZZNS1_14partition_implILS5_8ELb0ES3_jPlPS6_PKS6_NS0_5tupleIJS9_S6_EEENSD_IJSA_SA_EEENS0_18inequality_wrapperIZN2at6native12_GLOBAL__N_124unique_dim_cuda_templateIN3c104HalfEEESt5tupleIJNSH_6TensorESO_SO_EERKSO_lbbbEUlllE0_EEPmJS6_EEE10hipError_tPvRmT3_T4_T5_T6_T7_T9_mT8_P12ihipStream_tbDpT10_ENKUlT_T0_E_clISt17integral_constantIbLb1EES1E_EEDaS19_S1A_EUlS19_E_NS1_11comp_targetILNS1_3genE4ELNS1_11target_archE910ELNS1_3gpuE8ELNS1_3repE0EEENS1_30default_config_static_selectorELNS0_4arch9wavefront6targetE0EEEvT1_: ; @_ZN7rocprim17ROCPRIM_400000_NS6detail17trampoline_kernelINS0_14default_configENS1_25partition_config_selectorILNS1_17partition_subalgoE8ElNS0_10empty_typeEbEEZZNS1_14partition_implILS5_8ELb0ES3_jPlPS6_PKS6_NS0_5tupleIJS9_S6_EEENSD_IJSA_SA_EEENS0_18inequality_wrapperIZN2at6native12_GLOBAL__N_124unique_dim_cuda_templateIN3c104HalfEEESt5tupleIJNSH_6TensorESO_SO_EERKSO_lbbbEUlllE0_EEPmJS6_EEE10hipError_tPvRmT3_T4_T5_T6_T7_T9_mT8_P12ihipStream_tbDpT10_ENKUlT_T0_E_clISt17integral_constantIbLb1EES1E_EEDaS19_S1A_EUlS19_E_NS1_11comp_targetILNS1_3genE4ELNS1_11target_archE910ELNS1_3gpuE8ELNS1_3repE0EEENS1_30default_config_static_selectorELNS0_4arch9wavefront6targetE0EEEvT1_
; %bb.0:
	.section	.rodata,"a",@progbits
	.p2align	6, 0x0
	.amdhsa_kernel _ZN7rocprim17ROCPRIM_400000_NS6detail17trampoline_kernelINS0_14default_configENS1_25partition_config_selectorILNS1_17partition_subalgoE8ElNS0_10empty_typeEbEEZZNS1_14partition_implILS5_8ELb0ES3_jPlPS6_PKS6_NS0_5tupleIJS9_S6_EEENSD_IJSA_SA_EEENS0_18inequality_wrapperIZN2at6native12_GLOBAL__N_124unique_dim_cuda_templateIN3c104HalfEEESt5tupleIJNSH_6TensorESO_SO_EERKSO_lbbbEUlllE0_EEPmJS6_EEE10hipError_tPvRmT3_T4_T5_T6_T7_T9_mT8_P12ihipStream_tbDpT10_ENKUlT_T0_E_clISt17integral_constantIbLb1EES1E_EEDaS19_S1A_EUlS19_E_NS1_11comp_targetILNS1_3genE4ELNS1_11target_archE910ELNS1_3gpuE8ELNS1_3repE0EEENS1_30default_config_static_selectorELNS0_4arch9wavefront6targetE0EEEvT1_
		.amdhsa_group_segment_fixed_size 0
		.amdhsa_private_segment_fixed_size 0
		.amdhsa_kernarg_size 136
		.amdhsa_user_sgpr_count 15
		.amdhsa_user_sgpr_dispatch_ptr 0
		.amdhsa_user_sgpr_queue_ptr 0
		.amdhsa_user_sgpr_kernarg_segment_ptr 1
		.amdhsa_user_sgpr_dispatch_id 0
		.amdhsa_user_sgpr_private_segment_size 0
		.amdhsa_wavefront_size32 1
		.amdhsa_uses_dynamic_stack 0
		.amdhsa_enable_private_segment 0
		.amdhsa_system_sgpr_workgroup_id_x 1
		.amdhsa_system_sgpr_workgroup_id_y 0
		.amdhsa_system_sgpr_workgroup_id_z 0
		.amdhsa_system_sgpr_workgroup_info 0
		.amdhsa_system_vgpr_workitem_id 0
		.amdhsa_next_free_vgpr 1
		.amdhsa_next_free_sgpr 1
		.amdhsa_reserve_vcc 0
		.amdhsa_float_round_mode_32 0
		.amdhsa_float_round_mode_16_64 0
		.amdhsa_float_denorm_mode_32 3
		.amdhsa_float_denorm_mode_16_64 3
		.amdhsa_dx10_clamp 1
		.amdhsa_ieee_mode 1
		.amdhsa_fp16_overflow 0
		.amdhsa_workgroup_processor_mode 1
		.amdhsa_memory_ordered 1
		.amdhsa_forward_progress 0
		.amdhsa_shared_vgpr_count 0
		.amdhsa_exception_fp_ieee_invalid_op 0
		.amdhsa_exception_fp_denorm_src 0
		.amdhsa_exception_fp_ieee_div_zero 0
		.amdhsa_exception_fp_ieee_overflow 0
		.amdhsa_exception_fp_ieee_underflow 0
		.amdhsa_exception_fp_ieee_inexact 0
		.amdhsa_exception_int_div_zero 0
	.end_amdhsa_kernel
	.section	.text._ZN7rocprim17ROCPRIM_400000_NS6detail17trampoline_kernelINS0_14default_configENS1_25partition_config_selectorILNS1_17partition_subalgoE8ElNS0_10empty_typeEbEEZZNS1_14partition_implILS5_8ELb0ES3_jPlPS6_PKS6_NS0_5tupleIJS9_S6_EEENSD_IJSA_SA_EEENS0_18inequality_wrapperIZN2at6native12_GLOBAL__N_124unique_dim_cuda_templateIN3c104HalfEEESt5tupleIJNSH_6TensorESO_SO_EERKSO_lbbbEUlllE0_EEPmJS6_EEE10hipError_tPvRmT3_T4_T5_T6_T7_T9_mT8_P12ihipStream_tbDpT10_ENKUlT_T0_E_clISt17integral_constantIbLb1EES1E_EEDaS19_S1A_EUlS19_E_NS1_11comp_targetILNS1_3genE4ELNS1_11target_archE910ELNS1_3gpuE8ELNS1_3repE0EEENS1_30default_config_static_selectorELNS0_4arch9wavefront6targetE0EEEvT1_,"axG",@progbits,_ZN7rocprim17ROCPRIM_400000_NS6detail17trampoline_kernelINS0_14default_configENS1_25partition_config_selectorILNS1_17partition_subalgoE8ElNS0_10empty_typeEbEEZZNS1_14partition_implILS5_8ELb0ES3_jPlPS6_PKS6_NS0_5tupleIJS9_S6_EEENSD_IJSA_SA_EEENS0_18inequality_wrapperIZN2at6native12_GLOBAL__N_124unique_dim_cuda_templateIN3c104HalfEEESt5tupleIJNSH_6TensorESO_SO_EERKSO_lbbbEUlllE0_EEPmJS6_EEE10hipError_tPvRmT3_T4_T5_T6_T7_T9_mT8_P12ihipStream_tbDpT10_ENKUlT_T0_E_clISt17integral_constantIbLb1EES1E_EEDaS19_S1A_EUlS19_E_NS1_11comp_targetILNS1_3genE4ELNS1_11target_archE910ELNS1_3gpuE8ELNS1_3repE0EEENS1_30default_config_static_selectorELNS0_4arch9wavefront6targetE0EEEvT1_,comdat
.Lfunc_end1305:
	.size	_ZN7rocprim17ROCPRIM_400000_NS6detail17trampoline_kernelINS0_14default_configENS1_25partition_config_selectorILNS1_17partition_subalgoE8ElNS0_10empty_typeEbEEZZNS1_14partition_implILS5_8ELb0ES3_jPlPS6_PKS6_NS0_5tupleIJS9_S6_EEENSD_IJSA_SA_EEENS0_18inequality_wrapperIZN2at6native12_GLOBAL__N_124unique_dim_cuda_templateIN3c104HalfEEESt5tupleIJNSH_6TensorESO_SO_EERKSO_lbbbEUlllE0_EEPmJS6_EEE10hipError_tPvRmT3_T4_T5_T6_T7_T9_mT8_P12ihipStream_tbDpT10_ENKUlT_T0_E_clISt17integral_constantIbLb1EES1E_EEDaS19_S1A_EUlS19_E_NS1_11comp_targetILNS1_3genE4ELNS1_11target_archE910ELNS1_3gpuE8ELNS1_3repE0EEENS1_30default_config_static_selectorELNS0_4arch9wavefront6targetE0EEEvT1_, .Lfunc_end1305-_ZN7rocprim17ROCPRIM_400000_NS6detail17trampoline_kernelINS0_14default_configENS1_25partition_config_selectorILNS1_17partition_subalgoE8ElNS0_10empty_typeEbEEZZNS1_14partition_implILS5_8ELb0ES3_jPlPS6_PKS6_NS0_5tupleIJS9_S6_EEENSD_IJSA_SA_EEENS0_18inequality_wrapperIZN2at6native12_GLOBAL__N_124unique_dim_cuda_templateIN3c104HalfEEESt5tupleIJNSH_6TensorESO_SO_EERKSO_lbbbEUlllE0_EEPmJS6_EEE10hipError_tPvRmT3_T4_T5_T6_T7_T9_mT8_P12ihipStream_tbDpT10_ENKUlT_T0_E_clISt17integral_constantIbLb1EES1E_EEDaS19_S1A_EUlS19_E_NS1_11comp_targetILNS1_3genE4ELNS1_11target_archE910ELNS1_3gpuE8ELNS1_3repE0EEENS1_30default_config_static_selectorELNS0_4arch9wavefront6targetE0EEEvT1_
                                        ; -- End function
	.section	.AMDGPU.csdata,"",@progbits
; Kernel info:
; codeLenInByte = 0
; NumSgprs: 0
; NumVgprs: 0
; ScratchSize: 0
; MemoryBound: 0
; FloatMode: 240
; IeeeMode: 1
; LDSByteSize: 0 bytes/workgroup (compile time only)
; SGPRBlocks: 0
; VGPRBlocks: 0
; NumSGPRsForWavesPerEU: 1
; NumVGPRsForWavesPerEU: 1
; Occupancy: 16
; WaveLimiterHint : 0
; COMPUTE_PGM_RSRC2:SCRATCH_EN: 0
; COMPUTE_PGM_RSRC2:USER_SGPR: 15
; COMPUTE_PGM_RSRC2:TRAP_HANDLER: 0
; COMPUTE_PGM_RSRC2:TGID_X_EN: 1
; COMPUTE_PGM_RSRC2:TGID_Y_EN: 0
; COMPUTE_PGM_RSRC2:TGID_Z_EN: 0
; COMPUTE_PGM_RSRC2:TIDIG_COMP_CNT: 0
	.section	.text._ZN7rocprim17ROCPRIM_400000_NS6detail17trampoline_kernelINS0_14default_configENS1_25partition_config_selectorILNS1_17partition_subalgoE8ElNS0_10empty_typeEbEEZZNS1_14partition_implILS5_8ELb0ES3_jPlPS6_PKS6_NS0_5tupleIJS9_S6_EEENSD_IJSA_SA_EEENS0_18inequality_wrapperIZN2at6native12_GLOBAL__N_124unique_dim_cuda_templateIN3c104HalfEEESt5tupleIJNSH_6TensorESO_SO_EERKSO_lbbbEUlllE0_EEPmJS6_EEE10hipError_tPvRmT3_T4_T5_T6_T7_T9_mT8_P12ihipStream_tbDpT10_ENKUlT_T0_E_clISt17integral_constantIbLb1EES1E_EEDaS19_S1A_EUlS19_E_NS1_11comp_targetILNS1_3genE3ELNS1_11target_archE908ELNS1_3gpuE7ELNS1_3repE0EEENS1_30default_config_static_selectorELNS0_4arch9wavefront6targetE0EEEvT1_,"axG",@progbits,_ZN7rocprim17ROCPRIM_400000_NS6detail17trampoline_kernelINS0_14default_configENS1_25partition_config_selectorILNS1_17partition_subalgoE8ElNS0_10empty_typeEbEEZZNS1_14partition_implILS5_8ELb0ES3_jPlPS6_PKS6_NS0_5tupleIJS9_S6_EEENSD_IJSA_SA_EEENS0_18inequality_wrapperIZN2at6native12_GLOBAL__N_124unique_dim_cuda_templateIN3c104HalfEEESt5tupleIJNSH_6TensorESO_SO_EERKSO_lbbbEUlllE0_EEPmJS6_EEE10hipError_tPvRmT3_T4_T5_T6_T7_T9_mT8_P12ihipStream_tbDpT10_ENKUlT_T0_E_clISt17integral_constantIbLb1EES1E_EEDaS19_S1A_EUlS19_E_NS1_11comp_targetILNS1_3genE3ELNS1_11target_archE908ELNS1_3gpuE7ELNS1_3repE0EEENS1_30default_config_static_selectorELNS0_4arch9wavefront6targetE0EEEvT1_,comdat
	.globl	_ZN7rocprim17ROCPRIM_400000_NS6detail17trampoline_kernelINS0_14default_configENS1_25partition_config_selectorILNS1_17partition_subalgoE8ElNS0_10empty_typeEbEEZZNS1_14partition_implILS5_8ELb0ES3_jPlPS6_PKS6_NS0_5tupleIJS9_S6_EEENSD_IJSA_SA_EEENS0_18inequality_wrapperIZN2at6native12_GLOBAL__N_124unique_dim_cuda_templateIN3c104HalfEEESt5tupleIJNSH_6TensorESO_SO_EERKSO_lbbbEUlllE0_EEPmJS6_EEE10hipError_tPvRmT3_T4_T5_T6_T7_T9_mT8_P12ihipStream_tbDpT10_ENKUlT_T0_E_clISt17integral_constantIbLb1EES1E_EEDaS19_S1A_EUlS19_E_NS1_11comp_targetILNS1_3genE3ELNS1_11target_archE908ELNS1_3gpuE7ELNS1_3repE0EEENS1_30default_config_static_selectorELNS0_4arch9wavefront6targetE0EEEvT1_ ; -- Begin function _ZN7rocprim17ROCPRIM_400000_NS6detail17trampoline_kernelINS0_14default_configENS1_25partition_config_selectorILNS1_17partition_subalgoE8ElNS0_10empty_typeEbEEZZNS1_14partition_implILS5_8ELb0ES3_jPlPS6_PKS6_NS0_5tupleIJS9_S6_EEENSD_IJSA_SA_EEENS0_18inequality_wrapperIZN2at6native12_GLOBAL__N_124unique_dim_cuda_templateIN3c104HalfEEESt5tupleIJNSH_6TensorESO_SO_EERKSO_lbbbEUlllE0_EEPmJS6_EEE10hipError_tPvRmT3_T4_T5_T6_T7_T9_mT8_P12ihipStream_tbDpT10_ENKUlT_T0_E_clISt17integral_constantIbLb1EES1E_EEDaS19_S1A_EUlS19_E_NS1_11comp_targetILNS1_3genE3ELNS1_11target_archE908ELNS1_3gpuE7ELNS1_3repE0EEENS1_30default_config_static_selectorELNS0_4arch9wavefront6targetE0EEEvT1_
	.p2align	8
	.type	_ZN7rocprim17ROCPRIM_400000_NS6detail17trampoline_kernelINS0_14default_configENS1_25partition_config_selectorILNS1_17partition_subalgoE8ElNS0_10empty_typeEbEEZZNS1_14partition_implILS5_8ELb0ES3_jPlPS6_PKS6_NS0_5tupleIJS9_S6_EEENSD_IJSA_SA_EEENS0_18inequality_wrapperIZN2at6native12_GLOBAL__N_124unique_dim_cuda_templateIN3c104HalfEEESt5tupleIJNSH_6TensorESO_SO_EERKSO_lbbbEUlllE0_EEPmJS6_EEE10hipError_tPvRmT3_T4_T5_T6_T7_T9_mT8_P12ihipStream_tbDpT10_ENKUlT_T0_E_clISt17integral_constantIbLb1EES1E_EEDaS19_S1A_EUlS19_E_NS1_11comp_targetILNS1_3genE3ELNS1_11target_archE908ELNS1_3gpuE7ELNS1_3repE0EEENS1_30default_config_static_selectorELNS0_4arch9wavefront6targetE0EEEvT1_,@function
_ZN7rocprim17ROCPRIM_400000_NS6detail17trampoline_kernelINS0_14default_configENS1_25partition_config_selectorILNS1_17partition_subalgoE8ElNS0_10empty_typeEbEEZZNS1_14partition_implILS5_8ELb0ES3_jPlPS6_PKS6_NS0_5tupleIJS9_S6_EEENSD_IJSA_SA_EEENS0_18inequality_wrapperIZN2at6native12_GLOBAL__N_124unique_dim_cuda_templateIN3c104HalfEEESt5tupleIJNSH_6TensorESO_SO_EERKSO_lbbbEUlllE0_EEPmJS6_EEE10hipError_tPvRmT3_T4_T5_T6_T7_T9_mT8_P12ihipStream_tbDpT10_ENKUlT_T0_E_clISt17integral_constantIbLb1EES1E_EEDaS19_S1A_EUlS19_E_NS1_11comp_targetILNS1_3genE3ELNS1_11target_archE908ELNS1_3gpuE7ELNS1_3repE0EEENS1_30default_config_static_selectorELNS0_4arch9wavefront6targetE0EEEvT1_: ; @_ZN7rocprim17ROCPRIM_400000_NS6detail17trampoline_kernelINS0_14default_configENS1_25partition_config_selectorILNS1_17partition_subalgoE8ElNS0_10empty_typeEbEEZZNS1_14partition_implILS5_8ELb0ES3_jPlPS6_PKS6_NS0_5tupleIJS9_S6_EEENSD_IJSA_SA_EEENS0_18inequality_wrapperIZN2at6native12_GLOBAL__N_124unique_dim_cuda_templateIN3c104HalfEEESt5tupleIJNSH_6TensorESO_SO_EERKSO_lbbbEUlllE0_EEPmJS6_EEE10hipError_tPvRmT3_T4_T5_T6_T7_T9_mT8_P12ihipStream_tbDpT10_ENKUlT_T0_E_clISt17integral_constantIbLb1EES1E_EEDaS19_S1A_EUlS19_E_NS1_11comp_targetILNS1_3genE3ELNS1_11target_archE908ELNS1_3gpuE7ELNS1_3repE0EEENS1_30default_config_static_selectorELNS0_4arch9wavefront6targetE0EEEvT1_
; %bb.0:
	.section	.rodata,"a",@progbits
	.p2align	6, 0x0
	.amdhsa_kernel _ZN7rocprim17ROCPRIM_400000_NS6detail17trampoline_kernelINS0_14default_configENS1_25partition_config_selectorILNS1_17partition_subalgoE8ElNS0_10empty_typeEbEEZZNS1_14partition_implILS5_8ELb0ES3_jPlPS6_PKS6_NS0_5tupleIJS9_S6_EEENSD_IJSA_SA_EEENS0_18inequality_wrapperIZN2at6native12_GLOBAL__N_124unique_dim_cuda_templateIN3c104HalfEEESt5tupleIJNSH_6TensorESO_SO_EERKSO_lbbbEUlllE0_EEPmJS6_EEE10hipError_tPvRmT3_T4_T5_T6_T7_T9_mT8_P12ihipStream_tbDpT10_ENKUlT_T0_E_clISt17integral_constantIbLb1EES1E_EEDaS19_S1A_EUlS19_E_NS1_11comp_targetILNS1_3genE3ELNS1_11target_archE908ELNS1_3gpuE7ELNS1_3repE0EEENS1_30default_config_static_selectorELNS0_4arch9wavefront6targetE0EEEvT1_
		.amdhsa_group_segment_fixed_size 0
		.amdhsa_private_segment_fixed_size 0
		.amdhsa_kernarg_size 136
		.amdhsa_user_sgpr_count 15
		.amdhsa_user_sgpr_dispatch_ptr 0
		.amdhsa_user_sgpr_queue_ptr 0
		.amdhsa_user_sgpr_kernarg_segment_ptr 1
		.amdhsa_user_sgpr_dispatch_id 0
		.amdhsa_user_sgpr_private_segment_size 0
		.amdhsa_wavefront_size32 1
		.amdhsa_uses_dynamic_stack 0
		.amdhsa_enable_private_segment 0
		.amdhsa_system_sgpr_workgroup_id_x 1
		.amdhsa_system_sgpr_workgroup_id_y 0
		.amdhsa_system_sgpr_workgroup_id_z 0
		.amdhsa_system_sgpr_workgroup_info 0
		.amdhsa_system_vgpr_workitem_id 0
		.amdhsa_next_free_vgpr 1
		.amdhsa_next_free_sgpr 1
		.amdhsa_reserve_vcc 0
		.amdhsa_float_round_mode_32 0
		.amdhsa_float_round_mode_16_64 0
		.amdhsa_float_denorm_mode_32 3
		.amdhsa_float_denorm_mode_16_64 3
		.amdhsa_dx10_clamp 1
		.amdhsa_ieee_mode 1
		.amdhsa_fp16_overflow 0
		.amdhsa_workgroup_processor_mode 1
		.amdhsa_memory_ordered 1
		.amdhsa_forward_progress 0
		.amdhsa_shared_vgpr_count 0
		.amdhsa_exception_fp_ieee_invalid_op 0
		.amdhsa_exception_fp_denorm_src 0
		.amdhsa_exception_fp_ieee_div_zero 0
		.amdhsa_exception_fp_ieee_overflow 0
		.amdhsa_exception_fp_ieee_underflow 0
		.amdhsa_exception_fp_ieee_inexact 0
		.amdhsa_exception_int_div_zero 0
	.end_amdhsa_kernel
	.section	.text._ZN7rocprim17ROCPRIM_400000_NS6detail17trampoline_kernelINS0_14default_configENS1_25partition_config_selectorILNS1_17partition_subalgoE8ElNS0_10empty_typeEbEEZZNS1_14partition_implILS5_8ELb0ES3_jPlPS6_PKS6_NS0_5tupleIJS9_S6_EEENSD_IJSA_SA_EEENS0_18inequality_wrapperIZN2at6native12_GLOBAL__N_124unique_dim_cuda_templateIN3c104HalfEEESt5tupleIJNSH_6TensorESO_SO_EERKSO_lbbbEUlllE0_EEPmJS6_EEE10hipError_tPvRmT3_T4_T5_T6_T7_T9_mT8_P12ihipStream_tbDpT10_ENKUlT_T0_E_clISt17integral_constantIbLb1EES1E_EEDaS19_S1A_EUlS19_E_NS1_11comp_targetILNS1_3genE3ELNS1_11target_archE908ELNS1_3gpuE7ELNS1_3repE0EEENS1_30default_config_static_selectorELNS0_4arch9wavefront6targetE0EEEvT1_,"axG",@progbits,_ZN7rocprim17ROCPRIM_400000_NS6detail17trampoline_kernelINS0_14default_configENS1_25partition_config_selectorILNS1_17partition_subalgoE8ElNS0_10empty_typeEbEEZZNS1_14partition_implILS5_8ELb0ES3_jPlPS6_PKS6_NS0_5tupleIJS9_S6_EEENSD_IJSA_SA_EEENS0_18inequality_wrapperIZN2at6native12_GLOBAL__N_124unique_dim_cuda_templateIN3c104HalfEEESt5tupleIJNSH_6TensorESO_SO_EERKSO_lbbbEUlllE0_EEPmJS6_EEE10hipError_tPvRmT3_T4_T5_T6_T7_T9_mT8_P12ihipStream_tbDpT10_ENKUlT_T0_E_clISt17integral_constantIbLb1EES1E_EEDaS19_S1A_EUlS19_E_NS1_11comp_targetILNS1_3genE3ELNS1_11target_archE908ELNS1_3gpuE7ELNS1_3repE0EEENS1_30default_config_static_selectorELNS0_4arch9wavefront6targetE0EEEvT1_,comdat
.Lfunc_end1306:
	.size	_ZN7rocprim17ROCPRIM_400000_NS6detail17trampoline_kernelINS0_14default_configENS1_25partition_config_selectorILNS1_17partition_subalgoE8ElNS0_10empty_typeEbEEZZNS1_14partition_implILS5_8ELb0ES3_jPlPS6_PKS6_NS0_5tupleIJS9_S6_EEENSD_IJSA_SA_EEENS0_18inequality_wrapperIZN2at6native12_GLOBAL__N_124unique_dim_cuda_templateIN3c104HalfEEESt5tupleIJNSH_6TensorESO_SO_EERKSO_lbbbEUlllE0_EEPmJS6_EEE10hipError_tPvRmT3_T4_T5_T6_T7_T9_mT8_P12ihipStream_tbDpT10_ENKUlT_T0_E_clISt17integral_constantIbLb1EES1E_EEDaS19_S1A_EUlS19_E_NS1_11comp_targetILNS1_3genE3ELNS1_11target_archE908ELNS1_3gpuE7ELNS1_3repE0EEENS1_30default_config_static_selectorELNS0_4arch9wavefront6targetE0EEEvT1_, .Lfunc_end1306-_ZN7rocprim17ROCPRIM_400000_NS6detail17trampoline_kernelINS0_14default_configENS1_25partition_config_selectorILNS1_17partition_subalgoE8ElNS0_10empty_typeEbEEZZNS1_14partition_implILS5_8ELb0ES3_jPlPS6_PKS6_NS0_5tupleIJS9_S6_EEENSD_IJSA_SA_EEENS0_18inequality_wrapperIZN2at6native12_GLOBAL__N_124unique_dim_cuda_templateIN3c104HalfEEESt5tupleIJNSH_6TensorESO_SO_EERKSO_lbbbEUlllE0_EEPmJS6_EEE10hipError_tPvRmT3_T4_T5_T6_T7_T9_mT8_P12ihipStream_tbDpT10_ENKUlT_T0_E_clISt17integral_constantIbLb1EES1E_EEDaS19_S1A_EUlS19_E_NS1_11comp_targetILNS1_3genE3ELNS1_11target_archE908ELNS1_3gpuE7ELNS1_3repE0EEENS1_30default_config_static_selectorELNS0_4arch9wavefront6targetE0EEEvT1_
                                        ; -- End function
	.section	.AMDGPU.csdata,"",@progbits
; Kernel info:
; codeLenInByte = 0
; NumSgprs: 0
; NumVgprs: 0
; ScratchSize: 0
; MemoryBound: 0
; FloatMode: 240
; IeeeMode: 1
; LDSByteSize: 0 bytes/workgroup (compile time only)
; SGPRBlocks: 0
; VGPRBlocks: 0
; NumSGPRsForWavesPerEU: 1
; NumVGPRsForWavesPerEU: 1
; Occupancy: 16
; WaveLimiterHint : 0
; COMPUTE_PGM_RSRC2:SCRATCH_EN: 0
; COMPUTE_PGM_RSRC2:USER_SGPR: 15
; COMPUTE_PGM_RSRC2:TRAP_HANDLER: 0
; COMPUTE_PGM_RSRC2:TGID_X_EN: 1
; COMPUTE_PGM_RSRC2:TGID_Y_EN: 0
; COMPUTE_PGM_RSRC2:TGID_Z_EN: 0
; COMPUTE_PGM_RSRC2:TIDIG_COMP_CNT: 0
	.section	.text._ZN7rocprim17ROCPRIM_400000_NS6detail17trampoline_kernelINS0_14default_configENS1_25partition_config_selectorILNS1_17partition_subalgoE8ElNS0_10empty_typeEbEEZZNS1_14partition_implILS5_8ELb0ES3_jPlPS6_PKS6_NS0_5tupleIJS9_S6_EEENSD_IJSA_SA_EEENS0_18inequality_wrapperIZN2at6native12_GLOBAL__N_124unique_dim_cuda_templateIN3c104HalfEEESt5tupleIJNSH_6TensorESO_SO_EERKSO_lbbbEUlllE0_EEPmJS6_EEE10hipError_tPvRmT3_T4_T5_T6_T7_T9_mT8_P12ihipStream_tbDpT10_ENKUlT_T0_E_clISt17integral_constantIbLb1EES1E_EEDaS19_S1A_EUlS19_E_NS1_11comp_targetILNS1_3genE2ELNS1_11target_archE906ELNS1_3gpuE6ELNS1_3repE0EEENS1_30default_config_static_selectorELNS0_4arch9wavefront6targetE0EEEvT1_,"axG",@progbits,_ZN7rocprim17ROCPRIM_400000_NS6detail17trampoline_kernelINS0_14default_configENS1_25partition_config_selectorILNS1_17partition_subalgoE8ElNS0_10empty_typeEbEEZZNS1_14partition_implILS5_8ELb0ES3_jPlPS6_PKS6_NS0_5tupleIJS9_S6_EEENSD_IJSA_SA_EEENS0_18inequality_wrapperIZN2at6native12_GLOBAL__N_124unique_dim_cuda_templateIN3c104HalfEEESt5tupleIJNSH_6TensorESO_SO_EERKSO_lbbbEUlllE0_EEPmJS6_EEE10hipError_tPvRmT3_T4_T5_T6_T7_T9_mT8_P12ihipStream_tbDpT10_ENKUlT_T0_E_clISt17integral_constantIbLb1EES1E_EEDaS19_S1A_EUlS19_E_NS1_11comp_targetILNS1_3genE2ELNS1_11target_archE906ELNS1_3gpuE6ELNS1_3repE0EEENS1_30default_config_static_selectorELNS0_4arch9wavefront6targetE0EEEvT1_,comdat
	.globl	_ZN7rocprim17ROCPRIM_400000_NS6detail17trampoline_kernelINS0_14default_configENS1_25partition_config_selectorILNS1_17partition_subalgoE8ElNS0_10empty_typeEbEEZZNS1_14partition_implILS5_8ELb0ES3_jPlPS6_PKS6_NS0_5tupleIJS9_S6_EEENSD_IJSA_SA_EEENS0_18inequality_wrapperIZN2at6native12_GLOBAL__N_124unique_dim_cuda_templateIN3c104HalfEEESt5tupleIJNSH_6TensorESO_SO_EERKSO_lbbbEUlllE0_EEPmJS6_EEE10hipError_tPvRmT3_T4_T5_T6_T7_T9_mT8_P12ihipStream_tbDpT10_ENKUlT_T0_E_clISt17integral_constantIbLb1EES1E_EEDaS19_S1A_EUlS19_E_NS1_11comp_targetILNS1_3genE2ELNS1_11target_archE906ELNS1_3gpuE6ELNS1_3repE0EEENS1_30default_config_static_selectorELNS0_4arch9wavefront6targetE0EEEvT1_ ; -- Begin function _ZN7rocprim17ROCPRIM_400000_NS6detail17trampoline_kernelINS0_14default_configENS1_25partition_config_selectorILNS1_17partition_subalgoE8ElNS0_10empty_typeEbEEZZNS1_14partition_implILS5_8ELb0ES3_jPlPS6_PKS6_NS0_5tupleIJS9_S6_EEENSD_IJSA_SA_EEENS0_18inequality_wrapperIZN2at6native12_GLOBAL__N_124unique_dim_cuda_templateIN3c104HalfEEESt5tupleIJNSH_6TensorESO_SO_EERKSO_lbbbEUlllE0_EEPmJS6_EEE10hipError_tPvRmT3_T4_T5_T6_T7_T9_mT8_P12ihipStream_tbDpT10_ENKUlT_T0_E_clISt17integral_constantIbLb1EES1E_EEDaS19_S1A_EUlS19_E_NS1_11comp_targetILNS1_3genE2ELNS1_11target_archE906ELNS1_3gpuE6ELNS1_3repE0EEENS1_30default_config_static_selectorELNS0_4arch9wavefront6targetE0EEEvT1_
	.p2align	8
	.type	_ZN7rocprim17ROCPRIM_400000_NS6detail17trampoline_kernelINS0_14default_configENS1_25partition_config_selectorILNS1_17partition_subalgoE8ElNS0_10empty_typeEbEEZZNS1_14partition_implILS5_8ELb0ES3_jPlPS6_PKS6_NS0_5tupleIJS9_S6_EEENSD_IJSA_SA_EEENS0_18inequality_wrapperIZN2at6native12_GLOBAL__N_124unique_dim_cuda_templateIN3c104HalfEEESt5tupleIJNSH_6TensorESO_SO_EERKSO_lbbbEUlllE0_EEPmJS6_EEE10hipError_tPvRmT3_T4_T5_T6_T7_T9_mT8_P12ihipStream_tbDpT10_ENKUlT_T0_E_clISt17integral_constantIbLb1EES1E_EEDaS19_S1A_EUlS19_E_NS1_11comp_targetILNS1_3genE2ELNS1_11target_archE906ELNS1_3gpuE6ELNS1_3repE0EEENS1_30default_config_static_selectorELNS0_4arch9wavefront6targetE0EEEvT1_,@function
_ZN7rocprim17ROCPRIM_400000_NS6detail17trampoline_kernelINS0_14default_configENS1_25partition_config_selectorILNS1_17partition_subalgoE8ElNS0_10empty_typeEbEEZZNS1_14partition_implILS5_8ELb0ES3_jPlPS6_PKS6_NS0_5tupleIJS9_S6_EEENSD_IJSA_SA_EEENS0_18inequality_wrapperIZN2at6native12_GLOBAL__N_124unique_dim_cuda_templateIN3c104HalfEEESt5tupleIJNSH_6TensorESO_SO_EERKSO_lbbbEUlllE0_EEPmJS6_EEE10hipError_tPvRmT3_T4_T5_T6_T7_T9_mT8_P12ihipStream_tbDpT10_ENKUlT_T0_E_clISt17integral_constantIbLb1EES1E_EEDaS19_S1A_EUlS19_E_NS1_11comp_targetILNS1_3genE2ELNS1_11target_archE906ELNS1_3gpuE6ELNS1_3repE0EEENS1_30default_config_static_selectorELNS0_4arch9wavefront6targetE0EEEvT1_: ; @_ZN7rocprim17ROCPRIM_400000_NS6detail17trampoline_kernelINS0_14default_configENS1_25partition_config_selectorILNS1_17partition_subalgoE8ElNS0_10empty_typeEbEEZZNS1_14partition_implILS5_8ELb0ES3_jPlPS6_PKS6_NS0_5tupleIJS9_S6_EEENSD_IJSA_SA_EEENS0_18inequality_wrapperIZN2at6native12_GLOBAL__N_124unique_dim_cuda_templateIN3c104HalfEEESt5tupleIJNSH_6TensorESO_SO_EERKSO_lbbbEUlllE0_EEPmJS6_EEE10hipError_tPvRmT3_T4_T5_T6_T7_T9_mT8_P12ihipStream_tbDpT10_ENKUlT_T0_E_clISt17integral_constantIbLb1EES1E_EEDaS19_S1A_EUlS19_E_NS1_11comp_targetILNS1_3genE2ELNS1_11target_archE906ELNS1_3gpuE6ELNS1_3repE0EEENS1_30default_config_static_selectorELNS0_4arch9wavefront6targetE0EEEvT1_
; %bb.0:
	.section	.rodata,"a",@progbits
	.p2align	6, 0x0
	.amdhsa_kernel _ZN7rocprim17ROCPRIM_400000_NS6detail17trampoline_kernelINS0_14default_configENS1_25partition_config_selectorILNS1_17partition_subalgoE8ElNS0_10empty_typeEbEEZZNS1_14partition_implILS5_8ELb0ES3_jPlPS6_PKS6_NS0_5tupleIJS9_S6_EEENSD_IJSA_SA_EEENS0_18inequality_wrapperIZN2at6native12_GLOBAL__N_124unique_dim_cuda_templateIN3c104HalfEEESt5tupleIJNSH_6TensorESO_SO_EERKSO_lbbbEUlllE0_EEPmJS6_EEE10hipError_tPvRmT3_T4_T5_T6_T7_T9_mT8_P12ihipStream_tbDpT10_ENKUlT_T0_E_clISt17integral_constantIbLb1EES1E_EEDaS19_S1A_EUlS19_E_NS1_11comp_targetILNS1_3genE2ELNS1_11target_archE906ELNS1_3gpuE6ELNS1_3repE0EEENS1_30default_config_static_selectorELNS0_4arch9wavefront6targetE0EEEvT1_
		.amdhsa_group_segment_fixed_size 0
		.amdhsa_private_segment_fixed_size 0
		.amdhsa_kernarg_size 136
		.amdhsa_user_sgpr_count 15
		.amdhsa_user_sgpr_dispatch_ptr 0
		.amdhsa_user_sgpr_queue_ptr 0
		.amdhsa_user_sgpr_kernarg_segment_ptr 1
		.amdhsa_user_sgpr_dispatch_id 0
		.amdhsa_user_sgpr_private_segment_size 0
		.amdhsa_wavefront_size32 1
		.amdhsa_uses_dynamic_stack 0
		.amdhsa_enable_private_segment 0
		.amdhsa_system_sgpr_workgroup_id_x 1
		.amdhsa_system_sgpr_workgroup_id_y 0
		.amdhsa_system_sgpr_workgroup_id_z 0
		.amdhsa_system_sgpr_workgroup_info 0
		.amdhsa_system_vgpr_workitem_id 0
		.amdhsa_next_free_vgpr 1
		.amdhsa_next_free_sgpr 1
		.amdhsa_reserve_vcc 0
		.amdhsa_float_round_mode_32 0
		.amdhsa_float_round_mode_16_64 0
		.amdhsa_float_denorm_mode_32 3
		.amdhsa_float_denorm_mode_16_64 3
		.amdhsa_dx10_clamp 1
		.amdhsa_ieee_mode 1
		.amdhsa_fp16_overflow 0
		.amdhsa_workgroup_processor_mode 1
		.amdhsa_memory_ordered 1
		.amdhsa_forward_progress 0
		.amdhsa_shared_vgpr_count 0
		.amdhsa_exception_fp_ieee_invalid_op 0
		.amdhsa_exception_fp_denorm_src 0
		.amdhsa_exception_fp_ieee_div_zero 0
		.amdhsa_exception_fp_ieee_overflow 0
		.amdhsa_exception_fp_ieee_underflow 0
		.amdhsa_exception_fp_ieee_inexact 0
		.amdhsa_exception_int_div_zero 0
	.end_amdhsa_kernel
	.section	.text._ZN7rocprim17ROCPRIM_400000_NS6detail17trampoline_kernelINS0_14default_configENS1_25partition_config_selectorILNS1_17partition_subalgoE8ElNS0_10empty_typeEbEEZZNS1_14partition_implILS5_8ELb0ES3_jPlPS6_PKS6_NS0_5tupleIJS9_S6_EEENSD_IJSA_SA_EEENS0_18inequality_wrapperIZN2at6native12_GLOBAL__N_124unique_dim_cuda_templateIN3c104HalfEEESt5tupleIJNSH_6TensorESO_SO_EERKSO_lbbbEUlllE0_EEPmJS6_EEE10hipError_tPvRmT3_T4_T5_T6_T7_T9_mT8_P12ihipStream_tbDpT10_ENKUlT_T0_E_clISt17integral_constantIbLb1EES1E_EEDaS19_S1A_EUlS19_E_NS1_11comp_targetILNS1_3genE2ELNS1_11target_archE906ELNS1_3gpuE6ELNS1_3repE0EEENS1_30default_config_static_selectorELNS0_4arch9wavefront6targetE0EEEvT1_,"axG",@progbits,_ZN7rocprim17ROCPRIM_400000_NS6detail17trampoline_kernelINS0_14default_configENS1_25partition_config_selectorILNS1_17partition_subalgoE8ElNS0_10empty_typeEbEEZZNS1_14partition_implILS5_8ELb0ES3_jPlPS6_PKS6_NS0_5tupleIJS9_S6_EEENSD_IJSA_SA_EEENS0_18inequality_wrapperIZN2at6native12_GLOBAL__N_124unique_dim_cuda_templateIN3c104HalfEEESt5tupleIJNSH_6TensorESO_SO_EERKSO_lbbbEUlllE0_EEPmJS6_EEE10hipError_tPvRmT3_T4_T5_T6_T7_T9_mT8_P12ihipStream_tbDpT10_ENKUlT_T0_E_clISt17integral_constantIbLb1EES1E_EEDaS19_S1A_EUlS19_E_NS1_11comp_targetILNS1_3genE2ELNS1_11target_archE906ELNS1_3gpuE6ELNS1_3repE0EEENS1_30default_config_static_selectorELNS0_4arch9wavefront6targetE0EEEvT1_,comdat
.Lfunc_end1307:
	.size	_ZN7rocprim17ROCPRIM_400000_NS6detail17trampoline_kernelINS0_14default_configENS1_25partition_config_selectorILNS1_17partition_subalgoE8ElNS0_10empty_typeEbEEZZNS1_14partition_implILS5_8ELb0ES3_jPlPS6_PKS6_NS0_5tupleIJS9_S6_EEENSD_IJSA_SA_EEENS0_18inequality_wrapperIZN2at6native12_GLOBAL__N_124unique_dim_cuda_templateIN3c104HalfEEESt5tupleIJNSH_6TensorESO_SO_EERKSO_lbbbEUlllE0_EEPmJS6_EEE10hipError_tPvRmT3_T4_T5_T6_T7_T9_mT8_P12ihipStream_tbDpT10_ENKUlT_T0_E_clISt17integral_constantIbLb1EES1E_EEDaS19_S1A_EUlS19_E_NS1_11comp_targetILNS1_3genE2ELNS1_11target_archE906ELNS1_3gpuE6ELNS1_3repE0EEENS1_30default_config_static_selectorELNS0_4arch9wavefront6targetE0EEEvT1_, .Lfunc_end1307-_ZN7rocprim17ROCPRIM_400000_NS6detail17trampoline_kernelINS0_14default_configENS1_25partition_config_selectorILNS1_17partition_subalgoE8ElNS0_10empty_typeEbEEZZNS1_14partition_implILS5_8ELb0ES3_jPlPS6_PKS6_NS0_5tupleIJS9_S6_EEENSD_IJSA_SA_EEENS0_18inequality_wrapperIZN2at6native12_GLOBAL__N_124unique_dim_cuda_templateIN3c104HalfEEESt5tupleIJNSH_6TensorESO_SO_EERKSO_lbbbEUlllE0_EEPmJS6_EEE10hipError_tPvRmT3_T4_T5_T6_T7_T9_mT8_P12ihipStream_tbDpT10_ENKUlT_T0_E_clISt17integral_constantIbLb1EES1E_EEDaS19_S1A_EUlS19_E_NS1_11comp_targetILNS1_3genE2ELNS1_11target_archE906ELNS1_3gpuE6ELNS1_3repE0EEENS1_30default_config_static_selectorELNS0_4arch9wavefront6targetE0EEEvT1_
                                        ; -- End function
	.section	.AMDGPU.csdata,"",@progbits
; Kernel info:
; codeLenInByte = 0
; NumSgprs: 0
; NumVgprs: 0
; ScratchSize: 0
; MemoryBound: 0
; FloatMode: 240
; IeeeMode: 1
; LDSByteSize: 0 bytes/workgroup (compile time only)
; SGPRBlocks: 0
; VGPRBlocks: 0
; NumSGPRsForWavesPerEU: 1
; NumVGPRsForWavesPerEU: 1
; Occupancy: 16
; WaveLimiterHint : 0
; COMPUTE_PGM_RSRC2:SCRATCH_EN: 0
; COMPUTE_PGM_RSRC2:USER_SGPR: 15
; COMPUTE_PGM_RSRC2:TRAP_HANDLER: 0
; COMPUTE_PGM_RSRC2:TGID_X_EN: 1
; COMPUTE_PGM_RSRC2:TGID_Y_EN: 0
; COMPUTE_PGM_RSRC2:TGID_Z_EN: 0
; COMPUTE_PGM_RSRC2:TIDIG_COMP_CNT: 0
	.section	.text._ZN7rocprim17ROCPRIM_400000_NS6detail17trampoline_kernelINS0_14default_configENS1_25partition_config_selectorILNS1_17partition_subalgoE8ElNS0_10empty_typeEbEEZZNS1_14partition_implILS5_8ELb0ES3_jPlPS6_PKS6_NS0_5tupleIJS9_S6_EEENSD_IJSA_SA_EEENS0_18inequality_wrapperIZN2at6native12_GLOBAL__N_124unique_dim_cuda_templateIN3c104HalfEEESt5tupleIJNSH_6TensorESO_SO_EERKSO_lbbbEUlllE0_EEPmJS6_EEE10hipError_tPvRmT3_T4_T5_T6_T7_T9_mT8_P12ihipStream_tbDpT10_ENKUlT_T0_E_clISt17integral_constantIbLb1EES1E_EEDaS19_S1A_EUlS19_E_NS1_11comp_targetILNS1_3genE10ELNS1_11target_archE1200ELNS1_3gpuE4ELNS1_3repE0EEENS1_30default_config_static_selectorELNS0_4arch9wavefront6targetE0EEEvT1_,"axG",@progbits,_ZN7rocprim17ROCPRIM_400000_NS6detail17trampoline_kernelINS0_14default_configENS1_25partition_config_selectorILNS1_17partition_subalgoE8ElNS0_10empty_typeEbEEZZNS1_14partition_implILS5_8ELb0ES3_jPlPS6_PKS6_NS0_5tupleIJS9_S6_EEENSD_IJSA_SA_EEENS0_18inequality_wrapperIZN2at6native12_GLOBAL__N_124unique_dim_cuda_templateIN3c104HalfEEESt5tupleIJNSH_6TensorESO_SO_EERKSO_lbbbEUlllE0_EEPmJS6_EEE10hipError_tPvRmT3_T4_T5_T6_T7_T9_mT8_P12ihipStream_tbDpT10_ENKUlT_T0_E_clISt17integral_constantIbLb1EES1E_EEDaS19_S1A_EUlS19_E_NS1_11comp_targetILNS1_3genE10ELNS1_11target_archE1200ELNS1_3gpuE4ELNS1_3repE0EEENS1_30default_config_static_selectorELNS0_4arch9wavefront6targetE0EEEvT1_,comdat
	.globl	_ZN7rocprim17ROCPRIM_400000_NS6detail17trampoline_kernelINS0_14default_configENS1_25partition_config_selectorILNS1_17partition_subalgoE8ElNS0_10empty_typeEbEEZZNS1_14partition_implILS5_8ELb0ES3_jPlPS6_PKS6_NS0_5tupleIJS9_S6_EEENSD_IJSA_SA_EEENS0_18inequality_wrapperIZN2at6native12_GLOBAL__N_124unique_dim_cuda_templateIN3c104HalfEEESt5tupleIJNSH_6TensorESO_SO_EERKSO_lbbbEUlllE0_EEPmJS6_EEE10hipError_tPvRmT3_T4_T5_T6_T7_T9_mT8_P12ihipStream_tbDpT10_ENKUlT_T0_E_clISt17integral_constantIbLb1EES1E_EEDaS19_S1A_EUlS19_E_NS1_11comp_targetILNS1_3genE10ELNS1_11target_archE1200ELNS1_3gpuE4ELNS1_3repE0EEENS1_30default_config_static_selectorELNS0_4arch9wavefront6targetE0EEEvT1_ ; -- Begin function _ZN7rocprim17ROCPRIM_400000_NS6detail17trampoline_kernelINS0_14default_configENS1_25partition_config_selectorILNS1_17partition_subalgoE8ElNS0_10empty_typeEbEEZZNS1_14partition_implILS5_8ELb0ES3_jPlPS6_PKS6_NS0_5tupleIJS9_S6_EEENSD_IJSA_SA_EEENS0_18inequality_wrapperIZN2at6native12_GLOBAL__N_124unique_dim_cuda_templateIN3c104HalfEEESt5tupleIJNSH_6TensorESO_SO_EERKSO_lbbbEUlllE0_EEPmJS6_EEE10hipError_tPvRmT3_T4_T5_T6_T7_T9_mT8_P12ihipStream_tbDpT10_ENKUlT_T0_E_clISt17integral_constantIbLb1EES1E_EEDaS19_S1A_EUlS19_E_NS1_11comp_targetILNS1_3genE10ELNS1_11target_archE1200ELNS1_3gpuE4ELNS1_3repE0EEENS1_30default_config_static_selectorELNS0_4arch9wavefront6targetE0EEEvT1_
	.p2align	8
	.type	_ZN7rocprim17ROCPRIM_400000_NS6detail17trampoline_kernelINS0_14default_configENS1_25partition_config_selectorILNS1_17partition_subalgoE8ElNS0_10empty_typeEbEEZZNS1_14partition_implILS5_8ELb0ES3_jPlPS6_PKS6_NS0_5tupleIJS9_S6_EEENSD_IJSA_SA_EEENS0_18inequality_wrapperIZN2at6native12_GLOBAL__N_124unique_dim_cuda_templateIN3c104HalfEEESt5tupleIJNSH_6TensorESO_SO_EERKSO_lbbbEUlllE0_EEPmJS6_EEE10hipError_tPvRmT3_T4_T5_T6_T7_T9_mT8_P12ihipStream_tbDpT10_ENKUlT_T0_E_clISt17integral_constantIbLb1EES1E_EEDaS19_S1A_EUlS19_E_NS1_11comp_targetILNS1_3genE10ELNS1_11target_archE1200ELNS1_3gpuE4ELNS1_3repE0EEENS1_30default_config_static_selectorELNS0_4arch9wavefront6targetE0EEEvT1_,@function
_ZN7rocprim17ROCPRIM_400000_NS6detail17trampoline_kernelINS0_14default_configENS1_25partition_config_selectorILNS1_17partition_subalgoE8ElNS0_10empty_typeEbEEZZNS1_14partition_implILS5_8ELb0ES3_jPlPS6_PKS6_NS0_5tupleIJS9_S6_EEENSD_IJSA_SA_EEENS0_18inequality_wrapperIZN2at6native12_GLOBAL__N_124unique_dim_cuda_templateIN3c104HalfEEESt5tupleIJNSH_6TensorESO_SO_EERKSO_lbbbEUlllE0_EEPmJS6_EEE10hipError_tPvRmT3_T4_T5_T6_T7_T9_mT8_P12ihipStream_tbDpT10_ENKUlT_T0_E_clISt17integral_constantIbLb1EES1E_EEDaS19_S1A_EUlS19_E_NS1_11comp_targetILNS1_3genE10ELNS1_11target_archE1200ELNS1_3gpuE4ELNS1_3repE0EEENS1_30default_config_static_selectorELNS0_4arch9wavefront6targetE0EEEvT1_: ; @_ZN7rocprim17ROCPRIM_400000_NS6detail17trampoline_kernelINS0_14default_configENS1_25partition_config_selectorILNS1_17partition_subalgoE8ElNS0_10empty_typeEbEEZZNS1_14partition_implILS5_8ELb0ES3_jPlPS6_PKS6_NS0_5tupleIJS9_S6_EEENSD_IJSA_SA_EEENS0_18inequality_wrapperIZN2at6native12_GLOBAL__N_124unique_dim_cuda_templateIN3c104HalfEEESt5tupleIJNSH_6TensorESO_SO_EERKSO_lbbbEUlllE0_EEPmJS6_EEE10hipError_tPvRmT3_T4_T5_T6_T7_T9_mT8_P12ihipStream_tbDpT10_ENKUlT_T0_E_clISt17integral_constantIbLb1EES1E_EEDaS19_S1A_EUlS19_E_NS1_11comp_targetILNS1_3genE10ELNS1_11target_archE1200ELNS1_3gpuE4ELNS1_3repE0EEENS1_30default_config_static_selectorELNS0_4arch9wavefront6targetE0EEEvT1_
; %bb.0:
	.section	.rodata,"a",@progbits
	.p2align	6, 0x0
	.amdhsa_kernel _ZN7rocprim17ROCPRIM_400000_NS6detail17trampoline_kernelINS0_14default_configENS1_25partition_config_selectorILNS1_17partition_subalgoE8ElNS0_10empty_typeEbEEZZNS1_14partition_implILS5_8ELb0ES3_jPlPS6_PKS6_NS0_5tupleIJS9_S6_EEENSD_IJSA_SA_EEENS0_18inequality_wrapperIZN2at6native12_GLOBAL__N_124unique_dim_cuda_templateIN3c104HalfEEESt5tupleIJNSH_6TensorESO_SO_EERKSO_lbbbEUlllE0_EEPmJS6_EEE10hipError_tPvRmT3_T4_T5_T6_T7_T9_mT8_P12ihipStream_tbDpT10_ENKUlT_T0_E_clISt17integral_constantIbLb1EES1E_EEDaS19_S1A_EUlS19_E_NS1_11comp_targetILNS1_3genE10ELNS1_11target_archE1200ELNS1_3gpuE4ELNS1_3repE0EEENS1_30default_config_static_selectorELNS0_4arch9wavefront6targetE0EEEvT1_
		.amdhsa_group_segment_fixed_size 0
		.amdhsa_private_segment_fixed_size 0
		.amdhsa_kernarg_size 136
		.amdhsa_user_sgpr_count 15
		.amdhsa_user_sgpr_dispatch_ptr 0
		.amdhsa_user_sgpr_queue_ptr 0
		.amdhsa_user_sgpr_kernarg_segment_ptr 1
		.amdhsa_user_sgpr_dispatch_id 0
		.amdhsa_user_sgpr_private_segment_size 0
		.amdhsa_wavefront_size32 1
		.amdhsa_uses_dynamic_stack 0
		.amdhsa_enable_private_segment 0
		.amdhsa_system_sgpr_workgroup_id_x 1
		.amdhsa_system_sgpr_workgroup_id_y 0
		.amdhsa_system_sgpr_workgroup_id_z 0
		.amdhsa_system_sgpr_workgroup_info 0
		.amdhsa_system_vgpr_workitem_id 0
		.amdhsa_next_free_vgpr 1
		.amdhsa_next_free_sgpr 1
		.amdhsa_reserve_vcc 0
		.amdhsa_float_round_mode_32 0
		.amdhsa_float_round_mode_16_64 0
		.amdhsa_float_denorm_mode_32 3
		.amdhsa_float_denorm_mode_16_64 3
		.amdhsa_dx10_clamp 1
		.amdhsa_ieee_mode 1
		.amdhsa_fp16_overflow 0
		.amdhsa_workgroup_processor_mode 1
		.amdhsa_memory_ordered 1
		.amdhsa_forward_progress 0
		.amdhsa_shared_vgpr_count 0
		.amdhsa_exception_fp_ieee_invalid_op 0
		.amdhsa_exception_fp_denorm_src 0
		.amdhsa_exception_fp_ieee_div_zero 0
		.amdhsa_exception_fp_ieee_overflow 0
		.amdhsa_exception_fp_ieee_underflow 0
		.amdhsa_exception_fp_ieee_inexact 0
		.amdhsa_exception_int_div_zero 0
	.end_amdhsa_kernel
	.section	.text._ZN7rocprim17ROCPRIM_400000_NS6detail17trampoline_kernelINS0_14default_configENS1_25partition_config_selectorILNS1_17partition_subalgoE8ElNS0_10empty_typeEbEEZZNS1_14partition_implILS5_8ELb0ES3_jPlPS6_PKS6_NS0_5tupleIJS9_S6_EEENSD_IJSA_SA_EEENS0_18inequality_wrapperIZN2at6native12_GLOBAL__N_124unique_dim_cuda_templateIN3c104HalfEEESt5tupleIJNSH_6TensorESO_SO_EERKSO_lbbbEUlllE0_EEPmJS6_EEE10hipError_tPvRmT3_T4_T5_T6_T7_T9_mT8_P12ihipStream_tbDpT10_ENKUlT_T0_E_clISt17integral_constantIbLb1EES1E_EEDaS19_S1A_EUlS19_E_NS1_11comp_targetILNS1_3genE10ELNS1_11target_archE1200ELNS1_3gpuE4ELNS1_3repE0EEENS1_30default_config_static_selectorELNS0_4arch9wavefront6targetE0EEEvT1_,"axG",@progbits,_ZN7rocprim17ROCPRIM_400000_NS6detail17trampoline_kernelINS0_14default_configENS1_25partition_config_selectorILNS1_17partition_subalgoE8ElNS0_10empty_typeEbEEZZNS1_14partition_implILS5_8ELb0ES3_jPlPS6_PKS6_NS0_5tupleIJS9_S6_EEENSD_IJSA_SA_EEENS0_18inequality_wrapperIZN2at6native12_GLOBAL__N_124unique_dim_cuda_templateIN3c104HalfEEESt5tupleIJNSH_6TensorESO_SO_EERKSO_lbbbEUlllE0_EEPmJS6_EEE10hipError_tPvRmT3_T4_T5_T6_T7_T9_mT8_P12ihipStream_tbDpT10_ENKUlT_T0_E_clISt17integral_constantIbLb1EES1E_EEDaS19_S1A_EUlS19_E_NS1_11comp_targetILNS1_3genE10ELNS1_11target_archE1200ELNS1_3gpuE4ELNS1_3repE0EEENS1_30default_config_static_selectorELNS0_4arch9wavefront6targetE0EEEvT1_,comdat
.Lfunc_end1308:
	.size	_ZN7rocprim17ROCPRIM_400000_NS6detail17trampoline_kernelINS0_14default_configENS1_25partition_config_selectorILNS1_17partition_subalgoE8ElNS0_10empty_typeEbEEZZNS1_14partition_implILS5_8ELb0ES3_jPlPS6_PKS6_NS0_5tupleIJS9_S6_EEENSD_IJSA_SA_EEENS0_18inequality_wrapperIZN2at6native12_GLOBAL__N_124unique_dim_cuda_templateIN3c104HalfEEESt5tupleIJNSH_6TensorESO_SO_EERKSO_lbbbEUlllE0_EEPmJS6_EEE10hipError_tPvRmT3_T4_T5_T6_T7_T9_mT8_P12ihipStream_tbDpT10_ENKUlT_T0_E_clISt17integral_constantIbLb1EES1E_EEDaS19_S1A_EUlS19_E_NS1_11comp_targetILNS1_3genE10ELNS1_11target_archE1200ELNS1_3gpuE4ELNS1_3repE0EEENS1_30default_config_static_selectorELNS0_4arch9wavefront6targetE0EEEvT1_, .Lfunc_end1308-_ZN7rocprim17ROCPRIM_400000_NS6detail17trampoline_kernelINS0_14default_configENS1_25partition_config_selectorILNS1_17partition_subalgoE8ElNS0_10empty_typeEbEEZZNS1_14partition_implILS5_8ELb0ES3_jPlPS6_PKS6_NS0_5tupleIJS9_S6_EEENSD_IJSA_SA_EEENS0_18inequality_wrapperIZN2at6native12_GLOBAL__N_124unique_dim_cuda_templateIN3c104HalfEEESt5tupleIJNSH_6TensorESO_SO_EERKSO_lbbbEUlllE0_EEPmJS6_EEE10hipError_tPvRmT3_T4_T5_T6_T7_T9_mT8_P12ihipStream_tbDpT10_ENKUlT_T0_E_clISt17integral_constantIbLb1EES1E_EEDaS19_S1A_EUlS19_E_NS1_11comp_targetILNS1_3genE10ELNS1_11target_archE1200ELNS1_3gpuE4ELNS1_3repE0EEENS1_30default_config_static_selectorELNS0_4arch9wavefront6targetE0EEEvT1_
                                        ; -- End function
	.section	.AMDGPU.csdata,"",@progbits
; Kernel info:
; codeLenInByte = 0
; NumSgprs: 0
; NumVgprs: 0
; ScratchSize: 0
; MemoryBound: 0
; FloatMode: 240
; IeeeMode: 1
; LDSByteSize: 0 bytes/workgroup (compile time only)
; SGPRBlocks: 0
; VGPRBlocks: 0
; NumSGPRsForWavesPerEU: 1
; NumVGPRsForWavesPerEU: 1
; Occupancy: 15
; WaveLimiterHint : 0
; COMPUTE_PGM_RSRC2:SCRATCH_EN: 0
; COMPUTE_PGM_RSRC2:USER_SGPR: 15
; COMPUTE_PGM_RSRC2:TRAP_HANDLER: 0
; COMPUTE_PGM_RSRC2:TGID_X_EN: 1
; COMPUTE_PGM_RSRC2:TGID_Y_EN: 0
; COMPUTE_PGM_RSRC2:TGID_Z_EN: 0
; COMPUTE_PGM_RSRC2:TIDIG_COMP_CNT: 0
	.section	.text._ZN7rocprim17ROCPRIM_400000_NS6detail17trampoline_kernelINS0_14default_configENS1_25partition_config_selectorILNS1_17partition_subalgoE8ElNS0_10empty_typeEbEEZZNS1_14partition_implILS5_8ELb0ES3_jPlPS6_PKS6_NS0_5tupleIJS9_S6_EEENSD_IJSA_SA_EEENS0_18inequality_wrapperIZN2at6native12_GLOBAL__N_124unique_dim_cuda_templateIN3c104HalfEEESt5tupleIJNSH_6TensorESO_SO_EERKSO_lbbbEUlllE0_EEPmJS6_EEE10hipError_tPvRmT3_T4_T5_T6_T7_T9_mT8_P12ihipStream_tbDpT10_ENKUlT_T0_E_clISt17integral_constantIbLb1EES1E_EEDaS19_S1A_EUlS19_E_NS1_11comp_targetILNS1_3genE9ELNS1_11target_archE1100ELNS1_3gpuE3ELNS1_3repE0EEENS1_30default_config_static_selectorELNS0_4arch9wavefront6targetE0EEEvT1_,"axG",@progbits,_ZN7rocprim17ROCPRIM_400000_NS6detail17trampoline_kernelINS0_14default_configENS1_25partition_config_selectorILNS1_17partition_subalgoE8ElNS0_10empty_typeEbEEZZNS1_14partition_implILS5_8ELb0ES3_jPlPS6_PKS6_NS0_5tupleIJS9_S6_EEENSD_IJSA_SA_EEENS0_18inequality_wrapperIZN2at6native12_GLOBAL__N_124unique_dim_cuda_templateIN3c104HalfEEESt5tupleIJNSH_6TensorESO_SO_EERKSO_lbbbEUlllE0_EEPmJS6_EEE10hipError_tPvRmT3_T4_T5_T6_T7_T9_mT8_P12ihipStream_tbDpT10_ENKUlT_T0_E_clISt17integral_constantIbLb1EES1E_EEDaS19_S1A_EUlS19_E_NS1_11comp_targetILNS1_3genE9ELNS1_11target_archE1100ELNS1_3gpuE3ELNS1_3repE0EEENS1_30default_config_static_selectorELNS0_4arch9wavefront6targetE0EEEvT1_,comdat
	.globl	_ZN7rocprim17ROCPRIM_400000_NS6detail17trampoline_kernelINS0_14default_configENS1_25partition_config_selectorILNS1_17partition_subalgoE8ElNS0_10empty_typeEbEEZZNS1_14partition_implILS5_8ELb0ES3_jPlPS6_PKS6_NS0_5tupleIJS9_S6_EEENSD_IJSA_SA_EEENS0_18inequality_wrapperIZN2at6native12_GLOBAL__N_124unique_dim_cuda_templateIN3c104HalfEEESt5tupleIJNSH_6TensorESO_SO_EERKSO_lbbbEUlllE0_EEPmJS6_EEE10hipError_tPvRmT3_T4_T5_T6_T7_T9_mT8_P12ihipStream_tbDpT10_ENKUlT_T0_E_clISt17integral_constantIbLb1EES1E_EEDaS19_S1A_EUlS19_E_NS1_11comp_targetILNS1_3genE9ELNS1_11target_archE1100ELNS1_3gpuE3ELNS1_3repE0EEENS1_30default_config_static_selectorELNS0_4arch9wavefront6targetE0EEEvT1_ ; -- Begin function _ZN7rocprim17ROCPRIM_400000_NS6detail17trampoline_kernelINS0_14default_configENS1_25partition_config_selectorILNS1_17partition_subalgoE8ElNS0_10empty_typeEbEEZZNS1_14partition_implILS5_8ELb0ES3_jPlPS6_PKS6_NS0_5tupleIJS9_S6_EEENSD_IJSA_SA_EEENS0_18inequality_wrapperIZN2at6native12_GLOBAL__N_124unique_dim_cuda_templateIN3c104HalfEEESt5tupleIJNSH_6TensorESO_SO_EERKSO_lbbbEUlllE0_EEPmJS6_EEE10hipError_tPvRmT3_T4_T5_T6_T7_T9_mT8_P12ihipStream_tbDpT10_ENKUlT_T0_E_clISt17integral_constantIbLb1EES1E_EEDaS19_S1A_EUlS19_E_NS1_11comp_targetILNS1_3genE9ELNS1_11target_archE1100ELNS1_3gpuE3ELNS1_3repE0EEENS1_30default_config_static_selectorELNS0_4arch9wavefront6targetE0EEEvT1_
	.p2align	8
	.type	_ZN7rocprim17ROCPRIM_400000_NS6detail17trampoline_kernelINS0_14default_configENS1_25partition_config_selectorILNS1_17partition_subalgoE8ElNS0_10empty_typeEbEEZZNS1_14partition_implILS5_8ELb0ES3_jPlPS6_PKS6_NS0_5tupleIJS9_S6_EEENSD_IJSA_SA_EEENS0_18inequality_wrapperIZN2at6native12_GLOBAL__N_124unique_dim_cuda_templateIN3c104HalfEEESt5tupleIJNSH_6TensorESO_SO_EERKSO_lbbbEUlllE0_EEPmJS6_EEE10hipError_tPvRmT3_T4_T5_T6_T7_T9_mT8_P12ihipStream_tbDpT10_ENKUlT_T0_E_clISt17integral_constantIbLb1EES1E_EEDaS19_S1A_EUlS19_E_NS1_11comp_targetILNS1_3genE9ELNS1_11target_archE1100ELNS1_3gpuE3ELNS1_3repE0EEENS1_30default_config_static_selectorELNS0_4arch9wavefront6targetE0EEEvT1_,@function
_ZN7rocprim17ROCPRIM_400000_NS6detail17trampoline_kernelINS0_14default_configENS1_25partition_config_selectorILNS1_17partition_subalgoE8ElNS0_10empty_typeEbEEZZNS1_14partition_implILS5_8ELb0ES3_jPlPS6_PKS6_NS0_5tupleIJS9_S6_EEENSD_IJSA_SA_EEENS0_18inequality_wrapperIZN2at6native12_GLOBAL__N_124unique_dim_cuda_templateIN3c104HalfEEESt5tupleIJNSH_6TensorESO_SO_EERKSO_lbbbEUlllE0_EEPmJS6_EEE10hipError_tPvRmT3_T4_T5_T6_T7_T9_mT8_P12ihipStream_tbDpT10_ENKUlT_T0_E_clISt17integral_constantIbLb1EES1E_EEDaS19_S1A_EUlS19_E_NS1_11comp_targetILNS1_3genE9ELNS1_11target_archE1100ELNS1_3gpuE3ELNS1_3repE0EEENS1_30default_config_static_selectorELNS0_4arch9wavefront6targetE0EEEvT1_: ; @_ZN7rocprim17ROCPRIM_400000_NS6detail17trampoline_kernelINS0_14default_configENS1_25partition_config_selectorILNS1_17partition_subalgoE8ElNS0_10empty_typeEbEEZZNS1_14partition_implILS5_8ELb0ES3_jPlPS6_PKS6_NS0_5tupleIJS9_S6_EEENSD_IJSA_SA_EEENS0_18inequality_wrapperIZN2at6native12_GLOBAL__N_124unique_dim_cuda_templateIN3c104HalfEEESt5tupleIJNSH_6TensorESO_SO_EERKSO_lbbbEUlllE0_EEPmJS6_EEE10hipError_tPvRmT3_T4_T5_T6_T7_T9_mT8_P12ihipStream_tbDpT10_ENKUlT_T0_E_clISt17integral_constantIbLb1EES1E_EEDaS19_S1A_EUlS19_E_NS1_11comp_targetILNS1_3genE9ELNS1_11target_archE1100ELNS1_3gpuE3ELNS1_3repE0EEENS1_30default_config_static_selectorELNS0_4arch9wavefront6targetE0EEEvT1_
; %bb.0:
	s_clause 0x2
	s_load_b64 s[20:21], s[0:1], 0x28
	s_load_b256 s[8:15], s[0:1], 0x40
	s_load_b128 s[16:19], s[0:1], 0x60
	v_cmp_ne_u32_e64 s3, 0, v0
	v_cmp_eq_u32_e64 s2, 0, v0
	s_delay_alu instid0(VALU_DEP_1)
	s_and_saveexec_b32 s4, s2
	s_cbranch_execz .LBB1309_4
; %bb.1:
	s_mov_b32 s6, exec_lo
	s_mov_b32 s5, exec_lo
	v_mbcnt_lo_u32_b32 v1, s6, 0
                                        ; implicit-def: $vgpr2
	s_delay_alu instid0(VALU_DEP_1)
	v_cmpx_eq_u32_e32 0, v1
	s_cbranch_execz .LBB1309_3
; %bb.2:
	s_load_b64 s[22:23], s[0:1], 0x78
	s_bcnt1_i32_b32 s6, s6
	s_delay_alu instid0(SALU_CYCLE_1)
	v_dual_mov_b32 v2, 0 :: v_dual_mov_b32 v3, s6
	s_waitcnt lgkmcnt(0)
	global_atomic_add_u32 v2, v2, v3, s[22:23] glc
.LBB1309_3:
	s_or_b32 exec_lo, exec_lo, s5
	s_waitcnt vmcnt(0)
	v_readfirstlane_b32 s5, v2
	s_delay_alu instid0(VALU_DEP_1)
	v_dual_mov_b32 v2, 0 :: v_dual_add_nc_u32 v1, s5, v1
	ds_store_b32 v2, v1
.LBB1309_4:
	s_or_b32 exec_lo, exec_lo, s4
	v_dual_mov_b32 v2, 0 :: v_dual_lshlrev_b32 v39, 3, v0
	s_clause 0x1
	s_load_b128 s[4:7], s[0:1], 0x8
	s_load_b32 s0, s[0:1], 0x70
	s_waitcnt lgkmcnt(0)
	s_barrier
	buffer_gl0_inv
	ds_load_b32 v1, v2
	s_waitcnt lgkmcnt(0)
	s_barrier
	buffer_gl0_inv
	global_load_b64 v[3:4], v2, s[10:11]
	v_lshrrev_b32_e32 v19, 2, v0
	v_or_b32_e32 v26, 0x200, v0
	v_or_b32_e32 v25, 0x400, v0
	;; [unrolled: 1-line block ×7, first 2 shown]
	s_lshl_b64 s[10:11], s[6:7], 3
	s_delay_alu instid0(SALU_CYCLE_1)
	s_add_u32 s10, s4, s10
	s_addc_u32 s11, s5, s11
	s_add_i32 s1, s0, -1
	v_readfirstlane_b32 s23, v1
	s_lshl_b32 s4, s1, 12
	v_lshlrev_b32_e32 v1, 12, v1
	s_lshl_b32 s5, s0, 12
	s_add_i32 s0, s6, s4
	s_add_u32 s4, s6, s5
	s_addc_u32 s5, s7, 0
	v_lshlrev_b64 v[1:2], 3, v[1:2]
	v_cmp_ge_u64_e64 s4, s[4:5], s[12:13]
	s_cmp_eq_u32 s23, s1
	s_cselect_b32 s13, -1, 0
	s_delay_alu instid0(VALU_DEP_2) | instskip(NEXT) | instid1(VALU_DEP_2)
	v_add_co_u32 v17, vcc_lo, s10, v1
	s_and_b32 s1, s4, s13
	v_add_co_ci_u32_e32 v18, vcc_lo, s11, v2, vcc_lo
	s_xor_b32 s22, s1, -1
	s_mov_b32 s4, -1
	s_and_b32 vcc_lo, exec_lo, s22
	s_waitcnt vmcnt(0)
	v_readfirstlane_b32 s10, v3
	v_readfirstlane_b32 s11, v4
	s_cbranch_vccz .LBB1309_6
; %bb.5:
	v_add_co_u32 v9, vcc_lo, v17, v39
	v_add_co_ci_u32_e32 v10, vcc_lo, 0, v18, vcc_lo
	v_readfirstlane_b32 s4, v17
	s_delay_alu instid0(VALU_DEP_3) | instskip(NEXT) | instid1(VALU_DEP_3)
	v_add_co_u32 v3, vcc_lo, v9, 0x2000
	v_add_co_ci_u32_e32 v4, vcc_lo, 0, v10, vcc_lo
	v_add_co_u32 v5, vcc_lo, v9, 0x4000
	v_add_co_ci_u32_e32 v6, vcc_lo, 0, v10, vcc_lo
	v_add_co_u32 v7, vcc_lo, v9, 0x6000
	v_readfirstlane_b32 s5, v18
	v_add_co_ci_u32_e32 v8, vcc_lo, 0, v10, vcc_lo
	v_add_co_u32 v9, vcc_lo, 0x7000, v9
	v_add_co_ci_u32_e32 v10, vcc_lo, 0, v10, vcc_lo
	s_clause 0x7
	global_load_b64 v[1:2], v39, s[4:5]
	global_load_b64 v[11:12], v[3:4], off offset:-4096
	global_load_b64 v[3:4], v[3:4], off
	global_load_b64 v[13:14], v[5:6], off offset:-4096
	global_load_b64 v[5:6], v[5:6], off
	;; [unrolled: 2-line block ×3, first 2 shown]
	global_load_b64 v[9:10], v[9:10], off
	v_lshrrev_b32_e32 v28, 2, v26
	v_lshrrev_b32_e32 v29, 2, v25
	;; [unrolled: 1-line block ×4, first 2 shown]
	v_and_b32_e32 v27, 0x78, v19
	v_lshrrev_b32_e32 v32, 2, v22
	v_lshrrev_b32_e32 v33, 2, v21
	;; [unrolled: 1-line block ×3, first 2 shown]
	v_and_b32_e32 v28, 0xf8, v28
	v_and_b32_e32 v29, 0x178, v29
	;; [unrolled: 1-line block ×4, first 2 shown]
	v_add_nc_u32_e32 v27, v27, v39
	v_and_b32_e32 v32, 0x2f8, v32
	v_and_b32_e32 v33, 0x378, v33
	;; [unrolled: 1-line block ×3, first 2 shown]
	v_add_nc_u32_e32 v28, v28, v39
	v_add_nc_u32_e32 v29, v29, v39
	;; [unrolled: 1-line block ×4, first 2 shown]
	s_mov_b32 s4, 0
	v_add_nc_u32_e32 v32, v32, v39
	v_add_nc_u32_e32 v33, v33, v39
	;; [unrolled: 1-line block ×3, first 2 shown]
	s_waitcnt vmcnt(7)
	ds_store_b64 v27, v[1:2]
	s_waitcnt vmcnt(6)
	ds_store_b64 v28, v[11:12] offset:4096
	s_waitcnt vmcnt(5)
	ds_store_b64 v29, v[3:4] offset:8192
	;; [unrolled: 2-line block ×7, first 2 shown]
	s_waitcnt lgkmcnt(0)
	s_barrier
.LBB1309_6:
	s_and_not1_b32 vcc_lo, exec_lo, s4
	s_sub_i32 s12, s12, s0
	s_cbranch_vccnz .LBB1309_17
; %bb.7:
	s_mov_b32 s0, exec_lo
                                        ; implicit-def: $vgpr1_vgpr2_vgpr3_vgpr4_vgpr5_vgpr6_vgpr7_vgpr8_vgpr9_vgpr10_vgpr11_vgpr12_vgpr13_vgpr14_vgpr15_vgpr16
	v_cmpx_gt_u32_e64 s12, v0
	s_cbranch_execnz .LBB1309_27
; %bb.8:
	s_or_b32 exec_lo, exec_lo, s0
	s_delay_alu instid0(SALU_CYCLE_1)
	s_mov_b32 s0, exec_lo
	v_cmpx_gt_u32_e64 s12, v26
	s_cbranch_execnz .LBB1309_28
.LBB1309_9:
	s_or_b32 exec_lo, exec_lo, s0
	s_delay_alu instid0(SALU_CYCLE_1)
	s_mov_b32 s0, exec_lo
	v_cmpx_gt_u32_e64 s12, v25
	s_cbranch_execnz .LBB1309_29
.LBB1309_10:
	s_or_b32 exec_lo, exec_lo, s0
	s_delay_alu instid0(SALU_CYCLE_1)
	s_mov_b32 s0, exec_lo
	v_cmpx_gt_u32_e64 s12, v24
	s_cbranch_execnz .LBB1309_30
.LBB1309_11:
	s_or_b32 exec_lo, exec_lo, s0
	s_delay_alu instid0(SALU_CYCLE_1)
	s_mov_b32 s0, exec_lo
	v_cmpx_gt_u32_e64 s12, v23
	s_cbranch_execnz .LBB1309_31
.LBB1309_12:
	s_or_b32 exec_lo, exec_lo, s0
	s_delay_alu instid0(SALU_CYCLE_1)
	s_mov_b32 s0, exec_lo
	v_cmpx_gt_u32_e64 s12, v22
	s_cbranch_execnz .LBB1309_32
.LBB1309_13:
	s_or_b32 exec_lo, exec_lo, s0
	s_delay_alu instid0(SALU_CYCLE_1)
	s_mov_b32 s0, exec_lo
	v_cmpx_gt_u32_e64 s12, v21
	s_cbranch_execnz .LBB1309_33
.LBB1309_14:
	s_or_b32 exec_lo, exec_lo, s0
	s_delay_alu instid0(SALU_CYCLE_1)
	s_mov_b32 s0, exec_lo
	v_cmpx_gt_u32_e64 s12, v20
	s_cbranch_execz .LBB1309_16
.LBB1309_15:
	v_lshlrev_b32_e32 v15, 3, v20
	v_readfirstlane_b32 s4, v17
	v_readfirstlane_b32 s5, v18
	global_load_b64 v[15:16], v15, s[4:5]
.LBB1309_16:
	s_or_b32 exec_lo, exec_lo, s0
	v_lshrrev_b32_e32 v26, 2, v26
	v_lshrrev_b32_e32 v25, 2, v25
	;; [unrolled: 1-line block ×4, first 2 shown]
	v_and_b32_e32 v27, 0x78, v19
	v_lshrrev_b32_e32 v22, 2, v22
	v_lshrrev_b32_e32 v21, 2, v21
	;; [unrolled: 1-line block ×3, first 2 shown]
	v_and_b32_e32 v26, 0xf8, v26
	v_and_b32_e32 v25, 0x1f8, v25
	;; [unrolled: 1-line block ×4, first 2 shown]
	v_add_nc_u32_e32 v27, v27, v39
	v_and_b32_e32 v22, 0x3f8, v22
	v_and_b32_e32 v21, 0x3f8, v21
	v_and_b32_e32 v20, 0x3f8, v20
	v_add_nc_u32_e32 v26, v26, v39
	v_add_nc_u32_e32 v25, v25, v39
	;; [unrolled: 1-line block ×7, first 2 shown]
	s_waitcnt vmcnt(0)
	ds_store_b64 v27, v[1:2]
	ds_store_b64 v26, v[3:4] offset:4096
	ds_store_b64 v25, v[5:6] offset:8192
	;; [unrolled: 1-line block ×7, first 2 shown]
	s_waitcnt lgkmcnt(0)
	s_barrier
.LBB1309_17:
	v_add_lshl_u32 v1, v19, v39, 3
	buffer_gl0_inv
	s_cmp_lg_u32 s23, 0
	v_cmp_gt_i64_e64 s26, s[14:15], 0
	s_cselect_b32 s24, -1, 0
	ds_load_2addr_b64 v[13:16], v1 offset1:1
	ds_load_2addr_b64 v[9:12], v1 offset0:2 offset1:3
	ds_load_2addr_b64 v[5:8], v1 offset0:4 offset1:5
	;; [unrolled: 1-line block ×3, first 2 shown]
	s_cmp_lg_u64 s[6:7], 0
	s_mov_b32 s25, 0
	s_cselect_b32 s0, -1, 0
	s_waitcnt lgkmcnt(0)
	s_or_b32 s0, s0, s24
	s_barrier
	s_and_b32 vcc_lo, exec_lo, s0
	buffer_gl0_inv
	s_cbranch_vccz .LBB1309_26
; %bb.18:
	global_load_b64 v[17:18], v[17:18], off offset:-8
	v_cndmask_b32_e64 v27, 0, 1, s26
	s_and_b32 vcc_lo, exec_lo, s22
	ds_store_b64 v39, v[3:4]
	v_cmp_ne_u32_e64 s0, 1, v27
	s_cbranch_vccz .LBB1309_34
; %bb.19:
	v_mul_lo_u32 v21, v2, s14
	v_mul_lo_u32 v22, v1, s15
	v_mad_u64_u32 v[19:20], null, v1, s14, 0
	s_and_b32 vcc_lo, exec_lo, s0
	s_mov_b32 s27, 0
	s_delay_alu instid0(VALU_DEP_1) | instskip(NEXT) | instid1(VALU_DEP_1)
	v_add3_u32 v20, v20, v22, v21
	v_lshlrev_b64 v[19:20], 1, v[19:20]
	s_cbranch_vccnz .LBB1309_37
; %bb.20:
	v_mul_lo_u32 v23, v4, s14
	v_mul_lo_u32 v24, v3, s15
	v_mad_u64_u32 v[21:22], null, v3, s14, 0
	s_mov_b32 s27, -1
	s_mov_b32 s28, exec_lo
	s_delay_alu instid0(VALU_DEP_1) | instskip(SKIP_2) | instid1(VALU_DEP_3)
	v_add3_u32 v22, v22, v24, v23
	v_add_co_u32 v23, vcc_lo, s16, v19
	v_add_co_ci_u32_e32 v24, vcc_lo, s17, v20, vcc_lo
	v_lshlrev_b64 v[21:22], 1, v[21:22]
	s_delay_alu instid0(VALU_DEP_1) | instskip(NEXT) | instid1(VALU_DEP_2)
	v_add_co_u32 v21, vcc_lo, s16, v21
	v_add_co_ci_u32_e32 v22, vcc_lo, s17, v22, vcc_lo
	s_clause 0x1
	global_load_u16 v25, v[23:24], off
	global_load_u16 v26, v[21:22], off
	s_waitcnt vmcnt(0)
	v_cmpx_eq_f16_e32 v25, v26
	s_cbranch_execz .LBB1309_36
; %bb.21:
	v_add_co_u32 v21, vcc_lo, v21, 2
	v_add_co_ci_u32_e32 v22, vcc_lo, 0, v22, vcc_lo
	v_add_co_u32 v23, vcc_lo, v23, 2
	v_add_co_ci_u32_e32 v24, vcc_lo, 0, v24, vcc_lo
	s_add_u32 s4, s14, -1
	s_addc_u32 s5, s15, -1
	s_mov_b64 s[6:7], 0
	s_mov_b32 s27, 0
                                        ; implicit-def: $sgpr29
	s_set_inst_prefetch_distance 0x1
	s_branch .LBB1309_24
	.p2align	6
.LBB1309_22:                            ;   in Loop: Header=BB1309_24 Depth=1
	global_load_u16 v25, v[23:24], off
	global_load_u16 v26, v[21:22], off
	v_add_co_u32 v21, vcc_lo, v21, 2
	v_add_co_ci_u32_e32 v22, vcc_lo, 0, v22, vcc_lo
	v_add_co_u32 v23, s0, v23, 2
	s_delay_alu instid0(VALU_DEP_1)
	v_add_co_ci_u32_e64 v24, s0, 0, v24, s0
	s_add_u32 s6, s6, 1
	s_addc_u32 s7, s7, 0
	s_and_not1_b32 s0, s29, exec_lo
	s_waitcnt vmcnt(0)
	v_cmp_neq_f16_e32 vcc_lo, v25, v26
	s_and_b32 s29, vcc_lo, exec_lo
	s_delay_alu instid0(SALU_CYCLE_1)
	s_or_b32 s29, s0, s29
.LBB1309_23:                            ;   in Loop: Header=BB1309_24 Depth=1
	v_dual_mov_b32 v26, s7 :: v_dual_mov_b32 v25, s6
	s_and_b32 s0, exec_lo, s29
	s_delay_alu instid0(SALU_CYCLE_1) | instskip(NEXT) | instid1(SALU_CYCLE_1)
	s_or_b32 s27, s0, s27
	s_and_not1_b32 exec_lo, exec_lo, s27
	s_cbranch_execz .LBB1309_35
.LBB1309_24:                            ; =>This Inner Loop Header: Depth=1
	s_or_b32 s29, s29, exec_lo
	s_cmp_eq_u64 s[4:5], s[6:7]
	s_cbranch_scc0 .LBB1309_22
; %bb.25:                               ;   in Loop: Header=BB1309_24 Depth=1
	s_mov_b64 s[6:7], s[14:15]
                                        ; implicit-def: $vgpr21_vgpr22
                                        ; implicit-def: $vgpr23_vgpr24
	s_branch .LBB1309_23
.LBB1309_26:
                                        ; implicit-def: $sgpr0
                                        ; implicit-def: $vgpr20
	s_branch .LBB1309_195
.LBB1309_27:
	v_readfirstlane_b32 s4, v17
	v_readfirstlane_b32 s5, v18
	global_load_b64 v[1:2], v39, s[4:5]
	s_or_b32 exec_lo, exec_lo, s0
	s_delay_alu instid0(SALU_CYCLE_1)
	s_mov_b32 s0, exec_lo
	v_cmpx_gt_u32_e64 s12, v26
	s_cbranch_execz .LBB1309_9
.LBB1309_28:
	v_lshlrev_b32_e32 v3, 3, v26
	v_readfirstlane_b32 s4, v17
	v_readfirstlane_b32 s5, v18
	global_load_b64 v[3:4], v3, s[4:5]
	s_or_b32 exec_lo, exec_lo, s0
	s_delay_alu instid0(SALU_CYCLE_1)
	s_mov_b32 s0, exec_lo
	v_cmpx_gt_u32_e64 s12, v25
	s_cbranch_execz .LBB1309_10
.LBB1309_29:
	v_lshlrev_b32_e32 v5, 3, v25
	v_readfirstlane_b32 s4, v17
	v_readfirstlane_b32 s5, v18
	global_load_b64 v[5:6], v5, s[4:5]
	s_or_b32 exec_lo, exec_lo, s0
	s_delay_alu instid0(SALU_CYCLE_1)
	s_mov_b32 s0, exec_lo
	v_cmpx_gt_u32_e64 s12, v24
	s_cbranch_execz .LBB1309_11
.LBB1309_30:
	v_lshlrev_b32_e32 v7, 3, v24
	v_readfirstlane_b32 s4, v17
	v_readfirstlane_b32 s5, v18
	global_load_b64 v[7:8], v7, s[4:5]
	s_or_b32 exec_lo, exec_lo, s0
	s_delay_alu instid0(SALU_CYCLE_1)
	s_mov_b32 s0, exec_lo
	v_cmpx_gt_u32_e64 s12, v23
	s_cbranch_execz .LBB1309_12
.LBB1309_31:
	v_lshlrev_b32_e32 v9, 3, v23
	v_readfirstlane_b32 s4, v17
	v_readfirstlane_b32 s5, v18
	global_load_b64 v[9:10], v9, s[4:5]
	s_or_b32 exec_lo, exec_lo, s0
	s_delay_alu instid0(SALU_CYCLE_1)
	s_mov_b32 s0, exec_lo
	v_cmpx_gt_u32_e64 s12, v22
	s_cbranch_execz .LBB1309_13
.LBB1309_32:
	v_lshlrev_b32_e32 v11, 3, v22
	v_readfirstlane_b32 s4, v17
	v_readfirstlane_b32 s5, v18
	global_load_b64 v[11:12], v11, s[4:5]
	s_or_b32 exec_lo, exec_lo, s0
	s_delay_alu instid0(SALU_CYCLE_1)
	s_mov_b32 s0, exec_lo
	v_cmpx_gt_u32_e64 s12, v21
	s_cbranch_execz .LBB1309_14
.LBB1309_33:
	v_lshlrev_b32_e32 v13, 3, v21
	v_readfirstlane_b32 s4, v17
	v_readfirstlane_b32 s5, v18
	global_load_b64 v[13:14], v13, s[4:5]
	s_or_b32 exec_lo, exec_lo, s0
	s_delay_alu instid0(SALU_CYCLE_1)
	s_mov_b32 s0, exec_lo
	v_cmpx_gt_u32_e64 s12, v20
	s_cbranch_execnz .LBB1309_15
	s_branch .LBB1309_16
.LBB1309_34:
                                        ; implicit-def: $sgpr0
                                        ; implicit-def: $vgpr20
	s_cbranch_execnz .LBB1309_103
	s_branch .LBB1309_194
.LBB1309_35:
	s_set_inst_prefetch_distance 0x2
	s_or_b32 exec_lo, exec_lo, s27
	v_cmp_gt_i64_e32 vcc_lo, s[14:15], v[25:26]
	s_or_not1_b32 s27, vcc_lo, exec_lo
.LBB1309_36:
	s_or_b32 exec_lo, exec_lo, s28
.LBB1309_37:
	v_mul_lo_u32 v23, v8, s14
	v_mul_lo_u32 v24, v7, s15
	v_mad_u64_u32 v[21:22], null, v7, s14, 0
	s_and_not1_b32 vcc_lo, exec_lo, s26
	s_delay_alu instid0(VALU_DEP_1) | instskip(NEXT) | instid1(VALU_DEP_1)
	v_add3_u32 v22, v22, v24, v23
	v_lshlrev_b64 v[21:22], 1, v[21:22]
	s_cbranch_vccnz .LBB1309_46
; %bb.38:
	s_delay_alu instid0(VALU_DEP_1) | instskip(NEXT) | instid1(VALU_DEP_2)
	v_add_co_u32 v23, vcc_lo, s16, v21
	v_add_co_ci_u32_e32 v24, vcc_lo, s17, v22, vcc_lo
	v_add_co_u32 v19, vcc_lo, s16, v19
	v_add_co_ci_u32_e32 v20, vcc_lo, s17, v20, vcc_lo
	s_mov_b32 s25, -1
	s_clause 0x1
	global_load_u16 v25, v[23:24], off
	global_load_u16 v26, v[19:20], off
	s_mov_b32 s28, exec_lo
	s_waitcnt vmcnt(0)
	v_cmpx_eq_f16_e32 v25, v26
	s_cbranch_execz .LBB1309_45
; %bb.39:
	v_add_co_u32 v19, vcc_lo, v19, 2
	v_add_co_ci_u32_e32 v20, vcc_lo, 0, v20, vcc_lo
	v_add_co_u32 v23, vcc_lo, v23, 2
	v_add_co_ci_u32_e32 v24, vcc_lo, 0, v24, vcc_lo
	s_add_u32 s4, s14, -1
	s_addc_u32 s5, s15, -1
	s_mov_b64 s[6:7], 0
	s_mov_b32 s25, 0
                                        ; implicit-def: $sgpr29
	s_set_inst_prefetch_distance 0x1
	s_branch .LBB1309_42
	.p2align	6
.LBB1309_40:                            ;   in Loop: Header=BB1309_42 Depth=1
	global_load_u16 v25, v[23:24], off
	global_load_u16 v26, v[19:20], off
	v_add_co_u32 v19, vcc_lo, v19, 2
	v_add_co_ci_u32_e32 v20, vcc_lo, 0, v20, vcc_lo
	v_add_co_u32 v23, s0, v23, 2
	s_delay_alu instid0(VALU_DEP_1)
	v_add_co_ci_u32_e64 v24, s0, 0, v24, s0
	s_add_u32 s6, s6, 1
	s_addc_u32 s7, s7, 0
	s_and_not1_b32 s0, s29, exec_lo
	s_waitcnt vmcnt(0)
	v_cmp_neq_f16_e32 vcc_lo, v25, v26
	s_and_b32 s29, vcc_lo, exec_lo
	s_delay_alu instid0(SALU_CYCLE_1)
	s_or_b32 s29, s0, s29
.LBB1309_41:                            ;   in Loop: Header=BB1309_42 Depth=1
	v_dual_mov_b32 v26, s7 :: v_dual_mov_b32 v25, s6
	s_and_b32 s0, exec_lo, s29
	s_delay_alu instid0(SALU_CYCLE_1) | instskip(NEXT) | instid1(SALU_CYCLE_1)
	s_or_b32 s25, s0, s25
	s_and_not1_b32 exec_lo, exec_lo, s25
	s_cbranch_execz .LBB1309_44
.LBB1309_42:                            ; =>This Inner Loop Header: Depth=1
	s_or_b32 s29, s29, exec_lo
	s_cmp_eq_u64 s[4:5], s[6:7]
	s_cbranch_scc0 .LBB1309_40
; %bb.43:                               ;   in Loop: Header=BB1309_42 Depth=1
	s_mov_b64 s[6:7], s[14:15]
                                        ; implicit-def: $vgpr19_vgpr20
                                        ; implicit-def: $vgpr23_vgpr24
	s_branch .LBB1309_41
.LBB1309_44:
	s_set_inst_prefetch_distance 0x2
	s_or_b32 exec_lo, exec_lo, s25
	v_cmp_gt_i64_e32 vcc_lo, s[14:15], v[25:26]
	s_or_not1_b32 s25, vcc_lo, exec_lo
.LBB1309_45:
	s_or_b32 exec_lo, exec_lo, s28
.LBB1309_46:
	v_mul_lo_u32 v23, v6, s14
	v_mul_lo_u32 v24, v5, s15
	v_mad_u64_u32 v[19:20], null, v5, s14, 0
	s_mov_b32 s28, 0
	s_and_not1_b32 vcc_lo, exec_lo, s26
	s_mov_b32 s29, 0
	s_delay_alu instid0(VALU_DEP_1) | instskip(NEXT) | instid1(VALU_DEP_1)
	v_add3_u32 v20, v20, v24, v23
	v_lshlrev_b64 v[23:24], 1, v[19:20]
	s_cbranch_vccnz .LBB1309_55
; %bb.47:
	s_delay_alu instid0(VALU_DEP_1) | instskip(NEXT) | instid1(VALU_DEP_2)
	v_add_co_u32 v25, vcc_lo, s16, v23
	v_add_co_ci_u32_e32 v26, vcc_lo, s17, v24, vcc_lo
	v_add_co_u32 v19, vcc_lo, s16, v21
	v_add_co_ci_u32_e32 v20, vcc_lo, s17, v22, vcc_lo
	s_mov_b32 s29, -1
	s_clause 0x1
	global_load_u16 v21, v[25:26], off
	global_load_u16 v22, v[19:20], off
	s_mov_b32 s30, exec_lo
	s_waitcnt vmcnt(0)
	v_cmpx_eq_f16_e32 v21, v22
	s_cbranch_execz .LBB1309_54
; %bb.48:
	v_add_co_u32 v19, vcc_lo, v19, 2
	v_add_co_ci_u32_e32 v20, vcc_lo, 0, v20, vcc_lo
	v_add_co_u32 v21, vcc_lo, v25, 2
	v_add_co_ci_u32_e32 v22, vcc_lo, 0, v26, vcc_lo
	s_add_u32 s4, s14, -1
	s_addc_u32 s5, s15, -1
	s_mov_b64 s[6:7], 0
	s_mov_b32 s29, 0
                                        ; implicit-def: $sgpr31
	s_set_inst_prefetch_distance 0x1
	s_branch .LBB1309_51
	.p2align	6
.LBB1309_49:                            ;   in Loop: Header=BB1309_51 Depth=1
	global_load_u16 v25, v[21:22], off
	global_load_u16 v26, v[19:20], off
	v_add_co_u32 v19, vcc_lo, v19, 2
	v_add_co_ci_u32_e32 v20, vcc_lo, 0, v20, vcc_lo
	v_add_co_u32 v21, s0, v21, 2
	s_delay_alu instid0(VALU_DEP_1)
	v_add_co_ci_u32_e64 v22, s0, 0, v22, s0
	s_add_u32 s6, s6, 1
	s_addc_u32 s7, s7, 0
	s_and_not1_b32 s0, s31, exec_lo
	s_waitcnt vmcnt(0)
	v_cmp_neq_f16_e32 vcc_lo, v25, v26
	s_and_b32 s31, vcc_lo, exec_lo
	s_delay_alu instid0(SALU_CYCLE_1)
	s_or_b32 s31, s0, s31
.LBB1309_50:                            ;   in Loop: Header=BB1309_51 Depth=1
	v_dual_mov_b32 v26, s7 :: v_dual_mov_b32 v25, s6
	s_and_b32 s0, exec_lo, s31
	s_delay_alu instid0(SALU_CYCLE_1) | instskip(NEXT) | instid1(SALU_CYCLE_1)
	s_or_b32 s29, s0, s29
	s_and_not1_b32 exec_lo, exec_lo, s29
	s_cbranch_execz .LBB1309_53
.LBB1309_51:                            ; =>This Inner Loop Header: Depth=1
	s_or_b32 s31, s31, exec_lo
	s_cmp_eq_u64 s[4:5], s[6:7]
	s_cbranch_scc0 .LBB1309_49
; %bb.52:                               ;   in Loop: Header=BB1309_51 Depth=1
	s_mov_b64 s[6:7], s[14:15]
                                        ; implicit-def: $vgpr19_vgpr20
                                        ; implicit-def: $vgpr21_vgpr22
	s_branch .LBB1309_50
.LBB1309_53:
	s_set_inst_prefetch_distance 0x2
	s_or_b32 exec_lo, exec_lo, s29
	v_cmp_gt_i64_e32 vcc_lo, s[14:15], v[25:26]
	s_or_not1_b32 s29, vcc_lo, exec_lo
.LBB1309_54:
	s_or_b32 exec_lo, exec_lo, s30
.LBB1309_55:
	v_mul_lo_u32 v21, v12, s14
	v_mul_lo_u32 v22, v11, s15
	v_mad_u64_u32 v[19:20], null, v11, s14, 0
	s_and_not1_b32 vcc_lo, exec_lo, s26
	s_delay_alu instid0(VALU_DEP_1) | instskip(NEXT) | instid1(VALU_DEP_1)
	v_add3_u32 v20, v20, v22, v21
	v_lshlrev_b64 v[19:20], 1, v[19:20]
	s_cbranch_vccnz .LBB1309_64
; %bb.56:
	s_delay_alu instid0(VALU_DEP_1) | instskip(NEXT) | instid1(VALU_DEP_2)
	v_add_co_u32 v25, vcc_lo, s16, v19
	v_add_co_ci_u32_e32 v26, vcc_lo, s17, v20, vcc_lo
	v_add_co_u32 v21, vcc_lo, s16, v23
	v_add_co_ci_u32_e32 v22, vcc_lo, s17, v24, vcc_lo
	s_mov_b32 s28, -1
	s_clause 0x1
	global_load_u16 v23, v[25:26], off
	global_load_u16 v24, v[21:22], off
	s_mov_b32 s30, exec_lo
	s_waitcnt vmcnt(0)
	v_cmpx_eq_f16_e32 v23, v24
	s_cbranch_execz .LBB1309_63
; %bb.57:
	v_add_co_u32 v21, vcc_lo, v21, 2
	v_add_co_ci_u32_e32 v22, vcc_lo, 0, v22, vcc_lo
	v_add_co_u32 v23, vcc_lo, v25, 2
	v_add_co_ci_u32_e32 v24, vcc_lo, 0, v26, vcc_lo
	s_add_u32 s4, s14, -1
	s_addc_u32 s5, s15, -1
	s_mov_b64 s[6:7], 0
	s_mov_b32 s28, 0
                                        ; implicit-def: $sgpr31
	s_set_inst_prefetch_distance 0x1
	s_branch .LBB1309_60
	.p2align	6
.LBB1309_58:                            ;   in Loop: Header=BB1309_60 Depth=1
	global_load_u16 v25, v[23:24], off
	global_load_u16 v26, v[21:22], off
	v_add_co_u32 v21, vcc_lo, v21, 2
	v_add_co_ci_u32_e32 v22, vcc_lo, 0, v22, vcc_lo
	v_add_co_u32 v23, s0, v23, 2
	s_delay_alu instid0(VALU_DEP_1)
	v_add_co_ci_u32_e64 v24, s0, 0, v24, s0
	s_add_u32 s6, s6, 1
	s_addc_u32 s7, s7, 0
	s_and_not1_b32 s0, s31, exec_lo
	s_waitcnt vmcnt(0)
	v_cmp_neq_f16_e32 vcc_lo, v25, v26
	s_and_b32 s31, vcc_lo, exec_lo
	s_delay_alu instid0(SALU_CYCLE_1)
	s_or_b32 s31, s0, s31
.LBB1309_59:                            ;   in Loop: Header=BB1309_60 Depth=1
	v_dual_mov_b32 v26, s7 :: v_dual_mov_b32 v25, s6
	s_and_b32 s0, exec_lo, s31
	s_delay_alu instid0(SALU_CYCLE_1) | instskip(NEXT) | instid1(SALU_CYCLE_1)
	s_or_b32 s28, s0, s28
	s_and_not1_b32 exec_lo, exec_lo, s28
	s_cbranch_execz .LBB1309_62
.LBB1309_60:                            ; =>This Inner Loop Header: Depth=1
	s_or_b32 s31, s31, exec_lo
	s_cmp_eq_u64 s[4:5], s[6:7]
	s_cbranch_scc0 .LBB1309_58
; %bb.61:                               ;   in Loop: Header=BB1309_60 Depth=1
	s_mov_b64 s[6:7], s[14:15]
                                        ; implicit-def: $vgpr21_vgpr22
                                        ; implicit-def: $vgpr23_vgpr24
	s_branch .LBB1309_59
.LBB1309_62:
	s_set_inst_prefetch_distance 0x2
	s_or_b32 exec_lo, exec_lo, s28
	v_cmp_gt_i64_e32 vcc_lo, s[14:15], v[25:26]
	s_or_not1_b32 s28, vcc_lo, exec_lo
.LBB1309_63:
	s_or_b32 exec_lo, exec_lo, s30
.LBB1309_64:
	v_mul_lo_u32 v23, v10, s14
	v_mul_lo_u32 v24, v9, s15
	v_mad_u64_u32 v[21:22], null, v9, s14, 0
	s_mov_b32 s30, 0
	s_and_not1_b32 vcc_lo, exec_lo, s26
	s_mov_b32 s31, 0
	s_delay_alu instid0(VALU_DEP_1) | instskip(NEXT) | instid1(VALU_DEP_1)
	v_add3_u32 v22, v22, v24, v23
	v_lshlrev_b64 v[23:24], 1, v[21:22]
	s_cbranch_vccnz .LBB1309_73
; %bb.65:
	s_delay_alu instid0(VALU_DEP_1) | instskip(NEXT) | instid1(VALU_DEP_2)
	v_add_co_u32 v21, vcc_lo, s16, v23
	v_add_co_ci_u32_e32 v22, vcc_lo, s17, v24, vcc_lo
	v_add_co_u32 v19, vcc_lo, s16, v19
	v_add_co_ci_u32_e32 v20, vcc_lo, s17, v20, vcc_lo
	s_mov_b32 s31, -1
	s_clause 0x1
	global_load_u16 v25, v[21:22], off
	global_load_u16 v26, v[19:20], off
	s_mov_b32 s33, exec_lo
	s_waitcnt vmcnt(0)
	v_cmpx_eq_f16_e32 v25, v26
	s_cbranch_execz .LBB1309_72
; %bb.66:
	v_add_co_u32 v19, vcc_lo, v19, 2
	v_add_co_ci_u32_e32 v20, vcc_lo, 0, v20, vcc_lo
	v_add_co_u32 v21, vcc_lo, v21, 2
	v_add_co_ci_u32_e32 v22, vcc_lo, 0, v22, vcc_lo
	s_add_u32 s4, s14, -1
	s_addc_u32 s5, s15, -1
	s_mov_b64 s[6:7], 0
	s_mov_b32 s31, 0
                                        ; implicit-def: $sgpr34
	s_set_inst_prefetch_distance 0x1
	s_branch .LBB1309_69
	.p2align	6
.LBB1309_67:                            ;   in Loop: Header=BB1309_69 Depth=1
	global_load_u16 v25, v[21:22], off
	global_load_u16 v26, v[19:20], off
	v_add_co_u32 v19, vcc_lo, v19, 2
	v_add_co_ci_u32_e32 v20, vcc_lo, 0, v20, vcc_lo
	v_add_co_u32 v21, s0, v21, 2
	s_delay_alu instid0(VALU_DEP_1)
	v_add_co_ci_u32_e64 v22, s0, 0, v22, s0
	s_add_u32 s6, s6, 1
	s_addc_u32 s7, s7, 0
	s_and_not1_b32 s0, s34, exec_lo
	s_waitcnt vmcnt(0)
	v_cmp_neq_f16_e32 vcc_lo, v25, v26
	s_and_b32 s34, vcc_lo, exec_lo
	s_delay_alu instid0(SALU_CYCLE_1)
	s_or_b32 s34, s0, s34
.LBB1309_68:                            ;   in Loop: Header=BB1309_69 Depth=1
	v_dual_mov_b32 v26, s7 :: v_dual_mov_b32 v25, s6
	s_and_b32 s0, exec_lo, s34
	s_delay_alu instid0(SALU_CYCLE_1) | instskip(NEXT) | instid1(SALU_CYCLE_1)
	s_or_b32 s31, s0, s31
	s_and_not1_b32 exec_lo, exec_lo, s31
	s_cbranch_execz .LBB1309_71
.LBB1309_69:                            ; =>This Inner Loop Header: Depth=1
	s_or_b32 s34, s34, exec_lo
	s_cmp_eq_u64 s[4:5], s[6:7]
	s_cbranch_scc0 .LBB1309_67
; %bb.70:                               ;   in Loop: Header=BB1309_69 Depth=1
	s_mov_b64 s[6:7], s[14:15]
                                        ; implicit-def: $vgpr19_vgpr20
                                        ; implicit-def: $vgpr21_vgpr22
	s_branch .LBB1309_68
.LBB1309_71:
	s_set_inst_prefetch_distance 0x2
	s_or_b32 exec_lo, exec_lo, s31
	v_cmp_gt_i64_e32 vcc_lo, s[14:15], v[25:26]
	s_or_not1_b32 s31, vcc_lo, exec_lo
.LBB1309_72:
	s_or_b32 exec_lo, exec_lo, s33
.LBB1309_73:
	v_mul_lo_u32 v21, v16, s14
	v_mul_lo_u32 v22, v15, s15
	v_mad_u64_u32 v[19:20], null, v15, s14, 0
	s_and_not1_b32 vcc_lo, exec_lo, s26
	s_delay_alu instid0(VALU_DEP_1) | instskip(NEXT) | instid1(VALU_DEP_1)
	v_add3_u32 v20, v20, v22, v21
	v_lshlrev_b64 v[21:22], 1, v[19:20]
	s_cbranch_vccnz .LBB1309_82
; %bb.74:
	s_delay_alu instid0(VALU_DEP_1) | instskip(NEXT) | instid1(VALU_DEP_2)
	v_add_co_u32 v25, vcc_lo, s16, v21
	v_add_co_ci_u32_e32 v26, vcc_lo, s17, v22, vcc_lo
	v_add_co_u32 v19, vcc_lo, s16, v23
	v_add_co_ci_u32_e32 v20, vcc_lo, s17, v24, vcc_lo
	s_mov_b32 s30, -1
	s_clause 0x1
	global_load_u16 v23, v[25:26], off
	global_load_u16 v24, v[19:20], off
	s_mov_b32 s33, exec_lo
	s_waitcnt vmcnt(0)
	v_cmpx_eq_f16_e32 v23, v24
	s_cbranch_execz .LBB1309_81
; %bb.75:
	v_add_co_u32 v19, vcc_lo, v19, 2
	v_add_co_ci_u32_e32 v20, vcc_lo, 0, v20, vcc_lo
	v_add_co_u32 v23, vcc_lo, v25, 2
	v_add_co_ci_u32_e32 v24, vcc_lo, 0, v26, vcc_lo
	s_add_u32 s4, s14, -1
	s_addc_u32 s5, s15, -1
	s_mov_b64 s[6:7], 0
	s_mov_b32 s30, 0
                                        ; implicit-def: $sgpr34
	s_set_inst_prefetch_distance 0x1
	s_branch .LBB1309_78
	.p2align	6
.LBB1309_76:                            ;   in Loop: Header=BB1309_78 Depth=1
	global_load_u16 v25, v[23:24], off
	global_load_u16 v26, v[19:20], off
	v_add_co_u32 v19, vcc_lo, v19, 2
	v_add_co_ci_u32_e32 v20, vcc_lo, 0, v20, vcc_lo
	v_add_co_u32 v23, s0, v23, 2
	s_delay_alu instid0(VALU_DEP_1)
	v_add_co_ci_u32_e64 v24, s0, 0, v24, s0
	s_add_u32 s6, s6, 1
	s_addc_u32 s7, s7, 0
	s_and_not1_b32 s0, s34, exec_lo
	s_waitcnt vmcnt(0)
	v_cmp_neq_f16_e32 vcc_lo, v25, v26
	s_and_b32 s34, vcc_lo, exec_lo
	s_delay_alu instid0(SALU_CYCLE_1)
	s_or_b32 s34, s0, s34
.LBB1309_77:                            ;   in Loop: Header=BB1309_78 Depth=1
	v_dual_mov_b32 v26, s7 :: v_dual_mov_b32 v25, s6
	s_and_b32 s0, exec_lo, s34
	s_delay_alu instid0(SALU_CYCLE_1) | instskip(NEXT) | instid1(SALU_CYCLE_1)
	s_or_b32 s30, s0, s30
	s_and_not1_b32 exec_lo, exec_lo, s30
	s_cbranch_execz .LBB1309_80
.LBB1309_78:                            ; =>This Inner Loop Header: Depth=1
	s_or_b32 s34, s34, exec_lo
	s_cmp_eq_u64 s[4:5], s[6:7]
	s_cbranch_scc0 .LBB1309_76
; %bb.79:                               ;   in Loop: Header=BB1309_78 Depth=1
	s_mov_b64 s[6:7], s[14:15]
                                        ; implicit-def: $vgpr19_vgpr20
                                        ; implicit-def: $vgpr23_vgpr24
	s_branch .LBB1309_77
.LBB1309_80:
	s_set_inst_prefetch_distance 0x2
	s_or_b32 exec_lo, exec_lo, s30
	v_cmp_gt_i64_e32 vcc_lo, s[14:15], v[25:26]
	s_or_not1_b32 s30, vcc_lo, exec_lo
.LBB1309_81:
	s_or_b32 exec_lo, exec_lo, s33
.LBB1309_82:
	v_mul_lo_u32 v23, v14, s14
	v_mul_lo_u32 v24, v13, s15
	v_mad_u64_u32 v[19:20], null, v13, s14, 0
	s_and_not1_b32 vcc_lo, exec_lo, s26
	s_mov_b32 s0, 0
	s_delay_alu instid0(VALU_DEP_1) | instskip(NEXT) | instid1(VALU_DEP_1)
	v_add3_u32 v20, v20, v24, v23
	v_lshlrev_b64 v[19:20], 1, v[19:20]
	s_cbranch_vccnz .LBB1309_91
; %bb.83:
	s_delay_alu instid0(VALU_DEP_1) | instskip(NEXT) | instid1(VALU_DEP_2)
	v_add_co_u32 v23, vcc_lo, s16, v19
	v_add_co_ci_u32_e32 v24, vcc_lo, s17, v20, vcc_lo
	v_add_co_u32 v21, vcc_lo, s16, v21
	v_add_co_ci_u32_e32 v22, vcc_lo, s17, v22, vcc_lo
	s_mov_b32 s0, -1
	s_clause 0x1
	global_load_u16 v25, v[23:24], off
	global_load_u16 v26, v[21:22], off
	s_mov_b32 s33, exec_lo
	s_waitcnt vmcnt(0)
	v_cmpx_eq_f16_e32 v25, v26
	s_cbranch_execz .LBB1309_90
; %bb.84:
	v_add_co_u32 v21, vcc_lo, v21, 2
	v_add_co_ci_u32_e32 v22, vcc_lo, 0, v22, vcc_lo
	v_add_co_u32 v23, vcc_lo, v23, 2
	v_add_co_ci_u32_e32 v24, vcc_lo, 0, v24, vcc_lo
	s_add_u32 s4, s14, -1
	s_addc_u32 s5, s15, -1
	s_mov_b64 s[6:7], 0
	s_mov_b32 s34, 0
                                        ; implicit-def: $sgpr35
	s_set_inst_prefetch_distance 0x1
	s_branch .LBB1309_87
	.p2align	6
.LBB1309_85:                            ;   in Loop: Header=BB1309_87 Depth=1
	global_load_u16 v25, v[23:24], off
	global_load_u16 v26, v[21:22], off
	v_add_co_u32 v21, vcc_lo, v21, 2
	v_add_co_ci_u32_e32 v22, vcc_lo, 0, v22, vcc_lo
	v_add_co_u32 v23, s0, v23, 2
	s_delay_alu instid0(VALU_DEP_1)
	v_add_co_ci_u32_e64 v24, s0, 0, v24, s0
	s_add_u32 s6, s6, 1
	s_addc_u32 s7, s7, 0
	s_and_not1_b32 s0, s35, exec_lo
	s_waitcnt vmcnt(0)
	v_cmp_neq_f16_e32 vcc_lo, v25, v26
	s_and_b32 s35, vcc_lo, exec_lo
	s_delay_alu instid0(SALU_CYCLE_1)
	s_or_b32 s35, s0, s35
.LBB1309_86:                            ;   in Loop: Header=BB1309_87 Depth=1
	v_dual_mov_b32 v26, s7 :: v_dual_mov_b32 v25, s6
	s_and_b32 s0, exec_lo, s35
	s_delay_alu instid0(SALU_CYCLE_1) | instskip(NEXT) | instid1(SALU_CYCLE_1)
	s_or_b32 s34, s0, s34
	s_and_not1_b32 exec_lo, exec_lo, s34
	s_cbranch_execz .LBB1309_89
.LBB1309_87:                            ; =>This Inner Loop Header: Depth=1
	s_or_b32 s35, s35, exec_lo
	s_cmp_eq_u64 s[4:5], s[6:7]
	s_cbranch_scc0 .LBB1309_85
; %bb.88:                               ;   in Loop: Header=BB1309_87 Depth=1
	s_mov_b64 s[6:7], s[14:15]
                                        ; implicit-def: $vgpr21_vgpr22
                                        ; implicit-def: $vgpr23_vgpr24
	s_branch .LBB1309_86
.LBB1309_89:
	s_set_inst_prefetch_distance 0x2
	s_or_b32 exec_lo, exec_lo, s34
	v_cmp_gt_i64_e32 vcc_lo, s[14:15], v[25:26]
	s_or_not1_b32 s0, vcc_lo, exec_lo
.LBB1309_90:
	s_or_b32 exec_lo, exec_lo, s33
.LBB1309_91:
	s_waitcnt vmcnt(0)
	v_dual_mov_b32 v22, v18 :: v_dual_mov_b32 v21, v17
	s_waitcnt lgkmcnt(0)
	s_barrier
	buffer_gl0_inv
	s_and_saveexec_b32 s4, s3
	s_cbranch_execz .LBB1309_93
; %bb.92:
	v_add_nc_u32_e32 v21, -8, v39
	ds_load_b64 v[21:22], v21
.LBB1309_93:
	s_or_b32 exec_lo, exec_lo, s4
	v_cndmask_b32_e64 v24, 0, 1, s31
	v_cndmask_b32_e64 v26, 0, 1, s29
	;; [unrolled: 1-line block ×7, first 2 shown]
	v_lshlrev_b16 v24, 8, v24
	v_lshlrev_b16 v26, 8, v26
	;; [unrolled: 1-line block ×4, first 2 shown]
	s_mov_b32 s25, 0
	v_or_b32_e32 v23, v23, v24
	v_or_b32_e32 v24, v25, v26
	;; [unrolled: 1-line block ×3, first 2 shown]
	v_and_b32_e32 v25, 0xffff, v29
	s_and_not1_b32 vcc_lo, exec_lo, s26
	v_lshlrev_b32_e32 v26, 16, v23
	v_and_b32_e32 v28, 0xffff, v24
	v_lshlrev_b32_e32 v29, 16, v30
	s_mov_b32 s0, 0
	s_cbranch_vccnz .LBB1309_102
; %bb.94:
	s_waitcnt lgkmcnt(0)
	v_mul_lo_u32 v24, v22, s14
	v_mul_lo_u32 v30, v21, s15
	v_mad_u64_u32 v[22:23], null, v21, s14, 0
	s_mov_b32 s0, -1
	s_mov_b32 s27, exec_lo
	s_delay_alu instid0(VALU_DEP_1) | instskip(NEXT) | instid1(VALU_DEP_1)
	v_add3_u32 v23, v23, v30, v24
	v_lshlrev_b64 v[21:22], 1, v[22:23]
	s_delay_alu instid0(VALU_DEP_1) | instskip(NEXT) | instid1(VALU_DEP_2)
	v_add_co_u32 v21, vcc_lo, s16, v21
	v_add_co_ci_u32_e32 v22, vcc_lo, s17, v22, vcc_lo
	v_add_co_u32 v19, vcc_lo, s16, v19
	v_add_co_ci_u32_e32 v20, vcc_lo, s17, v20, vcc_lo
	s_clause 0x1
	global_load_u16 v23, v[21:22], off
	global_load_u16 v24, v[19:20], off
	s_waitcnt vmcnt(0)
	v_cmpx_eq_f16_e32 v23, v24
	s_cbranch_execz .LBB1309_101
; %bb.95:
	v_add_co_u32 v19, vcc_lo, v19, 2
	v_add_co_ci_u32_e32 v20, vcc_lo, 0, v20, vcc_lo
	v_add_co_u32 v21, vcc_lo, v21, 2
	v_add_co_ci_u32_e32 v22, vcc_lo, 0, v22, vcc_lo
	s_add_u32 s4, s14, -1
	s_addc_u32 s5, s15, -1
	s_mov_b64 s[6:7], 0
	s_mov_b32 s28, 0
                                        ; implicit-def: $sgpr29
	s_set_inst_prefetch_distance 0x1
	s_branch .LBB1309_98
	.p2align	6
.LBB1309_96:                            ;   in Loop: Header=BB1309_98 Depth=1
	global_load_u16 v23, v[21:22], off
	global_load_u16 v24, v[19:20], off
	v_add_co_u32 v19, vcc_lo, v19, 2
	v_add_co_ci_u32_e32 v20, vcc_lo, 0, v20, vcc_lo
	v_add_co_u32 v21, s0, v21, 2
	s_delay_alu instid0(VALU_DEP_1)
	v_add_co_ci_u32_e64 v22, s0, 0, v22, s0
	s_add_u32 s6, s6, 1
	s_addc_u32 s7, s7, 0
	s_and_not1_b32 s0, s29, exec_lo
	s_waitcnt vmcnt(0)
	v_cmp_neq_f16_e32 vcc_lo, v23, v24
	s_and_b32 s29, vcc_lo, exec_lo
	s_delay_alu instid0(SALU_CYCLE_1)
	s_or_b32 s29, s0, s29
.LBB1309_97:                            ;   in Loop: Header=BB1309_98 Depth=1
	v_dual_mov_b32 v24, s7 :: v_dual_mov_b32 v23, s6
	s_and_b32 s0, exec_lo, s29
	s_delay_alu instid0(SALU_CYCLE_1) | instskip(NEXT) | instid1(SALU_CYCLE_1)
	s_or_b32 s28, s0, s28
	s_and_not1_b32 exec_lo, exec_lo, s28
	s_cbranch_execz .LBB1309_100
.LBB1309_98:                            ; =>This Inner Loop Header: Depth=1
	s_or_b32 s29, s29, exec_lo
	s_cmp_eq_u64 s[4:5], s[6:7]
	s_cbranch_scc0 .LBB1309_96
; %bb.99:                               ;   in Loop: Header=BB1309_98 Depth=1
	s_mov_b64 s[6:7], s[14:15]
                                        ; implicit-def: $vgpr19_vgpr20
                                        ; implicit-def: $vgpr21_vgpr22
	s_branch .LBB1309_97
.LBB1309_100:
	s_set_inst_prefetch_distance 0x2
	s_or_b32 exec_lo, exec_lo, s28
	v_cmp_gt_i64_e32 vcc_lo, s[14:15], v[23:24]
	s_or_not1_b32 s0, vcc_lo, exec_lo
.LBB1309_101:
	s_or_b32 exec_lo, exec_lo, s27
.LBB1309_102:
	v_or_b32_e32 v19, v25, v26
	s_delay_alu instid0(VALU_DEP_2)
	v_or_b32_e32 v20, v28, v29
	s_and_b32 vcc_lo, exec_lo, s25
	s_cbranch_vccz .LBB1309_194
.LBB1309_103:
	v_or_b32_e32 v19, 7, v39
	s_mov_b32 s25, 0
	s_mov_b32 s27, 0
	s_mov_b32 s28, exec_lo
	s_delay_alu instid0(VALU_DEP_1)
	v_cmpx_gt_u32_e64 s12, v19
	s_cbranch_execz .LBB1309_114
; %bb.104:
	s_and_not1_b32 vcc_lo, exec_lo, s26
	s_mov_b32 s0, 0
	s_cbranch_vccnz .LBB1309_113
; %bb.105:
	v_mul_lo_u32 v23, v2, s14
	v_mul_lo_u32 v24, v1, s15
	v_mad_u64_u32 v[19:20], null, v1, s14, 0
	v_mul_lo_u32 v25, v4, s14
	v_mul_lo_u32 v26, v3, s15
	s_waitcnt lgkmcnt(0)
	v_mad_u64_u32 v[21:22], null, v3, s14, 0
	s_mov_b32 s0, -1
	s_mov_b32 s26, exec_lo
	s_delay_alu instid0(VALU_DEP_4) | instskip(NEXT) | instid1(VALU_DEP_2)
	v_add3_u32 v20, v20, v24, v23
	v_add3_u32 v22, v22, v26, v25
	s_delay_alu instid0(VALU_DEP_2) | instskip(NEXT) | instid1(VALU_DEP_2)
	v_lshlrev_b64 v[19:20], 1, v[19:20]
	v_lshlrev_b64 v[23:24], 1, v[21:22]
	s_delay_alu instid0(VALU_DEP_2) | instskip(NEXT) | instid1(VALU_DEP_3)
	v_add_co_u32 v21, vcc_lo, s16, v19
	v_add_co_ci_u32_e32 v22, vcc_lo, s17, v20, vcc_lo
	s_delay_alu instid0(VALU_DEP_3) | instskip(NEXT) | instid1(VALU_DEP_4)
	v_add_co_u32 v19, vcc_lo, s16, v23
	v_add_co_ci_u32_e32 v20, vcc_lo, s17, v24, vcc_lo
	s_clause 0x1
	global_load_u16 v23, v[21:22], off
	global_load_u16 v24, v[19:20], off
	s_waitcnt vmcnt(0)
	v_cmpx_eq_f16_e32 v23, v24
	s_cbranch_execz .LBB1309_112
; %bb.106:
	v_add_co_u32 v19, vcc_lo, v19, 2
	v_add_co_ci_u32_e32 v20, vcc_lo, 0, v20, vcc_lo
	v_add_co_u32 v21, vcc_lo, v21, 2
	v_add_co_ci_u32_e32 v22, vcc_lo, 0, v22, vcc_lo
	s_add_u32 s4, s14, -1
	s_addc_u32 s5, s15, -1
	s_mov_b64 s[6:7], 0
                                        ; implicit-def: $sgpr29
	s_set_inst_prefetch_distance 0x1
	s_branch .LBB1309_109
	.p2align	6
.LBB1309_107:                           ;   in Loop: Header=BB1309_109 Depth=1
	global_load_u16 v23, v[21:22], off
	global_load_u16 v24, v[19:20], off
	v_add_co_u32 v19, vcc_lo, v19, 2
	v_add_co_ci_u32_e32 v20, vcc_lo, 0, v20, vcc_lo
	v_add_co_u32 v21, s0, v21, 2
	s_delay_alu instid0(VALU_DEP_1)
	v_add_co_ci_u32_e64 v22, s0, 0, v22, s0
	s_add_u32 s6, s6, 1
	s_addc_u32 s7, s7, 0
	s_and_not1_b32 s0, s29, exec_lo
	s_waitcnt vmcnt(0)
	v_cmp_neq_f16_e32 vcc_lo, v23, v24
	s_and_b32 s29, vcc_lo, exec_lo
	s_delay_alu instid0(SALU_CYCLE_1)
	s_or_b32 s29, s0, s29
.LBB1309_108:                           ;   in Loop: Header=BB1309_109 Depth=1
	v_dual_mov_b32 v24, s7 :: v_dual_mov_b32 v23, s6
	s_and_b32 s0, exec_lo, s29
	s_delay_alu instid0(SALU_CYCLE_1) | instskip(NEXT) | instid1(SALU_CYCLE_1)
	s_or_b32 s27, s0, s27
	s_and_not1_b32 exec_lo, exec_lo, s27
	s_cbranch_execz .LBB1309_111
.LBB1309_109:                           ; =>This Inner Loop Header: Depth=1
	s_or_b32 s29, s29, exec_lo
	s_cmp_eq_u64 s[4:5], s[6:7]
	s_cbranch_scc0 .LBB1309_107
; %bb.110:                              ;   in Loop: Header=BB1309_109 Depth=1
	s_mov_b64 s[6:7], s[14:15]
                                        ; implicit-def: $vgpr19_vgpr20
                                        ; implicit-def: $vgpr21_vgpr22
	s_branch .LBB1309_108
.LBB1309_111:
	s_set_inst_prefetch_distance 0x2
	s_or_b32 exec_lo, exec_lo, s27
	v_cmp_gt_i64_e32 vcc_lo, s[14:15], v[23:24]
	s_or_not1_b32 s0, vcc_lo, exec_lo
.LBB1309_112:
	s_or_b32 exec_lo, exec_lo, s26
.LBB1309_113:
	s_delay_alu instid0(SALU_CYCLE_1)
	s_and_b32 s27, s0, exec_lo
.LBB1309_114:
	s_or_b32 exec_lo, exec_lo, s28
	v_or_b32_e32 v19, 6, v39
	s_mov_b32 s26, exec_lo
	s_delay_alu instid0(VALU_DEP_1)
	v_cmpx_gt_u32_e64 s12, v19
	s_cbranch_execz .LBB1309_125
; %bb.115:
	v_cmp_ne_u32_e32 vcc_lo, 1, v27
	s_mov_b32 s0, 0
	s_cbranch_vccnz .LBB1309_124
; %bb.116:
	v_mul_lo_u32 v23, v8, s14
	v_mul_lo_u32 v24, v7, s15
	v_mad_u64_u32 v[19:20], null, v7, s14, 0
	v_mul_lo_u32 v25, v2, s14
	v_mul_lo_u32 v26, v1, s15
	s_waitcnt lgkmcnt(0)
	v_mad_u64_u32 v[21:22], null, v1, s14, 0
	s_mov_b32 s0, -1
	s_mov_b32 s25, exec_lo
	s_delay_alu instid0(VALU_DEP_4) | instskip(NEXT) | instid1(VALU_DEP_2)
	v_add3_u32 v20, v20, v24, v23
	v_add3_u32 v22, v22, v26, v25
	s_delay_alu instid0(VALU_DEP_2) | instskip(NEXT) | instid1(VALU_DEP_2)
	v_lshlrev_b64 v[19:20], 1, v[19:20]
	v_lshlrev_b64 v[23:24], 1, v[21:22]
	s_delay_alu instid0(VALU_DEP_2) | instskip(NEXT) | instid1(VALU_DEP_3)
	v_add_co_u32 v21, vcc_lo, s16, v19
	v_add_co_ci_u32_e32 v22, vcc_lo, s17, v20, vcc_lo
	s_delay_alu instid0(VALU_DEP_3) | instskip(NEXT) | instid1(VALU_DEP_4)
	v_add_co_u32 v19, vcc_lo, s16, v23
	v_add_co_ci_u32_e32 v20, vcc_lo, s17, v24, vcc_lo
	s_clause 0x1
	global_load_u16 v23, v[21:22], off
	global_load_u16 v24, v[19:20], off
	s_waitcnt vmcnt(0)
	v_cmpx_eq_f16_e32 v23, v24
	s_cbranch_execz .LBB1309_123
; %bb.117:
	v_add_co_u32 v19, vcc_lo, v19, 2
	v_add_co_ci_u32_e32 v20, vcc_lo, 0, v20, vcc_lo
	v_add_co_u32 v21, vcc_lo, v21, 2
	v_add_co_ci_u32_e32 v22, vcc_lo, 0, v22, vcc_lo
	s_add_u32 s4, s14, -1
	s_addc_u32 s5, s15, -1
	s_mov_b64 s[6:7], 0
	s_mov_b32 s28, 0
                                        ; implicit-def: $sgpr29
	s_set_inst_prefetch_distance 0x1
	s_branch .LBB1309_120
	.p2align	6
.LBB1309_118:                           ;   in Loop: Header=BB1309_120 Depth=1
	global_load_u16 v23, v[21:22], off
	global_load_u16 v24, v[19:20], off
	v_add_co_u32 v19, vcc_lo, v19, 2
	v_add_co_ci_u32_e32 v20, vcc_lo, 0, v20, vcc_lo
	v_add_co_u32 v21, s0, v21, 2
	s_delay_alu instid0(VALU_DEP_1)
	v_add_co_ci_u32_e64 v22, s0, 0, v22, s0
	s_add_u32 s6, s6, 1
	s_addc_u32 s7, s7, 0
	s_and_not1_b32 s0, s29, exec_lo
	s_waitcnt vmcnt(0)
	v_cmp_neq_f16_e32 vcc_lo, v23, v24
	s_and_b32 s29, vcc_lo, exec_lo
	s_delay_alu instid0(SALU_CYCLE_1)
	s_or_b32 s29, s0, s29
.LBB1309_119:                           ;   in Loop: Header=BB1309_120 Depth=1
	v_dual_mov_b32 v24, s7 :: v_dual_mov_b32 v23, s6
	s_and_b32 s0, exec_lo, s29
	s_delay_alu instid0(SALU_CYCLE_1) | instskip(NEXT) | instid1(SALU_CYCLE_1)
	s_or_b32 s28, s0, s28
	s_and_not1_b32 exec_lo, exec_lo, s28
	s_cbranch_execz .LBB1309_122
.LBB1309_120:                           ; =>This Inner Loop Header: Depth=1
	s_or_b32 s29, s29, exec_lo
	s_cmp_eq_u64 s[4:5], s[6:7]
	s_cbranch_scc0 .LBB1309_118
; %bb.121:                              ;   in Loop: Header=BB1309_120 Depth=1
	s_mov_b64 s[6:7], s[14:15]
                                        ; implicit-def: $vgpr19_vgpr20
                                        ; implicit-def: $vgpr21_vgpr22
	s_branch .LBB1309_119
.LBB1309_122:
	s_set_inst_prefetch_distance 0x2
	s_or_b32 exec_lo, exec_lo, s28
	v_cmp_gt_i64_e32 vcc_lo, s[14:15], v[23:24]
	s_or_not1_b32 s0, vcc_lo, exec_lo
.LBB1309_123:
	s_or_b32 exec_lo, exec_lo, s25
.LBB1309_124:
	s_delay_alu instid0(SALU_CYCLE_1)
	s_and_b32 s25, s0, exec_lo
.LBB1309_125:
	s_or_b32 exec_lo, exec_lo, s26
	v_or_b32_e32 v19, 5, v39
	s_mov_b32 s28, 0
	s_mov_b32 s26, 0
	s_mov_b32 s29, exec_lo
	s_delay_alu instid0(VALU_DEP_1)
	v_cmpx_gt_u32_e64 s12, v19
	s_cbranch_execz .LBB1309_136
; %bb.126:
	v_cmp_ne_u32_e32 vcc_lo, 1, v27
	s_mov_b32 s0, 0
	s_cbranch_vccnz .LBB1309_135
; %bb.127:
	v_mul_lo_u32 v23, v6, s14
	v_mul_lo_u32 v24, v5, s15
	v_mad_u64_u32 v[19:20], null, v5, s14, 0
	v_mul_lo_u32 v25, v8, s14
	v_mul_lo_u32 v26, v7, s15
	s_waitcnt lgkmcnt(0)
	v_mad_u64_u32 v[21:22], null, v7, s14, 0
	s_mov_b32 s0, -1
	s_mov_b32 s26, exec_lo
	s_delay_alu instid0(VALU_DEP_4) | instskip(NEXT) | instid1(VALU_DEP_2)
	v_add3_u32 v20, v20, v24, v23
	v_add3_u32 v22, v22, v26, v25
	s_delay_alu instid0(VALU_DEP_2) | instskip(NEXT) | instid1(VALU_DEP_2)
	v_lshlrev_b64 v[19:20], 1, v[19:20]
	v_lshlrev_b64 v[23:24], 1, v[21:22]
	s_delay_alu instid0(VALU_DEP_2) | instskip(NEXT) | instid1(VALU_DEP_3)
	v_add_co_u32 v21, vcc_lo, s16, v19
	v_add_co_ci_u32_e32 v22, vcc_lo, s17, v20, vcc_lo
	s_delay_alu instid0(VALU_DEP_3) | instskip(NEXT) | instid1(VALU_DEP_4)
	v_add_co_u32 v19, vcc_lo, s16, v23
	v_add_co_ci_u32_e32 v20, vcc_lo, s17, v24, vcc_lo
	s_clause 0x1
	global_load_u16 v23, v[21:22], off
	global_load_u16 v24, v[19:20], off
	s_waitcnt vmcnt(0)
	v_cmpx_eq_f16_e32 v23, v24
	s_cbranch_execz .LBB1309_134
; %bb.128:
	v_add_co_u32 v19, vcc_lo, v19, 2
	v_add_co_ci_u32_e32 v20, vcc_lo, 0, v20, vcc_lo
	v_add_co_u32 v21, vcc_lo, v21, 2
	v_add_co_ci_u32_e32 v22, vcc_lo, 0, v22, vcc_lo
	s_add_u32 s4, s14, -1
	s_addc_u32 s5, s15, -1
	s_mov_b64 s[6:7], 0
	s_mov_b32 s30, 0
                                        ; implicit-def: $sgpr31
	s_set_inst_prefetch_distance 0x1
	s_branch .LBB1309_131
	.p2align	6
.LBB1309_129:                           ;   in Loop: Header=BB1309_131 Depth=1
	global_load_u16 v23, v[21:22], off
	global_load_u16 v24, v[19:20], off
	v_add_co_u32 v19, vcc_lo, v19, 2
	v_add_co_ci_u32_e32 v20, vcc_lo, 0, v20, vcc_lo
	v_add_co_u32 v21, s0, v21, 2
	s_delay_alu instid0(VALU_DEP_1)
	v_add_co_ci_u32_e64 v22, s0, 0, v22, s0
	s_add_u32 s6, s6, 1
	s_addc_u32 s7, s7, 0
	s_and_not1_b32 s0, s31, exec_lo
	s_waitcnt vmcnt(0)
	v_cmp_neq_f16_e32 vcc_lo, v23, v24
	s_and_b32 s31, vcc_lo, exec_lo
	s_delay_alu instid0(SALU_CYCLE_1)
	s_or_b32 s31, s0, s31
.LBB1309_130:                           ;   in Loop: Header=BB1309_131 Depth=1
	v_dual_mov_b32 v24, s7 :: v_dual_mov_b32 v23, s6
	s_and_b32 s0, exec_lo, s31
	s_delay_alu instid0(SALU_CYCLE_1) | instskip(NEXT) | instid1(SALU_CYCLE_1)
	s_or_b32 s30, s0, s30
	s_and_not1_b32 exec_lo, exec_lo, s30
	s_cbranch_execz .LBB1309_133
.LBB1309_131:                           ; =>This Inner Loop Header: Depth=1
	s_or_b32 s31, s31, exec_lo
	s_cmp_eq_u64 s[4:5], s[6:7]
	s_cbranch_scc0 .LBB1309_129
; %bb.132:                              ;   in Loop: Header=BB1309_131 Depth=1
	s_mov_b64 s[6:7], s[14:15]
                                        ; implicit-def: $vgpr19_vgpr20
                                        ; implicit-def: $vgpr21_vgpr22
	s_branch .LBB1309_130
.LBB1309_133:
	s_set_inst_prefetch_distance 0x2
	s_or_b32 exec_lo, exec_lo, s30
	v_cmp_gt_i64_e32 vcc_lo, s[14:15], v[23:24]
	s_or_not1_b32 s0, vcc_lo, exec_lo
.LBB1309_134:
	s_or_b32 exec_lo, exec_lo, s26
.LBB1309_135:
	s_delay_alu instid0(SALU_CYCLE_1)
	s_and_b32 s26, s0, exec_lo
.LBB1309_136:
	s_or_b32 exec_lo, exec_lo, s29
	v_or_b32_e32 v19, 4, v39
	s_mov_b32 s29, exec_lo
	s_delay_alu instid0(VALU_DEP_1)
	v_cmpx_gt_u32_e64 s12, v19
	s_cbranch_execz .LBB1309_147
; %bb.137:
	v_cmp_ne_u32_e32 vcc_lo, 1, v27
	s_mov_b32 s0, 0
	s_cbranch_vccnz .LBB1309_146
; %bb.138:
	v_mul_lo_u32 v23, v12, s14
	v_mul_lo_u32 v24, v11, s15
	v_mad_u64_u32 v[19:20], null, v11, s14, 0
	v_mul_lo_u32 v25, v6, s14
	v_mul_lo_u32 v26, v5, s15
	s_waitcnt lgkmcnt(0)
	v_mad_u64_u32 v[21:22], null, v5, s14, 0
	s_mov_b32 s0, -1
	s_mov_b32 s28, exec_lo
	s_delay_alu instid0(VALU_DEP_4) | instskip(NEXT) | instid1(VALU_DEP_2)
	v_add3_u32 v20, v20, v24, v23
	v_add3_u32 v22, v22, v26, v25
	s_delay_alu instid0(VALU_DEP_2) | instskip(NEXT) | instid1(VALU_DEP_2)
	v_lshlrev_b64 v[19:20], 1, v[19:20]
	v_lshlrev_b64 v[23:24], 1, v[21:22]
	s_delay_alu instid0(VALU_DEP_2) | instskip(NEXT) | instid1(VALU_DEP_3)
	v_add_co_u32 v21, vcc_lo, s16, v19
	v_add_co_ci_u32_e32 v22, vcc_lo, s17, v20, vcc_lo
	s_delay_alu instid0(VALU_DEP_3) | instskip(NEXT) | instid1(VALU_DEP_4)
	v_add_co_u32 v19, vcc_lo, s16, v23
	v_add_co_ci_u32_e32 v20, vcc_lo, s17, v24, vcc_lo
	s_clause 0x1
	global_load_u16 v23, v[21:22], off
	global_load_u16 v24, v[19:20], off
	s_waitcnt vmcnt(0)
	v_cmpx_eq_f16_e32 v23, v24
	s_cbranch_execz .LBB1309_145
; %bb.139:
	v_add_co_u32 v19, vcc_lo, v19, 2
	v_add_co_ci_u32_e32 v20, vcc_lo, 0, v20, vcc_lo
	v_add_co_u32 v21, vcc_lo, v21, 2
	v_add_co_ci_u32_e32 v22, vcc_lo, 0, v22, vcc_lo
	s_add_u32 s4, s14, -1
	s_addc_u32 s5, s15, -1
	s_mov_b64 s[6:7], 0
	s_mov_b32 s30, 0
                                        ; implicit-def: $sgpr31
	s_set_inst_prefetch_distance 0x1
	s_branch .LBB1309_142
	.p2align	6
.LBB1309_140:                           ;   in Loop: Header=BB1309_142 Depth=1
	global_load_u16 v23, v[21:22], off
	global_load_u16 v24, v[19:20], off
	v_add_co_u32 v19, vcc_lo, v19, 2
	v_add_co_ci_u32_e32 v20, vcc_lo, 0, v20, vcc_lo
	v_add_co_u32 v21, s0, v21, 2
	s_delay_alu instid0(VALU_DEP_1)
	v_add_co_ci_u32_e64 v22, s0, 0, v22, s0
	s_add_u32 s6, s6, 1
	s_addc_u32 s7, s7, 0
	s_and_not1_b32 s0, s31, exec_lo
	s_waitcnt vmcnt(0)
	v_cmp_neq_f16_e32 vcc_lo, v23, v24
	s_and_b32 s31, vcc_lo, exec_lo
	s_delay_alu instid0(SALU_CYCLE_1)
	s_or_b32 s31, s0, s31
.LBB1309_141:                           ;   in Loop: Header=BB1309_142 Depth=1
	v_dual_mov_b32 v24, s7 :: v_dual_mov_b32 v23, s6
	s_and_b32 s0, exec_lo, s31
	s_delay_alu instid0(SALU_CYCLE_1) | instskip(NEXT) | instid1(SALU_CYCLE_1)
	s_or_b32 s30, s0, s30
	s_and_not1_b32 exec_lo, exec_lo, s30
	s_cbranch_execz .LBB1309_144
.LBB1309_142:                           ; =>This Inner Loop Header: Depth=1
	s_or_b32 s31, s31, exec_lo
	s_cmp_eq_u64 s[4:5], s[6:7]
	s_cbranch_scc0 .LBB1309_140
; %bb.143:                              ;   in Loop: Header=BB1309_142 Depth=1
	s_mov_b64 s[6:7], s[14:15]
                                        ; implicit-def: $vgpr19_vgpr20
                                        ; implicit-def: $vgpr21_vgpr22
	s_branch .LBB1309_141
.LBB1309_144:
	s_set_inst_prefetch_distance 0x2
	s_or_b32 exec_lo, exec_lo, s30
	v_cmp_gt_i64_e32 vcc_lo, s[14:15], v[23:24]
	s_or_not1_b32 s0, vcc_lo, exec_lo
.LBB1309_145:
	s_or_b32 exec_lo, exec_lo, s28
.LBB1309_146:
	s_delay_alu instid0(SALU_CYCLE_1)
	s_and_b32 s28, s0, exec_lo
.LBB1309_147:
	s_or_b32 exec_lo, exec_lo, s29
	v_or_b32_e32 v19, 3, v39
	s_mov_b32 s30, 0
	s_mov_b32 s29, 0
	s_mov_b32 s31, exec_lo
	s_delay_alu instid0(VALU_DEP_1)
	v_cmpx_gt_u32_e64 s12, v19
	s_cbranch_execz .LBB1309_158
; %bb.148:
	v_cmp_ne_u32_e32 vcc_lo, 1, v27
	s_mov_b32 s0, 0
	s_cbranch_vccnz .LBB1309_157
; %bb.149:
	v_mul_lo_u32 v23, v10, s14
	v_mul_lo_u32 v24, v9, s15
	v_mad_u64_u32 v[19:20], null, v9, s14, 0
	v_mul_lo_u32 v25, v12, s14
	v_mul_lo_u32 v26, v11, s15
	s_waitcnt lgkmcnt(0)
	v_mad_u64_u32 v[21:22], null, v11, s14, 0
	s_mov_b32 s0, -1
	s_mov_b32 s29, exec_lo
	s_delay_alu instid0(VALU_DEP_4) | instskip(NEXT) | instid1(VALU_DEP_2)
	v_add3_u32 v20, v20, v24, v23
	v_add3_u32 v22, v22, v26, v25
	s_delay_alu instid0(VALU_DEP_2) | instskip(NEXT) | instid1(VALU_DEP_2)
	v_lshlrev_b64 v[19:20], 1, v[19:20]
	v_lshlrev_b64 v[23:24], 1, v[21:22]
	s_delay_alu instid0(VALU_DEP_2) | instskip(NEXT) | instid1(VALU_DEP_3)
	v_add_co_u32 v21, vcc_lo, s16, v19
	v_add_co_ci_u32_e32 v22, vcc_lo, s17, v20, vcc_lo
	s_delay_alu instid0(VALU_DEP_3) | instskip(NEXT) | instid1(VALU_DEP_4)
	v_add_co_u32 v19, vcc_lo, s16, v23
	v_add_co_ci_u32_e32 v20, vcc_lo, s17, v24, vcc_lo
	s_clause 0x1
	global_load_u16 v23, v[21:22], off
	global_load_u16 v24, v[19:20], off
	s_waitcnt vmcnt(0)
	v_cmpx_eq_f16_e32 v23, v24
	s_cbranch_execz .LBB1309_156
; %bb.150:
	v_add_co_u32 v19, vcc_lo, v19, 2
	v_add_co_ci_u32_e32 v20, vcc_lo, 0, v20, vcc_lo
	v_add_co_u32 v21, vcc_lo, v21, 2
	v_add_co_ci_u32_e32 v22, vcc_lo, 0, v22, vcc_lo
	s_add_u32 s4, s14, -1
	s_addc_u32 s5, s15, -1
	s_mov_b64 s[6:7], 0
	s_mov_b32 s33, 0
                                        ; implicit-def: $sgpr34
	s_set_inst_prefetch_distance 0x1
	s_branch .LBB1309_153
	.p2align	6
.LBB1309_151:                           ;   in Loop: Header=BB1309_153 Depth=1
	global_load_u16 v23, v[21:22], off
	global_load_u16 v24, v[19:20], off
	v_add_co_u32 v19, vcc_lo, v19, 2
	v_add_co_ci_u32_e32 v20, vcc_lo, 0, v20, vcc_lo
	v_add_co_u32 v21, s0, v21, 2
	s_delay_alu instid0(VALU_DEP_1)
	v_add_co_ci_u32_e64 v22, s0, 0, v22, s0
	s_add_u32 s6, s6, 1
	s_addc_u32 s7, s7, 0
	s_and_not1_b32 s0, s34, exec_lo
	s_waitcnt vmcnt(0)
	v_cmp_neq_f16_e32 vcc_lo, v23, v24
	s_and_b32 s34, vcc_lo, exec_lo
	s_delay_alu instid0(SALU_CYCLE_1)
	s_or_b32 s34, s0, s34
.LBB1309_152:                           ;   in Loop: Header=BB1309_153 Depth=1
	v_dual_mov_b32 v24, s7 :: v_dual_mov_b32 v23, s6
	s_and_b32 s0, exec_lo, s34
	s_delay_alu instid0(SALU_CYCLE_1) | instskip(NEXT) | instid1(SALU_CYCLE_1)
	s_or_b32 s33, s0, s33
	s_and_not1_b32 exec_lo, exec_lo, s33
	s_cbranch_execz .LBB1309_155
.LBB1309_153:                           ; =>This Inner Loop Header: Depth=1
	s_or_b32 s34, s34, exec_lo
	s_cmp_eq_u64 s[4:5], s[6:7]
	s_cbranch_scc0 .LBB1309_151
; %bb.154:                              ;   in Loop: Header=BB1309_153 Depth=1
	s_mov_b64 s[6:7], s[14:15]
                                        ; implicit-def: $vgpr19_vgpr20
                                        ; implicit-def: $vgpr21_vgpr22
	s_branch .LBB1309_152
.LBB1309_155:
	s_set_inst_prefetch_distance 0x2
	s_or_b32 exec_lo, exec_lo, s33
	v_cmp_gt_i64_e32 vcc_lo, s[14:15], v[23:24]
	s_or_not1_b32 s0, vcc_lo, exec_lo
.LBB1309_156:
	s_or_b32 exec_lo, exec_lo, s29
.LBB1309_157:
	s_delay_alu instid0(SALU_CYCLE_1)
	s_and_b32 s29, s0, exec_lo
.LBB1309_158:
	s_or_b32 exec_lo, exec_lo, s31
	v_or_b32_e32 v19, 2, v39
	s_mov_b32 s31, exec_lo
	s_delay_alu instid0(VALU_DEP_1)
	v_cmpx_gt_u32_e64 s12, v19
	s_cbranch_execz .LBB1309_169
; %bb.159:
	v_cmp_ne_u32_e32 vcc_lo, 1, v27
	s_mov_b32 s0, 0
	s_cbranch_vccnz .LBB1309_168
; %bb.160:
	v_mul_lo_u32 v23, v16, s14
	v_mul_lo_u32 v24, v15, s15
	v_mad_u64_u32 v[19:20], null, v15, s14, 0
	v_mul_lo_u32 v25, v10, s14
	v_mul_lo_u32 v26, v9, s15
	s_waitcnt lgkmcnt(0)
	v_mad_u64_u32 v[21:22], null, v9, s14, 0
	s_mov_b32 s0, -1
	s_mov_b32 s30, exec_lo
	s_delay_alu instid0(VALU_DEP_4) | instskip(NEXT) | instid1(VALU_DEP_2)
	v_add3_u32 v20, v20, v24, v23
	v_add3_u32 v22, v22, v26, v25
	s_delay_alu instid0(VALU_DEP_2) | instskip(NEXT) | instid1(VALU_DEP_2)
	v_lshlrev_b64 v[19:20], 1, v[19:20]
	v_lshlrev_b64 v[23:24], 1, v[21:22]
	s_delay_alu instid0(VALU_DEP_2) | instskip(NEXT) | instid1(VALU_DEP_3)
	v_add_co_u32 v21, vcc_lo, s16, v19
	v_add_co_ci_u32_e32 v22, vcc_lo, s17, v20, vcc_lo
	s_delay_alu instid0(VALU_DEP_3) | instskip(NEXT) | instid1(VALU_DEP_4)
	v_add_co_u32 v19, vcc_lo, s16, v23
	v_add_co_ci_u32_e32 v20, vcc_lo, s17, v24, vcc_lo
	s_clause 0x1
	global_load_u16 v23, v[21:22], off
	global_load_u16 v24, v[19:20], off
	s_waitcnt vmcnt(0)
	v_cmpx_eq_f16_e32 v23, v24
	s_cbranch_execz .LBB1309_167
; %bb.161:
	v_add_co_u32 v19, vcc_lo, v19, 2
	v_add_co_ci_u32_e32 v20, vcc_lo, 0, v20, vcc_lo
	v_add_co_u32 v21, vcc_lo, v21, 2
	v_add_co_ci_u32_e32 v22, vcc_lo, 0, v22, vcc_lo
	s_add_u32 s4, s14, -1
	s_addc_u32 s5, s15, -1
	s_mov_b64 s[6:7], 0
	s_mov_b32 s33, 0
                                        ; implicit-def: $sgpr34
	s_set_inst_prefetch_distance 0x1
	s_branch .LBB1309_164
	.p2align	6
.LBB1309_162:                           ;   in Loop: Header=BB1309_164 Depth=1
	global_load_u16 v23, v[21:22], off
	global_load_u16 v24, v[19:20], off
	v_add_co_u32 v19, vcc_lo, v19, 2
	v_add_co_ci_u32_e32 v20, vcc_lo, 0, v20, vcc_lo
	v_add_co_u32 v21, s0, v21, 2
	s_delay_alu instid0(VALU_DEP_1)
	v_add_co_ci_u32_e64 v22, s0, 0, v22, s0
	s_add_u32 s6, s6, 1
	s_addc_u32 s7, s7, 0
	s_and_not1_b32 s0, s34, exec_lo
	s_waitcnt vmcnt(0)
	v_cmp_neq_f16_e32 vcc_lo, v23, v24
	s_and_b32 s34, vcc_lo, exec_lo
	s_delay_alu instid0(SALU_CYCLE_1)
	s_or_b32 s34, s0, s34
.LBB1309_163:                           ;   in Loop: Header=BB1309_164 Depth=1
	v_dual_mov_b32 v24, s7 :: v_dual_mov_b32 v23, s6
	s_and_b32 s0, exec_lo, s34
	s_delay_alu instid0(SALU_CYCLE_1) | instskip(NEXT) | instid1(SALU_CYCLE_1)
	s_or_b32 s33, s0, s33
	s_and_not1_b32 exec_lo, exec_lo, s33
	s_cbranch_execz .LBB1309_166
.LBB1309_164:                           ; =>This Inner Loop Header: Depth=1
	s_or_b32 s34, s34, exec_lo
	s_cmp_eq_u64 s[4:5], s[6:7]
	s_cbranch_scc0 .LBB1309_162
; %bb.165:                              ;   in Loop: Header=BB1309_164 Depth=1
	s_mov_b64 s[6:7], s[14:15]
                                        ; implicit-def: $vgpr19_vgpr20
                                        ; implicit-def: $vgpr21_vgpr22
	s_branch .LBB1309_163
.LBB1309_166:
	s_set_inst_prefetch_distance 0x2
	s_or_b32 exec_lo, exec_lo, s33
	v_cmp_gt_i64_e32 vcc_lo, s[14:15], v[23:24]
	s_or_not1_b32 s0, vcc_lo, exec_lo
.LBB1309_167:
	s_or_b32 exec_lo, exec_lo, s30
.LBB1309_168:
	s_delay_alu instid0(SALU_CYCLE_1)
	s_and_b32 s30, s0, exec_lo
.LBB1309_169:
	s_or_b32 exec_lo, exec_lo, s31
	v_or_b32_e32 v19, 1, v39
	s_mov_b32 s0, 0
	s_mov_b32 s31, exec_lo
	s_delay_alu instid0(VALU_DEP_1)
	v_cmpx_gt_u32_e64 s12, v19
	s_cbranch_execz .LBB1309_180
; %bb.170:
	v_cmp_ne_u32_e32 vcc_lo, 1, v27
	s_cbranch_vccnz .LBB1309_179
; %bb.171:
	v_mul_lo_u32 v23, v14, s14
	v_mul_lo_u32 v24, v13, s15
	v_mad_u64_u32 v[19:20], null, v13, s14, 0
	v_mul_lo_u32 v25, v16, s14
	v_mul_lo_u32 v26, v15, s15
	s_waitcnt lgkmcnt(0)
	v_mad_u64_u32 v[21:22], null, v15, s14, 0
	s_mov_b32 s0, -1
	s_mov_b32 s33, exec_lo
	s_delay_alu instid0(VALU_DEP_4) | instskip(NEXT) | instid1(VALU_DEP_2)
	v_add3_u32 v20, v20, v24, v23
	v_add3_u32 v22, v22, v26, v25
	s_delay_alu instid0(VALU_DEP_2) | instskip(NEXT) | instid1(VALU_DEP_2)
	v_lshlrev_b64 v[19:20], 1, v[19:20]
	v_lshlrev_b64 v[23:24], 1, v[21:22]
	s_delay_alu instid0(VALU_DEP_2) | instskip(NEXT) | instid1(VALU_DEP_3)
	v_add_co_u32 v21, vcc_lo, s16, v19
	v_add_co_ci_u32_e32 v22, vcc_lo, s17, v20, vcc_lo
	s_delay_alu instid0(VALU_DEP_3) | instskip(NEXT) | instid1(VALU_DEP_4)
	v_add_co_u32 v19, vcc_lo, s16, v23
	v_add_co_ci_u32_e32 v20, vcc_lo, s17, v24, vcc_lo
	s_clause 0x1
	global_load_u16 v23, v[21:22], off
	global_load_u16 v24, v[19:20], off
	s_waitcnt vmcnt(0)
	v_cmpx_eq_f16_e32 v23, v24
	s_cbranch_execz .LBB1309_178
; %bb.172:
	v_add_co_u32 v19, vcc_lo, v19, 2
	v_add_co_ci_u32_e32 v20, vcc_lo, 0, v20, vcc_lo
	v_add_co_u32 v21, vcc_lo, v21, 2
	v_add_co_ci_u32_e32 v22, vcc_lo, 0, v22, vcc_lo
	s_add_u32 s4, s14, -1
	s_addc_u32 s5, s15, -1
	s_mov_b64 s[6:7], 0
	s_mov_b32 s34, 0
                                        ; implicit-def: $sgpr35
	s_set_inst_prefetch_distance 0x1
	s_branch .LBB1309_175
	.p2align	6
.LBB1309_173:                           ;   in Loop: Header=BB1309_175 Depth=1
	global_load_u16 v23, v[21:22], off
	global_load_u16 v24, v[19:20], off
	v_add_co_u32 v19, vcc_lo, v19, 2
	v_add_co_ci_u32_e32 v20, vcc_lo, 0, v20, vcc_lo
	v_add_co_u32 v21, s0, v21, 2
	s_delay_alu instid0(VALU_DEP_1)
	v_add_co_ci_u32_e64 v22, s0, 0, v22, s0
	s_add_u32 s6, s6, 1
	s_addc_u32 s7, s7, 0
	s_and_not1_b32 s0, s35, exec_lo
	s_waitcnt vmcnt(0)
	v_cmp_neq_f16_e32 vcc_lo, v23, v24
	s_and_b32 s35, vcc_lo, exec_lo
	s_delay_alu instid0(SALU_CYCLE_1)
	s_or_b32 s35, s0, s35
.LBB1309_174:                           ;   in Loop: Header=BB1309_175 Depth=1
	v_dual_mov_b32 v24, s7 :: v_dual_mov_b32 v23, s6
	s_and_b32 s0, exec_lo, s35
	s_delay_alu instid0(SALU_CYCLE_1) | instskip(NEXT) | instid1(SALU_CYCLE_1)
	s_or_b32 s34, s0, s34
	s_and_not1_b32 exec_lo, exec_lo, s34
	s_cbranch_execz .LBB1309_177
.LBB1309_175:                           ; =>This Inner Loop Header: Depth=1
	s_or_b32 s35, s35, exec_lo
	s_cmp_eq_u64 s[4:5], s[6:7]
	s_cbranch_scc0 .LBB1309_173
; %bb.176:                              ;   in Loop: Header=BB1309_175 Depth=1
	s_mov_b64 s[6:7], s[14:15]
                                        ; implicit-def: $vgpr19_vgpr20
                                        ; implicit-def: $vgpr21_vgpr22
	s_branch .LBB1309_174
.LBB1309_177:
	s_set_inst_prefetch_distance 0x2
	s_or_b32 exec_lo, exec_lo, s34
	v_cmp_gt_i64_e32 vcc_lo, s[14:15], v[23:24]
	s_or_not1_b32 s0, vcc_lo, exec_lo
.LBB1309_178:
	s_or_b32 exec_lo, exec_lo, s33
.LBB1309_179:
	s_delay_alu instid0(SALU_CYCLE_1)
	s_and_b32 s0, s0, exec_lo
.LBB1309_180:
	s_or_b32 exec_lo, exec_lo, s31
	s_waitcnt vmcnt(0) lgkmcnt(0)
	s_barrier
	buffer_gl0_inv
	s_and_saveexec_b32 s4, s3
	s_cbranch_execz .LBB1309_182
; %bb.181:
	v_add_nc_u32_e32 v17, -8, v39
	ds_load_b64 v[17:18], v17
.LBB1309_182:
	s_or_b32 exec_lo, exec_lo, s4
	v_cndmask_b32_e64 v20, 0, 1, s29
	v_cndmask_b32_e64 v22, 0, 1, s26
	;; [unrolled: 1-line block ×7, first 2 shown]
	v_lshlrev_b16 v20, 8, v20
	v_lshlrev_b16 v22, 8, v22
	v_lshlrev_b16 v23, 8, v23
	s_mov_b32 s0, 0
	v_lshlrev_b16 v25, 8, v25
	v_or_b32_e32 v19, v19, v20
	v_or_b32_e32 v20, v21, v22
	v_or_b32_e32 v21, v24, v23
	s_mov_b32 s25, exec_lo
	v_and_b32_e32 v23, 0xffff, v25
	v_lshlrev_b32_e32 v24, 16, v19
	v_and_b32_e32 v25, 0xffff, v20
	v_lshlrev_b32_e32 v26, 16, v21
	v_cmpx_gt_u32_e64 s12, v39
	s_cbranch_execz .LBB1309_193
; %bb.183:
	v_cmp_ne_u32_e32 vcc_lo, 1, v27
	s_cbranch_vccnz .LBB1309_192
; %bb.184:
	s_waitcnt lgkmcnt(0)
	v_mul_lo_u32 v22, v18, s14
	v_mul_lo_u32 v27, v17, s15
	v_mad_u64_u32 v[18:19], null, v17, s14, 0
	v_mul_lo_u32 v17, v14, s14
	v_mul_lo_u32 v28, v13, s15
	v_mad_u64_u32 v[20:21], null, v13, s14, 0
	s_mov_b32 s0, -1
	s_mov_b32 s26, exec_lo
	s_delay_alu instid0(VALU_DEP_4) | instskip(NEXT) | instid1(VALU_DEP_2)
	v_add3_u32 v19, v19, v27, v22
	v_add3_u32 v21, v21, v28, v17
	s_delay_alu instid0(VALU_DEP_2) | instskip(NEXT) | instid1(VALU_DEP_2)
	v_lshlrev_b64 v[17:18], 1, v[18:19]
	v_lshlrev_b64 v[21:22], 1, v[20:21]
	s_delay_alu instid0(VALU_DEP_2) | instskip(NEXT) | instid1(VALU_DEP_3)
	v_add_co_u32 v19, vcc_lo, s16, v17
	v_add_co_ci_u32_e32 v20, vcc_lo, s17, v18, vcc_lo
	s_delay_alu instid0(VALU_DEP_3) | instskip(NEXT) | instid1(VALU_DEP_4)
	v_add_co_u32 v17, vcc_lo, s16, v21
	v_add_co_ci_u32_e32 v18, vcc_lo, s17, v22, vcc_lo
	s_clause 0x1
	global_load_u16 v21, v[19:20], off
	global_load_u16 v22, v[17:18], off
	s_waitcnt vmcnt(0)
	v_cmpx_eq_f16_e32 v21, v22
	s_cbranch_execz .LBB1309_191
; %bb.185:
	v_add_co_u32 v17, vcc_lo, v17, 2
	v_add_co_ci_u32_e32 v18, vcc_lo, 0, v18, vcc_lo
	v_add_co_u32 v19, vcc_lo, v19, 2
	v_add_co_ci_u32_e32 v20, vcc_lo, 0, v20, vcc_lo
	s_add_u32 s4, s14, -1
	s_addc_u32 s5, s15, -1
	s_mov_b64 s[6:7], 0
	s_mov_b32 s27, 0
                                        ; implicit-def: $sgpr28
	s_set_inst_prefetch_distance 0x1
	s_branch .LBB1309_188
	.p2align	6
.LBB1309_186:                           ;   in Loop: Header=BB1309_188 Depth=1
	global_load_u16 v21, v[19:20], off
	global_load_u16 v22, v[17:18], off
	v_add_co_u32 v17, vcc_lo, v17, 2
	v_add_co_ci_u32_e32 v18, vcc_lo, 0, v18, vcc_lo
	v_add_co_u32 v19, s0, v19, 2
	s_delay_alu instid0(VALU_DEP_1)
	v_add_co_ci_u32_e64 v20, s0, 0, v20, s0
	s_add_u32 s6, s6, 1
	s_addc_u32 s7, s7, 0
	s_and_not1_b32 s0, s28, exec_lo
	s_waitcnt vmcnt(0)
	v_cmp_neq_f16_e32 vcc_lo, v21, v22
	s_and_b32 s28, vcc_lo, exec_lo
	s_delay_alu instid0(SALU_CYCLE_1)
	s_or_b32 s28, s0, s28
.LBB1309_187:                           ;   in Loop: Header=BB1309_188 Depth=1
	v_dual_mov_b32 v22, s7 :: v_dual_mov_b32 v21, s6
	s_and_b32 s0, exec_lo, s28
	s_delay_alu instid0(SALU_CYCLE_1) | instskip(NEXT) | instid1(SALU_CYCLE_1)
	s_or_b32 s27, s0, s27
	s_and_not1_b32 exec_lo, exec_lo, s27
	s_cbranch_execz .LBB1309_190
.LBB1309_188:                           ; =>This Inner Loop Header: Depth=1
	s_or_b32 s28, s28, exec_lo
	s_cmp_eq_u64 s[4:5], s[6:7]
	s_cbranch_scc0 .LBB1309_186
; %bb.189:                              ;   in Loop: Header=BB1309_188 Depth=1
	s_mov_b64 s[6:7], s[14:15]
                                        ; implicit-def: $vgpr17_vgpr18
                                        ; implicit-def: $vgpr19_vgpr20
	s_branch .LBB1309_187
.LBB1309_190:
	s_set_inst_prefetch_distance 0x2
	s_or_b32 exec_lo, exec_lo, s27
	v_cmp_gt_i64_e32 vcc_lo, s[14:15], v[21:22]
	s_or_not1_b32 s0, vcc_lo, exec_lo
.LBB1309_191:
	s_or_b32 exec_lo, exec_lo, s26
.LBB1309_192:
	s_delay_alu instid0(SALU_CYCLE_1)
	s_and_b32 s0, s0, exec_lo
.LBB1309_193:
	s_or_b32 exec_lo, exec_lo, s25
	v_or_b32_e32 v19, v23, v24
	v_or_b32_e32 v20, v25, v26
.LBB1309_194:
	s_mov_b32 s25, -1
	s_cbranch_execnz .LBB1309_363
.LBB1309_195:
	v_cmp_gt_i64_e64 s26, s[14:15], 0
	s_and_b32 vcc_lo, exec_lo, s22
	ds_store_b64 v39, v[3:4]
	s_cbranch_vccz .LBB1309_203
; %bb.196:
	v_mul_lo_u32 v19, v2, s14
	v_mul_lo_u32 v20, v1, s15
	s_waitcnt vmcnt(0) lgkmcnt(1)
	v_mad_u64_u32 v[17:18], null, v1, s14, 0
	s_mov_b32 s27, 0
	s_and_not1_b32 vcc_lo, exec_lo, s26
	s_mov_b32 s28, 0
	s_delay_alu instid0(VALU_DEP_1) | instskip(NEXT) | instid1(VALU_DEP_1)
	v_add3_u32 v18, v18, v20, v19
	v_lshlrev_b64 v[17:18], 1, v[17:18]
	s_cbranch_vccnz .LBB1309_206
; %bb.197:
	v_mul_lo_u32 v21, v4, s14
	v_mul_lo_u32 v22, v3, s15
	v_mad_u64_u32 v[19:20], null, v3, s14, 0
	s_mov_b32 s28, -1
	s_mov_b32 s29, exec_lo
	s_delay_alu instid0(VALU_DEP_1) | instskip(SKIP_2) | instid1(VALU_DEP_3)
	v_add3_u32 v20, v20, v22, v21
	v_add_co_u32 v21, vcc_lo, s16, v17
	v_add_co_ci_u32_e32 v22, vcc_lo, s17, v18, vcc_lo
	v_lshlrev_b64 v[19:20], 1, v[19:20]
	s_delay_alu instid0(VALU_DEP_1) | instskip(NEXT) | instid1(VALU_DEP_2)
	v_add_co_u32 v19, vcc_lo, s16, v19
	v_add_co_ci_u32_e32 v20, vcc_lo, s17, v20, vcc_lo
	s_clause 0x1
	global_load_u16 v23, v[21:22], off
	global_load_u16 v24, v[19:20], off
	s_waitcnt vmcnt(0)
	v_cmpx_eq_f16_e32 v23, v24
	s_cbranch_execz .LBB1309_205
; %bb.198:
	v_add_co_u32 v19, vcc_lo, v19, 2
	v_add_co_ci_u32_e32 v20, vcc_lo, 0, v20, vcc_lo
	v_add_co_u32 v21, vcc_lo, v21, 2
	v_add_co_ci_u32_e32 v22, vcc_lo, 0, v22, vcc_lo
	s_add_u32 s4, s14, -1
	s_addc_u32 s5, s15, -1
	s_mov_b64 s[6:7], 0
	s_mov_b32 s28, 0
                                        ; implicit-def: $sgpr30
	s_set_inst_prefetch_distance 0x1
	s_branch .LBB1309_201
	.p2align	6
.LBB1309_199:                           ;   in Loop: Header=BB1309_201 Depth=1
	global_load_u16 v23, v[21:22], off
	global_load_u16 v24, v[19:20], off
	v_add_co_u32 v19, vcc_lo, v19, 2
	v_add_co_ci_u32_e32 v20, vcc_lo, 0, v20, vcc_lo
	v_add_co_u32 v21, s0, v21, 2
	s_delay_alu instid0(VALU_DEP_1)
	v_add_co_ci_u32_e64 v22, s0, 0, v22, s0
	s_add_u32 s6, s6, 1
	s_addc_u32 s7, s7, 0
	s_and_not1_b32 s0, s30, exec_lo
	s_waitcnt vmcnt(0)
	v_cmp_neq_f16_e32 vcc_lo, v23, v24
	s_and_b32 s30, vcc_lo, exec_lo
	s_delay_alu instid0(SALU_CYCLE_1)
	s_or_b32 s30, s0, s30
.LBB1309_200:                           ;   in Loop: Header=BB1309_201 Depth=1
	v_dual_mov_b32 v24, s7 :: v_dual_mov_b32 v23, s6
	s_and_b32 s0, exec_lo, s30
	s_delay_alu instid0(SALU_CYCLE_1) | instskip(NEXT) | instid1(SALU_CYCLE_1)
	s_or_b32 s28, s0, s28
	s_and_not1_b32 exec_lo, exec_lo, s28
	s_cbranch_execz .LBB1309_204
.LBB1309_201:                           ; =>This Inner Loop Header: Depth=1
	s_or_b32 s30, s30, exec_lo
	s_cmp_eq_u64 s[4:5], s[6:7]
	s_cbranch_scc0 .LBB1309_199
; %bb.202:                              ;   in Loop: Header=BB1309_201 Depth=1
	s_mov_b64 s[6:7], s[14:15]
                                        ; implicit-def: $vgpr19_vgpr20
                                        ; implicit-def: $vgpr21_vgpr22
	s_branch .LBB1309_200
.LBB1309_203:
                                        ; implicit-def: $sgpr0
                                        ; implicit-def: $vgpr20
	s_cbranch_execnz .LBB1309_272
	s_branch .LBB1309_363
.LBB1309_204:
	s_set_inst_prefetch_distance 0x2
	s_or_b32 exec_lo, exec_lo, s28
	v_cmp_gt_i64_e32 vcc_lo, s[14:15], v[23:24]
	s_or_not1_b32 s28, vcc_lo, exec_lo
.LBB1309_205:
	s_or_b32 exec_lo, exec_lo, s29
.LBB1309_206:
	v_mul_lo_u32 v21, v8, s14
	v_mul_lo_u32 v22, v7, s15
	v_mad_u64_u32 v[19:20], null, v7, s14, 0
	s_and_not1_b32 vcc_lo, exec_lo, s26
	s_delay_alu instid0(VALU_DEP_1) | instskip(NEXT) | instid1(VALU_DEP_1)
	v_add3_u32 v20, v20, v22, v21
	v_lshlrev_b64 v[19:20], 1, v[19:20]
	s_cbranch_vccnz .LBB1309_215
; %bb.207:
	s_delay_alu instid0(VALU_DEP_1) | instskip(NEXT) | instid1(VALU_DEP_2)
	v_add_co_u32 v21, vcc_lo, s16, v19
	v_add_co_ci_u32_e32 v22, vcc_lo, s17, v20, vcc_lo
	v_add_co_u32 v17, vcc_lo, s16, v17
	v_add_co_ci_u32_e32 v18, vcc_lo, s17, v18, vcc_lo
	s_mov_b32 s27, -1
	s_clause 0x1
	global_load_u16 v23, v[21:22], off
	global_load_u16 v24, v[17:18], off
	s_mov_b32 s29, exec_lo
	s_waitcnt vmcnt(0)
	v_cmpx_eq_f16_e32 v23, v24
	s_cbranch_execz .LBB1309_214
; %bb.208:
	v_add_co_u32 v17, vcc_lo, v17, 2
	v_add_co_ci_u32_e32 v18, vcc_lo, 0, v18, vcc_lo
	v_add_co_u32 v21, vcc_lo, v21, 2
	v_add_co_ci_u32_e32 v22, vcc_lo, 0, v22, vcc_lo
	s_add_u32 s4, s14, -1
	s_addc_u32 s5, s15, -1
	s_mov_b64 s[6:7], 0
	s_mov_b32 s27, 0
                                        ; implicit-def: $sgpr30
	s_set_inst_prefetch_distance 0x1
	s_branch .LBB1309_211
	.p2align	6
.LBB1309_209:                           ;   in Loop: Header=BB1309_211 Depth=1
	global_load_u16 v23, v[21:22], off
	global_load_u16 v24, v[17:18], off
	v_add_co_u32 v17, vcc_lo, v17, 2
	v_add_co_ci_u32_e32 v18, vcc_lo, 0, v18, vcc_lo
	v_add_co_u32 v21, s0, v21, 2
	s_delay_alu instid0(VALU_DEP_1)
	v_add_co_ci_u32_e64 v22, s0, 0, v22, s0
	s_add_u32 s6, s6, 1
	s_addc_u32 s7, s7, 0
	s_and_not1_b32 s0, s30, exec_lo
	s_waitcnt vmcnt(0)
	v_cmp_neq_f16_e32 vcc_lo, v23, v24
	s_and_b32 s30, vcc_lo, exec_lo
	s_delay_alu instid0(SALU_CYCLE_1)
	s_or_b32 s30, s0, s30
.LBB1309_210:                           ;   in Loop: Header=BB1309_211 Depth=1
	v_dual_mov_b32 v24, s7 :: v_dual_mov_b32 v23, s6
	s_and_b32 s0, exec_lo, s30
	s_delay_alu instid0(SALU_CYCLE_1) | instskip(NEXT) | instid1(SALU_CYCLE_1)
	s_or_b32 s27, s0, s27
	s_and_not1_b32 exec_lo, exec_lo, s27
	s_cbranch_execz .LBB1309_213
.LBB1309_211:                           ; =>This Inner Loop Header: Depth=1
	s_or_b32 s30, s30, exec_lo
	s_cmp_eq_u64 s[4:5], s[6:7]
	s_cbranch_scc0 .LBB1309_209
; %bb.212:                              ;   in Loop: Header=BB1309_211 Depth=1
	s_mov_b64 s[6:7], s[14:15]
                                        ; implicit-def: $vgpr17_vgpr18
                                        ; implicit-def: $vgpr21_vgpr22
	s_branch .LBB1309_210
.LBB1309_213:
	s_set_inst_prefetch_distance 0x2
	s_or_b32 exec_lo, exec_lo, s27
	v_cmp_gt_i64_e32 vcc_lo, s[14:15], v[23:24]
	s_or_not1_b32 s27, vcc_lo, exec_lo
.LBB1309_214:
	s_or_b32 exec_lo, exec_lo, s29
.LBB1309_215:
	v_mul_lo_u32 v21, v6, s14
	v_mul_lo_u32 v22, v5, s15
	v_mad_u64_u32 v[17:18], null, v5, s14, 0
	s_mov_b32 s29, 0
	s_and_not1_b32 vcc_lo, exec_lo, s26
	s_mov_b32 s30, 0
	s_delay_alu instid0(VALU_DEP_1) | instskip(NEXT) | instid1(VALU_DEP_1)
	v_add3_u32 v18, v18, v22, v21
	v_lshlrev_b64 v[21:22], 1, v[17:18]
	s_cbranch_vccnz .LBB1309_224
; %bb.216:
	s_delay_alu instid0(VALU_DEP_1) | instskip(NEXT) | instid1(VALU_DEP_2)
	v_add_co_u32 v23, vcc_lo, s16, v21
	v_add_co_ci_u32_e32 v24, vcc_lo, s17, v22, vcc_lo
	v_add_co_u32 v17, vcc_lo, s16, v19
	v_add_co_ci_u32_e32 v18, vcc_lo, s17, v20, vcc_lo
	s_mov_b32 s30, -1
	s_clause 0x1
	global_load_u16 v19, v[23:24], off
	global_load_u16 v20, v[17:18], off
	s_mov_b32 s31, exec_lo
	s_waitcnt vmcnt(0)
	v_cmpx_eq_f16_e32 v19, v20
	s_cbranch_execz .LBB1309_223
; %bb.217:
	v_add_co_u32 v17, vcc_lo, v17, 2
	v_add_co_ci_u32_e32 v18, vcc_lo, 0, v18, vcc_lo
	v_add_co_u32 v19, vcc_lo, v23, 2
	v_add_co_ci_u32_e32 v20, vcc_lo, 0, v24, vcc_lo
	s_add_u32 s4, s14, -1
	s_addc_u32 s5, s15, -1
	s_mov_b64 s[6:7], 0
	s_mov_b32 s30, 0
                                        ; implicit-def: $sgpr33
	s_set_inst_prefetch_distance 0x1
	s_branch .LBB1309_220
	.p2align	6
.LBB1309_218:                           ;   in Loop: Header=BB1309_220 Depth=1
	global_load_u16 v23, v[19:20], off
	global_load_u16 v24, v[17:18], off
	v_add_co_u32 v17, vcc_lo, v17, 2
	v_add_co_ci_u32_e32 v18, vcc_lo, 0, v18, vcc_lo
	v_add_co_u32 v19, s0, v19, 2
	s_delay_alu instid0(VALU_DEP_1)
	v_add_co_ci_u32_e64 v20, s0, 0, v20, s0
	s_add_u32 s6, s6, 1
	s_addc_u32 s7, s7, 0
	s_and_not1_b32 s0, s33, exec_lo
	s_waitcnt vmcnt(0)
	v_cmp_neq_f16_e32 vcc_lo, v23, v24
	s_and_b32 s33, vcc_lo, exec_lo
	s_delay_alu instid0(SALU_CYCLE_1)
	s_or_b32 s33, s0, s33
.LBB1309_219:                           ;   in Loop: Header=BB1309_220 Depth=1
	v_dual_mov_b32 v24, s7 :: v_dual_mov_b32 v23, s6
	s_and_b32 s0, exec_lo, s33
	s_delay_alu instid0(SALU_CYCLE_1) | instskip(NEXT) | instid1(SALU_CYCLE_1)
	s_or_b32 s30, s0, s30
	s_and_not1_b32 exec_lo, exec_lo, s30
	s_cbranch_execz .LBB1309_222
.LBB1309_220:                           ; =>This Inner Loop Header: Depth=1
	s_or_b32 s33, s33, exec_lo
	s_cmp_eq_u64 s[4:5], s[6:7]
	s_cbranch_scc0 .LBB1309_218
; %bb.221:                              ;   in Loop: Header=BB1309_220 Depth=1
	s_mov_b64 s[6:7], s[14:15]
                                        ; implicit-def: $vgpr17_vgpr18
                                        ; implicit-def: $vgpr19_vgpr20
	s_branch .LBB1309_219
.LBB1309_222:
	s_set_inst_prefetch_distance 0x2
	s_or_b32 exec_lo, exec_lo, s30
	v_cmp_gt_i64_e32 vcc_lo, s[14:15], v[23:24]
	s_or_not1_b32 s30, vcc_lo, exec_lo
.LBB1309_223:
	s_or_b32 exec_lo, exec_lo, s31
.LBB1309_224:
	v_mul_lo_u32 v19, v12, s14
	v_mul_lo_u32 v20, v11, s15
	v_mad_u64_u32 v[17:18], null, v11, s14, 0
	s_and_not1_b32 vcc_lo, exec_lo, s26
	s_delay_alu instid0(VALU_DEP_1) | instskip(NEXT) | instid1(VALU_DEP_1)
	v_add3_u32 v18, v18, v20, v19
	v_lshlrev_b64 v[17:18], 1, v[17:18]
	s_cbranch_vccnz .LBB1309_233
; %bb.225:
	s_delay_alu instid0(VALU_DEP_1) | instskip(NEXT) | instid1(VALU_DEP_2)
	v_add_co_u32 v23, vcc_lo, s16, v17
	v_add_co_ci_u32_e32 v24, vcc_lo, s17, v18, vcc_lo
	v_add_co_u32 v19, vcc_lo, s16, v21
	v_add_co_ci_u32_e32 v20, vcc_lo, s17, v22, vcc_lo
	s_mov_b32 s29, -1
	s_clause 0x1
	global_load_u16 v21, v[23:24], off
	global_load_u16 v22, v[19:20], off
	s_mov_b32 s31, exec_lo
	s_waitcnt vmcnt(0)
	v_cmpx_eq_f16_e32 v21, v22
	s_cbranch_execz .LBB1309_232
; %bb.226:
	v_add_co_u32 v19, vcc_lo, v19, 2
	v_add_co_ci_u32_e32 v20, vcc_lo, 0, v20, vcc_lo
	v_add_co_u32 v21, vcc_lo, v23, 2
	v_add_co_ci_u32_e32 v22, vcc_lo, 0, v24, vcc_lo
	s_add_u32 s4, s14, -1
	s_addc_u32 s5, s15, -1
	s_mov_b64 s[6:7], 0
	s_mov_b32 s29, 0
                                        ; implicit-def: $sgpr33
	s_set_inst_prefetch_distance 0x1
	s_branch .LBB1309_229
	.p2align	6
.LBB1309_227:                           ;   in Loop: Header=BB1309_229 Depth=1
	global_load_u16 v23, v[21:22], off
	global_load_u16 v24, v[19:20], off
	v_add_co_u32 v19, vcc_lo, v19, 2
	v_add_co_ci_u32_e32 v20, vcc_lo, 0, v20, vcc_lo
	v_add_co_u32 v21, s0, v21, 2
	s_delay_alu instid0(VALU_DEP_1)
	v_add_co_ci_u32_e64 v22, s0, 0, v22, s0
	s_add_u32 s6, s6, 1
	s_addc_u32 s7, s7, 0
	s_and_not1_b32 s0, s33, exec_lo
	s_waitcnt vmcnt(0)
	v_cmp_neq_f16_e32 vcc_lo, v23, v24
	s_and_b32 s33, vcc_lo, exec_lo
	s_delay_alu instid0(SALU_CYCLE_1)
	s_or_b32 s33, s0, s33
.LBB1309_228:                           ;   in Loop: Header=BB1309_229 Depth=1
	v_dual_mov_b32 v24, s7 :: v_dual_mov_b32 v23, s6
	s_and_b32 s0, exec_lo, s33
	s_delay_alu instid0(SALU_CYCLE_1) | instskip(NEXT) | instid1(SALU_CYCLE_1)
	s_or_b32 s29, s0, s29
	s_and_not1_b32 exec_lo, exec_lo, s29
	s_cbranch_execz .LBB1309_231
.LBB1309_229:                           ; =>This Inner Loop Header: Depth=1
	s_or_b32 s33, s33, exec_lo
	s_cmp_eq_u64 s[4:5], s[6:7]
	s_cbranch_scc0 .LBB1309_227
; %bb.230:                              ;   in Loop: Header=BB1309_229 Depth=1
	s_mov_b64 s[6:7], s[14:15]
                                        ; implicit-def: $vgpr19_vgpr20
                                        ; implicit-def: $vgpr21_vgpr22
	s_branch .LBB1309_228
.LBB1309_231:
	s_set_inst_prefetch_distance 0x2
	s_or_b32 exec_lo, exec_lo, s29
	v_cmp_gt_i64_e32 vcc_lo, s[14:15], v[23:24]
	s_or_not1_b32 s29, vcc_lo, exec_lo
.LBB1309_232:
	s_or_b32 exec_lo, exec_lo, s31
.LBB1309_233:
	v_mul_lo_u32 v21, v10, s14
	v_mul_lo_u32 v22, v9, s15
	v_mad_u64_u32 v[19:20], null, v9, s14, 0
	s_mov_b32 s31, 0
	s_and_not1_b32 vcc_lo, exec_lo, s26
	s_mov_b32 s33, 0
	s_delay_alu instid0(VALU_DEP_1) | instskip(NEXT) | instid1(VALU_DEP_1)
	v_add3_u32 v20, v20, v22, v21
	v_lshlrev_b64 v[21:22], 1, v[19:20]
	s_cbranch_vccnz .LBB1309_242
; %bb.234:
	s_delay_alu instid0(VALU_DEP_1) | instskip(NEXT) | instid1(VALU_DEP_2)
	v_add_co_u32 v19, vcc_lo, s16, v21
	v_add_co_ci_u32_e32 v20, vcc_lo, s17, v22, vcc_lo
	v_add_co_u32 v17, vcc_lo, s16, v17
	v_add_co_ci_u32_e32 v18, vcc_lo, s17, v18, vcc_lo
	s_mov_b32 s33, -1
	s_clause 0x1
	global_load_u16 v23, v[19:20], off
	global_load_u16 v24, v[17:18], off
	s_mov_b32 s34, exec_lo
	s_waitcnt vmcnt(0)
	v_cmpx_eq_f16_e32 v23, v24
	s_cbranch_execz .LBB1309_241
; %bb.235:
	v_add_co_u32 v17, vcc_lo, v17, 2
	v_add_co_ci_u32_e32 v18, vcc_lo, 0, v18, vcc_lo
	v_add_co_u32 v19, vcc_lo, v19, 2
	v_add_co_ci_u32_e32 v20, vcc_lo, 0, v20, vcc_lo
	s_add_u32 s4, s14, -1
	s_addc_u32 s5, s15, -1
	s_mov_b64 s[6:7], 0
	s_mov_b32 s33, 0
                                        ; implicit-def: $sgpr35
	s_set_inst_prefetch_distance 0x1
	s_branch .LBB1309_238
	.p2align	6
.LBB1309_236:                           ;   in Loop: Header=BB1309_238 Depth=1
	global_load_u16 v23, v[19:20], off
	global_load_u16 v24, v[17:18], off
	v_add_co_u32 v17, vcc_lo, v17, 2
	v_add_co_ci_u32_e32 v18, vcc_lo, 0, v18, vcc_lo
	v_add_co_u32 v19, s0, v19, 2
	s_delay_alu instid0(VALU_DEP_1)
	v_add_co_ci_u32_e64 v20, s0, 0, v20, s0
	s_add_u32 s6, s6, 1
	s_addc_u32 s7, s7, 0
	s_and_not1_b32 s0, s35, exec_lo
	s_waitcnt vmcnt(0)
	v_cmp_neq_f16_e32 vcc_lo, v23, v24
	s_and_b32 s35, vcc_lo, exec_lo
	s_delay_alu instid0(SALU_CYCLE_1)
	s_or_b32 s35, s0, s35
.LBB1309_237:                           ;   in Loop: Header=BB1309_238 Depth=1
	v_dual_mov_b32 v24, s7 :: v_dual_mov_b32 v23, s6
	s_and_b32 s0, exec_lo, s35
	s_delay_alu instid0(SALU_CYCLE_1) | instskip(NEXT) | instid1(SALU_CYCLE_1)
	s_or_b32 s33, s0, s33
	s_and_not1_b32 exec_lo, exec_lo, s33
	s_cbranch_execz .LBB1309_240
.LBB1309_238:                           ; =>This Inner Loop Header: Depth=1
	s_or_b32 s35, s35, exec_lo
	s_cmp_eq_u64 s[4:5], s[6:7]
	s_cbranch_scc0 .LBB1309_236
; %bb.239:                              ;   in Loop: Header=BB1309_238 Depth=1
	s_mov_b64 s[6:7], s[14:15]
                                        ; implicit-def: $vgpr17_vgpr18
                                        ; implicit-def: $vgpr19_vgpr20
	s_branch .LBB1309_237
.LBB1309_240:
	s_set_inst_prefetch_distance 0x2
	s_or_b32 exec_lo, exec_lo, s33
	v_cmp_gt_i64_e32 vcc_lo, s[14:15], v[23:24]
	s_or_not1_b32 s33, vcc_lo, exec_lo
.LBB1309_241:
	s_or_b32 exec_lo, exec_lo, s34
.LBB1309_242:
	v_mul_lo_u32 v19, v16, s14
	v_mul_lo_u32 v20, v15, s15
	v_mad_u64_u32 v[17:18], null, v15, s14, 0
	s_and_not1_b32 vcc_lo, exec_lo, s26
	s_delay_alu instid0(VALU_DEP_1) | instskip(NEXT) | instid1(VALU_DEP_1)
	v_add3_u32 v18, v18, v20, v19
	v_lshlrev_b64 v[19:20], 1, v[17:18]
	s_cbranch_vccnz .LBB1309_251
; %bb.243:
	s_delay_alu instid0(VALU_DEP_1) | instskip(NEXT) | instid1(VALU_DEP_2)
	v_add_co_u32 v23, vcc_lo, s16, v19
	v_add_co_ci_u32_e32 v24, vcc_lo, s17, v20, vcc_lo
	v_add_co_u32 v17, vcc_lo, s16, v21
	v_add_co_ci_u32_e32 v18, vcc_lo, s17, v22, vcc_lo
	s_mov_b32 s31, -1
	s_clause 0x1
	global_load_u16 v21, v[23:24], off
	global_load_u16 v22, v[17:18], off
	s_mov_b32 s34, exec_lo
	s_waitcnt vmcnt(0)
	v_cmpx_eq_f16_e32 v21, v22
	s_cbranch_execz .LBB1309_250
; %bb.244:
	v_add_co_u32 v17, vcc_lo, v17, 2
	v_add_co_ci_u32_e32 v18, vcc_lo, 0, v18, vcc_lo
	v_add_co_u32 v21, vcc_lo, v23, 2
	v_add_co_ci_u32_e32 v22, vcc_lo, 0, v24, vcc_lo
	s_add_u32 s4, s14, -1
	s_addc_u32 s5, s15, -1
	s_mov_b64 s[6:7], 0
	s_mov_b32 s31, 0
                                        ; implicit-def: $sgpr35
	s_set_inst_prefetch_distance 0x1
	s_branch .LBB1309_247
	.p2align	6
.LBB1309_245:                           ;   in Loop: Header=BB1309_247 Depth=1
	global_load_u16 v23, v[21:22], off
	global_load_u16 v24, v[17:18], off
	v_add_co_u32 v17, vcc_lo, v17, 2
	v_add_co_ci_u32_e32 v18, vcc_lo, 0, v18, vcc_lo
	v_add_co_u32 v21, s0, v21, 2
	s_delay_alu instid0(VALU_DEP_1)
	v_add_co_ci_u32_e64 v22, s0, 0, v22, s0
	s_add_u32 s6, s6, 1
	s_addc_u32 s7, s7, 0
	s_and_not1_b32 s0, s35, exec_lo
	s_waitcnt vmcnt(0)
	v_cmp_neq_f16_e32 vcc_lo, v23, v24
	s_and_b32 s35, vcc_lo, exec_lo
	s_delay_alu instid0(SALU_CYCLE_1)
	s_or_b32 s35, s0, s35
.LBB1309_246:                           ;   in Loop: Header=BB1309_247 Depth=1
	v_dual_mov_b32 v24, s7 :: v_dual_mov_b32 v23, s6
	s_and_b32 s0, exec_lo, s35
	s_delay_alu instid0(SALU_CYCLE_1) | instskip(NEXT) | instid1(SALU_CYCLE_1)
	s_or_b32 s31, s0, s31
	s_and_not1_b32 exec_lo, exec_lo, s31
	s_cbranch_execz .LBB1309_249
.LBB1309_247:                           ; =>This Inner Loop Header: Depth=1
	s_or_b32 s35, s35, exec_lo
	s_cmp_eq_u64 s[4:5], s[6:7]
	s_cbranch_scc0 .LBB1309_245
; %bb.248:                              ;   in Loop: Header=BB1309_247 Depth=1
	s_mov_b64 s[6:7], s[14:15]
                                        ; implicit-def: $vgpr17_vgpr18
                                        ; implicit-def: $vgpr21_vgpr22
	s_branch .LBB1309_246
.LBB1309_249:
	s_set_inst_prefetch_distance 0x2
	s_or_b32 exec_lo, exec_lo, s31
	v_cmp_gt_i64_e32 vcc_lo, s[14:15], v[23:24]
	s_or_not1_b32 s31, vcc_lo, exec_lo
.LBB1309_250:
	s_or_b32 exec_lo, exec_lo, s34
.LBB1309_251:
	v_mul_lo_u32 v21, v14, s14
	v_mul_lo_u32 v22, v13, s15
	v_mad_u64_u32 v[17:18], null, v13, s14, 0
	s_and_not1_b32 vcc_lo, exec_lo, s26
	s_mov_b32 s0, 0
	s_delay_alu instid0(VALU_DEP_1)
	v_add3_u32 v18, v18, v22, v21
	s_cbranch_vccnz .LBB1309_260
; %bb.252:
	s_delay_alu instid0(VALU_DEP_1) | instskip(SKIP_2) | instid1(VALU_DEP_1)
	v_lshlrev_b64 v[21:22], 1, v[17:18]
	s_mov_b32 s0, -1
	s_mov_b32 s34, exec_lo
	v_add_co_u32 v21, vcc_lo, s16, v21
	s_delay_alu instid0(VALU_DEP_2)
	v_add_co_ci_u32_e32 v22, vcc_lo, s17, v22, vcc_lo
	v_add_co_u32 v19, vcc_lo, s16, v19
	v_add_co_ci_u32_e32 v20, vcc_lo, s17, v20, vcc_lo
	s_clause 0x1
	global_load_u16 v23, v[21:22], off
	global_load_u16 v24, v[19:20], off
	s_waitcnt vmcnt(0)
	v_cmpx_eq_f16_e32 v23, v24
	s_cbranch_execz .LBB1309_259
; %bb.253:
	v_add_co_u32 v19, vcc_lo, v19, 2
	v_add_co_ci_u32_e32 v20, vcc_lo, 0, v20, vcc_lo
	v_add_co_u32 v21, vcc_lo, v21, 2
	v_add_co_ci_u32_e32 v22, vcc_lo, 0, v22, vcc_lo
	s_add_u32 s4, s14, -1
	s_addc_u32 s5, s15, -1
	s_mov_b64 s[6:7], 0
	s_mov_b32 s35, 0
                                        ; implicit-def: $sgpr36
	s_set_inst_prefetch_distance 0x1
	s_branch .LBB1309_256
	.p2align	6
.LBB1309_254:                           ;   in Loop: Header=BB1309_256 Depth=1
	global_load_u16 v23, v[21:22], off
	global_load_u16 v24, v[19:20], off
	v_add_co_u32 v19, vcc_lo, v19, 2
	v_add_co_ci_u32_e32 v20, vcc_lo, 0, v20, vcc_lo
	v_add_co_u32 v21, s0, v21, 2
	s_delay_alu instid0(VALU_DEP_1)
	v_add_co_ci_u32_e64 v22, s0, 0, v22, s0
	s_add_u32 s6, s6, 1
	s_addc_u32 s7, s7, 0
	s_and_not1_b32 s0, s36, exec_lo
	s_waitcnt vmcnt(0)
	v_cmp_neq_f16_e32 vcc_lo, v23, v24
	s_and_b32 s36, vcc_lo, exec_lo
	s_delay_alu instid0(SALU_CYCLE_1)
	s_or_b32 s36, s0, s36
.LBB1309_255:                           ;   in Loop: Header=BB1309_256 Depth=1
	v_dual_mov_b32 v24, s7 :: v_dual_mov_b32 v23, s6
	s_and_b32 s0, exec_lo, s36
	s_delay_alu instid0(SALU_CYCLE_1) | instskip(NEXT) | instid1(SALU_CYCLE_1)
	s_or_b32 s35, s0, s35
	s_and_not1_b32 exec_lo, exec_lo, s35
	s_cbranch_execz .LBB1309_258
.LBB1309_256:                           ; =>This Inner Loop Header: Depth=1
	s_or_b32 s36, s36, exec_lo
	s_cmp_eq_u64 s[4:5], s[6:7]
	s_cbranch_scc0 .LBB1309_254
; %bb.257:                              ;   in Loop: Header=BB1309_256 Depth=1
	s_mov_b64 s[6:7], s[14:15]
                                        ; implicit-def: $vgpr19_vgpr20
                                        ; implicit-def: $vgpr21_vgpr22
	s_branch .LBB1309_255
.LBB1309_258:
	s_set_inst_prefetch_distance 0x2
	s_or_b32 exec_lo, exec_lo, s35
	v_cmp_gt_i64_e32 vcc_lo, s[14:15], v[23:24]
	s_or_not1_b32 s0, vcc_lo, exec_lo
.LBB1309_259:
	s_or_b32 exec_lo, exec_lo, s34
.LBB1309_260:
	v_cndmask_b32_e64 v20, 0, 1, s33
	v_cndmask_b32_e64 v21, 0, 1, s30
	;; [unrolled: 1-line block ×7, first 2 shown]
	v_lshlrev_b16 v21, 8, v21
	v_lshlrev_b16 v22, 8, v22
	;; [unrolled: 1-line block ×4, first 2 shown]
	s_waitcnt lgkmcnt(0)
	v_or_b32_e32 v21, v24, v21
	v_or_b32_e32 v22, v25, v22
	;; [unrolled: 1-line block ×4, first 2 shown]
	s_barrier
	v_and_b32_e32 v20, 0xffff, v21
	v_lshlrev_b32_e32 v21, 16, v22
	v_and_b32_e32 v22, 0xffff, v23
	v_lshlrev_b32_e32 v19, 16, v19
	buffer_gl0_inv
                                        ; implicit-def: $sgpr0
	v_or_b32_e32 v20, v20, v21
	v_or_b32_e32 v19, v22, v19
	s_and_saveexec_b32 s4, s3
	s_delay_alu instid0(SALU_CYCLE_1)
	s_xor_b32 s27, exec_lo, s4
	s_cbranch_execz .LBB1309_271
; %bb.261:
	s_and_not1_b32 vcc_lo, exec_lo, s26
	s_mov_b32 s0, 0
	s_cbranch_vccnz .LBB1309_270
; %bb.262:
	v_add_nc_u32_e32 v21, -8, v39
	v_lshlrev_b64 v[17:18], 1, v[17:18]
	s_mov_b32 s0, -1
	s_mov_b32 s28, exec_lo
	ds_load_b64 v[21:22], v21
	s_waitcnt lgkmcnt(0)
	v_mul_lo_u32 v24, v22, s14
	v_mul_lo_u32 v25, v21, s15
	v_mad_u64_u32 v[22:23], null, v21, s14, 0
	s_delay_alu instid0(VALU_DEP_1) | instskip(NEXT) | instid1(VALU_DEP_1)
	v_add3_u32 v23, v23, v25, v24
	v_lshlrev_b64 v[21:22], 1, v[22:23]
	s_delay_alu instid0(VALU_DEP_1) | instskip(NEXT) | instid1(VALU_DEP_2)
	v_add_co_u32 v21, vcc_lo, s16, v21
	v_add_co_ci_u32_e32 v22, vcc_lo, s17, v22, vcc_lo
	v_add_co_u32 v17, vcc_lo, s16, v17
	v_add_co_ci_u32_e32 v18, vcc_lo, s17, v18, vcc_lo
	s_clause 0x1
	global_load_u16 v23, v[21:22], off
	global_load_u16 v24, v[17:18], off
	s_waitcnt vmcnt(0)
	v_cmpx_eq_f16_e32 v23, v24
	s_cbranch_execz .LBB1309_269
; %bb.263:
	v_add_co_u32 v17, vcc_lo, v17, 2
	v_add_co_ci_u32_e32 v18, vcc_lo, 0, v18, vcc_lo
	v_add_co_u32 v21, vcc_lo, v21, 2
	v_add_co_ci_u32_e32 v22, vcc_lo, 0, v22, vcc_lo
	s_add_u32 s4, s14, -1
	s_addc_u32 s5, s15, -1
	s_mov_b64 s[6:7], 0
	s_mov_b32 s29, 0
                                        ; implicit-def: $sgpr30
	s_set_inst_prefetch_distance 0x1
	s_branch .LBB1309_266
	.p2align	6
.LBB1309_264:                           ;   in Loop: Header=BB1309_266 Depth=1
	global_load_u16 v23, v[21:22], off
	global_load_u16 v24, v[17:18], off
	v_add_co_u32 v17, vcc_lo, v17, 2
	v_add_co_ci_u32_e32 v18, vcc_lo, 0, v18, vcc_lo
	v_add_co_u32 v21, s0, v21, 2
	s_delay_alu instid0(VALU_DEP_1)
	v_add_co_ci_u32_e64 v22, s0, 0, v22, s0
	s_add_u32 s6, s6, 1
	s_addc_u32 s7, s7, 0
	s_and_not1_b32 s0, s30, exec_lo
	s_waitcnt vmcnt(0)
	v_cmp_neq_f16_e32 vcc_lo, v23, v24
	s_and_b32 s30, vcc_lo, exec_lo
	s_delay_alu instid0(SALU_CYCLE_1)
	s_or_b32 s30, s0, s30
.LBB1309_265:                           ;   in Loop: Header=BB1309_266 Depth=1
	v_dual_mov_b32 v24, s7 :: v_dual_mov_b32 v23, s6
	s_and_b32 s0, exec_lo, s30
	s_delay_alu instid0(SALU_CYCLE_1) | instskip(NEXT) | instid1(SALU_CYCLE_1)
	s_or_b32 s29, s0, s29
	s_and_not1_b32 exec_lo, exec_lo, s29
	s_cbranch_execz .LBB1309_268
.LBB1309_266:                           ; =>This Inner Loop Header: Depth=1
	s_or_b32 s30, s30, exec_lo
	s_cmp_eq_u64 s[4:5], s[6:7]
	s_cbranch_scc0 .LBB1309_264
; %bb.267:                              ;   in Loop: Header=BB1309_266 Depth=1
	s_mov_b64 s[6:7], s[14:15]
                                        ; implicit-def: $vgpr17_vgpr18
                                        ; implicit-def: $vgpr21_vgpr22
	s_branch .LBB1309_265
.LBB1309_268:
	s_set_inst_prefetch_distance 0x2
	s_or_b32 exec_lo, exec_lo, s29
	v_cmp_gt_i64_e32 vcc_lo, s[14:15], v[23:24]
	s_or_not1_b32 s0, vcc_lo, exec_lo
.LBB1309_269:
	s_or_b32 exec_lo, exec_lo, s28
.LBB1309_270:
	s_delay_alu instid0(SALU_CYCLE_1)
	s_and_b32 s0, s0, exec_lo
	s_or_b32 s25, s25, exec_lo
.LBB1309_271:
	s_or_b32 exec_lo, exec_lo, s27
	s_branch .LBB1309_363
.LBB1309_272:
	s_waitcnt vmcnt(0) lgkmcnt(1)
	v_or_b32_e32 v17, 7, v39
	s_mov_b32 s27, 0
	s_mov_b32 s28, 0
	s_mov_b32 s29, exec_lo
	s_delay_alu instid0(VALU_DEP_1)
	v_cmpx_gt_u32_e64 s12, v17
	s_cbranch_execz .LBB1309_283
; %bb.273:
	s_and_not1_b32 vcc_lo, exec_lo, s26
	s_mov_b32 s0, 0
	s_cbranch_vccnz .LBB1309_282
; %bb.274:
	v_mul_lo_u32 v21, v2, s14
	v_mul_lo_u32 v22, v1, s15
	v_mad_u64_u32 v[17:18], null, v1, s14, 0
	v_mul_lo_u32 v23, v4, s14
	v_mul_lo_u32 v24, v3, s15
	v_mad_u64_u32 v[19:20], null, v3, s14, 0
	s_mov_b32 s0, -1
	s_mov_b32 s28, exec_lo
	s_delay_alu instid0(VALU_DEP_4) | instskip(NEXT) | instid1(VALU_DEP_2)
	v_add3_u32 v18, v18, v22, v21
	v_add3_u32 v20, v20, v24, v23
	s_delay_alu instid0(VALU_DEP_2) | instskip(NEXT) | instid1(VALU_DEP_2)
	v_lshlrev_b64 v[17:18], 1, v[17:18]
	v_lshlrev_b64 v[21:22], 1, v[19:20]
	s_delay_alu instid0(VALU_DEP_2) | instskip(NEXT) | instid1(VALU_DEP_3)
	v_add_co_u32 v19, vcc_lo, s16, v17
	v_add_co_ci_u32_e32 v20, vcc_lo, s17, v18, vcc_lo
	s_delay_alu instid0(VALU_DEP_3) | instskip(NEXT) | instid1(VALU_DEP_4)
	v_add_co_u32 v17, vcc_lo, s16, v21
	v_add_co_ci_u32_e32 v18, vcc_lo, s17, v22, vcc_lo
	s_clause 0x1
	global_load_u16 v21, v[19:20], off
	global_load_u16 v22, v[17:18], off
	s_waitcnt vmcnt(0)
	v_cmpx_eq_f16_e32 v21, v22
	s_cbranch_execz .LBB1309_281
; %bb.275:
	v_add_co_u32 v17, vcc_lo, v17, 2
	v_add_co_ci_u32_e32 v18, vcc_lo, 0, v18, vcc_lo
	v_add_co_u32 v19, vcc_lo, v19, 2
	v_add_co_ci_u32_e32 v20, vcc_lo, 0, v20, vcc_lo
	s_add_u32 s4, s14, -1
	s_addc_u32 s5, s15, -1
	s_mov_b64 s[6:7], 0
	s_mov_b32 s30, 0
                                        ; implicit-def: $sgpr31
	s_set_inst_prefetch_distance 0x1
	s_branch .LBB1309_278
	.p2align	6
.LBB1309_276:                           ;   in Loop: Header=BB1309_278 Depth=1
	global_load_u16 v21, v[19:20], off
	global_load_u16 v22, v[17:18], off
	v_add_co_u32 v17, vcc_lo, v17, 2
	v_add_co_ci_u32_e32 v18, vcc_lo, 0, v18, vcc_lo
	v_add_co_u32 v19, s0, v19, 2
	s_delay_alu instid0(VALU_DEP_1)
	v_add_co_ci_u32_e64 v20, s0, 0, v20, s0
	s_add_u32 s6, s6, 1
	s_addc_u32 s7, s7, 0
	s_and_not1_b32 s0, s31, exec_lo
	s_waitcnt vmcnt(0)
	v_cmp_neq_f16_e32 vcc_lo, v21, v22
	s_and_b32 s31, vcc_lo, exec_lo
	s_delay_alu instid0(SALU_CYCLE_1)
	s_or_b32 s31, s0, s31
.LBB1309_277:                           ;   in Loop: Header=BB1309_278 Depth=1
	v_dual_mov_b32 v22, s7 :: v_dual_mov_b32 v21, s6
	s_and_b32 s0, exec_lo, s31
	s_delay_alu instid0(SALU_CYCLE_1) | instskip(NEXT) | instid1(SALU_CYCLE_1)
	s_or_b32 s30, s0, s30
	s_and_not1_b32 exec_lo, exec_lo, s30
	s_cbranch_execz .LBB1309_280
.LBB1309_278:                           ; =>This Inner Loop Header: Depth=1
	s_or_b32 s31, s31, exec_lo
	s_cmp_eq_u64 s[4:5], s[6:7]
	s_cbranch_scc0 .LBB1309_276
; %bb.279:                              ;   in Loop: Header=BB1309_278 Depth=1
	s_mov_b64 s[6:7], s[14:15]
                                        ; implicit-def: $vgpr17_vgpr18
                                        ; implicit-def: $vgpr19_vgpr20
	s_branch .LBB1309_277
.LBB1309_280:
	s_set_inst_prefetch_distance 0x2
	s_or_b32 exec_lo, exec_lo, s30
	v_cmp_gt_i64_e32 vcc_lo, s[14:15], v[21:22]
	s_or_not1_b32 s0, vcc_lo, exec_lo
.LBB1309_281:
	s_or_b32 exec_lo, exec_lo, s28
.LBB1309_282:
	s_delay_alu instid0(SALU_CYCLE_1)
	s_and_b32 s28, s0, exec_lo
.LBB1309_283:
	s_or_b32 exec_lo, exec_lo, s29
	v_or_b32_e32 v17, 6, v39
	s_mov_b32 s29, exec_lo
	s_delay_alu instid0(VALU_DEP_1)
	v_cmpx_gt_u32_e64 s12, v17
	s_cbranch_execz .LBB1309_294
; %bb.284:
	s_and_not1_b32 vcc_lo, exec_lo, s26
	s_mov_b32 s0, 0
	s_cbranch_vccnz .LBB1309_293
; %bb.285:
	v_mul_lo_u32 v21, v8, s14
	v_mul_lo_u32 v22, v7, s15
	v_mad_u64_u32 v[17:18], null, v7, s14, 0
	v_mul_lo_u32 v23, v2, s14
	v_mul_lo_u32 v24, v1, s15
	v_mad_u64_u32 v[19:20], null, v1, s14, 0
	s_mov_b32 s0, -1
	s_mov_b32 s27, exec_lo
	s_delay_alu instid0(VALU_DEP_4) | instskip(NEXT) | instid1(VALU_DEP_2)
	v_add3_u32 v18, v18, v22, v21
	v_add3_u32 v20, v20, v24, v23
	s_delay_alu instid0(VALU_DEP_2) | instskip(NEXT) | instid1(VALU_DEP_2)
	v_lshlrev_b64 v[17:18], 1, v[17:18]
	v_lshlrev_b64 v[21:22], 1, v[19:20]
	s_delay_alu instid0(VALU_DEP_2) | instskip(NEXT) | instid1(VALU_DEP_3)
	v_add_co_u32 v19, vcc_lo, s16, v17
	v_add_co_ci_u32_e32 v20, vcc_lo, s17, v18, vcc_lo
	s_delay_alu instid0(VALU_DEP_3) | instskip(NEXT) | instid1(VALU_DEP_4)
	v_add_co_u32 v17, vcc_lo, s16, v21
	v_add_co_ci_u32_e32 v18, vcc_lo, s17, v22, vcc_lo
	s_clause 0x1
	global_load_u16 v21, v[19:20], off
	global_load_u16 v22, v[17:18], off
	s_waitcnt vmcnt(0)
	v_cmpx_eq_f16_e32 v21, v22
	s_cbranch_execz .LBB1309_292
; %bb.286:
	v_add_co_u32 v17, vcc_lo, v17, 2
	v_add_co_ci_u32_e32 v18, vcc_lo, 0, v18, vcc_lo
	v_add_co_u32 v19, vcc_lo, v19, 2
	v_add_co_ci_u32_e32 v20, vcc_lo, 0, v20, vcc_lo
	s_add_u32 s4, s14, -1
	s_addc_u32 s5, s15, -1
	s_mov_b64 s[6:7], 0
	s_mov_b32 s30, 0
                                        ; implicit-def: $sgpr31
	s_set_inst_prefetch_distance 0x1
	s_branch .LBB1309_289
	.p2align	6
.LBB1309_287:                           ;   in Loop: Header=BB1309_289 Depth=1
	global_load_u16 v21, v[19:20], off
	global_load_u16 v22, v[17:18], off
	v_add_co_u32 v17, vcc_lo, v17, 2
	v_add_co_ci_u32_e32 v18, vcc_lo, 0, v18, vcc_lo
	v_add_co_u32 v19, s0, v19, 2
	s_delay_alu instid0(VALU_DEP_1)
	v_add_co_ci_u32_e64 v20, s0, 0, v20, s0
	s_add_u32 s6, s6, 1
	s_addc_u32 s7, s7, 0
	s_and_not1_b32 s0, s31, exec_lo
	s_waitcnt vmcnt(0)
	v_cmp_neq_f16_e32 vcc_lo, v21, v22
	s_and_b32 s31, vcc_lo, exec_lo
	s_delay_alu instid0(SALU_CYCLE_1)
	s_or_b32 s31, s0, s31
.LBB1309_288:                           ;   in Loop: Header=BB1309_289 Depth=1
	v_dual_mov_b32 v22, s7 :: v_dual_mov_b32 v21, s6
	s_and_b32 s0, exec_lo, s31
	s_delay_alu instid0(SALU_CYCLE_1) | instskip(NEXT) | instid1(SALU_CYCLE_1)
	s_or_b32 s30, s0, s30
	s_and_not1_b32 exec_lo, exec_lo, s30
	s_cbranch_execz .LBB1309_291
.LBB1309_289:                           ; =>This Inner Loop Header: Depth=1
	s_or_b32 s31, s31, exec_lo
	s_cmp_eq_u64 s[4:5], s[6:7]
	s_cbranch_scc0 .LBB1309_287
; %bb.290:                              ;   in Loop: Header=BB1309_289 Depth=1
	s_mov_b64 s[6:7], s[14:15]
                                        ; implicit-def: $vgpr17_vgpr18
                                        ; implicit-def: $vgpr19_vgpr20
	s_branch .LBB1309_288
.LBB1309_291:
	s_set_inst_prefetch_distance 0x2
	s_or_b32 exec_lo, exec_lo, s30
	v_cmp_gt_i64_e32 vcc_lo, s[14:15], v[21:22]
	s_or_not1_b32 s0, vcc_lo, exec_lo
.LBB1309_292:
	s_or_b32 exec_lo, exec_lo, s27
.LBB1309_293:
	s_delay_alu instid0(SALU_CYCLE_1)
	s_and_b32 s27, s0, exec_lo
.LBB1309_294:
	s_or_b32 exec_lo, exec_lo, s29
	v_or_b32_e32 v17, 5, v39
	s_mov_b32 s29, 0
	s_mov_b32 s30, 0
	s_mov_b32 s31, exec_lo
	s_delay_alu instid0(VALU_DEP_1)
	v_cmpx_gt_u32_e64 s12, v17
	s_cbranch_execz .LBB1309_305
; %bb.295:
	s_and_not1_b32 vcc_lo, exec_lo, s26
	s_mov_b32 s0, 0
	s_cbranch_vccnz .LBB1309_304
; %bb.296:
	v_mul_lo_u32 v21, v6, s14
	v_mul_lo_u32 v22, v5, s15
	v_mad_u64_u32 v[17:18], null, v5, s14, 0
	v_mul_lo_u32 v23, v8, s14
	v_mul_lo_u32 v24, v7, s15
	v_mad_u64_u32 v[19:20], null, v7, s14, 0
	s_mov_b32 s0, -1
	s_mov_b32 s30, exec_lo
	s_delay_alu instid0(VALU_DEP_4) | instskip(NEXT) | instid1(VALU_DEP_2)
	v_add3_u32 v18, v18, v22, v21
	v_add3_u32 v20, v20, v24, v23
	s_delay_alu instid0(VALU_DEP_2) | instskip(NEXT) | instid1(VALU_DEP_2)
	v_lshlrev_b64 v[17:18], 1, v[17:18]
	v_lshlrev_b64 v[21:22], 1, v[19:20]
	s_delay_alu instid0(VALU_DEP_2) | instskip(NEXT) | instid1(VALU_DEP_3)
	v_add_co_u32 v19, vcc_lo, s16, v17
	v_add_co_ci_u32_e32 v20, vcc_lo, s17, v18, vcc_lo
	s_delay_alu instid0(VALU_DEP_3) | instskip(NEXT) | instid1(VALU_DEP_4)
	v_add_co_u32 v17, vcc_lo, s16, v21
	v_add_co_ci_u32_e32 v18, vcc_lo, s17, v22, vcc_lo
	s_clause 0x1
	global_load_u16 v21, v[19:20], off
	global_load_u16 v22, v[17:18], off
	s_waitcnt vmcnt(0)
	v_cmpx_eq_f16_e32 v21, v22
	s_cbranch_execz .LBB1309_303
; %bb.297:
	v_add_co_u32 v17, vcc_lo, v17, 2
	v_add_co_ci_u32_e32 v18, vcc_lo, 0, v18, vcc_lo
	v_add_co_u32 v19, vcc_lo, v19, 2
	v_add_co_ci_u32_e32 v20, vcc_lo, 0, v20, vcc_lo
	s_add_u32 s4, s14, -1
	s_addc_u32 s5, s15, -1
	s_mov_b64 s[6:7], 0
	s_mov_b32 s33, 0
                                        ; implicit-def: $sgpr34
	s_set_inst_prefetch_distance 0x1
	s_branch .LBB1309_300
	.p2align	6
.LBB1309_298:                           ;   in Loop: Header=BB1309_300 Depth=1
	global_load_u16 v21, v[19:20], off
	global_load_u16 v22, v[17:18], off
	v_add_co_u32 v17, vcc_lo, v17, 2
	v_add_co_ci_u32_e32 v18, vcc_lo, 0, v18, vcc_lo
	v_add_co_u32 v19, s0, v19, 2
	s_delay_alu instid0(VALU_DEP_1)
	v_add_co_ci_u32_e64 v20, s0, 0, v20, s0
	s_add_u32 s6, s6, 1
	s_addc_u32 s7, s7, 0
	s_and_not1_b32 s0, s34, exec_lo
	s_waitcnt vmcnt(0)
	v_cmp_neq_f16_e32 vcc_lo, v21, v22
	s_and_b32 s34, vcc_lo, exec_lo
	s_delay_alu instid0(SALU_CYCLE_1)
	s_or_b32 s34, s0, s34
.LBB1309_299:                           ;   in Loop: Header=BB1309_300 Depth=1
	v_dual_mov_b32 v22, s7 :: v_dual_mov_b32 v21, s6
	s_and_b32 s0, exec_lo, s34
	s_delay_alu instid0(SALU_CYCLE_1) | instskip(NEXT) | instid1(SALU_CYCLE_1)
	s_or_b32 s33, s0, s33
	s_and_not1_b32 exec_lo, exec_lo, s33
	s_cbranch_execz .LBB1309_302
.LBB1309_300:                           ; =>This Inner Loop Header: Depth=1
	s_or_b32 s34, s34, exec_lo
	s_cmp_eq_u64 s[4:5], s[6:7]
	s_cbranch_scc0 .LBB1309_298
; %bb.301:                              ;   in Loop: Header=BB1309_300 Depth=1
	s_mov_b64 s[6:7], s[14:15]
                                        ; implicit-def: $vgpr17_vgpr18
                                        ; implicit-def: $vgpr19_vgpr20
	s_branch .LBB1309_299
.LBB1309_302:
	s_set_inst_prefetch_distance 0x2
	s_or_b32 exec_lo, exec_lo, s33
	v_cmp_gt_i64_e32 vcc_lo, s[14:15], v[21:22]
	s_or_not1_b32 s0, vcc_lo, exec_lo
.LBB1309_303:
	s_or_b32 exec_lo, exec_lo, s30
.LBB1309_304:
	s_delay_alu instid0(SALU_CYCLE_1)
	s_and_b32 s30, s0, exec_lo
.LBB1309_305:
	s_or_b32 exec_lo, exec_lo, s31
	v_or_b32_e32 v17, 4, v39
	s_mov_b32 s31, exec_lo
	s_delay_alu instid0(VALU_DEP_1)
	v_cmpx_gt_u32_e64 s12, v17
	s_cbranch_execz .LBB1309_316
; %bb.306:
	s_and_not1_b32 vcc_lo, exec_lo, s26
	s_mov_b32 s0, 0
	s_cbranch_vccnz .LBB1309_315
; %bb.307:
	v_mul_lo_u32 v21, v12, s14
	v_mul_lo_u32 v22, v11, s15
	v_mad_u64_u32 v[17:18], null, v11, s14, 0
	v_mul_lo_u32 v23, v6, s14
	v_mul_lo_u32 v24, v5, s15
	v_mad_u64_u32 v[19:20], null, v5, s14, 0
	s_mov_b32 s0, -1
	s_mov_b32 s29, exec_lo
	s_delay_alu instid0(VALU_DEP_4) | instskip(NEXT) | instid1(VALU_DEP_2)
	v_add3_u32 v18, v18, v22, v21
	v_add3_u32 v20, v20, v24, v23
	s_delay_alu instid0(VALU_DEP_2) | instskip(NEXT) | instid1(VALU_DEP_2)
	v_lshlrev_b64 v[17:18], 1, v[17:18]
	v_lshlrev_b64 v[21:22], 1, v[19:20]
	s_delay_alu instid0(VALU_DEP_2) | instskip(NEXT) | instid1(VALU_DEP_3)
	v_add_co_u32 v19, vcc_lo, s16, v17
	v_add_co_ci_u32_e32 v20, vcc_lo, s17, v18, vcc_lo
	s_delay_alu instid0(VALU_DEP_3) | instskip(NEXT) | instid1(VALU_DEP_4)
	v_add_co_u32 v17, vcc_lo, s16, v21
	v_add_co_ci_u32_e32 v18, vcc_lo, s17, v22, vcc_lo
	s_clause 0x1
	global_load_u16 v21, v[19:20], off
	global_load_u16 v22, v[17:18], off
	s_waitcnt vmcnt(0)
	v_cmpx_eq_f16_e32 v21, v22
	s_cbranch_execz .LBB1309_314
; %bb.308:
	v_add_co_u32 v17, vcc_lo, v17, 2
	v_add_co_ci_u32_e32 v18, vcc_lo, 0, v18, vcc_lo
	v_add_co_u32 v19, vcc_lo, v19, 2
	v_add_co_ci_u32_e32 v20, vcc_lo, 0, v20, vcc_lo
	s_add_u32 s4, s14, -1
	s_addc_u32 s5, s15, -1
	s_mov_b64 s[6:7], 0
	s_mov_b32 s33, 0
                                        ; implicit-def: $sgpr34
	s_set_inst_prefetch_distance 0x1
	s_branch .LBB1309_311
	.p2align	6
.LBB1309_309:                           ;   in Loop: Header=BB1309_311 Depth=1
	global_load_u16 v21, v[19:20], off
	global_load_u16 v22, v[17:18], off
	v_add_co_u32 v17, vcc_lo, v17, 2
	v_add_co_ci_u32_e32 v18, vcc_lo, 0, v18, vcc_lo
	v_add_co_u32 v19, s0, v19, 2
	s_delay_alu instid0(VALU_DEP_1)
	v_add_co_ci_u32_e64 v20, s0, 0, v20, s0
	s_add_u32 s6, s6, 1
	s_addc_u32 s7, s7, 0
	s_and_not1_b32 s0, s34, exec_lo
	s_waitcnt vmcnt(0)
	v_cmp_neq_f16_e32 vcc_lo, v21, v22
	s_and_b32 s34, vcc_lo, exec_lo
	s_delay_alu instid0(SALU_CYCLE_1)
	s_or_b32 s34, s0, s34
.LBB1309_310:                           ;   in Loop: Header=BB1309_311 Depth=1
	v_dual_mov_b32 v22, s7 :: v_dual_mov_b32 v21, s6
	s_and_b32 s0, exec_lo, s34
	s_delay_alu instid0(SALU_CYCLE_1) | instskip(NEXT) | instid1(SALU_CYCLE_1)
	s_or_b32 s33, s0, s33
	s_and_not1_b32 exec_lo, exec_lo, s33
	s_cbranch_execz .LBB1309_313
.LBB1309_311:                           ; =>This Inner Loop Header: Depth=1
	s_or_b32 s34, s34, exec_lo
	s_cmp_eq_u64 s[4:5], s[6:7]
	s_cbranch_scc0 .LBB1309_309
; %bb.312:                              ;   in Loop: Header=BB1309_311 Depth=1
	s_mov_b64 s[6:7], s[14:15]
                                        ; implicit-def: $vgpr17_vgpr18
                                        ; implicit-def: $vgpr19_vgpr20
	s_branch .LBB1309_310
.LBB1309_313:
	s_set_inst_prefetch_distance 0x2
	s_or_b32 exec_lo, exec_lo, s33
	v_cmp_gt_i64_e32 vcc_lo, s[14:15], v[21:22]
	s_or_not1_b32 s0, vcc_lo, exec_lo
.LBB1309_314:
	s_or_b32 exec_lo, exec_lo, s29
.LBB1309_315:
	s_delay_alu instid0(SALU_CYCLE_1)
	s_and_b32 s29, s0, exec_lo
.LBB1309_316:
	s_or_b32 exec_lo, exec_lo, s31
	v_or_b32_e32 v17, 3, v39
	s_mov_b32 s33, 0
	s_mov_b32 s31, 0
	s_mov_b32 s34, exec_lo
	s_delay_alu instid0(VALU_DEP_1)
	v_cmpx_gt_u32_e64 s12, v17
	s_cbranch_execz .LBB1309_327
; %bb.317:
	s_and_not1_b32 vcc_lo, exec_lo, s26
	s_mov_b32 s0, 0
	s_cbranch_vccnz .LBB1309_326
; %bb.318:
	v_mul_lo_u32 v21, v10, s14
	v_mul_lo_u32 v22, v9, s15
	v_mad_u64_u32 v[17:18], null, v9, s14, 0
	v_mul_lo_u32 v23, v12, s14
	v_mul_lo_u32 v24, v11, s15
	v_mad_u64_u32 v[19:20], null, v11, s14, 0
	s_mov_b32 s0, -1
	s_mov_b32 s31, exec_lo
	s_delay_alu instid0(VALU_DEP_4) | instskip(NEXT) | instid1(VALU_DEP_2)
	v_add3_u32 v18, v18, v22, v21
	v_add3_u32 v20, v20, v24, v23
	s_delay_alu instid0(VALU_DEP_2) | instskip(NEXT) | instid1(VALU_DEP_2)
	v_lshlrev_b64 v[17:18], 1, v[17:18]
	v_lshlrev_b64 v[21:22], 1, v[19:20]
	s_delay_alu instid0(VALU_DEP_2) | instskip(NEXT) | instid1(VALU_DEP_3)
	v_add_co_u32 v19, vcc_lo, s16, v17
	v_add_co_ci_u32_e32 v20, vcc_lo, s17, v18, vcc_lo
	s_delay_alu instid0(VALU_DEP_3) | instskip(NEXT) | instid1(VALU_DEP_4)
	v_add_co_u32 v17, vcc_lo, s16, v21
	v_add_co_ci_u32_e32 v18, vcc_lo, s17, v22, vcc_lo
	s_clause 0x1
	global_load_u16 v21, v[19:20], off
	global_load_u16 v22, v[17:18], off
	s_waitcnt vmcnt(0)
	v_cmpx_eq_f16_e32 v21, v22
	s_cbranch_execz .LBB1309_325
; %bb.319:
	v_add_co_u32 v17, vcc_lo, v17, 2
	v_add_co_ci_u32_e32 v18, vcc_lo, 0, v18, vcc_lo
	v_add_co_u32 v19, vcc_lo, v19, 2
	v_add_co_ci_u32_e32 v20, vcc_lo, 0, v20, vcc_lo
	s_add_u32 s4, s14, -1
	s_addc_u32 s5, s15, -1
	s_mov_b64 s[6:7], 0
	s_mov_b32 s35, 0
                                        ; implicit-def: $sgpr36
	s_set_inst_prefetch_distance 0x1
	s_branch .LBB1309_322
	.p2align	6
.LBB1309_320:                           ;   in Loop: Header=BB1309_322 Depth=1
	global_load_u16 v21, v[19:20], off
	global_load_u16 v22, v[17:18], off
	v_add_co_u32 v17, vcc_lo, v17, 2
	v_add_co_ci_u32_e32 v18, vcc_lo, 0, v18, vcc_lo
	v_add_co_u32 v19, s0, v19, 2
	s_delay_alu instid0(VALU_DEP_1)
	v_add_co_ci_u32_e64 v20, s0, 0, v20, s0
	s_add_u32 s6, s6, 1
	s_addc_u32 s7, s7, 0
	s_and_not1_b32 s0, s36, exec_lo
	s_waitcnt vmcnt(0)
	v_cmp_neq_f16_e32 vcc_lo, v21, v22
	s_and_b32 s36, vcc_lo, exec_lo
	s_delay_alu instid0(SALU_CYCLE_1)
	s_or_b32 s36, s0, s36
.LBB1309_321:                           ;   in Loop: Header=BB1309_322 Depth=1
	v_dual_mov_b32 v22, s7 :: v_dual_mov_b32 v21, s6
	s_and_b32 s0, exec_lo, s36
	s_delay_alu instid0(SALU_CYCLE_1) | instskip(NEXT) | instid1(SALU_CYCLE_1)
	s_or_b32 s35, s0, s35
	s_and_not1_b32 exec_lo, exec_lo, s35
	s_cbranch_execz .LBB1309_324
.LBB1309_322:                           ; =>This Inner Loop Header: Depth=1
	s_or_b32 s36, s36, exec_lo
	s_cmp_eq_u64 s[4:5], s[6:7]
	s_cbranch_scc0 .LBB1309_320
; %bb.323:                              ;   in Loop: Header=BB1309_322 Depth=1
	s_mov_b64 s[6:7], s[14:15]
                                        ; implicit-def: $vgpr17_vgpr18
                                        ; implicit-def: $vgpr19_vgpr20
	s_branch .LBB1309_321
.LBB1309_324:
	s_set_inst_prefetch_distance 0x2
	s_or_b32 exec_lo, exec_lo, s35
	v_cmp_gt_i64_e32 vcc_lo, s[14:15], v[21:22]
	s_or_not1_b32 s0, vcc_lo, exec_lo
.LBB1309_325:
	s_or_b32 exec_lo, exec_lo, s31
.LBB1309_326:
	s_delay_alu instid0(SALU_CYCLE_1)
	s_and_b32 s31, s0, exec_lo
.LBB1309_327:
	s_or_b32 exec_lo, exec_lo, s34
	v_or_b32_e32 v17, 2, v39
	s_mov_b32 s34, exec_lo
	s_delay_alu instid0(VALU_DEP_1)
	v_cmpx_gt_u32_e64 s12, v17
	s_cbranch_execz .LBB1309_338
; %bb.328:
	s_and_not1_b32 vcc_lo, exec_lo, s26
	s_mov_b32 s0, 0
	s_cbranch_vccnz .LBB1309_337
; %bb.329:
	v_mul_lo_u32 v21, v16, s14
	v_mul_lo_u32 v22, v15, s15
	v_mad_u64_u32 v[17:18], null, v15, s14, 0
	v_mul_lo_u32 v23, v10, s14
	v_mul_lo_u32 v24, v9, s15
	v_mad_u64_u32 v[19:20], null, v9, s14, 0
	s_mov_b32 s0, -1
	s_mov_b32 s33, exec_lo
	s_delay_alu instid0(VALU_DEP_4) | instskip(NEXT) | instid1(VALU_DEP_2)
	v_add3_u32 v18, v18, v22, v21
	v_add3_u32 v20, v20, v24, v23
	s_delay_alu instid0(VALU_DEP_2) | instskip(NEXT) | instid1(VALU_DEP_2)
	v_lshlrev_b64 v[17:18], 1, v[17:18]
	v_lshlrev_b64 v[21:22], 1, v[19:20]
	s_delay_alu instid0(VALU_DEP_2) | instskip(NEXT) | instid1(VALU_DEP_3)
	v_add_co_u32 v19, vcc_lo, s16, v17
	v_add_co_ci_u32_e32 v20, vcc_lo, s17, v18, vcc_lo
	s_delay_alu instid0(VALU_DEP_3) | instskip(NEXT) | instid1(VALU_DEP_4)
	v_add_co_u32 v17, vcc_lo, s16, v21
	v_add_co_ci_u32_e32 v18, vcc_lo, s17, v22, vcc_lo
	s_clause 0x1
	global_load_u16 v21, v[19:20], off
	global_load_u16 v22, v[17:18], off
	s_waitcnt vmcnt(0)
	v_cmpx_eq_f16_e32 v21, v22
	s_cbranch_execz .LBB1309_336
; %bb.330:
	v_add_co_u32 v17, vcc_lo, v17, 2
	v_add_co_ci_u32_e32 v18, vcc_lo, 0, v18, vcc_lo
	v_add_co_u32 v19, vcc_lo, v19, 2
	v_add_co_ci_u32_e32 v20, vcc_lo, 0, v20, vcc_lo
	s_add_u32 s4, s14, -1
	s_addc_u32 s5, s15, -1
	s_mov_b64 s[6:7], 0
	s_mov_b32 s35, 0
                                        ; implicit-def: $sgpr36
	s_set_inst_prefetch_distance 0x1
	s_branch .LBB1309_333
	.p2align	6
.LBB1309_331:                           ;   in Loop: Header=BB1309_333 Depth=1
	global_load_u16 v21, v[19:20], off
	global_load_u16 v22, v[17:18], off
	v_add_co_u32 v17, vcc_lo, v17, 2
	v_add_co_ci_u32_e32 v18, vcc_lo, 0, v18, vcc_lo
	v_add_co_u32 v19, s0, v19, 2
	s_delay_alu instid0(VALU_DEP_1)
	v_add_co_ci_u32_e64 v20, s0, 0, v20, s0
	s_add_u32 s6, s6, 1
	s_addc_u32 s7, s7, 0
	s_and_not1_b32 s0, s36, exec_lo
	s_waitcnt vmcnt(0)
	v_cmp_neq_f16_e32 vcc_lo, v21, v22
	s_and_b32 s36, vcc_lo, exec_lo
	s_delay_alu instid0(SALU_CYCLE_1)
	s_or_b32 s36, s0, s36
.LBB1309_332:                           ;   in Loop: Header=BB1309_333 Depth=1
	v_dual_mov_b32 v22, s7 :: v_dual_mov_b32 v21, s6
	s_and_b32 s0, exec_lo, s36
	s_delay_alu instid0(SALU_CYCLE_1) | instskip(NEXT) | instid1(SALU_CYCLE_1)
	s_or_b32 s35, s0, s35
	s_and_not1_b32 exec_lo, exec_lo, s35
	s_cbranch_execz .LBB1309_335
.LBB1309_333:                           ; =>This Inner Loop Header: Depth=1
	s_or_b32 s36, s36, exec_lo
	s_cmp_eq_u64 s[4:5], s[6:7]
	s_cbranch_scc0 .LBB1309_331
; %bb.334:                              ;   in Loop: Header=BB1309_333 Depth=1
	s_mov_b64 s[6:7], s[14:15]
                                        ; implicit-def: $vgpr17_vgpr18
                                        ; implicit-def: $vgpr19_vgpr20
	s_branch .LBB1309_332
.LBB1309_335:
	s_set_inst_prefetch_distance 0x2
	s_or_b32 exec_lo, exec_lo, s35
	v_cmp_gt_i64_e32 vcc_lo, s[14:15], v[21:22]
	s_or_not1_b32 s0, vcc_lo, exec_lo
.LBB1309_336:
	s_or_b32 exec_lo, exec_lo, s33
.LBB1309_337:
	s_delay_alu instid0(SALU_CYCLE_1)
	s_and_b32 s33, s0, exec_lo
.LBB1309_338:
	s_or_b32 exec_lo, exec_lo, s34
	v_or_b32_e32 v17, 1, v39
	s_mov_b32 s0, 0
	s_mov_b32 s34, exec_lo
	s_delay_alu instid0(VALU_DEP_1)
	v_cmpx_gt_u32_e64 s12, v17
	s_cbranch_execz .LBB1309_349
; %bb.339:
	s_and_not1_b32 vcc_lo, exec_lo, s26
	s_cbranch_vccnz .LBB1309_348
; %bb.340:
	v_mul_lo_u32 v21, v14, s14
	v_mul_lo_u32 v22, v13, s15
	v_mad_u64_u32 v[17:18], null, v13, s14, 0
	v_mul_lo_u32 v23, v16, s14
	v_mul_lo_u32 v24, v15, s15
	v_mad_u64_u32 v[19:20], null, v15, s14, 0
	s_mov_b32 s0, -1
	s_mov_b32 s35, exec_lo
	s_delay_alu instid0(VALU_DEP_4) | instskip(NEXT) | instid1(VALU_DEP_2)
	v_add3_u32 v18, v18, v22, v21
	v_add3_u32 v20, v20, v24, v23
	s_delay_alu instid0(VALU_DEP_2) | instskip(NEXT) | instid1(VALU_DEP_2)
	v_lshlrev_b64 v[17:18], 1, v[17:18]
	v_lshlrev_b64 v[21:22], 1, v[19:20]
	s_delay_alu instid0(VALU_DEP_2) | instskip(NEXT) | instid1(VALU_DEP_3)
	v_add_co_u32 v19, vcc_lo, s16, v17
	v_add_co_ci_u32_e32 v20, vcc_lo, s17, v18, vcc_lo
	s_delay_alu instid0(VALU_DEP_3) | instskip(NEXT) | instid1(VALU_DEP_4)
	v_add_co_u32 v17, vcc_lo, s16, v21
	v_add_co_ci_u32_e32 v18, vcc_lo, s17, v22, vcc_lo
	s_clause 0x1
	global_load_u16 v21, v[19:20], off
	global_load_u16 v22, v[17:18], off
	s_waitcnt vmcnt(0)
	v_cmpx_eq_f16_e32 v21, v22
	s_cbranch_execz .LBB1309_347
; %bb.341:
	v_add_co_u32 v17, vcc_lo, v17, 2
	v_add_co_ci_u32_e32 v18, vcc_lo, 0, v18, vcc_lo
	v_add_co_u32 v19, vcc_lo, v19, 2
	v_add_co_ci_u32_e32 v20, vcc_lo, 0, v20, vcc_lo
	s_add_u32 s4, s14, -1
	s_addc_u32 s5, s15, -1
	s_mov_b64 s[6:7], 0
	s_mov_b32 s36, 0
                                        ; implicit-def: $sgpr37
	s_set_inst_prefetch_distance 0x1
	s_branch .LBB1309_344
	.p2align	6
.LBB1309_342:                           ;   in Loop: Header=BB1309_344 Depth=1
	global_load_u16 v21, v[19:20], off
	global_load_u16 v22, v[17:18], off
	v_add_co_u32 v17, vcc_lo, v17, 2
	v_add_co_ci_u32_e32 v18, vcc_lo, 0, v18, vcc_lo
	v_add_co_u32 v19, s0, v19, 2
	s_delay_alu instid0(VALU_DEP_1)
	v_add_co_ci_u32_e64 v20, s0, 0, v20, s0
	s_add_u32 s6, s6, 1
	s_addc_u32 s7, s7, 0
	s_and_not1_b32 s0, s37, exec_lo
	s_waitcnt vmcnt(0)
	v_cmp_neq_f16_e32 vcc_lo, v21, v22
	s_and_b32 s37, vcc_lo, exec_lo
	s_delay_alu instid0(SALU_CYCLE_1)
	s_or_b32 s37, s0, s37
.LBB1309_343:                           ;   in Loop: Header=BB1309_344 Depth=1
	v_dual_mov_b32 v22, s7 :: v_dual_mov_b32 v21, s6
	s_and_b32 s0, exec_lo, s37
	s_delay_alu instid0(SALU_CYCLE_1) | instskip(NEXT) | instid1(SALU_CYCLE_1)
	s_or_b32 s36, s0, s36
	s_and_not1_b32 exec_lo, exec_lo, s36
	s_cbranch_execz .LBB1309_346
.LBB1309_344:                           ; =>This Inner Loop Header: Depth=1
	s_or_b32 s37, s37, exec_lo
	s_cmp_eq_u64 s[4:5], s[6:7]
	s_cbranch_scc0 .LBB1309_342
; %bb.345:                              ;   in Loop: Header=BB1309_344 Depth=1
	s_mov_b64 s[6:7], s[14:15]
                                        ; implicit-def: $vgpr17_vgpr18
                                        ; implicit-def: $vgpr19_vgpr20
	s_branch .LBB1309_343
.LBB1309_346:
	s_set_inst_prefetch_distance 0x2
	s_or_b32 exec_lo, exec_lo, s36
	v_cmp_gt_i64_e32 vcc_lo, s[14:15], v[21:22]
	s_or_not1_b32 s0, vcc_lo, exec_lo
.LBB1309_347:
	s_or_b32 exec_lo, exec_lo, s35
.LBB1309_348:
	s_delay_alu instid0(SALU_CYCLE_1)
	s_and_b32 s0, s0, exec_lo
.LBB1309_349:
	s_or_b32 exec_lo, exec_lo, s34
	v_cndmask_b32_e64 v18, 0, 1, s31
	v_cndmask_b32_e64 v19, 0, 1, s30
	;; [unrolled: 1-line block ×7, first 2 shown]
	v_lshlrev_b16 v19, 8, v19
	v_lshlrev_b16 v20, 8, v20
	;; [unrolled: 1-line block ×4, first 2 shown]
	s_waitcnt lgkmcnt(0)
	v_or_b32_e32 v19, v22, v19
	v_or_b32_e32 v20, v23, v20
	;; [unrolled: 1-line block ×4, first 2 shown]
	s_barrier
	v_and_b32_e32 v18, 0xffff, v19
	v_lshlrev_b32_e32 v19, 16, v20
	v_and_b32_e32 v21, 0xffff, v21
	v_lshlrev_b32_e32 v17, 16, v17
	buffer_gl0_inv
                                        ; implicit-def: $sgpr0
	v_or_b32_e32 v20, v18, v19
	v_or_b32_e32 v19, v21, v17
	s_and_saveexec_b32 s27, s3
	s_cbranch_execz .LBB1309_362
; %bb.350:
	s_mov_b32 s0, 0
	s_mov_b32 s3, exec_lo
	v_cmpx_gt_u32_e64 s12, v39
	s_cbranch_execz .LBB1309_361
; %bb.351:
	s_and_not1_b32 vcc_lo, exec_lo, s26
	s_cbranch_vccnz .LBB1309_360
; %bb.352:
	v_add_nc_u32_e32 v17, -8, v39
	v_mul_lo_u32 v25, v14, s14
	v_mul_lo_u32 v26, v13, s15
	s_mov_b32 s0, -1
	ds_load_b64 v[17:18], v17
	s_waitcnt lgkmcnt(0)
	v_mul_lo_u32 v23, v18, s14
	v_mul_lo_u32 v24, v17, s15
	v_mad_u64_u32 v[21:22], null, v17, s14, 0
	v_mad_u64_u32 v[17:18], null, v13, s14, 0
	s_delay_alu instid0(VALU_DEP_2) | instskip(NEXT) | instid1(VALU_DEP_2)
	v_add3_u32 v22, v22, v24, v23
	v_add3_u32 v18, v18, v26, v25
	s_delay_alu instid0(VALU_DEP_2) | instskip(NEXT) | instid1(VALU_DEP_2)
	v_lshlrev_b64 v[21:22], 1, v[21:22]
	v_lshlrev_b64 v[17:18], 1, v[17:18]
	s_delay_alu instid0(VALU_DEP_2) | instskip(NEXT) | instid1(VALU_DEP_3)
	v_add_co_u32 v21, vcc_lo, s16, v21
	v_add_co_ci_u32_e32 v22, vcc_lo, s17, v22, vcc_lo
	s_delay_alu instid0(VALU_DEP_3) | instskip(NEXT) | instid1(VALU_DEP_4)
	v_add_co_u32 v17, vcc_lo, s16, v17
	v_add_co_ci_u32_e32 v18, vcc_lo, s17, v18, vcc_lo
	s_clause 0x1
	global_load_u16 v23, v[21:22], off
	global_load_u16 v24, v[17:18], off
	s_mov_b32 s16, exec_lo
	s_waitcnt vmcnt(0)
	v_cmpx_eq_f16_e32 v23, v24
	s_cbranch_execz .LBB1309_359
; %bb.353:
	v_add_co_u32 v17, vcc_lo, v17, 2
	v_add_co_ci_u32_e32 v18, vcc_lo, 0, v18, vcc_lo
	v_add_co_u32 v21, vcc_lo, v21, 2
	v_add_co_ci_u32_e32 v22, vcc_lo, 0, v22, vcc_lo
	s_add_u32 s4, s14, -1
	s_addc_u32 s5, s15, -1
	s_mov_b64 s[6:7], 0
	s_mov_b32 s17, 0
                                        ; implicit-def: $sgpr26
	s_set_inst_prefetch_distance 0x1
	s_branch .LBB1309_356
	.p2align	6
.LBB1309_354:                           ;   in Loop: Header=BB1309_356 Depth=1
	global_load_u16 v23, v[21:22], off
	global_load_u16 v24, v[17:18], off
	v_add_co_u32 v17, vcc_lo, v17, 2
	v_add_co_ci_u32_e32 v18, vcc_lo, 0, v18, vcc_lo
	v_add_co_u32 v21, s0, v21, 2
	s_delay_alu instid0(VALU_DEP_1)
	v_add_co_ci_u32_e64 v22, s0, 0, v22, s0
	s_add_u32 s6, s6, 1
	s_addc_u32 s7, s7, 0
	s_and_not1_b32 s0, s26, exec_lo
	s_waitcnt vmcnt(0)
	v_cmp_neq_f16_e32 vcc_lo, v23, v24
	s_and_b32 s26, vcc_lo, exec_lo
	s_delay_alu instid0(SALU_CYCLE_1)
	s_or_b32 s26, s0, s26
.LBB1309_355:                           ;   in Loop: Header=BB1309_356 Depth=1
	v_dual_mov_b32 v24, s7 :: v_dual_mov_b32 v23, s6
	s_and_b32 s0, exec_lo, s26
	s_delay_alu instid0(SALU_CYCLE_1) | instskip(NEXT) | instid1(SALU_CYCLE_1)
	s_or_b32 s17, s0, s17
	s_and_not1_b32 exec_lo, exec_lo, s17
	s_cbranch_execz .LBB1309_358
.LBB1309_356:                           ; =>This Inner Loop Header: Depth=1
	s_or_b32 s26, s26, exec_lo
	s_cmp_eq_u64 s[4:5], s[6:7]
	s_cbranch_scc0 .LBB1309_354
; %bb.357:                              ;   in Loop: Header=BB1309_356 Depth=1
	s_mov_b64 s[6:7], s[14:15]
                                        ; implicit-def: $vgpr17_vgpr18
                                        ; implicit-def: $vgpr21_vgpr22
	s_branch .LBB1309_355
.LBB1309_358:
	s_set_inst_prefetch_distance 0x2
	s_or_b32 exec_lo, exec_lo, s17
	v_cmp_gt_i64_e32 vcc_lo, s[14:15], v[23:24]
	s_or_not1_b32 s0, vcc_lo, exec_lo
.LBB1309_359:
	s_or_b32 exec_lo, exec_lo, s16
.LBB1309_360:
	s_delay_alu instid0(SALU_CYCLE_1)
	s_and_b32 s0, s0, exec_lo
.LBB1309_361:
	s_or_b32 exec_lo, exec_lo, s3
	s_delay_alu instid0(SALU_CYCLE_1)
	s_and_b32 s0, s0, exec_lo
	s_or_b32 s25, s25, exec_lo
.LBB1309_362:
	s_or_b32 exec_lo, exec_lo, s27
.LBB1309_363:
	s_and_saveexec_b32 s3, s25
	s_cbranch_execz .LBB1309_365
; %bb.364:
	s_waitcnt vmcnt(0) lgkmcnt(0)
	v_and_b32_e32 v17, 0xffffff00, v19
	v_cndmask_b32_e64 v18, 0, 1, s0
	s_delay_alu instid0(VALU_DEP_1) | instskip(NEXT) | instid1(VALU_DEP_1)
	v_or_b32_e32 v17, v18, v17
	v_and_b32_e32 v17, 0xffff, v17
	s_delay_alu instid0(VALU_DEP_1)
	v_and_or_b32 v19, 0xffff0000, v19, v17
.LBB1309_365:
	s_or_b32 exec_lo, exec_lo, s3
	s_delay_alu instid0(SALU_CYCLE_1)
	s_and_not1_b32 vcc_lo, exec_lo, s1
	s_cbranch_vccnz .LBB1309_367
; %bb.366:
	v_cmp_gt_u32_e32 vcc_lo, s12, v39
	s_waitcnt vmcnt(0) lgkmcnt(0)
	v_or_b32_e32 v18, 1, v39
	v_and_b32_e32 v21, 0xffffff00, v20
	v_or_b32_e32 v22, 2, v39
	v_cndmask_b32_e32 v17, 0, v19, vcc_lo
	s_delay_alu instid0(VALU_DEP_4) | instskip(SKIP_1) | instid1(VALU_DEP_4)
	v_cmp_gt_u32_e32 vcc_lo, s12, v18
	v_or_b32_e32 v18, 4, v39
	v_cmp_gt_u32_e64 s0, s12, v22
	v_or_b32_e32 v22, 3, v39
	v_and_b32_e32 v17, 0xff, v17
	s_delay_alu instid0(VALU_DEP_2) | instskip(NEXT) | instid1(VALU_DEP_2)
	v_cmp_gt_u32_e64 s1, s12, v22
	v_cndmask_b32_e32 v17, v17, v19, vcc_lo
	v_cmp_gt_u32_e32 vcc_lo, s12, v18
	v_cndmask_b32_e32 v18, v21, v20, vcc_lo
	v_or_b32_e32 v21, 5, v39
	s_delay_alu instid0(VALU_DEP_2) | instskip(SKIP_1) | instid1(VALU_DEP_1)
	v_and_b32_e32 v18, 0xffff00ff, v18
	v_and_b32_e32 v17, 0xffff, v17
	v_cndmask_b32_e64 v17, v17, v19, s0
	s_delay_alu instid0(VALU_DEP_4) | instskip(SKIP_1) | instid1(VALU_DEP_3)
	v_cmp_gt_u32_e64 s0, s12, v21
	v_or_b32_e32 v21, 6, v39
	v_and_b32_e32 v17, 0xffffff, v17
	s_delay_alu instid0(VALU_DEP_3) | instskip(NEXT) | instid1(VALU_DEP_2)
	v_cndmask_b32_e64 v18, v18, v20, s0
	v_cndmask_b32_e64 v17, v17, v19, s1
	s_delay_alu instid0(VALU_DEP_1) | instskip(SKIP_2) | instid1(VALU_DEP_3)
	v_dual_cndmask_b32 v17, v17, v19 :: v_dual_and_b32 v18, 0xff00ffff, v18
	v_cmp_gt_u32_e32 vcc_lo, s12, v21
	v_or_b32_e32 v21, 7, v39
	v_cndmask_b32_e64 v17, v17, v19, s0
	s_delay_alu instid0(VALU_DEP_1) | instskip(NEXT) | instid1(VALU_DEP_1)
	v_dual_cndmask_b32 v18, v18, v20 :: v_dual_cndmask_b32 v17, v17, v19
	v_and_b32_e32 v18, 0xffffff, v18
	s_delay_alu instid0(VALU_DEP_4) | instskip(NEXT) | instid1(VALU_DEP_2)
	v_cmp_gt_u32_e32 vcc_lo, s12, v21
	v_dual_cndmask_b32 v20, v18, v20 :: v_dual_cndmask_b32 v19, v17, v19
.LBB1309_367:
	s_delay_alu instid0(VALU_DEP_1) | instskip(SKIP_1) | instid1(VALU_DEP_2)
	v_and_b32_e32 v28, 0xff, v19
	s_waitcnt vmcnt(0) lgkmcnt(0)
	v_alignbit_b32 v17, v20, v19, 24
	v_bfe_u32 v30, v19, 8, 8
	v_bfe_u32 v32, v19, 16, 8
	v_and_b32_e32 v36, 0xff, v20
	v_bfe_u32 v38, v20, 8, 8
	v_and_b32_e32 v34, 0xff, v17
	v_add_nc_u32_e32 v17, v30, v28
	v_mbcnt_lo_u32_b32 v42, -1, 0
	v_bfe_u32 v41, v20, 16, 8
	v_lshrrev_b32_e32 v40, 24, v20
	v_lshrrev_b32_e32 v43, 5, v0
	v_add3_u32 v17, v17, v32, v34
	v_and_b32_e32 v18, 15, v42
	v_and_b32_e32 v21, 16, v42
	s_and_b32 vcc_lo, exec_lo, s24
	s_mov_b32 s7, -1
	v_add3_u32 v17, v17, v36, v38
	v_cmp_eq_u32_e64 s3, 0, v18
	v_cmp_lt_u32_e64 s0, 1, v18
	v_cmp_lt_u32_e64 s4, 3, v18
	;; [unrolled: 1-line block ×3, first 2 shown]
	v_add3_u32 v44, v17, v41, v40
	v_or_b32_e32 v17, 31, v0
	v_cmp_eq_u32_e64 s6, 0, v21
	s_barrier
	buffer_gl0_inv
	v_cmp_eq_u32_e64 s5, v17, v0
	s_cbranch_vccz .LBB1309_398
; %bb.368:
	v_mov_b32_dpp v17, v44 row_shr:1 row_mask:0xf bank_mask:0xf
	s_delay_alu instid0(VALU_DEP_1) | instskip(NEXT) | instid1(VALU_DEP_1)
	v_cndmask_b32_e64 v17, v17, 0, s3
	v_add_nc_u32_e32 v17, v17, v44
	s_delay_alu instid0(VALU_DEP_1) | instskip(NEXT) | instid1(VALU_DEP_1)
	v_mov_b32_dpp v18, v17 row_shr:2 row_mask:0xf bank_mask:0xf
	v_cndmask_b32_e64 v18, 0, v18, s0
	s_delay_alu instid0(VALU_DEP_1) | instskip(NEXT) | instid1(VALU_DEP_1)
	v_add_nc_u32_e32 v17, v17, v18
	v_mov_b32_dpp v18, v17 row_shr:4 row_mask:0xf bank_mask:0xf
	s_delay_alu instid0(VALU_DEP_1) | instskip(NEXT) | instid1(VALU_DEP_1)
	v_cndmask_b32_e64 v18, 0, v18, s4
	v_add_nc_u32_e32 v17, v17, v18
	s_delay_alu instid0(VALU_DEP_1) | instskip(NEXT) | instid1(VALU_DEP_1)
	v_mov_b32_dpp v18, v17 row_shr:8 row_mask:0xf bank_mask:0xf
	v_cndmask_b32_e64 v18, 0, v18, s1
	s_delay_alu instid0(VALU_DEP_1) | instskip(SKIP_3) | instid1(VALU_DEP_1)
	v_add_nc_u32_e32 v17, v17, v18
	ds_swizzle_b32 v18, v17 offset:swizzle(BROADCAST,32,15)
	s_waitcnt lgkmcnt(0)
	v_cndmask_b32_e64 v18, v18, 0, s6
	v_add_nc_u32_e32 v17, v17, v18
	s_and_saveexec_b32 s7, s5
	s_cbranch_execz .LBB1309_370
; %bb.369:
	v_lshlrev_b32_e32 v18, 2, v43
	ds_store_b32 v18, v17
.LBB1309_370:
	s_or_b32 exec_lo, exec_lo, s7
	s_delay_alu instid0(SALU_CYCLE_1)
	s_mov_b32 s7, exec_lo
	s_waitcnt lgkmcnt(0)
	s_barrier
	buffer_gl0_inv
	v_cmpx_gt_u32_e32 16, v0
	s_cbranch_execz .LBB1309_372
; %bb.371:
	v_lshlrev_b32_e32 v18, 2, v0
	ds_load_b32 v21, v18
	s_waitcnt lgkmcnt(0)
	v_mov_b32_dpp v22, v21 row_shr:1 row_mask:0xf bank_mask:0xf
	s_delay_alu instid0(VALU_DEP_1) | instskip(NEXT) | instid1(VALU_DEP_1)
	v_cndmask_b32_e64 v22, v22, 0, s3
	v_add_nc_u32_e32 v21, v22, v21
	s_delay_alu instid0(VALU_DEP_1) | instskip(NEXT) | instid1(VALU_DEP_1)
	v_mov_b32_dpp v22, v21 row_shr:2 row_mask:0xf bank_mask:0xf
	v_cndmask_b32_e64 v22, 0, v22, s0
	s_delay_alu instid0(VALU_DEP_1) | instskip(NEXT) | instid1(VALU_DEP_1)
	v_add_nc_u32_e32 v21, v21, v22
	v_mov_b32_dpp v22, v21 row_shr:4 row_mask:0xf bank_mask:0xf
	s_delay_alu instid0(VALU_DEP_1) | instskip(NEXT) | instid1(VALU_DEP_1)
	v_cndmask_b32_e64 v22, 0, v22, s4
	v_add_nc_u32_e32 v21, v21, v22
	s_delay_alu instid0(VALU_DEP_1) | instskip(NEXT) | instid1(VALU_DEP_1)
	v_mov_b32_dpp v22, v21 row_shr:8 row_mask:0xf bank_mask:0xf
	v_cndmask_b32_e64 v22, 0, v22, s1
	s_delay_alu instid0(VALU_DEP_1)
	v_add_nc_u32_e32 v21, v21, v22
	ds_store_b32 v18, v21
.LBB1309_372:
	s_or_b32 exec_lo, exec_lo, s7
	v_cmp_gt_u32_e32 vcc_lo, 32, v0
	s_mov_b32 s12, exec_lo
	s_waitcnt lgkmcnt(0)
	s_barrier
	buffer_gl0_inv
                                        ; implicit-def: $vgpr27
	v_cmpx_lt_u32_e32 31, v0
	s_cbranch_execz .LBB1309_374
; %bb.373:
	v_lshl_add_u32 v18, v43, 2, -4
	ds_load_b32 v27, v18
	s_waitcnt lgkmcnt(0)
	v_add_nc_u32_e32 v17, v27, v17
.LBB1309_374:
	s_or_b32 exec_lo, exec_lo, s12
	v_add_nc_u32_e32 v18, -1, v42
	s_delay_alu instid0(VALU_DEP_1) | instskip(NEXT) | instid1(VALU_DEP_1)
	v_cmp_gt_i32_e64 s7, 0, v18
	v_cndmask_b32_e64 v18, v18, v42, s7
	v_cmp_eq_u32_e64 s7, 0, v42
	s_delay_alu instid0(VALU_DEP_2)
	v_lshlrev_b32_e32 v18, 2, v18
	ds_bpermute_b32 v29, v18, v17
	s_and_saveexec_b32 s12, vcc_lo
	s_cbranch_execz .LBB1309_397
; %bb.375:
	v_mov_b32_e32 v23, 0
	ds_load_b32 v17, v23 offset:60
	s_and_saveexec_b32 s14, s7
	s_cbranch_execz .LBB1309_377
; %bb.376:
	s_add_i32 s16, s23, 32
	s_mov_b32 s17, 0
	v_mov_b32_e32 v18, 1
	s_lshl_b64 s[16:17], s[16:17], 3
	s_delay_alu instid0(SALU_CYCLE_1)
	s_add_u32 s16, s18, s16
	s_addc_u32 s17, s19, s17
	s_waitcnt lgkmcnt(0)
	global_store_b64 v23, v[17:18], s[16:17]
.LBB1309_377:
	s_or_b32 exec_lo, exec_lo, s14
	v_xad_u32 v21, v42, -1, s23
	s_mov_b32 s15, 0
	s_mov_b32 s14, exec_lo
	s_delay_alu instid0(VALU_DEP_1) | instskip(NEXT) | instid1(VALU_DEP_1)
	v_add_nc_u32_e32 v22, 32, v21
	v_lshlrev_b64 v[22:23], 3, v[22:23]
	s_delay_alu instid0(VALU_DEP_1) | instskip(NEXT) | instid1(VALU_DEP_2)
	v_add_co_u32 v25, vcc_lo, s18, v22
	v_add_co_ci_u32_e32 v26, vcc_lo, s19, v23, vcc_lo
	global_load_b64 v[23:24], v[25:26], off glc
	s_waitcnt vmcnt(0)
	v_and_b32_e32 v18, 0xff, v24
	s_delay_alu instid0(VALU_DEP_1)
	v_cmpx_eq_u16_e32 0, v18
	s_cbranch_execz .LBB1309_383
; %bb.378:
	s_mov_b32 s16, 1
	.p2align	6
.LBB1309_379:                           ; =>This Loop Header: Depth=1
                                        ;     Child Loop BB1309_380 Depth 2
	s_delay_alu instid0(SALU_CYCLE_1)
	s_max_u32 s17, s16, 1
.LBB1309_380:                           ;   Parent Loop BB1309_379 Depth=1
                                        ; =>  This Inner Loop Header: Depth=2
	s_delay_alu instid0(SALU_CYCLE_1)
	s_add_i32 s17, s17, -1
	s_sleep 1
	s_cmp_eq_u32 s17, 0
	s_cbranch_scc0 .LBB1309_380
; %bb.381:                              ;   in Loop: Header=BB1309_379 Depth=1
	global_load_b64 v[23:24], v[25:26], off glc
	s_cmp_lt_u32 s16, 32
	s_cselect_b32 s17, -1, 0
	s_delay_alu instid0(SALU_CYCLE_1) | instskip(SKIP_3) | instid1(VALU_DEP_1)
	s_cmp_lg_u32 s17, 0
	s_addc_u32 s16, s16, 0
	s_waitcnt vmcnt(0)
	v_and_b32_e32 v18, 0xff, v24
	v_cmp_ne_u16_e32 vcc_lo, 0, v18
	s_or_b32 s15, vcc_lo, s15
	s_delay_alu instid0(SALU_CYCLE_1)
	s_and_not1_b32 exec_lo, exec_lo, s15
	s_cbranch_execnz .LBB1309_379
; %bb.382:
	s_or_b32 exec_lo, exec_lo, s15
.LBB1309_383:
	s_delay_alu instid0(SALU_CYCLE_1)
	s_or_b32 exec_lo, exec_lo, s14
	v_cmp_ne_u32_e32 vcc_lo, 31, v42
	v_and_b32_e32 v22, 0xff, v24
	v_lshlrev_b32_e64 v31, v42, -1
	v_add_nc_u32_e32 v35, 2, v42
	v_add_nc_u32_e32 v45, 4, v42
	v_add_co_ci_u32_e32 v18, vcc_lo, 0, v42, vcc_lo
	v_cmp_eq_u16_e32 vcc_lo, 2, v22
	v_add_nc_u32_e32 v48, 8, v42
	v_add_nc_u32_e32 v50, 16, v42
	v_and_or_b32 v22, vcc_lo, v31, 0x80000000
	v_cmp_gt_u32_e32 vcc_lo, 30, v42
	s_delay_alu instid0(VALU_DEP_2) | instskip(SKIP_1) | instid1(VALU_DEP_2)
	v_ctz_i32_b32_e32 v22, v22
	v_cndmask_b32_e64 v26, 0, 1, vcc_lo
	v_cmp_lt_u32_e32 vcc_lo, v42, v22
	v_lshlrev_b32_e32 v18, 2, v18
	s_delay_alu instid0(VALU_DEP_3)
	v_lshlrev_b32_e32 v26, 1, v26
	ds_bpermute_b32 v25, v18, v23
	v_add_lshl_u32 v33, v26, v42, 2
	s_waitcnt lgkmcnt(0)
	v_cndmask_b32_e32 v25, 0, v25, vcc_lo
	v_cmp_gt_u32_e32 vcc_lo, 28, v42
	s_delay_alu instid0(VALU_DEP_2) | instskip(SKIP_4) | instid1(VALU_DEP_1)
	v_add_nc_u32_e32 v23, v25, v23
	v_cndmask_b32_e64 v26, 0, 1, vcc_lo
	v_cmp_le_u32_e32 vcc_lo, v35, v22
	ds_bpermute_b32 v25, v33, v23
	v_lshlrev_b32_e32 v26, 2, v26
	v_add_lshl_u32 v37, v26, v42, 2
	s_waitcnt lgkmcnt(0)
	v_cndmask_b32_e32 v25, 0, v25, vcc_lo
	v_cmp_gt_u32_e32 vcc_lo, 24, v42
	s_delay_alu instid0(VALU_DEP_2) | instskip(SKIP_4) | instid1(VALU_DEP_1)
	v_add_nc_u32_e32 v23, v23, v25
	v_cndmask_b32_e64 v26, 0, 1, vcc_lo
	v_cmp_le_u32_e32 vcc_lo, v45, v22
	ds_bpermute_b32 v25, v37, v23
	v_lshlrev_b32_e32 v26, 3, v26
	;; [unrolled: 10-line block ×3, first 2 shown]
	v_add_lshl_u32 v49, v26, v42, 2
	s_waitcnt lgkmcnt(0)
	v_cndmask_b32_e32 v25, 0, v25, vcc_lo
	v_cmp_le_u32_e32 vcc_lo, v50, v22
	s_delay_alu instid0(VALU_DEP_2) | instskip(SKIP_3) | instid1(VALU_DEP_1)
	v_add_nc_u32_e32 v23, v23, v25
	ds_bpermute_b32 v25, v49, v23
	s_waitcnt lgkmcnt(0)
	v_cndmask_b32_e32 v22, 0, v25, vcc_lo
	v_dual_mov_b32 v22, 0 :: v_dual_add_nc_u32 v23, v23, v22
	s_branch .LBB1309_385
.LBB1309_384:                           ;   in Loop: Header=BB1309_385 Depth=1
	s_or_b32 exec_lo, exec_lo, s14
	ds_bpermute_b32 v26, v18, v23
	v_and_b32_e32 v25, 0xff, v24
	v_subrev_nc_u32_e32 v21, 32, v21
	s_delay_alu instid0(VALU_DEP_2) | instskip(SKIP_1) | instid1(VALU_DEP_1)
	v_cmp_eq_u16_e32 vcc_lo, 2, v25
	v_and_or_b32 v25, vcc_lo, v31, 0x80000000
	v_ctz_i32_b32_e32 v25, v25
	s_delay_alu instid0(VALU_DEP_1) | instskip(SKIP_3) | instid1(VALU_DEP_2)
	v_cmp_lt_u32_e32 vcc_lo, v42, v25
	s_waitcnt lgkmcnt(0)
	v_cndmask_b32_e32 v26, 0, v26, vcc_lo
	v_cmp_le_u32_e32 vcc_lo, v35, v25
	v_add_nc_u32_e32 v23, v26, v23
	ds_bpermute_b32 v26, v33, v23
	s_waitcnt lgkmcnt(0)
	v_cndmask_b32_e32 v26, 0, v26, vcc_lo
	v_cmp_le_u32_e32 vcc_lo, v45, v25
	s_delay_alu instid0(VALU_DEP_2) | instskip(SKIP_4) | instid1(VALU_DEP_2)
	v_add_nc_u32_e32 v23, v23, v26
	ds_bpermute_b32 v26, v37, v23
	s_waitcnt lgkmcnt(0)
	v_cndmask_b32_e32 v26, 0, v26, vcc_lo
	v_cmp_le_u32_e32 vcc_lo, v48, v25
	v_add_nc_u32_e32 v23, v23, v26
	ds_bpermute_b32 v26, v47, v23
	s_waitcnt lgkmcnt(0)
	v_cndmask_b32_e32 v26, 0, v26, vcc_lo
	v_cmp_le_u32_e32 vcc_lo, v50, v25
	s_delay_alu instid0(VALU_DEP_2) | instskip(SKIP_3) | instid1(VALU_DEP_1)
	v_add_nc_u32_e32 v23, v23, v26
	ds_bpermute_b32 v26, v49, v23
	s_waitcnt lgkmcnt(0)
	v_cndmask_b32_e32 v25, 0, v26, vcc_lo
	v_add3_u32 v23, v25, v46, v23
.LBB1309_385:                           ; =>This Loop Header: Depth=1
                                        ;     Child Loop BB1309_388 Depth 2
                                        ;       Child Loop BB1309_389 Depth 3
	v_and_b32_e32 v24, 0xff, v24
	s_delay_alu instid0(VALU_DEP_2) | instskip(NEXT) | instid1(VALU_DEP_2)
	v_mov_b32_e32 v46, v23
	v_cmp_ne_u16_e32 vcc_lo, 2, v24
	v_cndmask_b32_e64 v24, 0, 1, vcc_lo
	;;#ASMSTART
	;;#ASMEND
	s_delay_alu instid0(VALU_DEP_1)
	v_cmp_ne_u32_e32 vcc_lo, 0, v24
	s_cmp_lg_u32 vcc_lo, exec_lo
	s_cbranch_scc1 .LBB1309_392
; %bb.386:                              ;   in Loop: Header=BB1309_385 Depth=1
	v_lshlrev_b64 v[23:24], 3, v[21:22]
	s_mov_b32 s14, exec_lo
	s_delay_alu instid0(VALU_DEP_1) | instskip(NEXT) | instid1(VALU_DEP_2)
	v_add_co_u32 v25, vcc_lo, s18, v23
	v_add_co_ci_u32_e32 v26, vcc_lo, s19, v24, vcc_lo
	global_load_b64 v[23:24], v[25:26], off glc
	s_waitcnt vmcnt(0)
	v_and_b32_e32 v51, 0xff, v24
	s_delay_alu instid0(VALU_DEP_1)
	v_cmpx_eq_u16_e32 0, v51
	s_cbranch_execz .LBB1309_384
; %bb.387:                              ;   in Loop: Header=BB1309_385 Depth=1
	s_mov_b32 s16, 1
	s_mov_b32 s15, 0
	.p2align	6
.LBB1309_388:                           ;   Parent Loop BB1309_385 Depth=1
                                        ; =>  This Loop Header: Depth=2
                                        ;       Child Loop BB1309_389 Depth 3
	s_max_u32 s17, s16, 1
.LBB1309_389:                           ;   Parent Loop BB1309_385 Depth=1
                                        ;     Parent Loop BB1309_388 Depth=2
                                        ; =>    This Inner Loop Header: Depth=3
	s_delay_alu instid0(SALU_CYCLE_1)
	s_add_i32 s17, s17, -1
	s_sleep 1
	s_cmp_eq_u32 s17, 0
	s_cbranch_scc0 .LBB1309_389
; %bb.390:                              ;   in Loop: Header=BB1309_388 Depth=2
	global_load_b64 v[23:24], v[25:26], off glc
	s_cmp_lt_u32 s16, 32
	s_cselect_b32 s17, -1, 0
	s_delay_alu instid0(SALU_CYCLE_1) | instskip(SKIP_3) | instid1(VALU_DEP_1)
	s_cmp_lg_u32 s17, 0
	s_addc_u32 s16, s16, 0
	s_waitcnt vmcnt(0)
	v_and_b32_e32 v51, 0xff, v24
	v_cmp_ne_u16_e32 vcc_lo, 0, v51
	s_or_b32 s15, vcc_lo, s15
	s_delay_alu instid0(SALU_CYCLE_1)
	s_and_not1_b32 exec_lo, exec_lo, s15
	s_cbranch_execnz .LBB1309_388
; %bb.391:                              ;   in Loop: Header=BB1309_385 Depth=1
	s_or_b32 exec_lo, exec_lo, s15
	s_branch .LBB1309_384
.LBB1309_392:                           ;   in Loop: Header=BB1309_385 Depth=1
                                        ; implicit-def: $vgpr23
                                        ; implicit-def: $vgpr24
	s_cbranch_execz .LBB1309_385
; %bb.393:
	s_and_saveexec_b32 s14, s7
	s_cbranch_execz .LBB1309_395
; %bb.394:
	s_add_i32 s16, s23, 32
	s_mov_b32 s17, 0
	v_dual_mov_b32 v22, 2 :: v_dual_add_nc_u32 v21, v46, v17
	s_lshl_b64 s[16:17], s[16:17], 3
	v_mov_b32_e32 v18, 0
	v_add_nc_u32_e64 v23, 0x8400, 0
	s_add_u32 s16, s18, s16
	s_addc_u32 s17, s19, s17
	global_store_b64 v18, v[21:22], s[16:17]
	ds_store_2addr_b32 v23, v17, v46 offset1:2
.LBB1309_395:
	s_or_b32 exec_lo, exec_lo, s14
	s_delay_alu instid0(SALU_CYCLE_1)
	s_and_b32 exec_lo, exec_lo, s2
	s_cbranch_execz .LBB1309_397
; %bb.396:
	v_mov_b32_e32 v17, 0
	ds_store_b32 v17, v46 offset:60
.LBB1309_397:
	s_or_b32 exec_lo, exec_lo, s12
	v_mov_b32_e32 v17, 0
	s_waitcnt lgkmcnt(0)
	s_waitcnt_vscnt null, 0x0
	s_barrier
	buffer_gl0_inv
	v_cndmask_b32_e64 v18, v29, v27, s7
	ds_load_b32 v17, v17 offset:60
	s_waitcnt lgkmcnt(0)
	s_barrier
	buffer_gl0_inv
	v_cndmask_b32_e64 v18, v18, 0, s2
	s_delay_alu instid0(VALU_DEP_1) | instskip(SKIP_1) | instid1(VALU_DEP_2)
	v_add_nc_u32_e32 v37, v17, v18
	v_add_nc_u32_e64 v17, 0x8400, 0
	v_add_nc_u32_e32 v35, v37, v28
	ds_load_2addr_b32 v[17:18], v17 offset1:2
	v_add_nc_u32_e32 v33, v35, v30
	s_delay_alu instid0(VALU_DEP_1) | instskip(NEXT) | instid1(VALU_DEP_1)
	v_add_nc_u32_e32 v31, v33, v32
	v_add_nc_u32_e32 v29, v31, v34
	s_delay_alu instid0(VALU_DEP_1) | instskip(NEXT) | instid1(VALU_DEP_1)
	v_add_nc_u32_e32 v27, v29, v36
	v_add_nc_u32_e32 v25, v27, v38
	s_delay_alu instid0(VALU_DEP_1)
	v_add_nc_u32_e32 v23, v25, v41
	v_lshrrev_b64 v[21:22], 24, v[19:20]
	s_branch .LBB1309_408
.LBB1309_398:
                                        ; implicit-def: $vgpr23
                                        ; implicit-def: $vgpr25
                                        ; implicit-def: $vgpr27
                                        ; implicit-def: $vgpr29
                                        ; implicit-def: $vgpr31
                                        ; implicit-def: $vgpr33
                                        ; implicit-def: $vgpr35
                                        ; implicit-def: $vgpr37
                                        ; implicit-def: $vgpr18
	v_lshrrev_b64 v[21:22], 24, v[19:20]
	s_and_b32 vcc_lo, exec_lo, s7
	s_cbranch_vccz .LBB1309_408
; %bb.399:
	s_waitcnt lgkmcnt(0)
	v_mov_b32_dpp v17, v44 row_shr:1 row_mask:0xf bank_mask:0xf
	s_delay_alu instid0(VALU_DEP_1) | instskip(NEXT) | instid1(VALU_DEP_1)
	v_cndmask_b32_e64 v17, v17, 0, s3
	v_add_nc_u32_e32 v17, v17, v44
	s_delay_alu instid0(VALU_DEP_1) | instskip(NEXT) | instid1(VALU_DEP_1)
	v_mov_b32_dpp v18, v17 row_shr:2 row_mask:0xf bank_mask:0xf
	v_cndmask_b32_e64 v18, 0, v18, s0
	s_delay_alu instid0(VALU_DEP_1) | instskip(NEXT) | instid1(VALU_DEP_1)
	v_add_nc_u32_e32 v17, v17, v18
	v_mov_b32_dpp v18, v17 row_shr:4 row_mask:0xf bank_mask:0xf
	s_delay_alu instid0(VALU_DEP_1) | instskip(NEXT) | instid1(VALU_DEP_1)
	v_cndmask_b32_e64 v18, 0, v18, s4
	v_add_nc_u32_e32 v17, v17, v18
	s_delay_alu instid0(VALU_DEP_1) | instskip(NEXT) | instid1(VALU_DEP_1)
	v_mov_b32_dpp v18, v17 row_shr:8 row_mask:0xf bank_mask:0xf
	v_cndmask_b32_e64 v18, 0, v18, s1
	s_delay_alu instid0(VALU_DEP_1) | instskip(SKIP_3) | instid1(VALU_DEP_1)
	v_add_nc_u32_e32 v17, v17, v18
	ds_swizzle_b32 v18, v17 offset:swizzle(BROADCAST,32,15)
	s_waitcnt lgkmcnt(0)
	v_cndmask_b32_e64 v18, v18, 0, s6
	v_add_nc_u32_e32 v17, v17, v18
	s_and_saveexec_b32 s6, s5
	s_cbranch_execz .LBB1309_401
; %bb.400:
	v_lshlrev_b32_e32 v18, 2, v43
	ds_store_b32 v18, v17
.LBB1309_401:
	s_or_b32 exec_lo, exec_lo, s6
	s_delay_alu instid0(SALU_CYCLE_1)
	s_mov_b32 s5, exec_lo
	s_waitcnt lgkmcnt(0)
	s_barrier
	buffer_gl0_inv
	v_cmpx_gt_u32_e32 16, v0
	s_cbranch_execz .LBB1309_403
; %bb.402:
	v_lshlrev_b32_e32 v18, 2, v0
	ds_load_b32 v22, v18
	s_waitcnt lgkmcnt(0)
	v_mov_b32_dpp v23, v22 row_shr:1 row_mask:0xf bank_mask:0xf
	s_delay_alu instid0(VALU_DEP_1) | instskip(NEXT) | instid1(VALU_DEP_1)
	v_cndmask_b32_e64 v23, v23, 0, s3
	v_add_nc_u32_e32 v22, v23, v22
	s_delay_alu instid0(VALU_DEP_1) | instskip(NEXT) | instid1(VALU_DEP_1)
	v_mov_b32_dpp v23, v22 row_shr:2 row_mask:0xf bank_mask:0xf
	v_cndmask_b32_e64 v23, 0, v23, s0
	s_delay_alu instid0(VALU_DEP_1) | instskip(NEXT) | instid1(VALU_DEP_1)
	v_add_nc_u32_e32 v22, v22, v23
	v_mov_b32_dpp v23, v22 row_shr:4 row_mask:0xf bank_mask:0xf
	s_delay_alu instid0(VALU_DEP_1) | instskip(NEXT) | instid1(VALU_DEP_1)
	v_cndmask_b32_e64 v23, 0, v23, s4
	v_add_nc_u32_e32 v22, v22, v23
	s_delay_alu instid0(VALU_DEP_1) | instskip(NEXT) | instid1(VALU_DEP_1)
	v_mov_b32_dpp v23, v22 row_shr:8 row_mask:0xf bank_mask:0xf
	v_cndmask_b32_e64 v23, 0, v23, s1
	s_delay_alu instid0(VALU_DEP_1)
	v_add_nc_u32_e32 v22, v22, v23
	ds_store_b32 v18, v22
.LBB1309_403:
	s_or_b32 exec_lo, exec_lo, s5
	v_mov_b32_e32 v18, 0
	v_mov_b32_e32 v22, 0
	s_mov_b32 s0, exec_lo
	s_waitcnt lgkmcnt(0)
	s_barrier
	buffer_gl0_inv
	v_cmpx_lt_u32_e32 31, v0
	s_cbranch_execz .LBB1309_405
; %bb.404:
	v_lshl_add_u32 v22, v43, 2, -4
	ds_load_b32 v22, v22
.LBB1309_405:
	s_or_b32 exec_lo, exec_lo, s0
	v_add_nc_u32_e32 v23, -1, v42
	s_waitcnt lgkmcnt(0)
	v_add_nc_u32_e32 v17, v22, v17
	s_delay_alu instid0(VALU_DEP_2) | instskip(SKIP_1) | instid1(VALU_DEP_1)
	v_cmp_gt_i32_e32 vcc_lo, 0, v23
	v_cndmask_b32_e32 v23, v23, v42, vcc_lo
	v_lshlrev_b32_e32 v23, 2, v23
	ds_bpermute_b32 v23, v23, v17
	ds_load_b32 v17, v18 offset:60
	s_and_saveexec_b32 s0, s2
	s_cbranch_execz .LBB1309_407
; %bb.406:
	v_mov_b32_e32 v24, 0
	v_mov_b32_e32 v18, 2
	s_waitcnt lgkmcnt(0)
	global_store_b64 v24, v[17:18], s[18:19] offset:256
.LBB1309_407:
	s_or_b32 exec_lo, exec_lo, s0
	v_cmp_eq_u32_e32 vcc_lo, 0, v42
	s_waitcnt lgkmcnt(0)
	s_waitcnt_vscnt null, 0x0
	s_barrier
	buffer_gl0_inv
	v_cndmask_b32_e32 v18, v23, v22, vcc_lo
	s_delay_alu instid0(VALU_DEP_1) | instskip(NEXT) | instid1(VALU_DEP_1)
	v_cndmask_b32_e64 v37, v18, 0, s2
	v_dual_mov_b32 v18, 0 :: v_dual_add_nc_u32 v35, v37, v28
	s_delay_alu instid0(VALU_DEP_1) | instskip(NEXT) | instid1(VALU_DEP_1)
	v_add_nc_u32_e32 v33, v35, v30
	v_add_nc_u32_e32 v31, v33, v32
	s_delay_alu instid0(VALU_DEP_1) | instskip(NEXT) | instid1(VALU_DEP_1)
	v_add_nc_u32_e32 v29, v31, v34
	v_add_nc_u32_e32 v27, v29, v36
	;; [unrolled: 3-line block ×3, first 2 shown]
.LBB1309_408:
	s_waitcnt lgkmcnt(0)
	v_cmp_gt_u32_e32 vcc_lo, 0x201, v17
	v_lshrrev_b32_e32 v43, 8, v19
	v_lshrrev_b32_e32 v42, 16, v19
	;; [unrolled: 1-line block ×4, first 2 shown]
	s_mov_b32 s0, -1
	s_cbranch_vccnz .LBB1309_412
; %bb.409:
	s_and_b32 vcc_lo, exec_lo, s0
	s_cbranch_vccnz .LBB1309_437
.LBB1309_410:
	s_and_b32 s0, s2, s13
	s_delay_alu instid0(SALU_CYCLE_1)
	s_and_saveexec_b32 s1, s0
	s_cbranch_execnz .LBB1309_457
.LBB1309_411:
	s_nop 0
	s_sendmsg sendmsg(MSG_DEALLOC_VGPRS)
	s_endpgm
.LBB1309_412:
	v_add_nc_u32_e32 v24, v18, v17
	s_delay_alu instid0(VALU_DEP_1) | instskip(SKIP_1) | instid1(SALU_CYCLE_1)
	v_cmp_lt_u32_e32 vcc_lo, v37, v24
	s_or_b32 s1, s22, vcc_lo
	s_and_saveexec_b32 s0, s1
	s_cbranch_execz .LBB1309_415
; %bb.413:
	v_and_b32_e32 v26, 1, v19
	s_delay_alu instid0(VALU_DEP_1)
	v_cmp_eq_u32_e32 vcc_lo, 1, v26
	s_and_b32 exec_lo, exec_lo, vcc_lo
	s_cbranch_execz .LBB1309_415
; %bb.414:
	v_mov_b32_e32 v38, 0
	s_lshl_b64 s[4:5], s[10:11], 3
	s_delay_alu instid0(SALU_CYCLE_1) | instskip(SKIP_1) | instid1(VALU_DEP_1)
	s_add_u32 s1, s20, s4
	s_addc_u32 s3, s21, s5
	v_lshlrev_b64 v[44:45], 3, v[37:38]
	s_delay_alu instid0(VALU_DEP_1) | instskip(NEXT) | instid1(VALU_DEP_2)
	v_add_co_u32 v44, vcc_lo, s1, v44
	v_add_co_ci_u32_e32 v45, vcc_lo, s3, v45, vcc_lo
	global_store_b64 v[44:45], v[13:14], off
.LBB1309_415:
	s_or_b32 exec_lo, exec_lo, s0
	v_cmp_lt_u32_e32 vcc_lo, v35, v24
	s_or_b32 s1, s22, vcc_lo
	s_delay_alu instid0(SALU_CYCLE_1)
	s_and_saveexec_b32 s0, s1
	s_cbranch_execz .LBB1309_418
; %bb.416:
	v_and_b32_e32 v26, 1, v43
	s_delay_alu instid0(VALU_DEP_1)
	v_cmp_eq_u32_e32 vcc_lo, 1, v26
	s_and_b32 exec_lo, exec_lo, vcc_lo
	s_cbranch_execz .LBB1309_418
; %bb.417:
	v_mov_b32_e32 v36, 0
	s_lshl_b64 s[4:5], s[10:11], 3
	s_delay_alu instid0(SALU_CYCLE_1) | instskip(SKIP_1) | instid1(VALU_DEP_1)
	s_add_u32 s1, s20, s4
	s_addc_u32 s3, s21, s5
	v_lshlrev_b64 v[44:45], 3, v[35:36]
	s_delay_alu instid0(VALU_DEP_1) | instskip(NEXT) | instid1(VALU_DEP_2)
	v_add_co_u32 v44, vcc_lo, s1, v44
	v_add_co_ci_u32_e32 v45, vcc_lo, s3, v45, vcc_lo
	global_store_b64 v[44:45], v[15:16], off
.LBB1309_418:
	s_or_b32 exec_lo, exec_lo, s0
	v_cmp_lt_u32_e32 vcc_lo, v33, v24
	s_or_b32 s1, s22, vcc_lo
	s_delay_alu instid0(SALU_CYCLE_1)
	;; [unrolled: 24-line block ×7, first 2 shown]
	s_and_saveexec_b32 s0, s1
	s_cbranch_execz .LBB1309_436
; %bb.434:
	v_and_b32_e32 v24, 1, v40
	s_delay_alu instid0(VALU_DEP_1)
	v_cmp_eq_u32_e32 vcc_lo, 1, v24
	s_and_b32 exec_lo, exec_lo, vcc_lo
	s_cbranch_execz .LBB1309_436
; %bb.435:
	v_mov_b32_e32 v24, 0
	s_lshl_b64 s[4:5], s[10:11], 3
	s_delay_alu instid0(SALU_CYCLE_1) | instskip(SKIP_1) | instid1(VALU_DEP_1)
	s_add_u32 s1, s20, s4
	s_addc_u32 s3, s21, s5
	v_lshlrev_b64 v[44:45], 3, v[23:24]
	s_delay_alu instid0(VALU_DEP_1) | instskip(NEXT) | instid1(VALU_DEP_2)
	v_add_co_u32 v44, vcc_lo, s1, v44
	v_add_co_ci_u32_e32 v45, vcc_lo, s3, v45, vcc_lo
	global_store_b64 v[44:45], v[3:4], off
.LBB1309_436:
	s_or_b32 exec_lo, exec_lo, s0
	s_branch .LBB1309_410
.LBB1309_437:
	v_and_b32_e32 v19, 1, v19
	s_mov_b32 s0, exec_lo
	s_delay_alu instid0(VALU_DEP_1)
	v_cmpx_eq_u32_e32 1, v19
	s_cbranch_execz .LBB1309_439
; %bb.438:
	v_sub_nc_u32_e32 v19, v37, v18
	s_delay_alu instid0(VALU_DEP_1)
	v_lshlrev_b32_e32 v19, 3, v19
	ds_store_b64 v19, v[13:14]
.LBB1309_439:
	s_or_b32 exec_lo, exec_lo, s0
	v_and_b32_e32 v13, 1, v43
	s_mov_b32 s0, exec_lo
	s_delay_alu instid0(VALU_DEP_1)
	v_cmpx_eq_u32_e32 1, v13
	s_cbranch_execz .LBB1309_441
; %bb.440:
	v_sub_nc_u32_e32 v13, v35, v18
	s_delay_alu instid0(VALU_DEP_1)
	v_lshlrev_b32_e32 v13, 3, v13
	ds_store_b64 v13, v[15:16]
.LBB1309_441:
	s_or_b32 exec_lo, exec_lo, s0
	;; [unrolled: 12-line block ×8, first 2 shown]
	s_delay_alu instid0(SALU_CYCLE_1)
	s_mov_b32 s1, exec_lo
	s_waitcnt lgkmcnt(0)
	s_waitcnt_vscnt null, 0x0
	s_barrier
	buffer_gl0_inv
	v_cmpx_lt_u32_e64 v0, v17
	s_cbranch_execz .LBB1309_456
; %bb.454:
	v_dual_mov_b32 v2, 0 :: v_dual_mov_b32 v1, v18
	s_lshl_b64 s[4:5], s[10:11], 3
	s_mov_b32 s3, 0
	s_delay_alu instid0(VALU_DEP_1) | instskip(NEXT) | instid1(VALU_DEP_1)
	v_lshlrev_b64 v[1:2], 3, v[1:2]
	v_add_co_u32 v1, vcc_lo, s4, v1
	s_delay_alu instid0(VALU_DEP_2) | instskip(NEXT) | instid1(VALU_DEP_2)
	v_add_co_ci_u32_e32 v2, vcc_lo, s5, v2, vcc_lo
	v_add_co_u32 v1, vcc_lo, s20, v1
	s_delay_alu instid0(VALU_DEP_2) | instskip(NEXT) | instid1(VALU_DEP_2)
	v_add_co_ci_u32_e32 v2, vcc_lo, s21, v2, vcc_lo
	v_add_co_u32 v1, vcc_lo, v1, v39
	s_delay_alu instid0(VALU_DEP_2)
	v_add_co_ci_u32_e32 v2, vcc_lo, 0, v2, vcc_lo
	.p2align	6
.LBB1309_455:                           ; =>This Inner Loop Header: Depth=1
	ds_load_b64 v[3:4], v39
	v_add_nc_u32_e32 v0, 0x200, v0
	v_add_nc_u32_e32 v39, 0x1000, v39
	s_delay_alu instid0(VALU_DEP_2) | instskip(SKIP_4) | instid1(VALU_DEP_1)
	v_cmp_ge_u32_e32 vcc_lo, v0, v17
	s_or_b32 s3, vcc_lo, s3
	s_waitcnt lgkmcnt(0)
	global_store_b64 v[1:2], v[3:4], off
	v_add_co_u32 v1, s0, 0x1000, v1
	v_add_co_ci_u32_e64 v2, s0, 0, v2, s0
	s_and_not1_b32 exec_lo, exec_lo, s3
	s_cbranch_execnz .LBB1309_455
.LBB1309_456:
	s_or_b32 exec_lo, exec_lo, s1
	s_and_b32 s0, s2, s13
	s_delay_alu instid0(SALU_CYCLE_1)
	s_and_saveexec_b32 s1, s0
	s_cbranch_execz .LBB1309_411
.LBB1309_457:
	v_add_co_u32 v0, s0, s10, v17
	s_delay_alu instid0(VALU_DEP_1) | instskip(SKIP_1) | instid1(VALU_DEP_3)
	v_add_co_ci_u32_e64 v1, null, s11, 0, s0
	v_mov_b32_e32 v2, 0
	v_add_co_u32 v0, vcc_lo, v0, v18
	s_delay_alu instid0(VALU_DEP_3)
	v_add_co_ci_u32_e32 v1, vcc_lo, 0, v1, vcc_lo
	global_store_b64 v2, v[0:1], s[8:9]
	s_nop 0
	s_sendmsg sendmsg(MSG_DEALLOC_VGPRS)
	s_endpgm
	.section	.rodata,"a",@progbits
	.p2align	6, 0x0
	.amdhsa_kernel _ZN7rocprim17ROCPRIM_400000_NS6detail17trampoline_kernelINS0_14default_configENS1_25partition_config_selectorILNS1_17partition_subalgoE8ElNS0_10empty_typeEbEEZZNS1_14partition_implILS5_8ELb0ES3_jPlPS6_PKS6_NS0_5tupleIJS9_S6_EEENSD_IJSA_SA_EEENS0_18inequality_wrapperIZN2at6native12_GLOBAL__N_124unique_dim_cuda_templateIN3c104HalfEEESt5tupleIJNSH_6TensorESO_SO_EERKSO_lbbbEUlllE0_EEPmJS6_EEE10hipError_tPvRmT3_T4_T5_T6_T7_T9_mT8_P12ihipStream_tbDpT10_ENKUlT_T0_E_clISt17integral_constantIbLb1EES1E_EEDaS19_S1A_EUlS19_E_NS1_11comp_targetILNS1_3genE9ELNS1_11target_archE1100ELNS1_3gpuE3ELNS1_3repE0EEENS1_30default_config_static_selectorELNS0_4arch9wavefront6targetE0EEEvT1_
		.amdhsa_group_segment_fixed_size 33804
		.amdhsa_private_segment_fixed_size 0
		.amdhsa_kernarg_size 136
		.amdhsa_user_sgpr_count 15
		.amdhsa_user_sgpr_dispatch_ptr 0
		.amdhsa_user_sgpr_queue_ptr 0
		.amdhsa_user_sgpr_kernarg_segment_ptr 1
		.amdhsa_user_sgpr_dispatch_id 0
		.amdhsa_user_sgpr_private_segment_size 0
		.amdhsa_wavefront_size32 1
		.amdhsa_uses_dynamic_stack 0
		.amdhsa_enable_private_segment 0
		.amdhsa_system_sgpr_workgroup_id_x 1
		.amdhsa_system_sgpr_workgroup_id_y 0
		.amdhsa_system_sgpr_workgroup_id_z 0
		.amdhsa_system_sgpr_workgroup_info 0
		.amdhsa_system_vgpr_workitem_id 0
		.amdhsa_next_free_vgpr 52
		.amdhsa_next_free_sgpr 38
		.amdhsa_reserve_vcc 1
		.amdhsa_float_round_mode_32 0
		.amdhsa_float_round_mode_16_64 0
		.amdhsa_float_denorm_mode_32 3
		.amdhsa_float_denorm_mode_16_64 3
		.amdhsa_dx10_clamp 1
		.amdhsa_ieee_mode 1
		.amdhsa_fp16_overflow 0
		.amdhsa_workgroup_processor_mode 1
		.amdhsa_memory_ordered 1
		.amdhsa_forward_progress 0
		.amdhsa_shared_vgpr_count 0
		.amdhsa_exception_fp_ieee_invalid_op 0
		.amdhsa_exception_fp_denorm_src 0
		.amdhsa_exception_fp_ieee_div_zero 0
		.amdhsa_exception_fp_ieee_overflow 0
		.amdhsa_exception_fp_ieee_underflow 0
		.amdhsa_exception_fp_ieee_inexact 0
		.amdhsa_exception_int_div_zero 0
	.end_amdhsa_kernel
	.section	.text._ZN7rocprim17ROCPRIM_400000_NS6detail17trampoline_kernelINS0_14default_configENS1_25partition_config_selectorILNS1_17partition_subalgoE8ElNS0_10empty_typeEbEEZZNS1_14partition_implILS5_8ELb0ES3_jPlPS6_PKS6_NS0_5tupleIJS9_S6_EEENSD_IJSA_SA_EEENS0_18inequality_wrapperIZN2at6native12_GLOBAL__N_124unique_dim_cuda_templateIN3c104HalfEEESt5tupleIJNSH_6TensorESO_SO_EERKSO_lbbbEUlllE0_EEPmJS6_EEE10hipError_tPvRmT3_T4_T5_T6_T7_T9_mT8_P12ihipStream_tbDpT10_ENKUlT_T0_E_clISt17integral_constantIbLb1EES1E_EEDaS19_S1A_EUlS19_E_NS1_11comp_targetILNS1_3genE9ELNS1_11target_archE1100ELNS1_3gpuE3ELNS1_3repE0EEENS1_30default_config_static_selectorELNS0_4arch9wavefront6targetE0EEEvT1_,"axG",@progbits,_ZN7rocprim17ROCPRIM_400000_NS6detail17trampoline_kernelINS0_14default_configENS1_25partition_config_selectorILNS1_17partition_subalgoE8ElNS0_10empty_typeEbEEZZNS1_14partition_implILS5_8ELb0ES3_jPlPS6_PKS6_NS0_5tupleIJS9_S6_EEENSD_IJSA_SA_EEENS0_18inequality_wrapperIZN2at6native12_GLOBAL__N_124unique_dim_cuda_templateIN3c104HalfEEESt5tupleIJNSH_6TensorESO_SO_EERKSO_lbbbEUlllE0_EEPmJS6_EEE10hipError_tPvRmT3_T4_T5_T6_T7_T9_mT8_P12ihipStream_tbDpT10_ENKUlT_T0_E_clISt17integral_constantIbLb1EES1E_EEDaS19_S1A_EUlS19_E_NS1_11comp_targetILNS1_3genE9ELNS1_11target_archE1100ELNS1_3gpuE3ELNS1_3repE0EEENS1_30default_config_static_selectorELNS0_4arch9wavefront6targetE0EEEvT1_,comdat
.Lfunc_end1309:
	.size	_ZN7rocprim17ROCPRIM_400000_NS6detail17trampoline_kernelINS0_14default_configENS1_25partition_config_selectorILNS1_17partition_subalgoE8ElNS0_10empty_typeEbEEZZNS1_14partition_implILS5_8ELb0ES3_jPlPS6_PKS6_NS0_5tupleIJS9_S6_EEENSD_IJSA_SA_EEENS0_18inequality_wrapperIZN2at6native12_GLOBAL__N_124unique_dim_cuda_templateIN3c104HalfEEESt5tupleIJNSH_6TensorESO_SO_EERKSO_lbbbEUlllE0_EEPmJS6_EEE10hipError_tPvRmT3_T4_T5_T6_T7_T9_mT8_P12ihipStream_tbDpT10_ENKUlT_T0_E_clISt17integral_constantIbLb1EES1E_EEDaS19_S1A_EUlS19_E_NS1_11comp_targetILNS1_3genE9ELNS1_11target_archE1100ELNS1_3gpuE3ELNS1_3repE0EEENS1_30default_config_static_selectorELNS0_4arch9wavefront6targetE0EEEvT1_, .Lfunc_end1309-_ZN7rocprim17ROCPRIM_400000_NS6detail17trampoline_kernelINS0_14default_configENS1_25partition_config_selectorILNS1_17partition_subalgoE8ElNS0_10empty_typeEbEEZZNS1_14partition_implILS5_8ELb0ES3_jPlPS6_PKS6_NS0_5tupleIJS9_S6_EEENSD_IJSA_SA_EEENS0_18inequality_wrapperIZN2at6native12_GLOBAL__N_124unique_dim_cuda_templateIN3c104HalfEEESt5tupleIJNSH_6TensorESO_SO_EERKSO_lbbbEUlllE0_EEPmJS6_EEE10hipError_tPvRmT3_T4_T5_T6_T7_T9_mT8_P12ihipStream_tbDpT10_ENKUlT_T0_E_clISt17integral_constantIbLb1EES1E_EEDaS19_S1A_EUlS19_E_NS1_11comp_targetILNS1_3genE9ELNS1_11target_archE1100ELNS1_3gpuE3ELNS1_3repE0EEENS1_30default_config_static_selectorELNS0_4arch9wavefront6targetE0EEEvT1_
                                        ; -- End function
	.section	.AMDGPU.csdata,"",@progbits
; Kernel info:
; codeLenInByte = 18392
; NumSgprs: 40
; NumVgprs: 52
; ScratchSize: 0
; MemoryBound: 0
; FloatMode: 240
; IeeeMode: 1
; LDSByteSize: 33804 bytes/workgroup (compile time only)
; SGPRBlocks: 4
; VGPRBlocks: 6
; NumSGPRsForWavesPerEU: 40
; NumVGPRsForWavesPerEU: 52
; Occupancy: 12
; WaveLimiterHint : 1
; COMPUTE_PGM_RSRC2:SCRATCH_EN: 0
; COMPUTE_PGM_RSRC2:USER_SGPR: 15
; COMPUTE_PGM_RSRC2:TRAP_HANDLER: 0
; COMPUTE_PGM_RSRC2:TGID_X_EN: 1
; COMPUTE_PGM_RSRC2:TGID_Y_EN: 0
; COMPUTE_PGM_RSRC2:TGID_Z_EN: 0
; COMPUTE_PGM_RSRC2:TIDIG_COMP_CNT: 0
	.section	.text._ZN7rocprim17ROCPRIM_400000_NS6detail17trampoline_kernelINS0_14default_configENS1_25partition_config_selectorILNS1_17partition_subalgoE8ElNS0_10empty_typeEbEEZZNS1_14partition_implILS5_8ELb0ES3_jPlPS6_PKS6_NS0_5tupleIJS9_S6_EEENSD_IJSA_SA_EEENS0_18inequality_wrapperIZN2at6native12_GLOBAL__N_124unique_dim_cuda_templateIN3c104HalfEEESt5tupleIJNSH_6TensorESO_SO_EERKSO_lbbbEUlllE0_EEPmJS6_EEE10hipError_tPvRmT3_T4_T5_T6_T7_T9_mT8_P12ihipStream_tbDpT10_ENKUlT_T0_E_clISt17integral_constantIbLb1EES1E_EEDaS19_S1A_EUlS19_E_NS1_11comp_targetILNS1_3genE8ELNS1_11target_archE1030ELNS1_3gpuE2ELNS1_3repE0EEENS1_30default_config_static_selectorELNS0_4arch9wavefront6targetE0EEEvT1_,"axG",@progbits,_ZN7rocprim17ROCPRIM_400000_NS6detail17trampoline_kernelINS0_14default_configENS1_25partition_config_selectorILNS1_17partition_subalgoE8ElNS0_10empty_typeEbEEZZNS1_14partition_implILS5_8ELb0ES3_jPlPS6_PKS6_NS0_5tupleIJS9_S6_EEENSD_IJSA_SA_EEENS0_18inequality_wrapperIZN2at6native12_GLOBAL__N_124unique_dim_cuda_templateIN3c104HalfEEESt5tupleIJNSH_6TensorESO_SO_EERKSO_lbbbEUlllE0_EEPmJS6_EEE10hipError_tPvRmT3_T4_T5_T6_T7_T9_mT8_P12ihipStream_tbDpT10_ENKUlT_T0_E_clISt17integral_constantIbLb1EES1E_EEDaS19_S1A_EUlS19_E_NS1_11comp_targetILNS1_3genE8ELNS1_11target_archE1030ELNS1_3gpuE2ELNS1_3repE0EEENS1_30default_config_static_selectorELNS0_4arch9wavefront6targetE0EEEvT1_,comdat
	.globl	_ZN7rocprim17ROCPRIM_400000_NS6detail17trampoline_kernelINS0_14default_configENS1_25partition_config_selectorILNS1_17partition_subalgoE8ElNS0_10empty_typeEbEEZZNS1_14partition_implILS5_8ELb0ES3_jPlPS6_PKS6_NS0_5tupleIJS9_S6_EEENSD_IJSA_SA_EEENS0_18inequality_wrapperIZN2at6native12_GLOBAL__N_124unique_dim_cuda_templateIN3c104HalfEEESt5tupleIJNSH_6TensorESO_SO_EERKSO_lbbbEUlllE0_EEPmJS6_EEE10hipError_tPvRmT3_T4_T5_T6_T7_T9_mT8_P12ihipStream_tbDpT10_ENKUlT_T0_E_clISt17integral_constantIbLb1EES1E_EEDaS19_S1A_EUlS19_E_NS1_11comp_targetILNS1_3genE8ELNS1_11target_archE1030ELNS1_3gpuE2ELNS1_3repE0EEENS1_30default_config_static_selectorELNS0_4arch9wavefront6targetE0EEEvT1_ ; -- Begin function _ZN7rocprim17ROCPRIM_400000_NS6detail17trampoline_kernelINS0_14default_configENS1_25partition_config_selectorILNS1_17partition_subalgoE8ElNS0_10empty_typeEbEEZZNS1_14partition_implILS5_8ELb0ES3_jPlPS6_PKS6_NS0_5tupleIJS9_S6_EEENSD_IJSA_SA_EEENS0_18inequality_wrapperIZN2at6native12_GLOBAL__N_124unique_dim_cuda_templateIN3c104HalfEEESt5tupleIJNSH_6TensorESO_SO_EERKSO_lbbbEUlllE0_EEPmJS6_EEE10hipError_tPvRmT3_T4_T5_T6_T7_T9_mT8_P12ihipStream_tbDpT10_ENKUlT_T0_E_clISt17integral_constantIbLb1EES1E_EEDaS19_S1A_EUlS19_E_NS1_11comp_targetILNS1_3genE8ELNS1_11target_archE1030ELNS1_3gpuE2ELNS1_3repE0EEENS1_30default_config_static_selectorELNS0_4arch9wavefront6targetE0EEEvT1_
	.p2align	8
	.type	_ZN7rocprim17ROCPRIM_400000_NS6detail17trampoline_kernelINS0_14default_configENS1_25partition_config_selectorILNS1_17partition_subalgoE8ElNS0_10empty_typeEbEEZZNS1_14partition_implILS5_8ELb0ES3_jPlPS6_PKS6_NS0_5tupleIJS9_S6_EEENSD_IJSA_SA_EEENS0_18inequality_wrapperIZN2at6native12_GLOBAL__N_124unique_dim_cuda_templateIN3c104HalfEEESt5tupleIJNSH_6TensorESO_SO_EERKSO_lbbbEUlllE0_EEPmJS6_EEE10hipError_tPvRmT3_T4_T5_T6_T7_T9_mT8_P12ihipStream_tbDpT10_ENKUlT_T0_E_clISt17integral_constantIbLb1EES1E_EEDaS19_S1A_EUlS19_E_NS1_11comp_targetILNS1_3genE8ELNS1_11target_archE1030ELNS1_3gpuE2ELNS1_3repE0EEENS1_30default_config_static_selectorELNS0_4arch9wavefront6targetE0EEEvT1_,@function
_ZN7rocprim17ROCPRIM_400000_NS6detail17trampoline_kernelINS0_14default_configENS1_25partition_config_selectorILNS1_17partition_subalgoE8ElNS0_10empty_typeEbEEZZNS1_14partition_implILS5_8ELb0ES3_jPlPS6_PKS6_NS0_5tupleIJS9_S6_EEENSD_IJSA_SA_EEENS0_18inequality_wrapperIZN2at6native12_GLOBAL__N_124unique_dim_cuda_templateIN3c104HalfEEESt5tupleIJNSH_6TensorESO_SO_EERKSO_lbbbEUlllE0_EEPmJS6_EEE10hipError_tPvRmT3_T4_T5_T6_T7_T9_mT8_P12ihipStream_tbDpT10_ENKUlT_T0_E_clISt17integral_constantIbLb1EES1E_EEDaS19_S1A_EUlS19_E_NS1_11comp_targetILNS1_3genE8ELNS1_11target_archE1030ELNS1_3gpuE2ELNS1_3repE0EEENS1_30default_config_static_selectorELNS0_4arch9wavefront6targetE0EEEvT1_: ; @_ZN7rocprim17ROCPRIM_400000_NS6detail17trampoline_kernelINS0_14default_configENS1_25partition_config_selectorILNS1_17partition_subalgoE8ElNS0_10empty_typeEbEEZZNS1_14partition_implILS5_8ELb0ES3_jPlPS6_PKS6_NS0_5tupleIJS9_S6_EEENSD_IJSA_SA_EEENS0_18inequality_wrapperIZN2at6native12_GLOBAL__N_124unique_dim_cuda_templateIN3c104HalfEEESt5tupleIJNSH_6TensorESO_SO_EERKSO_lbbbEUlllE0_EEPmJS6_EEE10hipError_tPvRmT3_T4_T5_T6_T7_T9_mT8_P12ihipStream_tbDpT10_ENKUlT_T0_E_clISt17integral_constantIbLb1EES1E_EEDaS19_S1A_EUlS19_E_NS1_11comp_targetILNS1_3genE8ELNS1_11target_archE1030ELNS1_3gpuE2ELNS1_3repE0EEENS1_30default_config_static_selectorELNS0_4arch9wavefront6targetE0EEEvT1_
; %bb.0:
	.section	.rodata,"a",@progbits
	.p2align	6, 0x0
	.amdhsa_kernel _ZN7rocprim17ROCPRIM_400000_NS6detail17trampoline_kernelINS0_14default_configENS1_25partition_config_selectorILNS1_17partition_subalgoE8ElNS0_10empty_typeEbEEZZNS1_14partition_implILS5_8ELb0ES3_jPlPS6_PKS6_NS0_5tupleIJS9_S6_EEENSD_IJSA_SA_EEENS0_18inequality_wrapperIZN2at6native12_GLOBAL__N_124unique_dim_cuda_templateIN3c104HalfEEESt5tupleIJNSH_6TensorESO_SO_EERKSO_lbbbEUlllE0_EEPmJS6_EEE10hipError_tPvRmT3_T4_T5_T6_T7_T9_mT8_P12ihipStream_tbDpT10_ENKUlT_T0_E_clISt17integral_constantIbLb1EES1E_EEDaS19_S1A_EUlS19_E_NS1_11comp_targetILNS1_3genE8ELNS1_11target_archE1030ELNS1_3gpuE2ELNS1_3repE0EEENS1_30default_config_static_selectorELNS0_4arch9wavefront6targetE0EEEvT1_
		.amdhsa_group_segment_fixed_size 0
		.amdhsa_private_segment_fixed_size 0
		.amdhsa_kernarg_size 136
		.amdhsa_user_sgpr_count 15
		.amdhsa_user_sgpr_dispatch_ptr 0
		.amdhsa_user_sgpr_queue_ptr 0
		.amdhsa_user_sgpr_kernarg_segment_ptr 1
		.amdhsa_user_sgpr_dispatch_id 0
		.amdhsa_user_sgpr_private_segment_size 0
		.amdhsa_wavefront_size32 1
		.amdhsa_uses_dynamic_stack 0
		.amdhsa_enable_private_segment 0
		.amdhsa_system_sgpr_workgroup_id_x 1
		.amdhsa_system_sgpr_workgroup_id_y 0
		.amdhsa_system_sgpr_workgroup_id_z 0
		.amdhsa_system_sgpr_workgroup_info 0
		.amdhsa_system_vgpr_workitem_id 0
		.amdhsa_next_free_vgpr 1
		.amdhsa_next_free_sgpr 1
		.amdhsa_reserve_vcc 0
		.amdhsa_float_round_mode_32 0
		.amdhsa_float_round_mode_16_64 0
		.amdhsa_float_denorm_mode_32 3
		.amdhsa_float_denorm_mode_16_64 3
		.amdhsa_dx10_clamp 1
		.amdhsa_ieee_mode 1
		.amdhsa_fp16_overflow 0
		.amdhsa_workgroup_processor_mode 1
		.amdhsa_memory_ordered 1
		.amdhsa_forward_progress 0
		.amdhsa_shared_vgpr_count 0
		.amdhsa_exception_fp_ieee_invalid_op 0
		.amdhsa_exception_fp_denorm_src 0
		.amdhsa_exception_fp_ieee_div_zero 0
		.amdhsa_exception_fp_ieee_overflow 0
		.amdhsa_exception_fp_ieee_underflow 0
		.amdhsa_exception_fp_ieee_inexact 0
		.amdhsa_exception_int_div_zero 0
	.end_amdhsa_kernel
	.section	.text._ZN7rocprim17ROCPRIM_400000_NS6detail17trampoline_kernelINS0_14default_configENS1_25partition_config_selectorILNS1_17partition_subalgoE8ElNS0_10empty_typeEbEEZZNS1_14partition_implILS5_8ELb0ES3_jPlPS6_PKS6_NS0_5tupleIJS9_S6_EEENSD_IJSA_SA_EEENS0_18inequality_wrapperIZN2at6native12_GLOBAL__N_124unique_dim_cuda_templateIN3c104HalfEEESt5tupleIJNSH_6TensorESO_SO_EERKSO_lbbbEUlllE0_EEPmJS6_EEE10hipError_tPvRmT3_T4_T5_T6_T7_T9_mT8_P12ihipStream_tbDpT10_ENKUlT_T0_E_clISt17integral_constantIbLb1EES1E_EEDaS19_S1A_EUlS19_E_NS1_11comp_targetILNS1_3genE8ELNS1_11target_archE1030ELNS1_3gpuE2ELNS1_3repE0EEENS1_30default_config_static_selectorELNS0_4arch9wavefront6targetE0EEEvT1_,"axG",@progbits,_ZN7rocprim17ROCPRIM_400000_NS6detail17trampoline_kernelINS0_14default_configENS1_25partition_config_selectorILNS1_17partition_subalgoE8ElNS0_10empty_typeEbEEZZNS1_14partition_implILS5_8ELb0ES3_jPlPS6_PKS6_NS0_5tupleIJS9_S6_EEENSD_IJSA_SA_EEENS0_18inequality_wrapperIZN2at6native12_GLOBAL__N_124unique_dim_cuda_templateIN3c104HalfEEESt5tupleIJNSH_6TensorESO_SO_EERKSO_lbbbEUlllE0_EEPmJS6_EEE10hipError_tPvRmT3_T4_T5_T6_T7_T9_mT8_P12ihipStream_tbDpT10_ENKUlT_T0_E_clISt17integral_constantIbLb1EES1E_EEDaS19_S1A_EUlS19_E_NS1_11comp_targetILNS1_3genE8ELNS1_11target_archE1030ELNS1_3gpuE2ELNS1_3repE0EEENS1_30default_config_static_selectorELNS0_4arch9wavefront6targetE0EEEvT1_,comdat
.Lfunc_end1310:
	.size	_ZN7rocprim17ROCPRIM_400000_NS6detail17trampoline_kernelINS0_14default_configENS1_25partition_config_selectorILNS1_17partition_subalgoE8ElNS0_10empty_typeEbEEZZNS1_14partition_implILS5_8ELb0ES3_jPlPS6_PKS6_NS0_5tupleIJS9_S6_EEENSD_IJSA_SA_EEENS0_18inequality_wrapperIZN2at6native12_GLOBAL__N_124unique_dim_cuda_templateIN3c104HalfEEESt5tupleIJNSH_6TensorESO_SO_EERKSO_lbbbEUlllE0_EEPmJS6_EEE10hipError_tPvRmT3_T4_T5_T6_T7_T9_mT8_P12ihipStream_tbDpT10_ENKUlT_T0_E_clISt17integral_constantIbLb1EES1E_EEDaS19_S1A_EUlS19_E_NS1_11comp_targetILNS1_3genE8ELNS1_11target_archE1030ELNS1_3gpuE2ELNS1_3repE0EEENS1_30default_config_static_selectorELNS0_4arch9wavefront6targetE0EEEvT1_, .Lfunc_end1310-_ZN7rocprim17ROCPRIM_400000_NS6detail17trampoline_kernelINS0_14default_configENS1_25partition_config_selectorILNS1_17partition_subalgoE8ElNS0_10empty_typeEbEEZZNS1_14partition_implILS5_8ELb0ES3_jPlPS6_PKS6_NS0_5tupleIJS9_S6_EEENSD_IJSA_SA_EEENS0_18inequality_wrapperIZN2at6native12_GLOBAL__N_124unique_dim_cuda_templateIN3c104HalfEEESt5tupleIJNSH_6TensorESO_SO_EERKSO_lbbbEUlllE0_EEPmJS6_EEE10hipError_tPvRmT3_T4_T5_T6_T7_T9_mT8_P12ihipStream_tbDpT10_ENKUlT_T0_E_clISt17integral_constantIbLb1EES1E_EEDaS19_S1A_EUlS19_E_NS1_11comp_targetILNS1_3genE8ELNS1_11target_archE1030ELNS1_3gpuE2ELNS1_3repE0EEENS1_30default_config_static_selectorELNS0_4arch9wavefront6targetE0EEEvT1_
                                        ; -- End function
	.section	.AMDGPU.csdata,"",@progbits
; Kernel info:
; codeLenInByte = 0
; NumSgprs: 0
; NumVgprs: 0
; ScratchSize: 0
; MemoryBound: 0
; FloatMode: 240
; IeeeMode: 1
; LDSByteSize: 0 bytes/workgroup (compile time only)
; SGPRBlocks: 0
; VGPRBlocks: 0
; NumSGPRsForWavesPerEU: 1
; NumVGPRsForWavesPerEU: 1
; Occupancy: 16
; WaveLimiterHint : 0
; COMPUTE_PGM_RSRC2:SCRATCH_EN: 0
; COMPUTE_PGM_RSRC2:USER_SGPR: 15
; COMPUTE_PGM_RSRC2:TRAP_HANDLER: 0
; COMPUTE_PGM_RSRC2:TGID_X_EN: 1
; COMPUTE_PGM_RSRC2:TGID_Y_EN: 0
; COMPUTE_PGM_RSRC2:TGID_Z_EN: 0
; COMPUTE_PGM_RSRC2:TIDIG_COMP_CNT: 0
	.section	.text._ZN7rocprim17ROCPRIM_400000_NS6detail17trampoline_kernelINS0_14default_configENS1_25partition_config_selectorILNS1_17partition_subalgoE8ElNS0_10empty_typeEbEEZZNS1_14partition_implILS5_8ELb0ES3_jPlPS6_PKS6_NS0_5tupleIJS9_S6_EEENSD_IJSA_SA_EEENS0_18inequality_wrapperIZN2at6native12_GLOBAL__N_124unique_dim_cuda_templateIN3c104HalfEEESt5tupleIJNSH_6TensorESO_SO_EERKSO_lbbbEUlllE0_EEPmJS6_EEE10hipError_tPvRmT3_T4_T5_T6_T7_T9_mT8_P12ihipStream_tbDpT10_ENKUlT_T0_E_clISt17integral_constantIbLb1EES1D_IbLb0EEEEDaS19_S1A_EUlS19_E_NS1_11comp_targetILNS1_3genE0ELNS1_11target_archE4294967295ELNS1_3gpuE0ELNS1_3repE0EEENS1_30default_config_static_selectorELNS0_4arch9wavefront6targetE0EEEvT1_,"axG",@progbits,_ZN7rocprim17ROCPRIM_400000_NS6detail17trampoline_kernelINS0_14default_configENS1_25partition_config_selectorILNS1_17partition_subalgoE8ElNS0_10empty_typeEbEEZZNS1_14partition_implILS5_8ELb0ES3_jPlPS6_PKS6_NS0_5tupleIJS9_S6_EEENSD_IJSA_SA_EEENS0_18inequality_wrapperIZN2at6native12_GLOBAL__N_124unique_dim_cuda_templateIN3c104HalfEEESt5tupleIJNSH_6TensorESO_SO_EERKSO_lbbbEUlllE0_EEPmJS6_EEE10hipError_tPvRmT3_T4_T5_T6_T7_T9_mT8_P12ihipStream_tbDpT10_ENKUlT_T0_E_clISt17integral_constantIbLb1EES1D_IbLb0EEEEDaS19_S1A_EUlS19_E_NS1_11comp_targetILNS1_3genE0ELNS1_11target_archE4294967295ELNS1_3gpuE0ELNS1_3repE0EEENS1_30default_config_static_selectorELNS0_4arch9wavefront6targetE0EEEvT1_,comdat
	.globl	_ZN7rocprim17ROCPRIM_400000_NS6detail17trampoline_kernelINS0_14default_configENS1_25partition_config_selectorILNS1_17partition_subalgoE8ElNS0_10empty_typeEbEEZZNS1_14partition_implILS5_8ELb0ES3_jPlPS6_PKS6_NS0_5tupleIJS9_S6_EEENSD_IJSA_SA_EEENS0_18inequality_wrapperIZN2at6native12_GLOBAL__N_124unique_dim_cuda_templateIN3c104HalfEEESt5tupleIJNSH_6TensorESO_SO_EERKSO_lbbbEUlllE0_EEPmJS6_EEE10hipError_tPvRmT3_T4_T5_T6_T7_T9_mT8_P12ihipStream_tbDpT10_ENKUlT_T0_E_clISt17integral_constantIbLb1EES1D_IbLb0EEEEDaS19_S1A_EUlS19_E_NS1_11comp_targetILNS1_3genE0ELNS1_11target_archE4294967295ELNS1_3gpuE0ELNS1_3repE0EEENS1_30default_config_static_selectorELNS0_4arch9wavefront6targetE0EEEvT1_ ; -- Begin function _ZN7rocprim17ROCPRIM_400000_NS6detail17trampoline_kernelINS0_14default_configENS1_25partition_config_selectorILNS1_17partition_subalgoE8ElNS0_10empty_typeEbEEZZNS1_14partition_implILS5_8ELb0ES3_jPlPS6_PKS6_NS0_5tupleIJS9_S6_EEENSD_IJSA_SA_EEENS0_18inequality_wrapperIZN2at6native12_GLOBAL__N_124unique_dim_cuda_templateIN3c104HalfEEESt5tupleIJNSH_6TensorESO_SO_EERKSO_lbbbEUlllE0_EEPmJS6_EEE10hipError_tPvRmT3_T4_T5_T6_T7_T9_mT8_P12ihipStream_tbDpT10_ENKUlT_T0_E_clISt17integral_constantIbLb1EES1D_IbLb0EEEEDaS19_S1A_EUlS19_E_NS1_11comp_targetILNS1_3genE0ELNS1_11target_archE4294967295ELNS1_3gpuE0ELNS1_3repE0EEENS1_30default_config_static_selectorELNS0_4arch9wavefront6targetE0EEEvT1_
	.p2align	8
	.type	_ZN7rocprim17ROCPRIM_400000_NS6detail17trampoline_kernelINS0_14default_configENS1_25partition_config_selectorILNS1_17partition_subalgoE8ElNS0_10empty_typeEbEEZZNS1_14partition_implILS5_8ELb0ES3_jPlPS6_PKS6_NS0_5tupleIJS9_S6_EEENSD_IJSA_SA_EEENS0_18inequality_wrapperIZN2at6native12_GLOBAL__N_124unique_dim_cuda_templateIN3c104HalfEEESt5tupleIJNSH_6TensorESO_SO_EERKSO_lbbbEUlllE0_EEPmJS6_EEE10hipError_tPvRmT3_T4_T5_T6_T7_T9_mT8_P12ihipStream_tbDpT10_ENKUlT_T0_E_clISt17integral_constantIbLb1EES1D_IbLb0EEEEDaS19_S1A_EUlS19_E_NS1_11comp_targetILNS1_3genE0ELNS1_11target_archE4294967295ELNS1_3gpuE0ELNS1_3repE0EEENS1_30default_config_static_selectorELNS0_4arch9wavefront6targetE0EEEvT1_,@function
_ZN7rocprim17ROCPRIM_400000_NS6detail17trampoline_kernelINS0_14default_configENS1_25partition_config_selectorILNS1_17partition_subalgoE8ElNS0_10empty_typeEbEEZZNS1_14partition_implILS5_8ELb0ES3_jPlPS6_PKS6_NS0_5tupleIJS9_S6_EEENSD_IJSA_SA_EEENS0_18inequality_wrapperIZN2at6native12_GLOBAL__N_124unique_dim_cuda_templateIN3c104HalfEEESt5tupleIJNSH_6TensorESO_SO_EERKSO_lbbbEUlllE0_EEPmJS6_EEE10hipError_tPvRmT3_T4_T5_T6_T7_T9_mT8_P12ihipStream_tbDpT10_ENKUlT_T0_E_clISt17integral_constantIbLb1EES1D_IbLb0EEEEDaS19_S1A_EUlS19_E_NS1_11comp_targetILNS1_3genE0ELNS1_11target_archE4294967295ELNS1_3gpuE0ELNS1_3repE0EEENS1_30default_config_static_selectorELNS0_4arch9wavefront6targetE0EEEvT1_: ; @_ZN7rocprim17ROCPRIM_400000_NS6detail17trampoline_kernelINS0_14default_configENS1_25partition_config_selectorILNS1_17partition_subalgoE8ElNS0_10empty_typeEbEEZZNS1_14partition_implILS5_8ELb0ES3_jPlPS6_PKS6_NS0_5tupleIJS9_S6_EEENSD_IJSA_SA_EEENS0_18inequality_wrapperIZN2at6native12_GLOBAL__N_124unique_dim_cuda_templateIN3c104HalfEEESt5tupleIJNSH_6TensorESO_SO_EERKSO_lbbbEUlllE0_EEPmJS6_EEE10hipError_tPvRmT3_T4_T5_T6_T7_T9_mT8_P12ihipStream_tbDpT10_ENKUlT_T0_E_clISt17integral_constantIbLb1EES1D_IbLb0EEEEDaS19_S1A_EUlS19_E_NS1_11comp_targetILNS1_3genE0ELNS1_11target_archE4294967295ELNS1_3gpuE0ELNS1_3repE0EEENS1_30default_config_static_selectorELNS0_4arch9wavefront6targetE0EEEvT1_
; %bb.0:
	.section	.rodata,"a",@progbits
	.p2align	6, 0x0
	.amdhsa_kernel _ZN7rocprim17ROCPRIM_400000_NS6detail17trampoline_kernelINS0_14default_configENS1_25partition_config_selectorILNS1_17partition_subalgoE8ElNS0_10empty_typeEbEEZZNS1_14partition_implILS5_8ELb0ES3_jPlPS6_PKS6_NS0_5tupleIJS9_S6_EEENSD_IJSA_SA_EEENS0_18inequality_wrapperIZN2at6native12_GLOBAL__N_124unique_dim_cuda_templateIN3c104HalfEEESt5tupleIJNSH_6TensorESO_SO_EERKSO_lbbbEUlllE0_EEPmJS6_EEE10hipError_tPvRmT3_T4_T5_T6_T7_T9_mT8_P12ihipStream_tbDpT10_ENKUlT_T0_E_clISt17integral_constantIbLb1EES1D_IbLb0EEEEDaS19_S1A_EUlS19_E_NS1_11comp_targetILNS1_3genE0ELNS1_11target_archE4294967295ELNS1_3gpuE0ELNS1_3repE0EEENS1_30default_config_static_selectorELNS0_4arch9wavefront6targetE0EEEvT1_
		.amdhsa_group_segment_fixed_size 0
		.amdhsa_private_segment_fixed_size 0
		.amdhsa_kernarg_size 120
		.amdhsa_user_sgpr_count 15
		.amdhsa_user_sgpr_dispatch_ptr 0
		.amdhsa_user_sgpr_queue_ptr 0
		.amdhsa_user_sgpr_kernarg_segment_ptr 1
		.amdhsa_user_sgpr_dispatch_id 0
		.amdhsa_user_sgpr_private_segment_size 0
		.amdhsa_wavefront_size32 1
		.amdhsa_uses_dynamic_stack 0
		.amdhsa_enable_private_segment 0
		.amdhsa_system_sgpr_workgroup_id_x 1
		.amdhsa_system_sgpr_workgroup_id_y 0
		.amdhsa_system_sgpr_workgroup_id_z 0
		.amdhsa_system_sgpr_workgroup_info 0
		.amdhsa_system_vgpr_workitem_id 0
		.amdhsa_next_free_vgpr 1
		.amdhsa_next_free_sgpr 1
		.amdhsa_reserve_vcc 0
		.amdhsa_float_round_mode_32 0
		.amdhsa_float_round_mode_16_64 0
		.amdhsa_float_denorm_mode_32 3
		.amdhsa_float_denorm_mode_16_64 3
		.amdhsa_dx10_clamp 1
		.amdhsa_ieee_mode 1
		.amdhsa_fp16_overflow 0
		.amdhsa_workgroup_processor_mode 1
		.amdhsa_memory_ordered 1
		.amdhsa_forward_progress 0
		.amdhsa_shared_vgpr_count 0
		.amdhsa_exception_fp_ieee_invalid_op 0
		.amdhsa_exception_fp_denorm_src 0
		.amdhsa_exception_fp_ieee_div_zero 0
		.amdhsa_exception_fp_ieee_overflow 0
		.amdhsa_exception_fp_ieee_underflow 0
		.amdhsa_exception_fp_ieee_inexact 0
		.amdhsa_exception_int_div_zero 0
	.end_amdhsa_kernel
	.section	.text._ZN7rocprim17ROCPRIM_400000_NS6detail17trampoline_kernelINS0_14default_configENS1_25partition_config_selectorILNS1_17partition_subalgoE8ElNS0_10empty_typeEbEEZZNS1_14partition_implILS5_8ELb0ES3_jPlPS6_PKS6_NS0_5tupleIJS9_S6_EEENSD_IJSA_SA_EEENS0_18inequality_wrapperIZN2at6native12_GLOBAL__N_124unique_dim_cuda_templateIN3c104HalfEEESt5tupleIJNSH_6TensorESO_SO_EERKSO_lbbbEUlllE0_EEPmJS6_EEE10hipError_tPvRmT3_T4_T5_T6_T7_T9_mT8_P12ihipStream_tbDpT10_ENKUlT_T0_E_clISt17integral_constantIbLb1EES1D_IbLb0EEEEDaS19_S1A_EUlS19_E_NS1_11comp_targetILNS1_3genE0ELNS1_11target_archE4294967295ELNS1_3gpuE0ELNS1_3repE0EEENS1_30default_config_static_selectorELNS0_4arch9wavefront6targetE0EEEvT1_,"axG",@progbits,_ZN7rocprim17ROCPRIM_400000_NS6detail17trampoline_kernelINS0_14default_configENS1_25partition_config_selectorILNS1_17partition_subalgoE8ElNS0_10empty_typeEbEEZZNS1_14partition_implILS5_8ELb0ES3_jPlPS6_PKS6_NS0_5tupleIJS9_S6_EEENSD_IJSA_SA_EEENS0_18inequality_wrapperIZN2at6native12_GLOBAL__N_124unique_dim_cuda_templateIN3c104HalfEEESt5tupleIJNSH_6TensorESO_SO_EERKSO_lbbbEUlllE0_EEPmJS6_EEE10hipError_tPvRmT3_T4_T5_T6_T7_T9_mT8_P12ihipStream_tbDpT10_ENKUlT_T0_E_clISt17integral_constantIbLb1EES1D_IbLb0EEEEDaS19_S1A_EUlS19_E_NS1_11comp_targetILNS1_3genE0ELNS1_11target_archE4294967295ELNS1_3gpuE0ELNS1_3repE0EEENS1_30default_config_static_selectorELNS0_4arch9wavefront6targetE0EEEvT1_,comdat
.Lfunc_end1311:
	.size	_ZN7rocprim17ROCPRIM_400000_NS6detail17trampoline_kernelINS0_14default_configENS1_25partition_config_selectorILNS1_17partition_subalgoE8ElNS0_10empty_typeEbEEZZNS1_14partition_implILS5_8ELb0ES3_jPlPS6_PKS6_NS0_5tupleIJS9_S6_EEENSD_IJSA_SA_EEENS0_18inequality_wrapperIZN2at6native12_GLOBAL__N_124unique_dim_cuda_templateIN3c104HalfEEESt5tupleIJNSH_6TensorESO_SO_EERKSO_lbbbEUlllE0_EEPmJS6_EEE10hipError_tPvRmT3_T4_T5_T6_T7_T9_mT8_P12ihipStream_tbDpT10_ENKUlT_T0_E_clISt17integral_constantIbLb1EES1D_IbLb0EEEEDaS19_S1A_EUlS19_E_NS1_11comp_targetILNS1_3genE0ELNS1_11target_archE4294967295ELNS1_3gpuE0ELNS1_3repE0EEENS1_30default_config_static_selectorELNS0_4arch9wavefront6targetE0EEEvT1_, .Lfunc_end1311-_ZN7rocprim17ROCPRIM_400000_NS6detail17trampoline_kernelINS0_14default_configENS1_25partition_config_selectorILNS1_17partition_subalgoE8ElNS0_10empty_typeEbEEZZNS1_14partition_implILS5_8ELb0ES3_jPlPS6_PKS6_NS0_5tupleIJS9_S6_EEENSD_IJSA_SA_EEENS0_18inequality_wrapperIZN2at6native12_GLOBAL__N_124unique_dim_cuda_templateIN3c104HalfEEESt5tupleIJNSH_6TensorESO_SO_EERKSO_lbbbEUlllE0_EEPmJS6_EEE10hipError_tPvRmT3_T4_T5_T6_T7_T9_mT8_P12ihipStream_tbDpT10_ENKUlT_T0_E_clISt17integral_constantIbLb1EES1D_IbLb0EEEEDaS19_S1A_EUlS19_E_NS1_11comp_targetILNS1_3genE0ELNS1_11target_archE4294967295ELNS1_3gpuE0ELNS1_3repE0EEENS1_30default_config_static_selectorELNS0_4arch9wavefront6targetE0EEEvT1_
                                        ; -- End function
	.section	.AMDGPU.csdata,"",@progbits
; Kernel info:
; codeLenInByte = 0
; NumSgprs: 0
; NumVgprs: 0
; ScratchSize: 0
; MemoryBound: 0
; FloatMode: 240
; IeeeMode: 1
; LDSByteSize: 0 bytes/workgroup (compile time only)
; SGPRBlocks: 0
; VGPRBlocks: 0
; NumSGPRsForWavesPerEU: 1
; NumVGPRsForWavesPerEU: 1
; Occupancy: 16
; WaveLimiterHint : 0
; COMPUTE_PGM_RSRC2:SCRATCH_EN: 0
; COMPUTE_PGM_RSRC2:USER_SGPR: 15
; COMPUTE_PGM_RSRC2:TRAP_HANDLER: 0
; COMPUTE_PGM_RSRC2:TGID_X_EN: 1
; COMPUTE_PGM_RSRC2:TGID_Y_EN: 0
; COMPUTE_PGM_RSRC2:TGID_Z_EN: 0
; COMPUTE_PGM_RSRC2:TIDIG_COMP_CNT: 0
	.section	.text._ZN7rocprim17ROCPRIM_400000_NS6detail17trampoline_kernelINS0_14default_configENS1_25partition_config_selectorILNS1_17partition_subalgoE8ElNS0_10empty_typeEbEEZZNS1_14partition_implILS5_8ELb0ES3_jPlPS6_PKS6_NS0_5tupleIJS9_S6_EEENSD_IJSA_SA_EEENS0_18inequality_wrapperIZN2at6native12_GLOBAL__N_124unique_dim_cuda_templateIN3c104HalfEEESt5tupleIJNSH_6TensorESO_SO_EERKSO_lbbbEUlllE0_EEPmJS6_EEE10hipError_tPvRmT3_T4_T5_T6_T7_T9_mT8_P12ihipStream_tbDpT10_ENKUlT_T0_E_clISt17integral_constantIbLb1EES1D_IbLb0EEEEDaS19_S1A_EUlS19_E_NS1_11comp_targetILNS1_3genE5ELNS1_11target_archE942ELNS1_3gpuE9ELNS1_3repE0EEENS1_30default_config_static_selectorELNS0_4arch9wavefront6targetE0EEEvT1_,"axG",@progbits,_ZN7rocprim17ROCPRIM_400000_NS6detail17trampoline_kernelINS0_14default_configENS1_25partition_config_selectorILNS1_17partition_subalgoE8ElNS0_10empty_typeEbEEZZNS1_14partition_implILS5_8ELb0ES3_jPlPS6_PKS6_NS0_5tupleIJS9_S6_EEENSD_IJSA_SA_EEENS0_18inequality_wrapperIZN2at6native12_GLOBAL__N_124unique_dim_cuda_templateIN3c104HalfEEESt5tupleIJNSH_6TensorESO_SO_EERKSO_lbbbEUlllE0_EEPmJS6_EEE10hipError_tPvRmT3_T4_T5_T6_T7_T9_mT8_P12ihipStream_tbDpT10_ENKUlT_T0_E_clISt17integral_constantIbLb1EES1D_IbLb0EEEEDaS19_S1A_EUlS19_E_NS1_11comp_targetILNS1_3genE5ELNS1_11target_archE942ELNS1_3gpuE9ELNS1_3repE0EEENS1_30default_config_static_selectorELNS0_4arch9wavefront6targetE0EEEvT1_,comdat
	.globl	_ZN7rocprim17ROCPRIM_400000_NS6detail17trampoline_kernelINS0_14default_configENS1_25partition_config_selectorILNS1_17partition_subalgoE8ElNS0_10empty_typeEbEEZZNS1_14partition_implILS5_8ELb0ES3_jPlPS6_PKS6_NS0_5tupleIJS9_S6_EEENSD_IJSA_SA_EEENS0_18inequality_wrapperIZN2at6native12_GLOBAL__N_124unique_dim_cuda_templateIN3c104HalfEEESt5tupleIJNSH_6TensorESO_SO_EERKSO_lbbbEUlllE0_EEPmJS6_EEE10hipError_tPvRmT3_T4_T5_T6_T7_T9_mT8_P12ihipStream_tbDpT10_ENKUlT_T0_E_clISt17integral_constantIbLb1EES1D_IbLb0EEEEDaS19_S1A_EUlS19_E_NS1_11comp_targetILNS1_3genE5ELNS1_11target_archE942ELNS1_3gpuE9ELNS1_3repE0EEENS1_30default_config_static_selectorELNS0_4arch9wavefront6targetE0EEEvT1_ ; -- Begin function _ZN7rocprim17ROCPRIM_400000_NS6detail17trampoline_kernelINS0_14default_configENS1_25partition_config_selectorILNS1_17partition_subalgoE8ElNS0_10empty_typeEbEEZZNS1_14partition_implILS5_8ELb0ES3_jPlPS6_PKS6_NS0_5tupleIJS9_S6_EEENSD_IJSA_SA_EEENS0_18inequality_wrapperIZN2at6native12_GLOBAL__N_124unique_dim_cuda_templateIN3c104HalfEEESt5tupleIJNSH_6TensorESO_SO_EERKSO_lbbbEUlllE0_EEPmJS6_EEE10hipError_tPvRmT3_T4_T5_T6_T7_T9_mT8_P12ihipStream_tbDpT10_ENKUlT_T0_E_clISt17integral_constantIbLb1EES1D_IbLb0EEEEDaS19_S1A_EUlS19_E_NS1_11comp_targetILNS1_3genE5ELNS1_11target_archE942ELNS1_3gpuE9ELNS1_3repE0EEENS1_30default_config_static_selectorELNS0_4arch9wavefront6targetE0EEEvT1_
	.p2align	8
	.type	_ZN7rocprim17ROCPRIM_400000_NS6detail17trampoline_kernelINS0_14default_configENS1_25partition_config_selectorILNS1_17partition_subalgoE8ElNS0_10empty_typeEbEEZZNS1_14partition_implILS5_8ELb0ES3_jPlPS6_PKS6_NS0_5tupleIJS9_S6_EEENSD_IJSA_SA_EEENS0_18inequality_wrapperIZN2at6native12_GLOBAL__N_124unique_dim_cuda_templateIN3c104HalfEEESt5tupleIJNSH_6TensorESO_SO_EERKSO_lbbbEUlllE0_EEPmJS6_EEE10hipError_tPvRmT3_T4_T5_T6_T7_T9_mT8_P12ihipStream_tbDpT10_ENKUlT_T0_E_clISt17integral_constantIbLb1EES1D_IbLb0EEEEDaS19_S1A_EUlS19_E_NS1_11comp_targetILNS1_3genE5ELNS1_11target_archE942ELNS1_3gpuE9ELNS1_3repE0EEENS1_30default_config_static_selectorELNS0_4arch9wavefront6targetE0EEEvT1_,@function
_ZN7rocprim17ROCPRIM_400000_NS6detail17trampoline_kernelINS0_14default_configENS1_25partition_config_selectorILNS1_17partition_subalgoE8ElNS0_10empty_typeEbEEZZNS1_14partition_implILS5_8ELb0ES3_jPlPS6_PKS6_NS0_5tupleIJS9_S6_EEENSD_IJSA_SA_EEENS0_18inequality_wrapperIZN2at6native12_GLOBAL__N_124unique_dim_cuda_templateIN3c104HalfEEESt5tupleIJNSH_6TensorESO_SO_EERKSO_lbbbEUlllE0_EEPmJS6_EEE10hipError_tPvRmT3_T4_T5_T6_T7_T9_mT8_P12ihipStream_tbDpT10_ENKUlT_T0_E_clISt17integral_constantIbLb1EES1D_IbLb0EEEEDaS19_S1A_EUlS19_E_NS1_11comp_targetILNS1_3genE5ELNS1_11target_archE942ELNS1_3gpuE9ELNS1_3repE0EEENS1_30default_config_static_selectorELNS0_4arch9wavefront6targetE0EEEvT1_: ; @_ZN7rocprim17ROCPRIM_400000_NS6detail17trampoline_kernelINS0_14default_configENS1_25partition_config_selectorILNS1_17partition_subalgoE8ElNS0_10empty_typeEbEEZZNS1_14partition_implILS5_8ELb0ES3_jPlPS6_PKS6_NS0_5tupleIJS9_S6_EEENSD_IJSA_SA_EEENS0_18inequality_wrapperIZN2at6native12_GLOBAL__N_124unique_dim_cuda_templateIN3c104HalfEEESt5tupleIJNSH_6TensorESO_SO_EERKSO_lbbbEUlllE0_EEPmJS6_EEE10hipError_tPvRmT3_T4_T5_T6_T7_T9_mT8_P12ihipStream_tbDpT10_ENKUlT_T0_E_clISt17integral_constantIbLb1EES1D_IbLb0EEEEDaS19_S1A_EUlS19_E_NS1_11comp_targetILNS1_3genE5ELNS1_11target_archE942ELNS1_3gpuE9ELNS1_3repE0EEENS1_30default_config_static_selectorELNS0_4arch9wavefront6targetE0EEEvT1_
; %bb.0:
	.section	.rodata,"a",@progbits
	.p2align	6, 0x0
	.amdhsa_kernel _ZN7rocprim17ROCPRIM_400000_NS6detail17trampoline_kernelINS0_14default_configENS1_25partition_config_selectorILNS1_17partition_subalgoE8ElNS0_10empty_typeEbEEZZNS1_14partition_implILS5_8ELb0ES3_jPlPS6_PKS6_NS0_5tupleIJS9_S6_EEENSD_IJSA_SA_EEENS0_18inequality_wrapperIZN2at6native12_GLOBAL__N_124unique_dim_cuda_templateIN3c104HalfEEESt5tupleIJNSH_6TensorESO_SO_EERKSO_lbbbEUlllE0_EEPmJS6_EEE10hipError_tPvRmT3_T4_T5_T6_T7_T9_mT8_P12ihipStream_tbDpT10_ENKUlT_T0_E_clISt17integral_constantIbLb1EES1D_IbLb0EEEEDaS19_S1A_EUlS19_E_NS1_11comp_targetILNS1_3genE5ELNS1_11target_archE942ELNS1_3gpuE9ELNS1_3repE0EEENS1_30default_config_static_selectorELNS0_4arch9wavefront6targetE0EEEvT1_
		.amdhsa_group_segment_fixed_size 0
		.amdhsa_private_segment_fixed_size 0
		.amdhsa_kernarg_size 120
		.amdhsa_user_sgpr_count 15
		.amdhsa_user_sgpr_dispatch_ptr 0
		.amdhsa_user_sgpr_queue_ptr 0
		.amdhsa_user_sgpr_kernarg_segment_ptr 1
		.amdhsa_user_sgpr_dispatch_id 0
		.amdhsa_user_sgpr_private_segment_size 0
		.amdhsa_wavefront_size32 1
		.amdhsa_uses_dynamic_stack 0
		.amdhsa_enable_private_segment 0
		.amdhsa_system_sgpr_workgroup_id_x 1
		.amdhsa_system_sgpr_workgroup_id_y 0
		.amdhsa_system_sgpr_workgroup_id_z 0
		.amdhsa_system_sgpr_workgroup_info 0
		.amdhsa_system_vgpr_workitem_id 0
		.amdhsa_next_free_vgpr 1
		.amdhsa_next_free_sgpr 1
		.amdhsa_reserve_vcc 0
		.amdhsa_float_round_mode_32 0
		.amdhsa_float_round_mode_16_64 0
		.amdhsa_float_denorm_mode_32 3
		.amdhsa_float_denorm_mode_16_64 3
		.amdhsa_dx10_clamp 1
		.amdhsa_ieee_mode 1
		.amdhsa_fp16_overflow 0
		.amdhsa_workgroup_processor_mode 1
		.amdhsa_memory_ordered 1
		.amdhsa_forward_progress 0
		.amdhsa_shared_vgpr_count 0
		.amdhsa_exception_fp_ieee_invalid_op 0
		.amdhsa_exception_fp_denorm_src 0
		.amdhsa_exception_fp_ieee_div_zero 0
		.amdhsa_exception_fp_ieee_overflow 0
		.amdhsa_exception_fp_ieee_underflow 0
		.amdhsa_exception_fp_ieee_inexact 0
		.amdhsa_exception_int_div_zero 0
	.end_amdhsa_kernel
	.section	.text._ZN7rocprim17ROCPRIM_400000_NS6detail17trampoline_kernelINS0_14default_configENS1_25partition_config_selectorILNS1_17partition_subalgoE8ElNS0_10empty_typeEbEEZZNS1_14partition_implILS5_8ELb0ES3_jPlPS6_PKS6_NS0_5tupleIJS9_S6_EEENSD_IJSA_SA_EEENS0_18inequality_wrapperIZN2at6native12_GLOBAL__N_124unique_dim_cuda_templateIN3c104HalfEEESt5tupleIJNSH_6TensorESO_SO_EERKSO_lbbbEUlllE0_EEPmJS6_EEE10hipError_tPvRmT3_T4_T5_T6_T7_T9_mT8_P12ihipStream_tbDpT10_ENKUlT_T0_E_clISt17integral_constantIbLb1EES1D_IbLb0EEEEDaS19_S1A_EUlS19_E_NS1_11comp_targetILNS1_3genE5ELNS1_11target_archE942ELNS1_3gpuE9ELNS1_3repE0EEENS1_30default_config_static_selectorELNS0_4arch9wavefront6targetE0EEEvT1_,"axG",@progbits,_ZN7rocprim17ROCPRIM_400000_NS6detail17trampoline_kernelINS0_14default_configENS1_25partition_config_selectorILNS1_17partition_subalgoE8ElNS0_10empty_typeEbEEZZNS1_14partition_implILS5_8ELb0ES3_jPlPS6_PKS6_NS0_5tupleIJS9_S6_EEENSD_IJSA_SA_EEENS0_18inequality_wrapperIZN2at6native12_GLOBAL__N_124unique_dim_cuda_templateIN3c104HalfEEESt5tupleIJNSH_6TensorESO_SO_EERKSO_lbbbEUlllE0_EEPmJS6_EEE10hipError_tPvRmT3_T4_T5_T6_T7_T9_mT8_P12ihipStream_tbDpT10_ENKUlT_T0_E_clISt17integral_constantIbLb1EES1D_IbLb0EEEEDaS19_S1A_EUlS19_E_NS1_11comp_targetILNS1_3genE5ELNS1_11target_archE942ELNS1_3gpuE9ELNS1_3repE0EEENS1_30default_config_static_selectorELNS0_4arch9wavefront6targetE0EEEvT1_,comdat
.Lfunc_end1312:
	.size	_ZN7rocprim17ROCPRIM_400000_NS6detail17trampoline_kernelINS0_14default_configENS1_25partition_config_selectorILNS1_17partition_subalgoE8ElNS0_10empty_typeEbEEZZNS1_14partition_implILS5_8ELb0ES3_jPlPS6_PKS6_NS0_5tupleIJS9_S6_EEENSD_IJSA_SA_EEENS0_18inequality_wrapperIZN2at6native12_GLOBAL__N_124unique_dim_cuda_templateIN3c104HalfEEESt5tupleIJNSH_6TensorESO_SO_EERKSO_lbbbEUlllE0_EEPmJS6_EEE10hipError_tPvRmT3_T4_T5_T6_T7_T9_mT8_P12ihipStream_tbDpT10_ENKUlT_T0_E_clISt17integral_constantIbLb1EES1D_IbLb0EEEEDaS19_S1A_EUlS19_E_NS1_11comp_targetILNS1_3genE5ELNS1_11target_archE942ELNS1_3gpuE9ELNS1_3repE0EEENS1_30default_config_static_selectorELNS0_4arch9wavefront6targetE0EEEvT1_, .Lfunc_end1312-_ZN7rocprim17ROCPRIM_400000_NS6detail17trampoline_kernelINS0_14default_configENS1_25partition_config_selectorILNS1_17partition_subalgoE8ElNS0_10empty_typeEbEEZZNS1_14partition_implILS5_8ELb0ES3_jPlPS6_PKS6_NS0_5tupleIJS9_S6_EEENSD_IJSA_SA_EEENS0_18inequality_wrapperIZN2at6native12_GLOBAL__N_124unique_dim_cuda_templateIN3c104HalfEEESt5tupleIJNSH_6TensorESO_SO_EERKSO_lbbbEUlllE0_EEPmJS6_EEE10hipError_tPvRmT3_T4_T5_T6_T7_T9_mT8_P12ihipStream_tbDpT10_ENKUlT_T0_E_clISt17integral_constantIbLb1EES1D_IbLb0EEEEDaS19_S1A_EUlS19_E_NS1_11comp_targetILNS1_3genE5ELNS1_11target_archE942ELNS1_3gpuE9ELNS1_3repE0EEENS1_30default_config_static_selectorELNS0_4arch9wavefront6targetE0EEEvT1_
                                        ; -- End function
	.section	.AMDGPU.csdata,"",@progbits
; Kernel info:
; codeLenInByte = 0
; NumSgprs: 0
; NumVgprs: 0
; ScratchSize: 0
; MemoryBound: 0
; FloatMode: 240
; IeeeMode: 1
; LDSByteSize: 0 bytes/workgroup (compile time only)
; SGPRBlocks: 0
; VGPRBlocks: 0
; NumSGPRsForWavesPerEU: 1
; NumVGPRsForWavesPerEU: 1
; Occupancy: 16
; WaveLimiterHint : 0
; COMPUTE_PGM_RSRC2:SCRATCH_EN: 0
; COMPUTE_PGM_RSRC2:USER_SGPR: 15
; COMPUTE_PGM_RSRC2:TRAP_HANDLER: 0
; COMPUTE_PGM_RSRC2:TGID_X_EN: 1
; COMPUTE_PGM_RSRC2:TGID_Y_EN: 0
; COMPUTE_PGM_RSRC2:TGID_Z_EN: 0
; COMPUTE_PGM_RSRC2:TIDIG_COMP_CNT: 0
	.section	.text._ZN7rocprim17ROCPRIM_400000_NS6detail17trampoline_kernelINS0_14default_configENS1_25partition_config_selectorILNS1_17partition_subalgoE8ElNS0_10empty_typeEbEEZZNS1_14partition_implILS5_8ELb0ES3_jPlPS6_PKS6_NS0_5tupleIJS9_S6_EEENSD_IJSA_SA_EEENS0_18inequality_wrapperIZN2at6native12_GLOBAL__N_124unique_dim_cuda_templateIN3c104HalfEEESt5tupleIJNSH_6TensorESO_SO_EERKSO_lbbbEUlllE0_EEPmJS6_EEE10hipError_tPvRmT3_T4_T5_T6_T7_T9_mT8_P12ihipStream_tbDpT10_ENKUlT_T0_E_clISt17integral_constantIbLb1EES1D_IbLb0EEEEDaS19_S1A_EUlS19_E_NS1_11comp_targetILNS1_3genE4ELNS1_11target_archE910ELNS1_3gpuE8ELNS1_3repE0EEENS1_30default_config_static_selectorELNS0_4arch9wavefront6targetE0EEEvT1_,"axG",@progbits,_ZN7rocprim17ROCPRIM_400000_NS6detail17trampoline_kernelINS0_14default_configENS1_25partition_config_selectorILNS1_17partition_subalgoE8ElNS0_10empty_typeEbEEZZNS1_14partition_implILS5_8ELb0ES3_jPlPS6_PKS6_NS0_5tupleIJS9_S6_EEENSD_IJSA_SA_EEENS0_18inequality_wrapperIZN2at6native12_GLOBAL__N_124unique_dim_cuda_templateIN3c104HalfEEESt5tupleIJNSH_6TensorESO_SO_EERKSO_lbbbEUlllE0_EEPmJS6_EEE10hipError_tPvRmT3_T4_T5_T6_T7_T9_mT8_P12ihipStream_tbDpT10_ENKUlT_T0_E_clISt17integral_constantIbLb1EES1D_IbLb0EEEEDaS19_S1A_EUlS19_E_NS1_11comp_targetILNS1_3genE4ELNS1_11target_archE910ELNS1_3gpuE8ELNS1_3repE0EEENS1_30default_config_static_selectorELNS0_4arch9wavefront6targetE0EEEvT1_,comdat
	.globl	_ZN7rocprim17ROCPRIM_400000_NS6detail17trampoline_kernelINS0_14default_configENS1_25partition_config_selectorILNS1_17partition_subalgoE8ElNS0_10empty_typeEbEEZZNS1_14partition_implILS5_8ELb0ES3_jPlPS6_PKS6_NS0_5tupleIJS9_S6_EEENSD_IJSA_SA_EEENS0_18inequality_wrapperIZN2at6native12_GLOBAL__N_124unique_dim_cuda_templateIN3c104HalfEEESt5tupleIJNSH_6TensorESO_SO_EERKSO_lbbbEUlllE0_EEPmJS6_EEE10hipError_tPvRmT3_T4_T5_T6_T7_T9_mT8_P12ihipStream_tbDpT10_ENKUlT_T0_E_clISt17integral_constantIbLb1EES1D_IbLb0EEEEDaS19_S1A_EUlS19_E_NS1_11comp_targetILNS1_3genE4ELNS1_11target_archE910ELNS1_3gpuE8ELNS1_3repE0EEENS1_30default_config_static_selectorELNS0_4arch9wavefront6targetE0EEEvT1_ ; -- Begin function _ZN7rocprim17ROCPRIM_400000_NS6detail17trampoline_kernelINS0_14default_configENS1_25partition_config_selectorILNS1_17partition_subalgoE8ElNS0_10empty_typeEbEEZZNS1_14partition_implILS5_8ELb0ES3_jPlPS6_PKS6_NS0_5tupleIJS9_S6_EEENSD_IJSA_SA_EEENS0_18inequality_wrapperIZN2at6native12_GLOBAL__N_124unique_dim_cuda_templateIN3c104HalfEEESt5tupleIJNSH_6TensorESO_SO_EERKSO_lbbbEUlllE0_EEPmJS6_EEE10hipError_tPvRmT3_T4_T5_T6_T7_T9_mT8_P12ihipStream_tbDpT10_ENKUlT_T0_E_clISt17integral_constantIbLb1EES1D_IbLb0EEEEDaS19_S1A_EUlS19_E_NS1_11comp_targetILNS1_3genE4ELNS1_11target_archE910ELNS1_3gpuE8ELNS1_3repE0EEENS1_30default_config_static_selectorELNS0_4arch9wavefront6targetE0EEEvT1_
	.p2align	8
	.type	_ZN7rocprim17ROCPRIM_400000_NS6detail17trampoline_kernelINS0_14default_configENS1_25partition_config_selectorILNS1_17partition_subalgoE8ElNS0_10empty_typeEbEEZZNS1_14partition_implILS5_8ELb0ES3_jPlPS6_PKS6_NS0_5tupleIJS9_S6_EEENSD_IJSA_SA_EEENS0_18inequality_wrapperIZN2at6native12_GLOBAL__N_124unique_dim_cuda_templateIN3c104HalfEEESt5tupleIJNSH_6TensorESO_SO_EERKSO_lbbbEUlllE0_EEPmJS6_EEE10hipError_tPvRmT3_T4_T5_T6_T7_T9_mT8_P12ihipStream_tbDpT10_ENKUlT_T0_E_clISt17integral_constantIbLb1EES1D_IbLb0EEEEDaS19_S1A_EUlS19_E_NS1_11comp_targetILNS1_3genE4ELNS1_11target_archE910ELNS1_3gpuE8ELNS1_3repE0EEENS1_30default_config_static_selectorELNS0_4arch9wavefront6targetE0EEEvT1_,@function
_ZN7rocprim17ROCPRIM_400000_NS6detail17trampoline_kernelINS0_14default_configENS1_25partition_config_selectorILNS1_17partition_subalgoE8ElNS0_10empty_typeEbEEZZNS1_14partition_implILS5_8ELb0ES3_jPlPS6_PKS6_NS0_5tupleIJS9_S6_EEENSD_IJSA_SA_EEENS0_18inequality_wrapperIZN2at6native12_GLOBAL__N_124unique_dim_cuda_templateIN3c104HalfEEESt5tupleIJNSH_6TensorESO_SO_EERKSO_lbbbEUlllE0_EEPmJS6_EEE10hipError_tPvRmT3_T4_T5_T6_T7_T9_mT8_P12ihipStream_tbDpT10_ENKUlT_T0_E_clISt17integral_constantIbLb1EES1D_IbLb0EEEEDaS19_S1A_EUlS19_E_NS1_11comp_targetILNS1_3genE4ELNS1_11target_archE910ELNS1_3gpuE8ELNS1_3repE0EEENS1_30default_config_static_selectorELNS0_4arch9wavefront6targetE0EEEvT1_: ; @_ZN7rocprim17ROCPRIM_400000_NS6detail17trampoline_kernelINS0_14default_configENS1_25partition_config_selectorILNS1_17partition_subalgoE8ElNS0_10empty_typeEbEEZZNS1_14partition_implILS5_8ELb0ES3_jPlPS6_PKS6_NS0_5tupleIJS9_S6_EEENSD_IJSA_SA_EEENS0_18inequality_wrapperIZN2at6native12_GLOBAL__N_124unique_dim_cuda_templateIN3c104HalfEEESt5tupleIJNSH_6TensorESO_SO_EERKSO_lbbbEUlllE0_EEPmJS6_EEE10hipError_tPvRmT3_T4_T5_T6_T7_T9_mT8_P12ihipStream_tbDpT10_ENKUlT_T0_E_clISt17integral_constantIbLb1EES1D_IbLb0EEEEDaS19_S1A_EUlS19_E_NS1_11comp_targetILNS1_3genE4ELNS1_11target_archE910ELNS1_3gpuE8ELNS1_3repE0EEENS1_30default_config_static_selectorELNS0_4arch9wavefront6targetE0EEEvT1_
; %bb.0:
	.section	.rodata,"a",@progbits
	.p2align	6, 0x0
	.amdhsa_kernel _ZN7rocprim17ROCPRIM_400000_NS6detail17trampoline_kernelINS0_14default_configENS1_25partition_config_selectorILNS1_17partition_subalgoE8ElNS0_10empty_typeEbEEZZNS1_14partition_implILS5_8ELb0ES3_jPlPS6_PKS6_NS0_5tupleIJS9_S6_EEENSD_IJSA_SA_EEENS0_18inequality_wrapperIZN2at6native12_GLOBAL__N_124unique_dim_cuda_templateIN3c104HalfEEESt5tupleIJNSH_6TensorESO_SO_EERKSO_lbbbEUlllE0_EEPmJS6_EEE10hipError_tPvRmT3_T4_T5_T6_T7_T9_mT8_P12ihipStream_tbDpT10_ENKUlT_T0_E_clISt17integral_constantIbLb1EES1D_IbLb0EEEEDaS19_S1A_EUlS19_E_NS1_11comp_targetILNS1_3genE4ELNS1_11target_archE910ELNS1_3gpuE8ELNS1_3repE0EEENS1_30default_config_static_selectorELNS0_4arch9wavefront6targetE0EEEvT1_
		.amdhsa_group_segment_fixed_size 0
		.amdhsa_private_segment_fixed_size 0
		.amdhsa_kernarg_size 120
		.amdhsa_user_sgpr_count 15
		.amdhsa_user_sgpr_dispatch_ptr 0
		.amdhsa_user_sgpr_queue_ptr 0
		.amdhsa_user_sgpr_kernarg_segment_ptr 1
		.amdhsa_user_sgpr_dispatch_id 0
		.amdhsa_user_sgpr_private_segment_size 0
		.amdhsa_wavefront_size32 1
		.amdhsa_uses_dynamic_stack 0
		.amdhsa_enable_private_segment 0
		.amdhsa_system_sgpr_workgroup_id_x 1
		.amdhsa_system_sgpr_workgroup_id_y 0
		.amdhsa_system_sgpr_workgroup_id_z 0
		.amdhsa_system_sgpr_workgroup_info 0
		.amdhsa_system_vgpr_workitem_id 0
		.amdhsa_next_free_vgpr 1
		.amdhsa_next_free_sgpr 1
		.amdhsa_reserve_vcc 0
		.amdhsa_float_round_mode_32 0
		.amdhsa_float_round_mode_16_64 0
		.amdhsa_float_denorm_mode_32 3
		.amdhsa_float_denorm_mode_16_64 3
		.amdhsa_dx10_clamp 1
		.amdhsa_ieee_mode 1
		.amdhsa_fp16_overflow 0
		.amdhsa_workgroup_processor_mode 1
		.amdhsa_memory_ordered 1
		.amdhsa_forward_progress 0
		.amdhsa_shared_vgpr_count 0
		.amdhsa_exception_fp_ieee_invalid_op 0
		.amdhsa_exception_fp_denorm_src 0
		.amdhsa_exception_fp_ieee_div_zero 0
		.amdhsa_exception_fp_ieee_overflow 0
		.amdhsa_exception_fp_ieee_underflow 0
		.amdhsa_exception_fp_ieee_inexact 0
		.amdhsa_exception_int_div_zero 0
	.end_amdhsa_kernel
	.section	.text._ZN7rocprim17ROCPRIM_400000_NS6detail17trampoline_kernelINS0_14default_configENS1_25partition_config_selectorILNS1_17partition_subalgoE8ElNS0_10empty_typeEbEEZZNS1_14partition_implILS5_8ELb0ES3_jPlPS6_PKS6_NS0_5tupleIJS9_S6_EEENSD_IJSA_SA_EEENS0_18inequality_wrapperIZN2at6native12_GLOBAL__N_124unique_dim_cuda_templateIN3c104HalfEEESt5tupleIJNSH_6TensorESO_SO_EERKSO_lbbbEUlllE0_EEPmJS6_EEE10hipError_tPvRmT3_T4_T5_T6_T7_T9_mT8_P12ihipStream_tbDpT10_ENKUlT_T0_E_clISt17integral_constantIbLb1EES1D_IbLb0EEEEDaS19_S1A_EUlS19_E_NS1_11comp_targetILNS1_3genE4ELNS1_11target_archE910ELNS1_3gpuE8ELNS1_3repE0EEENS1_30default_config_static_selectorELNS0_4arch9wavefront6targetE0EEEvT1_,"axG",@progbits,_ZN7rocprim17ROCPRIM_400000_NS6detail17trampoline_kernelINS0_14default_configENS1_25partition_config_selectorILNS1_17partition_subalgoE8ElNS0_10empty_typeEbEEZZNS1_14partition_implILS5_8ELb0ES3_jPlPS6_PKS6_NS0_5tupleIJS9_S6_EEENSD_IJSA_SA_EEENS0_18inequality_wrapperIZN2at6native12_GLOBAL__N_124unique_dim_cuda_templateIN3c104HalfEEESt5tupleIJNSH_6TensorESO_SO_EERKSO_lbbbEUlllE0_EEPmJS6_EEE10hipError_tPvRmT3_T4_T5_T6_T7_T9_mT8_P12ihipStream_tbDpT10_ENKUlT_T0_E_clISt17integral_constantIbLb1EES1D_IbLb0EEEEDaS19_S1A_EUlS19_E_NS1_11comp_targetILNS1_3genE4ELNS1_11target_archE910ELNS1_3gpuE8ELNS1_3repE0EEENS1_30default_config_static_selectorELNS0_4arch9wavefront6targetE0EEEvT1_,comdat
.Lfunc_end1313:
	.size	_ZN7rocprim17ROCPRIM_400000_NS6detail17trampoline_kernelINS0_14default_configENS1_25partition_config_selectorILNS1_17partition_subalgoE8ElNS0_10empty_typeEbEEZZNS1_14partition_implILS5_8ELb0ES3_jPlPS6_PKS6_NS0_5tupleIJS9_S6_EEENSD_IJSA_SA_EEENS0_18inequality_wrapperIZN2at6native12_GLOBAL__N_124unique_dim_cuda_templateIN3c104HalfEEESt5tupleIJNSH_6TensorESO_SO_EERKSO_lbbbEUlllE0_EEPmJS6_EEE10hipError_tPvRmT3_T4_T5_T6_T7_T9_mT8_P12ihipStream_tbDpT10_ENKUlT_T0_E_clISt17integral_constantIbLb1EES1D_IbLb0EEEEDaS19_S1A_EUlS19_E_NS1_11comp_targetILNS1_3genE4ELNS1_11target_archE910ELNS1_3gpuE8ELNS1_3repE0EEENS1_30default_config_static_selectorELNS0_4arch9wavefront6targetE0EEEvT1_, .Lfunc_end1313-_ZN7rocprim17ROCPRIM_400000_NS6detail17trampoline_kernelINS0_14default_configENS1_25partition_config_selectorILNS1_17partition_subalgoE8ElNS0_10empty_typeEbEEZZNS1_14partition_implILS5_8ELb0ES3_jPlPS6_PKS6_NS0_5tupleIJS9_S6_EEENSD_IJSA_SA_EEENS0_18inequality_wrapperIZN2at6native12_GLOBAL__N_124unique_dim_cuda_templateIN3c104HalfEEESt5tupleIJNSH_6TensorESO_SO_EERKSO_lbbbEUlllE0_EEPmJS6_EEE10hipError_tPvRmT3_T4_T5_T6_T7_T9_mT8_P12ihipStream_tbDpT10_ENKUlT_T0_E_clISt17integral_constantIbLb1EES1D_IbLb0EEEEDaS19_S1A_EUlS19_E_NS1_11comp_targetILNS1_3genE4ELNS1_11target_archE910ELNS1_3gpuE8ELNS1_3repE0EEENS1_30default_config_static_selectorELNS0_4arch9wavefront6targetE0EEEvT1_
                                        ; -- End function
	.section	.AMDGPU.csdata,"",@progbits
; Kernel info:
; codeLenInByte = 0
; NumSgprs: 0
; NumVgprs: 0
; ScratchSize: 0
; MemoryBound: 0
; FloatMode: 240
; IeeeMode: 1
; LDSByteSize: 0 bytes/workgroup (compile time only)
; SGPRBlocks: 0
; VGPRBlocks: 0
; NumSGPRsForWavesPerEU: 1
; NumVGPRsForWavesPerEU: 1
; Occupancy: 16
; WaveLimiterHint : 0
; COMPUTE_PGM_RSRC2:SCRATCH_EN: 0
; COMPUTE_PGM_RSRC2:USER_SGPR: 15
; COMPUTE_PGM_RSRC2:TRAP_HANDLER: 0
; COMPUTE_PGM_RSRC2:TGID_X_EN: 1
; COMPUTE_PGM_RSRC2:TGID_Y_EN: 0
; COMPUTE_PGM_RSRC2:TGID_Z_EN: 0
; COMPUTE_PGM_RSRC2:TIDIG_COMP_CNT: 0
	.section	.text._ZN7rocprim17ROCPRIM_400000_NS6detail17trampoline_kernelINS0_14default_configENS1_25partition_config_selectorILNS1_17partition_subalgoE8ElNS0_10empty_typeEbEEZZNS1_14partition_implILS5_8ELb0ES3_jPlPS6_PKS6_NS0_5tupleIJS9_S6_EEENSD_IJSA_SA_EEENS0_18inequality_wrapperIZN2at6native12_GLOBAL__N_124unique_dim_cuda_templateIN3c104HalfEEESt5tupleIJNSH_6TensorESO_SO_EERKSO_lbbbEUlllE0_EEPmJS6_EEE10hipError_tPvRmT3_T4_T5_T6_T7_T9_mT8_P12ihipStream_tbDpT10_ENKUlT_T0_E_clISt17integral_constantIbLb1EES1D_IbLb0EEEEDaS19_S1A_EUlS19_E_NS1_11comp_targetILNS1_3genE3ELNS1_11target_archE908ELNS1_3gpuE7ELNS1_3repE0EEENS1_30default_config_static_selectorELNS0_4arch9wavefront6targetE0EEEvT1_,"axG",@progbits,_ZN7rocprim17ROCPRIM_400000_NS6detail17trampoline_kernelINS0_14default_configENS1_25partition_config_selectorILNS1_17partition_subalgoE8ElNS0_10empty_typeEbEEZZNS1_14partition_implILS5_8ELb0ES3_jPlPS6_PKS6_NS0_5tupleIJS9_S6_EEENSD_IJSA_SA_EEENS0_18inequality_wrapperIZN2at6native12_GLOBAL__N_124unique_dim_cuda_templateIN3c104HalfEEESt5tupleIJNSH_6TensorESO_SO_EERKSO_lbbbEUlllE0_EEPmJS6_EEE10hipError_tPvRmT3_T4_T5_T6_T7_T9_mT8_P12ihipStream_tbDpT10_ENKUlT_T0_E_clISt17integral_constantIbLb1EES1D_IbLb0EEEEDaS19_S1A_EUlS19_E_NS1_11comp_targetILNS1_3genE3ELNS1_11target_archE908ELNS1_3gpuE7ELNS1_3repE0EEENS1_30default_config_static_selectorELNS0_4arch9wavefront6targetE0EEEvT1_,comdat
	.globl	_ZN7rocprim17ROCPRIM_400000_NS6detail17trampoline_kernelINS0_14default_configENS1_25partition_config_selectorILNS1_17partition_subalgoE8ElNS0_10empty_typeEbEEZZNS1_14partition_implILS5_8ELb0ES3_jPlPS6_PKS6_NS0_5tupleIJS9_S6_EEENSD_IJSA_SA_EEENS0_18inequality_wrapperIZN2at6native12_GLOBAL__N_124unique_dim_cuda_templateIN3c104HalfEEESt5tupleIJNSH_6TensorESO_SO_EERKSO_lbbbEUlllE0_EEPmJS6_EEE10hipError_tPvRmT3_T4_T5_T6_T7_T9_mT8_P12ihipStream_tbDpT10_ENKUlT_T0_E_clISt17integral_constantIbLb1EES1D_IbLb0EEEEDaS19_S1A_EUlS19_E_NS1_11comp_targetILNS1_3genE3ELNS1_11target_archE908ELNS1_3gpuE7ELNS1_3repE0EEENS1_30default_config_static_selectorELNS0_4arch9wavefront6targetE0EEEvT1_ ; -- Begin function _ZN7rocprim17ROCPRIM_400000_NS6detail17trampoline_kernelINS0_14default_configENS1_25partition_config_selectorILNS1_17partition_subalgoE8ElNS0_10empty_typeEbEEZZNS1_14partition_implILS5_8ELb0ES3_jPlPS6_PKS6_NS0_5tupleIJS9_S6_EEENSD_IJSA_SA_EEENS0_18inequality_wrapperIZN2at6native12_GLOBAL__N_124unique_dim_cuda_templateIN3c104HalfEEESt5tupleIJNSH_6TensorESO_SO_EERKSO_lbbbEUlllE0_EEPmJS6_EEE10hipError_tPvRmT3_T4_T5_T6_T7_T9_mT8_P12ihipStream_tbDpT10_ENKUlT_T0_E_clISt17integral_constantIbLb1EES1D_IbLb0EEEEDaS19_S1A_EUlS19_E_NS1_11comp_targetILNS1_3genE3ELNS1_11target_archE908ELNS1_3gpuE7ELNS1_3repE0EEENS1_30default_config_static_selectorELNS0_4arch9wavefront6targetE0EEEvT1_
	.p2align	8
	.type	_ZN7rocprim17ROCPRIM_400000_NS6detail17trampoline_kernelINS0_14default_configENS1_25partition_config_selectorILNS1_17partition_subalgoE8ElNS0_10empty_typeEbEEZZNS1_14partition_implILS5_8ELb0ES3_jPlPS6_PKS6_NS0_5tupleIJS9_S6_EEENSD_IJSA_SA_EEENS0_18inequality_wrapperIZN2at6native12_GLOBAL__N_124unique_dim_cuda_templateIN3c104HalfEEESt5tupleIJNSH_6TensorESO_SO_EERKSO_lbbbEUlllE0_EEPmJS6_EEE10hipError_tPvRmT3_T4_T5_T6_T7_T9_mT8_P12ihipStream_tbDpT10_ENKUlT_T0_E_clISt17integral_constantIbLb1EES1D_IbLb0EEEEDaS19_S1A_EUlS19_E_NS1_11comp_targetILNS1_3genE3ELNS1_11target_archE908ELNS1_3gpuE7ELNS1_3repE0EEENS1_30default_config_static_selectorELNS0_4arch9wavefront6targetE0EEEvT1_,@function
_ZN7rocprim17ROCPRIM_400000_NS6detail17trampoline_kernelINS0_14default_configENS1_25partition_config_selectorILNS1_17partition_subalgoE8ElNS0_10empty_typeEbEEZZNS1_14partition_implILS5_8ELb0ES3_jPlPS6_PKS6_NS0_5tupleIJS9_S6_EEENSD_IJSA_SA_EEENS0_18inequality_wrapperIZN2at6native12_GLOBAL__N_124unique_dim_cuda_templateIN3c104HalfEEESt5tupleIJNSH_6TensorESO_SO_EERKSO_lbbbEUlllE0_EEPmJS6_EEE10hipError_tPvRmT3_T4_T5_T6_T7_T9_mT8_P12ihipStream_tbDpT10_ENKUlT_T0_E_clISt17integral_constantIbLb1EES1D_IbLb0EEEEDaS19_S1A_EUlS19_E_NS1_11comp_targetILNS1_3genE3ELNS1_11target_archE908ELNS1_3gpuE7ELNS1_3repE0EEENS1_30default_config_static_selectorELNS0_4arch9wavefront6targetE0EEEvT1_: ; @_ZN7rocprim17ROCPRIM_400000_NS6detail17trampoline_kernelINS0_14default_configENS1_25partition_config_selectorILNS1_17partition_subalgoE8ElNS0_10empty_typeEbEEZZNS1_14partition_implILS5_8ELb0ES3_jPlPS6_PKS6_NS0_5tupleIJS9_S6_EEENSD_IJSA_SA_EEENS0_18inequality_wrapperIZN2at6native12_GLOBAL__N_124unique_dim_cuda_templateIN3c104HalfEEESt5tupleIJNSH_6TensorESO_SO_EERKSO_lbbbEUlllE0_EEPmJS6_EEE10hipError_tPvRmT3_T4_T5_T6_T7_T9_mT8_P12ihipStream_tbDpT10_ENKUlT_T0_E_clISt17integral_constantIbLb1EES1D_IbLb0EEEEDaS19_S1A_EUlS19_E_NS1_11comp_targetILNS1_3genE3ELNS1_11target_archE908ELNS1_3gpuE7ELNS1_3repE0EEENS1_30default_config_static_selectorELNS0_4arch9wavefront6targetE0EEEvT1_
; %bb.0:
	.section	.rodata,"a",@progbits
	.p2align	6, 0x0
	.amdhsa_kernel _ZN7rocprim17ROCPRIM_400000_NS6detail17trampoline_kernelINS0_14default_configENS1_25partition_config_selectorILNS1_17partition_subalgoE8ElNS0_10empty_typeEbEEZZNS1_14partition_implILS5_8ELb0ES3_jPlPS6_PKS6_NS0_5tupleIJS9_S6_EEENSD_IJSA_SA_EEENS0_18inequality_wrapperIZN2at6native12_GLOBAL__N_124unique_dim_cuda_templateIN3c104HalfEEESt5tupleIJNSH_6TensorESO_SO_EERKSO_lbbbEUlllE0_EEPmJS6_EEE10hipError_tPvRmT3_T4_T5_T6_T7_T9_mT8_P12ihipStream_tbDpT10_ENKUlT_T0_E_clISt17integral_constantIbLb1EES1D_IbLb0EEEEDaS19_S1A_EUlS19_E_NS1_11comp_targetILNS1_3genE3ELNS1_11target_archE908ELNS1_3gpuE7ELNS1_3repE0EEENS1_30default_config_static_selectorELNS0_4arch9wavefront6targetE0EEEvT1_
		.amdhsa_group_segment_fixed_size 0
		.amdhsa_private_segment_fixed_size 0
		.amdhsa_kernarg_size 120
		.amdhsa_user_sgpr_count 15
		.amdhsa_user_sgpr_dispatch_ptr 0
		.amdhsa_user_sgpr_queue_ptr 0
		.amdhsa_user_sgpr_kernarg_segment_ptr 1
		.amdhsa_user_sgpr_dispatch_id 0
		.amdhsa_user_sgpr_private_segment_size 0
		.amdhsa_wavefront_size32 1
		.amdhsa_uses_dynamic_stack 0
		.amdhsa_enable_private_segment 0
		.amdhsa_system_sgpr_workgroup_id_x 1
		.amdhsa_system_sgpr_workgroup_id_y 0
		.amdhsa_system_sgpr_workgroup_id_z 0
		.amdhsa_system_sgpr_workgroup_info 0
		.amdhsa_system_vgpr_workitem_id 0
		.amdhsa_next_free_vgpr 1
		.amdhsa_next_free_sgpr 1
		.amdhsa_reserve_vcc 0
		.amdhsa_float_round_mode_32 0
		.amdhsa_float_round_mode_16_64 0
		.amdhsa_float_denorm_mode_32 3
		.amdhsa_float_denorm_mode_16_64 3
		.amdhsa_dx10_clamp 1
		.amdhsa_ieee_mode 1
		.amdhsa_fp16_overflow 0
		.amdhsa_workgroup_processor_mode 1
		.amdhsa_memory_ordered 1
		.amdhsa_forward_progress 0
		.amdhsa_shared_vgpr_count 0
		.amdhsa_exception_fp_ieee_invalid_op 0
		.amdhsa_exception_fp_denorm_src 0
		.amdhsa_exception_fp_ieee_div_zero 0
		.amdhsa_exception_fp_ieee_overflow 0
		.amdhsa_exception_fp_ieee_underflow 0
		.amdhsa_exception_fp_ieee_inexact 0
		.amdhsa_exception_int_div_zero 0
	.end_amdhsa_kernel
	.section	.text._ZN7rocprim17ROCPRIM_400000_NS6detail17trampoline_kernelINS0_14default_configENS1_25partition_config_selectorILNS1_17partition_subalgoE8ElNS0_10empty_typeEbEEZZNS1_14partition_implILS5_8ELb0ES3_jPlPS6_PKS6_NS0_5tupleIJS9_S6_EEENSD_IJSA_SA_EEENS0_18inequality_wrapperIZN2at6native12_GLOBAL__N_124unique_dim_cuda_templateIN3c104HalfEEESt5tupleIJNSH_6TensorESO_SO_EERKSO_lbbbEUlllE0_EEPmJS6_EEE10hipError_tPvRmT3_T4_T5_T6_T7_T9_mT8_P12ihipStream_tbDpT10_ENKUlT_T0_E_clISt17integral_constantIbLb1EES1D_IbLb0EEEEDaS19_S1A_EUlS19_E_NS1_11comp_targetILNS1_3genE3ELNS1_11target_archE908ELNS1_3gpuE7ELNS1_3repE0EEENS1_30default_config_static_selectorELNS0_4arch9wavefront6targetE0EEEvT1_,"axG",@progbits,_ZN7rocprim17ROCPRIM_400000_NS6detail17trampoline_kernelINS0_14default_configENS1_25partition_config_selectorILNS1_17partition_subalgoE8ElNS0_10empty_typeEbEEZZNS1_14partition_implILS5_8ELb0ES3_jPlPS6_PKS6_NS0_5tupleIJS9_S6_EEENSD_IJSA_SA_EEENS0_18inequality_wrapperIZN2at6native12_GLOBAL__N_124unique_dim_cuda_templateIN3c104HalfEEESt5tupleIJNSH_6TensorESO_SO_EERKSO_lbbbEUlllE0_EEPmJS6_EEE10hipError_tPvRmT3_T4_T5_T6_T7_T9_mT8_P12ihipStream_tbDpT10_ENKUlT_T0_E_clISt17integral_constantIbLb1EES1D_IbLb0EEEEDaS19_S1A_EUlS19_E_NS1_11comp_targetILNS1_3genE3ELNS1_11target_archE908ELNS1_3gpuE7ELNS1_3repE0EEENS1_30default_config_static_selectorELNS0_4arch9wavefront6targetE0EEEvT1_,comdat
.Lfunc_end1314:
	.size	_ZN7rocprim17ROCPRIM_400000_NS6detail17trampoline_kernelINS0_14default_configENS1_25partition_config_selectorILNS1_17partition_subalgoE8ElNS0_10empty_typeEbEEZZNS1_14partition_implILS5_8ELb0ES3_jPlPS6_PKS6_NS0_5tupleIJS9_S6_EEENSD_IJSA_SA_EEENS0_18inequality_wrapperIZN2at6native12_GLOBAL__N_124unique_dim_cuda_templateIN3c104HalfEEESt5tupleIJNSH_6TensorESO_SO_EERKSO_lbbbEUlllE0_EEPmJS6_EEE10hipError_tPvRmT3_T4_T5_T6_T7_T9_mT8_P12ihipStream_tbDpT10_ENKUlT_T0_E_clISt17integral_constantIbLb1EES1D_IbLb0EEEEDaS19_S1A_EUlS19_E_NS1_11comp_targetILNS1_3genE3ELNS1_11target_archE908ELNS1_3gpuE7ELNS1_3repE0EEENS1_30default_config_static_selectorELNS0_4arch9wavefront6targetE0EEEvT1_, .Lfunc_end1314-_ZN7rocprim17ROCPRIM_400000_NS6detail17trampoline_kernelINS0_14default_configENS1_25partition_config_selectorILNS1_17partition_subalgoE8ElNS0_10empty_typeEbEEZZNS1_14partition_implILS5_8ELb0ES3_jPlPS6_PKS6_NS0_5tupleIJS9_S6_EEENSD_IJSA_SA_EEENS0_18inequality_wrapperIZN2at6native12_GLOBAL__N_124unique_dim_cuda_templateIN3c104HalfEEESt5tupleIJNSH_6TensorESO_SO_EERKSO_lbbbEUlllE0_EEPmJS6_EEE10hipError_tPvRmT3_T4_T5_T6_T7_T9_mT8_P12ihipStream_tbDpT10_ENKUlT_T0_E_clISt17integral_constantIbLb1EES1D_IbLb0EEEEDaS19_S1A_EUlS19_E_NS1_11comp_targetILNS1_3genE3ELNS1_11target_archE908ELNS1_3gpuE7ELNS1_3repE0EEENS1_30default_config_static_selectorELNS0_4arch9wavefront6targetE0EEEvT1_
                                        ; -- End function
	.section	.AMDGPU.csdata,"",@progbits
; Kernel info:
; codeLenInByte = 0
; NumSgprs: 0
; NumVgprs: 0
; ScratchSize: 0
; MemoryBound: 0
; FloatMode: 240
; IeeeMode: 1
; LDSByteSize: 0 bytes/workgroup (compile time only)
; SGPRBlocks: 0
; VGPRBlocks: 0
; NumSGPRsForWavesPerEU: 1
; NumVGPRsForWavesPerEU: 1
; Occupancy: 16
; WaveLimiterHint : 0
; COMPUTE_PGM_RSRC2:SCRATCH_EN: 0
; COMPUTE_PGM_RSRC2:USER_SGPR: 15
; COMPUTE_PGM_RSRC2:TRAP_HANDLER: 0
; COMPUTE_PGM_RSRC2:TGID_X_EN: 1
; COMPUTE_PGM_RSRC2:TGID_Y_EN: 0
; COMPUTE_PGM_RSRC2:TGID_Z_EN: 0
; COMPUTE_PGM_RSRC2:TIDIG_COMP_CNT: 0
	.section	.text._ZN7rocprim17ROCPRIM_400000_NS6detail17trampoline_kernelINS0_14default_configENS1_25partition_config_selectorILNS1_17partition_subalgoE8ElNS0_10empty_typeEbEEZZNS1_14partition_implILS5_8ELb0ES3_jPlPS6_PKS6_NS0_5tupleIJS9_S6_EEENSD_IJSA_SA_EEENS0_18inequality_wrapperIZN2at6native12_GLOBAL__N_124unique_dim_cuda_templateIN3c104HalfEEESt5tupleIJNSH_6TensorESO_SO_EERKSO_lbbbEUlllE0_EEPmJS6_EEE10hipError_tPvRmT3_T4_T5_T6_T7_T9_mT8_P12ihipStream_tbDpT10_ENKUlT_T0_E_clISt17integral_constantIbLb1EES1D_IbLb0EEEEDaS19_S1A_EUlS19_E_NS1_11comp_targetILNS1_3genE2ELNS1_11target_archE906ELNS1_3gpuE6ELNS1_3repE0EEENS1_30default_config_static_selectorELNS0_4arch9wavefront6targetE0EEEvT1_,"axG",@progbits,_ZN7rocprim17ROCPRIM_400000_NS6detail17trampoline_kernelINS0_14default_configENS1_25partition_config_selectorILNS1_17partition_subalgoE8ElNS0_10empty_typeEbEEZZNS1_14partition_implILS5_8ELb0ES3_jPlPS6_PKS6_NS0_5tupleIJS9_S6_EEENSD_IJSA_SA_EEENS0_18inequality_wrapperIZN2at6native12_GLOBAL__N_124unique_dim_cuda_templateIN3c104HalfEEESt5tupleIJNSH_6TensorESO_SO_EERKSO_lbbbEUlllE0_EEPmJS6_EEE10hipError_tPvRmT3_T4_T5_T6_T7_T9_mT8_P12ihipStream_tbDpT10_ENKUlT_T0_E_clISt17integral_constantIbLb1EES1D_IbLb0EEEEDaS19_S1A_EUlS19_E_NS1_11comp_targetILNS1_3genE2ELNS1_11target_archE906ELNS1_3gpuE6ELNS1_3repE0EEENS1_30default_config_static_selectorELNS0_4arch9wavefront6targetE0EEEvT1_,comdat
	.globl	_ZN7rocprim17ROCPRIM_400000_NS6detail17trampoline_kernelINS0_14default_configENS1_25partition_config_selectorILNS1_17partition_subalgoE8ElNS0_10empty_typeEbEEZZNS1_14partition_implILS5_8ELb0ES3_jPlPS6_PKS6_NS0_5tupleIJS9_S6_EEENSD_IJSA_SA_EEENS0_18inequality_wrapperIZN2at6native12_GLOBAL__N_124unique_dim_cuda_templateIN3c104HalfEEESt5tupleIJNSH_6TensorESO_SO_EERKSO_lbbbEUlllE0_EEPmJS6_EEE10hipError_tPvRmT3_T4_T5_T6_T7_T9_mT8_P12ihipStream_tbDpT10_ENKUlT_T0_E_clISt17integral_constantIbLb1EES1D_IbLb0EEEEDaS19_S1A_EUlS19_E_NS1_11comp_targetILNS1_3genE2ELNS1_11target_archE906ELNS1_3gpuE6ELNS1_3repE0EEENS1_30default_config_static_selectorELNS0_4arch9wavefront6targetE0EEEvT1_ ; -- Begin function _ZN7rocprim17ROCPRIM_400000_NS6detail17trampoline_kernelINS0_14default_configENS1_25partition_config_selectorILNS1_17partition_subalgoE8ElNS0_10empty_typeEbEEZZNS1_14partition_implILS5_8ELb0ES3_jPlPS6_PKS6_NS0_5tupleIJS9_S6_EEENSD_IJSA_SA_EEENS0_18inequality_wrapperIZN2at6native12_GLOBAL__N_124unique_dim_cuda_templateIN3c104HalfEEESt5tupleIJNSH_6TensorESO_SO_EERKSO_lbbbEUlllE0_EEPmJS6_EEE10hipError_tPvRmT3_T4_T5_T6_T7_T9_mT8_P12ihipStream_tbDpT10_ENKUlT_T0_E_clISt17integral_constantIbLb1EES1D_IbLb0EEEEDaS19_S1A_EUlS19_E_NS1_11comp_targetILNS1_3genE2ELNS1_11target_archE906ELNS1_3gpuE6ELNS1_3repE0EEENS1_30default_config_static_selectorELNS0_4arch9wavefront6targetE0EEEvT1_
	.p2align	8
	.type	_ZN7rocprim17ROCPRIM_400000_NS6detail17trampoline_kernelINS0_14default_configENS1_25partition_config_selectorILNS1_17partition_subalgoE8ElNS0_10empty_typeEbEEZZNS1_14partition_implILS5_8ELb0ES3_jPlPS6_PKS6_NS0_5tupleIJS9_S6_EEENSD_IJSA_SA_EEENS0_18inequality_wrapperIZN2at6native12_GLOBAL__N_124unique_dim_cuda_templateIN3c104HalfEEESt5tupleIJNSH_6TensorESO_SO_EERKSO_lbbbEUlllE0_EEPmJS6_EEE10hipError_tPvRmT3_T4_T5_T6_T7_T9_mT8_P12ihipStream_tbDpT10_ENKUlT_T0_E_clISt17integral_constantIbLb1EES1D_IbLb0EEEEDaS19_S1A_EUlS19_E_NS1_11comp_targetILNS1_3genE2ELNS1_11target_archE906ELNS1_3gpuE6ELNS1_3repE0EEENS1_30default_config_static_selectorELNS0_4arch9wavefront6targetE0EEEvT1_,@function
_ZN7rocprim17ROCPRIM_400000_NS6detail17trampoline_kernelINS0_14default_configENS1_25partition_config_selectorILNS1_17partition_subalgoE8ElNS0_10empty_typeEbEEZZNS1_14partition_implILS5_8ELb0ES3_jPlPS6_PKS6_NS0_5tupleIJS9_S6_EEENSD_IJSA_SA_EEENS0_18inequality_wrapperIZN2at6native12_GLOBAL__N_124unique_dim_cuda_templateIN3c104HalfEEESt5tupleIJNSH_6TensorESO_SO_EERKSO_lbbbEUlllE0_EEPmJS6_EEE10hipError_tPvRmT3_T4_T5_T6_T7_T9_mT8_P12ihipStream_tbDpT10_ENKUlT_T0_E_clISt17integral_constantIbLb1EES1D_IbLb0EEEEDaS19_S1A_EUlS19_E_NS1_11comp_targetILNS1_3genE2ELNS1_11target_archE906ELNS1_3gpuE6ELNS1_3repE0EEENS1_30default_config_static_selectorELNS0_4arch9wavefront6targetE0EEEvT1_: ; @_ZN7rocprim17ROCPRIM_400000_NS6detail17trampoline_kernelINS0_14default_configENS1_25partition_config_selectorILNS1_17partition_subalgoE8ElNS0_10empty_typeEbEEZZNS1_14partition_implILS5_8ELb0ES3_jPlPS6_PKS6_NS0_5tupleIJS9_S6_EEENSD_IJSA_SA_EEENS0_18inequality_wrapperIZN2at6native12_GLOBAL__N_124unique_dim_cuda_templateIN3c104HalfEEESt5tupleIJNSH_6TensorESO_SO_EERKSO_lbbbEUlllE0_EEPmJS6_EEE10hipError_tPvRmT3_T4_T5_T6_T7_T9_mT8_P12ihipStream_tbDpT10_ENKUlT_T0_E_clISt17integral_constantIbLb1EES1D_IbLb0EEEEDaS19_S1A_EUlS19_E_NS1_11comp_targetILNS1_3genE2ELNS1_11target_archE906ELNS1_3gpuE6ELNS1_3repE0EEENS1_30default_config_static_selectorELNS0_4arch9wavefront6targetE0EEEvT1_
; %bb.0:
	.section	.rodata,"a",@progbits
	.p2align	6, 0x0
	.amdhsa_kernel _ZN7rocprim17ROCPRIM_400000_NS6detail17trampoline_kernelINS0_14default_configENS1_25partition_config_selectorILNS1_17partition_subalgoE8ElNS0_10empty_typeEbEEZZNS1_14partition_implILS5_8ELb0ES3_jPlPS6_PKS6_NS0_5tupleIJS9_S6_EEENSD_IJSA_SA_EEENS0_18inequality_wrapperIZN2at6native12_GLOBAL__N_124unique_dim_cuda_templateIN3c104HalfEEESt5tupleIJNSH_6TensorESO_SO_EERKSO_lbbbEUlllE0_EEPmJS6_EEE10hipError_tPvRmT3_T4_T5_T6_T7_T9_mT8_P12ihipStream_tbDpT10_ENKUlT_T0_E_clISt17integral_constantIbLb1EES1D_IbLb0EEEEDaS19_S1A_EUlS19_E_NS1_11comp_targetILNS1_3genE2ELNS1_11target_archE906ELNS1_3gpuE6ELNS1_3repE0EEENS1_30default_config_static_selectorELNS0_4arch9wavefront6targetE0EEEvT1_
		.amdhsa_group_segment_fixed_size 0
		.amdhsa_private_segment_fixed_size 0
		.amdhsa_kernarg_size 120
		.amdhsa_user_sgpr_count 15
		.amdhsa_user_sgpr_dispatch_ptr 0
		.amdhsa_user_sgpr_queue_ptr 0
		.amdhsa_user_sgpr_kernarg_segment_ptr 1
		.amdhsa_user_sgpr_dispatch_id 0
		.amdhsa_user_sgpr_private_segment_size 0
		.amdhsa_wavefront_size32 1
		.amdhsa_uses_dynamic_stack 0
		.amdhsa_enable_private_segment 0
		.amdhsa_system_sgpr_workgroup_id_x 1
		.amdhsa_system_sgpr_workgroup_id_y 0
		.amdhsa_system_sgpr_workgroup_id_z 0
		.amdhsa_system_sgpr_workgroup_info 0
		.amdhsa_system_vgpr_workitem_id 0
		.amdhsa_next_free_vgpr 1
		.amdhsa_next_free_sgpr 1
		.amdhsa_reserve_vcc 0
		.amdhsa_float_round_mode_32 0
		.amdhsa_float_round_mode_16_64 0
		.amdhsa_float_denorm_mode_32 3
		.amdhsa_float_denorm_mode_16_64 3
		.amdhsa_dx10_clamp 1
		.amdhsa_ieee_mode 1
		.amdhsa_fp16_overflow 0
		.amdhsa_workgroup_processor_mode 1
		.amdhsa_memory_ordered 1
		.amdhsa_forward_progress 0
		.amdhsa_shared_vgpr_count 0
		.amdhsa_exception_fp_ieee_invalid_op 0
		.amdhsa_exception_fp_denorm_src 0
		.amdhsa_exception_fp_ieee_div_zero 0
		.amdhsa_exception_fp_ieee_overflow 0
		.amdhsa_exception_fp_ieee_underflow 0
		.amdhsa_exception_fp_ieee_inexact 0
		.amdhsa_exception_int_div_zero 0
	.end_amdhsa_kernel
	.section	.text._ZN7rocprim17ROCPRIM_400000_NS6detail17trampoline_kernelINS0_14default_configENS1_25partition_config_selectorILNS1_17partition_subalgoE8ElNS0_10empty_typeEbEEZZNS1_14partition_implILS5_8ELb0ES3_jPlPS6_PKS6_NS0_5tupleIJS9_S6_EEENSD_IJSA_SA_EEENS0_18inequality_wrapperIZN2at6native12_GLOBAL__N_124unique_dim_cuda_templateIN3c104HalfEEESt5tupleIJNSH_6TensorESO_SO_EERKSO_lbbbEUlllE0_EEPmJS6_EEE10hipError_tPvRmT3_T4_T5_T6_T7_T9_mT8_P12ihipStream_tbDpT10_ENKUlT_T0_E_clISt17integral_constantIbLb1EES1D_IbLb0EEEEDaS19_S1A_EUlS19_E_NS1_11comp_targetILNS1_3genE2ELNS1_11target_archE906ELNS1_3gpuE6ELNS1_3repE0EEENS1_30default_config_static_selectorELNS0_4arch9wavefront6targetE0EEEvT1_,"axG",@progbits,_ZN7rocprim17ROCPRIM_400000_NS6detail17trampoline_kernelINS0_14default_configENS1_25partition_config_selectorILNS1_17partition_subalgoE8ElNS0_10empty_typeEbEEZZNS1_14partition_implILS5_8ELb0ES3_jPlPS6_PKS6_NS0_5tupleIJS9_S6_EEENSD_IJSA_SA_EEENS0_18inequality_wrapperIZN2at6native12_GLOBAL__N_124unique_dim_cuda_templateIN3c104HalfEEESt5tupleIJNSH_6TensorESO_SO_EERKSO_lbbbEUlllE0_EEPmJS6_EEE10hipError_tPvRmT3_T4_T5_T6_T7_T9_mT8_P12ihipStream_tbDpT10_ENKUlT_T0_E_clISt17integral_constantIbLb1EES1D_IbLb0EEEEDaS19_S1A_EUlS19_E_NS1_11comp_targetILNS1_3genE2ELNS1_11target_archE906ELNS1_3gpuE6ELNS1_3repE0EEENS1_30default_config_static_selectorELNS0_4arch9wavefront6targetE0EEEvT1_,comdat
.Lfunc_end1315:
	.size	_ZN7rocprim17ROCPRIM_400000_NS6detail17trampoline_kernelINS0_14default_configENS1_25partition_config_selectorILNS1_17partition_subalgoE8ElNS0_10empty_typeEbEEZZNS1_14partition_implILS5_8ELb0ES3_jPlPS6_PKS6_NS0_5tupleIJS9_S6_EEENSD_IJSA_SA_EEENS0_18inequality_wrapperIZN2at6native12_GLOBAL__N_124unique_dim_cuda_templateIN3c104HalfEEESt5tupleIJNSH_6TensorESO_SO_EERKSO_lbbbEUlllE0_EEPmJS6_EEE10hipError_tPvRmT3_T4_T5_T6_T7_T9_mT8_P12ihipStream_tbDpT10_ENKUlT_T0_E_clISt17integral_constantIbLb1EES1D_IbLb0EEEEDaS19_S1A_EUlS19_E_NS1_11comp_targetILNS1_3genE2ELNS1_11target_archE906ELNS1_3gpuE6ELNS1_3repE0EEENS1_30default_config_static_selectorELNS0_4arch9wavefront6targetE0EEEvT1_, .Lfunc_end1315-_ZN7rocprim17ROCPRIM_400000_NS6detail17trampoline_kernelINS0_14default_configENS1_25partition_config_selectorILNS1_17partition_subalgoE8ElNS0_10empty_typeEbEEZZNS1_14partition_implILS5_8ELb0ES3_jPlPS6_PKS6_NS0_5tupleIJS9_S6_EEENSD_IJSA_SA_EEENS0_18inequality_wrapperIZN2at6native12_GLOBAL__N_124unique_dim_cuda_templateIN3c104HalfEEESt5tupleIJNSH_6TensorESO_SO_EERKSO_lbbbEUlllE0_EEPmJS6_EEE10hipError_tPvRmT3_T4_T5_T6_T7_T9_mT8_P12ihipStream_tbDpT10_ENKUlT_T0_E_clISt17integral_constantIbLb1EES1D_IbLb0EEEEDaS19_S1A_EUlS19_E_NS1_11comp_targetILNS1_3genE2ELNS1_11target_archE906ELNS1_3gpuE6ELNS1_3repE0EEENS1_30default_config_static_selectorELNS0_4arch9wavefront6targetE0EEEvT1_
                                        ; -- End function
	.section	.AMDGPU.csdata,"",@progbits
; Kernel info:
; codeLenInByte = 0
; NumSgprs: 0
; NumVgprs: 0
; ScratchSize: 0
; MemoryBound: 0
; FloatMode: 240
; IeeeMode: 1
; LDSByteSize: 0 bytes/workgroup (compile time only)
; SGPRBlocks: 0
; VGPRBlocks: 0
; NumSGPRsForWavesPerEU: 1
; NumVGPRsForWavesPerEU: 1
; Occupancy: 16
; WaveLimiterHint : 0
; COMPUTE_PGM_RSRC2:SCRATCH_EN: 0
; COMPUTE_PGM_RSRC2:USER_SGPR: 15
; COMPUTE_PGM_RSRC2:TRAP_HANDLER: 0
; COMPUTE_PGM_RSRC2:TGID_X_EN: 1
; COMPUTE_PGM_RSRC2:TGID_Y_EN: 0
; COMPUTE_PGM_RSRC2:TGID_Z_EN: 0
; COMPUTE_PGM_RSRC2:TIDIG_COMP_CNT: 0
	.section	.text._ZN7rocprim17ROCPRIM_400000_NS6detail17trampoline_kernelINS0_14default_configENS1_25partition_config_selectorILNS1_17partition_subalgoE8ElNS0_10empty_typeEbEEZZNS1_14partition_implILS5_8ELb0ES3_jPlPS6_PKS6_NS0_5tupleIJS9_S6_EEENSD_IJSA_SA_EEENS0_18inequality_wrapperIZN2at6native12_GLOBAL__N_124unique_dim_cuda_templateIN3c104HalfEEESt5tupleIJNSH_6TensorESO_SO_EERKSO_lbbbEUlllE0_EEPmJS6_EEE10hipError_tPvRmT3_T4_T5_T6_T7_T9_mT8_P12ihipStream_tbDpT10_ENKUlT_T0_E_clISt17integral_constantIbLb1EES1D_IbLb0EEEEDaS19_S1A_EUlS19_E_NS1_11comp_targetILNS1_3genE10ELNS1_11target_archE1200ELNS1_3gpuE4ELNS1_3repE0EEENS1_30default_config_static_selectorELNS0_4arch9wavefront6targetE0EEEvT1_,"axG",@progbits,_ZN7rocprim17ROCPRIM_400000_NS6detail17trampoline_kernelINS0_14default_configENS1_25partition_config_selectorILNS1_17partition_subalgoE8ElNS0_10empty_typeEbEEZZNS1_14partition_implILS5_8ELb0ES3_jPlPS6_PKS6_NS0_5tupleIJS9_S6_EEENSD_IJSA_SA_EEENS0_18inequality_wrapperIZN2at6native12_GLOBAL__N_124unique_dim_cuda_templateIN3c104HalfEEESt5tupleIJNSH_6TensorESO_SO_EERKSO_lbbbEUlllE0_EEPmJS6_EEE10hipError_tPvRmT3_T4_T5_T6_T7_T9_mT8_P12ihipStream_tbDpT10_ENKUlT_T0_E_clISt17integral_constantIbLb1EES1D_IbLb0EEEEDaS19_S1A_EUlS19_E_NS1_11comp_targetILNS1_3genE10ELNS1_11target_archE1200ELNS1_3gpuE4ELNS1_3repE0EEENS1_30default_config_static_selectorELNS0_4arch9wavefront6targetE0EEEvT1_,comdat
	.globl	_ZN7rocprim17ROCPRIM_400000_NS6detail17trampoline_kernelINS0_14default_configENS1_25partition_config_selectorILNS1_17partition_subalgoE8ElNS0_10empty_typeEbEEZZNS1_14partition_implILS5_8ELb0ES3_jPlPS6_PKS6_NS0_5tupleIJS9_S6_EEENSD_IJSA_SA_EEENS0_18inequality_wrapperIZN2at6native12_GLOBAL__N_124unique_dim_cuda_templateIN3c104HalfEEESt5tupleIJNSH_6TensorESO_SO_EERKSO_lbbbEUlllE0_EEPmJS6_EEE10hipError_tPvRmT3_T4_T5_T6_T7_T9_mT8_P12ihipStream_tbDpT10_ENKUlT_T0_E_clISt17integral_constantIbLb1EES1D_IbLb0EEEEDaS19_S1A_EUlS19_E_NS1_11comp_targetILNS1_3genE10ELNS1_11target_archE1200ELNS1_3gpuE4ELNS1_3repE0EEENS1_30default_config_static_selectorELNS0_4arch9wavefront6targetE0EEEvT1_ ; -- Begin function _ZN7rocprim17ROCPRIM_400000_NS6detail17trampoline_kernelINS0_14default_configENS1_25partition_config_selectorILNS1_17partition_subalgoE8ElNS0_10empty_typeEbEEZZNS1_14partition_implILS5_8ELb0ES3_jPlPS6_PKS6_NS0_5tupleIJS9_S6_EEENSD_IJSA_SA_EEENS0_18inequality_wrapperIZN2at6native12_GLOBAL__N_124unique_dim_cuda_templateIN3c104HalfEEESt5tupleIJNSH_6TensorESO_SO_EERKSO_lbbbEUlllE0_EEPmJS6_EEE10hipError_tPvRmT3_T4_T5_T6_T7_T9_mT8_P12ihipStream_tbDpT10_ENKUlT_T0_E_clISt17integral_constantIbLb1EES1D_IbLb0EEEEDaS19_S1A_EUlS19_E_NS1_11comp_targetILNS1_3genE10ELNS1_11target_archE1200ELNS1_3gpuE4ELNS1_3repE0EEENS1_30default_config_static_selectorELNS0_4arch9wavefront6targetE0EEEvT1_
	.p2align	8
	.type	_ZN7rocprim17ROCPRIM_400000_NS6detail17trampoline_kernelINS0_14default_configENS1_25partition_config_selectorILNS1_17partition_subalgoE8ElNS0_10empty_typeEbEEZZNS1_14partition_implILS5_8ELb0ES3_jPlPS6_PKS6_NS0_5tupleIJS9_S6_EEENSD_IJSA_SA_EEENS0_18inequality_wrapperIZN2at6native12_GLOBAL__N_124unique_dim_cuda_templateIN3c104HalfEEESt5tupleIJNSH_6TensorESO_SO_EERKSO_lbbbEUlllE0_EEPmJS6_EEE10hipError_tPvRmT3_T4_T5_T6_T7_T9_mT8_P12ihipStream_tbDpT10_ENKUlT_T0_E_clISt17integral_constantIbLb1EES1D_IbLb0EEEEDaS19_S1A_EUlS19_E_NS1_11comp_targetILNS1_3genE10ELNS1_11target_archE1200ELNS1_3gpuE4ELNS1_3repE0EEENS1_30default_config_static_selectorELNS0_4arch9wavefront6targetE0EEEvT1_,@function
_ZN7rocprim17ROCPRIM_400000_NS6detail17trampoline_kernelINS0_14default_configENS1_25partition_config_selectorILNS1_17partition_subalgoE8ElNS0_10empty_typeEbEEZZNS1_14partition_implILS5_8ELb0ES3_jPlPS6_PKS6_NS0_5tupleIJS9_S6_EEENSD_IJSA_SA_EEENS0_18inequality_wrapperIZN2at6native12_GLOBAL__N_124unique_dim_cuda_templateIN3c104HalfEEESt5tupleIJNSH_6TensorESO_SO_EERKSO_lbbbEUlllE0_EEPmJS6_EEE10hipError_tPvRmT3_T4_T5_T6_T7_T9_mT8_P12ihipStream_tbDpT10_ENKUlT_T0_E_clISt17integral_constantIbLb1EES1D_IbLb0EEEEDaS19_S1A_EUlS19_E_NS1_11comp_targetILNS1_3genE10ELNS1_11target_archE1200ELNS1_3gpuE4ELNS1_3repE0EEENS1_30default_config_static_selectorELNS0_4arch9wavefront6targetE0EEEvT1_: ; @_ZN7rocprim17ROCPRIM_400000_NS6detail17trampoline_kernelINS0_14default_configENS1_25partition_config_selectorILNS1_17partition_subalgoE8ElNS0_10empty_typeEbEEZZNS1_14partition_implILS5_8ELb0ES3_jPlPS6_PKS6_NS0_5tupleIJS9_S6_EEENSD_IJSA_SA_EEENS0_18inequality_wrapperIZN2at6native12_GLOBAL__N_124unique_dim_cuda_templateIN3c104HalfEEESt5tupleIJNSH_6TensorESO_SO_EERKSO_lbbbEUlllE0_EEPmJS6_EEE10hipError_tPvRmT3_T4_T5_T6_T7_T9_mT8_P12ihipStream_tbDpT10_ENKUlT_T0_E_clISt17integral_constantIbLb1EES1D_IbLb0EEEEDaS19_S1A_EUlS19_E_NS1_11comp_targetILNS1_3genE10ELNS1_11target_archE1200ELNS1_3gpuE4ELNS1_3repE0EEENS1_30default_config_static_selectorELNS0_4arch9wavefront6targetE0EEEvT1_
; %bb.0:
	.section	.rodata,"a",@progbits
	.p2align	6, 0x0
	.amdhsa_kernel _ZN7rocprim17ROCPRIM_400000_NS6detail17trampoline_kernelINS0_14default_configENS1_25partition_config_selectorILNS1_17partition_subalgoE8ElNS0_10empty_typeEbEEZZNS1_14partition_implILS5_8ELb0ES3_jPlPS6_PKS6_NS0_5tupleIJS9_S6_EEENSD_IJSA_SA_EEENS0_18inequality_wrapperIZN2at6native12_GLOBAL__N_124unique_dim_cuda_templateIN3c104HalfEEESt5tupleIJNSH_6TensorESO_SO_EERKSO_lbbbEUlllE0_EEPmJS6_EEE10hipError_tPvRmT3_T4_T5_T6_T7_T9_mT8_P12ihipStream_tbDpT10_ENKUlT_T0_E_clISt17integral_constantIbLb1EES1D_IbLb0EEEEDaS19_S1A_EUlS19_E_NS1_11comp_targetILNS1_3genE10ELNS1_11target_archE1200ELNS1_3gpuE4ELNS1_3repE0EEENS1_30default_config_static_selectorELNS0_4arch9wavefront6targetE0EEEvT1_
		.amdhsa_group_segment_fixed_size 0
		.amdhsa_private_segment_fixed_size 0
		.amdhsa_kernarg_size 120
		.amdhsa_user_sgpr_count 15
		.amdhsa_user_sgpr_dispatch_ptr 0
		.amdhsa_user_sgpr_queue_ptr 0
		.amdhsa_user_sgpr_kernarg_segment_ptr 1
		.amdhsa_user_sgpr_dispatch_id 0
		.amdhsa_user_sgpr_private_segment_size 0
		.amdhsa_wavefront_size32 1
		.amdhsa_uses_dynamic_stack 0
		.amdhsa_enable_private_segment 0
		.amdhsa_system_sgpr_workgroup_id_x 1
		.amdhsa_system_sgpr_workgroup_id_y 0
		.amdhsa_system_sgpr_workgroup_id_z 0
		.amdhsa_system_sgpr_workgroup_info 0
		.amdhsa_system_vgpr_workitem_id 0
		.amdhsa_next_free_vgpr 1
		.amdhsa_next_free_sgpr 1
		.amdhsa_reserve_vcc 0
		.amdhsa_float_round_mode_32 0
		.amdhsa_float_round_mode_16_64 0
		.amdhsa_float_denorm_mode_32 3
		.amdhsa_float_denorm_mode_16_64 3
		.amdhsa_dx10_clamp 1
		.amdhsa_ieee_mode 1
		.amdhsa_fp16_overflow 0
		.amdhsa_workgroup_processor_mode 1
		.amdhsa_memory_ordered 1
		.amdhsa_forward_progress 0
		.amdhsa_shared_vgpr_count 0
		.amdhsa_exception_fp_ieee_invalid_op 0
		.amdhsa_exception_fp_denorm_src 0
		.amdhsa_exception_fp_ieee_div_zero 0
		.amdhsa_exception_fp_ieee_overflow 0
		.amdhsa_exception_fp_ieee_underflow 0
		.amdhsa_exception_fp_ieee_inexact 0
		.amdhsa_exception_int_div_zero 0
	.end_amdhsa_kernel
	.section	.text._ZN7rocprim17ROCPRIM_400000_NS6detail17trampoline_kernelINS0_14default_configENS1_25partition_config_selectorILNS1_17partition_subalgoE8ElNS0_10empty_typeEbEEZZNS1_14partition_implILS5_8ELb0ES3_jPlPS6_PKS6_NS0_5tupleIJS9_S6_EEENSD_IJSA_SA_EEENS0_18inequality_wrapperIZN2at6native12_GLOBAL__N_124unique_dim_cuda_templateIN3c104HalfEEESt5tupleIJNSH_6TensorESO_SO_EERKSO_lbbbEUlllE0_EEPmJS6_EEE10hipError_tPvRmT3_T4_T5_T6_T7_T9_mT8_P12ihipStream_tbDpT10_ENKUlT_T0_E_clISt17integral_constantIbLb1EES1D_IbLb0EEEEDaS19_S1A_EUlS19_E_NS1_11comp_targetILNS1_3genE10ELNS1_11target_archE1200ELNS1_3gpuE4ELNS1_3repE0EEENS1_30default_config_static_selectorELNS0_4arch9wavefront6targetE0EEEvT1_,"axG",@progbits,_ZN7rocprim17ROCPRIM_400000_NS6detail17trampoline_kernelINS0_14default_configENS1_25partition_config_selectorILNS1_17partition_subalgoE8ElNS0_10empty_typeEbEEZZNS1_14partition_implILS5_8ELb0ES3_jPlPS6_PKS6_NS0_5tupleIJS9_S6_EEENSD_IJSA_SA_EEENS0_18inequality_wrapperIZN2at6native12_GLOBAL__N_124unique_dim_cuda_templateIN3c104HalfEEESt5tupleIJNSH_6TensorESO_SO_EERKSO_lbbbEUlllE0_EEPmJS6_EEE10hipError_tPvRmT3_T4_T5_T6_T7_T9_mT8_P12ihipStream_tbDpT10_ENKUlT_T0_E_clISt17integral_constantIbLb1EES1D_IbLb0EEEEDaS19_S1A_EUlS19_E_NS1_11comp_targetILNS1_3genE10ELNS1_11target_archE1200ELNS1_3gpuE4ELNS1_3repE0EEENS1_30default_config_static_selectorELNS0_4arch9wavefront6targetE0EEEvT1_,comdat
.Lfunc_end1316:
	.size	_ZN7rocprim17ROCPRIM_400000_NS6detail17trampoline_kernelINS0_14default_configENS1_25partition_config_selectorILNS1_17partition_subalgoE8ElNS0_10empty_typeEbEEZZNS1_14partition_implILS5_8ELb0ES3_jPlPS6_PKS6_NS0_5tupleIJS9_S6_EEENSD_IJSA_SA_EEENS0_18inequality_wrapperIZN2at6native12_GLOBAL__N_124unique_dim_cuda_templateIN3c104HalfEEESt5tupleIJNSH_6TensorESO_SO_EERKSO_lbbbEUlllE0_EEPmJS6_EEE10hipError_tPvRmT3_T4_T5_T6_T7_T9_mT8_P12ihipStream_tbDpT10_ENKUlT_T0_E_clISt17integral_constantIbLb1EES1D_IbLb0EEEEDaS19_S1A_EUlS19_E_NS1_11comp_targetILNS1_3genE10ELNS1_11target_archE1200ELNS1_3gpuE4ELNS1_3repE0EEENS1_30default_config_static_selectorELNS0_4arch9wavefront6targetE0EEEvT1_, .Lfunc_end1316-_ZN7rocprim17ROCPRIM_400000_NS6detail17trampoline_kernelINS0_14default_configENS1_25partition_config_selectorILNS1_17partition_subalgoE8ElNS0_10empty_typeEbEEZZNS1_14partition_implILS5_8ELb0ES3_jPlPS6_PKS6_NS0_5tupleIJS9_S6_EEENSD_IJSA_SA_EEENS0_18inequality_wrapperIZN2at6native12_GLOBAL__N_124unique_dim_cuda_templateIN3c104HalfEEESt5tupleIJNSH_6TensorESO_SO_EERKSO_lbbbEUlllE0_EEPmJS6_EEE10hipError_tPvRmT3_T4_T5_T6_T7_T9_mT8_P12ihipStream_tbDpT10_ENKUlT_T0_E_clISt17integral_constantIbLb1EES1D_IbLb0EEEEDaS19_S1A_EUlS19_E_NS1_11comp_targetILNS1_3genE10ELNS1_11target_archE1200ELNS1_3gpuE4ELNS1_3repE0EEENS1_30default_config_static_selectorELNS0_4arch9wavefront6targetE0EEEvT1_
                                        ; -- End function
	.section	.AMDGPU.csdata,"",@progbits
; Kernel info:
; codeLenInByte = 0
; NumSgprs: 0
; NumVgprs: 0
; ScratchSize: 0
; MemoryBound: 0
; FloatMode: 240
; IeeeMode: 1
; LDSByteSize: 0 bytes/workgroup (compile time only)
; SGPRBlocks: 0
; VGPRBlocks: 0
; NumSGPRsForWavesPerEU: 1
; NumVGPRsForWavesPerEU: 1
; Occupancy: 15
; WaveLimiterHint : 0
; COMPUTE_PGM_RSRC2:SCRATCH_EN: 0
; COMPUTE_PGM_RSRC2:USER_SGPR: 15
; COMPUTE_PGM_RSRC2:TRAP_HANDLER: 0
; COMPUTE_PGM_RSRC2:TGID_X_EN: 1
; COMPUTE_PGM_RSRC2:TGID_Y_EN: 0
; COMPUTE_PGM_RSRC2:TGID_Z_EN: 0
; COMPUTE_PGM_RSRC2:TIDIG_COMP_CNT: 0
	.section	.text._ZN7rocprim17ROCPRIM_400000_NS6detail17trampoline_kernelINS0_14default_configENS1_25partition_config_selectorILNS1_17partition_subalgoE8ElNS0_10empty_typeEbEEZZNS1_14partition_implILS5_8ELb0ES3_jPlPS6_PKS6_NS0_5tupleIJS9_S6_EEENSD_IJSA_SA_EEENS0_18inequality_wrapperIZN2at6native12_GLOBAL__N_124unique_dim_cuda_templateIN3c104HalfEEESt5tupleIJNSH_6TensorESO_SO_EERKSO_lbbbEUlllE0_EEPmJS6_EEE10hipError_tPvRmT3_T4_T5_T6_T7_T9_mT8_P12ihipStream_tbDpT10_ENKUlT_T0_E_clISt17integral_constantIbLb1EES1D_IbLb0EEEEDaS19_S1A_EUlS19_E_NS1_11comp_targetILNS1_3genE9ELNS1_11target_archE1100ELNS1_3gpuE3ELNS1_3repE0EEENS1_30default_config_static_selectorELNS0_4arch9wavefront6targetE0EEEvT1_,"axG",@progbits,_ZN7rocprim17ROCPRIM_400000_NS6detail17trampoline_kernelINS0_14default_configENS1_25partition_config_selectorILNS1_17partition_subalgoE8ElNS0_10empty_typeEbEEZZNS1_14partition_implILS5_8ELb0ES3_jPlPS6_PKS6_NS0_5tupleIJS9_S6_EEENSD_IJSA_SA_EEENS0_18inequality_wrapperIZN2at6native12_GLOBAL__N_124unique_dim_cuda_templateIN3c104HalfEEESt5tupleIJNSH_6TensorESO_SO_EERKSO_lbbbEUlllE0_EEPmJS6_EEE10hipError_tPvRmT3_T4_T5_T6_T7_T9_mT8_P12ihipStream_tbDpT10_ENKUlT_T0_E_clISt17integral_constantIbLb1EES1D_IbLb0EEEEDaS19_S1A_EUlS19_E_NS1_11comp_targetILNS1_3genE9ELNS1_11target_archE1100ELNS1_3gpuE3ELNS1_3repE0EEENS1_30default_config_static_selectorELNS0_4arch9wavefront6targetE0EEEvT1_,comdat
	.globl	_ZN7rocprim17ROCPRIM_400000_NS6detail17trampoline_kernelINS0_14default_configENS1_25partition_config_selectorILNS1_17partition_subalgoE8ElNS0_10empty_typeEbEEZZNS1_14partition_implILS5_8ELb0ES3_jPlPS6_PKS6_NS0_5tupleIJS9_S6_EEENSD_IJSA_SA_EEENS0_18inequality_wrapperIZN2at6native12_GLOBAL__N_124unique_dim_cuda_templateIN3c104HalfEEESt5tupleIJNSH_6TensorESO_SO_EERKSO_lbbbEUlllE0_EEPmJS6_EEE10hipError_tPvRmT3_T4_T5_T6_T7_T9_mT8_P12ihipStream_tbDpT10_ENKUlT_T0_E_clISt17integral_constantIbLb1EES1D_IbLb0EEEEDaS19_S1A_EUlS19_E_NS1_11comp_targetILNS1_3genE9ELNS1_11target_archE1100ELNS1_3gpuE3ELNS1_3repE0EEENS1_30default_config_static_selectorELNS0_4arch9wavefront6targetE0EEEvT1_ ; -- Begin function _ZN7rocprim17ROCPRIM_400000_NS6detail17trampoline_kernelINS0_14default_configENS1_25partition_config_selectorILNS1_17partition_subalgoE8ElNS0_10empty_typeEbEEZZNS1_14partition_implILS5_8ELb0ES3_jPlPS6_PKS6_NS0_5tupleIJS9_S6_EEENSD_IJSA_SA_EEENS0_18inequality_wrapperIZN2at6native12_GLOBAL__N_124unique_dim_cuda_templateIN3c104HalfEEESt5tupleIJNSH_6TensorESO_SO_EERKSO_lbbbEUlllE0_EEPmJS6_EEE10hipError_tPvRmT3_T4_T5_T6_T7_T9_mT8_P12ihipStream_tbDpT10_ENKUlT_T0_E_clISt17integral_constantIbLb1EES1D_IbLb0EEEEDaS19_S1A_EUlS19_E_NS1_11comp_targetILNS1_3genE9ELNS1_11target_archE1100ELNS1_3gpuE3ELNS1_3repE0EEENS1_30default_config_static_selectorELNS0_4arch9wavefront6targetE0EEEvT1_
	.p2align	8
	.type	_ZN7rocprim17ROCPRIM_400000_NS6detail17trampoline_kernelINS0_14default_configENS1_25partition_config_selectorILNS1_17partition_subalgoE8ElNS0_10empty_typeEbEEZZNS1_14partition_implILS5_8ELb0ES3_jPlPS6_PKS6_NS0_5tupleIJS9_S6_EEENSD_IJSA_SA_EEENS0_18inequality_wrapperIZN2at6native12_GLOBAL__N_124unique_dim_cuda_templateIN3c104HalfEEESt5tupleIJNSH_6TensorESO_SO_EERKSO_lbbbEUlllE0_EEPmJS6_EEE10hipError_tPvRmT3_T4_T5_T6_T7_T9_mT8_P12ihipStream_tbDpT10_ENKUlT_T0_E_clISt17integral_constantIbLb1EES1D_IbLb0EEEEDaS19_S1A_EUlS19_E_NS1_11comp_targetILNS1_3genE9ELNS1_11target_archE1100ELNS1_3gpuE3ELNS1_3repE0EEENS1_30default_config_static_selectorELNS0_4arch9wavefront6targetE0EEEvT1_,@function
_ZN7rocprim17ROCPRIM_400000_NS6detail17trampoline_kernelINS0_14default_configENS1_25partition_config_selectorILNS1_17partition_subalgoE8ElNS0_10empty_typeEbEEZZNS1_14partition_implILS5_8ELb0ES3_jPlPS6_PKS6_NS0_5tupleIJS9_S6_EEENSD_IJSA_SA_EEENS0_18inequality_wrapperIZN2at6native12_GLOBAL__N_124unique_dim_cuda_templateIN3c104HalfEEESt5tupleIJNSH_6TensorESO_SO_EERKSO_lbbbEUlllE0_EEPmJS6_EEE10hipError_tPvRmT3_T4_T5_T6_T7_T9_mT8_P12ihipStream_tbDpT10_ENKUlT_T0_E_clISt17integral_constantIbLb1EES1D_IbLb0EEEEDaS19_S1A_EUlS19_E_NS1_11comp_targetILNS1_3genE9ELNS1_11target_archE1100ELNS1_3gpuE3ELNS1_3repE0EEENS1_30default_config_static_selectorELNS0_4arch9wavefront6targetE0EEEvT1_: ; @_ZN7rocprim17ROCPRIM_400000_NS6detail17trampoline_kernelINS0_14default_configENS1_25partition_config_selectorILNS1_17partition_subalgoE8ElNS0_10empty_typeEbEEZZNS1_14partition_implILS5_8ELb0ES3_jPlPS6_PKS6_NS0_5tupleIJS9_S6_EEENSD_IJSA_SA_EEENS0_18inequality_wrapperIZN2at6native12_GLOBAL__N_124unique_dim_cuda_templateIN3c104HalfEEESt5tupleIJNSH_6TensorESO_SO_EERKSO_lbbbEUlllE0_EEPmJS6_EEE10hipError_tPvRmT3_T4_T5_T6_T7_T9_mT8_P12ihipStream_tbDpT10_ENKUlT_T0_E_clISt17integral_constantIbLb1EES1D_IbLb0EEEEDaS19_S1A_EUlS19_E_NS1_11comp_targetILNS1_3genE9ELNS1_11target_archE1100ELNS1_3gpuE3ELNS1_3repE0EEENS1_30default_config_static_selectorELNS0_4arch9wavefront6targetE0EEEvT1_
; %bb.0:
	s_clause 0x3
	s_load_b128 s[4:7], s[0:1], 0x8
	s_load_b256 s[16:23], s[0:1], 0x40
	s_load_b32 s14, s[0:1], 0x70
	s_load_b128 s[8:11], s[0:1], 0x60
	s_mov_b32 s3, 0
	v_lshlrev_b32_e32 v39, 3, v0
	v_lshrrev_b32_e32 v17, 2, v0
	v_or_b32_e32 v24, 0x200, v0
	v_or_b32_e32 v22, 0x400, v0
	;; [unrolled: 1-line block ×7, first 2 shown]
	s_waitcnt lgkmcnt(0)
	s_lshl_b64 s[24:25], s[6:7], 3
	s_load_b64 s[12:13], s[18:19], 0x0
	s_add_u32 s26, s4, s24
	s_addc_u32 s5, s5, s25
	s_add_i32 s24, s14, -1
	s_lshl_b32 s14, s14, 12
	s_lshl_b32 s4, s24, 12
	;; [unrolled: 1-line block ×3, first 2 shown]
	s_add_i32 s4, s6, s4
	s_add_u32 s18, s6, s14
	s_addc_u32 s19, s7, 0
	s_cmp_eq_u32 s15, s24
	v_cmp_ge_u64_e64 s18, s[18:19], s[20:21]
	s_cselect_b32 s14, -1, 0
	s_lshl_b64 s[2:3], s[2:3], 3
	s_delay_alu instid0(VALU_DEP_1) | instskip(NEXT) | instid1(SALU_CYCLE_1)
	s_and_b32 s24, s14, s18
	s_xor_b32 s21, s24, -1
	s_add_u32 s2, s26, s2
	s_addc_u32 s3, s5, s3
	s_and_b32 vcc_lo, exec_lo, s21
	s_mov_b32 s5, -1
	s_cbranch_vccz .LBB1317_2
; %bb.1:
	v_add_co_u32 v9, s5, s2, v39
	s_delay_alu instid0(VALU_DEP_1)
	v_add_co_ci_u32_e64 v10, null, s3, 0, s5
	global_load_b64 v[1:2], v39, s[2:3]
	v_add_co_u32 v3, vcc_lo, v9, 0x2000
	v_add_co_ci_u32_e32 v4, vcc_lo, 0, v10, vcc_lo
	v_add_co_u32 v5, vcc_lo, v9, 0x4000
	v_add_co_ci_u32_e32 v6, vcc_lo, 0, v10, vcc_lo
	;; [unrolled: 2-line block ×4, first 2 shown]
	s_clause 0x6
	global_load_b64 v[11:12], v[3:4], off offset:-4096
	global_load_b64 v[3:4], v[3:4], off
	global_load_b64 v[13:14], v[5:6], off offset:-4096
	global_load_b64 v[5:6], v[5:6], off
	;; [unrolled: 2-line block ×3, first 2 shown]
	global_load_b64 v[9:10], v[9:10], off
	v_lshrrev_b32_e32 v26, 2, v24
	v_lshrrev_b32_e32 v27, 2, v22
	;; [unrolled: 1-line block ×4, first 2 shown]
	v_and_b32_e32 v25, 0x78, v17
	v_lshrrev_b32_e32 v30, 2, v20
	v_lshrrev_b32_e32 v31, 2, v19
	;; [unrolled: 1-line block ×3, first 2 shown]
	v_and_b32_e32 v26, 0xf8, v26
	v_and_b32_e32 v27, 0x178, v27
	;; [unrolled: 1-line block ×4, first 2 shown]
	v_add_nc_u32_e32 v25, v25, v39
	v_and_b32_e32 v30, 0x2f8, v30
	v_and_b32_e32 v31, 0x378, v31
	;; [unrolled: 1-line block ×3, first 2 shown]
	v_add_nc_u32_e32 v26, v26, v39
	v_add_nc_u32_e32 v27, v27, v39
	v_add_nc_u32_e32 v28, v28, v39
	v_add_nc_u32_e32 v29, v29, v39
	s_mov_b32 s5, 0
	v_add_nc_u32_e32 v30, v30, v39
	v_add_nc_u32_e32 v31, v31, v39
	;; [unrolled: 1-line block ×3, first 2 shown]
	s_waitcnt vmcnt(7)
	ds_store_b64 v25, v[1:2]
	s_waitcnt vmcnt(6)
	ds_store_b64 v26, v[11:12] offset:4096
	s_waitcnt vmcnt(5)
	ds_store_b64 v27, v[3:4] offset:8192
	;; [unrolled: 2-line block ×7, first 2 shown]
	s_waitcnt lgkmcnt(0)
	s_barrier
.LBB1317_2:
	s_and_not1_b32 vcc_lo, exec_lo, s5
	s_sub_i32 s20, s20, s4
	s_cbranch_vccnz .LBB1317_13
; %bb.3:
	s_mov_b32 s4, exec_lo
                                        ; implicit-def: $vgpr1_vgpr2_vgpr3_vgpr4_vgpr5_vgpr6_vgpr7_vgpr8_vgpr9_vgpr10_vgpr11_vgpr12_vgpr13_vgpr14_vgpr15_vgpr16
	v_cmpx_gt_u32_e64 s20, v0
	s_cbranch_execnz .LBB1317_23
; %bb.4:
	s_or_b32 exec_lo, exec_lo, s4
	s_delay_alu instid0(SALU_CYCLE_1)
	s_mov_b32 s4, exec_lo
	v_cmpx_gt_u32_e64 s20, v24
	s_cbranch_execnz .LBB1317_24
.LBB1317_5:
	s_or_b32 exec_lo, exec_lo, s4
	s_delay_alu instid0(SALU_CYCLE_1)
	s_mov_b32 s4, exec_lo
	v_cmpx_gt_u32_e64 s20, v22
	s_cbranch_execnz .LBB1317_25
.LBB1317_6:
	s_or_b32 exec_lo, exec_lo, s4
	s_delay_alu instid0(SALU_CYCLE_1)
	s_mov_b32 s4, exec_lo
	v_cmpx_gt_u32_e64 s20, v23
	s_cbranch_execnz .LBB1317_26
.LBB1317_7:
	s_or_b32 exec_lo, exec_lo, s4
	s_delay_alu instid0(SALU_CYCLE_1)
	s_mov_b32 s4, exec_lo
	v_cmpx_gt_u32_e64 s20, v21
	s_cbranch_execnz .LBB1317_27
.LBB1317_8:
	s_or_b32 exec_lo, exec_lo, s4
	s_delay_alu instid0(SALU_CYCLE_1)
	s_mov_b32 s4, exec_lo
	v_cmpx_gt_u32_e64 s20, v20
	s_cbranch_execnz .LBB1317_28
.LBB1317_9:
	s_or_b32 exec_lo, exec_lo, s4
	s_delay_alu instid0(SALU_CYCLE_1)
	s_mov_b32 s4, exec_lo
	v_cmpx_gt_u32_e64 s20, v19
	s_cbranch_execnz .LBB1317_29
.LBB1317_10:
	s_or_b32 exec_lo, exec_lo, s4
	s_delay_alu instid0(SALU_CYCLE_1)
	s_mov_b32 s4, exec_lo
	v_cmpx_gt_u32_e64 s20, v18
	s_cbranch_execz .LBB1317_12
.LBB1317_11:
	v_lshlrev_b32_e32 v15, 3, v18
	global_load_b64 v[15:16], v15, s[2:3]
.LBB1317_12:
	s_or_b32 exec_lo, exec_lo, s4
	v_lshrrev_b32_e32 v24, 2, v24
	v_lshrrev_b32_e32 v22, 2, v22
	;; [unrolled: 1-line block ×4, first 2 shown]
	v_and_b32_e32 v25, 0x78, v17
	v_lshrrev_b32_e32 v20, 2, v20
	v_lshrrev_b32_e32 v19, 2, v19
	;; [unrolled: 1-line block ×3, first 2 shown]
	v_and_b32_e32 v24, 0xf8, v24
	v_and_b32_e32 v22, 0x1f8, v22
	v_and_b32_e32 v23, 0x1f8, v23
	v_and_b32_e32 v21, 0x3f8, v21
	v_add_nc_u32_e32 v25, v25, v39
	v_and_b32_e32 v20, 0x3f8, v20
	v_and_b32_e32 v19, 0x3f8, v19
	;; [unrolled: 1-line block ×3, first 2 shown]
	v_add_nc_u32_e32 v24, v24, v39
	v_add_nc_u32_e32 v22, v22, v39
	;; [unrolled: 1-line block ×7, first 2 shown]
	s_waitcnt vmcnt(0)
	ds_store_b64 v25, v[1:2]
	ds_store_b64 v24, v[3:4] offset:4096
	ds_store_b64 v22, v[5:6] offset:8192
	ds_store_b64 v23, v[7:8] offset:12288
	ds_store_b64 v21, v[9:10] offset:16384
	ds_store_b64 v20, v[11:12] offset:20480
	ds_store_b64 v19, v[13:14] offset:24576
	ds_store_b64 v18, v[15:16] offset:28672
	s_waitcnt lgkmcnt(0)
	s_barrier
.LBB1317_13:
	v_add_lshl_u32 v1, v17, v39, 3
	s_waitcnt lgkmcnt(0)
	buffer_gl0_inv
	s_cmp_lg_u32 s15, 0
	v_cmp_gt_i64_e64 s26, s[22:23], 0
	s_cselect_b32 s25, -1, 0
	ds_load_2addr_b64 v[13:16], v1 offset1:1
	ds_load_2addr_b64 v[9:12], v1 offset0:2 offset1:3
	ds_load_2addr_b64 v[5:8], v1 offset0:4 offset1:5
	;; [unrolled: 1-line block ×3, first 2 shown]
	s_cmp_lg_u64 s[6:7], 0
	s_mov_b32 s18, 0
	s_cselect_b32 s4, -1, 0
	s_waitcnt lgkmcnt(0)
	s_or_b32 s4, s25, s4
	s_barrier
	s_and_b32 vcc_lo, exec_lo, s4
	buffer_gl0_inv
	s_cbranch_vccz .LBB1317_22
; %bb.14:
	s_add_u32 s2, s2, -8
	s_addc_u32 s3, s3, -1
	v_cndmask_b32_e64 v25, 0, 1, s26
	s_load_b64 s[4:5], s[2:3], 0x0
	s_and_b32 vcc_lo, exec_lo, s21
	ds_store_b64 v39, v[3:4]
	v_cmp_ne_u32_e64 s2, 1, v25
	s_cbranch_vccz .LBB1317_30
; %bb.15:
	v_mul_lo_u32 v19, v2, s22
	v_mul_lo_u32 v20, v1, s23
	v_mad_u64_u32 v[17:18], null, v1, s22, 0
	s_mov_b32 s3, 0
	s_and_b32 vcc_lo, exec_lo, s2
	s_mov_b32 s27, 0
	s_delay_alu instid0(VALU_DEP_1) | instskip(NEXT) | instid1(VALU_DEP_1)
	v_add3_u32 v18, v18, v20, v19
	v_lshlrev_b64 v[17:18], 1, v[17:18]
	s_cbranch_vccnz .LBB1317_33
; %bb.16:
	v_mul_lo_u32 v21, v4, s22
	v_mul_lo_u32 v22, v3, s23
	v_mad_u64_u32 v[19:20], null, v3, s22, 0
	s_mov_b32 s27, -1
	s_mov_b32 s28, exec_lo
	s_delay_alu instid0(VALU_DEP_1) | instskip(SKIP_2) | instid1(VALU_DEP_3)
	v_add3_u32 v20, v20, v22, v21
	v_add_co_u32 v21, vcc_lo, s8, v17
	v_add_co_ci_u32_e32 v22, vcc_lo, s9, v18, vcc_lo
	v_lshlrev_b64 v[19:20], 1, v[19:20]
	s_delay_alu instid0(VALU_DEP_1) | instskip(NEXT) | instid1(VALU_DEP_2)
	v_add_co_u32 v19, vcc_lo, s8, v19
	v_add_co_ci_u32_e32 v20, vcc_lo, s9, v20, vcc_lo
	s_clause 0x1
	global_load_u16 v23, v[21:22], off
	global_load_u16 v24, v[19:20], off
	s_waitcnt vmcnt(0)
	v_cmpx_eq_f16_e32 v23, v24
	s_cbranch_execz .LBB1317_32
; %bb.17:
	v_add_co_u32 v19, vcc_lo, v19, 2
	v_add_co_ci_u32_e32 v20, vcc_lo, 0, v20, vcc_lo
	v_add_co_u32 v21, vcc_lo, v21, 2
	v_add_co_ci_u32_e32 v22, vcc_lo, 0, v22, vcc_lo
	s_add_u32 s6, s22, -1
	s_addc_u32 s7, s23, -1
	s_mov_b64 s[18:19], 0
	s_mov_b32 s27, 0
                                        ; implicit-def: $sgpr29
	s_set_inst_prefetch_distance 0x1
	s_branch .LBB1317_20
	.p2align	6
.LBB1317_18:                            ;   in Loop: Header=BB1317_20 Depth=1
	global_load_u16 v23, v[21:22], off
	global_load_u16 v24, v[19:20], off
	v_add_co_u32 v19, vcc_lo, v19, 2
	v_add_co_ci_u32_e32 v20, vcc_lo, 0, v20, vcc_lo
	v_add_co_u32 v21, s2, v21, 2
	s_delay_alu instid0(VALU_DEP_1)
	v_add_co_ci_u32_e64 v22, s2, 0, v22, s2
	s_add_u32 s18, s18, 1
	s_addc_u32 s19, s19, 0
	s_and_not1_b32 s2, s29, exec_lo
	s_waitcnt vmcnt(0)
	v_cmp_neq_f16_e32 vcc_lo, v23, v24
	s_and_b32 s29, vcc_lo, exec_lo
	s_delay_alu instid0(SALU_CYCLE_1)
	s_or_b32 s29, s2, s29
.LBB1317_19:                            ;   in Loop: Header=BB1317_20 Depth=1
	v_dual_mov_b32 v24, s19 :: v_dual_mov_b32 v23, s18
	s_and_b32 s2, exec_lo, s29
	s_delay_alu instid0(SALU_CYCLE_1) | instskip(NEXT) | instid1(SALU_CYCLE_1)
	s_or_b32 s27, s2, s27
	s_and_not1_b32 exec_lo, exec_lo, s27
	s_cbranch_execz .LBB1317_31
.LBB1317_20:                            ; =>This Inner Loop Header: Depth=1
	s_or_b32 s29, s29, exec_lo
	s_cmp_eq_u64 s[6:7], s[18:19]
	s_cbranch_scc0 .LBB1317_18
; %bb.21:                               ;   in Loop: Header=BB1317_20 Depth=1
	s_mov_b64 s[18:19], s[22:23]
                                        ; implicit-def: $vgpr19_vgpr20
                                        ; implicit-def: $vgpr21_vgpr22
	s_branch .LBB1317_19
.LBB1317_22:
                                        ; implicit-def: $sgpr2
                                        ; implicit-def: $vgpr18
	s_branch .LBB1317_191
.LBB1317_23:
	global_load_b64 v[1:2], v39, s[2:3]
	s_or_b32 exec_lo, exec_lo, s4
	s_delay_alu instid0(SALU_CYCLE_1)
	s_mov_b32 s4, exec_lo
	v_cmpx_gt_u32_e64 s20, v24
	s_cbranch_execz .LBB1317_5
.LBB1317_24:
	v_lshlrev_b32_e32 v3, 3, v24
	global_load_b64 v[3:4], v3, s[2:3]
	s_or_b32 exec_lo, exec_lo, s4
	s_delay_alu instid0(SALU_CYCLE_1)
	s_mov_b32 s4, exec_lo
	v_cmpx_gt_u32_e64 s20, v22
	s_cbranch_execz .LBB1317_6
.LBB1317_25:
	v_lshlrev_b32_e32 v5, 3, v22
	global_load_b64 v[5:6], v5, s[2:3]
	s_or_b32 exec_lo, exec_lo, s4
	s_delay_alu instid0(SALU_CYCLE_1)
	s_mov_b32 s4, exec_lo
	v_cmpx_gt_u32_e64 s20, v23
	s_cbranch_execz .LBB1317_7
.LBB1317_26:
	v_lshlrev_b32_e32 v7, 3, v23
	global_load_b64 v[7:8], v7, s[2:3]
	s_or_b32 exec_lo, exec_lo, s4
	s_delay_alu instid0(SALU_CYCLE_1)
	s_mov_b32 s4, exec_lo
	v_cmpx_gt_u32_e64 s20, v21
	s_cbranch_execz .LBB1317_8
.LBB1317_27:
	v_lshlrev_b32_e32 v9, 3, v21
	global_load_b64 v[9:10], v9, s[2:3]
	s_or_b32 exec_lo, exec_lo, s4
	s_delay_alu instid0(SALU_CYCLE_1)
	s_mov_b32 s4, exec_lo
	v_cmpx_gt_u32_e64 s20, v20
	s_cbranch_execz .LBB1317_9
.LBB1317_28:
	v_lshlrev_b32_e32 v11, 3, v20
	global_load_b64 v[11:12], v11, s[2:3]
	s_or_b32 exec_lo, exec_lo, s4
	s_delay_alu instid0(SALU_CYCLE_1)
	s_mov_b32 s4, exec_lo
	v_cmpx_gt_u32_e64 s20, v19
	s_cbranch_execz .LBB1317_10
.LBB1317_29:
	v_lshlrev_b32_e32 v13, 3, v19
	global_load_b64 v[13:14], v13, s[2:3]
	s_or_b32 exec_lo, exec_lo, s4
	s_delay_alu instid0(SALU_CYCLE_1)
	s_mov_b32 s4, exec_lo
	v_cmpx_gt_u32_e64 s20, v18
	s_cbranch_execnz .LBB1317_11
	s_branch .LBB1317_12
.LBB1317_30:
                                        ; implicit-def: $sgpr2
                                        ; implicit-def: $vgpr18
	s_cbranch_execnz .LBB1317_99
	s_branch .LBB1317_190
.LBB1317_31:
	s_set_inst_prefetch_distance 0x2
	s_or_b32 exec_lo, exec_lo, s27
	v_cmp_gt_i64_e32 vcc_lo, s[22:23], v[23:24]
	s_or_not1_b32 s27, vcc_lo, exec_lo
.LBB1317_32:
	s_or_b32 exec_lo, exec_lo, s28
.LBB1317_33:
	v_mul_lo_u32 v21, v8, s22
	v_mul_lo_u32 v22, v7, s23
	v_mad_u64_u32 v[19:20], null, v7, s22, 0
	s_and_not1_b32 vcc_lo, exec_lo, s26
	s_delay_alu instid0(VALU_DEP_1) | instskip(NEXT) | instid1(VALU_DEP_1)
	v_add3_u32 v20, v20, v22, v21
	v_lshlrev_b64 v[19:20], 1, v[19:20]
	s_cbranch_vccnz .LBB1317_42
; %bb.34:
	s_delay_alu instid0(VALU_DEP_1) | instskip(NEXT) | instid1(VALU_DEP_2)
	v_add_co_u32 v21, vcc_lo, s8, v19
	v_add_co_ci_u32_e32 v22, vcc_lo, s9, v20, vcc_lo
	v_add_co_u32 v17, vcc_lo, s8, v17
	v_add_co_ci_u32_e32 v18, vcc_lo, s9, v18, vcc_lo
	s_mov_b32 s3, -1
	s_clause 0x1
	global_load_u16 v23, v[21:22], off
	global_load_u16 v24, v[17:18], off
	s_mov_b32 s28, exec_lo
	s_waitcnt vmcnt(0)
	v_cmpx_eq_f16_e32 v23, v24
	s_cbranch_execz .LBB1317_41
; %bb.35:
	v_add_co_u32 v17, vcc_lo, v17, 2
	v_add_co_ci_u32_e32 v18, vcc_lo, 0, v18, vcc_lo
	v_add_co_u32 v21, vcc_lo, v21, 2
	v_add_co_ci_u32_e32 v22, vcc_lo, 0, v22, vcc_lo
	s_add_u32 s6, s22, -1
	s_addc_u32 s7, s23, -1
	s_mov_b64 s[18:19], 0
	s_mov_b32 s3, 0
                                        ; implicit-def: $sgpr29
	s_set_inst_prefetch_distance 0x1
	s_branch .LBB1317_38
	.p2align	6
.LBB1317_36:                            ;   in Loop: Header=BB1317_38 Depth=1
	global_load_u16 v23, v[21:22], off
	global_load_u16 v24, v[17:18], off
	v_add_co_u32 v17, vcc_lo, v17, 2
	v_add_co_ci_u32_e32 v18, vcc_lo, 0, v18, vcc_lo
	v_add_co_u32 v21, s2, v21, 2
	s_delay_alu instid0(VALU_DEP_1)
	v_add_co_ci_u32_e64 v22, s2, 0, v22, s2
	s_add_u32 s18, s18, 1
	s_addc_u32 s19, s19, 0
	s_and_not1_b32 s2, s29, exec_lo
	s_waitcnt vmcnt(0)
	v_cmp_neq_f16_e32 vcc_lo, v23, v24
	s_and_b32 s29, vcc_lo, exec_lo
	s_delay_alu instid0(SALU_CYCLE_1)
	s_or_b32 s29, s2, s29
.LBB1317_37:                            ;   in Loop: Header=BB1317_38 Depth=1
	v_dual_mov_b32 v24, s19 :: v_dual_mov_b32 v23, s18
	s_and_b32 s2, exec_lo, s29
	s_delay_alu instid0(SALU_CYCLE_1) | instskip(NEXT) | instid1(SALU_CYCLE_1)
	s_or_b32 s3, s2, s3
	s_and_not1_b32 exec_lo, exec_lo, s3
	s_cbranch_execz .LBB1317_40
.LBB1317_38:                            ; =>This Inner Loop Header: Depth=1
	s_or_b32 s29, s29, exec_lo
	s_cmp_eq_u64 s[6:7], s[18:19]
	s_cbranch_scc0 .LBB1317_36
; %bb.39:                               ;   in Loop: Header=BB1317_38 Depth=1
	s_mov_b64 s[18:19], s[22:23]
                                        ; implicit-def: $vgpr17_vgpr18
                                        ; implicit-def: $vgpr21_vgpr22
	s_branch .LBB1317_37
.LBB1317_40:
	s_set_inst_prefetch_distance 0x2
	s_or_b32 exec_lo, exec_lo, s3
	v_cmp_gt_i64_e32 vcc_lo, s[22:23], v[23:24]
	s_or_not1_b32 s3, vcc_lo, exec_lo
.LBB1317_41:
	s_or_b32 exec_lo, exec_lo, s28
.LBB1317_42:
	v_mul_lo_u32 v21, v6, s22
	v_mul_lo_u32 v22, v5, s23
	v_mad_u64_u32 v[17:18], null, v5, s22, 0
	s_mov_b32 s28, 0
	s_and_not1_b32 vcc_lo, exec_lo, s26
	s_mov_b32 s29, 0
	s_delay_alu instid0(VALU_DEP_1) | instskip(NEXT) | instid1(VALU_DEP_1)
	v_add3_u32 v18, v18, v22, v21
	v_lshlrev_b64 v[21:22], 1, v[17:18]
	s_cbranch_vccnz .LBB1317_51
; %bb.43:
	s_delay_alu instid0(VALU_DEP_1) | instskip(NEXT) | instid1(VALU_DEP_2)
	v_add_co_u32 v23, vcc_lo, s8, v21
	v_add_co_ci_u32_e32 v24, vcc_lo, s9, v22, vcc_lo
	v_add_co_u32 v17, vcc_lo, s8, v19
	v_add_co_ci_u32_e32 v18, vcc_lo, s9, v20, vcc_lo
	s_mov_b32 s29, -1
	s_clause 0x1
	global_load_u16 v19, v[23:24], off
	global_load_u16 v20, v[17:18], off
	s_mov_b32 s30, exec_lo
	s_waitcnt vmcnt(0)
	v_cmpx_eq_f16_e32 v19, v20
	s_cbranch_execz .LBB1317_50
; %bb.44:
	v_add_co_u32 v17, vcc_lo, v17, 2
	v_add_co_ci_u32_e32 v18, vcc_lo, 0, v18, vcc_lo
	v_add_co_u32 v19, vcc_lo, v23, 2
	v_add_co_ci_u32_e32 v20, vcc_lo, 0, v24, vcc_lo
	s_add_u32 s6, s22, -1
	s_addc_u32 s7, s23, -1
	s_mov_b64 s[18:19], 0
	s_mov_b32 s29, 0
                                        ; implicit-def: $sgpr31
	s_set_inst_prefetch_distance 0x1
	s_branch .LBB1317_47
	.p2align	6
.LBB1317_45:                            ;   in Loop: Header=BB1317_47 Depth=1
	global_load_u16 v23, v[19:20], off
	global_load_u16 v24, v[17:18], off
	v_add_co_u32 v17, vcc_lo, v17, 2
	v_add_co_ci_u32_e32 v18, vcc_lo, 0, v18, vcc_lo
	v_add_co_u32 v19, s2, v19, 2
	s_delay_alu instid0(VALU_DEP_1)
	v_add_co_ci_u32_e64 v20, s2, 0, v20, s2
	s_add_u32 s18, s18, 1
	s_addc_u32 s19, s19, 0
	s_and_not1_b32 s2, s31, exec_lo
	s_waitcnt vmcnt(0)
	v_cmp_neq_f16_e32 vcc_lo, v23, v24
	s_and_b32 s31, vcc_lo, exec_lo
	s_delay_alu instid0(SALU_CYCLE_1)
	s_or_b32 s31, s2, s31
.LBB1317_46:                            ;   in Loop: Header=BB1317_47 Depth=1
	v_dual_mov_b32 v24, s19 :: v_dual_mov_b32 v23, s18
	s_and_b32 s2, exec_lo, s31
	s_delay_alu instid0(SALU_CYCLE_1) | instskip(NEXT) | instid1(SALU_CYCLE_1)
	s_or_b32 s29, s2, s29
	s_and_not1_b32 exec_lo, exec_lo, s29
	s_cbranch_execz .LBB1317_49
.LBB1317_47:                            ; =>This Inner Loop Header: Depth=1
	s_or_b32 s31, s31, exec_lo
	s_cmp_eq_u64 s[6:7], s[18:19]
	s_cbranch_scc0 .LBB1317_45
; %bb.48:                               ;   in Loop: Header=BB1317_47 Depth=1
	s_mov_b64 s[18:19], s[22:23]
                                        ; implicit-def: $vgpr17_vgpr18
                                        ; implicit-def: $vgpr19_vgpr20
	s_branch .LBB1317_46
.LBB1317_49:
	s_set_inst_prefetch_distance 0x2
	s_or_b32 exec_lo, exec_lo, s29
	v_cmp_gt_i64_e32 vcc_lo, s[22:23], v[23:24]
	s_or_not1_b32 s29, vcc_lo, exec_lo
.LBB1317_50:
	s_or_b32 exec_lo, exec_lo, s30
.LBB1317_51:
	v_mul_lo_u32 v19, v12, s22
	v_mul_lo_u32 v20, v11, s23
	v_mad_u64_u32 v[17:18], null, v11, s22, 0
	s_and_not1_b32 vcc_lo, exec_lo, s26
	s_delay_alu instid0(VALU_DEP_1) | instskip(NEXT) | instid1(VALU_DEP_1)
	v_add3_u32 v18, v18, v20, v19
	v_lshlrev_b64 v[17:18], 1, v[17:18]
	s_cbranch_vccnz .LBB1317_60
; %bb.52:
	s_delay_alu instid0(VALU_DEP_1) | instskip(NEXT) | instid1(VALU_DEP_2)
	v_add_co_u32 v23, vcc_lo, s8, v17
	v_add_co_ci_u32_e32 v24, vcc_lo, s9, v18, vcc_lo
	v_add_co_u32 v19, vcc_lo, s8, v21
	v_add_co_ci_u32_e32 v20, vcc_lo, s9, v22, vcc_lo
	s_mov_b32 s28, -1
	s_clause 0x1
	global_load_u16 v21, v[23:24], off
	global_load_u16 v22, v[19:20], off
	s_mov_b32 s30, exec_lo
	s_waitcnt vmcnt(0)
	v_cmpx_eq_f16_e32 v21, v22
	s_cbranch_execz .LBB1317_59
; %bb.53:
	v_add_co_u32 v19, vcc_lo, v19, 2
	v_add_co_ci_u32_e32 v20, vcc_lo, 0, v20, vcc_lo
	v_add_co_u32 v21, vcc_lo, v23, 2
	v_add_co_ci_u32_e32 v22, vcc_lo, 0, v24, vcc_lo
	s_add_u32 s6, s22, -1
	s_addc_u32 s7, s23, -1
	s_mov_b64 s[18:19], 0
	s_mov_b32 s28, 0
                                        ; implicit-def: $sgpr31
	s_set_inst_prefetch_distance 0x1
	s_branch .LBB1317_56
	.p2align	6
.LBB1317_54:                            ;   in Loop: Header=BB1317_56 Depth=1
	global_load_u16 v23, v[21:22], off
	global_load_u16 v24, v[19:20], off
	v_add_co_u32 v19, vcc_lo, v19, 2
	v_add_co_ci_u32_e32 v20, vcc_lo, 0, v20, vcc_lo
	v_add_co_u32 v21, s2, v21, 2
	s_delay_alu instid0(VALU_DEP_1)
	v_add_co_ci_u32_e64 v22, s2, 0, v22, s2
	s_add_u32 s18, s18, 1
	s_addc_u32 s19, s19, 0
	s_and_not1_b32 s2, s31, exec_lo
	s_waitcnt vmcnt(0)
	v_cmp_neq_f16_e32 vcc_lo, v23, v24
	s_and_b32 s31, vcc_lo, exec_lo
	s_delay_alu instid0(SALU_CYCLE_1)
	s_or_b32 s31, s2, s31
.LBB1317_55:                            ;   in Loop: Header=BB1317_56 Depth=1
	v_dual_mov_b32 v24, s19 :: v_dual_mov_b32 v23, s18
	s_and_b32 s2, exec_lo, s31
	s_delay_alu instid0(SALU_CYCLE_1) | instskip(NEXT) | instid1(SALU_CYCLE_1)
	s_or_b32 s28, s2, s28
	s_and_not1_b32 exec_lo, exec_lo, s28
	s_cbranch_execz .LBB1317_58
.LBB1317_56:                            ; =>This Inner Loop Header: Depth=1
	s_or_b32 s31, s31, exec_lo
	s_cmp_eq_u64 s[6:7], s[18:19]
	s_cbranch_scc0 .LBB1317_54
; %bb.57:                               ;   in Loop: Header=BB1317_56 Depth=1
	s_mov_b64 s[18:19], s[22:23]
                                        ; implicit-def: $vgpr19_vgpr20
                                        ; implicit-def: $vgpr21_vgpr22
	s_branch .LBB1317_55
.LBB1317_58:
	s_set_inst_prefetch_distance 0x2
	s_or_b32 exec_lo, exec_lo, s28
	v_cmp_gt_i64_e32 vcc_lo, s[22:23], v[23:24]
	s_or_not1_b32 s28, vcc_lo, exec_lo
.LBB1317_59:
	s_or_b32 exec_lo, exec_lo, s30
.LBB1317_60:
	v_mul_lo_u32 v21, v10, s22
	v_mul_lo_u32 v22, v9, s23
	v_mad_u64_u32 v[19:20], null, v9, s22, 0
	s_mov_b32 s30, 0
	s_and_not1_b32 vcc_lo, exec_lo, s26
	s_mov_b32 s31, 0
	s_delay_alu instid0(VALU_DEP_1) | instskip(NEXT) | instid1(VALU_DEP_1)
	v_add3_u32 v20, v20, v22, v21
	v_lshlrev_b64 v[21:22], 1, v[19:20]
	s_cbranch_vccnz .LBB1317_69
; %bb.61:
	s_delay_alu instid0(VALU_DEP_1) | instskip(NEXT) | instid1(VALU_DEP_2)
	v_add_co_u32 v19, vcc_lo, s8, v21
	v_add_co_ci_u32_e32 v20, vcc_lo, s9, v22, vcc_lo
	v_add_co_u32 v17, vcc_lo, s8, v17
	v_add_co_ci_u32_e32 v18, vcc_lo, s9, v18, vcc_lo
	s_mov_b32 s31, -1
	s_clause 0x1
	global_load_u16 v23, v[19:20], off
	global_load_u16 v24, v[17:18], off
	s_mov_b32 s33, exec_lo
	s_waitcnt vmcnt(0)
	v_cmpx_eq_f16_e32 v23, v24
	s_cbranch_execz .LBB1317_68
; %bb.62:
	v_add_co_u32 v17, vcc_lo, v17, 2
	v_add_co_ci_u32_e32 v18, vcc_lo, 0, v18, vcc_lo
	v_add_co_u32 v19, vcc_lo, v19, 2
	v_add_co_ci_u32_e32 v20, vcc_lo, 0, v20, vcc_lo
	s_add_u32 s6, s22, -1
	s_addc_u32 s7, s23, -1
	s_mov_b64 s[18:19], 0
	s_mov_b32 s31, 0
                                        ; implicit-def: $sgpr34
	s_set_inst_prefetch_distance 0x1
	s_branch .LBB1317_65
	.p2align	6
.LBB1317_63:                            ;   in Loop: Header=BB1317_65 Depth=1
	global_load_u16 v23, v[19:20], off
	global_load_u16 v24, v[17:18], off
	v_add_co_u32 v17, vcc_lo, v17, 2
	v_add_co_ci_u32_e32 v18, vcc_lo, 0, v18, vcc_lo
	v_add_co_u32 v19, s2, v19, 2
	s_delay_alu instid0(VALU_DEP_1)
	v_add_co_ci_u32_e64 v20, s2, 0, v20, s2
	s_add_u32 s18, s18, 1
	s_addc_u32 s19, s19, 0
	s_and_not1_b32 s2, s34, exec_lo
	s_waitcnt vmcnt(0)
	v_cmp_neq_f16_e32 vcc_lo, v23, v24
	s_and_b32 s34, vcc_lo, exec_lo
	s_delay_alu instid0(SALU_CYCLE_1)
	s_or_b32 s34, s2, s34
.LBB1317_64:                            ;   in Loop: Header=BB1317_65 Depth=1
	v_dual_mov_b32 v24, s19 :: v_dual_mov_b32 v23, s18
	s_and_b32 s2, exec_lo, s34
	s_delay_alu instid0(SALU_CYCLE_1) | instskip(NEXT) | instid1(SALU_CYCLE_1)
	s_or_b32 s31, s2, s31
	s_and_not1_b32 exec_lo, exec_lo, s31
	s_cbranch_execz .LBB1317_67
.LBB1317_65:                            ; =>This Inner Loop Header: Depth=1
	s_or_b32 s34, s34, exec_lo
	s_cmp_eq_u64 s[6:7], s[18:19]
	s_cbranch_scc0 .LBB1317_63
; %bb.66:                               ;   in Loop: Header=BB1317_65 Depth=1
	s_mov_b64 s[18:19], s[22:23]
                                        ; implicit-def: $vgpr17_vgpr18
                                        ; implicit-def: $vgpr19_vgpr20
	s_branch .LBB1317_64
.LBB1317_67:
	s_set_inst_prefetch_distance 0x2
	s_or_b32 exec_lo, exec_lo, s31
	v_cmp_gt_i64_e32 vcc_lo, s[22:23], v[23:24]
	s_or_not1_b32 s31, vcc_lo, exec_lo
.LBB1317_68:
	s_or_b32 exec_lo, exec_lo, s33
.LBB1317_69:
	v_mul_lo_u32 v19, v16, s22
	v_mul_lo_u32 v20, v15, s23
	v_mad_u64_u32 v[17:18], null, v15, s22, 0
	s_and_not1_b32 vcc_lo, exec_lo, s26
	s_delay_alu instid0(VALU_DEP_1) | instskip(NEXT) | instid1(VALU_DEP_1)
	v_add3_u32 v18, v18, v20, v19
	v_lshlrev_b64 v[19:20], 1, v[17:18]
	s_cbranch_vccnz .LBB1317_78
; %bb.70:
	s_delay_alu instid0(VALU_DEP_1) | instskip(NEXT) | instid1(VALU_DEP_2)
	v_add_co_u32 v23, vcc_lo, s8, v19
	v_add_co_ci_u32_e32 v24, vcc_lo, s9, v20, vcc_lo
	v_add_co_u32 v17, vcc_lo, s8, v21
	v_add_co_ci_u32_e32 v18, vcc_lo, s9, v22, vcc_lo
	s_mov_b32 s30, -1
	s_clause 0x1
	global_load_u16 v21, v[23:24], off
	global_load_u16 v22, v[17:18], off
	s_mov_b32 s33, exec_lo
	s_waitcnt vmcnt(0)
	v_cmpx_eq_f16_e32 v21, v22
	s_cbranch_execz .LBB1317_77
; %bb.71:
	v_add_co_u32 v17, vcc_lo, v17, 2
	v_add_co_ci_u32_e32 v18, vcc_lo, 0, v18, vcc_lo
	v_add_co_u32 v21, vcc_lo, v23, 2
	v_add_co_ci_u32_e32 v22, vcc_lo, 0, v24, vcc_lo
	s_add_u32 s6, s22, -1
	s_addc_u32 s7, s23, -1
	s_mov_b64 s[18:19], 0
	s_mov_b32 s30, 0
                                        ; implicit-def: $sgpr34
	s_set_inst_prefetch_distance 0x1
	s_branch .LBB1317_74
	.p2align	6
.LBB1317_72:                            ;   in Loop: Header=BB1317_74 Depth=1
	global_load_u16 v23, v[21:22], off
	global_load_u16 v24, v[17:18], off
	v_add_co_u32 v17, vcc_lo, v17, 2
	v_add_co_ci_u32_e32 v18, vcc_lo, 0, v18, vcc_lo
	v_add_co_u32 v21, s2, v21, 2
	s_delay_alu instid0(VALU_DEP_1)
	v_add_co_ci_u32_e64 v22, s2, 0, v22, s2
	s_add_u32 s18, s18, 1
	s_addc_u32 s19, s19, 0
	s_and_not1_b32 s2, s34, exec_lo
	s_waitcnt vmcnt(0)
	v_cmp_neq_f16_e32 vcc_lo, v23, v24
	s_and_b32 s34, vcc_lo, exec_lo
	s_delay_alu instid0(SALU_CYCLE_1)
	s_or_b32 s34, s2, s34
.LBB1317_73:                            ;   in Loop: Header=BB1317_74 Depth=1
	v_dual_mov_b32 v24, s19 :: v_dual_mov_b32 v23, s18
	s_and_b32 s2, exec_lo, s34
	s_delay_alu instid0(SALU_CYCLE_1) | instskip(NEXT) | instid1(SALU_CYCLE_1)
	s_or_b32 s30, s2, s30
	s_and_not1_b32 exec_lo, exec_lo, s30
	s_cbranch_execz .LBB1317_76
.LBB1317_74:                            ; =>This Inner Loop Header: Depth=1
	s_or_b32 s34, s34, exec_lo
	s_cmp_eq_u64 s[6:7], s[18:19]
	s_cbranch_scc0 .LBB1317_72
; %bb.75:                               ;   in Loop: Header=BB1317_74 Depth=1
	s_mov_b64 s[18:19], s[22:23]
                                        ; implicit-def: $vgpr17_vgpr18
                                        ; implicit-def: $vgpr21_vgpr22
	s_branch .LBB1317_73
.LBB1317_76:
	s_set_inst_prefetch_distance 0x2
	s_or_b32 exec_lo, exec_lo, s30
	v_cmp_gt_i64_e32 vcc_lo, s[22:23], v[23:24]
	s_or_not1_b32 s30, vcc_lo, exec_lo
.LBB1317_77:
	s_or_b32 exec_lo, exec_lo, s33
.LBB1317_78:
	v_mul_lo_u32 v21, v14, s22
	v_mul_lo_u32 v22, v13, s23
	v_mad_u64_u32 v[17:18], null, v13, s22, 0
	s_and_not1_b32 vcc_lo, exec_lo, s26
	s_mov_b32 s2, 0
	s_delay_alu instid0(VALU_DEP_1) | instskip(NEXT) | instid1(VALU_DEP_1)
	v_add3_u32 v18, v18, v22, v21
	v_lshlrev_b64 v[17:18], 1, v[17:18]
	s_cbranch_vccnz .LBB1317_87
; %bb.79:
	s_delay_alu instid0(VALU_DEP_1) | instskip(NEXT) | instid1(VALU_DEP_2)
	v_add_co_u32 v21, vcc_lo, s8, v17
	v_add_co_ci_u32_e32 v22, vcc_lo, s9, v18, vcc_lo
	v_add_co_u32 v19, vcc_lo, s8, v19
	v_add_co_ci_u32_e32 v20, vcc_lo, s9, v20, vcc_lo
	s_mov_b32 s2, -1
	s_clause 0x1
	global_load_u16 v23, v[21:22], off
	global_load_u16 v24, v[19:20], off
	s_mov_b32 s33, exec_lo
	s_waitcnt vmcnt(0)
	v_cmpx_eq_f16_e32 v23, v24
	s_cbranch_execz .LBB1317_86
; %bb.80:
	v_add_co_u32 v19, vcc_lo, v19, 2
	v_add_co_ci_u32_e32 v20, vcc_lo, 0, v20, vcc_lo
	v_add_co_u32 v21, vcc_lo, v21, 2
	v_add_co_ci_u32_e32 v22, vcc_lo, 0, v22, vcc_lo
	s_add_u32 s6, s22, -1
	s_addc_u32 s7, s23, -1
	s_mov_b64 s[18:19], 0
	s_mov_b32 s34, 0
                                        ; implicit-def: $sgpr35
	s_set_inst_prefetch_distance 0x1
	s_branch .LBB1317_83
	.p2align	6
.LBB1317_81:                            ;   in Loop: Header=BB1317_83 Depth=1
	global_load_u16 v23, v[21:22], off
	global_load_u16 v24, v[19:20], off
	v_add_co_u32 v19, vcc_lo, v19, 2
	v_add_co_ci_u32_e32 v20, vcc_lo, 0, v20, vcc_lo
	v_add_co_u32 v21, s2, v21, 2
	s_delay_alu instid0(VALU_DEP_1)
	v_add_co_ci_u32_e64 v22, s2, 0, v22, s2
	s_add_u32 s18, s18, 1
	s_addc_u32 s19, s19, 0
	s_and_not1_b32 s2, s35, exec_lo
	s_waitcnt vmcnt(0)
	v_cmp_neq_f16_e32 vcc_lo, v23, v24
	s_and_b32 s35, vcc_lo, exec_lo
	s_delay_alu instid0(SALU_CYCLE_1)
	s_or_b32 s35, s2, s35
.LBB1317_82:                            ;   in Loop: Header=BB1317_83 Depth=1
	v_dual_mov_b32 v24, s19 :: v_dual_mov_b32 v23, s18
	s_and_b32 s2, exec_lo, s35
	s_delay_alu instid0(SALU_CYCLE_1) | instskip(NEXT) | instid1(SALU_CYCLE_1)
	s_or_b32 s34, s2, s34
	s_and_not1_b32 exec_lo, exec_lo, s34
	s_cbranch_execz .LBB1317_85
.LBB1317_83:                            ; =>This Inner Loop Header: Depth=1
	s_or_b32 s35, s35, exec_lo
	s_cmp_eq_u64 s[6:7], s[18:19]
	s_cbranch_scc0 .LBB1317_81
; %bb.84:                               ;   in Loop: Header=BB1317_83 Depth=1
	s_mov_b64 s[18:19], s[22:23]
                                        ; implicit-def: $vgpr19_vgpr20
                                        ; implicit-def: $vgpr21_vgpr22
	s_branch .LBB1317_82
.LBB1317_85:
	s_set_inst_prefetch_distance 0x2
	s_or_b32 exec_lo, exec_lo, s34
	v_cmp_gt_i64_e32 vcc_lo, s[22:23], v[23:24]
	s_or_not1_b32 s2, vcc_lo, exec_lo
.LBB1317_86:
	s_or_b32 exec_lo, exec_lo, s33
.LBB1317_87:
	s_waitcnt lgkmcnt(0)
	v_dual_mov_b32 v20, s5 :: v_dual_mov_b32 v19, s4
	s_mov_b32 s6, exec_lo
	s_barrier
	buffer_gl0_inv
	v_cmpx_ne_u32_e32 0, v0
	s_cbranch_execz .LBB1317_89
; %bb.88:
	v_add_nc_u32_e32 v19, -8, v39
	ds_load_b64 v[19:20], v19
.LBB1317_89:
	s_or_b32 exec_lo, exec_lo, s6
	v_cndmask_b32_e64 v22, 0, 1, s31
	v_cndmask_b32_e64 v24, 0, 1, s29
	;; [unrolled: 1-line block ×7, first 2 shown]
	v_lshlrev_b16 v22, 8, v22
	v_lshlrev_b16 v24, 8, v24
	;; [unrolled: 1-line block ×4, first 2 shown]
	s_mov_b32 s3, 0
	v_or_b32_e32 v21, v21, v22
	v_or_b32_e32 v22, v23, v24
	;; [unrolled: 1-line block ×3, first 2 shown]
	v_and_b32_e32 v23, 0xffff, v27
	s_and_not1_b32 vcc_lo, exec_lo, s26
	v_lshlrev_b32_e32 v24, 16, v21
	v_and_b32_e32 v26, 0xffff, v22
	v_lshlrev_b32_e32 v27, 16, v28
	s_mov_b32 s2, 0
	s_cbranch_vccnz .LBB1317_98
; %bb.90:
	s_waitcnt lgkmcnt(0)
	v_mul_lo_u32 v22, v20, s22
	v_mul_lo_u32 v28, v19, s23
	v_mad_u64_u32 v[20:21], null, v19, s22, 0
	s_mov_b32 s2, -1
	s_mov_b32 s27, exec_lo
	s_delay_alu instid0(VALU_DEP_1) | instskip(NEXT) | instid1(VALU_DEP_1)
	v_add3_u32 v21, v21, v28, v22
	v_lshlrev_b64 v[19:20], 1, v[20:21]
	s_delay_alu instid0(VALU_DEP_1) | instskip(NEXT) | instid1(VALU_DEP_2)
	v_add_co_u32 v19, vcc_lo, s8, v19
	v_add_co_ci_u32_e32 v20, vcc_lo, s9, v20, vcc_lo
	v_add_co_u32 v17, vcc_lo, s8, v17
	v_add_co_ci_u32_e32 v18, vcc_lo, s9, v18, vcc_lo
	s_clause 0x1
	global_load_u16 v21, v[19:20], off
	global_load_u16 v22, v[17:18], off
	s_waitcnt vmcnt(0)
	v_cmpx_eq_f16_e32 v21, v22
	s_cbranch_execz .LBB1317_97
; %bb.91:
	v_add_co_u32 v17, vcc_lo, v17, 2
	v_add_co_ci_u32_e32 v18, vcc_lo, 0, v18, vcc_lo
	v_add_co_u32 v19, vcc_lo, v19, 2
	v_add_co_ci_u32_e32 v20, vcc_lo, 0, v20, vcc_lo
	s_add_u32 s6, s22, -1
	s_addc_u32 s7, s23, -1
	s_mov_b64 s[18:19], 0
	s_mov_b32 s28, 0
                                        ; implicit-def: $sgpr29
	s_set_inst_prefetch_distance 0x1
	s_branch .LBB1317_94
	.p2align	6
.LBB1317_92:                            ;   in Loop: Header=BB1317_94 Depth=1
	global_load_u16 v21, v[19:20], off
	global_load_u16 v22, v[17:18], off
	v_add_co_u32 v17, vcc_lo, v17, 2
	v_add_co_ci_u32_e32 v18, vcc_lo, 0, v18, vcc_lo
	v_add_co_u32 v19, s2, v19, 2
	s_delay_alu instid0(VALU_DEP_1)
	v_add_co_ci_u32_e64 v20, s2, 0, v20, s2
	s_add_u32 s18, s18, 1
	s_addc_u32 s19, s19, 0
	s_and_not1_b32 s2, s29, exec_lo
	s_waitcnt vmcnt(0)
	v_cmp_neq_f16_e32 vcc_lo, v21, v22
	s_and_b32 s29, vcc_lo, exec_lo
	s_delay_alu instid0(SALU_CYCLE_1)
	s_or_b32 s29, s2, s29
.LBB1317_93:                            ;   in Loop: Header=BB1317_94 Depth=1
	v_dual_mov_b32 v22, s19 :: v_dual_mov_b32 v21, s18
	s_and_b32 s2, exec_lo, s29
	s_delay_alu instid0(SALU_CYCLE_1) | instskip(NEXT) | instid1(SALU_CYCLE_1)
	s_or_b32 s28, s2, s28
	s_and_not1_b32 exec_lo, exec_lo, s28
	s_cbranch_execz .LBB1317_96
.LBB1317_94:                            ; =>This Inner Loop Header: Depth=1
	s_or_b32 s29, s29, exec_lo
	s_cmp_eq_u64 s[6:7], s[18:19]
	s_cbranch_scc0 .LBB1317_92
; %bb.95:                               ;   in Loop: Header=BB1317_94 Depth=1
	s_mov_b64 s[18:19], s[22:23]
                                        ; implicit-def: $vgpr17_vgpr18
                                        ; implicit-def: $vgpr19_vgpr20
	s_branch .LBB1317_93
.LBB1317_96:
	s_set_inst_prefetch_distance 0x2
	s_or_b32 exec_lo, exec_lo, s28
	v_cmp_gt_i64_e32 vcc_lo, s[22:23], v[21:22]
	s_or_not1_b32 s2, vcc_lo, exec_lo
.LBB1317_97:
	s_or_b32 exec_lo, exec_lo, s27
.LBB1317_98:
	v_or_b32_e32 v17, v23, v24
	s_delay_alu instid0(VALU_DEP_2)
	v_or_b32_e32 v18, v26, v27
	s_and_b32 vcc_lo, exec_lo, s3
	s_cbranch_vccz .LBB1317_190
.LBB1317_99:
	v_or_b32_e32 v17, 7, v39
	s_mov_b32 s3, 0
	s_mov_b32 s27, 0
	s_mov_b32 s28, exec_lo
	s_delay_alu instid0(VALU_DEP_1)
	v_cmpx_gt_u32_e64 s20, v17
	s_cbranch_execz .LBB1317_110
; %bb.100:
	s_and_not1_b32 vcc_lo, exec_lo, s26
	s_mov_b32 s2, 0
	s_cbranch_vccnz .LBB1317_109
; %bb.101:
	v_mul_lo_u32 v21, v2, s22
	v_mul_lo_u32 v22, v1, s23
	v_mad_u64_u32 v[17:18], null, v1, s22, 0
	v_mul_lo_u32 v23, v4, s22
	v_mul_lo_u32 v24, v3, s23
	s_waitcnt lgkmcnt(0)
	v_mad_u64_u32 v[19:20], null, v3, s22, 0
	s_mov_b32 s2, -1
	s_mov_b32 s26, exec_lo
	s_delay_alu instid0(VALU_DEP_4) | instskip(NEXT) | instid1(VALU_DEP_2)
	v_add3_u32 v18, v18, v22, v21
	v_add3_u32 v20, v20, v24, v23
	s_delay_alu instid0(VALU_DEP_2) | instskip(NEXT) | instid1(VALU_DEP_2)
	v_lshlrev_b64 v[17:18], 1, v[17:18]
	v_lshlrev_b64 v[21:22], 1, v[19:20]
	s_delay_alu instid0(VALU_DEP_2) | instskip(NEXT) | instid1(VALU_DEP_3)
	v_add_co_u32 v19, vcc_lo, s8, v17
	v_add_co_ci_u32_e32 v20, vcc_lo, s9, v18, vcc_lo
	s_delay_alu instid0(VALU_DEP_3) | instskip(NEXT) | instid1(VALU_DEP_4)
	v_add_co_u32 v17, vcc_lo, s8, v21
	v_add_co_ci_u32_e32 v18, vcc_lo, s9, v22, vcc_lo
	s_clause 0x1
	global_load_u16 v21, v[19:20], off
	global_load_u16 v22, v[17:18], off
	s_waitcnt vmcnt(0)
	v_cmpx_eq_f16_e32 v21, v22
	s_cbranch_execz .LBB1317_108
; %bb.102:
	v_add_co_u32 v17, vcc_lo, v17, 2
	v_add_co_ci_u32_e32 v18, vcc_lo, 0, v18, vcc_lo
	v_add_co_u32 v19, vcc_lo, v19, 2
	v_add_co_ci_u32_e32 v20, vcc_lo, 0, v20, vcc_lo
	s_add_u32 s6, s22, -1
	s_addc_u32 s7, s23, -1
	s_mov_b64 s[18:19], 0
                                        ; implicit-def: $sgpr29
	s_set_inst_prefetch_distance 0x1
	s_branch .LBB1317_105
	.p2align	6
.LBB1317_103:                           ;   in Loop: Header=BB1317_105 Depth=1
	global_load_u16 v21, v[19:20], off
	global_load_u16 v22, v[17:18], off
	v_add_co_u32 v17, vcc_lo, v17, 2
	v_add_co_ci_u32_e32 v18, vcc_lo, 0, v18, vcc_lo
	v_add_co_u32 v19, s2, v19, 2
	s_delay_alu instid0(VALU_DEP_1)
	v_add_co_ci_u32_e64 v20, s2, 0, v20, s2
	s_add_u32 s18, s18, 1
	s_addc_u32 s19, s19, 0
	s_and_not1_b32 s2, s29, exec_lo
	s_waitcnt vmcnt(0)
	v_cmp_neq_f16_e32 vcc_lo, v21, v22
	s_and_b32 s29, vcc_lo, exec_lo
	s_delay_alu instid0(SALU_CYCLE_1)
	s_or_b32 s29, s2, s29
.LBB1317_104:                           ;   in Loop: Header=BB1317_105 Depth=1
	v_dual_mov_b32 v22, s19 :: v_dual_mov_b32 v21, s18
	s_and_b32 s2, exec_lo, s29
	s_delay_alu instid0(SALU_CYCLE_1) | instskip(NEXT) | instid1(SALU_CYCLE_1)
	s_or_b32 s27, s2, s27
	s_and_not1_b32 exec_lo, exec_lo, s27
	s_cbranch_execz .LBB1317_107
.LBB1317_105:                           ; =>This Inner Loop Header: Depth=1
	s_or_b32 s29, s29, exec_lo
	s_cmp_eq_u64 s[6:7], s[18:19]
	s_cbranch_scc0 .LBB1317_103
; %bb.106:                              ;   in Loop: Header=BB1317_105 Depth=1
	s_mov_b64 s[18:19], s[22:23]
                                        ; implicit-def: $vgpr17_vgpr18
                                        ; implicit-def: $vgpr19_vgpr20
	s_branch .LBB1317_104
.LBB1317_107:
	s_set_inst_prefetch_distance 0x2
	s_or_b32 exec_lo, exec_lo, s27
	v_cmp_gt_i64_e32 vcc_lo, s[22:23], v[21:22]
	s_or_not1_b32 s2, vcc_lo, exec_lo
.LBB1317_108:
	s_or_b32 exec_lo, exec_lo, s26
.LBB1317_109:
	s_delay_alu instid0(SALU_CYCLE_1)
	s_and_b32 s27, s2, exec_lo
.LBB1317_110:
	s_or_b32 exec_lo, exec_lo, s28
	v_or_b32_e32 v17, 6, v39
	s_mov_b32 s26, exec_lo
	s_delay_alu instid0(VALU_DEP_1)
	v_cmpx_gt_u32_e64 s20, v17
	s_cbranch_execz .LBB1317_121
; %bb.111:
	v_cmp_ne_u32_e32 vcc_lo, 1, v25
	s_mov_b32 s2, 0
	s_cbranch_vccnz .LBB1317_120
; %bb.112:
	v_mul_lo_u32 v21, v8, s22
	v_mul_lo_u32 v22, v7, s23
	v_mad_u64_u32 v[17:18], null, v7, s22, 0
	v_mul_lo_u32 v23, v2, s22
	v_mul_lo_u32 v24, v1, s23
	s_waitcnt lgkmcnt(0)
	v_mad_u64_u32 v[19:20], null, v1, s22, 0
	s_mov_b32 s2, -1
	s_mov_b32 s3, exec_lo
	s_delay_alu instid0(VALU_DEP_4) | instskip(NEXT) | instid1(VALU_DEP_2)
	v_add3_u32 v18, v18, v22, v21
	v_add3_u32 v20, v20, v24, v23
	s_delay_alu instid0(VALU_DEP_2) | instskip(NEXT) | instid1(VALU_DEP_2)
	v_lshlrev_b64 v[17:18], 1, v[17:18]
	v_lshlrev_b64 v[21:22], 1, v[19:20]
	s_delay_alu instid0(VALU_DEP_2) | instskip(NEXT) | instid1(VALU_DEP_3)
	v_add_co_u32 v19, vcc_lo, s8, v17
	v_add_co_ci_u32_e32 v20, vcc_lo, s9, v18, vcc_lo
	s_delay_alu instid0(VALU_DEP_3) | instskip(NEXT) | instid1(VALU_DEP_4)
	v_add_co_u32 v17, vcc_lo, s8, v21
	v_add_co_ci_u32_e32 v18, vcc_lo, s9, v22, vcc_lo
	s_clause 0x1
	global_load_u16 v21, v[19:20], off
	global_load_u16 v22, v[17:18], off
	s_waitcnt vmcnt(0)
	v_cmpx_eq_f16_e32 v21, v22
	s_cbranch_execz .LBB1317_119
; %bb.113:
	v_add_co_u32 v17, vcc_lo, v17, 2
	v_add_co_ci_u32_e32 v18, vcc_lo, 0, v18, vcc_lo
	v_add_co_u32 v19, vcc_lo, v19, 2
	v_add_co_ci_u32_e32 v20, vcc_lo, 0, v20, vcc_lo
	s_add_u32 s6, s22, -1
	s_addc_u32 s7, s23, -1
	s_mov_b64 s[18:19], 0
	s_mov_b32 s28, 0
                                        ; implicit-def: $sgpr29
	s_set_inst_prefetch_distance 0x1
	s_branch .LBB1317_116
	.p2align	6
.LBB1317_114:                           ;   in Loop: Header=BB1317_116 Depth=1
	global_load_u16 v21, v[19:20], off
	global_load_u16 v22, v[17:18], off
	v_add_co_u32 v17, vcc_lo, v17, 2
	v_add_co_ci_u32_e32 v18, vcc_lo, 0, v18, vcc_lo
	v_add_co_u32 v19, s2, v19, 2
	s_delay_alu instid0(VALU_DEP_1)
	v_add_co_ci_u32_e64 v20, s2, 0, v20, s2
	s_add_u32 s18, s18, 1
	s_addc_u32 s19, s19, 0
	s_and_not1_b32 s2, s29, exec_lo
	s_waitcnt vmcnt(0)
	v_cmp_neq_f16_e32 vcc_lo, v21, v22
	s_and_b32 s29, vcc_lo, exec_lo
	s_delay_alu instid0(SALU_CYCLE_1)
	s_or_b32 s29, s2, s29
.LBB1317_115:                           ;   in Loop: Header=BB1317_116 Depth=1
	v_dual_mov_b32 v22, s19 :: v_dual_mov_b32 v21, s18
	s_and_b32 s2, exec_lo, s29
	s_delay_alu instid0(SALU_CYCLE_1) | instskip(NEXT) | instid1(SALU_CYCLE_1)
	s_or_b32 s28, s2, s28
	s_and_not1_b32 exec_lo, exec_lo, s28
	s_cbranch_execz .LBB1317_118
.LBB1317_116:                           ; =>This Inner Loop Header: Depth=1
	s_or_b32 s29, s29, exec_lo
	s_cmp_eq_u64 s[6:7], s[18:19]
	s_cbranch_scc0 .LBB1317_114
; %bb.117:                              ;   in Loop: Header=BB1317_116 Depth=1
	s_mov_b64 s[18:19], s[22:23]
                                        ; implicit-def: $vgpr17_vgpr18
                                        ; implicit-def: $vgpr19_vgpr20
	s_branch .LBB1317_115
.LBB1317_118:
	s_set_inst_prefetch_distance 0x2
	s_or_b32 exec_lo, exec_lo, s28
	v_cmp_gt_i64_e32 vcc_lo, s[22:23], v[21:22]
	s_or_not1_b32 s2, vcc_lo, exec_lo
.LBB1317_119:
	s_or_b32 exec_lo, exec_lo, s3
.LBB1317_120:
	s_delay_alu instid0(SALU_CYCLE_1)
	s_and_b32 s3, s2, exec_lo
.LBB1317_121:
	s_or_b32 exec_lo, exec_lo, s26
	v_or_b32_e32 v17, 5, v39
	s_mov_b32 s28, 0
	s_mov_b32 s26, 0
	s_mov_b32 s29, exec_lo
	s_delay_alu instid0(VALU_DEP_1)
	v_cmpx_gt_u32_e64 s20, v17
	s_cbranch_execz .LBB1317_132
; %bb.122:
	v_cmp_ne_u32_e32 vcc_lo, 1, v25
	s_mov_b32 s2, 0
	s_cbranch_vccnz .LBB1317_131
; %bb.123:
	v_mul_lo_u32 v21, v6, s22
	v_mul_lo_u32 v22, v5, s23
	v_mad_u64_u32 v[17:18], null, v5, s22, 0
	v_mul_lo_u32 v23, v8, s22
	v_mul_lo_u32 v24, v7, s23
	s_waitcnt lgkmcnt(0)
	v_mad_u64_u32 v[19:20], null, v7, s22, 0
	s_mov_b32 s2, -1
	s_mov_b32 s26, exec_lo
	s_delay_alu instid0(VALU_DEP_4) | instskip(NEXT) | instid1(VALU_DEP_2)
	v_add3_u32 v18, v18, v22, v21
	v_add3_u32 v20, v20, v24, v23
	s_delay_alu instid0(VALU_DEP_2) | instskip(NEXT) | instid1(VALU_DEP_2)
	v_lshlrev_b64 v[17:18], 1, v[17:18]
	v_lshlrev_b64 v[21:22], 1, v[19:20]
	s_delay_alu instid0(VALU_DEP_2) | instskip(NEXT) | instid1(VALU_DEP_3)
	v_add_co_u32 v19, vcc_lo, s8, v17
	v_add_co_ci_u32_e32 v20, vcc_lo, s9, v18, vcc_lo
	s_delay_alu instid0(VALU_DEP_3) | instskip(NEXT) | instid1(VALU_DEP_4)
	v_add_co_u32 v17, vcc_lo, s8, v21
	v_add_co_ci_u32_e32 v18, vcc_lo, s9, v22, vcc_lo
	s_clause 0x1
	global_load_u16 v21, v[19:20], off
	global_load_u16 v22, v[17:18], off
	s_waitcnt vmcnt(0)
	v_cmpx_eq_f16_e32 v21, v22
	s_cbranch_execz .LBB1317_130
; %bb.124:
	v_add_co_u32 v17, vcc_lo, v17, 2
	v_add_co_ci_u32_e32 v18, vcc_lo, 0, v18, vcc_lo
	v_add_co_u32 v19, vcc_lo, v19, 2
	v_add_co_ci_u32_e32 v20, vcc_lo, 0, v20, vcc_lo
	s_add_u32 s6, s22, -1
	s_addc_u32 s7, s23, -1
	s_mov_b64 s[18:19], 0
	s_mov_b32 s30, 0
                                        ; implicit-def: $sgpr31
	s_set_inst_prefetch_distance 0x1
	s_branch .LBB1317_127
	.p2align	6
.LBB1317_125:                           ;   in Loop: Header=BB1317_127 Depth=1
	global_load_u16 v21, v[19:20], off
	global_load_u16 v22, v[17:18], off
	v_add_co_u32 v17, vcc_lo, v17, 2
	v_add_co_ci_u32_e32 v18, vcc_lo, 0, v18, vcc_lo
	v_add_co_u32 v19, s2, v19, 2
	s_delay_alu instid0(VALU_DEP_1)
	v_add_co_ci_u32_e64 v20, s2, 0, v20, s2
	s_add_u32 s18, s18, 1
	s_addc_u32 s19, s19, 0
	s_and_not1_b32 s2, s31, exec_lo
	s_waitcnt vmcnt(0)
	v_cmp_neq_f16_e32 vcc_lo, v21, v22
	s_and_b32 s31, vcc_lo, exec_lo
	s_delay_alu instid0(SALU_CYCLE_1)
	s_or_b32 s31, s2, s31
.LBB1317_126:                           ;   in Loop: Header=BB1317_127 Depth=1
	v_dual_mov_b32 v22, s19 :: v_dual_mov_b32 v21, s18
	s_and_b32 s2, exec_lo, s31
	s_delay_alu instid0(SALU_CYCLE_1) | instskip(NEXT) | instid1(SALU_CYCLE_1)
	s_or_b32 s30, s2, s30
	s_and_not1_b32 exec_lo, exec_lo, s30
	s_cbranch_execz .LBB1317_129
.LBB1317_127:                           ; =>This Inner Loop Header: Depth=1
	s_or_b32 s31, s31, exec_lo
	s_cmp_eq_u64 s[6:7], s[18:19]
	s_cbranch_scc0 .LBB1317_125
; %bb.128:                              ;   in Loop: Header=BB1317_127 Depth=1
	s_mov_b64 s[18:19], s[22:23]
                                        ; implicit-def: $vgpr17_vgpr18
                                        ; implicit-def: $vgpr19_vgpr20
	s_branch .LBB1317_126
.LBB1317_129:
	s_set_inst_prefetch_distance 0x2
	s_or_b32 exec_lo, exec_lo, s30
	v_cmp_gt_i64_e32 vcc_lo, s[22:23], v[21:22]
	s_or_not1_b32 s2, vcc_lo, exec_lo
.LBB1317_130:
	s_or_b32 exec_lo, exec_lo, s26
.LBB1317_131:
	s_delay_alu instid0(SALU_CYCLE_1)
	s_and_b32 s26, s2, exec_lo
.LBB1317_132:
	s_or_b32 exec_lo, exec_lo, s29
	v_or_b32_e32 v17, 4, v39
	s_mov_b32 s29, exec_lo
	s_delay_alu instid0(VALU_DEP_1)
	v_cmpx_gt_u32_e64 s20, v17
	s_cbranch_execz .LBB1317_143
; %bb.133:
	v_cmp_ne_u32_e32 vcc_lo, 1, v25
	s_mov_b32 s2, 0
	s_cbranch_vccnz .LBB1317_142
; %bb.134:
	v_mul_lo_u32 v21, v12, s22
	v_mul_lo_u32 v22, v11, s23
	v_mad_u64_u32 v[17:18], null, v11, s22, 0
	v_mul_lo_u32 v23, v6, s22
	v_mul_lo_u32 v24, v5, s23
	s_waitcnt lgkmcnt(0)
	v_mad_u64_u32 v[19:20], null, v5, s22, 0
	s_mov_b32 s2, -1
	s_mov_b32 s28, exec_lo
	s_delay_alu instid0(VALU_DEP_4) | instskip(NEXT) | instid1(VALU_DEP_2)
	v_add3_u32 v18, v18, v22, v21
	v_add3_u32 v20, v20, v24, v23
	s_delay_alu instid0(VALU_DEP_2) | instskip(NEXT) | instid1(VALU_DEP_2)
	v_lshlrev_b64 v[17:18], 1, v[17:18]
	v_lshlrev_b64 v[21:22], 1, v[19:20]
	s_delay_alu instid0(VALU_DEP_2) | instskip(NEXT) | instid1(VALU_DEP_3)
	v_add_co_u32 v19, vcc_lo, s8, v17
	v_add_co_ci_u32_e32 v20, vcc_lo, s9, v18, vcc_lo
	s_delay_alu instid0(VALU_DEP_3) | instskip(NEXT) | instid1(VALU_DEP_4)
	v_add_co_u32 v17, vcc_lo, s8, v21
	v_add_co_ci_u32_e32 v18, vcc_lo, s9, v22, vcc_lo
	s_clause 0x1
	global_load_u16 v21, v[19:20], off
	global_load_u16 v22, v[17:18], off
	s_waitcnt vmcnt(0)
	v_cmpx_eq_f16_e32 v21, v22
	s_cbranch_execz .LBB1317_141
; %bb.135:
	v_add_co_u32 v17, vcc_lo, v17, 2
	v_add_co_ci_u32_e32 v18, vcc_lo, 0, v18, vcc_lo
	v_add_co_u32 v19, vcc_lo, v19, 2
	v_add_co_ci_u32_e32 v20, vcc_lo, 0, v20, vcc_lo
	s_add_u32 s6, s22, -1
	s_addc_u32 s7, s23, -1
	s_mov_b64 s[18:19], 0
	s_mov_b32 s30, 0
                                        ; implicit-def: $sgpr31
	s_set_inst_prefetch_distance 0x1
	s_branch .LBB1317_138
	.p2align	6
.LBB1317_136:                           ;   in Loop: Header=BB1317_138 Depth=1
	global_load_u16 v21, v[19:20], off
	global_load_u16 v22, v[17:18], off
	v_add_co_u32 v17, vcc_lo, v17, 2
	v_add_co_ci_u32_e32 v18, vcc_lo, 0, v18, vcc_lo
	v_add_co_u32 v19, s2, v19, 2
	s_delay_alu instid0(VALU_DEP_1)
	v_add_co_ci_u32_e64 v20, s2, 0, v20, s2
	s_add_u32 s18, s18, 1
	s_addc_u32 s19, s19, 0
	s_and_not1_b32 s2, s31, exec_lo
	s_waitcnt vmcnt(0)
	v_cmp_neq_f16_e32 vcc_lo, v21, v22
	s_and_b32 s31, vcc_lo, exec_lo
	s_delay_alu instid0(SALU_CYCLE_1)
	s_or_b32 s31, s2, s31
.LBB1317_137:                           ;   in Loop: Header=BB1317_138 Depth=1
	v_dual_mov_b32 v22, s19 :: v_dual_mov_b32 v21, s18
	s_and_b32 s2, exec_lo, s31
	s_delay_alu instid0(SALU_CYCLE_1) | instskip(NEXT) | instid1(SALU_CYCLE_1)
	s_or_b32 s30, s2, s30
	s_and_not1_b32 exec_lo, exec_lo, s30
	s_cbranch_execz .LBB1317_140
.LBB1317_138:                           ; =>This Inner Loop Header: Depth=1
	s_or_b32 s31, s31, exec_lo
	s_cmp_eq_u64 s[6:7], s[18:19]
	s_cbranch_scc0 .LBB1317_136
; %bb.139:                              ;   in Loop: Header=BB1317_138 Depth=1
	s_mov_b64 s[18:19], s[22:23]
                                        ; implicit-def: $vgpr17_vgpr18
                                        ; implicit-def: $vgpr19_vgpr20
	s_branch .LBB1317_137
.LBB1317_140:
	s_set_inst_prefetch_distance 0x2
	s_or_b32 exec_lo, exec_lo, s30
	v_cmp_gt_i64_e32 vcc_lo, s[22:23], v[21:22]
	s_or_not1_b32 s2, vcc_lo, exec_lo
.LBB1317_141:
	s_or_b32 exec_lo, exec_lo, s28
.LBB1317_142:
	s_delay_alu instid0(SALU_CYCLE_1)
	s_and_b32 s28, s2, exec_lo
.LBB1317_143:
	s_or_b32 exec_lo, exec_lo, s29
	v_or_b32_e32 v17, 3, v39
	s_mov_b32 s30, 0
	s_mov_b32 s29, 0
	s_mov_b32 s31, exec_lo
	s_delay_alu instid0(VALU_DEP_1)
	v_cmpx_gt_u32_e64 s20, v17
	s_cbranch_execz .LBB1317_154
; %bb.144:
	v_cmp_ne_u32_e32 vcc_lo, 1, v25
	s_mov_b32 s2, 0
	s_cbranch_vccnz .LBB1317_153
; %bb.145:
	v_mul_lo_u32 v21, v10, s22
	v_mul_lo_u32 v22, v9, s23
	v_mad_u64_u32 v[17:18], null, v9, s22, 0
	v_mul_lo_u32 v23, v12, s22
	v_mul_lo_u32 v24, v11, s23
	s_waitcnt lgkmcnt(0)
	v_mad_u64_u32 v[19:20], null, v11, s22, 0
	s_mov_b32 s2, -1
	s_mov_b32 s29, exec_lo
	s_delay_alu instid0(VALU_DEP_4) | instskip(NEXT) | instid1(VALU_DEP_2)
	v_add3_u32 v18, v18, v22, v21
	v_add3_u32 v20, v20, v24, v23
	s_delay_alu instid0(VALU_DEP_2) | instskip(NEXT) | instid1(VALU_DEP_2)
	v_lshlrev_b64 v[17:18], 1, v[17:18]
	v_lshlrev_b64 v[21:22], 1, v[19:20]
	s_delay_alu instid0(VALU_DEP_2) | instskip(NEXT) | instid1(VALU_DEP_3)
	v_add_co_u32 v19, vcc_lo, s8, v17
	v_add_co_ci_u32_e32 v20, vcc_lo, s9, v18, vcc_lo
	s_delay_alu instid0(VALU_DEP_3) | instskip(NEXT) | instid1(VALU_DEP_4)
	v_add_co_u32 v17, vcc_lo, s8, v21
	v_add_co_ci_u32_e32 v18, vcc_lo, s9, v22, vcc_lo
	s_clause 0x1
	global_load_u16 v21, v[19:20], off
	global_load_u16 v22, v[17:18], off
	s_waitcnt vmcnt(0)
	v_cmpx_eq_f16_e32 v21, v22
	s_cbranch_execz .LBB1317_152
; %bb.146:
	v_add_co_u32 v17, vcc_lo, v17, 2
	v_add_co_ci_u32_e32 v18, vcc_lo, 0, v18, vcc_lo
	v_add_co_u32 v19, vcc_lo, v19, 2
	v_add_co_ci_u32_e32 v20, vcc_lo, 0, v20, vcc_lo
	s_add_u32 s6, s22, -1
	s_addc_u32 s7, s23, -1
	s_mov_b64 s[18:19], 0
	s_mov_b32 s33, 0
                                        ; implicit-def: $sgpr34
	s_set_inst_prefetch_distance 0x1
	s_branch .LBB1317_149
	.p2align	6
.LBB1317_147:                           ;   in Loop: Header=BB1317_149 Depth=1
	global_load_u16 v21, v[19:20], off
	global_load_u16 v22, v[17:18], off
	v_add_co_u32 v17, vcc_lo, v17, 2
	v_add_co_ci_u32_e32 v18, vcc_lo, 0, v18, vcc_lo
	v_add_co_u32 v19, s2, v19, 2
	s_delay_alu instid0(VALU_DEP_1)
	v_add_co_ci_u32_e64 v20, s2, 0, v20, s2
	s_add_u32 s18, s18, 1
	s_addc_u32 s19, s19, 0
	s_and_not1_b32 s2, s34, exec_lo
	s_waitcnt vmcnt(0)
	v_cmp_neq_f16_e32 vcc_lo, v21, v22
	s_and_b32 s34, vcc_lo, exec_lo
	s_delay_alu instid0(SALU_CYCLE_1)
	s_or_b32 s34, s2, s34
.LBB1317_148:                           ;   in Loop: Header=BB1317_149 Depth=1
	v_dual_mov_b32 v22, s19 :: v_dual_mov_b32 v21, s18
	s_and_b32 s2, exec_lo, s34
	s_delay_alu instid0(SALU_CYCLE_1) | instskip(NEXT) | instid1(SALU_CYCLE_1)
	s_or_b32 s33, s2, s33
	s_and_not1_b32 exec_lo, exec_lo, s33
	s_cbranch_execz .LBB1317_151
.LBB1317_149:                           ; =>This Inner Loop Header: Depth=1
	s_or_b32 s34, s34, exec_lo
	s_cmp_eq_u64 s[6:7], s[18:19]
	s_cbranch_scc0 .LBB1317_147
; %bb.150:                              ;   in Loop: Header=BB1317_149 Depth=1
	s_mov_b64 s[18:19], s[22:23]
                                        ; implicit-def: $vgpr17_vgpr18
                                        ; implicit-def: $vgpr19_vgpr20
	s_branch .LBB1317_148
.LBB1317_151:
	s_set_inst_prefetch_distance 0x2
	s_or_b32 exec_lo, exec_lo, s33
	v_cmp_gt_i64_e32 vcc_lo, s[22:23], v[21:22]
	s_or_not1_b32 s2, vcc_lo, exec_lo
.LBB1317_152:
	s_or_b32 exec_lo, exec_lo, s29
.LBB1317_153:
	s_delay_alu instid0(SALU_CYCLE_1)
	s_and_b32 s29, s2, exec_lo
.LBB1317_154:
	s_or_b32 exec_lo, exec_lo, s31
	v_or_b32_e32 v17, 2, v39
	s_mov_b32 s31, exec_lo
	s_delay_alu instid0(VALU_DEP_1)
	v_cmpx_gt_u32_e64 s20, v17
	s_cbranch_execz .LBB1317_165
; %bb.155:
	v_cmp_ne_u32_e32 vcc_lo, 1, v25
	s_mov_b32 s2, 0
	s_cbranch_vccnz .LBB1317_164
; %bb.156:
	v_mul_lo_u32 v21, v16, s22
	v_mul_lo_u32 v22, v15, s23
	v_mad_u64_u32 v[17:18], null, v15, s22, 0
	v_mul_lo_u32 v23, v10, s22
	v_mul_lo_u32 v24, v9, s23
	s_waitcnt lgkmcnt(0)
	v_mad_u64_u32 v[19:20], null, v9, s22, 0
	s_mov_b32 s2, -1
	s_mov_b32 s30, exec_lo
	s_delay_alu instid0(VALU_DEP_4) | instskip(NEXT) | instid1(VALU_DEP_2)
	v_add3_u32 v18, v18, v22, v21
	v_add3_u32 v20, v20, v24, v23
	s_delay_alu instid0(VALU_DEP_2) | instskip(NEXT) | instid1(VALU_DEP_2)
	v_lshlrev_b64 v[17:18], 1, v[17:18]
	v_lshlrev_b64 v[21:22], 1, v[19:20]
	s_delay_alu instid0(VALU_DEP_2) | instskip(NEXT) | instid1(VALU_DEP_3)
	v_add_co_u32 v19, vcc_lo, s8, v17
	v_add_co_ci_u32_e32 v20, vcc_lo, s9, v18, vcc_lo
	s_delay_alu instid0(VALU_DEP_3) | instskip(NEXT) | instid1(VALU_DEP_4)
	v_add_co_u32 v17, vcc_lo, s8, v21
	v_add_co_ci_u32_e32 v18, vcc_lo, s9, v22, vcc_lo
	s_clause 0x1
	global_load_u16 v21, v[19:20], off
	global_load_u16 v22, v[17:18], off
	s_waitcnt vmcnt(0)
	v_cmpx_eq_f16_e32 v21, v22
	s_cbranch_execz .LBB1317_163
; %bb.157:
	v_add_co_u32 v17, vcc_lo, v17, 2
	v_add_co_ci_u32_e32 v18, vcc_lo, 0, v18, vcc_lo
	v_add_co_u32 v19, vcc_lo, v19, 2
	v_add_co_ci_u32_e32 v20, vcc_lo, 0, v20, vcc_lo
	s_add_u32 s6, s22, -1
	s_addc_u32 s7, s23, -1
	s_mov_b64 s[18:19], 0
	s_mov_b32 s33, 0
                                        ; implicit-def: $sgpr34
	s_set_inst_prefetch_distance 0x1
	s_branch .LBB1317_160
	.p2align	6
.LBB1317_158:                           ;   in Loop: Header=BB1317_160 Depth=1
	global_load_u16 v21, v[19:20], off
	global_load_u16 v22, v[17:18], off
	v_add_co_u32 v17, vcc_lo, v17, 2
	v_add_co_ci_u32_e32 v18, vcc_lo, 0, v18, vcc_lo
	v_add_co_u32 v19, s2, v19, 2
	s_delay_alu instid0(VALU_DEP_1)
	v_add_co_ci_u32_e64 v20, s2, 0, v20, s2
	s_add_u32 s18, s18, 1
	s_addc_u32 s19, s19, 0
	s_and_not1_b32 s2, s34, exec_lo
	s_waitcnt vmcnt(0)
	v_cmp_neq_f16_e32 vcc_lo, v21, v22
	s_and_b32 s34, vcc_lo, exec_lo
	s_delay_alu instid0(SALU_CYCLE_1)
	s_or_b32 s34, s2, s34
.LBB1317_159:                           ;   in Loop: Header=BB1317_160 Depth=1
	v_dual_mov_b32 v22, s19 :: v_dual_mov_b32 v21, s18
	s_and_b32 s2, exec_lo, s34
	s_delay_alu instid0(SALU_CYCLE_1) | instskip(NEXT) | instid1(SALU_CYCLE_1)
	s_or_b32 s33, s2, s33
	s_and_not1_b32 exec_lo, exec_lo, s33
	s_cbranch_execz .LBB1317_162
.LBB1317_160:                           ; =>This Inner Loop Header: Depth=1
	s_or_b32 s34, s34, exec_lo
	s_cmp_eq_u64 s[6:7], s[18:19]
	s_cbranch_scc0 .LBB1317_158
; %bb.161:                              ;   in Loop: Header=BB1317_160 Depth=1
	s_mov_b64 s[18:19], s[22:23]
                                        ; implicit-def: $vgpr17_vgpr18
                                        ; implicit-def: $vgpr19_vgpr20
	s_branch .LBB1317_159
.LBB1317_162:
	s_set_inst_prefetch_distance 0x2
	s_or_b32 exec_lo, exec_lo, s33
	v_cmp_gt_i64_e32 vcc_lo, s[22:23], v[21:22]
	s_or_not1_b32 s2, vcc_lo, exec_lo
.LBB1317_163:
	s_or_b32 exec_lo, exec_lo, s30
.LBB1317_164:
	s_delay_alu instid0(SALU_CYCLE_1)
	s_and_b32 s30, s2, exec_lo
.LBB1317_165:
	s_or_b32 exec_lo, exec_lo, s31
	v_or_b32_e32 v17, 1, v39
	s_mov_b32 s2, 0
	s_mov_b32 s31, exec_lo
	s_delay_alu instid0(VALU_DEP_1)
	v_cmpx_gt_u32_e64 s20, v17
	s_cbranch_execz .LBB1317_176
; %bb.166:
	v_cmp_ne_u32_e32 vcc_lo, 1, v25
	s_cbranch_vccnz .LBB1317_175
; %bb.167:
	v_mul_lo_u32 v21, v14, s22
	v_mul_lo_u32 v22, v13, s23
	v_mad_u64_u32 v[17:18], null, v13, s22, 0
	v_mul_lo_u32 v23, v16, s22
	v_mul_lo_u32 v24, v15, s23
	s_waitcnt lgkmcnt(0)
	v_mad_u64_u32 v[19:20], null, v15, s22, 0
	s_mov_b32 s2, -1
	s_mov_b32 s33, exec_lo
	s_delay_alu instid0(VALU_DEP_4) | instskip(NEXT) | instid1(VALU_DEP_2)
	v_add3_u32 v18, v18, v22, v21
	v_add3_u32 v20, v20, v24, v23
	s_delay_alu instid0(VALU_DEP_2) | instskip(NEXT) | instid1(VALU_DEP_2)
	v_lshlrev_b64 v[17:18], 1, v[17:18]
	v_lshlrev_b64 v[21:22], 1, v[19:20]
	s_delay_alu instid0(VALU_DEP_2) | instskip(NEXT) | instid1(VALU_DEP_3)
	v_add_co_u32 v19, vcc_lo, s8, v17
	v_add_co_ci_u32_e32 v20, vcc_lo, s9, v18, vcc_lo
	s_delay_alu instid0(VALU_DEP_3) | instskip(NEXT) | instid1(VALU_DEP_4)
	v_add_co_u32 v17, vcc_lo, s8, v21
	v_add_co_ci_u32_e32 v18, vcc_lo, s9, v22, vcc_lo
	s_clause 0x1
	global_load_u16 v21, v[19:20], off
	global_load_u16 v22, v[17:18], off
	s_waitcnt vmcnt(0)
	v_cmpx_eq_f16_e32 v21, v22
	s_cbranch_execz .LBB1317_174
; %bb.168:
	v_add_co_u32 v17, vcc_lo, v17, 2
	v_add_co_ci_u32_e32 v18, vcc_lo, 0, v18, vcc_lo
	v_add_co_u32 v19, vcc_lo, v19, 2
	v_add_co_ci_u32_e32 v20, vcc_lo, 0, v20, vcc_lo
	s_add_u32 s6, s22, -1
	s_addc_u32 s7, s23, -1
	s_mov_b64 s[18:19], 0
	s_mov_b32 s34, 0
                                        ; implicit-def: $sgpr35
	s_set_inst_prefetch_distance 0x1
	s_branch .LBB1317_171
	.p2align	6
.LBB1317_169:                           ;   in Loop: Header=BB1317_171 Depth=1
	global_load_u16 v21, v[19:20], off
	global_load_u16 v22, v[17:18], off
	v_add_co_u32 v17, vcc_lo, v17, 2
	v_add_co_ci_u32_e32 v18, vcc_lo, 0, v18, vcc_lo
	v_add_co_u32 v19, s2, v19, 2
	s_delay_alu instid0(VALU_DEP_1)
	v_add_co_ci_u32_e64 v20, s2, 0, v20, s2
	s_add_u32 s18, s18, 1
	s_addc_u32 s19, s19, 0
	s_and_not1_b32 s2, s35, exec_lo
	s_waitcnt vmcnt(0)
	v_cmp_neq_f16_e32 vcc_lo, v21, v22
	s_and_b32 s35, vcc_lo, exec_lo
	s_delay_alu instid0(SALU_CYCLE_1)
	s_or_b32 s35, s2, s35
.LBB1317_170:                           ;   in Loop: Header=BB1317_171 Depth=1
	v_dual_mov_b32 v22, s19 :: v_dual_mov_b32 v21, s18
	s_and_b32 s2, exec_lo, s35
	s_delay_alu instid0(SALU_CYCLE_1) | instskip(NEXT) | instid1(SALU_CYCLE_1)
	s_or_b32 s34, s2, s34
	s_and_not1_b32 exec_lo, exec_lo, s34
	s_cbranch_execz .LBB1317_173
.LBB1317_171:                           ; =>This Inner Loop Header: Depth=1
	s_or_b32 s35, s35, exec_lo
	s_cmp_eq_u64 s[6:7], s[18:19]
	s_cbranch_scc0 .LBB1317_169
; %bb.172:                              ;   in Loop: Header=BB1317_171 Depth=1
	s_mov_b64 s[18:19], s[22:23]
                                        ; implicit-def: $vgpr17_vgpr18
                                        ; implicit-def: $vgpr19_vgpr20
	s_branch .LBB1317_170
.LBB1317_173:
	s_set_inst_prefetch_distance 0x2
	s_or_b32 exec_lo, exec_lo, s34
	v_cmp_gt_i64_e32 vcc_lo, s[22:23], v[21:22]
	s_or_not1_b32 s2, vcc_lo, exec_lo
.LBB1317_174:
	s_or_b32 exec_lo, exec_lo, s33
.LBB1317_175:
	s_delay_alu instid0(SALU_CYCLE_1)
	s_and_b32 s2, s2, exec_lo
.LBB1317_176:
	s_or_b32 exec_lo, exec_lo, s31
	s_waitcnt lgkmcnt(0)
	v_dual_mov_b32 v18, s5 :: v_dual_mov_b32 v17, s4
	s_mov_b32 s4, exec_lo
	s_barrier
	buffer_gl0_inv
	v_cmpx_ne_u32_e32 0, v0
	s_cbranch_execz .LBB1317_178
; %bb.177:
	v_add_nc_u32_e32 v17, -8, v39
	ds_load_b64 v[17:18], v17
.LBB1317_178:
	s_or_b32 exec_lo, exec_lo, s4
	v_cndmask_b32_e64 v20, 0, 1, s29
	v_cndmask_b32_e64 v22, 0, 1, s26
	;; [unrolled: 1-line block ×7, first 2 shown]
	v_lshlrev_b16 v20, 8, v20
	v_lshlrev_b16 v22, 8, v22
	;; [unrolled: 1-line block ×3, first 2 shown]
	s_mov_b32 s2, 0
	v_lshlrev_b16 v26, 8, v26
	v_or_b32_e32 v19, v19, v20
	v_or_b32_e32 v20, v21, v22
	;; [unrolled: 1-line block ×3, first 2 shown]
	s_mov_b32 s3, exec_lo
	v_and_b32_e32 v23, 0xffff, v26
	v_lshlrev_b32_e32 v24, 16, v19
	v_and_b32_e32 v26, 0xffff, v20
	v_lshlrev_b32_e32 v27, 16, v21
	v_cmpx_gt_u32_e64 s20, v39
	s_cbranch_execz .LBB1317_189
; %bb.179:
	v_cmp_ne_u32_e32 vcc_lo, 1, v25
	s_cbranch_vccnz .LBB1317_188
; %bb.180:
	s_waitcnt lgkmcnt(0)
	v_mul_lo_u32 v22, v18, s22
	v_mul_lo_u32 v25, v17, s23
	v_mad_u64_u32 v[18:19], null, v17, s22, 0
	v_mul_lo_u32 v17, v14, s22
	v_mul_lo_u32 v28, v13, s23
	v_mad_u64_u32 v[20:21], null, v13, s22, 0
	s_mov_b32 s2, -1
	s_mov_b32 s18, exec_lo
	s_delay_alu instid0(VALU_DEP_4) | instskip(NEXT) | instid1(VALU_DEP_2)
	v_add3_u32 v19, v19, v25, v22
	v_add3_u32 v21, v21, v28, v17
	s_delay_alu instid0(VALU_DEP_2) | instskip(NEXT) | instid1(VALU_DEP_2)
	v_lshlrev_b64 v[17:18], 1, v[18:19]
	v_lshlrev_b64 v[21:22], 1, v[20:21]
	s_delay_alu instid0(VALU_DEP_2) | instskip(NEXT) | instid1(VALU_DEP_3)
	v_add_co_u32 v19, vcc_lo, s8, v17
	v_add_co_ci_u32_e32 v20, vcc_lo, s9, v18, vcc_lo
	s_delay_alu instid0(VALU_DEP_3) | instskip(NEXT) | instid1(VALU_DEP_4)
	v_add_co_u32 v17, vcc_lo, s8, v21
	v_add_co_ci_u32_e32 v18, vcc_lo, s9, v22, vcc_lo
	s_clause 0x1
	global_load_u16 v21, v[19:20], off
	global_load_u16 v22, v[17:18], off
	s_waitcnt vmcnt(0)
	v_cmpx_eq_f16_e32 v21, v22
	s_cbranch_execz .LBB1317_187
; %bb.181:
	v_add_co_u32 v17, vcc_lo, v17, 2
	v_add_co_ci_u32_e32 v18, vcc_lo, 0, v18, vcc_lo
	v_add_co_u32 v19, vcc_lo, v19, 2
	v_add_co_ci_u32_e32 v20, vcc_lo, 0, v20, vcc_lo
	s_add_u32 s4, s22, -1
	s_addc_u32 s5, s23, -1
	s_mov_b64 s[6:7], 0
	s_mov_b32 s19, 0
                                        ; implicit-def: $sgpr26
	s_set_inst_prefetch_distance 0x1
	s_branch .LBB1317_184
	.p2align	6
.LBB1317_182:                           ;   in Loop: Header=BB1317_184 Depth=1
	global_load_u16 v21, v[19:20], off
	global_load_u16 v22, v[17:18], off
	v_add_co_u32 v17, vcc_lo, v17, 2
	v_add_co_ci_u32_e32 v18, vcc_lo, 0, v18, vcc_lo
	v_add_co_u32 v19, s2, v19, 2
	s_delay_alu instid0(VALU_DEP_1)
	v_add_co_ci_u32_e64 v20, s2, 0, v20, s2
	s_add_u32 s6, s6, 1
	s_addc_u32 s7, s7, 0
	s_and_not1_b32 s2, s26, exec_lo
	s_waitcnt vmcnt(0)
	v_cmp_neq_f16_e32 vcc_lo, v21, v22
	s_and_b32 s26, vcc_lo, exec_lo
	s_delay_alu instid0(SALU_CYCLE_1)
	s_or_b32 s26, s2, s26
.LBB1317_183:                           ;   in Loop: Header=BB1317_184 Depth=1
	v_dual_mov_b32 v22, s7 :: v_dual_mov_b32 v21, s6
	s_and_b32 s2, exec_lo, s26
	s_delay_alu instid0(SALU_CYCLE_1) | instskip(NEXT) | instid1(SALU_CYCLE_1)
	s_or_b32 s19, s2, s19
	s_and_not1_b32 exec_lo, exec_lo, s19
	s_cbranch_execz .LBB1317_186
.LBB1317_184:                           ; =>This Inner Loop Header: Depth=1
	s_or_b32 s26, s26, exec_lo
	s_cmp_eq_u64 s[4:5], s[6:7]
	s_cbranch_scc0 .LBB1317_182
; %bb.185:                              ;   in Loop: Header=BB1317_184 Depth=1
	s_mov_b64 s[6:7], s[22:23]
                                        ; implicit-def: $vgpr17_vgpr18
                                        ; implicit-def: $vgpr19_vgpr20
	s_branch .LBB1317_183
.LBB1317_186:
	s_set_inst_prefetch_distance 0x2
	s_or_b32 exec_lo, exec_lo, s19
	v_cmp_gt_i64_e32 vcc_lo, s[22:23], v[21:22]
	s_or_not1_b32 s2, vcc_lo, exec_lo
.LBB1317_187:
	s_or_b32 exec_lo, exec_lo, s18
.LBB1317_188:
	s_delay_alu instid0(SALU_CYCLE_1)
	s_and_b32 s2, s2, exec_lo
.LBB1317_189:
	s_or_b32 exec_lo, exec_lo, s3
	s_waitcnt lgkmcnt(0)
	v_or_b32_e32 v17, v23, v24
	v_or_b32_e32 v18, v26, v27
.LBB1317_190:
	s_mov_b32 s18, -1
	s_cbranch_execnz .LBB1317_359
.LBB1317_191:
	v_cmp_gt_i64_e64 s3, s[22:23], 0
	s_and_b32 vcc_lo, exec_lo, s21
	ds_store_b64 v39, v[3:4]
	s_cbranch_vccz .LBB1317_199
; %bb.192:
	s_waitcnt lgkmcnt(0)
	v_mul_lo_u32 v19, v2, s22
	v_mul_lo_u32 v20, v1, s23
	v_mad_u64_u32 v[17:18], null, v1, s22, 0
	s_mov_b32 s19, 0
	s_and_not1_b32 vcc_lo, exec_lo, s3
	s_mov_b32 s26, 0
	s_delay_alu instid0(VALU_DEP_1) | instskip(NEXT) | instid1(VALU_DEP_1)
	v_add3_u32 v18, v18, v20, v19
	v_lshlrev_b64 v[17:18], 1, v[17:18]
	s_cbranch_vccnz .LBB1317_202
; %bb.193:
	v_mul_lo_u32 v21, v4, s22
	v_mul_lo_u32 v22, v3, s23
	v_mad_u64_u32 v[19:20], null, v3, s22, 0
	s_mov_b32 s26, -1
	s_mov_b32 s27, exec_lo
	s_delay_alu instid0(VALU_DEP_1) | instskip(SKIP_2) | instid1(VALU_DEP_3)
	v_add3_u32 v20, v20, v22, v21
	v_add_co_u32 v21, vcc_lo, s8, v17
	v_add_co_ci_u32_e32 v22, vcc_lo, s9, v18, vcc_lo
	v_lshlrev_b64 v[19:20], 1, v[19:20]
	s_delay_alu instid0(VALU_DEP_1) | instskip(NEXT) | instid1(VALU_DEP_2)
	v_add_co_u32 v19, vcc_lo, s8, v19
	v_add_co_ci_u32_e32 v20, vcc_lo, s9, v20, vcc_lo
	s_clause 0x1
	global_load_u16 v23, v[21:22], off
	global_load_u16 v24, v[19:20], off
	s_waitcnt vmcnt(0)
	v_cmpx_eq_f16_e32 v23, v24
	s_cbranch_execz .LBB1317_201
; %bb.194:
	v_add_co_u32 v19, vcc_lo, v19, 2
	v_add_co_ci_u32_e32 v20, vcc_lo, 0, v20, vcc_lo
	v_add_co_u32 v21, vcc_lo, v21, 2
	v_add_co_ci_u32_e32 v22, vcc_lo, 0, v22, vcc_lo
	s_add_u32 s4, s22, -1
	s_addc_u32 s5, s23, -1
	s_mov_b64 s[6:7], 0
	s_mov_b32 s26, 0
                                        ; implicit-def: $sgpr28
	s_set_inst_prefetch_distance 0x1
	s_branch .LBB1317_197
	.p2align	6
.LBB1317_195:                           ;   in Loop: Header=BB1317_197 Depth=1
	global_load_u16 v23, v[21:22], off
	global_load_u16 v24, v[19:20], off
	v_add_co_u32 v19, vcc_lo, v19, 2
	v_add_co_ci_u32_e32 v20, vcc_lo, 0, v20, vcc_lo
	v_add_co_u32 v21, s2, v21, 2
	s_delay_alu instid0(VALU_DEP_1)
	v_add_co_ci_u32_e64 v22, s2, 0, v22, s2
	s_add_u32 s6, s6, 1
	s_addc_u32 s7, s7, 0
	s_and_not1_b32 s2, s28, exec_lo
	s_waitcnt vmcnt(0)
	v_cmp_neq_f16_e32 vcc_lo, v23, v24
	s_and_b32 s28, vcc_lo, exec_lo
	s_delay_alu instid0(SALU_CYCLE_1)
	s_or_b32 s28, s2, s28
.LBB1317_196:                           ;   in Loop: Header=BB1317_197 Depth=1
	v_dual_mov_b32 v24, s7 :: v_dual_mov_b32 v23, s6
	s_and_b32 s2, exec_lo, s28
	s_delay_alu instid0(SALU_CYCLE_1) | instskip(NEXT) | instid1(SALU_CYCLE_1)
	s_or_b32 s26, s2, s26
	s_and_not1_b32 exec_lo, exec_lo, s26
	s_cbranch_execz .LBB1317_200
.LBB1317_197:                           ; =>This Inner Loop Header: Depth=1
	s_or_b32 s28, s28, exec_lo
	s_cmp_eq_u64 s[4:5], s[6:7]
	s_cbranch_scc0 .LBB1317_195
; %bb.198:                              ;   in Loop: Header=BB1317_197 Depth=1
	s_mov_b64 s[6:7], s[22:23]
                                        ; implicit-def: $vgpr19_vgpr20
                                        ; implicit-def: $vgpr21_vgpr22
	s_branch .LBB1317_196
.LBB1317_199:
	s_waitcnt lgkmcnt(0)
                                        ; implicit-def: $sgpr2
                                        ; implicit-def: $vgpr18
	s_cbranch_execnz .LBB1317_268
	s_branch .LBB1317_359
.LBB1317_200:
	s_set_inst_prefetch_distance 0x2
	s_or_b32 exec_lo, exec_lo, s26
	v_cmp_gt_i64_e32 vcc_lo, s[22:23], v[23:24]
	s_or_not1_b32 s26, vcc_lo, exec_lo
.LBB1317_201:
	s_or_b32 exec_lo, exec_lo, s27
.LBB1317_202:
	v_mul_lo_u32 v21, v8, s22
	v_mul_lo_u32 v22, v7, s23
	v_mad_u64_u32 v[19:20], null, v7, s22, 0
	s_and_not1_b32 vcc_lo, exec_lo, s3
	s_delay_alu instid0(VALU_DEP_1) | instskip(NEXT) | instid1(VALU_DEP_1)
	v_add3_u32 v20, v20, v22, v21
	v_lshlrev_b64 v[19:20], 1, v[19:20]
	s_cbranch_vccnz .LBB1317_211
; %bb.203:
	s_delay_alu instid0(VALU_DEP_1) | instskip(NEXT) | instid1(VALU_DEP_2)
	v_add_co_u32 v21, vcc_lo, s8, v19
	v_add_co_ci_u32_e32 v22, vcc_lo, s9, v20, vcc_lo
	v_add_co_u32 v17, vcc_lo, s8, v17
	v_add_co_ci_u32_e32 v18, vcc_lo, s9, v18, vcc_lo
	s_mov_b32 s19, -1
	s_clause 0x1
	global_load_u16 v23, v[21:22], off
	global_load_u16 v24, v[17:18], off
	s_mov_b32 s27, exec_lo
	s_waitcnt vmcnt(0)
	v_cmpx_eq_f16_e32 v23, v24
	s_cbranch_execz .LBB1317_210
; %bb.204:
	v_add_co_u32 v17, vcc_lo, v17, 2
	v_add_co_ci_u32_e32 v18, vcc_lo, 0, v18, vcc_lo
	v_add_co_u32 v21, vcc_lo, v21, 2
	v_add_co_ci_u32_e32 v22, vcc_lo, 0, v22, vcc_lo
	s_add_u32 s4, s22, -1
	s_addc_u32 s5, s23, -1
	s_mov_b64 s[6:7], 0
	s_mov_b32 s19, 0
                                        ; implicit-def: $sgpr28
	s_set_inst_prefetch_distance 0x1
	s_branch .LBB1317_207
	.p2align	6
.LBB1317_205:                           ;   in Loop: Header=BB1317_207 Depth=1
	global_load_u16 v23, v[21:22], off
	global_load_u16 v24, v[17:18], off
	v_add_co_u32 v17, vcc_lo, v17, 2
	v_add_co_ci_u32_e32 v18, vcc_lo, 0, v18, vcc_lo
	v_add_co_u32 v21, s2, v21, 2
	s_delay_alu instid0(VALU_DEP_1)
	v_add_co_ci_u32_e64 v22, s2, 0, v22, s2
	s_add_u32 s6, s6, 1
	s_addc_u32 s7, s7, 0
	s_and_not1_b32 s2, s28, exec_lo
	s_waitcnt vmcnt(0)
	v_cmp_neq_f16_e32 vcc_lo, v23, v24
	s_and_b32 s28, vcc_lo, exec_lo
	s_delay_alu instid0(SALU_CYCLE_1)
	s_or_b32 s28, s2, s28
.LBB1317_206:                           ;   in Loop: Header=BB1317_207 Depth=1
	v_dual_mov_b32 v24, s7 :: v_dual_mov_b32 v23, s6
	s_and_b32 s2, exec_lo, s28
	s_delay_alu instid0(SALU_CYCLE_1) | instskip(NEXT) | instid1(SALU_CYCLE_1)
	s_or_b32 s19, s2, s19
	s_and_not1_b32 exec_lo, exec_lo, s19
	s_cbranch_execz .LBB1317_209
.LBB1317_207:                           ; =>This Inner Loop Header: Depth=1
	s_or_b32 s28, s28, exec_lo
	s_cmp_eq_u64 s[4:5], s[6:7]
	s_cbranch_scc0 .LBB1317_205
; %bb.208:                              ;   in Loop: Header=BB1317_207 Depth=1
	s_mov_b64 s[6:7], s[22:23]
                                        ; implicit-def: $vgpr17_vgpr18
                                        ; implicit-def: $vgpr21_vgpr22
	s_branch .LBB1317_206
.LBB1317_209:
	s_set_inst_prefetch_distance 0x2
	s_or_b32 exec_lo, exec_lo, s19
	v_cmp_gt_i64_e32 vcc_lo, s[22:23], v[23:24]
	s_or_not1_b32 s19, vcc_lo, exec_lo
.LBB1317_210:
	s_or_b32 exec_lo, exec_lo, s27
.LBB1317_211:
	v_mul_lo_u32 v21, v6, s22
	v_mul_lo_u32 v22, v5, s23
	v_mad_u64_u32 v[17:18], null, v5, s22, 0
	s_mov_b32 s27, 0
	s_and_not1_b32 vcc_lo, exec_lo, s3
	s_mov_b32 s28, 0
	s_delay_alu instid0(VALU_DEP_1) | instskip(NEXT) | instid1(VALU_DEP_1)
	v_add3_u32 v18, v18, v22, v21
	v_lshlrev_b64 v[21:22], 1, v[17:18]
	s_cbranch_vccnz .LBB1317_220
; %bb.212:
	s_delay_alu instid0(VALU_DEP_1) | instskip(NEXT) | instid1(VALU_DEP_2)
	v_add_co_u32 v23, vcc_lo, s8, v21
	v_add_co_ci_u32_e32 v24, vcc_lo, s9, v22, vcc_lo
	v_add_co_u32 v17, vcc_lo, s8, v19
	v_add_co_ci_u32_e32 v18, vcc_lo, s9, v20, vcc_lo
	s_mov_b32 s28, -1
	s_clause 0x1
	global_load_u16 v19, v[23:24], off
	global_load_u16 v20, v[17:18], off
	s_mov_b32 s29, exec_lo
	s_waitcnt vmcnt(0)
	v_cmpx_eq_f16_e32 v19, v20
	s_cbranch_execz .LBB1317_219
; %bb.213:
	v_add_co_u32 v17, vcc_lo, v17, 2
	v_add_co_ci_u32_e32 v18, vcc_lo, 0, v18, vcc_lo
	v_add_co_u32 v19, vcc_lo, v23, 2
	v_add_co_ci_u32_e32 v20, vcc_lo, 0, v24, vcc_lo
	s_add_u32 s4, s22, -1
	s_addc_u32 s5, s23, -1
	s_mov_b64 s[6:7], 0
	s_mov_b32 s28, 0
                                        ; implicit-def: $sgpr30
	s_set_inst_prefetch_distance 0x1
	s_branch .LBB1317_216
	.p2align	6
.LBB1317_214:                           ;   in Loop: Header=BB1317_216 Depth=1
	global_load_u16 v23, v[19:20], off
	global_load_u16 v24, v[17:18], off
	v_add_co_u32 v17, vcc_lo, v17, 2
	v_add_co_ci_u32_e32 v18, vcc_lo, 0, v18, vcc_lo
	v_add_co_u32 v19, s2, v19, 2
	s_delay_alu instid0(VALU_DEP_1)
	v_add_co_ci_u32_e64 v20, s2, 0, v20, s2
	s_add_u32 s6, s6, 1
	s_addc_u32 s7, s7, 0
	s_and_not1_b32 s2, s30, exec_lo
	s_waitcnt vmcnt(0)
	v_cmp_neq_f16_e32 vcc_lo, v23, v24
	s_and_b32 s30, vcc_lo, exec_lo
	s_delay_alu instid0(SALU_CYCLE_1)
	s_or_b32 s30, s2, s30
.LBB1317_215:                           ;   in Loop: Header=BB1317_216 Depth=1
	v_dual_mov_b32 v24, s7 :: v_dual_mov_b32 v23, s6
	s_and_b32 s2, exec_lo, s30
	s_delay_alu instid0(SALU_CYCLE_1) | instskip(NEXT) | instid1(SALU_CYCLE_1)
	s_or_b32 s28, s2, s28
	s_and_not1_b32 exec_lo, exec_lo, s28
	s_cbranch_execz .LBB1317_218
.LBB1317_216:                           ; =>This Inner Loop Header: Depth=1
	s_or_b32 s30, s30, exec_lo
	s_cmp_eq_u64 s[4:5], s[6:7]
	s_cbranch_scc0 .LBB1317_214
; %bb.217:                              ;   in Loop: Header=BB1317_216 Depth=1
	s_mov_b64 s[6:7], s[22:23]
                                        ; implicit-def: $vgpr17_vgpr18
                                        ; implicit-def: $vgpr19_vgpr20
	s_branch .LBB1317_215
.LBB1317_218:
	s_set_inst_prefetch_distance 0x2
	s_or_b32 exec_lo, exec_lo, s28
	v_cmp_gt_i64_e32 vcc_lo, s[22:23], v[23:24]
	s_or_not1_b32 s28, vcc_lo, exec_lo
.LBB1317_219:
	s_or_b32 exec_lo, exec_lo, s29
.LBB1317_220:
	v_mul_lo_u32 v19, v12, s22
	v_mul_lo_u32 v20, v11, s23
	v_mad_u64_u32 v[17:18], null, v11, s22, 0
	s_and_not1_b32 vcc_lo, exec_lo, s3
	s_delay_alu instid0(VALU_DEP_1) | instskip(NEXT) | instid1(VALU_DEP_1)
	v_add3_u32 v18, v18, v20, v19
	v_lshlrev_b64 v[17:18], 1, v[17:18]
	s_cbranch_vccnz .LBB1317_229
; %bb.221:
	s_delay_alu instid0(VALU_DEP_1) | instskip(NEXT) | instid1(VALU_DEP_2)
	v_add_co_u32 v23, vcc_lo, s8, v17
	v_add_co_ci_u32_e32 v24, vcc_lo, s9, v18, vcc_lo
	v_add_co_u32 v19, vcc_lo, s8, v21
	v_add_co_ci_u32_e32 v20, vcc_lo, s9, v22, vcc_lo
	s_mov_b32 s27, -1
	s_clause 0x1
	global_load_u16 v21, v[23:24], off
	global_load_u16 v22, v[19:20], off
	s_mov_b32 s29, exec_lo
	s_waitcnt vmcnt(0)
	v_cmpx_eq_f16_e32 v21, v22
	s_cbranch_execz .LBB1317_228
; %bb.222:
	v_add_co_u32 v19, vcc_lo, v19, 2
	v_add_co_ci_u32_e32 v20, vcc_lo, 0, v20, vcc_lo
	v_add_co_u32 v21, vcc_lo, v23, 2
	v_add_co_ci_u32_e32 v22, vcc_lo, 0, v24, vcc_lo
	s_add_u32 s4, s22, -1
	s_addc_u32 s5, s23, -1
	s_mov_b64 s[6:7], 0
	s_mov_b32 s27, 0
                                        ; implicit-def: $sgpr30
	s_set_inst_prefetch_distance 0x1
	s_branch .LBB1317_225
	.p2align	6
.LBB1317_223:                           ;   in Loop: Header=BB1317_225 Depth=1
	global_load_u16 v23, v[21:22], off
	global_load_u16 v24, v[19:20], off
	v_add_co_u32 v19, vcc_lo, v19, 2
	v_add_co_ci_u32_e32 v20, vcc_lo, 0, v20, vcc_lo
	v_add_co_u32 v21, s2, v21, 2
	s_delay_alu instid0(VALU_DEP_1)
	v_add_co_ci_u32_e64 v22, s2, 0, v22, s2
	s_add_u32 s6, s6, 1
	s_addc_u32 s7, s7, 0
	s_and_not1_b32 s2, s30, exec_lo
	s_waitcnt vmcnt(0)
	v_cmp_neq_f16_e32 vcc_lo, v23, v24
	s_and_b32 s30, vcc_lo, exec_lo
	s_delay_alu instid0(SALU_CYCLE_1)
	s_or_b32 s30, s2, s30
.LBB1317_224:                           ;   in Loop: Header=BB1317_225 Depth=1
	v_dual_mov_b32 v24, s7 :: v_dual_mov_b32 v23, s6
	s_and_b32 s2, exec_lo, s30
	s_delay_alu instid0(SALU_CYCLE_1) | instskip(NEXT) | instid1(SALU_CYCLE_1)
	s_or_b32 s27, s2, s27
	s_and_not1_b32 exec_lo, exec_lo, s27
	s_cbranch_execz .LBB1317_227
.LBB1317_225:                           ; =>This Inner Loop Header: Depth=1
	s_or_b32 s30, s30, exec_lo
	s_cmp_eq_u64 s[4:5], s[6:7]
	s_cbranch_scc0 .LBB1317_223
; %bb.226:                              ;   in Loop: Header=BB1317_225 Depth=1
	s_mov_b64 s[6:7], s[22:23]
                                        ; implicit-def: $vgpr19_vgpr20
                                        ; implicit-def: $vgpr21_vgpr22
	s_branch .LBB1317_224
.LBB1317_227:
	s_set_inst_prefetch_distance 0x2
	s_or_b32 exec_lo, exec_lo, s27
	v_cmp_gt_i64_e32 vcc_lo, s[22:23], v[23:24]
	s_or_not1_b32 s27, vcc_lo, exec_lo
.LBB1317_228:
	s_or_b32 exec_lo, exec_lo, s29
.LBB1317_229:
	v_mul_lo_u32 v21, v10, s22
	v_mul_lo_u32 v22, v9, s23
	v_mad_u64_u32 v[19:20], null, v9, s22, 0
	s_mov_b32 s29, 0
	s_and_not1_b32 vcc_lo, exec_lo, s3
	s_mov_b32 s30, 0
	s_delay_alu instid0(VALU_DEP_1) | instskip(NEXT) | instid1(VALU_DEP_1)
	v_add3_u32 v20, v20, v22, v21
	v_lshlrev_b64 v[19:20], 1, v[19:20]
	s_cbranch_vccnz .LBB1317_238
; %bb.230:
	s_delay_alu instid0(VALU_DEP_1) | instskip(NEXT) | instid1(VALU_DEP_2)
	v_add_co_u32 v21, vcc_lo, s8, v19
	v_add_co_ci_u32_e32 v22, vcc_lo, s9, v20, vcc_lo
	v_add_co_u32 v17, vcc_lo, s8, v17
	v_add_co_ci_u32_e32 v18, vcc_lo, s9, v18, vcc_lo
	s_mov_b32 s30, -1
	s_clause 0x1
	global_load_u16 v23, v[21:22], off
	global_load_u16 v24, v[17:18], off
	s_mov_b32 s31, exec_lo
	s_waitcnt vmcnt(0)
	v_cmpx_eq_f16_e32 v23, v24
	s_cbranch_execz .LBB1317_237
; %bb.231:
	v_add_co_u32 v17, vcc_lo, v17, 2
	v_add_co_ci_u32_e32 v18, vcc_lo, 0, v18, vcc_lo
	v_add_co_u32 v21, vcc_lo, v21, 2
	v_add_co_ci_u32_e32 v22, vcc_lo, 0, v22, vcc_lo
	s_add_u32 s4, s22, -1
	s_addc_u32 s5, s23, -1
	s_mov_b64 s[6:7], 0
	s_mov_b32 s30, 0
                                        ; implicit-def: $sgpr33
	s_set_inst_prefetch_distance 0x1
	s_branch .LBB1317_234
	.p2align	6
.LBB1317_232:                           ;   in Loop: Header=BB1317_234 Depth=1
	global_load_u16 v23, v[21:22], off
	global_load_u16 v24, v[17:18], off
	v_add_co_u32 v17, vcc_lo, v17, 2
	v_add_co_ci_u32_e32 v18, vcc_lo, 0, v18, vcc_lo
	v_add_co_u32 v21, s2, v21, 2
	s_delay_alu instid0(VALU_DEP_1)
	v_add_co_ci_u32_e64 v22, s2, 0, v22, s2
	s_add_u32 s6, s6, 1
	s_addc_u32 s7, s7, 0
	s_and_not1_b32 s2, s33, exec_lo
	s_waitcnt vmcnt(0)
	v_cmp_neq_f16_e32 vcc_lo, v23, v24
	s_and_b32 s33, vcc_lo, exec_lo
	s_delay_alu instid0(SALU_CYCLE_1)
	s_or_b32 s33, s2, s33
.LBB1317_233:                           ;   in Loop: Header=BB1317_234 Depth=1
	v_dual_mov_b32 v24, s7 :: v_dual_mov_b32 v23, s6
	s_and_b32 s2, exec_lo, s33
	s_delay_alu instid0(SALU_CYCLE_1) | instskip(NEXT) | instid1(SALU_CYCLE_1)
	s_or_b32 s30, s2, s30
	s_and_not1_b32 exec_lo, exec_lo, s30
	s_cbranch_execz .LBB1317_236
.LBB1317_234:                           ; =>This Inner Loop Header: Depth=1
	s_or_b32 s33, s33, exec_lo
	s_cmp_eq_u64 s[4:5], s[6:7]
	s_cbranch_scc0 .LBB1317_232
; %bb.235:                              ;   in Loop: Header=BB1317_234 Depth=1
	s_mov_b64 s[6:7], s[22:23]
                                        ; implicit-def: $vgpr17_vgpr18
                                        ; implicit-def: $vgpr21_vgpr22
	s_branch .LBB1317_233
.LBB1317_236:
	s_set_inst_prefetch_distance 0x2
	s_or_b32 exec_lo, exec_lo, s30
	v_cmp_gt_i64_e32 vcc_lo, s[22:23], v[23:24]
	s_or_not1_b32 s30, vcc_lo, exec_lo
.LBB1317_237:
	s_or_b32 exec_lo, exec_lo, s31
.LBB1317_238:
	v_mul_lo_u32 v21, v16, s22
	v_mul_lo_u32 v22, v15, s23
	v_mad_u64_u32 v[17:18], null, v15, s22, 0
	s_and_not1_b32 vcc_lo, exec_lo, s3
	s_delay_alu instid0(VALU_DEP_1) | instskip(NEXT) | instid1(VALU_DEP_1)
	v_add3_u32 v18, v18, v22, v21
	v_lshlrev_b64 v[17:18], 1, v[17:18]
	s_cbranch_vccnz .LBB1317_247
; %bb.239:
	s_delay_alu instid0(VALU_DEP_1) | instskip(NEXT) | instid1(VALU_DEP_2)
	v_add_co_u32 v21, vcc_lo, s8, v17
	v_add_co_ci_u32_e32 v22, vcc_lo, s9, v18, vcc_lo
	v_add_co_u32 v19, vcc_lo, s8, v19
	v_add_co_ci_u32_e32 v20, vcc_lo, s9, v20, vcc_lo
	s_mov_b32 s29, -1
	s_clause 0x1
	global_load_u16 v23, v[21:22], off
	global_load_u16 v24, v[19:20], off
	s_mov_b32 s31, exec_lo
	s_waitcnt vmcnt(0)
	v_cmpx_eq_f16_e32 v23, v24
	s_cbranch_execz .LBB1317_246
; %bb.240:
	v_add_co_u32 v19, vcc_lo, v19, 2
	v_add_co_ci_u32_e32 v20, vcc_lo, 0, v20, vcc_lo
	v_add_co_u32 v21, vcc_lo, v21, 2
	v_add_co_ci_u32_e32 v22, vcc_lo, 0, v22, vcc_lo
	s_add_u32 s4, s22, -1
	s_addc_u32 s5, s23, -1
	s_mov_b64 s[6:7], 0
	s_mov_b32 s29, 0
                                        ; implicit-def: $sgpr33
	s_set_inst_prefetch_distance 0x1
	s_branch .LBB1317_243
	.p2align	6
.LBB1317_241:                           ;   in Loop: Header=BB1317_243 Depth=1
	global_load_u16 v23, v[21:22], off
	global_load_u16 v24, v[19:20], off
	v_add_co_u32 v19, vcc_lo, v19, 2
	v_add_co_ci_u32_e32 v20, vcc_lo, 0, v20, vcc_lo
	v_add_co_u32 v21, s2, v21, 2
	s_delay_alu instid0(VALU_DEP_1)
	v_add_co_ci_u32_e64 v22, s2, 0, v22, s2
	s_add_u32 s6, s6, 1
	s_addc_u32 s7, s7, 0
	s_and_not1_b32 s2, s33, exec_lo
	s_waitcnt vmcnt(0)
	v_cmp_neq_f16_e32 vcc_lo, v23, v24
	s_and_b32 s33, vcc_lo, exec_lo
	s_delay_alu instid0(SALU_CYCLE_1)
	s_or_b32 s33, s2, s33
.LBB1317_242:                           ;   in Loop: Header=BB1317_243 Depth=1
	v_dual_mov_b32 v24, s7 :: v_dual_mov_b32 v23, s6
	s_and_b32 s2, exec_lo, s33
	s_delay_alu instid0(SALU_CYCLE_1) | instskip(NEXT) | instid1(SALU_CYCLE_1)
	s_or_b32 s29, s2, s29
	s_and_not1_b32 exec_lo, exec_lo, s29
	s_cbranch_execz .LBB1317_245
.LBB1317_243:                           ; =>This Inner Loop Header: Depth=1
	s_or_b32 s33, s33, exec_lo
	s_cmp_eq_u64 s[4:5], s[6:7]
	s_cbranch_scc0 .LBB1317_241
; %bb.244:                              ;   in Loop: Header=BB1317_243 Depth=1
	s_mov_b64 s[6:7], s[22:23]
                                        ; implicit-def: $vgpr19_vgpr20
                                        ; implicit-def: $vgpr21_vgpr22
	s_branch .LBB1317_242
.LBB1317_245:
	s_set_inst_prefetch_distance 0x2
	s_or_b32 exec_lo, exec_lo, s29
	v_cmp_gt_i64_e32 vcc_lo, s[22:23], v[23:24]
	s_or_not1_b32 s29, vcc_lo, exec_lo
.LBB1317_246:
	s_or_b32 exec_lo, exec_lo, s31
.LBB1317_247:
	v_mul_lo_u32 v21, v14, s22
	v_mul_lo_u32 v22, v13, s23
	v_mad_u64_u32 v[19:20], null, v13, s22, 0
	s_and_not1_b32 vcc_lo, exec_lo, s3
	s_mov_b32 s2, 0
	s_delay_alu instid0(VALU_DEP_1)
	v_add3_u32 v20, v20, v22, v21
	s_cbranch_vccnz .LBB1317_256
; %bb.248:
	s_delay_alu instid0(VALU_DEP_1) | instskip(SKIP_2) | instid1(VALU_DEP_1)
	v_lshlrev_b64 v[21:22], 1, v[19:20]
	s_mov_b32 s2, -1
	s_mov_b32 s31, exec_lo
	v_add_co_u32 v21, vcc_lo, s8, v21
	s_delay_alu instid0(VALU_DEP_2)
	v_add_co_ci_u32_e32 v22, vcc_lo, s9, v22, vcc_lo
	v_add_co_u32 v17, vcc_lo, s8, v17
	v_add_co_ci_u32_e32 v18, vcc_lo, s9, v18, vcc_lo
	s_clause 0x1
	global_load_u16 v23, v[21:22], off
	global_load_u16 v24, v[17:18], off
	s_waitcnt vmcnt(0)
	v_cmpx_eq_f16_e32 v23, v24
	s_cbranch_execz .LBB1317_255
; %bb.249:
	v_add_co_u32 v17, vcc_lo, v17, 2
	v_add_co_ci_u32_e32 v18, vcc_lo, 0, v18, vcc_lo
	v_add_co_u32 v21, vcc_lo, v21, 2
	v_add_co_ci_u32_e32 v22, vcc_lo, 0, v22, vcc_lo
	s_add_u32 s4, s22, -1
	s_addc_u32 s5, s23, -1
	s_mov_b64 s[6:7], 0
	s_mov_b32 s33, 0
                                        ; implicit-def: $sgpr34
	s_set_inst_prefetch_distance 0x1
	s_branch .LBB1317_252
	.p2align	6
.LBB1317_250:                           ;   in Loop: Header=BB1317_252 Depth=1
	global_load_u16 v23, v[21:22], off
	global_load_u16 v24, v[17:18], off
	v_add_co_u32 v17, vcc_lo, v17, 2
	v_add_co_ci_u32_e32 v18, vcc_lo, 0, v18, vcc_lo
	v_add_co_u32 v21, s2, v21, 2
	s_delay_alu instid0(VALU_DEP_1)
	v_add_co_ci_u32_e64 v22, s2, 0, v22, s2
	s_add_u32 s6, s6, 1
	s_addc_u32 s7, s7, 0
	s_and_not1_b32 s2, s34, exec_lo
	s_waitcnt vmcnt(0)
	v_cmp_neq_f16_e32 vcc_lo, v23, v24
	s_and_b32 s34, vcc_lo, exec_lo
	s_delay_alu instid0(SALU_CYCLE_1)
	s_or_b32 s34, s2, s34
.LBB1317_251:                           ;   in Loop: Header=BB1317_252 Depth=1
	v_dual_mov_b32 v24, s7 :: v_dual_mov_b32 v23, s6
	s_and_b32 s2, exec_lo, s34
	s_delay_alu instid0(SALU_CYCLE_1) | instskip(NEXT) | instid1(SALU_CYCLE_1)
	s_or_b32 s33, s2, s33
	s_and_not1_b32 exec_lo, exec_lo, s33
	s_cbranch_execz .LBB1317_254
.LBB1317_252:                           ; =>This Inner Loop Header: Depth=1
	s_or_b32 s34, s34, exec_lo
	s_cmp_eq_u64 s[4:5], s[6:7]
	s_cbranch_scc0 .LBB1317_250
; %bb.253:                              ;   in Loop: Header=BB1317_252 Depth=1
	s_mov_b64 s[6:7], s[22:23]
                                        ; implicit-def: $vgpr17_vgpr18
                                        ; implicit-def: $vgpr21_vgpr22
	s_branch .LBB1317_251
.LBB1317_254:
	s_set_inst_prefetch_distance 0x2
	s_or_b32 exec_lo, exec_lo, s33
	v_cmp_gt_i64_e32 vcc_lo, s[22:23], v[23:24]
	s_or_not1_b32 s2, vcc_lo, exec_lo
.LBB1317_255:
	s_or_b32 exec_lo, exec_lo, s31
.LBB1317_256:
	v_cndmask_b32_e64 v18, 0, 1, s30
	v_cndmask_b32_e64 v21, 0, 1, s28
	;; [unrolled: 1-line block ×7, first 2 shown]
	v_lshlrev_b16 v21, 8, v21
	v_lshlrev_b16 v22, 8, v22
	;; [unrolled: 1-line block ×4, first 2 shown]
	s_delay_alu instid0(VALU_DEP_4) | instskip(NEXT) | instid1(VALU_DEP_4)
	v_or_b32_e32 v21, v24, v21
	v_or_b32_e32 v22, v25, v22
	s_delay_alu instid0(VALU_DEP_4) | instskip(NEXT) | instid1(VALU_DEP_4)
	v_or_b32_e32 v23, 1, v23
	v_or_b32_e32 v17, v17, v18
	s_barrier
	v_and_b32_e32 v18, 0xffff, v21
	v_lshlrev_b32_e32 v21, 16, v22
	v_and_b32_e32 v22, 0xffff, v23
	v_lshlrev_b32_e32 v17, 16, v17
	buffer_gl0_inv
                                        ; implicit-def: $sgpr2
	s_mov_b32 s4, exec_lo
	v_or_b32_e32 v18, v18, v21
	v_or_b32_e32 v17, v22, v17
	v_cmpx_ne_u32_e32 0, v0
	s_xor_b32 s19, exec_lo, s4
	s_cbranch_execz .LBB1317_267
; %bb.257:
	s_and_not1_b32 vcc_lo, exec_lo, s3
	s_mov_b32 s2, 0
	s_cbranch_vccnz .LBB1317_266
; %bb.258:
	v_add_nc_u32_e32 v21, -8, v39
	v_lshlrev_b64 v[19:20], 1, v[19:20]
	s_mov_b32 s2, -1
	s_mov_b32 s26, exec_lo
	ds_load_b64 v[21:22], v21
	s_waitcnt lgkmcnt(0)
	v_mul_lo_u32 v24, v22, s22
	v_mul_lo_u32 v25, v21, s23
	v_mad_u64_u32 v[22:23], null, v21, s22, 0
	s_delay_alu instid0(VALU_DEP_1) | instskip(NEXT) | instid1(VALU_DEP_1)
	v_add3_u32 v23, v23, v25, v24
	v_lshlrev_b64 v[21:22], 1, v[22:23]
	s_delay_alu instid0(VALU_DEP_1) | instskip(NEXT) | instid1(VALU_DEP_2)
	v_add_co_u32 v21, vcc_lo, s8, v21
	v_add_co_ci_u32_e32 v22, vcc_lo, s9, v22, vcc_lo
	v_add_co_u32 v19, vcc_lo, s8, v19
	v_add_co_ci_u32_e32 v20, vcc_lo, s9, v20, vcc_lo
	s_clause 0x1
	global_load_u16 v23, v[21:22], off
	global_load_u16 v24, v[19:20], off
	s_waitcnt vmcnt(0)
	v_cmpx_eq_f16_e32 v23, v24
	s_cbranch_execz .LBB1317_265
; %bb.259:
	v_add_co_u32 v19, vcc_lo, v19, 2
	v_add_co_ci_u32_e32 v20, vcc_lo, 0, v20, vcc_lo
	v_add_co_u32 v21, vcc_lo, v21, 2
	v_add_co_ci_u32_e32 v22, vcc_lo, 0, v22, vcc_lo
	s_add_u32 s4, s22, -1
	s_addc_u32 s5, s23, -1
	s_mov_b64 s[6:7], 0
	s_mov_b32 s27, 0
                                        ; implicit-def: $sgpr28
	s_set_inst_prefetch_distance 0x1
	s_branch .LBB1317_262
	.p2align	6
.LBB1317_260:                           ;   in Loop: Header=BB1317_262 Depth=1
	global_load_u16 v23, v[21:22], off
	global_load_u16 v24, v[19:20], off
	v_add_co_u32 v19, vcc_lo, v19, 2
	v_add_co_ci_u32_e32 v20, vcc_lo, 0, v20, vcc_lo
	v_add_co_u32 v21, s2, v21, 2
	s_delay_alu instid0(VALU_DEP_1)
	v_add_co_ci_u32_e64 v22, s2, 0, v22, s2
	s_add_u32 s6, s6, 1
	s_addc_u32 s7, s7, 0
	s_and_not1_b32 s2, s28, exec_lo
	s_waitcnt vmcnt(0)
	v_cmp_neq_f16_e32 vcc_lo, v23, v24
	s_and_b32 s28, vcc_lo, exec_lo
	s_delay_alu instid0(SALU_CYCLE_1)
	s_or_b32 s28, s2, s28
.LBB1317_261:                           ;   in Loop: Header=BB1317_262 Depth=1
	v_dual_mov_b32 v24, s7 :: v_dual_mov_b32 v23, s6
	s_and_b32 s2, exec_lo, s28
	s_delay_alu instid0(SALU_CYCLE_1) | instskip(NEXT) | instid1(SALU_CYCLE_1)
	s_or_b32 s27, s2, s27
	s_and_not1_b32 exec_lo, exec_lo, s27
	s_cbranch_execz .LBB1317_264
.LBB1317_262:                           ; =>This Inner Loop Header: Depth=1
	s_or_b32 s28, s28, exec_lo
	s_cmp_eq_u64 s[4:5], s[6:7]
	s_cbranch_scc0 .LBB1317_260
; %bb.263:                              ;   in Loop: Header=BB1317_262 Depth=1
	s_mov_b64 s[6:7], s[22:23]
                                        ; implicit-def: $vgpr19_vgpr20
                                        ; implicit-def: $vgpr21_vgpr22
	s_branch .LBB1317_261
.LBB1317_264:
	s_set_inst_prefetch_distance 0x2
	s_or_b32 exec_lo, exec_lo, s27
	v_cmp_gt_i64_e32 vcc_lo, s[22:23], v[23:24]
	s_or_not1_b32 s2, vcc_lo, exec_lo
.LBB1317_265:
	s_or_b32 exec_lo, exec_lo, s26
.LBB1317_266:
	s_delay_alu instid0(SALU_CYCLE_1)
	s_and_b32 s2, s2, exec_lo
	s_or_b32 s18, s18, exec_lo
.LBB1317_267:
	s_or_b32 exec_lo, exec_lo, s19
	s_branch .LBB1317_359
.LBB1317_268:
	v_or_b32_e32 v17, 7, v39
	s_mov_b32 s19, 0
	s_mov_b32 s26, 0
	s_mov_b32 s27, exec_lo
	s_delay_alu instid0(VALU_DEP_1)
	v_cmpx_gt_u32_e64 s20, v17
	s_cbranch_execz .LBB1317_279
; %bb.269:
	s_and_not1_b32 vcc_lo, exec_lo, s3
	s_mov_b32 s2, 0
	s_cbranch_vccnz .LBB1317_278
; %bb.270:
	v_mul_lo_u32 v21, v2, s22
	v_mul_lo_u32 v22, v1, s23
	v_mad_u64_u32 v[17:18], null, v1, s22, 0
	v_mul_lo_u32 v23, v4, s22
	v_mul_lo_u32 v24, v3, s23
	v_mad_u64_u32 v[19:20], null, v3, s22, 0
	s_mov_b32 s2, -1
	s_mov_b32 s26, exec_lo
	s_delay_alu instid0(VALU_DEP_4) | instskip(NEXT) | instid1(VALU_DEP_2)
	v_add3_u32 v18, v18, v22, v21
	v_add3_u32 v20, v20, v24, v23
	s_delay_alu instid0(VALU_DEP_2) | instskip(NEXT) | instid1(VALU_DEP_2)
	v_lshlrev_b64 v[17:18], 1, v[17:18]
	v_lshlrev_b64 v[21:22], 1, v[19:20]
	s_delay_alu instid0(VALU_DEP_2) | instskip(NEXT) | instid1(VALU_DEP_3)
	v_add_co_u32 v19, vcc_lo, s8, v17
	v_add_co_ci_u32_e32 v20, vcc_lo, s9, v18, vcc_lo
	s_delay_alu instid0(VALU_DEP_3) | instskip(NEXT) | instid1(VALU_DEP_4)
	v_add_co_u32 v17, vcc_lo, s8, v21
	v_add_co_ci_u32_e32 v18, vcc_lo, s9, v22, vcc_lo
	s_clause 0x1
	global_load_u16 v21, v[19:20], off
	global_load_u16 v22, v[17:18], off
	s_waitcnt vmcnt(0)
	v_cmpx_eq_f16_e32 v21, v22
	s_cbranch_execz .LBB1317_277
; %bb.271:
	v_add_co_u32 v17, vcc_lo, v17, 2
	v_add_co_ci_u32_e32 v18, vcc_lo, 0, v18, vcc_lo
	v_add_co_u32 v19, vcc_lo, v19, 2
	v_add_co_ci_u32_e32 v20, vcc_lo, 0, v20, vcc_lo
	s_add_u32 s4, s22, -1
	s_addc_u32 s5, s23, -1
	s_mov_b64 s[6:7], 0
	s_mov_b32 s28, 0
                                        ; implicit-def: $sgpr29
	s_set_inst_prefetch_distance 0x1
	s_branch .LBB1317_274
	.p2align	6
.LBB1317_272:                           ;   in Loop: Header=BB1317_274 Depth=1
	global_load_u16 v21, v[19:20], off
	global_load_u16 v22, v[17:18], off
	v_add_co_u32 v17, vcc_lo, v17, 2
	v_add_co_ci_u32_e32 v18, vcc_lo, 0, v18, vcc_lo
	v_add_co_u32 v19, s2, v19, 2
	s_delay_alu instid0(VALU_DEP_1)
	v_add_co_ci_u32_e64 v20, s2, 0, v20, s2
	s_add_u32 s6, s6, 1
	s_addc_u32 s7, s7, 0
	s_and_not1_b32 s2, s29, exec_lo
	s_waitcnt vmcnt(0)
	v_cmp_neq_f16_e32 vcc_lo, v21, v22
	s_and_b32 s29, vcc_lo, exec_lo
	s_delay_alu instid0(SALU_CYCLE_1)
	s_or_b32 s29, s2, s29
.LBB1317_273:                           ;   in Loop: Header=BB1317_274 Depth=1
	v_dual_mov_b32 v22, s7 :: v_dual_mov_b32 v21, s6
	s_and_b32 s2, exec_lo, s29
	s_delay_alu instid0(SALU_CYCLE_1) | instskip(NEXT) | instid1(SALU_CYCLE_1)
	s_or_b32 s28, s2, s28
	s_and_not1_b32 exec_lo, exec_lo, s28
	s_cbranch_execz .LBB1317_276
.LBB1317_274:                           ; =>This Inner Loop Header: Depth=1
	s_or_b32 s29, s29, exec_lo
	s_cmp_eq_u64 s[4:5], s[6:7]
	s_cbranch_scc0 .LBB1317_272
; %bb.275:                              ;   in Loop: Header=BB1317_274 Depth=1
	s_mov_b64 s[6:7], s[22:23]
                                        ; implicit-def: $vgpr17_vgpr18
                                        ; implicit-def: $vgpr19_vgpr20
	s_branch .LBB1317_273
.LBB1317_276:
	s_set_inst_prefetch_distance 0x2
	s_or_b32 exec_lo, exec_lo, s28
	v_cmp_gt_i64_e32 vcc_lo, s[22:23], v[21:22]
	s_or_not1_b32 s2, vcc_lo, exec_lo
.LBB1317_277:
	s_or_b32 exec_lo, exec_lo, s26
.LBB1317_278:
	s_delay_alu instid0(SALU_CYCLE_1)
	s_and_b32 s26, s2, exec_lo
.LBB1317_279:
	s_or_b32 exec_lo, exec_lo, s27
	v_or_b32_e32 v17, 6, v39
	s_mov_b32 s27, exec_lo
	s_delay_alu instid0(VALU_DEP_1)
	v_cmpx_gt_u32_e64 s20, v17
	s_cbranch_execz .LBB1317_290
; %bb.280:
	s_and_not1_b32 vcc_lo, exec_lo, s3
	s_mov_b32 s2, 0
	s_cbranch_vccnz .LBB1317_289
; %bb.281:
	v_mul_lo_u32 v21, v8, s22
	v_mul_lo_u32 v22, v7, s23
	v_mad_u64_u32 v[17:18], null, v7, s22, 0
	v_mul_lo_u32 v23, v2, s22
	v_mul_lo_u32 v24, v1, s23
	v_mad_u64_u32 v[19:20], null, v1, s22, 0
	s_mov_b32 s2, -1
	s_mov_b32 s19, exec_lo
	s_delay_alu instid0(VALU_DEP_4) | instskip(NEXT) | instid1(VALU_DEP_2)
	v_add3_u32 v18, v18, v22, v21
	v_add3_u32 v20, v20, v24, v23
	s_delay_alu instid0(VALU_DEP_2) | instskip(NEXT) | instid1(VALU_DEP_2)
	v_lshlrev_b64 v[17:18], 1, v[17:18]
	v_lshlrev_b64 v[21:22], 1, v[19:20]
	s_delay_alu instid0(VALU_DEP_2) | instskip(NEXT) | instid1(VALU_DEP_3)
	v_add_co_u32 v19, vcc_lo, s8, v17
	v_add_co_ci_u32_e32 v20, vcc_lo, s9, v18, vcc_lo
	s_delay_alu instid0(VALU_DEP_3) | instskip(NEXT) | instid1(VALU_DEP_4)
	v_add_co_u32 v17, vcc_lo, s8, v21
	v_add_co_ci_u32_e32 v18, vcc_lo, s9, v22, vcc_lo
	s_clause 0x1
	global_load_u16 v21, v[19:20], off
	global_load_u16 v22, v[17:18], off
	s_waitcnt vmcnt(0)
	v_cmpx_eq_f16_e32 v21, v22
	s_cbranch_execz .LBB1317_288
; %bb.282:
	v_add_co_u32 v17, vcc_lo, v17, 2
	v_add_co_ci_u32_e32 v18, vcc_lo, 0, v18, vcc_lo
	v_add_co_u32 v19, vcc_lo, v19, 2
	v_add_co_ci_u32_e32 v20, vcc_lo, 0, v20, vcc_lo
	s_add_u32 s4, s22, -1
	s_addc_u32 s5, s23, -1
	s_mov_b64 s[6:7], 0
	s_mov_b32 s28, 0
                                        ; implicit-def: $sgpr29
	s_set_inst_prefetch_distance 0x1
	s_branch .LBB1317_285
	.p2align	6
.LBB1317_283:                           ;   in Loop: Header=BB1317_285 Depth=1
	global_load_u16 v21, v[19:20], off
	global_load_u16 v22, v[17:18], off
	v_add_co_u32 v17, vcc_lo, v17, 2
	v_add_co_ci_u32_e32 v18, vcc_lo, 0, v18, vcc_lo
	v_add_co_u32 v19, s2, v19, 2
	s_delay_alu instid0(VALU_DEP_1)
	v_add_co_ci_u32_e64 v20, s2, 0, v20, s2
	s_add_u32 s6, s6, 1
	s_addc_u32 s7, s7, 0
	s_and_not1_b32 s2, s29, exec_lo
	s_waitcnt vmcnt(0)
	v_cmp_neq_f16_e32 vcc_lo, v21, v22
	s_and_b32 s29, vcc_lo, exec_lo
	s_delay_alu instid0(SALU_CYCLE_1)
	s_or_b32 s29, s2, s29
.LBB1317_284:                           ;   in Loop: Header=BB1317_285 Depth=1
	v_dual_mov_b32 v22, s7 :: v_dual_mov_b32 v21, s6
	s_and_b32 s2, exec_lo, s29
	s_delay_alu instid0(SALU_CYCLE_1) | instskip(NEXT) | instid1(SALU_CYCLE_1)
	s_or_b32 s28, s2, s28
	s_and_not1_b32 exec_lo, exec_lo, s28
	s_cbranch_execz .LBB1317_287
.LBB1317_285:                           ; =>This Inner Loop Header: Depth=1
	s_or_b32 s29, s29, exec_lo
	s_cmp_eq_u64 s[4:5], s[6:7]
	s_cbranch_scc0 .LBB1317_283
; %bb.286:                              ;   in Loop: Header=BB1317_285 Depth=1
	s_mov_b64 s[6:7], s[22:23]
                                        ; implicit-def: $vgpr17_vgpr18
                                        ; implicit-def: $vgpr19_vgpr20
	s_branch .LBB1317_284
.LBB1317_287:
	s_set_inst_prefetch_distance 0x2
	s_or_b32 exec_lo, exec_lo, s28
	v_cmp_gt_i64_e32 vcc_lo, s[22:23], v[21:22]
	s_or_not1_b32 s2, vcc_lo, exec_lo
.LBB1317_288:
	s_or_b32 exec_lo, exec_lo, s19
.LBB1317_289:
	s_delay_alu instid0(SALU_CYCLE_1)
	s_and_b32 s19, s2, exec_lo
.LBB1317_290:
	s_or_b32 exec_lo, exec_lo, s27
	v_or_b32_e32 v17, 5, v39
	s_mov_b32 s27, 0
	s_mov_b32 s28, 0
	s_mov_b32 s29, exec_lo
	s_delay_alu instid0(VALU_DEP_1)
	v_cmpx_gt_u32_e64 s20, v17
	s_cbranch_execz .LBB1317_301
; %bb.291:
	s_and_not1_b32 vcc_lo, exec_lo, s3
	s_mov_b32 s2, 0
	s_cbranch_vccnz .LBB1317_300
; %bb.292:
	v_mul_lo_u32 v21, v6, s22
	v_mul_lo_u32 v22, v5, s23
	v_mad_u64_u32 v[17:18], null, v5, s22, 0
	v_mul_lo_u32 v23, v8, s22
	v_mul_lo_u32 v24, v7, s23
	v_mad_u64_u32 v[19:20], null, v7, s22, 0
	s_mov_b32 s2, -1
	s_mov_b32 s28, exec_lo
	s_delay_alu instid0(VALU_DEP_4) | instskip(NEXT) | instid1(VALU_DEP_2)
	v_add3_u32 v18, v18, v22, v21
	v_add3_u32 v20, v20, v24, v23
	s_delay_alu instid0(VALU_DEP_2) | instskip(NEXT) | instid1(VALU_DEP_2)
	v_lshlrev_b64 v[17:18], 1, v[17:18]
	v_lshlrev_b64 v[21:22], 1, v[19:20]
	s_delay_alu instid0(VALU_DEP_2) | instskip(NEXT) | instid1(VALU_DEP_3)
	v_add_co_u32 v19, vcc_lo, s8, v17
	v_add_co_ci_u32_e32 v20, vcc_lo, s9, v18, vcc_lo
	s_delay_alu instid0(VALU_DEP_3) | instskip(NEXT) | instid1(VALU_DEP_4)
	v_add_co_u32 v17, vcc_lo, s8, v21
	v_add_co_ci_u32_e32 v18, vcc_lo, s9, v22, vcc_lo
	s_clause 0x1
	global_load_u16 v21, v[19:20], off
	global_load_u16 v22, v[17:18], off
	s_waitcnt vmcnt(0)
	v_cmpx_eq_f16_e32 v21, v22
	s_cbranch_execz .LBB1317_299
; %bb.293:
	v_add_co_u32 v17, vcc_lo, v17, 2
	v_add_co_ci_u32_e32 v18, vcc_lo, 0, v18, vcc_lo
	v_add_co_u32 v19, vcc_lo, v19, 2
	v_add_co_ci_u32_e32 v20, vcc_lo, 0, v20, vcc_lo
	s_add_u32 s4, s22, -1
	s_addc_u32 s5, s23, -1
	s_mov_b64 s[6:7], 0
	s_mov_b32 s30, 0
                                        ; implicit-def: $sgpr31
	s_set_inst_prefetch_distance 0x1
	s_branch .LBB1317_296
	.p2align	6
.LBB1317_294:                           ;   in Loop: Header=BB1317_296 Depth=1
	global_load_u16 v21, v[19:20], off
	global_load_u16 v22, v[17:18], off
	v_add_co_u32 v17, vcc_lo, v17, 2
	v_add_co_ci_u32_e32 v18, vcc_lo, 0, v18, vcc_lo
	v_add_co_u32 v19, s2, v19, 2
	s_delay_alu instid0(VALU_DEP_1)
	v_add_co_ci_u32_e64 v20, s2, 0, v20, s2
	s_add_u32 s6, s6, 1
	s_addc_u32 s7, s7, 0
	s_and_not1_b32 s2, s31, exec_lo
	s_waitcnt vmcnt(0)
	v_cmp_neq_f16_e32 vcc_lo, v21, v22
	s_and_b32 s31, vcc_lo, exec_lo
	s_delay_alu instid0(SALU_CYCLE_1)
	s_or_b32 s31, s2, s31
.LBB1317_295:                           ;   in Loop: Header=BB1317_296 Depth=1
	v_dual_mov_b32 v22, s7 :: v_dual_mov_b32 v21, s6
	s_and_b32 s2, exec_lo, s31
	s_delay_alu instid0(SALU_CYCLE_1) | instskip(NEXT) | instid1(SALU_CYCLE_1)
	s_or_b32 s30, s2, s30
	s_and_not1_b32 exec_lo, exec_lo, s30
	s_cbranch_execz .LBB1317_298
.LBB1317_296:                           ; =>This Inner Loop Header: Depth=1
	s_or_b32 s31, s31, exec_lo
	s_cmp_eq_u64 s[4:5], s[6:7]
	s_cbranch_scc0 .LBB1317_294
; %bb.297:                              ;   in Loop: Header=BB1317_296 Depth=1
	s_mov_b64 s[6:7], s[22:23]
                                        ; implicit-def: $vgpr17_vgpr18
                                        ; implicit-def: $vgpr19_vgpr20
	s_branch .LBB1317_295
.LBB1317_298:
	s_set_inst_prefetch_distance 0x2
	s_or_b32 exec_lo, exec_lo, s30
	v_cmp_gt_i64_e32 vcc_lo, s[22:23], v[21:22]
	s_or_not1_b32 s2, vcc_lo, exec_lo
.LBB1317_299:
	s_or_b32 exec_lo, exec_lo, s28
.LBB1317_300:
	s_delay_alu instid0(SALU_CYCLE_1)
	s_and_b32 s28, s2, exec_lo
.LBB1317_301:
	s_or_b32 exec_lo, exec_lo, s29
	v_or_b32_e32 v17, 4, v39
	s_mov_b32 s29, exec_lo
	s_delay_alu instid0(VALU_DEP_1)
	v_cmpx_gt_u32_e64 s20, v17
	s_cbranch_execz .LBB1317_312
; %bb.302:
	s_and_not1_b32 vcc_lo, exec_lo, s3
	s_mov_b32 s2, 0
	s_cbranch_vccnz .LBB1317_311
; %bb.303:
	v_mul_lo_u32 v21, v12, s22
	v_mul_lo_u32 v22, v11, s23
	v_mad_u64_u32 v[17:18], null, v11, s22, 0
	v_mul_lo_u32 v23, v6, s22
	v_mul_lo_u32 v24, v5, s23
	v_mad_u64_u32 v[19:20], null, v5, s22, 0
	s_mov_b32 s2, -1
	s_mov_b32 s27, exec_lo
	s_delay_alu instid0(VALU_DEP_4) | instskip(NEXT) | instid1(VALU_DEP_2)
	v_add3_u32 v18, v18, v22, v21
	v_add3_u32 v20, v20, v24, v23
	s_delay_alu instid0(VALU_DEP_2) | instskip(NEXT) | instid1(VALU_DEP_2)
	v_lshlrev_b64 v[17:18], 1, v[17:18]
	v_lshlrev_b64 v[21:22], 1, v[19:20]
	s_delay_alu instid0(VALU_DEP_2) | instskip(NEXT) | instid1(VALU_DEP_3)
	v_add_co_u32 v19, vcc_lo, s8, v17
	v_add_co_ci_u32_e32 v20, vcc_lo, s9, v18, vcc_lo
	s_delay_alu instid0(VALU_DEP_3) | instskip(NEXT) | instid1(VALU_DEP_4)
	v_add_co_u32 v17, vcc_lo, s8, v21
	v_add_co_ci_u32_e32 v18, vcc_lo, s9, v22, vcc_lo
	s_clause 0x1
	global_load_u16 v21, v[19:20], off
	global_load_u16 v22, v[17:18], off
	s_waitcnt vmcnt(0)
	v_cmpx_eq_f16_e32 v21, v22
	s_cbranch_execz .LBB1317_310
; %bb.304:
	v_add_co_u32 v17, vcc_lo, v17, 2
	v_add_co_ci_u32_e32 v18, vcc_lo, 0, v18, vcc_lo
	v_add_co_u32 v19, vcc_lo, v19, 2
	v_add_co_ci_u32_e32 v20, vcc_lo, 0, v20, vcc_lo
	s_add_u32 s4, s22, -1
	s_addc_u32 s5, s23, -1
	s_mov_b64 s[6:7], 0
	s_mov_b32 s30, 0
                                        ; implicit-def: $sgpr31
	s_set_inst_prefetch_distance 0x1
	s_branch .LBB1317_307
	.p2align	6
.LBB1317_305:                           ;   in Loop: Header=BB1317_307 Depth=1
	global_load_u16 v21, v[19:20], off
	global_load_u16 v22, v[17:18], off
	v_add_co_u32 v17, vcc_lo, v17, 2
	v_add_co_ci_u32_e32 v18, vcc_lo, 0, v18, vcc_lo
	v_add_co_u32 v19, s2, v19, 2
	s_delay_alu instid0(VALU_DEP_1)
	v_add_co_ci_u32_e64 v20, s2, 0, v20, s2
	s_add_u32 s6, s6, 1
	s_addc_u32 s7, s7, 0
	s_and_not1_b32 s2, s31, exec_lo
	s_waitcnt vmcnt(0)
	v_cmp_neq_f16_e32 vcc_lo, v21, v22
	s_and_b32 s31, vcc_lo, exec_lo
	s_delay_alu instid0(SALU_CYCLE_1)
	s_or_b32 s31, s2, s31
.LBB1317_306:                           ;   in Loop: Header=BB1317_307 Depth=1
	v_dual_mov_b32 v22, s7 :: v_dual_mov_b32 v21, s6
	s_and_b32 s2, exec_lo, s31
	s_delay_alu instid0(SALU_CYCLE_1) | instskip(NEXT) | instid1(SALU_CYCLE_1)
	s_or_b32 s30, s2, s30
	s_and_not1_b32 exec_lo, exec_lo, s30
	s_cbranch_execz .LBB1317_309
.LBB1317_307:                           ; =>This Inner Loop Header: Depth=1
	s_or_b32 s31, s31, exec_lo
	s_cmp_eq_u64 s[4:5], s[6:7]
	s_cbranch_scc0 .LBB1317_305
; %bb.308:                              ;   in Loop: Header=BB1317_307 Depth=1
	s_mov_b64 s[6:7], s[22:23]
                                        ; implicit-def: $vgpr17_vgpr18
                                        ; implicit-def: $vgpr19_vgpr20
	s_branch .LBB1317_306
.LBB1317_309:
	s_set_inst_prefetch_distance 0x2
	s_or_b32 exec_lo, exec_lo, s30
	v_cmp_gt_i64_e32 vcc_lo, s[22:23], v[21:22]
	s_or_not1_b32 s2, vcc_lo, exec_lo
.LBB1317_310:
	s_or_b32 exec_lo, exec_lo, s27
.LBB1317_311:
	s_delay_alu instid0(SALU_CYCLE_1)
	s_and_b32 s27, s2, exec_lo
.LBB1317_312:
	s_or_b32 exec_lo, exec_lo, s29
	v_or_b32_e32 v17, 3, v39
	s_mov_b32 s30, 0
	s_mov_b32 s29, 0
	s_mov_b32 s31, exec_lo
	s_delay_alu instid0(VALU_DEP_1)
	v_cmpx_gt_u32_e64 s20, v17
	s_cbranch_execz .LBB1317_323
; %bb.313:
	s_and_not1_b32 vcc_lo, exec_lo, s3
	s_mov_b32 s2, 0
	s_cbranch_vccnz .LBB1317_322
; %bb.314:
	v_mul_lo_u32 v21, v10, s22
	v_mul_lo_u32 v22, v9, s23
	v_mad_u64_u32 v[17:18], null, v9, s22, 0
	v_mul_lo_u32 v23, v12, s22
	v_mul_lo_u32 v24, v11, s23
	v_mad_u64_u32 v[19:20], null, v11, s22, 0
	s_mov_b32 s2, -1
	s_mov_b32 s29, exec_lo
	s_delay_alu instid0(VALU_DEP_4) | instskip(NEXT) | instid1(VALU_DEP_2)
	v_add3_u32 v18, v18, v22, v21
	v_add3_u32 v20, v20, v24, v23
	s_delay_alu instid0(VALU_DEP_2) | instskip(NEXT) | instid1(VALU_DEP_2)
	v_lshlrev_b64 v[17:18], 1, v[17:18]
	v_lshlrev_b64 v[21:22], 1, v[19:20]
	s_delay_alu instid0(VALU_DEP_2) | instskip(NEXT) | instid1(VALU_DEP_3)
	v_add_co_u32 v19, vcc_lo, s8, v17
	v_add_co_ci_u32_e32 v20, vcc_lo, s9, v18, vcc_lo
	s_delay_alu instid0(VALU_DEP_3) | instskip(NEXT) | instid1(VALU_DEP_4)
	v_add_co_u32 v17, vcc_lo, s8, v21
	v_add_co_ci_u32_e32 v18, vcc_lo, s9, v22, vcc_lo
	s_clause 0x1
	global_load_u16 v21, v[19:20], off
	global_load_u16 v22, v[17:18], off
	s_waitcnt vmcnt(0)
	v_cmpx_eq_f16_e32 v21, v22
	s_cbranch_execz .LBB1317_321
; %bb.315:
	v_add_co_u32 v17, vcc_lo, v17, 2
	v_add_co_ci_u32_e32 v18, vcc_lo, 0, v18, vcc_lo
	v_add_co_u32 v19, vcc_lo, v19, 2
	v_add_co_ci_u32_e32 v20, vcc_lo, 0, v20, vcc_lo
	s_add_u32 s4, s22, -1
	s_addc_u32 s5, s23, -1
	s_mov_b64 s[6:7], 0
	s_mov_b32 s33, 0
                                        ; implicit-def: $sgpr34
	s_set_inst_prefetch_distance 0x1
	s_branch .LBB1317_318
	.p2align	6
.LBB1317_316:                           ;   in Loop: Header=BB1317_318 Depth=1
	global_load_u16 v21, v[19:20], off
	global_load_u16 v22, v[17:18], off
	v_add_co_u32 v17, vcc_lo, v17, 2
	v_add_co_ci_u32_e32 v18, vcc_lo, 0, v18, vcc_lo
	v_add_co_u32 v19, s2, v19, 2
	s_delay_alu instid0(VALU_DEP_1)
	v_add_co_ci_u32_e64 v20, s2, 0, v20, s2
	s_add_u32 s6, s6, 1
	s_addc_u32 s7, s7, 0
	s_and_not1_b32 s2, s34, exec_lo
	s_waitcnt vmcnt(0)
	v_cmp_neq_f16_e32 vcc_lo, v21, v22
	s_and_b32 s34, vcc_lo, exec_lo
	s_delay_alu instid0(SALU_CYCLE_1)
	s_or_b32 s34, s2, s34
.LBB1317_317:                           ;   in Loop: Header=BB1317_318 Depth=1
	v_dual_mov_b32 v22, s7 :: v_dual_mov_b32 v21, s6
	s_and_b32 s2, exec_lo, s34
	s_delay_alu instid0(SALU_CYCLE_1) | instskip(NEXT) | instid1(SALU_CYCLE_1)
	s_or_b32 s33, s2, s33
	s_and_not1_b32 exec_lo, exec_lo, s33
	s_cbranch_execz .LBB1317_320
.LBB1317_318:                           ; =>This Inner Loop Header: Depth=1
	s_or_b32 s34, s34, exec_lo
	s_cmp_eq_u64 s[4:5], s[6:7]
	s_cbranch_scc0 .LBB1317_316
; %bb.319:                              ;   in Loop: Header=BB1317_318 Depth=1
	s_mov_b64 s[6:7], s[22:23]
                                        ; implicit-def: $vgpr17_vgpr18
                                        ; implicit-def: $vgpr19_vgpr20
	s_branch .LBB1317_317
.LBB1317_320:
	s_set_inst_prefetch_distance 0x2
	s_or_b32 exec_lo, exec_lo, s33
	v_cmp_gt_i64_e32 vcc_lo, s[22:23], v[21:22]
	s_or_not1_b32 s2, vcc_lo, exec_lo
.LBB1317_321:
	s_or_b32 exec_lo, exec_lo, s29
.LBB1317_322:
	s_delay_alu instid0(SALU_CYCLE_1)
	s_and_b32 s29, s2, exec_lo
.LBB1317_323:
	s_or_b32 exec_lo, exec_lo, s31
	v_or_b32_e32 v17, 2, v39
	s_mov_b32 s31, exec_lo
	s_delay_alu instid0(VALU_DEP_1)
	v_cmpx_gt_u32_e64 s20, v17
	s_cbranch_execz .LBB1317_334
; %bb.324:
	s_and_not1_b32 vcc_lo, exec_lo, s3
	s_mov_b32 s2, 0
	s_cbranch_vccnz .LBB1317_333
; %bb.325:
	v_mul_lo_u32 v21, v16, s22
	v_mul_lo_u32 v22, v15, s23
	v_mad_u64_u32 v[17:18], null, v15, s22, 0
	v_mul_lo_u32 v23, v10, s22
	v_mul_lo_u32 v24, v9, s23
	v_mad_u64_u32 v[19:20], null, v9, s22, 0
	s_mov_b32 s2, -1
	s_mov_b32 s30, exec_lo
	s_delay_alu instid0(VALU_DEP_4) | instskip(NEXT) | instid1(VALU_DEP_2)
	v_add3_u32 v18, v18, v22, v21
	v_add3_u32 v20, v20, v24, v23
	s_delay_alu instid0(VALU_DEP_2) | instskip(NEXT) | instid1(VALU_DEP_2)
	v_lshlrev_b64 v[17:18], 1, v[17:18]
	v_lshlrev_b64 v[21:22], 1, v[19:20]
	s_delay_alu instid0(VALU_DEP_2) | instskip(NEXT) | instid1(VALU_DEP_3)
	v_add_co_u32 v19, vcc_lo, s8, v17
	v_add_co_ci_u32_e32 v20, vcc_lo, s9, v18, vcc_lo
	s_delay_alu instid0(VALU_DEP_3) | instskip(NEXT) | instid1(VALU_DEP_4)
	v_add_co_u32 v17, vcc_lo, s8, v21
	v_add_co_ci_u32_e32 v18, vcc_lo, s9, v22, vcc_lo
	s_clause 0x1
	global_load_u16 v21, v[19:20], off
	global_load_u16 v22, v[17:18], off
	s_waitcnt vmcnt(0)
	v_cmpx_eq_f16_e32 v21, v22
	s_cbranch_execz .LBB1317_332
; %bb.326:
	v_add_co_u32 v17, vcc_lo, v17, 2
	v_add_co_ci_u32_e32 v18, vcc_lo, 0, v18, vcc_lo
	v_add_co_u32 v19, vcc_lo, v19, 2
	v_add_co_ci_u32_e32 v20, vcc_lo, 0, v20, vcc_lo
	s_add_u32 s4, s22, -1
	s_addc_u32 s5, s23, -1
	s_mov_b64 s[6:7], 0
	s_mov_b32 s33, 0
                                        ; implicit-def: $sgpr34
	s_set_inst_prefetch_distance 0x1
	s_branch .LBB1317_329
	.p2align	6
.LBB1317_327:                           ;   in Loop: Header=BB1317_329 Depth=1
	global_load_u16 v21, v[19:20], off
	global_load_u16 v22, v[17:18], off
	v_add_co_u32 v17, vcc_lo, v17, 2
	v_add_co_ci_u32_e32 v18, vcc_lo, 0, v18, vcc_lo
	v_add_co_u32 v19, s2, v19, 2
	s_delay_alu instid0(VALU_DEP_1)
	v_add_co_ci_u32_e64 v20, s2, 0, v20, s2
	s_add_u32 s6, s6, 1
	s_addc_u32 s7, s7, 0
	s_and_not1_b32 s2, s34, exec_lo
	s_waitcnt vmcnt(0)
	v_cmp_neq_f16_e32 vcc_lo, v21, v22
	s_and_b32 s34, vcc_lo, exec_lo
	s_delay_alu instid0(SALU_CYCLE_1)
	s_or_b32 s34, s2, s34
.LBB1317_328:                           ;   in Loop: Header=BB1317_329 Depth=1
	v_dual_mov_b32 v22, s7 :: v_dual_mov_b32 v21, s6
	s_and_b32 s2, exec_lo, s34
	s_delay_alu instid0(SALU_CYCLE_1) | instskip(NEXT) | instid1(SALU_CYCLE_1)
	s_or_b32 s33, s2, s33
	s_and_not1_b32 exec_lo, exec_lo, s33
	s_cbranch_execz .LBB1317_331
.LBB1317_329:                           ; =>This Inner Loop Header: Depth=1
	s_or_b32 s34, s34, exec_lo
	s_cmp_eq_u64 s[4:5], s[6:7]
	s_cbranch_scc0 .LBB1317_327
; %bb.330:                              ;   in Loop: Header=BB1317_329 Depth=1
	s_mov_b64 s[6:7], s[22:23]
                                        ; implicit-def: $vgpr17_vgpr18
                                        ; implicit-def: $vgpr19_vgpr20
	s_branch .LBB1317_328
.LBB1317_331:
	s_set_inst_prefetch_distance 0x2
	s_or_b32 exec_lo, exec_lo, s33
	v_cmp_gt_i64_e32 vcc_lo, s[22:23], v[21:22]
	s_or_not1_b32 s2, vcc_lo, exec_lo
.LBB1317_332:
	s_or_b32 exec_lo, exec_lo, s30
.LBB1317_333:
	s_delay_alu instid0(SALU_CYCLE_1)
	s_and_b32 s30, s2, exec_lo
.LBB1317_334:
	s_or_b32 exec_lo, exec_lo, s31
	v_or_b32_e32 v17, 1, v39
	s_mov_b32 s2, 0
	s_mov_b32 s31, exec_lo
	s_delay_alu instid0(VALU_DEP_1)
	v_cmpx_gt_u32_e64 s20, v17
	s_cbranch_execz .LBB1317_345
; %bb.335:
	s_and_not1_b32 vcc_lo, exec_lo, s3
	s_cbranch_vccnz .LBB1317_344
; %bb.336:
	v_mul_lo_u32 v21, v14, s22
	v_mul_lo_u32 v22, v13, s23
	v_mad_u64_u32 v[17:18], null, v13, s22, 0
	v_mul_lo_u32 v23, v16, s22
	v_mul_lo_u32 v24, v15, s23
	v_mad_u64_u32 v[19:20], null, v15, s22, 0
	s_mov_b32 s2, -1
	s_mov_b32 s33, exec_lo
	s_delay_alu instid0(VALU_DEP_4) | instskip(NEXT) | instid1(VALU_DEP_2)
	v_add3_u32 v18, v18, v22, v21
	v_add3_u32 v20, v20, v24, v23
	s_delay_alu instid0(VALU_DEP_2) | instskip(NEXT) | instid1(VALU_DEP_2)
	v_lshlrev_b64 v[17:18], 1, v[17:18]
	v_lshlrev_b64 v[21:22], 1, v[19:20]
	s_delay_alu instid0(VALU_DEP_2) | instskip(NEXT) | instid1(VALU_DEP_3)
	v_add_co_u32 v19, vcc_lo, s8, v17
	v_add_co_ci_u32_e32 v20, vcc_lo, s9, v18, vcc_lo
	s_delay_alu instid0(VALU_DEP_3) | instskip(NEXT) | instid1(VALU_DEP_4)
	v_add_co_u32 v17, vcc_lo, s8, v21
	v_add_co_ci_u32_e32 v18, vcc_lo, s9, v22, vcc_lo
	s_clause 0x1
	global_load_u16 v21, v[19:20], off
	global_load_u16 v22, v[17:18], off
	s_waitcnt vmcnt(0)
	v_cmpx_eq_f16_e32 v21, v22
	s_cbranch_execz .LBB1317_343
; %bb.337:
	v_add_co_u32 v17, vcc_lo, v17, 2
	v_add_co_ci_u32_e32 v18, vcc_lo, 0, v18, vcc_lo
	v_add_co_u32 v19, vcc_lo, v19, 2
	v_add_co_ci_u32_e32 v20, vcc_lo, 0, v20, vcc_lo
	s_add_u32 s4, s22, -1
	s_addc_u32 s5, s23, -1
	s_mov_b64 s[6:7], 0
	s_mov_b32 s34, 0
                                        ; implicit-def: $sgpr35
	s_set_inst_prefetch_distance 0x1
	s_branch .LBB1317_340
	.p2align	6
.LBB1317_338:                           ;   in Loop: Header=BB1317_340 Depth=1
	global_load_u16 v21, v[19:20], off
	global_load_u16 v22, v[17:18], off
	v_add_co_u32 v17, vcc_lo, v17, 2
	v_add_co_ci_u32_e32 v18, vcc_lo, 0, v18, vcc_lo
	v_add_co_u32 v19, s2, v19, 2
	s_delay_alu instid0(VALU_DEP_1)
	v_add_co_ci_u32_e64 v20, s2, 0, v20, s2
	s_add_u32 s6, s6, 1
	s_addc_u32 s7, s7, 0
	s_and_not1_b32 s2, s35, exec_lo
	s_waitcnt vmcnt(0)
	v_cmp_neq_f16_e32 vcc_lo, v21, v22
	s_and_b32 s35, vcc_lo, exec_lo
	s_delay_alu instid0(SALU_CYCLE_1)
	s_or_b32 s35, s2, s35
.LBB1317_339:                           ;   in Loop: Header=BB1317_340 Depth=1
	v_dual_mov_b32 v22, s7 :: v_dual_mov_b32 v21, s6
	s_and_b32 s2, exec_lo, s35
	s_delay_alu instid0(SALU_CYCLE_1) | instskip(NEXT) | instid1(SALU_CYCLE_1)
	s_or_b32 s34, s2, s34
	s_and_not1_b32 exec_lo, exec_lo, s34
	s_cbranch_execz .LBB1317_342
.LBB1317_340:                           ; =>This Inner Loop Header: Depth=1
	s_or_b32 s35, s35, exec_lo
	s_cmp_eq_u64 s[4:5], s[6:7]
	s_cbranch_scc0 .LBB1317_338
; %bb.341:                              ;   in Loop: Header=BB1317_340 Depth=1
	s_mov_b64 s[6:7], s[22:23]
                                        ; implicit-def: $vgpr17_vgpr18
                                        ; implicit-def: $vgpr19_vgpr20
	s_branch .LBB1317_339
.LBB1317_342:
	s_set_inst_prefetch_distance 0x2
	s_or_b32 exec_lo, exec_lo, s34
	v_cmp_gt_i64_e32 vcc_lo, s[22:23], v[21:22]
	s_or_not1_b32 s2, vcc_lo, exec_lo
.LBB1317_343:
	s_or_b32 exec_lo, exec_lo, s33
.LBB1317_344:
	s_delay_alu instid0(SALU_CYCLE_1)
	s_and_b32 s2, s2, exec_lo
.LBB1317_345:
	s_or_b32 exec_lo, exec_lo, s31
	v_cndmask_b32_e64 v18, 0, 1, s29
	v_cndmask_b32_e64 v19, 0, 1, s28
	;; [unrolled: 1-line block ×7, first 2 shown]
	v_lshlrev_b16 v19, 8, v19
	v_lshlrev_b16 v20, 8, v20
	;; [unrolled: 1-line block ×4, first 2 shown]
	s_mov_b32 s19, exec_lo
	v_or_b32_e32 v19, v22, v19
	v_or_b32_e32 v20, v23, v20
	;; [unrolled: 1-line block ×4, first 2 shown]
	s_delay_alu instid0(VALU_DEP_4) | instskip(NEXT) | instid1(VALU_DEP_4)
	v_and_b32_e32 v18, 0xffff, v19
	v_lshlrev_b32_e32 v19, 16, v20
	s_delay_alu instid0(VALU_DEP_4) | instskip(NEXT) | instid1(VALU_DEP_4)
	v_and_b32_e32 v20, 0xffff, v21
	v_lshlrev_b32_e32 v17, 16, v17
	s_barrier
	buffer_gl0_inv
	v_or_b32_e32 v18, v18, v19
                                        ; implicit-def: $sgpr2
	v_or_b32_e32 v17, v20, v17
	v_cmpx_ne_u32_e32 0, v0
	s_cbranch_execz .LBB1317_358
; %bb.346:
	s_mov_b32 s2, 0
	s_mov_b32 s26, exec_lo
	v_cmpx_gt_u32_e64 s20, v39
	s_cbranch_execz .LBB1317_357
; %bb.347:
	s_and_not1_b32 vcc_lo, exec_lo, s3
	s_cbranch_vccnz .LBB1317_356
; %bb.348:
	v_add_nc_u32_e32 v19, -8, v39
	v_mul_lo_u32 v26, v13, s23
	v_mad_u64_u32 v[22:23], null, v13, s22, 0
	s_mov_b32 s2, -1
	ds_load_b64 v[19:20], v19
	s_mov_b32 s3, exec_lo
	s_waitcnt lgkmcnt(0)
	v_mul_lo_u32 v24, v20, s22
	v_mul_lo_u32 v25, v19, s23
	v_mad_u64_u32 v[20:21], null, v19, s22, 0
	v_mul_lo_u32 v19, v14, s22
	s_delay_alu instid0(VALU_DEP_2) | instskip(NEXT) | instid1(VALU_DEP_2)
	v_add3_u32 v21, v21, v25, v24
	v_add3_u32 v23, v23, v26, v19
	s_delay_alu instid0(VALU_DEP_2) | instskip(NEXT) | instid1(VALU_DEP_2)
	v_lshlrev_b64 v[19:20], 1, v[20:21]
	v_lshlrev_b64 v[23:24], 1, v[22:23]
	s_delay_alu instid0(VALU_DEP_2) | instskip(NEXT) | instid1(VALU_DEP_3)
	v_add_co_u32 v21, vcc_lo, s8, v19
	v_add_co_ci_u32_e32 v22, vcc_lo, s9, v20, vcc_lo
	s_delay_alu instid0(VALU_DEP_3) | instskip(NEXT) | instid1(VALU_DEP_4)
	v_add_co_u32 v19, vcc_lo, s8, v23
	v_add_co_ci_u32_e32 v20, vcc_lo, s9, v24, vcc_lo
	s_clause 0x1
	global_load_u16 v23, v[21:22], off
	global_load_u16 v24, v[19:20], off
	s_waitcnt vmcnt(0)
	v_cmpx_eq_f16_e32 v23, v24
	s_cbranch_execz .LBB1317_355
; %bb.349:
	v_add_co_u32 v19, vcc_lo, v19, 2
	v_add_co_ci_u32_e32 v20, vcc_lo, 0, v20, vcc_lo
	v_add_co_u32 v21, vcc_lo, v21, 2
	v_add_co_ci_u32_e32 v22, vcc_lo, 0, v22, vcc_lo
	s_add_u32 s4, s22, -1
	s_addc_u32 s5, s23, -1
	s_mov_b64 s[6:7], 0
	s_mov_b32 s8, 0
                                        ; implicit-def: $sgpr9
	s_set_inst_prefetch_distance 0x1
	s_branch .LBB1317_352
	.p2align	6
.LBB1317_350:                           ;   in Loop: Header=BB1317_352 Depth=1
	global_load_u16 v23, v[21:22], off
	global_load_u16 v24, v[19:20], off
	v_add_co_u32 v19, vcc_lo, v19, 2
	v_add_co_ci_u32_e32 v20, vcc_lo, 0, v20, vcc_lo
	v_add_co_u32 v21, s2, v21, 2
	s_delay_alu instid0(VALU_DEP_1)
	v_add_co_ci_u32_e64 v22, s2, 0, v22, s2
	s_add_u32 s6, s6, 1
	s_addc_u32 s7, s7, 0
	s_and_not1_b32 s2, s9, exec_lo
	s_waitcnt vmcnt(0)
	v_cmp_neq_f16_e32 vcc_lo, v23, v24
	s_and_b32 s9, vcc_lo, exec_lo
	s_delay_alu instid0(SALU_CYCLE_1)
	s_or_b32 s9, s2, s9
.LBB1317_351:                           ;   in Loop: Header=BB1317_352 Depth=1
	v_dual_mov_b32 v24, s7 :: v_dual_mov_b32 v23, s6
	s_and_b32 s2, exec_lo, s9
	s_delay_alu instid0(SALU_CYCLE_1) | instskip(NEXT) | instid1(SALU_CYCLE_1)
	s_or_b32 s8, s2, s8
	s_and_not1_b32 exec_lo, exec_lo, s8
	s_cbranch_execz .LBB1317_354
.LBB1317_352:                           ; =>This Inner Loop Header: Depth=1
	s_or_b32 s9, s9, exec_lo
	s_cmp_eq_u64 s[4:5], s[6:7]
	s_cbranch_scc0 .LBB1317_350
; %bb.353:                              ;   in Loop: Header=BB1317_352 Depth=1
	s_mov_b64 s[6:7], s[22:23]
                                        ; implicit-def: $vgpr19_vgpr20
                                        ; implicit-def: $vgpr21_vgpr22
	s_branch .LBB1317_351
.LBB1317_354:
	s_set_inst_prefetch_distance 0x2
	s_or_b32 exec_lo, exec_lo, s8
	v_cmp_gt_i64_e32 vcc_lo, s[22:23], v[23:24]
	s_or_not1_b32 s2, vcc_lo, exec_lo
.LBB1317_355:
	s_or_b32 exec_lo, exec_lo, s3
.LBB1317_356:
	s_delay_alu instid0(SALU_CYCLE_1)
	s_and_b32 s2, s2, exec_lo
.LBB1317_357:
	s_or_b32 exec_lo, exec_lo, s26
	s_delay_alu instid0(SALU_CYCLE_1)
	s_and_b32 s2, s2, exec_lo
	s_or_b32 s18, s18, exec_lo
.LBB1317_358:
	s_or_b32 exec_lo, exec_lo, s19
.LBB1317_359:
	s_and_saveexec_b32 s3, s18
	s_cbranch_execz .LBB1317_361
; %bb.360:
	s_waitcnt lgkmcnt(0)
	v_and_b32_e32 v19, 0xffffff00, v17
	v_cndmask_b32_e64 v20, 0, 1, s2
	s_delay_alu instid0(VALU_DEP_1) | instskip(NEXT) | instid1(VALU_DEP_1)
	v_or_b32_e32 v19, v20, v19
	v_and_b32_e32 v19, 0xffff, v19
	s_delay_alu instid0(VALU_DEP_1)
	v_and_or_b32 v17, 0xffff0000, v17, v19
.LBB1317_361:
	s_or_b32 exec_lo, exec_lo, s3
	s_delay_alu instid0(SALU_CYCLE_1)
	s_and_not1_b32 vcc_lo, exec_lo, s24
	s_cbranch_vccnz .LBB1317_363
; %bb.362:
	v_cmp_gt_u32_e32 vcc_lo, s20, v39
	s_waitcnt lgkmcnt(0)
	v_or_b32_e32 v20, 1, v39
	v_and_b32_e32 v21, 0xffffff00, v18
	v_or_b32_e32 v22, 2, v39
	v_cndmask_b32_e32 v19, 0, v17, vcc_lo
	s_delay_alu instid0(VALU_DEP_4) | instskip(SKIP_1) | instid1(VALU_DEP_4)
	v_cmp_gt_u32_e32 vcc_lo, s20, v20
	v_or_b32_e32 v20, 4, v39
	v_cmp_gt_u32_e64 s2, s20, v22
	v_or_b32_e32 v22, 3, v39
	v_and_b32_e32 v19, 0xff, v19
	s_delay_alu instid0(VALU_DEP_2) | instskip(NEXT) | instid1(VALU_DEP_2)
	v_cmp_gt_u32_e64 s3, s20, v22
	v_cndmask_b32_e32 v19, v19, v17, vcc_lo
	v_cmp_gt_u32_e32 vcc_lo, s20, v20
	v_cndmask_b32_e32 v20, v21, v18, vcc_lo
	v_or_b32_e32 v21, 5, v39
	s_delay_alu instid0(VALU_DEP_2) | instskip(SKIP_1) | instid1(VALU_DEP_1)
	v_and_b32_e32 v20, 0xffff00ff, v20
	v_and_b32_e32 v19, 0xffff, v19
	v_cndmask_b32_e64 v19, v19, v17, s2
	s_delay_alu instid0(VALU_DEP_4) | instskip(SKIP_1) | instid1(VALU_DEP_3)
	v_cmp_gt_u32_e64 s2, s20, v21
	v_or_b32_e32 v21, 6, v39
	v_and_b32_e32 v19, 0xffffff, v19
	s_delay_alu instid0(VALU_DEP_3) | instskip(NEXT) | instid1(VALU_DEP_2)
	v_cndmask_b32_e64 v20, v20, v18, s2
	v_cndmask_b32_e64 v19, v19, v17, s3
	s_delay_alu instid0(VALU_DEP_1) | instskip(SKIP_2) | instid1(VALU_DEP_3)
	v_dual_cndmask_b32 v19, v19, v17 :: v_dual_and_b32 v20, 0xff00ffff, v20
	v_cmp_gt_u32_e32 vcc_lo, s20, v21
	v_or_b32_e32 v21, 7, v39
	v_cndmask_b32_e64 v19, v19, v17, s2
	s_delay_alu instid0(VALU_DEP_1) | instskip(NEXT) | instid1(VALU_DEP_1)
	v_dual_cndmask_b32 v20, v20, v18 :: v_dual_cndmask_b32 v19, v19, v17
	v_and_b32_e32 v20, 0xffffff, v20
	s_delay_alu instid0(VALU_DEP_4) | instskip(NEXT) | instid1(VALU_DEP_2)
	v_cmp_gt_u32_e32 vcc_lo, s20, v21
	v_dual_cndmask_b32 v18, v20, v18 :: v_dual_cndmask_b32 v17, v19, v17
.LBB1317_363:
	s_delay_alu instid0(VALU_DEP_1) | instskip(SKIP_1) | instid1(VALU_DEP_2)
	v_and_b32_e32 v26, 0xff, v17
	s_waitcnt lgkmcnt(0)
	v_alignbit_b32 v19, v18, v17, 24
	v_bfe_u32 v28, v17, 8, 8
	v_bfe_u32 v30, v17, 16, 8
	v_and_b32_e32 v34, 0xff, v18
	v_bfe_u32 v36, v18, 8, 8
	v_and_b32_e32 v32, 0xff, v19
	v_add_nc_u32_e32 v19, v28, v26
	v_mbcnt_lo_u32_b32 v41, -1, 0
	v_bfe_u32 v38, v18, 16, 8
	v_lshrrev_b32_e32 v40, 24, v18
	v_lshrrev_b32_e32 v42, 5, v0
	v_add3_u32 v19, v19, v30, v32
	v_and_b32_e32 v20, 15, v41
	v_and_b32_e32 v21, 16, v41
	s_and_b32 vcc_lo, exec_lo, s25
	s_mov_b32 s18, -1
	v_add3_u32 v19, v19, v34, v36
	v_cmp_eq_u32_e64 s4, 0, v20
	v_cmp_lt_u32_e64 s2, 1, v20
	v_cmp_lt_u32_e64 s5, 3, v20
	;; [unrolled: 1-line block ×3, first 2 shown]
	v_add3_u32 v43, v19, v38, v40
	v_or_b32_e32 v19, 31, v0
	v_cmp_eq_u32_e64 s7, 0, v21
	s_barrier
	buffer_gl0_inv
	v_cmp_eq_u32_e64 s6, v19, v0
	s_cbranch_vccz .LBB1317_394
; %bb.364:
	v_mov_b32_dpp v19, v43 row_shr:1 row_mask:0xf bank_mask:0xf
	s_delay_alu instid0(VALU_DEP_1) | instskip(NEXT) | instid1(VALU_DEP_1)
	v_cndmask_b32_e64 v19, v19, 0, s4
	v_add_nc_u32_e32 v19, v19, v43
	s_delay_alu instid0(VALU_DEP_1) | instskip(NEXT) | instid1(VALU_DEP_1)
	v_mov_b32_dpp v20, v19 row_shr:2 row_mask:0xf bank_mask:0xf
	v_cndmask_b32_e64 v20, 0, v20, s2
	s_delay_alu instid0(VALU_DEP_1) | instskip(NEXT) | instid1(VALU_DEP_1)
	v_add_nc_u32_e32 v19, v19, v20
	v_mov_b32_dpp v20, v19 row_shr:4 row_mask:0xf bank_mask:0xf
	s_delay_alu instid0(VALU_DEP_1) | instskip(NEXT) | instid1(VALU_DEP_1)
	v_cndmask_b32_e64 v20, 0, v20, s5
	v_add_nc_u32_e32 v19, v19, v20
	s_delay_alu instid0(VALU_DEP_1) | instskip(NEXT) | instid1(VALU_DEP_1)
	v_mov_b32_dpp v20, v19 row_shr:8 row_mask:0xf bank_mask:0xf
	v_cndmask_b32_e64 v20, 0, v20, s3
	s_delay_alu instid0(VALU_DEP_1) | instskip(SKIP_3) | instid1(VALU_DEP_1)
	v_add_nc_u32_e32 v19, v19, v20
	ds_swizzle_b32 v20, v19 offset:swizzle(BROADCAST,32,15)
	s_waitcnt lgkmcnt(0)
	v_cndmask_b32_e64 v20, v20, 0, s7
	v_add_nc_u32_e32 v19, v19, v20
	s_and_saveexec_b32 s8, s6
	s_cbranch_execz .LBB1317_366
; %bb.365:
	v_lshlrev_b32_e32 v20, 2, v42
	ds_store_b32 v20, v19
.LBB1317_366:
	s_or_b32 exec_lo, exec_lo, s8
	s_delay_alu instid0(SALU_CYCLE_1)
	s_mov_b32 s8, exec_lo
	s_waitcnt lgkmcnt(0)
	s_barrier
	buffer_gl0_inv
	v_cmpx_gt_u32_e32 16, v0
	s_cbranch_execz .LBB1317_368
; %bb.367:
	v_lshlrev_b32_e32 v20, 2, v0
	ds_load_b32 v21, v20
	s_waitcnt lgkmcnt(0)
	v_mov_b32_dpp v22, v21 row_shr:1 row_mask:0xf bank_mask:0xf
	s_delay_alu instid0(VALU_DEP_1) | instskip(NEXT) | instid1(VALU_DEP_1)
	v_cndmask_b32_e64 v22, v22, 0, s4
	v_add_nc_u32_e32 v21, v22, v21
	s_delay_alu instid0(VALU_DEP_1) | instskip(NEXT) | instid1(VALU_DEP_1)
	v_mov_b32_dpp v22, v21 row_shr:2 row_mask:0xf bank_mask:0xf
	v_cndmask_b32_e64 v22, 0, v22, s2
	s_delay_alu instid0(VALU_DEP_1) | instskip(NEXT) | instid1(VALU_DEP_1)
	v_add_nc_u32_e32 v21, v21, v22
	v_mov_b32_dpp v22, v21 row_shr:4 row_mask:0xf bank_mask:0xf
	s_delay_alu instid0(VALU_DEP_1) | instskip(NEXT) | instid1(VALU_DEP_1)
	v_cndmask_b32_e64 v22, 0, v22, s5
	v_add_nc_u32_e32 v21, v21, v22
	s_delay_alu instid0(VALU_DEP_1) | instskip(NEXT) | instid1(VALU_DEP_1)
	v_mov_b32_dpp v22, v21 row_shr:8 row_mask:0xf bank_mask:0xf
	v_cndmask_b32_e64 v22, 0, v22, s3
	s_delay_alu instid0(VALU_DEP_1)
	v_add_nc_u32_e32 v21, v21, v22
	ds_store_b32 v20, v21
.LBB1317_368:
	s_or_b32 exec_lo, exec_lo, s8
	v_cmp_gt_u32_e32 vcc_lo, 32, v0
	s_mov_b32 s9, exec_lo
	s_waitcnt lgkmcnt(0)
	s_barrier
	buffer_gl0_inv
                                        ; implicit-def: $vgpr27
	v_cmpx_lt_u32_e32 31, v0
	s_cbranch_execz .LBB1317_370
; %bb.369:
	v_lshl_add_u32 v20, v42, 2, -4
	ds_load_b32 v27, v20
	s_waitcnt lgkmcnt(0)
	v_add_nc_u32_e32 v19, v27, v19
.LBB1317_370:
	s_or_b32 exec_lo, exec_lo, s9
	v_add_nc_u32_e32 v20, -1, v41
	s_delay_alu instid0(VALU_DEP_1) | instskip(NEXT) | instid1(VALU_DEP_1)
	v_cmp_gt_i32_e64 s8, 0, v20
	v_cndmask_b32_e64 v20, v20, v41, s8
	v_cmp_eq_u32_e64 s8, 0, v41
	s_delay_alu instid0(VALU_DEP_2)
	v_lshlrev_b32_e32 v20, 2, v20
	ds_bpermute_b32 v29, v20, v19
	s_and_saveexec_b32 s9, vcc_lo
	s_cbranch_execz .LBB1317_393
; %bb.371:
	v_mov_b32_e32 v22, 0
	ds_load_b32 v19, v22 offset:60
	s_and_saveexec_b32 s18, s8
	s_cbranch_execz .LBB1317_373
; %bb.372:
	s_add_i32 s22, s15, 32
	s_mov_b32 s23, 0
	v_mov_b32_e32 v20, 1
	s_lshl_b64 s[22:23], s[22:23], 3
	s_delay_alu instid0(SALU_CYCLE_1)
	s_add_u32 s22, s10, s22
	s_addc_u32 s23, s11, s23
	s_waitcnt lgkmcnt(0)
	global_store_b64 v22, v[19:20], s[22:23]
.LBB1317_373:
	s_or_b32 exec_lo, exec_lo, s18
	v_xad_u32 v20, v41, -1, s15
	s_mov_b32 s19, 0
	s_mov_b32 s18, exec_lo
	s_delay_alu instid0(VALU_DEP_1) | instskip(NEXT) | instid1(VALU_DEP_1)
	v_add_nc_u32_e32 v21, 32, v20
	v_lshlrev_b64 v[21:22], 3, v[21:22]
	s_delay_alu instid0(VALU_DEP_1) | instskip(NEXT) | instid1(VALU_DEP_2)
	v_add_co_u32 v24, vcc_lo, s10, v21
	v_add_co_ci_u32_e32 v25, vcc_lo, s11, v22, vcc_lo
	global_load_b64 v[22:23], v[24:25], off glc
	s_waitcnt vmcnt(0)
	v_and_b32_e32 v21, 0xff, v23
	s_delay_alu instid0(VALU_DEP_1)
	v_cmpx_eq_u16_e32 0, v21
	s_cbranch_execz .LBB1317_379
; %bb.374:
	s_mov_b32 s20, 1
	.p2align	6
.LBB1317_375:                           ; =>This Loop Header: Depth=1
                                        ;     Child Loop BB1317_376 Depth 2
	s_delay_alu instid0(SALU_CYCLE_1)
	s_max_u32 s22, s20, 1
.LBB1317_376:                           ;   Parent Loop BB1317_375 Depth=1
                                        ; =>  This Inner Loop Header: Depth=2
	s_delay_alu instid0(SALU_CYCLE_1)
	s_add_i32 s22, s22, -1
	s_sleep 1
	s_cmp_eq_u32 s22, 0
	s_cbranch_scc0 .LBB1317_376
; %bb.377:                              ;   in Loop: Header=BB1317_375 Depth=1
	global_load_b64 v[22:23], v[24:25], off glc
	s_cmp_lt_u32 s20, 32
	s_cselect_b32 s22, -1, 0
	s_delay_alu instid0(SALU_CYCLE_1) | instskip(SKIP_3) | instid1(VALU_DEP_1)
	s_cmp_lg_u32 s22, 0
	s_addc_u32 s20, s20, 0
	s_waitcnt vmcnt(0)
	v_and_b32_e32 v21, 0xff, v23
	v_cmp_ne_u16_e32 vcc_lo, 0, v21
	s_or_b32 s19, vcc_lo, s19
	s_delay_alu instid0(SALU_CYCLE_1)
	s_and_not1_b32 exec_lo, exec_lo, s19
	s_cbranch_execnz .LBB1317_375
; %bb.378:
	s_or_b32 exec_lo, exec_lo, s19
.LBB1317_379:
	s_delay_alu instid0(SALU_CYCLE_1)
	s_or_b32 exec_lo, exec_lo, s18
	v_cmp_ne_u32_e32 vcc_lo, 31, v41
	v_lshlrev_b32_e64 v33, v41, -1
	v_add_nc_u32_e32 v37, 2, v41
	v_add_nc_u32_e32 v46, 4, v41
	;; [unrolled: 1-line block ×3, first 2 shown]
	v_add_co_ci_u32_e32 v21, vcc_lo, 0, v41, vcc_lo
	v_add_nc_u32_e32 v50, 16, v41
	s_delay_alu instid0(VALU_DEP_2)
	v_lshlrev_b32_e32 v31, 2, v21
	v_and_b32_e32 v21, 0xff, v23
	ds_bpermute_b32 v24, v31, v22
	v_cmp_eq_u16_e32 vcc_lo, 2, v21
	v_and_or_b32 v21, vcc_lo, v33, 0x80000000
	v_cmp_gt_u32_e32 vcc_lo, 30, v41
	s_delay_alu instid0(VALU_DEP_2) | instskip(SKIP_1) | instid1(VALU_DEP_2)
	v_ctz_i32_b32_e32 v21, v21
	v_cndmask_b32_e64 v25, 0, 1, vcc_lo
	v_cmp_lt_u32_e32 vcc_lo, v41, v21
	s_waitcnt lgkmcnt(0)
	s_delay_alu instid0(VALU_DEP_2) | instskip(NEXT) | instid1(VALU_DEP_1)
	v_dual_cndmask_b32 v24, 0, v24 :: v_dual_lshlrev_b32 v25, 1, v25
	v_add_lshl_u32 v35, v25, v41, 2
	v_cmp_gt_u32_e32 vcc_lo, 28, v41
	s_delay_alu instid0(VALU_DEP_3) | instskip(SKIP_4) | instid1(VALU_DEP_1)
	v_add_nc_u32_e32 v22, v24, v22
	v_cndmask_b32_e64 v25, 0, 1, vcc_lo
	v_cmp_le_u32_e32 vcc_lo, v37, v21
	ds_bpermute_b32 v24, v35, v22
	v_lshlrev_b32_e32 v25, 2, v25
	v_add_lshl_u32 v44, v25, v41, 2
	s_waitcnt lgkmcnt(0)
	v_cndmask_b32_e32 v24, 0, v24, vcc_lo
	v_cmp_gt_u32_e32 vcc_lo, 24, v41
	s_delay_alu instid0(VALU_DEP_2) | instskip(SKIP_4) | instid1(VALU_DEP_1)
	v_add_nc_u32_e32 v22, v22, v24
	v_cndmask_b32_e64 v25, 0, 1, vcc_lo
	v_cmp_le_u32_e32 vcc_lo, v46, v21
	ds_bpermute_b32 v24, v44, v22
	v_lshlrev_b32_e32 v25, 3, v25
	v_add_lshl_u32 v47, v25, v41, 2
	s_waitcnt lgkmcnt(0)
	v_cndmask_b32_e32 v24, 0, v24, vcc_lo
	v_cmp_gt_u32_e32 vcc_lo, 16, v41
	s_delay_alu instid0(VALU_DEP_2) | instskip(SKIP_4) | instid1(VALU_DEP_1)
	v_add_nc_u32_e32 v22, v22, v24
	v_cndmask_b32_e64 v25, 0, 1, vcc_lo
	v_cmp_le_u32_e32 vcc_lo, v48, v21
	ds_bpermute_b32 v24, v47, v22
	v_lshlrev_b32_e32 v25, 4, v25
	v_add_lshl_u32 v49, v25, v41, 2
	s_waitcnt lgkmcnt(0)
	v_cndmask_b32_e32 v24, 0, v24, vcc_lo
	v_cmp_le_u32_e32 vcc_lo, v50, v21
	s_delay_alu instid0(VALU_DEP_2) | instskip(SKIP_3) | instid1(VALU_DEP_1)
	v_add_nc_u32_e32 v22, v22, v24
	ds_bpermute_b32 v24, v49, v22
	s_waitcnt lgkmcnt(0)
	v_cndmask_b32_e32 v21, 0, v24, vcc_lo
	v_dual_mov_b32 v21, 0 :: v_dual_add_nc_u32 v22, v22, v21
	s_branch .LBB1317_381
.LBB1317_380:                           ;   in Loop: Header=BB1317_381 Depth=1
	s_or_b32 exec_lo, exec_lo, s18
	ds_bpermute_b32 v25, v31, v22
	v_and_b32_e32 v24, 0xff, v23
	v_subrev_nc_u32_e32 v20, 32, v20
	s_delay_alu instid0(VALU_DEP_2) | instskip(SKIP_1) | instid1(VALU_DEP_1)
	v_cmp_eq_u16_e32 vcc_lo, 2, v24
	v_and_or_b32 v24, vcc_lo, v33, 0x80000000
	v_ctz_i32_b32_e32 v24, v24
	s_delay_alu instid0(VALU_DEP_1) | instskip(SKIP_3) | instid1(VALU_DEP_2)
	v_cmp_lt_u32_e32 vcc_lo, v41, v24
	s_waitcnt lgkmcnt(0)
	v_cndmask_b32_e32 v25, 0, v25, vcc_lo
	v_cmp_le_u32_e32 vcc_lo, v37, v24
	v_add_nc_u32_e32 v22, v25, v22
	ds_bpermute_b32 v25, v35, v22
	s_waitcnt lgkmcnt(0)
	v_cndmask_b32_e32 v25, 0, v25, vcc_lo
	v_cmp_le_u32_e32 vcc_lo, v46, v24
	s_delay_alu instid0(VALU_DEP_2) | instskip(SKIP_4) | instid1(VALU_DEP_2)
	v_add_nc_u32_e32 v22, v22, v25
	ds_bpermute_b32 v25, v44, v22
	s_waitcnt lgkmcnt(0)
	v_cndmask_b32_e32 v25, 0, v25, vcc_lo
	v_cmp_le_u32_e32 vcc_lo, v48, v24
	v_add_nc_u32_e32 v22, v22, v25
	ds_bpermute_b32 v25, v47, v22
	s_waitcnt lgkmcnt(0)
	v_cndmask_b32_e32 v25, 0, v25, vcc_lo
	v_cmp_le_u32_e32 vcc_lo, v50, v24
	s_delay_alu instid0(VALU_DEP_2) | instskip(SKIP_3) | instid1(VALU_DEP_1)
	v_add_nc_u32_e32 v22, v22, v25
	ds_bpermute_b32 v25, v49, v22
	s_waitcnt lgkmcnt(0)
	v_cndmask_b32_e32 v24, 0, v25, vcc_lo
	v_add3_u32 v22, v24, v45, v22
.LBB1317_381:                           ; =>This Loop Header: Depth=1
                                        ;     Child Loop BB1317_384 Depth 2
                                        ;       Child Loop BB1317_385 Depth 3
	v_and_b32_e32 v23, 0xff, v23
	s_delay_alu instid0(VALU_DEP_2) | instskip(NEXT) | instid1(VALU_DEP_2)
	v_mov_b32_e32 v45, v22
	v_cmp_ne_u16_e32 vcc_lo, 2, v23
	v_cndmask_b32_e64 v23, 0, 1, vcc_lo
	;;#ASMSTART
	;;#ASMEND
	s_delay_alu instid0(VALU_DEP_1)
	v_cmp_ne_u32_e32 vcc_lo, 0, v23
	s_cmp_lg_u32 vcc_lo, exec_lo
	s_cbranch_scc1 .LBB1317_388
; %bb.382:                              ;   in Loop: Header=BB1317_381 Depth=1
	v_lshlrev_b64 v[22:23], 3, v[20:21]
	s_mov_b32 s18, exec_lo
	s_delay_alu instid0(VALU_DEP_1) | instskip(NEXT) | instid1(VALU_DEP_2)
	v_add_co_u32 v24, vcc_lo, s10, v22
	v_add_co_ci_u32_e32 v25, vcc_lo, s11, v23, vcc_lo
	global_load_b64 v[22:23], v[24:25], off glc
	s_waitcnt vmcnt(0)
	v_and_b32_e32 v51, 0xff, v23
	s_delay_alu instid0(VALU_DEP_1)
	v_cmpx_eq_u16_e32 0, v51
	s_cbranch_execz .LBB1317_380
; %bb.383:                              ;   in Loop: Header=BB1317_381 Depth=1
	s_mov_b32 s20, 1
	s_mov_b32 s19, 0
	.p2align	6
.LBB1317_384:                           ;   Parent Loop BB1317_381 Depth=1
                                        ; =>  This Loop Header: Depth=2
                                        ;       Child Loop BB1317_385 Depth 3
	s_max_u32 s22, s20, 1
.LBB1317_385:                           ;   Parent Loop BB1317_381 Depth=1
                                        ;     Parent Loop BB1317_384 Depth=2
                                        ; =>    This Inner Loop Header: Depth=3
	s_delay_alu instid0(SALU_CYCLE_1)
	s_add_i32 s22, s22, -1
	s_sleep 1
	s_cmp_eq_u32 s22, 0
	s_cbranch_scc0 .LBB1317_385
; %bb.386:                              ;   in Loop: Header=BB1317_384 Depth=2
	global_load_b64 v[22:23], v[24:25], off glc
	s_cmp_lt_u32 s20, 32
	s_cselect_b32 s22, -1, 0
	s_delay_alu instid0(SALU_CYCLE_1) | instskip(SKIP_3) | instid1(VALU_DEP_1)
	s_cmp_lg_u32 s22, 0
	s_addc_u32 s20, s20, 0
	s_waitcnt vmcnt(0)
	v_and_b32_e32 v51, 0xff, v23
	v_cmp_ne_u16_e32 vcc_lo, 0, v51
	s_or_b32 s19, vcc_lo, s19
	s_delay_alu instid0(SALU_CYCLE_1)
	s_and_not1_b32 exec_lo, exec_lo, s19
	s_cbranch_execnz .LBB1317_384
; %bb.387:                              ;   in Loop: Header=BB1317_381 Depth=1
	s_or_b32 exec_lo, exec_lo, s19
	s_branch .LBB1317_380
.LBB1317_388:                           ;   in Loop: Header=BB1317_381 Depth=1
                                        ; implicit-def: $vgpr22
                                        ; implicit-def: $vgpr23
	s_cbranch_execz .LBB1317_381
; %bb.389:
	s_and_saveexec_b32 s18, s8
	s_cbranch_execz .LBB1317_391
; %bb.390:
	s_add_i32 s22, s15, 32
	s_mov_b32 s23, 0
	v_dual_mov_b32 v21, 2 :: v_dual_add_nc_u32 v20, v45, v19
	s_lshl_b64 s[22:23], s[22:23], 3
	v_mov_b32_e32 v22, 0
	v_add_nc_u32_e64 v23, 0x8400, 0
	s_add_u32 s22, s10, s22
	s_addc_u32 s23, s11, s23
	global_store_b64 v22, v[20:21], s[22:23]
	ds_store_2addr_b32 v23, v19, v45 offset1:2
.LBB1317_391:
	s_or_b32 exec_lo, exec_lo, s18
	v_cmp_eq_u32_e32 vcc_lo, 0, v0
	s_and_b32 exec_lo, exec_lo, vcc_lo
	s_cbranch_execz .LBB1317_393
; %bb.392:
	v_mov_b32_e32 v19, 0
	ds_store_b32 v19, v45 offset:60
.LBB1317_393:
	s_or_b32 exec_lo, exec_lo, s9
	s_waitcnt lgkmcnt(0)
	v_cndmask_b32_e64 v20, v29, v27, s8
	v_cmp_ne_u32_e32 vcc_lo, 0, v0
	v_mov_b32_e32 v19, 0
	s_waitcnt_vscnt null, 0x0
	s_barrier
	buffer_gl0_inv
	v_cndmask_b32_e32 v20, 0, v20, vcc_lo
	ds_load_b32 v19, v19 offset:60
	s_waitcnt lgkmcnt(0)
	s_barrier
	buffer_gl0_inv
	v_add_nc_u32_e32 v37, v19, v20
	v_add_nc_u32_e64 v19, 0x8400, 0
	s_delay_alu instid0(VALU_DEP_2) | instskip(SKIP_2) | instid1(VALU_DEP_1)
	v_add_nc_u32_e32 v35, v37, v26
	ds_load_2addr_b32 v[19:20], v19 offset1:2
	v_add_nc_u32_e32 v33, v35, v28
	v_add_nc_u32_e32 v31, v33, v30
	s_delay_alu instid0(VALU_DEP_1) | instskip(NEXT) | instid1(VALU_DEP_1)
	v_add_nc_u32_e32 v29, v31, v32
	v_add_nc_u32_e32 v27, v29, v34
	s_delay_alu instid0(VALU_DEP_1) | instskip(NEXT) | instid1(VALU_DEP_1)
	v_add_nc_u32_e32 v25, v27, v36
	v_add_nc_u32_e32 v23, v25, v38
	s_load_b64 s[8:9], s[0:1], 0x28
	v_lshrrev_b64 v[21:22], 24, v[17:18]
	s_branch .LBB1317_404
.LBB1317_394:
                                        ; implicit-def: $vgpr23
                                        ; implicit-def: $vgpr25
                                        ; implicit-def: $vgpr27
                                        ; implicit-def: $vgpr29
                                        ; implicit-def: $vgpr31
                                        ; implicit-def: $vgpr33
                                        ; implicit-def: $vgpr35
                                        ; implicit-def: $vgpr37
                                        ; implicit-def: $vgpr20
	s_load_b64 s[8:9], s[0:1], 0x28
	v_lshrrev_b64 v[21:22], 24, v[17:18]
	s_and_b32 vcc_lo, exec_lo, s18
	s_cbranch_vccz .LBB1317_404
; %bb.395:
	s_waitcnt lgkmcnt(0)
	v_mov_b32_dpp v19, v43 row_shr:1 row_mask:0xf bank_mask:0xf
	s_delay_alu instid0(VALU_DEP_1) | instskip(NEXT) | instid1(VALU_DEP_1)
	v_cndmask_b32_e64 v19, v19, 0, s4
	v_add_nc_u32_e32 v19, v19, v43
	s_delay_alu instid0(VALU_DEP_1) | instskip(NEXT) | instid1(VALU_DEP_1)
	v_mov_b32_dpp v20, v19 row_shr:2 row_mask:0xf bank_mask:0xf
	v_cndmask_b32_e64 v20, 0, v20, s2
	s_delay_alu instid0(VALU_DEP_1) | instskip(NEXT) | instid1(VALU_DEP_1)
	v_add_nc_u32_e32 v19, v19, v20
	v_mov_b32_dpp v20, v19 row_shr:4 row_mask:0xf bank_mask:0xf
	s_delay_alu instid0(VALU_DEP_1) | instskip(NEXT) | instid1(VALU_DEP_1)
	v_cndmask_b32_e64 v20, 0, v20, s5
	v_add_nc_u32_e32 v19, v19, v20
	s_delay_alu instid0(VALU_DEP_1) | instskip(NEXT) | instid1(VALU_DEP_1)
	v_mov_b32_dpp v20, v19 row_shr:8 row_mask:0xf bank_mask:0xf
	v_cndmask_b32_e64 v20, 0, v20, s3
	s_delay_alu instid0(VALU_DEP_1) | instskip(SKIP_3) | instid1(VALU_DEP_1)
	v_add_nc_u32_e32 v19, v19, v20
	ds_swizzle_b32 v20, v19 offset:swizzle(BROADCAST,32,15)
	s_waitcnt lgkmcnt(0)
	v_cndmask_b32_e64 v20, v20, 0, s7
	v_add_nc_u32_e32 v19, v19, v20
	s_and_saveexec_b32 s0, s6
	s_cbranch_execz .LBB1317_397
; %bb.396:
	v_lshlrev_b32_e32 v20, 2, v42
	ds_store_b32 v20, v19
.LBB1317_397:
	s_or_b32 exec_lo, exec_lo, s0
	s_delay_alu instid0(SALU_CYCLE_1)
	s_mov_b32 s0, exec_lo
	s_waitcnt lgkmcnt(0)
	s_barrier
	buffer_gl0_inv
	v_cmpx_gt_u32_e32 16, v0
	s_cbranch_execz .LBB1317_399
; %bb.398:
	v_lshlrev_b32_e32 v20, 2, v0
	ds_load_b32 v22, v20
	s_waitcnt lgkmcnt(0)
	v_mov_b32_dpp v23, v22 row_shr:1 row_mask:0xf bank_mask:0xf
	s_delay_alu instid0(VALU_DEP_1) | instskip(NEXT) | instid1(VALU_DEP_1)
	v_cndmask_b32_e64 v23, v23, 0, s4
	v_add_nc_u32_e32 v22, v23, v22
	s_delay_alu instid0(VALU_DEP_1) | instskip(NEXT) | instid1(VALU_DEP_1)
	v_mov_b32_dpp v23, v22 row_shr:2 row_mask:0xf bank_mask:0xf
	v_cndmask_b32_e64 v23, 0, v23, s2
	s_delay_alu instid0(VALU_DEP_1) | instskip(NEXT) | instid1(VALU_DEP_1)
	v_add_nc_u32_e32 v22, v22, v23
	v_mov_b32_dpp v23, v22 row_shr:4 row_mask:0xf bank_mask:0xf
	s_delay_alu instid0(VALU_DEP_1) | instskip(NEXT) | instid1(VALU_DEP_1)
	v_cndmask_b32_e64 v23, 0, v23, s5
	v_add_nc_u32_e32 v22, v22, v23
	s_delay_alu instid0(VALU_DEP_1) | instskip(NEXT) | instid1(VALU_DEP_1)
	v_mov_b32_dpp v23, v22 row_shr:8 row_mask:0xf bank_mask:0xf
	v_cndmask_b32_e64 v23, 0, v23, s3
	s_delay_alu instid0(VALU_DEP_1)
	v_add_nc_u32_e32 v22, v22, v23
	ds_store_b32 v20, v22
.LBB1317_399:
	s_or_b32 exec_lo, exec_lo, s0
	v_mov_b32_e32 v20, 0
	v_mov_b32_e32 v22, 0
	s_mov_b32 s0, exec_lo
	s_waitcnt lgkmcnt(0)
	s_barrier
	buffer_gl0_inv
	v_cmpx_lt_u32_e32 31, v0
	s_cbranch_execz .LBB1317_401
; %bb.400:
	v_lshl_add_u32 v22, v42, 2, -4
	ds_load_b32 v22, v22
.LBB1317_401:
	s_or_b32 exec_lo, exec_lo, s0
	v_add_nc_u32_e32 v23, -1, v41
	s_waitcnt lgkmcnt(0)
	v_add_nc_u32_e32 v19, v22, v19
	s_delay_alu instid0(VALU_DEP_2) | instskip(SKIP_2) | instid1(VALU_DEP_2)
	v_cmp_gt_i32_e32 vcc_lo, 0, v23
	v_cndmask_b32_e32 v23, v23, v41, vcc_lo
	v_cmp_eq_u32_e32 vcc_lo, 0, v0
	v_lshlrev_b32_e32 v23, 2, v23
	ds_bpermute_b32 v23, v23, v19
	ds_load_b32 v19, v20 offset:60
	s_and_saveexec_b32 s0, vcc_lo
	s_cbranch_execz .LBB1317_403
; %bb.402:
	v_mov_b32_e32 v24, 0
	v_mov_b32_e32 v20, 2
	s_waitcnt lgkmcnt(0)
	global_store_b64 v24, v[19:20], s[10:11] offset:256
.LBB1317_403:
	s_or_b32 exec_lo, exec_lo, s0
	v_cmp_eq_u32_e64 s0, 0, v41
	s_waitcnt lgkmcnt(0)
	s_waitcnt_vscnt null, 0x0
	s_barrier
	buffer_gl0_inv
	v_cndmask_b32_e64 v20, v23, v22, s0
	s_delay_alu instid0(VALU_DEP_1) | instskip(NEXT) | instid1(VALU_DEP_1)
	v_cndmask_b32_e64 v37, v20, 0, vcc_lo
	v_dual_mov_b32 v20, 0 :: v_dual_add_nc_u32 v35, v37, v26
	s_delay_alu instid0(VALU_DEP_1) | instskip(NEXT) | instid1(VALU_DEP_1)
	v_add_nc_u32_e32 v33, v35, v28
	v_add_nc_u32_e32 v31, v33, v30
	s_delay_alu instid0(VALU_DEP_1) | instskip(NEXT) | instid1(VALU_DEP_1)
	v_add_nc_u32_e32 v29, v31, v32
	v_add_nc_u32_e32 v27, v29, v34
	;; [unrolled: 3-line block ×3, first 2 shown]
.LBB1317_404:
	s_waitcnt lgkmcnt(0)
	v_cmp_gt_u32_e32 vcc_lo, 0x201, v19
	v_lshrrev_b32_e32 v43, 8, v17
	v_lshrrev_b32_e32 v42, 16, v17
	;; [unrolled: 1-line block ×4, first 2 shown]
	s_mov_b32 s0, -1
	s_cbranch_vccnz .LBB1317_408
; %bb.405:
	s_and_b32 vcc_lo, exec_lo, s0
	s_cbranch_vccnz .LBB1317_433
.LBB1317_406:
	v_cmp_eq_u32_e32 vcc_lo, 0, v0
	s_and_b32 s0, vcc_lo, s14
	s_delay_alu instid0(SALU_CYCLE_1)
	s_and_saveexec_b32 s1, s0
	s_cbranch_execnz .LBB1317_453
.LBB1317_407:
	s_nop 0
	s_sendmsg sendmsg(MSG_DEALLOC_VGPRS)
	s_endpgm
.LBB1317_408:
	v_add_nc_u32_e32 v24, v20, v19
	s_delay_alu instid0(VALU_DEP_1) | instskip(SKIP_1) | instid1(SALU_CYCLE_1)
	v_cmp_lt_u32_e32 vcc_lo, v37, v24
	s_or_b32 s1, s21, vcc_lo
	s_and_saveexec_b32 s0, s1
	s_cbranch_execz .LBB1317_411
; %bb.409:
	v_and_b32_e32 v26, 1, v17
	s_delay_alu instid0(VALU_DEP_1)
	v_cmp_eq_u32_e32 vcc_lo, 1, v26
	s_and_b32 exec_lo, exec_lo, vcc_lo
	s_cbranch_execz .LBB1317_411
; %bb.410:
	v_mov_b32_e32 v38, 0
	s_lshl_b64 s[2:3], s[12:13], 3
	s_delay_alu instid0(SALU_CYCLE_1) | instskip(SKIP_1) | instid1(VALU_DEP_1)
	s_add_u32 s1, s8, s2
	s_addc_u32 s2, s9, s3
	v_lshlrev_b64 v[44:45], 3, v[37:38]
	s_delay_alu instid0(VALU_DEP_1) | instskip(NEXT) | instid1(VALU_DEP_2)
	v_add_co_u32 v44, vcc_lo, s1, v44
	v_add_co_ci_u32_e32 v45, vcc_lo, s2, v45, vcc_lo
	global_store_b64 v[44:45], v[13:14], off
.LBB1317_411:
	s_or_b32 exec_lo, exec_lo, s0
	v_cmp_lt_u32_e32 vcc_lo, v35, v24
	s_or_b32 s1, s21, vcc_lo
	s_delay_alu instid0(SALU_CYCLE_1)
	s_and_saveexec_b32 s0, s1
	s_cbranch_execz .LBB1317_414
; %bb.412:
	v_and_b32_e32 v26, 1, v43
	s_delay_alu instid0(VALU_DEP_1)
	v_cmp_eq_u32_e32 vcc_lo, 1, v26
	s_and_b32 exec_lo, exec_lo, vcc_lo
	s_cbranch_execz .LBB1317_414
; %bb.413:
	v_mov_b32_e32 v36, 0
	s_lshl_b64 s[2:3], s[12:13], 3
	s_delay_alu instid0(SALU_CYCLE_1) | instskip(SKIP_1) | instid1(VALU_DEP_1)
	s_add_u32 s1, s8, s2
	s_addc_u32 s2, s9, s3
	v_lshlrev_b64 v[44:45], 3, v[35:36]
	s_delay_alu instid0(VALU_DEP_1) | instskip(NEXT) | instid1(VALU_DEP_2)
	v_add_co_u32 v44, vcc_lo, s1, v44
	v_add_co_ci_u32_e32 v45, vcc_lo, s2, v45, vcc_lo
	global_store_b64 v[44:45], v[15:16], off
.LBB1317_414:
	s_or_b32 exec_lo, exec_lo, s0
	v_cmp_lt_u32_e32 vcc_lo, v33, v24
	s_or_b32 s1, s21, vcc_lo
	s_delay_alu instid0(SALU_CYCLE_1)
	;; [unrolled: 24-line block ×7, first 2 shown]
	s_and_saveexec_b32 s0, s1
	s_cbranch_execz .LBB1317_432
; %bb.430:
	v_and_b32_e32 v24, 1, v40
	s_delay_alu instid0(VALU_DEP_1)
	v_cmp_eq_u32_e32 vcc_lo, 1, v24
	s_and_b32 exec_lo, exec_lo, vcc_lo
	s_cbranch_execz .LBB1317_432
; %bb.431:
	v_mov_b32_e32 v24, 0
	s_lshl_b64 s[2:3], s[12:13], 3
	s_delay_alu instid0(SALU_CYCLE_1) | instskip(SKIP_1) | instid1(VALU_DEP_1)
	s_add_u32 s1, s8, s2
	s_addc_u32 s2, s9, s3
	v_lshlrev_b64 v[44:45], 3, v[23:24]
	s_delay_alu instid0(VALU_DEP_1) | instskip(NEXT) | instid1(VALU_DEP_2)
	v_add_co_u32 v44, vcc_lo, s1, v44
	v_add_co_ci_u32_e32 v45, vcc_lo, s2, v45, vcc_lo
	global_store_b64 v[44:45], v[3:4], off
.LBB1317_432:
	s_or_b32 exec_lo, exec_lo, s0
	s_branch .LBB1317_406
.LBB1317_433:
	v_and_b32_e32 v17, 1, v17
	s_mov_b32 s0, exec_lo
	s_delay_alu instid0(VALU_DEP_1)
	v_cmpx_eq_u32_e32 1, v17
	s_cbranch_execz .LBB1317_435
; %bb.434:
	v_sub_nc_u32_e32 v17, v37, v20
	s_delay_alu instid0(VALU_DEP_1)
	v_lshlrev_b32_e32 v17, 3, v17
	ds_store_b64 v17, v[13:14]
.LBB1317_435:
	s_or_b32 exec_lo, exec_lo, s0
	v_and_b32_e32 v13, 1, v43
	s_mov_b32 s0, exec_lo
	s_delay_alu instid0(VALU_DEP_1)
	v_cmpx_eq_u32_e32 1, v13
	s_cbranch_execz .LBB1317_437
; %bb.436:
	v_sub_nc_u32_e32 v13, v35, v20
	s_delay_alu instid0(VALU_DEP_1)
	v_lshlrev_b32_e32 v13, 3, v13
	ds_store_b64 v13, v[15:16]
.LBB1317_437:
	s_or_b32 exec_lo, exec_lo, s0
	v_and_b32_e32 v13, 1, v42
	s_mov_b32 s0, exec_lo
	s_delay_alu instid0(VALU_DEP_1)
	v_cmpx_eq_u32_e32 1, v13
	s_cbranch_execz .LBB1317_439
; %bb.438:
	v_sub_nc_u32_e32 v13, v33, v20
	s_delay_alu instid0(VALU_DEP_1)
	v_lshlrev_b32_e32 v13, 3, v13
	ds_store_b64 v13, v[9:10]
.LBB1317_439:
	s_or_b32 exec_lo, exec_lo, s0
	v_and_b32_e32 v9, 1, v21
	s_mov_b32 s0, exec_lo
	s_delay_alu instid0(VALU_DEP_1)
	v_cmpx_eq_u32_e32 1, v9
	s_cbranch_execz .LBB1317_441
; %bb.440:
	v_sub_nc_u32_e32 v9, v31, v20
	s_delay_alu instid0(VALU_DEP_1)
	v_lshlrev_b32_e32 v9, 3, v9
	ds_store_b64 v9, v[11:12]
.LBB1317_441:
	s_or_b32 exec_lo, exec_lo, s0
	v_and_b32_e32 v9, 1, v18
	s_mov_b32 s0, exec_lo
	s_delay_alu instid0(VALU_DEP_1)
	v_cmpx_eq_u32_e32 1, v9
	s_cbranch_execz .LBB1317_443
; %bb.442:
	v_sub_nc_u32_e32 v9, v29, v20
	s_delay_alu instid0(VALU_DEP_1)
	v_lshlrev_b32_e32 v9, 3, v9
	ds_store_b64 v9, v[5:6]
.LBB1317_443:
	s_or_b32 exec_lo, exec_lo, s0
	v_and_b32_e32 v5, 1, v41
	s_mov_b32 s0, exec_lo
	s_delay_alu instid0(VALU_DEP_1)
	v_cmpx_eq_u32_e32 1, v5
	s_cbranch_execz .LBB1317_445
; %bb.444:
	v_sub_nc_u32_e32 v5, v27, v20
	s_delay_alu instid0(VALU_DEP_1)
	v_lshlrev_b32_e32 v5, 3, v5
	ds_store_b64 v5, v[7:8]
.LBB1317_445:
	s_or_b32 exec_lo, exec_lo, s0
	v_and_b32_e32 v5, 1, v22
	s_mov_b32 s0, exec_lo
	s_delay_alu instid0(VALU_DEP_1)
	v_cmpx_eq_u32_e32 1, v5
	s_cbranch_execz .LBB1317_447
; %bb.446:
	v_sub_nc_u32_e32 v5, v25, v20
	s_delay_alu instid0(VALU_DEP_1)
	v_lshlrev_b32_e32 v5, 3, v5
	ds_store_b64 v5, v[1:2]
.LBB1317_447:
	s_or_b32 exec_lo, exec_lo, s0
	v_and_b32_e32 v1, 1, v40
	s_mov_b32 s0, exec_lo
	s_delay_alu instid0(VALU_DEP_1)
	v_cmpx_eq_u32_e32 1, v1
	s_cbranch_execz .LBB1317_449
; %bb.448:
	v_sub_nc_u32_e32 v1, v23, v20
	s_delay_alu instid0(VALU_DEP_1)
	v_lshlrev_b32_e32 v1, 3, v1
	ds_store_b64 v1, v[3:4]
.LBB1317_449:
	s_or_b32 exec_lo, exec_lo, s0
	s_delay_alu instid0(SALU_CYCLE_1)
	s_mov_b32 s1, exec_lo
	s_waitcnt lgkmcnt(0)
	s_waitcnt_vscnt null, 0x0
	s_barrier
	buffer_gl0_inv
	v_cmpx_lt_u32_e64 v0, v19
	s_cbranch_execz .LBB1317_452
; %bb.450:
	v_dual_mov_b32 v2, 0 :: v_dual_mov_b32 v1, v20
	s_lshl_b64 s[2:3], s[12:13], 3
	v_mov_b32_e32 v3, v0
	s_delay_alu instid0(VALU_DEP_2) | instskip(NEXT) | instid1(VALU_DEP_1)
	v_lshlrev_b64 v[1:2], 3, v[1:2]
	v_add_co_u32 v1, vcc_lo, s2, v1
	s_delay_alu instid0(VALU_DEP_2) | instskip(SKIP_1) | instid1(VALU_DEP_2)
	v_add_co_ci_u32_e32 v2, vcc_lo, s3, v2, vcc_lo
	s_mov_b32 s2, 0
	v_add_co_u32 v1, vcc_lo, s8, v1
	s_delay_alu instid0(VALU_DEP_2) | instskip(NEXT) | instid1(VALU_DEP_2)
	v_add_co_ci_u32_e32 v2, vcc_lo, s9, v2, vcc_lo
	v_add_co_u32 v1, vcc_lo, v1, v39
	s_delay_alu instid0(VALU_DEP_2)
	v_add_co_ci_u32_e32 v2, vcc_lo, 0, v2, vcc_lo
	.p2align	6
.LBB1317_451:                           ; =>This Inner Loop Header: Depth=1
	ds_load_b64 v[4:5], v39
	v_add_nc_u32_e32 v3, 0x200, v3
	v_add_nc_u32_e32 v39, 0x1000, v39
	s_delay_alu instid0(VALU_DEP_2) | instskip(SKIP_4) | instid1(VALU_DEP_1)
	v_cmp_ge_u32_e32 vcc_lo, v3, v19
	s_or_b32 s2, vcc_lo, s2
	s_waitcnt lgkmcnt(0)
	global_store_b64 v[1:2], v[4:5], off
	v_add_co_u32 v1, s0, 0x1000, v1
	v_add_co_ci_u32_e64 v2, s0, 0, v2, s0
	s_and_not1_b32 exec_lo, exec_lo, s2
	s_cbranch_execnz .LBB1317_451
.LBB1317_452:
	s_or_b32 exec_lo, exec_lo, s1
	v_cmp_eq_u32_e32 vcc_lo, 0, v0
	s_and_b32 s0, vcc_lo, s14
	s_delay_alu instid0(SALU_CYCLE_1)
	s_and_saveexec_b32 s1, s0
	s_cbranch_execz .LBB1317_407
.LBB1317_453:
	v_add_co_u32 v0, s0, s12, v19
	s_delay_alu instid0(VALU_DEP_1) | instskip(SKIP_1) | instid1(VALU_DEP_3)
	v_add_co_ci_u32_e64 v1, null, s13, 0, s0
	v_mov_b32_e32 v2, 0
	v_add_co_u32 v0, vcc_lo, v0, v20
	s_delay_alu instid0(VALU_DEP_3)
	v_add_co_ci_u32_e32 v1, vcc_lo, 0, v1, vcc_lo
	global_store_b64 v2, v[0:1], s[16:17]
	s_nop 0
	s_sendmsg sendmsg(MSG_DEALLOC_VGPRS)
	s_endpgm
	.section	.rodata,"a",@progbits
	.p2align	6, 0x0
	.amdhsa_kernel _ZN7rocprim17ROCPRIM_400000_NS6detail17trampoline_kernelINS0_14default_configENS1_25partition_config_selectorILNS1_17partition_subalgoE8ElNS0_10empty_typeEbEEZZNS1_14partition_implILS5_8ELb0ES3_jPlPS6_PKS6_NS0_5tupleIJS9_S6_EEENSD_IJSA_SA_EEENS0_18inequality_wrapperIZN2at6native12_GLOBAL__N_124unique_dim_cuda_templateIN3c104HalfEEESt5tupleIJNSH_6TensorESO_SO_EERKSO_lbbbEUlllE0_EEPmJS6_EEE10hipError_tPvRmT3_T4_T5_T6_T7_T9_mT8_P12ihipStream_tbDpT10_ENKUlT_T0_E_clISt17integral_constantIbLb1EES1D_IbLb0EEEEDaS19_S1A_EUlS19_E_NS1_11comp_targetILNS1_3genE9ELNS1_11target_archE1100ELNS1_3gpuE3ELNS1_3repE0EEENS1_30default_config_static_selectorELNS0_4arch9wavefront6targetE0EEEvT1_
		.amdhsa_group_segment_fixed_size 33804
		.amdhsa_private_segment_fixed_size 0
		.amdhsa_kernarg_size 120
		.amdhsa_user_sgpr_count 15
		.amdhsa_user_sgpr_dispatch_ptr 0
		.amdhsa_user_sgpr_queue_ptr 0
		.amdhsa_user_sgpr_kernarg_segment_ptr 1
		.amdhsa_user_sgpr_dispatch_id 0
		.amdhsa_user_sgpr_private_segment_size 0
		.amdhsa_wavefront_size32 1
		.amdhsa_uses_dynamic_stack 0
		.amdhsa_enable_private_segment 0
		.amdhsa_system_sgpr_workgroup_id_x 1
		.amdhsa_system_sgpr_workgroup_id_y 0
		.amdhsa_system_sgpr_workgroup_id_z 0
		.amdhsa_system_sgpr_workgroup_info 0
		.amdhsa_system_vgpr_workitem_id 0
		.amdhsa_next_free_vgpr 52
		.amdhsa_next_free_sgpr 36
		.amdhsa_reserve_vcc 1
		.amdhsa_float_round_mode_32 0
		.amdhsa_float_round_mode_16_64 0
		.amdhsa_float_denorm_mode_32 3
		.amdhsa_float_denorm_mode_16_64 3
		.amdhsa_dx10_clamp 1
		.amdhsa_ieee_mode 1
		.amdhsa_fp16_overflow 0
		.amdhsa_workgroup_processor_mode 1
		.amdhsa_memory_ordered 1
		.amdhsa_forward_progress 0
		.amdhsa_shared_vgpr_count 0
		.amdhsa_exception_fp_ieee_invalid_op 0
		.amdhsa_exception_fp_denorm_src 0
		.amdhsa_exception_fp_ieee_div_zero 0
		.amdhsa_exception_fp_ieee_overflow 0
		.amdhsa_exception_fp_ieee_underflow 0
		.amdhsa_exception_fp_ieee_inexact 0
		.amdhsa_exception_int_div_zero 0
	.end_amdhsa_kernel
	.section	.text._ZN7rocprim17ROCPRIM_400000_NS6detail17trampoline_kernelINS0_14default_configENS1_25partition_config_selectorILNS1_17partition_subalgoE8ElNS0_10empty_typeEbEEZZNS1_14partition_implILS5_8ELb0ES3_jPlPS6_PKS6_NS0_5tupleIJS9_S6_EEENSD_IJSA_SA_EEENS0_18inequality_wrapperIZN2at6native12_GLOBAL__N_124unique_dim_cuda_templateIN3c104HalfEEESt5tupleIJNSH_6TensorESO_SO_EERKSO_lbbbEUlllE0_EEPmJS6_EEE10hipError_tPvRmT3_T4_T5_T6_T7_T9_mT8_P12ihipStream_tbDpT10_ENKUlT_T0_E_clISt17integral_constantIbLb1EES1D_IbLb0EEEEDaS19_S1A_EUlS19_E_NS1_11comp_targetILNS1_3genE9ELNS1_11target_archE1100ELNS1_3gpuE3ELNS1_3repE0EEENS1_30default_config_static_selectorELNS0_4arch9wavefront6targetE0EEEvT1_,"axG",@progbits,_ZN7rocprim17ROCPRIM_400000_NS6detail17trampoline_kernelINS0_14default_configENS1_25partition_config_selectorILNS1_17partition_subalgoE8ElNS0_10empty_typeEbEEZZNS1_14partition_implILS5_8ELb0ES3_jPlPS6_PKS6_NS0_5tupleIJS9_S6_EEENSD_IJSA_SA_EEENS0_18inequality_wrapperIZN2at6native12_GLOBAL__N_124unique_dim_cuda_templateIN3c104HalfEEESt5tupleIJNSH_6TensorESO_SO_EERKSO_lbbbEUlllE0_EEPmJS6_EEE10hipError_tPvRmT3_T4_T5_T6_T7_T9_mT8_P12ihipStream_tbDpT10_ENKUlT_T0_E_clISt17integral_constantIbLb1EES1D_IbLb0EEEEDaS19_S1A_EUlS19_E_NS1_11comp_targetILNS1_3genE9ELNS1_11target_archE1100ELNS1_3gpuE3ELNS1_3repE0EEENS1_30default_config_static_selectorELNS0_4arch9wavefront6targetE0EEEvT1_,comdat
.Lfunc_end1317:
	.size	_ZN7rocprim17ROCPRIM_400000_NS6detail17trampoline_kernelINS0_14default_configENS1_25partition_config_selectorILNS1_17partition_subalgoE8ElNS0_10empty_typeEbEEZZNS1_14partition_implILS5_8ELb0ES3_jPlPS6_PKS6_NS0_5tupleIJS9_S6_EEENSD_IJSA_SA_EEENS0_18inequality_wrapperIZN2at6native12_GLOBAL__N_124unique_dim_cuda_templateIN3c104HalfEEESt5tupleIJNSH_6TensorESO_SO_EERKSO_lbbbEUlllE0_EEPmJS6_EEE10hipError_tPvRmT3_T4_T5_T6_T7_T9_mT8_P12ihipStream_tbDpT10_ENKUlT_T0_E_clISt17integral_constantIbLb1EES1D_IbLb0EEEEDaS19_S1A_EUlS19_E_NS1_11comp_targetILNS1_3genE9ELNS1_11target_archE1100ELNS1_3gpuE3ELNS1_3repE0EEENS1_30default_config_static_selectorELNS0_4arch9wavefront6targetE0EEEvT1_, .Lfunc_end1317-_ZN7rocprim17ROCPRIM_400000_NS6detail17trampoline_kernelINS0_14default_configENS1_25partition_config_selectorILNS1_17partition_subalgoE8ElNS0_10empty_typeEbEEZZNS1_14partition_implILS5_8ELb0ES3_jPlPS6_PKS6_NS0_5tupleIJS9_S6_EEENSD_IJSA_SA_EEENS0_18inequality_wrapperIZN2at6native12_GLOBAL__N_124unique_dim_cuda_templateIN3c104HalfEEESt5tupleIJNSH_6TensorESO_SO_EERKSO_lbbbEUlllE0_EEPmJS6_EEE10hipError_tPvRmT3_T4_T5_T6_T7_T9_mT8_P12ihipStream_tbDpT10_ENKUlT_T0_E_clISt17integral_constantIbLb1EES1D_IbLb0EEEEDaS19_S1A_EUlS19_E_NS1_11comp_targetILNS1_3genE9ELNS1_11target_archE1100ELNS1_3gpuE3ELNS1_3repE0EEENS1_30default_config_static_selectorELNS0_4arch9wavefront6targetE0EEEvT1_
                                        ; -- End function
	.section	.AMDGPU.csdata,"",@progbits
; Kernel info:
; codeLenInByte = 18204
; NumSgprs: 38
; NumVgprs: 52
; ScratchSize: 0
; MemoryBound: 0
; FloatMode: 240
; IeeeMode: 1
; LDSByteSize: 33804 bytes/workgroup (compile time only)
; SGPRBlocks: 4
; VGPRBlocks: 6
; NumSGPRsForWavesPerEU: 38
; NumVGPRsForWavesPerEU: 52
; Occupancy: 12
; WaveLimiterHint : 1
; COMPUTE_PGM_RSRC2:SCRATCH_EN: 0
; COMPUTE_PGM_RSRC2:USER_SGPR: 15
; COMPUTE_PGM_RSRC2:TRAP_HANDLER: 0
; COMPUTE_PGM_RSRC2:TGID_X_EN: 1
; COMPUTE_PGM_RSRC2:TGID_Y_EN: 0
; COMPUTE_PGM_RSRC2:TGID_Z_EN: 0
; COMPUTE_PGM_RSRC2:TIDIG_COMP_CNT: 0
	.section	.text._ZN7rocprim17ROCPRIM_400000_NS6detail17trampoline_kernelINS0_14default_configENS1_25partition_config_selectorILNS1_17partition_subalgoE8ElNS0_10empty_typeEbEEZZNS1_14partition_implILS5_8ELb0ES3_jPlPS6_PKS6_NS0_5tupleIJS9_S6_EEENSD_IJSA_SA_EEENS0_18inequality_wrapperIZN2at6native12_GLOBAL__N_124unique_dim_cuda_templateIN3c104HalfEEESt5tupleIJNSH_6TensorESO_SO_EERKSO_lbbbEUlllE0_EEPmJS6_EEE10hipError_tPvRmT3_T4_T5_T6_T7_T9_mT8_P12ihipStream_tbDpT10_ENKUlT_T0_E_clISt17integral_constantIbLb1EES1D_IbLb0EEEEDaS19_S1A_EUlS19_E_NS1_11comp_targetILNS1_3genE8ELNS1_11target_archE1030ELNS1_3gpuE2ELNS1_3repE0EEENS1_30default_config_static_selectorELNS0_4arch9wavefront6targetE0EEEvT1_,"axG",@progbits,_ZN7rocprim17ROCPRIM_400000_NS6detail17trampoline_kernelINS0_14default_configENS1_25partition_config_selectorILNS1_17partition_subalgoE8ElNS0_10empty_typeEbEEZZNS1_14partition_implILS5_8ELb0ES3_jPlPS6_PKS6_NS0_5tupleIJS9_S6_EEENSD_IJSA_SA_EEENS0_18inequality_wrapperIZN2at6native12_GLOBAL__N_124unique_dim_cuda_templateIN3c104HalfEEESt5tupleIJNSH_6TensorESO_SO_EERKSO_lbbbEUlllE0_EEPmJS6_EEE10hipError_tPvRmT3_T4_T5_T6_T7_T9_mT8_P12ihipStream_tbDpT10_ENKUlT_T0_E_clISt17integral_constantIbLb1EES1D_IbLb0EEEEDaS19_S1A_EUlS19_E_NS1_11comp_targetILNS1_3genE8ELNS1_11target_archE1030ELNS1_3gpuE2ELNS1_3repE0EEENS1_30default_config_static_selectorELNS0_4arch9wavefront6targetE0EEEvT1_,comdat
	.globl	_ZN7rocprim17ROCPRIM_400000_NS6detail17trampoline_kernelINS0_14default_configENS1_25partition_config_selectorILNS1_17partition_subalgoE8ElNS0_10empty_typeEbEEZZNS1_14partition_implILS5_8ELb0ES3_jPlPS6_PKS6_NS0_5tupleIJS9_S6_EEENSD_IJSA_SA_EEENS0_18inequality_wrapperIZN2at6native12_GLOBAL__N_124unique_dim_cuda_templateIN3c104HalfEEESt5tupleIJNSH_6TensorESO_SO_EERKSO_lbbbEUlllE0_EEPmJS6_EEE10hipError_tPvRmT3_T4_T5_T6_T7_T9_mT8_P12ihipStream_tbDpT10_ENKUlT_T0_E_clISt17integral_constantIbLb1EES1D_IbLb0EEEEDaS19_S1A_EUlS19_E_NS1_11comp_targetILNS1_3genE8ELNS1_11target_archE1030ELNS1_3gpuE2ELNS1_3repE0EEENS1_30default_config_static_selectorELNS0_4arch9wavefront6targetE0EEEvT1_ ; -- Begin function _ZN7rocprim17ROCPRIM_400000_NS6detail17trampoline_kernelINS0_14default_configENS1_25partition_config_selectorILNS1_17partition_subalgoE8ElNS0_10empty_typeEbEEZZNS1_14partition_implILS5_8ELb0ES3_jPlPS6_PKS6_NS0_5tupleIJS9_S6_EEENSD_IJSA_SA_EEENS0_18inequality_wrapperIZN2at6native12_GLOBAL__N_124unique_dim_cuda_templateIN3c104HalfEEESt5tupleIJNSH_6TensorESO_SO_EERKSO_lbbbEUlllE0_EEPmJS6_EEE10hipError_tPvRmT3_T4_T5_T6_T7_T9_mT8_P12ihipStream_tbDpT10_ENKUlT_T0_E_clISt17integral_constantIbLb1EES1D_IbLb0EEEEDaS19_S1A_EUlS19_E_NS1_11comp_targetILNS1_3genE8ELNS1_11target_archE1030ELNS1_3gpuE2ELNS1_3repE0EEENS1_30default_config_static_selectorELNS0_4arch9wavefront6targetE0EEEvT1_
	.p2align	8
	.type	_ZN7rocprim17ROCPRIM_400000_NS6detail17trampoline_kernelINS0_14default_configENS1_25partition_config_selectorILNS1_17partition_subalgoE8ElNS0_10empty_typeEbEEZZNS1_14partition_implILS5_8ELb0ES3_jPlPS6_PKS6_NS0_5tupleIJS9_S6_EEENSD_IJSA_SA_EEENS0_18inequality_wrapperIZN2at6native12_GLOBAL__N_124unique_dim_cuda_templateIN3c104HalfEEESt5tupleIJNSH_6TensorESO_SO_EERKSO_lbbbEUlllE0_EEPmJS6_EEE10hipError_tPvRmT3_T4_T5_T6_T7_T9_mT8_P12ihipStream_tbDpT10_ENKUlT_T0_E_clISt17integral_constantIbLb1EES1D_IbLb0EEEEDaS19_S1A_EUlS19_E_NS1_11comp_targetILNS1_3genE8ELNS1_11target_archE1030ELNS1_3gpuE2ELNS1_3repE0EEENS1_30default_config_static_selectorELNS0_4arch9wavefront6targetE0EEEvT1_,@function
_ZN7rocprim17ROCPRIM_400000_NS6detail17trampoline_kernelINS0_14default_configENS1_25partition_config_selectorILNS1_17partition_subalgoE8ElNS0_10empty_typeEbEEZZNS1_14partition_implILS5_8ELb0ES3_jPlPS6_PKS6_NS0_5tupleIJS9_S6_EEENSD_IJSA_SA_EEENS0_18inequality_wrapperIZN2at6native12_GLOBAL__N_124unique_dim_cuda_templateIN3c104HalfEEESt5tupleIJNSH_6TensorESO_SO_EERKSO_lbbbEUlllE0_EEPmJS6_EEE10hipError_tPvRmT3_T4_T5_T6_T7_T9_mT8_P12ihipStream_tbDpT10_ENKUlT_T0_E_clISt17integral_constantIbLb1EES1D_IbLb0EEEEDaS19_S1A_EUlS19_E_NS1_11comp_targetILNS1_3genE8ELNS1_11target_archE1030ELNS1_3gpuE2ELNS1_3repE0EEENS1_30default_config_static_selectorELNS0_4arch9wavefront6targetE0EEEvT1_: ; @_ZN7rocprim17ROCPRIM_400000_NS6detail17trampoline_kernelINS0_14default_configENS1_25partition_config_selectorILNS1_17partition_subalgoE8ElNS0_10empty_typeEbEEZZNS1_14partition_implILS5_8ELb0ES3_jPlPS6_PKS6_NS0_5tupleIJS9_S6_EEENSD_IJSA_SA_EEENS0_18inequality_wrapperIZN2at6native12_GLOBAL__N_124unique_dim_cuda_templateIN3c104HalfEEESt5tupleIJNSH_6TensorESO_SO_EERKSO_lbbbEUlllE0_EEPmJS6_EEE10hipError_tPvRmT3_T4_T5_T6_T7_T9_mT8_P12ihipStream_tbDpT10_ENKUlT_T0_E_clISt17integral_constantIbLb1EES1D_IbLb0EEEEDaS19_S1A_EUlS19_E_NS1_11comp_targetILNS1_3genE8ELNS1_11target_archE1030ELNS1_3gpuE2ELNS1_3repE0EEENS1_30default_config_static_selectorELNS0_4arch9wavefront6targetE0EEEvT1_
; %bb.0:
	.section	.rodata,"a",@progbits
	.p2align	6, 0x0
	.amdhsa_kernel _ZN7rocprim17ROCPRIM_400000_NS6detail17trampoline_kernelINS0_14default_configENS1_25partition_config_selectorILNS1_17partition_subalgoE8ElNS0_10empty_typeEbEEZZNS1_14partition_implILS5_8ELb0ES3_jPlPS6_PKS6_NS0_5tupleIJS9_S6_EEENSD_IJSA_SA_EEENS0_18inequality_wrapperIZN2at6native12_GLOBAL__N_124unique_dim_cuda_templateIN3c104HalfEEESt5tupleIJNSH_6TensorESO_SO_EERKSO_lbbbEUlllE0_EEPmJS6_EEE10hipError_tPvRmT3_T4_T5_T6_T7_T9_mT8_P12ihipStream_tbDpT10_ENKUlT_T0_E_clISt17integral_constantIbLb1EES1D_IbLb0EEEEDaS19_S1A_EUlS19_E_NS1_11comp_targetILNS1_3genE8ELNS1_11target_archE1030ELNS1_3gpuE2ELNS1_3repE0EEENS1_30default_config_static_selectorELNS0_4arch9wavefront6targetE0EEEvT1_
		.amdhsa_group_segment_fixed_size 0
		.amdhsa_private_segment_fixed_size 0
		.amdhsa_kernarg_size 120
		.amdhsa_user_sgpr_count 15
		.amdhsa_user_sgpr_dispatch_ptr 0
		.amdhsa_user_sgpr_queue_ptr 0
		.amdhsa_user_sgpr_kernarg_segment_ptr 1
		.amdhsa_user_sgpr_dispatch_id 0
		.amdhsa_user_sgpr_private_segment_size 0
		.amdhsa_wavefront_size32 1
		.amdhsa_uses_dynamic_stack 0
		.amdhsa_enable_private_segment 0
		.amdhsa_system_sgpr_workgroup_id_x 1
		.amdhsa_system_sgpr_workgroup_id_y 0
		.amdhsa_system_sgpr_workgroup_id_z 0
		.amdhsa_system_sgpr_workgroup_info 0
		.amdhsa_system_vgpr_workitem_id 0
		.amdhsa_next_free_vgpr 1
		.amdhsa_next_free_sgpr 1
		.amdhsa_reserve_vcc 0
		.amdhsa_float_round_mode_32 0
		.amdhsa_float_round_mode_16_64 0
		.amdhsa_float_denorm_mode_32 3
		.amdhsa_float_denorm_mode_16_64 3
		.amdhsa_dx10_clamp 1
		.amdhsa_ieee_mode 1
		.amdhsa_fp16_overflow 0
		.amdhsa_workgroup_processor_mode 1
		.amdhsa_memory_ordered 1
		.amdhsa_forward_progress 0
		.amdhsa_shared_vgpr_count 0
		.amdhsa_exception_fp_ieee_invalid_op 0
		.amdhsa_exception_fp_denorm_src 0
		.amdhsa_exception_fp_ieee_div_zero 0
		.amdhsa_exception_fp_ieee_overflow 0
		.amdhsa_exception_fp_ieee_underflow 0
		.amdhsa_exception_fp_ieee_inexact 0
		.amdhsa_exception_int_div_zero 0
	.end_amdhsa_kernel
	.section	.text._ZN7rocprim17ROCPRIM_400000_NS6detail17trampoline_kernelINS0_14default_configENS1_25partition_config_selectorILNS1_17partition_subalgoE8ElNS0_10empty_typeEbEEZZNS1_14partition_implILS5_8ELb0ES3_jPlPS6_PKS6_NS0_5tupleIJS9_S6_EEENSD_IJSA_SA_EEENS0_18inequality_wrapperIZN2at6native12_GLOBAL__N_124unique_dim_cuda_templateIN3c104HalfEEESt5tupleIJNSH_6TensorESO_SO_EERKSO_lbbbEUlllE0_EEPmJS6_EEE10hipError_tPvRmT3_T4_T5_T6_T7_T9_mT8_P12ihipStream_tbDpT10_ENKUlT_T0_E_clISt17integral_constantIbLb1EES1D_IbLb0EEEEDaS19_S1A_EUlS19_E_NS1_11comp_targetILNS1_3genE8ELNS1_11target_archE1030ELNS1_3gpuE2ELNS1_3repE0EEENS1_30default_config_static_selectorELNS0_4arch9wavefront6targetE0EEEvT1_,"axG",@progbits,_ZN7rocprim17ROCPRIM_400000_NS6detail17trampoline_kernelINS0_14default_configENS1_25partition_config_selectorILNS1_17partition_subalgoE8ElNS0_10empty_typeEbEEZZNS1_14partition_implILS5_8ELb0ES3_jPlPS6_PKS6_NS0_5tupleIJS9_S6_EEENSD_IJSA_SA_EEENS0_18inequality_wrapperIZN2at6native12_GLOBAL__N_124unique_dim_cuda_templateIN3c104HalfEEESt5tupleIJNSH_6TensorESO_SO_EERKSO_lbbbEUlllE0_EEPmJS6_EEE10hipError_tPvRmT3_T4_T5_T6_T7_T9_mT8_P12ihipStream_tbDpT10_ENKUlT_T0_E_clISt17integral_constantIbLb1EES1D_IbLb0EEEEDaS19_S1A_EUlS19_E_NS1_11comp_targetILNS1_3genE8ELNS1_11target_archE1030ELNS1_3gpuE2ELNS1_3repE0EEENS1_30default_config_static_selectorELNS0_4arch9wavefront6targetE0EEEvT1_,comdat
.Lfunc_end1318:
	.size	_ZN7rocprim17ROCPRIM_400000_NS6detail17trampoline_kernelINS0_14default_configENS1_25partition_config_selectorILNS1_17partition_subalgoE8ElNS0_10empty_typeEbEEZZNS1_14partition_implILS5_8ELb0ES3_jPlPS6_PKS6_NS0_5tupleIJS9_S6_EEENSD_IJSA_SA_EEENS0_18inequality_wrapperIZN2at6native12_GLOBAL__N_124unique_dim_cuda_templateIN3c104HalfEEESt5tupleIJNSH_6TensorESO_SO_EERKSO_lbbbEUlllE0_EEPmJS6_EEE10hipError_tPvRmT3_T4_T5_T6_T7_T9_mT8_P12ihipStream_tbDpT10_ENKUlT_T0_E_clISt17integral_constantIbLb1EES1D_IbLb0EEEEDaS19_S1A_EUlS19_E_NS1_11comp_targetILNS1_3genE8ELNS1_11target_archE1030ELNS1_3gpuE2ELNS1_3repE0EEENS1_30default_config_static_selectorELNS0_4arch9wavefront6targetE0EEEvT1_, .Lfunc_end1318-_ZN7rocprim17ROCPRIM_400000_NS6detail17trampoline_kernelINS0_14default_configENS1_25partition_config_selectorILNS1_17partition_subalgoE8ElNS0_10empty_typeEbEEZZNS1_14partition_implILS5_8ELb0ES3_jPlPS6_PKS6_NS0_5tupleIJS9_S6_EEENSD_IJSA_SA_EEENS0_18inequality_wrapperIZN2at6native12_GLOBAL__N_124unique_dim_cuda_templateIN3c104HalfEEESt5tupleIJNSH_6TensorESO_SO_EERKSO_lbbbEUlllE0_EEPmJS6_EEE10hipError_tPvRmT3_T4_T5_T6_T7_T9_mT8_P12ihipStream_tbDpT10_ENKUlT_T0_E_clISt17integral_constantIbLb1EES1D_IbLb0EEEEDaS19_S1A_EUlS19_E_NS1_11comp_targetILNS1_3genE8ELNS1_11target_archE1030ELNS1_3gpuE2ELNS1_3repE0EEENS1_30default_config_static_selectorELNS0_4arch9wavefront6targetE0EEEvT1_
                                        ; -- End function
	.section	.AMDGPU.csdata,"",@progbits
; Kernel info:
; codeLenInByte = 0
; NumSgprs: 0
; NumVgprs: 0
; ScratchSize: 0
; MemoryBound: 0
; FloatMode: 240
; IeeeMode: 1
; LDSByteSize: 0 bytes/workgroup (compile time only)
; SGPRBlocks: 0
; VGPRBlocks: 0
; NumSGPRsForWavesPerEU: 1
; NumVGPRsForWavesPerEU: 1
; Occupancy: 16
; WaveLimiterHint : 0
; COMPUTE_PGM_RSRC2:SCRATCH_EN: 0
; COMPUTE_PGM_RSRC2:USER_SGPR: 15
; COMPUTE_PGM_RSRC2:TRAP_HANDLER: 0
; COMPUTE_PGM_RSRC2:TGID_X_EN: 1
; COMPUTE_PGM_RSRC2:TGID_Y_EN: 0
; COMPUTE_PGM_RSRC2:TGID_Z_EN: 0
; COMPUTE_PGM_RSRC2:TIDIG_COMP_CNT: 0
	.section	.text._ZN7rocprim17ROCPRIM_400000_NS6detail17trampoline_kernelINS0_14default_configENS1_25partition_config_selectorILNS1_17partition_subalgoE8ElNS0_10empty_typeEbEEZZNS1_14partition_implILS5_8ELb0ES3_jPlPS6_PKS6_NS0_5tupleIJS9_S6_EEENSD_IJSA_SA_EEENS0_18inequality_wrapperIZN2at6native12_GLOBAL__N_124unique_dim_cuda_templateIN3c104HalfEEESt5tupleIJNSH_6TensorESO_SO_EERKSO_lbbbEUlllE0_EEPmJS6_EEE10hipError_tPvRmT3_T4_T5_T6_T7_T9_mT8_P12ihipStream_tbDpT10_ENKUlT_T0_E_clISt17integral_constantIbLb0EES1D_IbLb1EEEEDaS19_S1A_EUlS19_E_NS1_11comp_targetILNS1_3genE0ELNS1_11target_archE4294967295ELNS1_3gpuE0ELNS1_3repE0EEENS1_30default_config_static_selectorELNS0_4arch9wavefront6targetE0EEEvT1_,"axG",@progbits,_ZN7rocprim17ROCPRIM_400000_NS6detail17trampoline_kernelINS0_14default_configENS1_25partition_config_selectorILNS1_17partition_subalgoE8ElNS0_10empty_typeEbEEZZNS1_14partition_implILS5_8ELb0ES3_jPlPS6_PKS6_NS0_5tupleIJS9_S6_EEENSD_IJSA_SA_EEENS0_18inequality_wrapperIZN2at6native12_GLOBAL__N_124unique_dim_cuda_templateIN3c104HalfEEESt5tupleIJNSH_6TensorESO_SO_EERKSO_lbbbEUlllE0_EEPmJS6_EEE10hipError_tPvRmT3_T4_T5_T6_T7_T9_mT8_P12ihipStream_tbDpT10_ENKUlT_T0_E_clISt17integral_constantIbLb0EES1D_IbLb1EEEEDaS19_S1A_EUlS19_E_NS1_11comp_targetILNS1_3genE0ELNS1_11target_archE4294967295ELNS1_3gpuE0ELNS1_3repE0EEENS1_30default_config_static_selectorELNS0_4arch9wavefront6targetE0EEEvT1_,comdat
	.globl	_ZN7rocprim17ROCPRIM_400000_NS6detail17trampoline_kernelINS0_14default_configENS1_25partition_config_selectorILNS1_17partition_subalgoE8ElNS0_10empty_typeEbEEZZNS1_14partition_implILS5_8ELb0ES3_jPlPS6_PKS6_NS0_5tupleIJS9_S6_EEENSD_IJSA_SA_EEENS0_18inequality_wrapperIZN2at6native12_GLOBAL__N_124unique_dim_cuda_templateIN3c104HalfEEESt5tupleIJNSH_6TensorESO_SO_EERKSO_lbbbEUlllE0_EEPmJS6_EEE10hipError_tPvRmT3_T4_T5_T6_T7_T9_mT8_P12ihipStream_tbDpT10_ENKUlT_T0_E_clISt17integral_constantIbLb0EES1D_IbLb1EEEEDaS19_S1A_EUlS19_E_NS1_11comp_targetILNS1_3genE0ELNS1_11target_archE4294967295ELNS1_3gpuE0ELNS1_3repE0EEENS1_30default_config_static_selectorELNS0_4arch9wavefront6targetE0EEEvT1_ ; -- Begin function _ZN7rocprim17ROCPRIM_400000_NS6detail17trampoline_kernelINS0_14default_configENS1_25partition_config_selectorILNS1_17partition_subalgoE8ElNS0_10empty_typeEbEEZZNS1_14partition_implILS5_8ELb0ES3_jPlPS6_PKS6_NS0_5tupleIJS9_S6_EEENSD_IJSA_SA_EEENS0_18inequality_wrapperIZN2at6native12_GLOBAL__N_124unique_dim_cuda_templateIN3c104HalfEEESt5tupleIJNSH_6TensorESO_SO_EERKSO_lbbbEUlllE0_EEPmJS6_EEE10hipError_tPvRmT3_T4_T5_T6_T7_T9_mT8_P12ihipStream_tbDpT10_ENKUlT_T0_E_clISt17integral_constantIbLb0EES1D_IbLb1EEEEDaS19_S1A_EUlS19_E_NS1_11comp_targetILNS1_3genE0ELNS1_11target_archE4294967295ELNS1_3gpuE0ELNS1_3repE0EEENS1_30default_config_static_selectorELNS0_4arch9wavefront6targetE0EEEvT1_
	.p2align	8
	.type	_ZN7rocprim17ROCPRIM_400000_NS6detail17trampoline_kernelINS0_14default_configENS1_25partition_config_selectorILNS1_17partition_subalgoE8ElNS0_10empty_typeEbEEZZNS1_14partition_implILS5_8ELb0ES3_jPlPS6_PKS6_NS0_5tupleIJS9_S6_EEENSD_IJSA_SA_EEENS0_18inequality_wrapperIZN2at6native12_GLOBAL__N_124unique_dim_cuda_templateIN3c104HalfEEESt5tupleIJNSH_6TensorESO_SO_EERKSO_lbbbEUlllE0_EEPmJS6_EEE10hipError_tPvRmT3_T4_T5_T6_T7_T9_mT8_P12ihipStream_tbDpT10_ENKUlT_T0_E_clISt17integral_constantIbLb0EES1D_IbLb1EEEEDaS19_S1A_EUlS19_E_NS1_11comp_targetILNS1_3genE0ELNS1_11target_archE4294967295ELNS1_3gpuE0ELNS1_3repE0EEENS1_30default_config_static_selectorELNS0_4arch9wavefront6targetE0EEEvT1_,@function
_ZN7rocprim17ROCPRIM_400000_NS6detail17trampoline_kernelINS0_14default_configENS1_25partition_config_selectorILNS1_17partition_subalgoE8ElNS0_10empty_typeEbEEZZNS1_14partition_implILS5_8ELb0ES3_jPlPS6_PKS6_NS0_5tupleIJS9_S6_EEENSD_IJSA_SA_EEENS0_18inequality_wrapperIZN2at6native12_GLOBAL__N_124unique_dim_cuda_templateIN3c104HalfEEESt5tupleIJNSH_6TensorESO_SO_EERKSO_lbbbEUlllE0_EEPmJS6_EEE10hipError_tPvRmT3_T4_T5_T6_T7_T9_mT8_P12ihipStream_tbDpT10_ENKUlT_T0_E_clISt17integral_constantIbLb0EES1D_IbLb1EEEEDaS19_S1A_EUlS19_E_NS1_11comp_targetILNS1_3genE0ELNS1_11target_archE4294967295ELNS1_3gpuE0ELNS1_3repE0EEENS1_30default_config_static_selectorELNS0_4arch9wavefront6targetE0EEEvT1_: ; @_ZN7rocprim17ROCPRIM_400000_NS6detail17trampoline_kernelINS0_14default_configENS1_25partition_config_selectorILNS1_17partition_subalgoE8ElNS0_10empty_typeEbEEZZNS1_14partition_implILS5_8ELb0ES3_jPlPS6_PKS6_NS0_5tupleIJS9_S6_EEENSD_IJSA_SA_EEENS0_18inequality_wrapperIZN2at6native12_GLOBAL__N_124unique_dim_cuda_templateIN3c104HalfEEESt5tupleIJNSH_6TensorESO_SO_EERKSO_lbbbEUlllE0_EEPmJS6_EEE10hipError_tPvRmT3_T4_T5_T6_T7_T9_mT8_P12ihipStream_tbDpT10_ENKUlT_T0_E_clISt17integral_constantIbLb0EES1D_IbLb1EEEEDaS19_S1A_EUlS19_E_NS1_11comp_targetILNS1_3genE0ELNS1_11target_archE4294967295ELNS1_3gpuE0ELNS1_3repE0EEENS1_30default_config_static_selectorELNS0_4arch9wavefront6targetE0EEEvT1_
; %bb.0:
	.section	.rodata,"a",@progbits
	.p2align	6, 0x0
	.amdhsa_kernel _ZN7rocprim17ROCPRIM_400000_NS6detail17trampoline_kernelINS0_14default_configENS1_25partition_config_selectorILNS1_17partition_subalgoE8ElNS0_10empty_typeEbEEZZNS1_14partition_implILS5_8ELb0ES3_jPlPS6_PKS6_NS0_5tupleIJS9_S6_EEENSD_IJSA_SA_EEENS0_18inequality_wrapperIZN2at6native12_GLOBAL__N_124unique_dim_cuda_templateIN3c104HalfEEESt5tupleIJNSH_6TensorESO_SO_EERKSO_lbbbEUlllE0_EEPmJS6_EEE10hipError_tPvRmT3_T4_T5_T6_T7_T9_mT8_P12ihipStream_tbDpT10_ENKUlT_T0_E_clISt17integral_constantIbLb0EES1D_IbLb1EEEEDaS19_S1A_EUlS19_E_NS1_11comp_targetILNS1_3genE0ELNS1_11target_archE4294967295ELNS1_3gpuE0ELNS1_3repE0EEENS1_30default_config_static_selectorELNS0_4arch9wavefront6targetE0EEEvT1_
		.amdhsa_group_segment_fixed_size 0
		.amdhsa_private_segment_fixed_size 0
		.amdhsa_kernarg_size 136
		.amdhsa_user_sgpr_count 15
		.amdhsa_user_sgpr_dispatch_ptr 0
		.amdhsa_user_sgpr_queue_ptr 0
		.amdhsa_user_sgpr_kernarg_segment_ptr 1
		.amdhsa_user_sgpr_dispatch_id 0
		.amdhsa_user_sgpr_private_segment_size 0
		.amdhsa_wavefront_size32 1
		.amdhsa_uses_dynamic_stack 0
		.amdhsa_enable_private_segment 0
		.amdhsa_system_sgpr_workgroup_id_x 1
		.amdhsa_system_sgpr_workgroup_id_y 0
		.amdhsa_system_sgpr_workgroup_id_z 0
		.amdhsa_system_sgpr_workgroup_info 0
		.amdhsa_system_vgpr_workitem_id 0
		.amdhsa_next_free_vgpr 1
		.amdhsa_next_free_sgpr 1
		.amdhsa_reserve_vcc 0
		.amdhsa_float_round_mode_32 0
		.amdhsa_float_round_mode_16_64 0
		.amdhsa_float_denorm_mode_32 3
		.amdhsa_float_denorm_mode_16_64 3
		.amdhsa_dx10_clamp 1
		.amdhsa_ieee_mode 1
		.amdhsa_fp16_overflow 0
		.amdhsa_workgroup_processor_mode 1
		.amdhsa_memory_ordered 1
		.amdhsa_forward_progress 0
		.amdhsa_shared_vgpr_count 0
		.amdhsa_exception_fp_ieee_invalid_op 0
		.amdhsa_exception_fp_denorm_src 0
		.amdhsa_exception_fp_ieee_div_zero 0
		.amdhsa_exception_fp_ieee_overflow 0
		.amdhsa_exception_fp_ieee_underflow 0
		.amdhsa_exception_fp_ieee_inexact 0
		.amdhsa_exception_int_div_zero 0
	.end_amdhsa_kernel
	.section	.text._ZN7rocprim17ROCPRIM_400000_NS6detail17trampoline_kernelINS0_14default_configENS1_25partition_config_selectorILNS1_17partition_subalgoE8ElNS0_10empty_typeEbEEZZNS1_14partition_implILS5_8ELb0ES3_jPlPS6_PKS6_NS0_5tupleIJS9_S6_EEENSD_IJSA_SA_EEENS0_18inequality_wrapperIZN2at6native12_GLOBAL__N_124unique_dim_cuda_templateIN3c104HalfEEESt5tupleIJNSH_6TensorESO_SO_EERKSO_lbbbEUlllE0_EEPmJS6_EEE10hipError_tPvRmT3_T4_T5_T6_T7_T9_mT8_P12ihipStream_tbDpT10_ENKUlT_T0_E_clISt17integral_constantIbLb0EES1D_IbLb1EEEEDaS19_S1A_EUlS19_E_NS1_11comp_targetILNS1_3genE0ELNS1_11target_archE4294967295ELNS1_3gpuE0ELNS1_3repE0EEENS1_30default_config_static_selectorELNS0_4arch9wavefront6targetE0EEEvT1_,"axG",@progbits,_ZN7rocprim17ROCPRIM_400000_NS6detail17trampoline_kernelINS0_14default_configENS1_25partition_config_selectorILNS1_17partition_subalgoE8ElNS0_10empty_typeEbEEZZNS1_14partition_implILS5_8ELb0ES3_jPlPS6_PKS6_NS0_5tupleIJS9_S6_EEENSD_IJSA_SA_EEENS0_18inequality_wrapperIZN2at6native12_GLOBAL__N_124unique_dim_cuda_templateIN3c104HalfEEESt5tupleIJNSH_6TensorESO_SO_EERKSO_lbbbEUlllE0_EEPmJS6_EEE10hipError_tPvRmT3_T4_T5_T6_T7_T9_mT8_P12ihipStream_tbDpT10_ENKUlT_T0_E_clISt17integral_constantIbLb0EES1D_IbLb1EEEEDaS19_S1A_EUlS19_E_NS1_11comp_targetILNS1_3genE0ELNS1_11target_archE4294967295ELNS1_3gpuE0ELNS1_3repE0EEENS1_30default_config_static_selectorELNS0_4arch9wavefront6targetE0EEEvT1_,comdat
.Lfunc_end1319:
	.size	_ZN7rocprim17ROCPRIM_400000_NS6detail17trampoline_kernelINS0_14default_configENS1_25partition_config_selectorILNS1_17partition_subalgoE8ElNS0_10empty_typeEbEEZZNS1_14partition_implILS5_8ELb0ES3_jPlPS6_PKS6_NS0_5tupleIJS9_S6_EEENSD_IJSA_SA_EEENS0_18inequality_wrapperIZN2at6native12_GLOBAL__N_124unique_dim_cuda_templateIN3c104HalfEEESt5tupleIJNSH_6TensorESO_SO_EERKSO_lbbbEUlllE0_EEPmJS6_EEE10hipError_tPvRmT3_T4_T5_T6_T7_T9_mT8_P12ihipStream_tbDpT10_ENKUlT_T0_E_clISt17integral_constantIbLb0EES1D_IbLb1EEEEDaS19_S1A_EUlS19_E_NS1_11comp_targetILNS1_3genE0ELNS1_11target_archE4294967295ELNS1_3gpuE0ELNS1_3repE0EEENS1_30default_config_static_selectorELNS0_4arch9wavefront6targetE0EEEvT1_, .Lfunc_end1319-_ZN7rocprim17ROCPRIM_400000_NS6detail17trampoline_kernelINS0_14default_configENS1_25partition_config_selectorILNS1_17partition_subalgoE8ElNS0_10empty_typeEbEEZZNS1_14partition_implILS5_8ELb0ES3_jPlPS6_PKS6_NS0_5tupleIJS9_S6_EEENSD_IJSA_SA_EEENS0_18inequality_wrapperIZN2at6native12_GLOBAL__N_124unique_dim_cuda_templateIN3c104HalfEEESt5tupleIJNSH_6TensorESO_SO_EERKSO_lbbbEUlllE0_EEPmJS6_EEE10hipError_tPvRmT3_T4_T5_T6_T7_T9_mT8_P12ihipStream_tbDpT10_ENKUlT_T0_E_clISt17integral_constantIbLb0EES1D_IbLb1EEEEDaS19_S1A_EUlS19_E_NS1_11comp_targetILNS1_3genE0ELNS1_11target_archE4294967295ELNS1_3gpuE0ELNS1_3repE0EEENS1_30default_config_static_selectorELNS0_4arch9wavefront6targetE0EEEvT1_
                                        ; -- End function
	.section	.AMDGPU.csdata,"",@progbits
; Kernel info:
; codeLenInByte = 0
; NumSgprs: 0
; NumVgprs: 0
; ScratchSize: 0
; MemoryBound: 0
; FloatMode: 240
; IeeeMode: 1
; LDSByteSize: 0 bytes/workgroup (compile time only)
; SGPRBlocks: 0
; VGPRBlocks: 0
; NumSGPRsForWavesPerEU: 1
; NumVGPRsForWavesPerEU: 1
; Occupancy: 16
; WaveLimiterHint : 0
; COMPUTE_PGM_RSRC2:SCRATCH_EN: 0
; COMPUTE_PGM_RSRC2:USER_SGPR: 15
; COMPUTE_PGM_RSRC2:TRAP_HANDLER: 0
; COMPUTE_PGM_RSRC2:TGID_X_EN: 1
; COMPUTE_PGM_RSRC2:TGID_Y_EN: 0
; COMPUTE_PGM_RSRC2:TGID_Z_EN: 0
; COMPUTE_PGM_RSRC2:TIDIG_COMP_CNT: 0
	.section	.text._ZN7rocprim17ROCPRIM_400000_NS6detail17trampoline_kernelINS0_14default_configENS1_25partition_config_selectorILNS1_17partition_subalgoE8ElNS0_10empty_typeEbEEZZNS1_14partition_implILS5_8ELb0ES3_jPlPS6_PKS6_NS0_5tupleIJS9_S6_EEENSD_IJSA_SA_EEENS0_18inequality_wrapperIZN2at6native12_GLOBAL__N_124unique_dim_cuda_templateIN3c104HalfEEESt5tupleIJNSH_6TensorESO_SO_EERKSO_lbbbEUlllE0_EEPmJS6_EEE10hipError_tPvRmT3_T4_T5_T6_T7_T9_mT8_P12ihipStream_tbDpT10_ENKUlT_T0_E_clISt17integral_constantIbLb0EES1D_IbLb1EEEEDaS19_S1A_EUlS19_E_NS1_11comp_targetILNS1_3genE5ELNS1_11target_archE942ELNS1_3gpuE9ELNS1_3repE0EEENS1_30default_config_static_selectorELNS0_4arch9wavefront6targetE0EEEvT1_,"axG",@progbits,_ZN7rocprim17ROCPRIM_400000_NS6detail17trampoline_kernelINS0_14default_configENS1_25partition_config_selectorILNS1_17partition_subalgoE8ElNS0_10empty_typeEbEEZZNS1_14partition_implILS5_8ELb0ES3_jPlPS6_PKS6_NS0_5tupleIJS9_S6_EEENSD_IJSA_SA_EEENS0_18inequality_wrapperIZN2at6native12_GLOBAL__N_124unique_dim_cuda_templateIN3c104HalfEEESt5tupleIJNSH_6TensorESO_SO_EERKSO_lbbbEUlllE0_EEPmJS6_EEE10hipError_tPvRmT3_T4_T5_T6_T7_T9_mT8_P12ihipStream_tbDpT10_ENKUlT_T0_E_clISt17integral_constantIbLb0EES1D_IbLb1EEEEDaS19_S1A_EUlS19_E_NS1_11comp_targetILNS1_3genE5ELNS1_11target_archE942ELNS1_3gpuE9ELNS1_3repE0EEENS1_30default_config_static_selectorELNS0_4arch9wavefront6targetE0EEEvT1_,comdat
	.globl	_ZN7rocprim17ROCPRIM_400000_NS6detail17trampoline_kernelINS0_14default_configENS1_25partition_config_selectorILNS1_17partition_subalgoE8ElNS0_10empty_typeEbEEZZNS1_14partition_implILS5_8ELb0ES3_jPlPS6_PKS6_NS0_5tupleIJS9_S6_EEENSD_IJSA_SA_EEENS0_18inequality_wrapperIZN2at6native12_GLOBAL__N_124unique_dim_cuda_templateIN3c104HalfEEESt5tupleIJNSH_6TensorESO_SO_EERKSO_lbbbEUlllE0_EEPmJS6_EEE10hipError_tPvRmT3_T4_T5_T6_T7_T9_mT8_P12ihipStream_tbDpT10_ENKUlT_T0_E_clISt17integral_constantIbLb0EES1D_IbLb1EEEEDaS19_S1A_EUlS19_E_NS1_11comp_targetILNS1_3genE5ELNS1_11target_archE942ELNS1_3gpuE9ELNS1_3repE0EEENS1_30default_config_static_selectorELNS0_4arch9wavefront6targetE0EEEvT1_ ; -- Begin function _ZN7rocprim17ROCPRIM_400000_NS6detail17trampoline_kernelINS0_14default_configENS1_25partition_config_selectorILNS1_17partition_subalgoE8ElNS0_10empty_typeEbEEZZNS1_14partition_implILS5_8ELb0ES3_jPlPS6_PKS6_NS0_5tupleIJS9_S6_EEENSD_IJSA_SA_EEENS0_18inequality_wrapperIZN2at6native12_GLOBAL__N_124unique_dim_cuda_templateIN3c104HalfEEESt5tupleIJNSH_6TensorESO_SO_EERKSO_lbbbEUlllE0_EEPmJS6_EEE10hipError_tPvRmT3_T4_T5_T6_T7_T9_mT8_P12ihipStream_tbDpT10_ENKUlT_T0_E_clISt17integral_constantIbLb0EES1D_IbLb1EEEEDaS19_S1A_EUlS19_E_NS1_11comp_targetILNS1_3genE5ELNS1_11target_archE942ELNS1_3gpuE9ELNS1_3repE0EEENS1_30default_config_static_selectorELNS0_4arch9wavefront6targetE0EEEvT1_
	.p2align	8
	.type	_ZN7rocprim17ROCPRIM_400000_NS6detail17trampoline_kernelINS0_14default_configENS1_25partition_config_selectorILNS1_17partition_subalgoE8ElNS0_10empty_typeEbEEZZNS1_14partition_implILS5_8ELb0ES3_jPlPS6_PKS6_NS0_5tupleIJS9_S6_EEENSD_IJSA_SA_EEENS0_18inequality_wrapperIZN2at6native12_GLOBAL__N_124unique_dim_cuda_templateIN3c104HalfEEESt5tupleIJNSH_6TensorESO_SO_EERKSO_lbbbEUlllE0_EEPmJS6_EEE10hipError_tPvRmT3_T4_T5_T6_T7_T9_mT8_P12ihipStream_tbDpT10_ENKUlT_T0_E_clISt17integral_constantIbLb0EES1D_IbLb1EEEEDaS19_S1A_EUlS19_E_NS1_11comp_targetILNS1_3genE5ELNS1_11target_archE942ELNS1_3gpuE9ELNS1_3repE0EEENS1_30default_config_static_selectorELNS0_4arch9wavefront6targetE0EEEvT1_,@function
_ZN7rocprim17ROCPRIM_400000_NS6detail17trampoline_kernelINS0_14default_configENS1_25partition_config_selectorILNS1_17partition_subalgoE8ElNS0_10empty_typeEbEEZZNS1_14partition_implILS5_8ELb0ES3_jPlPS6_PKS6_NS0_5tupleIJS9_S6_EEENSD_IJSA_SA_EEENS0_18inequality_wrapperIZN2at6native12_GLOBAL__N_124unique_dim_cuda_templateIN3c104HalfEEESt5tupleIJNSH_6TensorESO_SO_EERKSO_lbbbEUlllE0_EEPmJS6_EEE10hipError_tPvRmT3_T4_T5_T6_T7_T9_mT8_P12ihipStream_tbDpT10_ENKUlT_T0_E_clISt17integral_constantIbLb0EES1D_IbLb1EEEEDaS19_S1A_EUlS19_E_NS1_11comp_targetILNS1_3genE5ELNS1_11target_archE942ELNS1_3gpuE9ELNS1_3repE0EEENS1_30default_config_static_selectorELNS0_4arch9wavefront6targetE0EEEvT1_: ; @_ZN7rocprim17ROCPRIM_400000_NS6detail17trampoline_kernelINS0_14default_configENS1_25partition_config_selectorILNS1_17partition_subalgoE8ElNS0_10empty_typeEbEEZZNS1_14partition_implILS5_8ELb0ES3_jPlPS6_PKS6_NS0_5tupleIJS9_S6_EEENSD_IJSA_SA_EEENS0_18inequality_wrapperIZN2at6native12_GLOBAL__N_124unique_dim_cuda_templateIN3c104HalfEEESt5tupleIJNSH_6TensorESO_SO_EERKSO_lbbbEUlllE0_EEPmJS6_EEE10hipError_tPvRmT3_T4_T5_T6_T7_T9_mT8_P12ihipStream_tbDpT10_ENKUlT_T0_E_clISt17integral_constantIbLb0EES1D_IbLb1EEEEDaS19_S1A_EUlS19_E_NS1_11comp_targetILNS1_3genE5ELNS1_11target_archE942ELNS1_3gpuE9ELNS1_3repE0EEENS1_30default_config_static_selectorELNS0_4arch9wavefront6targetE0EEEvT1_
; %bb.0:
	.section	.rodata,"a",@progbits
	.p2align	6, 0x0
	.amdhsa_kernel _ZN7rocprim17ROCPRIM_400000_NS6detail17trampoline_kernelINS0_14default_configENS1_25partition_config_selectorILNS1_17partition_subalgoE8ElNS0_10empty_typeEbEEZZNS1_14partition_implILS5_8ELb0ES3_jPlPS6_PKS6_NS0_5tupleIJS9_S6_EEENSD_IJSA_SA_EEENS0_18inequality_wrapperIZN2at6native12_GLOBAL__N_124unique_dim_cuda_templateIN3c104HalfEEESt5tupleIJNSH_6TensorESO_SO_EERKSO_lbbbEUlllE0_EEPmJS6_EEE10hipError_tPvRmT3_T4_T5_T6_T7_T9_mT8_P12ihipStream_tbDpT10_ENKUlT_T0_E_clISt17integral_constantIbLb0EES1D_IbLb1EEEEDaS19_S1A_EUlS19_E_NS1_11comp_targetILNS1_3genE5ELNS1_11target_archE942ELNS1_3gpuE9ELNS1_3repE0EEENS1_30default_config_static_selectorELNS0_4arch9wavefront6targetE0EEEvT1_
		.amdhsa_group_segment_fixed_size 0
		.amdhsa_private_segment_fixed_size 0
		.amdhsa_kernarg_size 136
		.amdhsa_user_sgpr_count 15
		.amdhsa_user_sgpr_dispatch_ptr 0
		.amdhsa_user_sgpr_queue_ptr 0
		.amdhsa_user_sgpr_kernarg_segment_ptr 1
		.amdhsa_user_sgpr_dispatch_id 0
		.amdhsa_user_sgpr_private_segment_size 0
		.amdhsa_wavefront_size32 1
		.amdhsa_uses_dynamic_stack 0
		.amdhsa_enable_private_segment 0
		.amdhsa_system_sgpr_workgroup_id_x 1
		.amdhsa_system_sgpr_workgroup_id_y 0
		.amdhsa_system_sgpr_workgroup_id_z 0
		.amdhsa_system_sgpr_workgroup_info 0
		.amdhsa_system_vgpr_workitem_id 0
		.amdhsa_next_free_vgpr 1
		.amdhsa_next_free_sgpr 1
		.amdhsa_reserve_vcc 0
		.amdhsa_float_round_mode_32 0
		.amdhsa_float_round_mode_16_64 0
		.amdhsa_float_denorm_mode_32 3
		.amdhsa_float_denorm_mode_16_64 3
		.amdhsa_dx10_clamp 1
		.amdhsa_ieee_mode 1
		.amdhsa_fp16_overflow 0
		.amdhsa_workgroup_processor_mode 1
		.amdhsa_memory_ordered 1
		.amdhsa_forward_progress 0
		.amdhsa_shared_vgpr_count 0
		.amdhsa_exception_fp_ieee_invalid_op 0
		.amdhsa_exception_fp_denorm_src 0
		.amdhsa_exception_fp_ieee_div_zero 0
		.amdhsa_exception_fp_ieee_overflow 0
		.amdhsa_exception_fp_ieee_underflow 0
		.amdhsa_exception_fp_ieee_inexact 0
		.amdhsa_exception_int_div_zero 0
	.end_amdhsa_kernel
	.section	.text._ZN7rocprim17ROCPRIM_400000_NS6detail17trampoline_kernelINS0_14default_configENS1_25partition_config_selectorILNS1_17partition_subalgoE8ElNS0_10empty_typeEbEEZZNS1_14partition_implILS5_8ELb0ES3_jPlPS6_PKS6_NS0_5tupleIJS9_S6_EEENSD_IJSA_SA_EEENS0_18inequality_wrapperIZN2at6native12_GLOBAL__N_124unique_dim_cuda_templateIN3c104HalfEEESt5tupleIJNSH_6TensorESO_SO_EERKSO_lbbbEUlllE0_EEPmJS6_EEE10hipError_tPvRmT3_T4_T5_T6_T7_T9_mT8_P12ihipStream_tbDpT10_ENKUlT_T0_E_clISt17integral_constantIbLb0EES1D_IbLb1EEEEDaS19_S1A_EUlS19_E_NS1_11comp_targetILNS1_3genE5ELNS1_11target_archE942ELNS1_3gpuE9ELNS1_3repE0EEENS1_30default_config_static_selectorELNS0_4arch9wavefront6targetE0EEEvT1_,"axG",@progbits,_ZN7rocprim17ROCPRIM_400000_NS6detail17trampoline_kernelINS0_14default_configENS1_25partition_config_selectorILNS1_17partition_subalgoE8ElNS0_10empty_typeEbEEZZNS1_14partition_implILS5_8ELb0ES3_jPlPS6_PKS6_NS0_5tupleIJS9_S6_EEENSD_IJSA_SA_EEENS0_18inequality_wrapperIZN2at6native12_GLOBAL__N_124unique_dim_cuda_templateIN3c104HalfEEESt5tupleIJNSH_6TensorESO_SO_EERKSO_lbbbEUlllE0_EEPmJS6_EEE10hipError_tPvRmT3_T4_T5_T6_T7_T9_mT8_P12ihipStream_tbDpT10_ENKUlT_T0_E_clISt17integral_constantIbLb0EES1D_IbLb1EEEEDaS19_S1A_EUlS19_E_NS1_11comp_targetILNS1_3genE5ELNS1_11target_archE942ELNS1_3gpuE9ELNS1_3repE0EEENS1_30default_config_static_selectorELNS0_4arch9wavefront6targetE0EEEvT1_,comdat
.Lfunc_end1320:
	.size	_ZN7rocprim17ROCPRIM_400000_NS6detail17trampoline_kernelINS0_14default_configENS1_25partition_config_selectorILNS1_17partition_subalgoE8ElNS0_10empty_typeEbEEZZNS1_14partition_implILS5_8ELb0ES3_jPlPS6_PKS6_NS0_5tupleIJS9_S6_EEENSD_IJSA_SA_EEENS0_18inequality_wrapperIZN2at6native12_GLOBAL__N_124unique_dim_cuda_templateIN3c104HalfEEESt5tupleIJNSH_6TensorESO_SO_EERKSO_lbbbEUlllE0_EEPmJS6_EEE10hipError_tPvRmT3_T4_T5_T6_T7_T9_mT8_P12ihipStream_tbDpT10_ENKUlT_T0_E_clISt17integral_constantIbLb0EES1D_IbLb1EEEEDaS19_S1A_EUlS19_E_NS1_11comp_targetILNS1_3genE5ELNS1_11target_archE942ELNS1_3gpuE9ELNS1_3repE0EEENS1_30default_config_static_selectorELNS0_4arch9wavefront6targetE0EEEvT1_, .Lfunc_end1320-_ZN7rocprim17ROCPRIM_400000_NS6detail17trampoline_kernelINS0_14default_configENS1_25partition_config_selectorILNS1_17partition_subalgoE8ElNS0_10empty_typeEbEEZZNS1_14partition_implILS5_8ELb0ES3_jPlPS6_PKS6_NS0_5tupleIJS9_S6_EEENSD_IJSA_SA_EEENS0_18inequality_wrapperIZN2at6native12_GLOBAL__N_124unique_dim_cuda_templateIN3c104HalfEEESt5tupleIJNSH_6TensorESO_SO_EERKSO_lbbbEUlllE0_EEPmJS6_EEE10hipError_tPvRmT3_T4_T5_T6_T7_T9_mT8_P12ihipStream_tbDpT10_ENKUlT_T0_E_clISt17integral_constantIbLb0EES1D_IbLb1EEEEDaS19_S1A_EUlS19_E_NS1_11comp_targetILNS1_3genE5ELNS1_11target_archE942ELNS1_3gpuE9ELNS1_3repE0EEENS1_30default_config_static_selectorELNS0_4arch9wavefront6targetE0EEEvT1_
                                        ; -- End function
	.section	.AMDGPU.csdata,"",@progbits
; Kernel info:
; codeLenInByte = 0
; NumSgprs: 0
; NumVgprs: 0
; ScratchSize: 0
; MemoryBound: 0
; FloatMode: 240
; IeeeMode: 1
; LDSByteSize: 0 bytes/workgroup (compile time only)
; SGPRBlocks: 0
; VGPRBlocks: 0
; NumSGPRsForWavesPerEU: 1
; NumVGPRsForWavesPerEU: 1
; Occupancy: 16
; WaveLimiterHint : 0
; COMPUTE_PGM_RSRC2:SCRATCH_EN: 0
; COMPUTE_PGM_RSRC2:USER_SGPR: 15
; COMPUTE_PGM_RSRC2:TRAP_HANDLER: 0
; COMPUTE_PGM_RSRC2:TGID_X_EN: 1
; COMPUTE_PGM_RSRC2:TGID_Y_EN: 0
; COMPUTE_PGM_RSRC2:TGID_Z_EN: 0
; COMPUTE_PGM_RSRC2:TIDIG_COMP_CNT: 0
	.section	.text._ZN7rocprim17ROCPRIM_400000_NS6detail17trampoline_kernelINS0_14default_configENS1_25partition_config_selectorILNS1_17partition_subalgoE8ElNS0_10empty_typeEbEEZZNS1_14partition_implILS5_8ELb0ES3_jPlPS6_PKS6_NS0_5tupleIJS9_S6_EEENSD_IJSA_SA_EEENS0_18inequality_wrapperIZN2at6native12_GLOBAL__N_124unique_dim_cuda_templateIN3c104HalfEEESt5tupleIJNSH_6TensorESO_SO_EERKSO_lbbbEUlllE0_EEPmJS6_EEE10hipError_tPvRmT3_T4_T5_T6_T7_T9_mT8_P12ihipStream_tbDpT10_ENKUlT_T0_E_clISt17integral_constantIbLb0EES1D_IbLb1EEEEDaS19_S1A_EUlS19_E_NS1_11comp_targetILNS1_3genE4ELNS1_11target_archE910ELNS1_3gpuE8ELNS1_3repE0EEENS1_30default_config_static_selectorELNS0_4arch9wavefront6targetE0EEEvT1_,"axG",@progbits,_ZN7rocprim17ROCPRIM_400000_NS6detail17trampoline_kernelINS0_14default_configENS1_25partition_config_selectorILNS1_17partition_subalgoE8ElNS0_10empty_typeEbEEZZNS1_14partition_implILS5_8ELb0ES3_jPlPS6_PKS6_NS0_5tupleIJS9_S6_EEENSD_IJSA_SA_EEENS0_18inequality_wrapperIZN2at6native12_GLOBAL__N_124unique_dim_cuda_templateIN3c104HalfEEESt5tupleIJNSH_6TensorESO_SO_EERKSO_lbbbEUlllE0_EEPmJS6_EEE10hipError_tPvRmT3_T4_T5_T6_T7_T9_mT8_P12ihipStream_tbDpT10_ENKUlT_T0_E_clISt17integral_constantIbLb0EES1D_IbLb1EEEEDaS19_S1A_EUlS19_E_NS1_11comp_targetILNS1_3genE4ELNS1_11target_archE910ELNS1_3gpuE8ELNS1_3repE0EEENS1_30default_config_static_selectorELNS0_4arch9wavefront6targetE0EEEvT1_,comdat
	.globl	_ZN7rocprim17ROCPRIM_400000_NS6detail17trampoline_kernelINS0_14default_configENS1_25partition_config_selectorILNS1_17partition_subalgoE8ElNS0_10empty_typeEbEEZZNS1_14partition_implILS5_8ELb0ES3_jPlPS6_PKS6_NS0_5tupleIJS9_S6_EEENSD_IJSA_SA_EEENS0_18inequality_wrapperIZN2at6native12_GLOBAL__N_124unique_dim_cuda_templateIN3c104HalfEEESt5tupleIJNSH_6TensorESO_SO_EERKSO_lbbbEUlllE0_EEPmJS6_EEE10hipError_tPvRmT3_T4_T5_T6_T7_T9_mT8_P12ihipStream_tbDpT10_ENKUlT_T0_E_clISt17integral_constantIbLb0EES1D_IbLb1EEEEDaS19_S1A_EUlS19_E_NS1_11comp_targetILNS1_3genE4ELNS1_11target_archE910ELNS1_3gpuE8ELNS1_3repE0EEENS1_30default_config_static_selectorELNS0_4arch9wavefront6targetE0EEEvT1_ ; -- Begin function _ZN7rocprim17ROCPRIM_400000_NS6detail17trampoline_kernelINS0_14default_configENS1_25partition_config_selectorILNS1_17partition_subalgoE8ElNS0_10empty_typeEbEEZZNS1_14partition_implILS5_8ELb0ES3_jPlPS6_PKS6_NS0_5tupleIJS9_S6_EEENSD_IJSA_SA_EEENS0_18inequality_wrapperIZN2at6native12_GLOBAL__N_124unique_dim_cuda_templateIN3c104HalfEEESt5tupleIJNSH_6TensorESO_SO_EERKSO_lbbbEUlllE0_EEPmJS6_EEE10hipError_tPvRmT3_T4_T5_T6_T7_T9_mT8_P12ihipStream_tbDpT10_ENKUlT_T0_E_clISt17integral_constantIbLb0EES1D_IbLb1EEEEDaS19_S1A_EUlS19_E_NS1_11comp_targetILNS1_3genE4ELNS1_11target_archE910ELNS1_3gpuE8ELNS1_3repE0EEENS1_30default_config_static_selectorELNS0_4arch9wavefront6targetE0EEEvT1_
	.p2align	8
	.type	_ZN7rocprim17ROCPRIM_400000_NS6detail17trampoline_kernelINS0_14default_configENS1_25partition_config_selectorILNS1_17partition_subalgoE8ElNS0_10empty_typeEbEEZZNS1_14partition_implILS5_8ELb0ES3_jPlPS6_PKS6_NS0_5tupleIJS9_S6_EEENSD_IJSA_SA_EEENS0_18inequality_wrapperIZN2at6native12_GLOBAL__N_124unique_dim_cuda_templateIN3c104HalfEEESt5tupleIJNSH_6TensorESO_SO_EERKSO_lbbbEUlllE0_EEPmJS6_EEE10hipError_tPvRmT3_T4_T5_T6_T7_T9_mT8_P12ihipStream_tbDpT10_ENKUlT_T0_E_clISt17integral_constantIbLb0EES1D_IbLb1EEEEDaS19_S1A_EUlS19_E_NS1_11comp_targetILNS1_3genE4ELNS1_11target_archE910ELNS1_3gpuE8ELNS1_3repE0EEENS1_30default_config_static_selectorELNS0_4arch9wavefront6targetE0EEEvT1_,@function
_ZN7rocprim17ROCPRIM_400000_NS6detail17trampoline_kernelINS0_14default_configENS1_25partition_config_selectorILNS1_17partition_subalgoE8ElNS0_10empty_typeEbEEZZNS1_14partition_implILS5_8ELb0ES3_jPlPS6_PKS6_NS0_5tupleIJS9_S6_EEENSD_IJSA_SA_EEENS0_18inequality_wrapperIZN2at6native12_GLOBAL__N_124unique_dim_cuda_templateIN3c104HalfEEESt5tupleIJNSH_6TensorESO_SO_EERKSO_lbbbEUlllE0_EEPmJS6_EEE10hipError_tPvRmT3_T4_T5_T6_T7_T9_mT8_P12ihipStream_tbDpT10_ENKUlT_T0_E_clISt17integral_constantIbLb0EES1D_IbLb1EEEEDaS19_S1A_EUlS19_E_NS1_11comp_targetILNS1_3genE4ELNS1_11target_archE910ELNS1_3gpuE8ELNS1_3repE0EEENS1_30default_config_static_selectorELNS0_4arch9wavefront6targetE0EEEvT1_: ; @_ZN7rocprim17ROCPRIM_400000_NS6detail17trampoline_kernelINS0_14default_configENS1_25partition_config_selectorILNS1_17partition_subalgoE8ElNS0_10empty_typeEbEEZZNS1_14partition_implILS5_8ELb0ES3_jPlPS6_PKS6_NS0_5tupleIJS9_S6_EEENSD_IJSA_SA_EEENS0_18inequality_wrapperIZN2at6native12_GLOBAL__N_124unique_dim_cuda_templateIN3c104HalfEEESt5tupleIJNSH_6TensorESO_SO_EERKSO_lbbbEUlllE0_EEPmJS6_EEE10hipError_tPvRmT3_T4_T5_T6_T7_T9_mT8_P12ihipStream_tbDpT10_ENKUlT_T0_E_clISt17integral_constantIbLb0EES1D_IbLb1EEEEDaS19_S1A_EUlS19_E_NS1_11comp_targetILNS1_3genE4ELNS1_11target_archE910ELNS1_3gpuE8ELNS1_3repE0EEENS1_30default_config_static_selectorELNS0_4arch9wavefront6targetE0EEEvT1_
; %bb.0:
	.section	.rodata,"a",@progbits
	.p2align	6, 0x0
	.amdhsa_kernel _ZN7rocprim17ROCPRIM_400000_NS6detail17trampoline_kernelINS0_14default_configENS1_25partition_config_selectorILNS1_17partition_subalgoE8ElNS0_10empty_typeEbEEZZNS1_14partition_implILS5_8ELb0ES3_jPlPS6_PKS6_NS0_5tupleIJS9_S6_EEENSD_IJSA_SA_EEENS0_18inequality_wrapperIZN2at6native12_GLOBAL__N_124unique_dim_cuda_templateIN3c104HalfEEESt5tupleIJNSH_6TensorESO_SO_EERKSO_lbbbEUlllE0_EEPmJS6_EEE10hipError_tPvRmT3_T4_T5_T6_T7_T9_mT8_P12ihipStream_tbDpT10_ENKUlT_T0_E_clISt17integral_constantIbLb0EES1D_IbLb1EEEEDaS19_S1A_EUlS19_E_NS1_11comp_targetILNS1_3genE4ELNS1_11target_archE910ELNS1_3gpuE8ELNS1_3repE0EEENS1_30default_config_static_selectorELNS0_4arch9wavefront6targetE0EEEvT1_
		.amdhsa_group_segment_fixed_size 0
		.amdhsa_private_segment_fixed_size 0
		.amdhsa_kernarg_size 136
		.amdhsa_user_sgpr_count 15
		.amdhsa_user_sgpr_dispatch_ptr 0
		.amdhsa_user_sgpr_queue_ptr 0
		.amdhsa_user_sgpr_kernarg_segment_ptr 1
		.amdhsa_user_sgpr_dispatch_id 0
		.amdhsa_user_sgpr_private_segment_size 0
		.amdhsa_wavefront_size32 1
		.amdhsa_uses_dynamic_stack 0
		.amdhsa_enable_private_segment 0
		.amdhsa_system_sgpr_workgroup_id_x 1
		.amdhsa_system_sgpr_workgroup_id_y 0
		.amdhsa_system_sgpr_workgroup_id_z 0
		.amdhsa_system_sgpr_workgroup_info 0
		.amdhsa_system_vgpr_workitem_id 0
		.amdhsa_next_free_vgpr 1
		.amdhsa_next_free_sgpr 1
		.amdhsa_reserve_vcc 0
		.amdhsa_float_round_mode_32 0
		.amdhsa_float_round_mode_16_64 0
		.amdhsa_float_denorm_mode_32 3
		.amdhsa_float_denorm_mode_16_64 3
		.amdhsa_dx10_clamp 1
		.amdhsa_ieee_mode 1
		.amdhsa_fp16_overflow 0
		.amdhsa_workgroup_processor_mode 1
		.amdhsa_memory_ordered 1
		.amdhsa_forward_progress 0
		.amdhsa_shared_vgpr_count 0
		.amdhsa_exception_fp_ieee_invalid_op 0
		.amdhsa_exception_fp_denorm_src 0
		.amdhsa_exception_fp_ieee_div_zero 0
		.amdhsa_exception_fp_ieee_overflow 0
		.amdhsa_exception_fp_ieee_underflow 0
		.amdhsa_exception_fp_ieee_inexact 0
		.amdhsa_exception_int_div_zero 0
	.end_amdhsa_kernel
	.section	.text._ZN7rocprim17ROCPRIM_400000_NS6detail17trampoline_kernelINS0_14default_configENS1_25partition_config_selectorILNS1_17partition_subalgoE8ElNS0_10empty_typeEbEEZZNS1_14partition_implILS5_8ELb0ES3_jPlPS6_PKS6_NS0_5tupleIJS9_S6_EEENSD_IJSA_SA_EEENS0_18inequality_wrapperIZN2at6native12_GLOBAL__N_124unique_dim_cuda_templateIN3c104HalfEEESt5tupleIJNSH_6TensorESO_SO_EERKSO_lbbbEUlllE0_EEPmJS6_EEE10hipError_tPvRmT3_T4_T5_T6_T7_T9_mT8_P12ihipStream_tbDpT10_ENKUlT_T0_E_clISt17integral_constantIbLb0EES1D_IbLb1EEEEDaS19_S1A_EUlS19_E_NS1_11comp_targetILNS1_3genE4ELNS1_11target_archE910ELNS1_3gpuE8ELNS1_3repE0EEENS1_30default_config_static_selectorELNS0_4arch9wavefront6targetE0EEEvT1_,"axG",@progbits,_ZN7rocprim17ROCPRIM_400000_NS6detail17trampoline_kernelINS0_14default_configENS1_25partition_config_selectorILNS1_17partition_subalgoE8ElNS0_10empty_typeEbEEZZNS1_14partition_implILS5_8ELb0ES3_jPlPS6_PKS6_NS0_5tupleIJS9_S6_EEENSD_IJSA_SA_EEENS0_18inequality_wrapperIZN2at6native12_GLOBAL__N_124unique_dim_cuda_templateIN3c104HalfEEESt5tupleIJNSH_6TensorESO_SO_EERKSO_lbbbEUlllE0_EEPmJS6_EEE10hipError_tPvRmT3_T4_T5_T6_T7_T9_mT8_P12ihipStream_tbDpT10_ENKUlT_T0_E_clISt17integral_constantIbLb0EES1D_IbLb1EEEEDaS19_S1A_EUlS19_E_NS1_11comp_targetILNS1_3genE4ELNS1_11target_archE910ELNS1_3gpuE8ELNS1_3repE0EEENS1_30default_config_static_selectorELNS0_4arch9wavefront6targetE0EEEvT1_,comdat
.Lfunc_end1321:
	.size	_ZN7rocprim17ROCPRIM_400000_NS6detail17trampoline_kernelINS0_14default_configENS1_25partition_config_selectorILNS1_17partition_subalgoE8ElNS0_10empty_typeEbEEZZNS1_14partition_implILS5_8ELb0ES3_jPlPS6_PKS6_NS0_5tupleIJS9_S6_EEENSD_IJSA_SA_EEENS0_18inequality_wrapperIZN2at6native12_GLOBAL__N_124unique_dim_cuda_templateIN3c104HalfEEESt5tupleIJNSH_6TensorESO_SO_EERKSO_lbbbEUlllE0_EEPmJS6_EEE10hipError_tPvRmT3_T4_T5_T6_T7_T9_mT8_P12ihipStream_tbDpT10_ENKUlT_T0_E_clISt17integral_constantIbLb0EES1D_IbLb1EEEEDaS19_S1A_EUlS19_E_NS1_11comp_targetILNS1_3genE4ELNS1_11target_archE910ELNS1_3gpuE8ELNS1_3repE0EEENS1_30default_config_static_selectorELNS0_4arch9wavefront6targetE0EEEvT1_, .Lfunc_end1321-_ZN7rocprim17ROCPRIM_400000_NS6detail17trampoline_kernelINS0_14default_configENS1_25partition_config_selectorILNS1_17partition_subalgoE8ElNS0_10empty_typeEbEEZZNS1_14partition_implILS5_8ELb0ES3_jPlPS6_PKS6_NS0_5tupleIJS9_S6_EEENSD_IJSA_SA_EEENS0_18inequality_wrapperIZN2at6native12_GLOBAL__N_124unique_dim_cuda_templateIN3c104HalfEEESt5tupleIJNSH_6TensorESO_SO_EERKSO_lbbbEUlllE0_EEPmJS6_EEE10hipError_tPvRmT3_T4_T5_T6_T7_T9_mT8_P12ihipStream_tbDpT10_ENKUlT_T0_E_clISt17integral_constantIbLb0EES1D_IbLb1EEEEDaS19_S1A_EUlS19_E_NS1_11comp_targetILNS1_3genE4ELNS1_11target_archE910ELNS1_3gpuE8ELNS1_3repE0EEENS1_30default_config_static_selectorELNS0_4arch9wavefront6targetE0EEEvT1_
                                        ; -- End function
	.section	.AMDGPU.csdata,"",@progbits
; Kernel info:
; codeLenInByte = 0
; NumSgprs: 0
; NumVgprs: 0
; ScratchSize: 0
; MemoryBound: 0
; FloatMode: 240
; IeeeMode: 1
; LDSByteSize: 0 bytes/workgroup (compile time only)
; SGPRBlocks: 0
; VGPRBlocks: 0
; NumSGPRsForWavesPerEU: 1
; NumVGPRsForWavesPerEU: 1
; Occupancy: 16
; WaveLimiterHint : 0
; COMPUTE_PGM_RSRC2:SCRATCH_EN: 0
; COMPUTE_PGM_RSRC2:USER_SGPR: 15
; COMPUTE_PGM_RSRC2:TRAP_HANDLER: 0
; COMPUTE_PGM_RSRC2:TGID_X_EN: 1
; COMPUTE_PGM_RSRC2:TGID_Y_EN: 0
; COMPUTE_PGM_RSRC2:TGID_Z_EN: 0
; COMPUTE_PGM_RSRC2:TIDIG_COMP_CNT: 0
	.section	.text._ZN7rocprim17ROCPRIM_400000_NS6detail17trampoline_kernelINS0_14default_configENS1_25partition_config_selectorILNS1_17partition_subalgoE8ElNS0_10empty_typeEbEEZZNS1_14partition_implILS5_8ELb0ES3_jPlPS6_PKS6_NS0_5tupleIJS9_S6_EEENSD_IJSA_SA_EEENS0_18inequality_wrapperIZN2at6native12_GLOBAL__N_124unique_dim_cuda_templateIN3c104HalfEEESt5tupleIJNSH_6TensorESO_SO_EERKSO_lbbbEUlllE0_EEPmJS6_EEE10hipError_tPvRmT3_T4_T5_T6_T7_T9_mT8_P12ihipStream_tbDpT10_ENKUlT_T0_E_clISt17integral_constantIbLb0EES1D_IbLb1EEEEDaS19_S1A_EUlS19_E_NS1_11comp_targetILNS1_3genE3ELNS1_11target_archE908ELNS1_3gpuE7ELNS1_3repE0EEENS1_30default_config_static_selectorELNS0_4arch9wavefront6targetE0EEEvT1_,"axG",@progbits,_ZN7rocprim17ROCPRIM_400000_NS6detail17trampoline_kernelINS0_14default_configENS1_25partition_config_selectorILNS1_17partition_subalgoE8ElNS0_10empty_typeEbEEZZNS1_14partition_implILS5_8ELb0ES3_jPlPS6_PKS6_NS0_5tupleIJS9_S6_EEENSD_IJSA_SA_EEENS0_18inequality_wrapperIZN2at6native12_GLOBAL__N_124unique_dim_cuda_templateIN3c104HalfEEESt5tupleIJNSH_6TensorESO_SO_EERKSO_lbbbEUlllE0_EEPmJS6_EEE10hipError_tPvRmT3_T4_T5_T6_T7_T9_mT8_P12ihipStream_tbDpT10_ENKUlT_T0_E_clISt17integral_constantIbLb0EES1D_IbLb1EEEEDaS19_S1A_EUlS19_E_NS1_11comp_targetILNS1_3genE3ELNS1_11target_archE908ELNS1_3gpuE7ELNS1_3repE0EEENS1_30default_config_static_selectorELNS0_4arch9wavefront6targetE0EEEvT1_,comdat
	.globl	_ZN7rocprim17ROCPRIM_400000_NS6detail17trampoline_kernelINS0_14default_configENS1_25partition_config_selectorILNS1_17partition_subalgoE8ElNS0_10empty_typeEbEEZZNS1_14partition_implILS5_8ELb0ES3_jPlPS6_PKS6_NS0_5tupleIJS9_S6_EEENSD_IJSA_SA_EEENS0_18inequality_wrapperIZN2at6native12_GLOBAL__N_124unique_dim_cuda_templateIN3c104HalfEEESt5tupleIJNSH_6TensorESO_SO_EERKSO_lbbbEUlllE0_EEPmJS6_EEE10hipError_tPvRmT3_T4_T5_T6_T7_T9_mT8_P12ihipStream_tbDpT10_ENKUlT_T0_E_clISt17integral_constantIbLb0EES1D_IbLb1EEEEDaS19_S1A_EUlS19_E_NS1_11comp_targetILNS1_3genE3ELNS1_11target_archE908ELNS1_3gpuE7ELNS1_3repE0EEENS1_30default_config_static_selectorELNS0_4arch9wavefront6targetE0EEEvT1_ ; -- Begin function _ZN7rocprim17ROCPRIM_400000_NS6detail17trampoline_kernelINS0_14default_configENS1_25partition_config_selectorILNS1_17partition_subalgoE8ElNS0_10empty_typeEbEEZZNS1_14partition_implILS5_8ELb0ES3_jPlPS6_PKS6_NS0_5tupleIJS9_S6_EEENSD_IJSA_SA_EEENS0_18inequality_wrapperIZN2at6native12_GLOBAL__N_124unique_dim_cuda_templateIN3c104HalfEEESt5tupleIJNSH_6TensorESO_SO_EERKSO_lbbbEUlllE0_EEPmJS6_EEE10hipError_tPvRmT3_T4_T5_T6_T7_T9_mT8_P12ihipStream_tbDpT10_ENKUlT_T0_E_clISt17integral_constantIbLb0EES1D_IbLb1EEEEDaS19_S1A_EUlS19_E_NS1_11comp_targetILNS1_3genE3ELNS1_11target_archE908ELNS1_3gpuE7ELNS1_3repE0EEENS1_30default_config_static_selectorELNS0_4arch9wavefront6targetE0EEEvT1_
	.p2align	8
	.type	_ZN7rocprim17ROCPRIM_400000_NS6detail17trampoline_kernelINS0_14default_configENS1_25partition_config_selectorILNS1_17partition_subalgoE8ElNS0_10empty_typeEbEEZZNS1_14partition_implILS5_8ELb0ES3_jPlPS6_PKS6_NS0_5tupleIJS9_S6_EEENSD_IJSA_SA_EEENS0_18inequality_wrapperIZN2at6native12_GLOBAL__N_124unique_dim_cuda_templateIN3c104HalfEEESt5tupleIJNSH_6TensorESO_SO_EERKSO_lbbbEUlllE0_EEPmJS6_EEE10hipError_tPvRmT3_T4_T5_T6_T7_T9_mT8_P12ihipStream_tbDpT10_ENKUlT_T0_E_clISt17integral_constantIbLb0EES1D_IbLb1EEEEDaS19_S1A_EUlS19_E_NS1_11comp_targetILNS1_3genE3ELNS1_11target_archE908ELNS1_3gpuE7ELNS1_3repE0EEENS1_30default_config_static_selectorELNS0_4arch9wavefront6targetE0EEEvT1_,@function
_ZN7rocprim17ROCPRIM_400000_NS6detail17trampoline_kernelINS0_14default_configENS1_25partition_config_selectorILNS1_17partition_subalgoE8ElNS0_10empty_typeEbEEZZNS1_14partition_implILS5_8ELb0ES3_jPlPS6_PKS6_NS0_5tupleIJS9_S6_EEENSD_IJSA_SA_EEENS0_18inequality_wrapperIZN2at6native12_GLOBAL__N_124unique_dim_cuda_templateIN3c104HalfEEESt5tupleIJNSH_6TensorESO_SO_EERKSO_lbbbEUlllE0_EEPmJS6_EEE10hipError_tPvRmT3_T4_T5_T6_T7_T9_mT8_P12ihipStream_tbDpT10_ENKUlT_T0_E_clISt17integral_constantIbLb0EES1D_IbLb1EEEEDaS19_S1A_EUlS19_E_NS1_11comp_targetILNS1_3genE3ELNS1_11target_archE908ELNS1_3gpuE7ELNS1_3repE0EEENS1_30default_config_static_selectorELNS0_4arch9wavefront6targetE0EEEvT1_: ; @_ZN7rocprim17ROCPRIM_400000_NS6detail17trampoline_kernelINS0_14default_configENS1_25partition_config_selectorILNS1_17partition_subalgoE8ElNS0_10empty_typeEbEEZZNS1_14partition_implILS5_8ELb0ES3_jPlPS6_PKS6_NS0_5tupleIJS9_S6_EEENSD_IJSA_SA_EEENS0_18inequality_wrapperIZN2at6native12_GLOBAL__N_124unique_dim_cuda_templateIN3c104HalfEEESt5tupleIJNSH_6TensorESO_SO_EERKSO_lbbbEUlllE0_EEPmJS6_EEE10hipError_tPvRmT3_T4_T5_T6_T7_T9_mT8_P12ihipStream_tbDpT10_ENKUlT_T0_E_clISt17integral_constantIbLb0EES1D_IbLb1EEEEDaS19_S1A_EUlS19_E_NS1_11comp_targetILNS1_3genE3ELNS1_11target_archE908ELNS1_3gpuE7ELNS1_3repE0EEENS1_30default_config_static_selectorELNS0_4arch9wavefront6targetE0EEEvT1_
; %bb.0:
	.section	.rodata,"a",@progbits
	.p2align	6, 0x0
	.amdhsa_kernel _ZN7rocprim17ROCPRIM_400000_NS6detail17trampoline_kernelINS0_14default_configENS1_25partition_config_selectorILNS1_17partition_subalgoE8ElNS0_10empty_typeEbEEZZNS1_14partition_implILS5_8ELb0ES3_jPlPS6_PKS6_NS0_5tupleIJS9_S6_EEENSD_IJSA_SA_EEENS0_18inequality_wrapperIZN2at6native12_GLOBAL__N_124unique_dim_cuda_templateIN3c104HalfEEESt5tupleIJNSH_6TensorESO_SO_EERKSO_lbbbEUlllE0_EEPmJS6_EEE10hipError_tPvRmT3_T4_T5_T6_T7_T9_mT8_P12ihipStream_tbDpT10_ENKUlT_T0_E_clISt17integral_constantIbLb0EES1D_IbLb1EEEEDaS19_S1A_EUlS19_E_NS1_11comp_targetILNS1_3genE3ELNS1_11target_archE908ELNS1_3gpuE7ELNS1_3repE0EEENS1_30default_config_static_selectorELNS0_4arch9wavefront6targetE0EEEvT1_
		.amdhsa_group_segment_fixed_size 0
		.amdhsa_private_segment_fixed_size 0
		.amdhsa_kernarg_size 136
		.amdhsa_user_sgpr_count 15
		.amdhsa_user_sgpr_dispatch_ptr 0
		.amdhsa_user_sgpr_queue_ptr 0
		.amdhsa_user_sgpr_kernarg_segment_ptr 1
		.amdhsa_user_sgpr_dispatch_id 0
		.amdhsa_user_sgpr_private_segment_size 0
		.amdhsa_wavefront_size32 1
		.amdhsa_uses_dynamic_stack 0
		.amdhsa_enable_private_segment 0
		.amdhsa_system_sgpr_workgroup_id_x 1
		.amdhsa_system_sgpr_workgroup_id_y 0
		.amdhsa_system_sgpr_workgroup_id_z 0
		.amdhsa_system_sgpr_workgroup_info 0
		.amdhsa_system_vgpr_workitem_id 0
		.amdhsa_next_free_vgpr 1
		.amdhsa_next_free_sgpr 1
		.amdhsa_reserve_vcc 0
		.amdhsa_float_round_mode_32 0
		.amdhsa_float_round_mode_16_64 0
		.amdhsa_float_denorm_mode_32 3
		.amdhsa_float_denorm_mode_16_64 3
		.amdhsa_dx10_clamp 1
		.amdhsa_ieee_mode 1
		.amdhsa_fp16_overflow 0
		.amdhsa_workgroup_processor_mode 1
		.amdhsa_memory_ordered 1
		.amdhsa_forward_progress 0
		.amdhsa_shared_vgpr_count 0
		.amdhsa_exception_fp_ieee_invalid_op 0
		.amdhsa_exception_fp_denorm_src 0
		.amdhsa_exception_fp_ieee_div_zero 0
		.amdhsa_exception_fp_ieee_overflow 0
		.amdhsa_exception_fp_ieee_underflow 0
		.amdhsa_exception_fp_ieee_inexact 0
		.amdhsa_exception_int_div_zero 0
	.end_amdhsa_kernel
	.section	.text._ZN7rocprim17ROCPRIM_400000_NS6detail17trampoline_kernelINS0_14default_configENS1_25partition_config_selectorILNS1_17partition_subalgoE8ElNS0_10empty_typeEbEEZZNS1_14partition_implILS5_8ELb0ES3_jPlPS6_PKS6_NS0_5tupleIJS9_S6_EEENSD_IJSA_SA_EEENS0_18inequality_wrapperIZN2at6native12_GLOBAL__N_124unique_dim_cuda_templateIN3c104HalfEEESt5tupleIJNSH_6TensorESO_SO_EERKSO_lbbbEUlllE0_EEPmJS6_EEE10hipError_tPvRmT3_T4_T5_T6_T7_T9_mT8_P12ihipStream_tbDpT10_ENKUlT_T0_E_clISt17integral_constantIbLb0EES1D_IbLb1EEEEDaS19_S1A_EUlS19_E_NS1_11comp_targetILNS1_3genE3ELNS1_11target_archE908ELNS1_3gpuE7ELNS1_3repE0EEENS1_30default_config_static_selectorELNS0_4arch9wavefront6targetE0EEEvT1_,"axG",@progbits,_ZN7rocprim17ROCPRIM_400000_NS6detail17trampoline_kernelINS0_14default_configENS1_25partition_config_selectorILNS1_17partition_subalgoE8ElNS0_10empty_typeEbEEZZNS1_14partition_implILS5_8ELb0ES3_jPlPS6_PKS6_NS0_5tupleIJS9_S6_EEENSD_IJSA_SA_EEENS0_18inequality_wrapperIZN2at6native12_GLOBAL__N_124unique_dim_cuda_templateIN3c104HalfEEESt5tupleIJNSH_6TensorESO_SO_EERKSO_lbbbEUlllE0_EEPmJS6_EEE10hipError_tPvRmT3_T4_T5_T6_T7_T9_mT8_P12ihipStream_tbDpT10_ENKUlT_T0_E_clISt17integral_constantIbLb0EES1D_IbLb1EEEEDaS19_S1A_EUlS19_E_NS1_11comp_targetILNS1_3genE3ELNS1_11target_archE908ELNS1_3gpuE7ELNS1_3repE0EEENS1_30default_config_static_selectorELNS0_4arch9wavefront6targetE0EEEvT1_,comdat
.Lfunc_end1322:
	.size	_ZN7rocprim17ROCPRIM_400000_NS6detail17trampoline_kernelINS0_14default_configENS1_25partition_config_selectorILNS1_17partition_subalgoE8ElNS0_10empty_typeEbEEZZNS1_14partition_implILS5_8ELb0ES3_jPlPS6_PKS6_NS0_5tupleIJS9_S6_EEENSD_IJSA_SA_EEENS0_18inequality_wrapperIZN2at6native12_GLOBAL__N_124unique_dim_cuda_templateIN3c104HalfEEESt5tupleIJNSH_6TensorESO_SO_EERKSO_lbbbEUlllE0_EEPmJS6_EEE10hipError_tPvRmT3_T4_T5_T6_T7_T9_mT8_P12ihipStream_tbDpT10_ENKUlT_T0_E_clISt17integral_constantIbLb0EES1D_IbLb1EEEEDaS19_S1A_EUlS19_E_NS1_11comp_targetILNS1_3genE3ELNS1_11target_archE908ELNS1_3gpuE7ELNS1_3repE0EEENS1_30default_config_static_selectorELNS0_4arch9wavefront6targetE0EEEvT1_, .Lfunc_end1322-_ZN7rocprim17ROCPRIM_400000_NS6detail17trampoline_kernelINS0_14default_configENS1_25partition_config_selectorILNS1_17partition_subalgoE8ElNS0_10empty_typeEbEEZZNS1_14partition_implILS5_8ELb0ES3_jPlPS6_PKS6_NS0_5tupleIJS9_S6_EEENSD_IJSA_SA_EEENS0_18inequality_wrapperIZN2at6native12_GLOBAL__N_124unique_dim_cuda_templateIN3c104HalfEEESt5tupleIJNSH_6TensorESO_SO_EERKSO_lbbbEUlllE0_EEPmJS6_EEE10hipError_tPvRmT3_T4_T5_T6_T7_T9_mT8_P12ihipStream_tbDpT10_ENKUlT_T0_E_clISt17integral_constantIbLb0EES1D_IbLb1EEEEDaS19_S1A_EUlS19_E_NS1_11comp_targetILNS1_3genE3ELNS1_11target_archE908ELNS1_3gpuE7ELNS1_3repE0EEENS1_30default_config_static_selectorELNS0_4arch9wavefront6targetE0EEEvT1_
                                        ; -- End function
	.section	.AMDGPU.csdata,"",@progbits
; Kernel info:
; codeLenInByte = 0
; NumSgprs: 0
; NumVgprs: 0
; ScratchSize: 0
; MemoryBound: 0
; FloatMode: 240
; IeeeMode: 1
; LDSByteSize: 0 bytes/workgroup (compile time only)
; SGPRBlocks: 0
; VGPRBlocks: 0
; NumSGPRsForWavesPerEU: 1
; NumVGPRsForWavesPerEU: 1
; Occupancy: 16
; WaveLimiterHint : 0
; COMPUTE_PGM_RSRC2:SCRATCH_EN: 0
; COMPUTE_PGM_RSRC2:USER_SGPR: 15
; COMPUTE_PGM_RSRC2:TRAP_HANDLER: 0
; COMPUTE_PGM_RSRC2:TGID_X_EN: 1
; COMPUTE_PGM_RSRC2:TGID_Y_EN: 0
; COMPUTE_PGM_RSRC2:TGID_Z_EN: 0
; COMPUTE_PGM_RSRC2:TIDIG_COMP_CNT: 0
	.section	.text._ZN7rocprim17ROCPRIM_400000_NS6detail17trampoline_kernelINS0_14default_configENS1_25partition_config_selectorILNS1_17partition_subalgoE8ElNS0_10empty_typeEbEEZZNS1_14partition_implILS5_8ELb0ES3_jPlPS6_PKS6_NS0_5tupleIJS9_S6_EEENSD_IJSA_SA_EEENS0_18inequality_wrapperIZN2at6native12_GLOBAL__N_124unique_dim_cuda_templateIN3c104HalfEEESt5tupleIJNSH_6TensorESO_SO_EERKSO_lbbbEUlllE0_EEPmJS6_EEE10hipError_tPvRmT3_T4_T5_T6_T7_T9_mT8_P12ihipStream_tbDpT10_ENKUlT_T0_E_clISt17integral_constantIbLb0EES1D_IbLb1EEEEDaS19_S1A_EUlS19_E_NS1_11comp_targetILNS1_3genE2ELNS1_11target_archE906ELNS1_3gpuE6ELNS1_3repE0EEENS1_30default_config_static_selectorELNS0_4arch9wavefront6targetE0EEEvT1_,"axG",@progbits,_ZN7rocprim17ROCPRIM_400000_NS6detail17trampoline_kernelINS0_14default_configENS1_25partition_config_selectorILNS1_17partition_subalgoE8ElNS0_10empty_typeEbEEZZNS1_14partition_implILS5_8ELb0ES3_jPlPS6_PKS6_NS0_5tupleIJS9_S6_EEENSD_IJSA_SA_EEENS0_18inequality_wrapperIZN2at6native12_GLOBAL__N_124unique_dim_cuda_templateIN3c104HalfEEESt5tupleIJNSH_6TensorESO_SO_EERKSO_lbbbEUlllE0_EEPmJS6_EEE10hipError_tPvRmT3_T4_T5_T6_T7_T9_mT8_P12ihipStream_tbDpT10_ENKUlT_T0_E_clISt17integral_constantIbLb0EES1D_IbLb1EEEEDaS19_S1A_EUlS19_E_NS1_11comp_targetILNS1_3genE2ELNS1_11target_archE906ELNS1_3gpuE6ELNS1_3repE0EEENS1_30default_config_static_selectorELNS0_4arch9wavefront6targetE0EEEvT1_,comdat
	.globl	_ZN7rocprim17ROCPRIM_400000_NS6detail17trampoline_kernelINS0_14default_configENS1_25partition_config_selectorILNS1_17partition_subalgoE8ElNS0_10empty_typeEbEEZZNS1_14partition_implILS5_8ELb0ES3_jPlPS6_PKS6_NS0_5tupleIJS9_S6_EEENSD_IJSA_SA_EEENS0_18inequality_wrapperIZN2at6native12_GLOBAL__N_124unique_dim_cuda_templateIN3c104HalfEEESt5tupleIJNSH_6TensorESO_SO_EERKSO_lbbbEUlllE0_EEPmJS6_EEE10hipError_tPvRmT3_T4_T5_T6_T7_T9_mT8_P12ihipStream_tbDpT10_ENKUlT_T0_E_clISt17integral_constantIbLb0EES1D_IbLb1EEEEDaS19_S1A_EUlS19_E_NS1_11comp_targetILNS1_3genE2ELNS1_11target_archE906ELNS1_3gpuE6ELNS1_3repE0EEENS1_30default_config_static_selectorELNS0_4arch9wavefront6targetE0EEEvT1_ ; -- Begin function _ZN7rocprim17ROCPRIM_400000_NS6detail17trampoline_kernelINS0_14default_configENS1_25partition_config_selectorILNS1_17partition_subalgoE8ElNS0_10empty_typeEbEEZZNS1_14partition_implILS5_8ELb0ES3_jPlPS6_PKS6_NS0_5tupleIJS9_S6_EEENSD_IJSA_SA_EEENS0_18inequality_wrapperIZN2at6native12_GLOBAL__N_124unique_dim_cuda_templateIN3c104HalfEEESt5tupleIJNSH_6TensorESO_SO_EERKSO_lbbbEUlllE0_EEPmJS6_EEE10hipError_tPvRmT3_T4_T5_T6_T7_T9_mT8_P12ihipStream_tbDpT10_ENKUlT_T0_E_clISt17integral_constantIbLb0EES1D_IbLb1EEEEDaS19_S1A_EUlS19_E_NS1_11comp_targetILNS1_3genE2ELNS1_11target_archE906ELNS1_3gpuE6ELNS1_3repE0EEENS1_30default_config_static_selectorELNS0_4arch9wavefront6targetE0EEEvT1_
	.p2align	8
	.type	_ZN7rocprim17ROCPRIM_400000_NS6detail17trampoline_kernelINS0_14default_configENS1_25partition_config_selectorILNS1_17partition_subalgoE8ElNS0_10empty_typeEbEEZZNS1_14partition_implILS5_8ELb0ES3_jPlPS6_PKS6_NS0_5tupleIJS9_S6_EEENSD_IJSA_SA_EEENS0_18inequality_wrapperIZN2at6native12_GLOBAL__N_124unique_dim_cuda_templateIN3c104HalfEEESt5tupleIJNSH_6TensorESO_SO_EERKSO_lbbbEUlllE0_EEPmJS6_EEE10hipError_tPvRmT3_T4_T5_T6_T7_T9_mT8_P12ihipStream_tbDpT10_ENKUlT_T0_E_clISt17integral_constantIbLb0EES1D_IbLb1EEEEDaS19_S1A_EUlS19_E_NS1_11comp_targetILNS1_3genE2ELNS1_11target_archE906ELNS1_3gpuE6ELNS1_3repE0EEENS1_30default_config_static_selectorELNS0_4arch9wavefront6targetE0EEEvT1_,@function
_ZN7rocprim17ROCPRIM_400000_NS6detail17trampoline_kernelINS0_14default_configENS1_25partition_config_selectorILNS1_17partition_subalgoE8ElNS0_10empty_typeEbEEZZNS1_14partition_implILS5_8ELb0ES3_jPlPS6_PKS6_NS0_5tupleIJS9_S6_EEENSD_IJSA_SA_EEENS0_18inequality_wrapperIZN2at6native12_GLOBAL__N_124unique_dim_cuda_templateIN3c104HalfEEESt5tupleIJNSH_6TensorESO_SO_EERKSO_lbbbEUlllE0_EEPmJS6_EEE10hipError_tPvRmT3_T4_T5_T6_T7_T9_mT8_P12ihipStream_tbDpT10_ENKUlT_T0_E_clISt17integral_constantIbLb0EES1D_IbLb1EEEEDaS19_S1A_EUlS19_E_NS1_11comp_targetILNS1_3genE2ELNS1_11target_archE906ELNS1_3gpuE6ELNS1_3repE0EEENS1_30default_config_static_selectorELNS0_4arch9wavefront6targetE0EEEvT1_: ; @_ZN7rocprim17ROCPRIM_400000_NS6detail17trampoline_kernelINS0_14default_configENS1_25partition_config_selectorILNS1_17partition_subalgoE8ElNS0_10empty_typeEbEEZZNS1_14partition_implILS5_8ELb0ES3_jPlPS6_PKS6_NS0_5tupleIJS9_S6_EEENSD_IJSA_SA_EEENS0_18inequality_wrapperIZN2at6native12_GLOBAL__N_124unique_dim_cuda_templateIN3c104HalfEEESt5tupleIJNSH_6TensorESO_SO_EERKSO_lbbbEUlllE0_EEPmJS6_EEE10hipError_tPvRmT3_T4_T5_T6_T7_T9_mT8_P12ihipStream_tbDpT10_ENKUlT_T0_E_clISt17integral_constantIbLb0EES1D_IbLb1EEEEDaS19_S1A_EUlS19_E_NS1_11comp_targetILNS1_3genE2ELNS1_11target_archE906ELNS1_3gpuE6ELNS1_3repE0EEENS1_30default_config_static_selectorELNS0_4arch9wavefront6targetE0EEEvT1_
; %bb.0:
	.section	.rodata,"a",@progbits
	.p2align	6, 0x0
	.amdhsa_kernel _ZN7rocprim17ROCPRIM_400000_NS6detail17trampoline_kernelINS0_14default_configENS1_25partition_config_selectorILNS1_17partition_subalgoE8ElNS0_10empty_typeEbEEZZNS1_14partition_implILS5_8ELb0ES3_jPlPS6_PKS6_NS0_5tupleIJS9_S6_EEENSD_IJSA_SA_EEENS0_18inequality_wrapperIZN2at6native12_GLOBAL__N_124unique_dim_cuda_templateIN3c104HalfEEESt5tupleIJNSH_6TensorESO_SO_EERKSO_lbbbEUlllE0_EEPmJS6_EEE10hipError_tPvRmT3_T4_T5_T6_T7_T9_mT8_P12ihipStream_tbDpT10_ENKUlT_T0_E_clISt17integral_constantIbLb0EES1D_IbLb1EEEEDaS19_S1A_EUlS19_E_NS1_11comp_targetILNS1_3genE2ELNS1_11target_archE906ELNS1_3gpuE6ELNS1_3repE0EEENS1_30default_config_static_selectorELNS0_4arch9wavefront6targetE0EEEvT1_
		.amdhsa_group_segment_fixed_size 0
		.amdhsa_private_segment_fixed_size 0
		.amdhsa_kernarg_size 136
		.amdhsa_user_sgpr_count 15
		.amdhsa_user_sgpr_dispatch_ptr 0
		.amdhsa_user_sgpr_queue_ptr 0
		.amdhsa_user_sgpr_kernarg_segment_ptr 1
		.amdhsa_user_sgpr_dispatch_id 0
		.amdhsa_user_sgpr_private_segment_size 0
		.amdhsa_wavefront_size32 1
		.amdhsa_uses_dynamic_stack 0
		.amdhsa_enable_private_segment 0
		.amdhsa_system_sgpr_workgroup_id_x 1
		.amdhsa_system_sgpr_workgroup_id_y 0
		.amdhsa_system_sgpr_workgroup_id_z 0
		.amdhsa_system_sgpr_workgroup_info 0
		.amdhsa_system_vgpr_workitem_id 0
		.amdhsa_next_free_vgpr 1
		.amdhsa_next_free_sgpr 1
		.amdhsa_reserve_vcc 0
		.amdhsa_float_round_mode_32 0
		.amdhsa_float_round_mode_16_64 0
		.amdhsa_float_denorm_mode_32 3
		.amdhsa_float_denorm_mode_16_64 3
		.amdhsa_dx10_clamp 1
		.amdhsa_ieee_mode 1
		.amdhsa_fp16_overflow 0
		.amdhsa_workgroup_processor_mode 1
		.amdhsa_memory_ordered 1
		.amdhsa_forward_progress 0
		.amdhsa_shared_vgpr_count 0
		.amdhsa_exception_fp_ieee_invalid_op 0
		.amdhsa_exception_fp_denorm_src 0
		.amdhsa_exception_fp_ieee_div_zero 0
		.amdhsa_exception_fp_ieee_overflow 0
		.amdhsa_exception_fp_ieee_underflow 0
		.amdhsa_exception_fp_ieee_inexact 0
		.amdhsa_exception_int_div_zero 0
	.end_amdhsa_kernel
	.section	.text._ZN7rocprim17ROCPRIM_400000_NS6detail17trampoline_kernelINS0_14default_configENS1_25partition_config_selectorILNS1_17partition_subalgoE8ElNS0_10empty_typeEbEEZZNS1_14partition_implILS5_8ELb0ES3_jPlPS6_PKS6_NS0_5tupleIJS9_S6_EEENSD_IJSA_SA_EEENS0_18inequality_wrapperIZN2at6native12_GLOBAL__N_124unique_dim_cuda_templateIN3c104HalfEEESt5tupleIJNSH_6TensorESO_SO_EERKSO_lbbbEUlllE0_EEPmJS6_EEE10hipError_tPvRmT3_T4_T5_T6_T7_T9_mT8_P12ihipStream_tbDpT10_ENKUlT_T0_E_clISt17integral_constantIbLb0EES1D_IbLb1EEEEDaS19_S1A_EUlS19_E_NS1_11comp_targetILNS1_3genE2ELNS1_11target_archE906ELNS1_3gpuE6ELNS1_3repE0EEENS1_30default_config_static_selectorELNS0_4arch9wavefront6targetE0EEEvT1_,"axG",@progbits,_ZN7rocprim17ROCPRIM_400000_NS6detail17trampoline_kernelINS0_14default_configENS1_25partition_config_selectorILNS1_17partition_subalgoE8ElNS0_10empty_typeEbEEZZNS1_14partition_implILS5_8ELb0ES3_jPlPS6_PKS6_NS0_5tupleIJS9_S6_EEENSD_IJSA_SA_EEENS0_18inequality_wrapperIZN2at6native12_GLOBAL__N_124unique_dim_cuda_templateIN3c104HalfEEESt5tupleIJNSH_6TensorESO_SO_EERKSO_lbbbEUlllE0_EEPmJS6_EEE10hipError_tPvRmT3_T4_T5_T6_T7_T9_mT8_P12ihipStream_tbDpT10_ENKUlT_T0_E_clISt17integral_constantIbLb0EES1D_IbLb1EEEEDaS19_S1A_EUlS19_E_NS1_11comp_targetILNS1_3genE2ELNS1_11target_archE906ELNS1_3gpuE6ELNS1_3repE0EEENS1_30default_config_static_selectorELNS0_4arch9wavefront6targetE0EEEvT1_,comdat
.Lfunc_end1323:
	.size	_ZN7rocprim17ROCPRIM_400000_NS6detail17trampoline_kernelINS0_14default_configENS1_25partition_config_selectorILNS1_17partition_subalgoE8ElNS0_10empty_typeEbEEZZNS1_14partition_implILS5_8ELb0ES3_jPlPS6_PKS6_NS0_5tupleIJS9_S6_EEENSD_IJSA_SA_EEENS0_18inequality_wrapperIZN2at6native12_GLOBAL__N_124unique_dim_cuda_templateIN3c104HalfEEESt5tupleIJNSH_6TensorESO_SO_EERKSO_lbbbEUlllE0_EEPmJS6_EEE10hipError_tPvRmT3_T4_T5_T6_T7_T9_mT8_P12ihipStream_tbDpT10_ENKUlT_T0_E_clISt17integral_constantIbLb0EES1D_IbLb1EEEEDaS19_S1A_EUlS19_E_NS1_11comp_targetILNS1_3genE2ELNS1_11target_archE906ELNS1_3gpuE6ELNS1_3repE0EEENS1_30default_config_static_selectorELNS0_4arch9wavefront6targetE0EEEvT1_, .Lfunc_end1323-_ZN7rocprim17ROCPRIM_400000_NS6detail17trampoline_kernelINS0_14default_configENS1_25partition_config_selectorILNS1_17partition_subalgoE8ElNS0_10empty_typeEbEEZZNS1_14partition_implILS5_8ELb0ES3_jPlPS6_PKS6_NS0_5tupleIJS9_S6_EEENSD_IJSA_SA_EEENS0_18inequality_wrapperIZN2at6native12_GLOBAL__N_124unique_dim_cuda_templateIN3c104HalfEEESt5tupleIJNSH_6TensorESO_SO_EERKSO_lbbbEUlllE0_EEPmJS6_EEE10hipError_tPvRmT3_T4_T5_T6_T7_T9_mT8_P12ihipStream_tbDpT10_ENKUlT_T0_E_clISt17integral_constantIbLb0EES1D_IbLb1EEEEDaS19_S1A_EUlS19_E_NS1_11comp_targetILNS1_3genE2ELNS1_11target_archE906ELNS1_3gpuE6ELNS1_3repE0EEENS1_30default_config_static_selectorELNS0_4arch9wavefront6targetE0EEEvT1_
                                        ; -- End function
	.section	.AMDGPU.csdata,"",@progbits
; Kernel info:
; codeLenInByte = 0
; NumSgprs: 0
; NumVgprs: 0
; ScratchSize: 0
; MemoryBound: 0
; FloatMode: 240
; IeeeMode: 1
; LDSByteSize: 0 bytes/workgroup (compile time only)
; SGPRBlocks: 0
; VGPRBlocks: 0
; NumSGPRsForWavesPerEU: 1
; NumVGPRsForWavesPerEU: 1
; Occupancy: 16
; WaveLimiterHint : 0
; COMPUTE_PGM_RSRC2:SCRATCH_EN: 0
; COMPUTE_PGM_RSRC2:USER_SGPR: 15
; COMPUTE_PGM_RSRC2:TRAP_HANDLER: 0
; COMPUTE_PGM_RSRC2:TGID_X_EN: 1
; COMPUTE_PGM_RSRC2:TGID_Y_EN: 0
; COMPUTE_PGM_RSRC2:TGID_Z_EN: 0
; COMPUTE_PGM_RSRC2:TIDIG_COMP_CNT: 0
	.section	.text._ZN7rocprim17ROCPRIM_400000_NS6detail17trampoline_kernelINS0_14default_configENS1_25partition_config_selectorILNS1_17partition_subalgoE8ElNS0_10empty_typeEbEEZZNS1_14partition_implILS5_8ELb0ES3_jPlPS6_PKS6_NS0_5tupleIJS9_S6_EEENSD_IJSA_SA_EEENS0_18inequality_wrapperIZN2at6native12_GLOBAL__N_124unique_dim_cuda_templateIN3c104HalfEEESt5tupleIJNSH_6TensorESO_SO_EERKSO_lbbbEUlllE0_EEPmJS6_EEE10hipError_tPvRmT3_T4_T5_T6_T7_T9_mT8_P12ihipStream_tbDpT10_ENKUlT_T0_E_clISt17integral_constantIbLb0EES1D_IbLb1EEEEDaS19_S1A_EUlS19_E_NS1_11comp_targetILNS1_3genE10ELNS1_11target_archE1200ELNS1_3gpuE4ELNS1_3repE0EEENS1_30default_config_static_selectorELNS0_4arch9wavefront6targetE0EEEvT1_,"axG",@progbits,_ZN7rocprim17ROCPRIM_400000_NS6detail17trampoline_kernelINS0_14default_configENS1_25partition_config_selectorILNS1_17partition_subalgoE8ElNS0_10empty_typeEbEEZZNS1_14partition_implILS5_8ELb0ES3_jPlPS6_PKS6_NS0_5tupleIJS9_S6_EEENSD_IJSA_SA_EEENS0_18inequality_wrapperIZN2at6native12_GLOBAL__N_124unique_dim_cuda_templateIN3c104HalfEEESt5tupleIJNSH_6TensorESO_SO_EERKSO_lbbbEUlllE0_EEPmJS6_EEE10hipError_tPvRmT3_T4_T5_T6_T7_T9_mT8_P12ihipStream_tbDpT10_ENKUlT_T0_E_clISt17integral_constantIbLb0EES1D_IbLb1EEEEDaS19_S1A_EUlS19_E_NS1_11comp_targetILNS1_3genE10ELNS1_11target_archE1200ELNS1_3gpuE4ELNS1_3repE0EEENS1_30default_config_static_selectorELNS0_4arch9wavefront6targetE0EEEvT1_,comdat
	.globl	_ZN7rocprim17ROCPRIM_400000_NS6detail17trampoline_kernelINS0_14default_configENS1_25partition_config_selectorILNS1_17partition_subalgoE8ElNS0_10empty_typeEbEEZZNS1_14partition_implILS5_8ELb0ES3_jPlPS6_PKS6_NS0_5tupleIJS9_S6_EEENSD_IJSA_SA_EEENS0_18inequality_wrapperIZN2at6native12_GLOBAL__N_124unique_dim_cuda_templateIN3c104HalfEEESt5tupleIJNSH_6TensorESO_SO_EERKSO_lbbbEUlllE0_EEPmJS6_EEE10hipError_tPvRmT3_T4_T5_T6_T7_T9_mT8_P12ihipStream_tbDpT10_ENKUlT_T0_E_clISt17integral_constantIbLb0EES1D_IbLb1EEEEDaS19_S1A_EUlS19_E_NS1_11comp_targetILNS1_3genE10ELNS1_11target_archE1200ELNS1_3gpuE4ELNS1_3repE0EEENS1_30default_config_static_selectorELNS0_4arch9wavefront6targetE0EEEvT1_ ; -- Begin function _ZN7rocprim17ROCPRIM_400000_NS6detail17trampoline_kernelINS0_14default_configENS1_25partition_config_selectorILNS1_17partition_subalgoE8ElNS0_10empty_typeEbEEZZNS1_14partition_implILS5_8ELb0ES3_jPlPS6_PKS6_NS0_5tupleIJS9_S6_EEENSD_IJSA_SA_EEENS0_18inequality_wrapperIZN2at6native12_GLOBAL__N_124unique_dim_cuda_templateIN3c104HalfEEESt5tupleIJNSH_6TensorESO_SO_EERKSO_lbbbEUlllE0_EEPmJS6_EEE10hipError_tPvRmT3_T4_T5_T6_T7_T9_mT8_P12ihipStream_tbDpT10_ENKUlT_T0_E_clISt17integral_constantIbLb0EES1D_IbLb1EEEEDaS19_S1A_EUlS19_E_NS1_11comp_targetILNS1_3genE10ELNS1_11target_archE1200ELNS1_3gpuE4ELNS1_3repE0EEENS1_30default_config_static_selectorELNS0_4arch9wavefront6targetE0EEEvT1_
	.p2align	8
	.type	_ZN7rocprim17ROCPRIM_400000_NS6detail17trampoline_kernelINS0_14default_configENS1_25partition_config_selectorILNS1_17partition_subalgoE8ElNS0_10empty_typeEbEEZZNS1_14partition_implILS5_8ELb0ES3_jPlPS6_PKS6_NS0_5tupleIJS9_S6_EEENSD_IJSA_SA_EEENS0_18inequality_wrapperIZN2at6native12_GLOBAL__N_124unique_dim_cuda_templateIN3c104HalfEEESt5tupleIJNSH_6TensorESO_SO_EERKSO_lbbbEUlllE0_EEPmJS6_EEE10hipError_tPvRmT3_T4_T5_T6_T7_T9_mT8_P12ihipStream_tbDpT10_ENKUlT_T0_E_clISt17integral_constantIbLb0EES1D_IbLb1EEEEDaS19_S1A_EUlS19_E_NS1_11comp_targetILNS1_3genE10ELNS1_11target_archE1200ELNS1_3gpuE4ELNS1_3repE0EEENS1_30default_config_static_selectorELNS0_4arch9wavefront6targetE0EEEvT1_,@function
_ZN7rocprim17ROCPRIM_400000_NS6detail17trampoline_kernelINS0_14default_configENS1_25partition_config_selectorILNS1_17partition_subalgoE8ElNS0_10empty_typeEbEEZZNS1_14partition_implILS5_8ELb0ES3_jPlPS6_PKS6_NS0_5tupleIJS9_S6_EEENSD_IJSA_SA_EEENS0_18inequality_wrapperIZN2at6native12_GLOBAL__N_124unique_dim_cuda_templateIN3c104HalfEEESt5tupleIJNSH_6TensorESO_SO_EERKSO_lbbbEUlllE0_EEPmJS6_EEE10hipError_tPvRmT3_T4_T5_T6_T7_T9_mT8_P12ihipStream_tbDpT10_ENKUlT_T0_E_clISt17integral_constantIbLb0EES1D_IbLb1EEEEDaS19_S1A_EUlS19_E_NS1_11comp_targetILNS1_3genE10ELNS1_11target_archE1200ELNS1_3gpuE4ELNS1_3repE0EEENS1_30default_config_static_selectorELNS0_4arch9wavefront6targetE0EEEvT1_: ; @_ZN7rocprim17ROCPRIM_400000_NS6detail17trampoline_kernelINS0_14default_configENS1_25partition_config_selectorILNS1_17partition_subalgoE8ElNS0_10empty_typeEbEEZZNS1_14partition_implILS5_8ELb0ES3_jPlPS6_PKS6_NS0_5tupleIJS9_S6_EEENSD_IJSA_SA_EEENS0_18inequality_wrapperIZN2at6native12_GLOBAL__N_124unique_dim_cuda_templateIN3c104HalfEEESt5tupleIJNSH_6TensorESO_SO_EERKSO_lbbbEUlllE0_EEPmJS6_EEE10hipError_tPvRmT3_T4_T5_T6_T7_T9_mT8_P12ihipStream_tbDpT10_ENKUlT_T0_E_clISt17integral_constantIbLb0EES1D_IbLb1EEEEDaS19_S1A_EUlS19_E_NS1_11comp_targetILNS1_3genE10ELNS1_11target_archE1200ELNS1_3gpuE4ELNS1_3repE0EEENS1_30default_config_static_selectorELNS0_4arch9wavefront6targetE0EEEvT1_
; %bb.0:
	.section	.rodata,"a",@progbits
	.p2align	6, 0x0
	.amdhsa_kernel _ZN7rocprim17ROCPRIM_400000_NS6detail17trampoline_kernelINS0_14default_configENS1_25partition_config_selectorILNS1_17partition_subalgoE8ElNS0_10empty_typeEbEEZZNS1_14partition_implILS5_8ELb0ES3_jPlPS6_PKS6_NS0_5tupleIJS9_S6_EEENSD_IJSA_SA_EEENS0_18inequality_wrapperIZN2at6native12_GLOBAL__N_124unique_dim_cuda_templateIN3c104HalfEEESt5tupleIJNSH_6TensorESO_SO_EERKSO_lbbbEUlllE0_EEPmJS6_EEE10hipError_tPvRmT3_T4_T5_T6_T7_T9_mT8_P12ihipStream_tbDpT10_ENKUlT_T0_E_clISt17integral_constantIbLb0EES1D_IbLb1EEEEDaS19_S1A_EUlS19_E_NS1_11comp_targetILNS1_3genE10ELNS1_11target_archE1200ELNS1_3gpuE4ELNS1_3repE0EEENS1_30default_config_static_selectorELNS0_4arch9wavefront6targetE0EEEvT1_
		.amdhsa_group_segment_fixed_size 0
		.amdhsa_private_segment_fixed_size 0
		.amdhsa_kernarg_size 136
		.amdhsa_user_sgpr_count 15
		.amdhsa_user_sgpr_dispatch_ptr 0
		.amdhsa_user_sgpr_queue_ptr 0
		.amdhsa_user_sgpr_kernarg_segment_ptr 1
		.amdhsa_user_sgpr_dispatch_id 0
		.amdhsa_user_sgpr_private_segment_size 0
		.amdhsa_wavefront_size32 1
		.amdhsa_uses_dynamic_stack 0
		.amdhsa_enable_private_segment 0
		.amdhsa_system_sgpr_workgroup_id_x 1
		.amdhsa_system_sgpr_workgroup_id_y 0
		.amdhsa_system_sgpr_workgroup_id_z 0
		.amdhsa_system_sgpr_workgroup_info 0
		.amdhsa_system_vgpr_workitem_id 0
		.amdhsa_next_free_vgpr 1
		.amdhsa_next_free_sgpr 1
		.amdhsa_reserve_vcc 0
		.amdhsa_float_round_mode_32 0
		.amdhsa_float_round_mode_16_64 0
		.amdhsa_float_denorm_mode_32 3
		.amdhsa_float_denorm_mode_16_64 3
		.amdhsa_dx10_clamp 1
		.amdhsa_ieee_mode 1
		.amdhsa_fp16_overflow 0
		.amdhsa_workgroup_processor_mode 1
		.amdhsa_memory_ordered 1
		.amdhsa_forward_progress 0
		.amdhsa_shared_vgpr_count 0
		.amdhsa_exception_fp_ieee_invalid_op 0
		.amdhsa_exception_fp_denorm_src 0
		.amdhsa_exception_fp_ieee_div_zero 0
		.amdhsa_exception_fp_ieee_overflow 0
		.amdhsa_exception_fp_ieee_underflow 0
		.amdhsa_exception_fp_ieee_inexact 0
		.amdhsa_exception_int_div_zero 0
	.end_amdhsa_kernel
	.section	.text._ZN7rocprim17ROCPRIM_400000_NS6detail17trampoline_kernelINS0_14default_configENS1_25partition_config_selectorILNS1_17partition_subalgoE8ElNS0_10empty_typeEbEEZZNS1_14partition_implILS5_8ELb0ES3_jPlPS6_PKS6_NS0_5tupleIJS9_S6_EEENSD_IJSA_SA_EEENS0_18inequality_wrapperIZN2at6native12_GLOBAL__N_124unique_dim_cuda_templateIN3c104HalfEEESt5tupleIJNSH_6TensorESO_SO_EERKSO_lbbbEUlllE0_EEPmJS6_EEE10hipError_tPvRmT3_T4_T5_T6_T7_T9_mT8_P12ihipStream_tbDpT10_ENKUlT_T0_E_clISt17integral_constantIbLb0EES1D_IbLb1EEEEDaS19_S1A_EUlS19_E_NS1_11comp_targetILNS1_3genE10ELNS1_11target_archE1200ELNS1_3gpuE4ELNS1_3repE0EEENS1_30default_config_static_selectorELNS0_4arch9wavefront6targetE0EEEvT1_,"axG",@progbits,_ZN7rocprim17ROCPRIM_400000_NS6detail17trampoline_kernelINS0_14default_configENS1_25partition_config_selectorILNS1_17partition_subalgoE8ElNS0_10empty_typeEbEEZZNS1_14partition_implILS5_8ELb0ES3_jPlPS6_PKS6_NS0_5tupleIJS9_S6_EEENSD_IJSA_SA_EEENS0_18inequality_wrapperIZN2at6native12_GLOBAL__N_124unique_dim_cuda_templateIN3c104HalfEEESt5tupleIJNSH_6TensorESO_SO_EERKSO_lbbbEUlllE0_EEPmJS6_EEE10hipError_tPvRmT3_T4_T5_T6_T7_T9_mT8_P12ihipStream_tbDpT10_ENKUlT_T0_E_clISt17integral_constantIbLb0EES1D_IbLb1EEEEDaS19_S1A_EUlS19_E_NS1_11comp_targetILNS1_3genE10ELNS1_11target_archE1200ELNS1_3gpuE4ELNS1_3repE0EEENS1_30default_config_static_selectorELNS0_4arch9wavefront6targetE0EEEvT1_,comdat
.Lfunc_end1324:
	.size	_ZN7rocprim17ROCPRIM_400000_NS6detail17trampoline_kernelINS0_14default_configENS1_25partition_config_selectorILNS1_17partition_subalgoE8ElNS0_10empty_typeEbEEZZNS1_14partition_implILS5_8ELb0ES3_jPlPS6_PKS6_NS0_5tupleIJS9_S6_EEENSD_IJSA_SA_EEENS0_18inequality_wrapperIZN2at6native12_GLOBAL__N_124unique_dim_cuda_templateIN3c104HalfEEESt5tupleIJNSH_6TensorESO_SO_EERKSO_lbbbEUlllE0_EEPmJS6_EEE10hipError_tPvRmT3_T4_T5_T6_T7_T9_mT8_P12ihipStream_tbDpT10_ENKUlT_T0_E_clISt17integral_constantIbLb0EES1D_IbLb1EEEEDaS19_S1A_EUlS19_E_NS1_11comp_targetILNS1_3genE10ELNS1_11target_archE1200ELNS1_3gpuE4ELNS1_3repE0EEENS1_30default_config_static_selectorELNS0_4arch9wavefront6targetE0EEEvT1_, .Lfunc_end1324-_ZN7rocprim17ROCPRIM_400000_NS6detail17trampoline_kernelINS0_14default_configENS1_25partition_config_selectorILNS1_17partition_subalgoE8ElNS0_10empty_typeEbEEZZNS1_14partition_implILS5_8ELb0ES3_jPlPS6_PKS6_NS0_5tupleIJS9_S6_EEENSD_IJSA_SA_EEENS0_18inequality_wrapperIZN2at6native12_GLOBAL__N_124unique_dim_cuda_templateIN3c104HalfEEESt5tupleIJNSH_6TensorESO_SO_EERKSO_lbbbEUlllE0_EEPmJS6_EEE10hipError_tPvRmT3_T4_T5_T6_T7_T9_mT8_P12ihipStream_tbDpT10_ENKUlT_T0_E_clISt17integral_constantIbLb0EES1D_IbLb1EEEEDaS19_S1A_EUlS19_E_NS1_11comp_targetILNS1_3genE10ELNS1_11target_archE1200ELNS1_3gpuE4ELNS1_3repE0EEENS1_30default_config_static_selectorELNS0_4arch9wavefront6targetE0EEEvT1_
                                        ; -- End function
	.section	.AMDGPU.csdata,"",@progbits
; Kernel info:
; codeLenInByte = 0
; NumSgprs: 0
; NumVgprs: 0
; ScratchSize: 0
; MemoryBound: 0
; FloatMode: 240
; IeeeMode: 1
; LDSByteSize: 0 bytes/workgroup (compile time only)
; SGPRBlocks: 0
; VGPRBlocks: 0
; NumSGPRsForWavesPerEU: 1
; NumVGPRsForWavesPerEU: 1
; Occupancy: 15
; WaveLimiterHint : 0
; COMPUTE_PGM_RSRC2:SCRATCH_EN: 0
; COMPUTE_PGM_RSRC2:USER_SGPR: 15
; COMPUTE_PGM_RSRC2:TRAP_HANDLER: 0
; COMPUTE_PGM_RSRC2:TGID_X_EN: 1
; COMPUTE_PGM_RSRC2:TGID_Y_EN: 0
; COMPUTE_PGM_RSRC2:TGID_Z_EN: 0
; COMPUTE_PGM_RSRC2:TIDIG_COMP_CNT: 0
	.section	.text._ZN7rocprim17ROCPRIM_400000_NS6detail17trampoline_kernelINS0_14default_configENS1_25partition_config_selectorILNS1_17partition_subalgoE8ElNS0_10empty_typeEbEEZZNS1_14partition_implILS5_8ELb0ES3_jPlPS6_PKS6_NS0_5tupleIJS9_S6_EEENSD_IJSA_SA_EEENS0_18inequality_wrapperIZN2at6native12_GLOBAL__N_124unique_dim_cuda_templateIN3c104HalfEEESt5tupleIJNSH_6TensorESO_SO_EERKSO_lbbbEUlllE0_EEPmJS6_EEE10hipError_tPvRmT3_T4_T5_T6_T7_T9_mT8_P12ihipStream_tbDpT10_ENKUlT_T0_E_clISt17integral_constantIbLb0EES1D_IbLb1EEEEDaS19_S1A_EUlS19_E_NS1_11comp_targetILNS1_3genE9ELNS1_11target_archE1100ELNS1_3gpuE3ELNS1_3repE0EEENS1_30default_config_static_selectorELNS0_4arch9wavefront6targetE0EEEvT1_,"axG",@progbits,_ZN7rocprim17ROCPRIM_400000_NS6detail17trampoline_kernelINS0_14default_configENS1_25partition_config_selectorILNS1_17partition_subalgoE8ElNS0_10empty_typeEbEEZZNS1_14partition_implILS5_8ELb0ES3_jPlPS6_PKS6_NS0_5tupleIJS9_S6_EEENSD_IJSA_SA_EEENS0_18inequality_wrapperIZN2at6native12_GLOBAL__N_124unique_dim_cuda_templateIN3c104HalfEEESt5tupleIJNSH_6TensorESO_SO_EERKSO_lbbbEUlllE0_EEPmJS6_EEE10hipError_tPvRmT3_T4_T5_T6_T7_T9_mT8_P12ihipStream_tbDpT10_ENKUlT_T0_E_clISt17integral_constantIbLb0EES1D_IbLb1EEEEDaS19_S1A_EUlS19_E_NS1_11comp_targetILNS1_3genE9ELNS1_11target_archE1100ELNS1_3gpuE3ELNS1_3repE0EEENS1_30default_config_static_selectorELNS0_4arch9wavefront6targetE0EEEvT1_,comdat
	.globl	_ZN7rocprim17ROCPRIM_400000_NS6detail17trampoline_kernelINS0_14default_configENS1_25partition_config_selectorILNS1_17partition_subalgoE8ElNS0_10empty_typeEbEEZZNS1_14partition_implILS5_8ELb0ES3_jPlPS6_PKS6_NS0_5tupleIJS9_S6_EEENSD_IJSA_SA_EEENS0_18inequality_wrapperIZN2at6native12_GLOBAL__N_124unique_dim_cuda_templateIN3c104HalfEEESt5tupleIJNSH_6TensorESO_SO_EERKSO_lbbbEUlllE0_EEPmJS6_EEE10hipError_tPvRmT3_T4_T5_T6_T7_T9_mT8_P12ihipStream_tbDpT10_ENKUlT_T0_E_clISt17integral_constantIbLb0EES1D_IbLb1EEEEDaS19_S1A_EUlS19_E_NS1_11comp_targetILNS1_3genE9ELNS1_11target_archE1100ELNS1_3gpuE3ELNS1_3repE0EEENS1_30default_config_static_selectorELNS0_4arch9wavefront6targetE0EEEvT1_ ; -- Begin function _ZN7rocprim17ROCPRIM_400000_NS6detail17trampoline_kernelINS0_14default_configENS1_25partition_config_selectorILNS1_17partition_subalgoE8ElNS0_10empty_typeEbEEZZNS1_14partition_implILS5_8ELb0ES3_jPlPS6_PKS6_NS0_5tupleIJS9_S6_EEENSD_IJSA_SA_EEENS0_18inequality_wrapperIZN2at6native12_GLOBAL__N_124unique_dim_cuda_templateIN3c104HalfEEESt5tupleIJNSH_6TensorESO_SO_EERKSO_lbbbEUlllE0_EEPmJS6_EEE10hipError_tPvRmT3_T4_T5_T6_T7_T9_mT8_P12ihipStream_tbDpT10_ENKUlT_T0_E_clISt17integral_constantIbLb0EES1D_IbLb1EEEEDaS19_S1A_EUlS19_E_NS1_11comp_targetILNS1_3genE9ELNS1_11target_archE1100ELNS1_3gpuE3ELNS1_3repE0EEENS1_30default_config_static_selectorELNS0_4arch9wavefront6targetE0EEEvT1_
	.p2align	8
	.type	_ZN7rocprim17ROCPRIM_400000_NS6detail17trampoline_kernelINS0_14default_configENS1_25partition_config_selectorILNS1_17partition_subalgoE8ElNS0_10empty_typeEbEEZZNS1_14partition_implILS5_8ELb0ES3_jPlPS6_PKS6_NS0_5tupleIJS9_S6_EEENSD_IJSA_SA_EEENS0_18inequality_wrapperIZN2at6native12_GLOBAL__N_124unique_dim_cuda_templateIN3c104HalfEEESt5tupleIJNSH_6TensorESO_SO_EERKSO_lbbbEUlllE0_EEPmJS6_EEE10hipError_tPvRmT3_T4_T5_T6_T7_T9_mT8_P12ihipStream_tbDpT10_ENKUlT_T0_E_clISt17integral_constantIbLb0EES1D_IbLb1EEEEDaS19_S1A_EUlS19_E_NS1_11comp_targetILNS1_3genE9ELNS1_11target_archE1100ELNS1_3gpuE3ELNS1_3repE0EEENS1_30default_config_static_selectorELNS0_4arch9wavefront6targetE0EEEvT1_,@function
_ZN7rocprim17ROCPRIM_400000_NS6detail17trampoline_kernelINS0_14default_configENS1_25partition_config_selectorILNS1_17partition_subalgoE8ElNS0_10empty_typeEbEEZZNS1_14partition_implILS5_8ELb0ES3_jPlPS6_PKS6_NS0_5tupleIJS9_S6_EEENSD_IJSA_SA_EEENS0_18inequality_wrapperIZN2at6native12_GLOBAL__N_124unique_dim_cuda_templateIN3c104HalfEEESt5tupleIJNSH_6TensorESO_SO_EERKSO_lbbbEUlllE0_EEPmJS6_EEE10hipError_tPvRmT3_T4_T5_T6_T7_T9_mT8_P12ihipStream_tbDpT10_ENKUlT_T0_E_clISt17integral_constantIbLb0EES1D_IbLb1EEEEDaS19_S1A_EUlS19_E_NS1_11comp_targetILNS1_3genE9ELNS1_11target_archE1100ELNS1_3gpuE3ELNS1_3repE0EEENS1_30default_config_static_selectorELNS0_4arch9wavefront6targetE0EEEvT1_: ; @_ZN7rocprim17ROCPRIM_400000_NS6detail17trampoline_kernelINS0_14default_configENS1_25partition_config_selectorILNS1_17partition_subalgoE8ElNS0_10empty_typeEbEEZZNS1_14partition_implILS5_8ELb0ES3_jPlPS6_PKS6_NS0_5tupleIJS9_S6_EEENSD_IJSA_SA_EEENS0_18inequality_wrapperIZN2at6native12_GLOBAL__N_124unique_dim_cuda_templateIN3c104HalfEEESt5tupleIJNSH_6TensorESO_SO_EERKSO_lbbbEUlllE0_EEPmJS6_EEE10hipError_tPvRmT3_T4_T5_T6_T7_T9_mT8_P12ihipStream_tbDpT10_ENKUlT_T0_E_clISt17integral_constantIbLb0EES1D_IbLb1EEEEDaS19_S1A_EUlS19_E_NS1_11comp_targetILNS1_3genE9ELNS1_11target_archE1100ELNS1_3gpuE3ELNS1_3repE0EEENS1_30default_config_static_selectorELNS0_4arch9wavefront6targetE0EEEvT1_
; %bb.0:
	s_clause 0x2
	s_load_b64 s[20:21], s[0:1], 0x28
	s_load_b256 s[8:15], s[0:1], 0x40
	s_load_b128 s[16:19], s[0:1], 0x60
	v_cmp_ne_u32_e64 s3, 0, v0
	v_cmp_eq_u32_e64 s2, 0, v0
	s_delay_alu instid0(VALU_DEP_1)
	s_and_saveexec_b32 s4, s2
	s_cbranch_execz .LBB1325_4
; %bb.1:
	s_mov_b32 s6, exec_lo
	s_mov_b32 s5, exec_lo
	v_mbcnt_lo_u32_b32 v1, s6, 0
                                        ; implicit-def: $vgpr2
	s_delay_alu instid0(VALU_DEP_1)
	v_cmpx_eq_u32_e32 0, v1
	s_cbranch_execz .LBB1325_3
; %bb.2:
	s_load_b64 s[22:23], s[0:1], 0x78
	s_bcnt1_i32_b32 s6, s6
	s_delay_alu instid0(SALU_CYCLE_1)
	v_dual_mov_b32 v2, 0 :: v_dual_mov_b32 v3, s6
	s_waitcnt lgkmcnt(0)
	global_atomic_add_u32 v2, v2, v3, s[22:23] glc
.LBB1325_3:
	s_or_b32 exec_lo, exec_lo, s5
	s_waitcnt vmcnt(0)
	v_readfirstlane_b32 s5, v2
	s_delay_alu instid0(VALU_DEP_1)
	v_dual_mov_b32 v2, 0 :: v_dual_add_nc_u32 v1, s5, v1
	ds_store_b32 v2, v1
.LBB1325_4:
	s_or_b32 exec_lo, exec_lo, s4
	v_dual_mov_b32 v2, 0 :: v_dual_lshlrev_b32 v39, 3, v0
	s_clause 0x1
	s_load_b128 s[4:7], s[0:1], 0x8
	s_load_b32 s0, s[0:1], 0x70
	s_waitcnt lgkmcnt(0)
	s_barrier
	buffer_gl0_inv
	ds_load_b32 v1, v2
	s_waitcnt lgkmcnt(0)
	s_barrier
	buffer_gl0_inv
	global_load_b64 v[3:4], v2, s[10:11]
	v_lshrrev_b32_e32 v19, 2, v0
	v_or_b32_e32 v26, 0x200, v0
	v_or_b32_e32 v25, 0x400, v0
	;; [unrolled: 1-line block ×7, first 2 shown]
	s_lshl_b64 s[10:11], s[6:7], 3
	s_delay_alu instid0(SALU_CYCLE_1)
	s_add_u32 s10, s4, s10
	s_addc_u32 s11, s5, s11
	s_add_i32 s1, s0, -1
	v_readfirstlane_b32 s23, v1
	s_lshl_b32 s4, s1, 12
	v_lshlrev_b32_e32 v1, 12, v1
	s_lshl_b32 s5, s0, 12
	s_add_i32 s0, s6, s4
	s_add_u32 s4, s6, s5
	s_addc_u32 s5, s7, 0
	v_lshlrev_b64 v[1:2], 3, v[1:2]
	v_cmp_ge_u64_e64 s4, s[4:5], s[12:13]
	s_cmp_eq_u32 s23, s1
	s_cselect_b32 s13, -1, 0
	s_delay_alu instid0(VALU_DEP_2) | instskip(NEXT) | instid1(VALU_DEP_2)
	v_add_co_u32 v17, vcc_lo, s10, v1
	s_and_b32 s1, s4, s13
	v_add_co_ci_u32_e32 v18, vcc_lo, s11, v2, vcc_lo
	s_xor_b32 s22, s1, -1
	s_mov_b32 s4, -1
	s_and_b32 vcc_lo, exec_lo, s22
	s_waitcnt vmcnt(0)
	v_readfirstlane_b32 s10, v3
	v_readfirstlane_b32 s11, v4
	s_cbranch_vccz .LBB1325_6
; %bb.5:
	v_add_co_u32 v9, vcc_lo, v17, v39
	v_add_co_ci_u32_e32 v10, vcc_lo, 0, v18, vcc_lo
	v_readfirstlane_b32 s4, v17
	s_delay_alu instid0(VALU_DEP_3) | instskip(NEXT) | instid1(VALU_DEP_3)
	v_add_co_u32 v3, vcc_lo, v9, 0x2000
	v_add_co_ci_u32_e32 v4, vcc_lo, 0, v10, vcc_lo
	v_add_co_u32 v5, vcc_lo, v9, 0x4000
	v_add_co_ci_u32_e32 v6, vcc_lo, 0, v10, vcc_lo
	v_add_co_u32 v7, vcc_lo, v9, 0x6000
	v_readfirstlane_b32 s5, v18
	v_add_co_ci_u32_e32 v8, vcc_lo, 0, v10, vcc_lo
	v_add_co_u32 v9, vcc_lo, 0x7000, v9
	v_add_co_ci_u32_e32 v10, vcc_lo, 0, v10, vcc_lo
	s_clause 0x7
	global_load_b64 v[1:2], v39, s[4:5]
	global_load_b64 v[11:12], v[3:4], off offset:-4096
	global_load_b64 v[3:4], v[3:4], off
	global_load_b64 v[13:14], v[5:6], off offset:-4096
	global_load_b64 v[5:6], v[5:6], off
	;; [unrolled: 2-line block ×3, first 2 shown]
	global_load_b64 v[9:10], v[9:10], off
	v_lshrrev_b32_e32 v28, 2, v26
	v_lshrrev_b32_e32 v29, 2, v25
	;; [unrolled: 1-line block ×4, first 2 shown]
	v_and_b32_e32 v27, 0x78, v19
	v_lshrrev_b32_e32 v32, 2, v22
	v_lshrrev_b32_e32 v33, 2, v21
	;; [unrolled: 1-line block ×3, first 2 shown]
	v_and_b32_e32 v28, 0xf8, v28
	v_and_b32_e32 v29, 0x178, v29
	;; [unrolled: 1-line block ×4, first 2 shown]
	v_add_nc_u32_e32 v27, v27, v39
	v_and_b32_e32 v32, 0x2f8, v32
	v_and_b32_e32 v33, 0x378, v33
	;; [unrolled: 1-line block ×3, first 2 shown]
	v_add_nc_u32_e32 v28, v28, v39
	v_add_nc_u32_e32 v29, v29, v39
	;; [unrolled: 1-line block ×4, first 2 shown]
	s_mov_b32 s4, 0
	v_add_nc_u32_e32 v32, v32, v39
	v_add_nc_u32_e32 v33, v33, v39
	;; [unrolled: 1-line block ×3, first 2 shown]
	s_waitcnt vmcnt(7)
	ds_store_b64 v27, v[1:2]
	s_waitcnt vmcnt(6)
	ds_store_b64 v28, v[11:12] offset:4096
	s_waitcnt vmcnt(5)
	ds_store_b64 v29, v[3:4] offset:8192
	;; [unrolled: 2-line block ×7, first 2 shown]
	s_waitcnt lgkmcnt(0)
	s_barrier
.LBB1325_6:
	s_and_not1_b32 vcc_lo, exec_lo, s4
	s_sub_i32 s12, s12, s0
	s_cbranch_vccnz .LBB1325_17
; %bb.7:
	s_mov_b32 s0, exec_lo
                                        ; implicit-def: $vgpr1_vgpr2_vgpr3_vgpr4_vgpr5_vgpr6_vgpr7_vgpr8_vgpr9_vgpr10_vgpr11_vgpr12_vgpr13_vgpr14_vgpr15_vgpr16
	v_cmpx_gt_u32_e64 s12, v0
	s_cbranch_execnz .LBB1325_27
; %bb.8:
	s_or_b32 exec_lo, exec_lo, s0
	s_delay_alu instid0(SALU_CYCLE_1)
	s_mov_b32 s0, exec_lo
	v_cmpx_gt_u32_e64 s12, v26
	s_cbranch_execnz .LBB1325_28
.LBB1325_9:
	s_or_b32 exec_lo, exec_lo, s0
	s_delay_alu instid0(SALU_CYCLE_1)
	s_mov_b32 s0, exec_lo
	v_cmpx_gt_u32_e64 s12, v25
	s_cbranch_execnz .LBB1325_29
.LBB1325_10:
	s_or_b32 exec_lo, exec_lo, s0
	s_delay_alu instid0(SALU_CYCLE_1)
	s_mov_b32 s0, exec_lo
	v_cmpx_gt_u32_e64 s12, v24
	s_cbranch_execnz .LBB1325_30
.LBB1325_11:
	s_or_b32 exec_lo, exec_lo, s0
	s_delay_alu instid0(SALU_CYCLE_1)
	s_mov_b32 s0, exec_lo
	v_cmpx_gt_u32_e64 s12, v23
	s_cbranch_execnz .LBB1325_31
.LBB1325_12:
	s_or_b32 exec_lo, exec_lo, s0
	s_delay_alu instid0(SALU_CYCLE_1)
	s_mov_b32 s0, exec_lo
	v_cmpx_gt_u32_e64 s12, v22
	s_cbranch_execnz .LBB1325_32
.LBB1325_13:
	s_or_b32 exec_lo, exec_lo, s0
	s_delay_alu instid0(SALU_CYCLE_1)
	s_mov_b32 s0, exec_lo
	v_cmpx_gt_u32_e64 s12, v21
	s_cbranch_execnz .LBB1325_33
.LBB1325_14:
	s_or_b32 exec_lo, exec_lo, s0
	s_delay_alu instid0(SALU_CYCLE_1)
	s_mov_b32 s0, exec_lo
	v_cmpx_gt_u32_e64 s12, v20
	s_cbranch_execz .LBB1325_16
.LBB1325_15:
	v_lshlrev_b32_e32 v15, 3, v20
	v_readfirstlane_b32 s4, v17
	v_readfirstlane_b32 s5, v18
	global_load_b64 v[15:16], v15, s[4:5]
.LBB1325_16:
	s_or_b32 exec_lo, exec_lo, s0
	v_lshrrev_b32_e32 v26, 2, v26
	v_lshrrev_b32_e32 v25, 2, v25
	;; [unrolled: 1-line block ×4, first 2 shown]
	v_and_b32_e32 v27, 0x78, v19
	v_lshrrev_b32_e32 v22, 2, v22
	v_lshrrev_b32_e32 v21, 2, v21
	;; [unrolled: 1-line block ×3, first 2 shown]
	v_and_b32_e32 v26, 0xf8, v26
	v_and_b32_e32 v25, 0x1f8, v25
	;; [unrolled: 1-line block ×4, first 2 shown]
	v_add_nc_u32_e32 v27, v27, v39
	v_and_b32_e32 v22, 0x3f8, v22
	v_and_b32_e32 v21, 0x3f8, v21
	;; [unrolled: 1-line block ×3, first 2 shown]
	v_add_nc_u32_e32 v26, v26, v39
	v_add_nc_u32_e32 v25, v25, v39
	;; [unrolled: 1-line block ×7, first 2 shown]
	s_waitcnt vmcnt(0)
	ds_store_b64 v27, v[1:2]
	ds_store_b64 v26, v[3:4] offset:4096
	ds_store_b64 v25, v[5:6] offset:8192
	;; [unrolled: 1-line block ×7, first 2 shown]
	s_waitcnt lgkmcnt(0)
	s_barrier
.LBB1325_17:
	v_add_lshl_u32 v1, v19, v39, 3
	buffer_gl0_inv
	s_cmp_lg_u32 s23, 0
	v_cmp_gt_i64_e64 s26, s[14:15], 0
	s_cselect_b32 s24, -1, 0
	ds_load_2addr_b64 v[13:16], v1 offset1:1
	ds_load_2addr_b64 v[9:12], v1 offset0:2 offset1:3
	ds_load_2addr_b64 v[5:8], v1 offset0:4 offset1:5
	ds_load_2addr_b64 v[1:4], v1 offset0:6 offset1:7
	s_cmp_lg_u64 s[6:7], 0
	s_mov_b32 s25, 0
	s_cselect_b32 s0, -1, 0
	s_waitcnt lgkmcnt(0)
	s_or_b32 s0, s0, s24
	s_barrier
	s_and_b32 vcc_lo, exec_lo, s0
	buffer_gl0_inv
	s_cbranch_vccz .LBB1325_26
; %bb.18:
	global_load_b64 v[17:18], v[17:18], off offset:-8
	v_cndmask_b32_e64 v27, 0, 1, s26
	s_and_b32 vcc_lo, exec_lo, s22
	ds_store_b64 v39, v[3:4]
	v_cmp_ne_u32_e64 s0, 1, v27
	s_cbranch_vccz .LBB1325_34
; %bb.19:
	v_mul_lo_u32 v21, v2, s14
	v_mul_lo_u32 v22, v1, s15
	v_mad_u64_u32 v[19:20], null, v1, s14, 0
	s_and_b32 vcc_lo, exec_lo, s0
	s_mov_b32 s27, 0
	s_delay_alu instid0(VALU_DEP_1) | instskip(NEXT) | instid1(VALU_DEP_1)
	v_add3_u32 v20, v20, v22, v21
	v_lshlrev_b64 v[19:20], 1, v[19:20]
	s_cbranch_vccnz .LBB1325_37
; %bb.20:
	v_mul_lo_u32 v23, v4, s14
	v_mul_lo_u32 v24, v3, s15
	v_mad_u64_u32 v[21:22], null, v3, s14, 0
	s_mov_b32 s27, -1
	s_mov_b32 s28, exec_lo
	s_delay_alu instid0(VALU_DEP_1) | instskip(SKIP_2) | instid1(VALU_DEP_3)
	v_add3_u32 v22, v22, v24, v23
	v_add_co_u32 v23, vcc_lo, s16, v19
	v_add_co_ci_u32_e32 v24, vcc_lo, s17, v20, vcc_lo
	v_lshlrev_b64 v[21:22], 1, v[21:22]
	s_delay_alu instid0(VALU_DEP_1) | instskip(NEXT) | instid1(VALU_DEP_2)
	v_add_co_u32 v21, vcc_lo, s16, v21
	v_add_co_ci_u32_e32 v22, vcc_lo, s17, v22, vcc_lo
	s_clause 0x1
	global_load_u16 v25, v[23:24], off
	global_load_u16 v26, v[21:22], off
	s_waitcnt vmcnt(0)
	v_cmpx_eq_f16_e32 v25, v26
	s_cbranch_execz .LBB1325_36
; %bb.21:
	v_add_co_u32 v21, vcc_lo, v21, 2
	v_add_co_ci_u32_e32 v22, vcc_lo, 0, v22, vcc_lo
	v_add_co_u32 v23, vcc_lo, v23, 2
	v_add_co_ci_u32_e32 v24, vcc_lo, 0, v24, vcc_lo
	s_add_u32 s4, s14, -1
	s_addc_u32 s5, s15, -1
	s_mov_b64 s[6:7], 0
	s_mov_b32 s27, 0
                                        ; implicit-def: $sgpr29
	s_set_inst_prefetch_distance 0x1
	s_branch .LBB1325_24
	.p2align	6
.LBB1325_22:                            ;   in Loop: Header=BB1325_24 Depth=1
	global_load_u16 v25, v[23:24], off
	global_load_u16 v26, v[21:22], off
	v_add_co_u32 v21, vcc_lo, v21, 2
	v_add_co_ci_u32_e32 v22, vcc_lo, 0, v22, vcc_lo
	v_add_co_u32 v23, s0, v23, 2
	s_delay_alu instid0(VALU_DEP_1)
	v_add_co_ci_u32_e64 v24, s0, 0, v24, s0
	s_add_u32 s6, s6, 1
	s_addc_u32 s7, s7, 0
	s_and_not1_b32 s0, s29, exec_lo
	s_waitcnt vmcnt(0)
	v_cmp_neq_f16_e32 vcc_lo, v25, v26
	s_and_b32 s29, vcc_lo, exec_lo
	s_delay_alu instid0(SALU_CYCLE_1)
	s_or_b32 s29, s0, s29
.LBB1325_23:                            ;   in Loop: Header=BB1325_24 Depth=1
	v_dual_mov_b32 v26, s7 :: v_dual_mov_b32 v25, s6
	s_and_b32 s0, exec_lo, s29
	s_delay_alu instid0(SALU_CYCLE_1) | instskip(NEXT) | instid1(SALU_CYCLE_1)
	s_or_b32 s27, s0, s27
	s_and_not1_b32 exec_lo, exec_lo, s27
	s_cbranch_execz .LBB1325_35
.LBB1325_24:                            ; =>This Inner Loop Header: Depth=1
	s_or_b32 s29, s29, exec_lo
	s_cmp_eq_u64 s[4:5], s[6:7]
	s_cbranch_scc0 .LBB1325_22
; %bb.25:                               ;   in Loop: Header=BB1325_24 Depth=1
	s_mov_b64 s[6:7], s[14:15]
                                        ; implicit-def: $vgpr21_vgpr22
                                        ; implicit-def: $vgpr23_vgpr24
	s_branch .LBB1325_23
.LBB1325_26:
                                        ; implicit-def: $sgpr0
                                        ; implicit-def: $vgpr20
	s_branch .LBB1325_195
.LBB1325_27:
	v_readfirstlane_b32 s4, v17
	v_readfirstlane_b32 s5, v18
	global_load_b64 v[1:2], v39, s[4:5]
	s_or_b32 exec_lo, exec_lo, s0
	s_delay_alu instid0(SALU_CYCLE_1)
	s_mov_b32 s0, exec_lo
	v_cmpx_gt_u32_e64 s12, v26
	s_cbranch_execz .LBB1325_9
.LBB1325_28:
	v_lshlrev_b32_e32 v3, 3, v26
	v_readfirstlane_b32 s4, v17
	v_readfirstlane_b32 s5, v18
	global_load_b64 v[3:4], v3, s[4:5]
	s_or_b32 exec_lo, exec_lo, s0
	s_delay_alu instid0(SALU_CYCLE_1)
	s_mov_b32 s0, exec_lo
	v_cmpx_gt_u32_e64 s12, v25
	s_cbranch_execz .LBB1325_10
.LBB1325_29:
	v_lshlrev_b32_e32 v5, 3, v25
	v_readfirstlane_b32 s4, v17
	v_readfirstlane_b32 s5, v18
	global_load_b64 v[5:6], v5, s[4:5]
	s_or_b32 exec_lo, exec_lo, s0
	s_delay_alu instid0(SALU_CYCLE_1)
	s_mov_b32 s0, exec_lo
	v_cmpx_gt_u32_e64 s12, v24
	s_cbranch_execz .LBB1325_11
.LBB1325_30:
	v_lshlrev_b32_e32 v7, 3, v24
	v_readfirstlane_b32 s4, v17
	v_readfirstlane_b32 s5, v18
	global_load_b64 v[7:8], v7, s[4:5]
	s_or_b32 exec_lo, exec_lo, s0
	s_delay_alu instid0(SALU_CYCLE_1)
	s_mov_b32 s0, exec_lo
	v_cmpx_gt_u32_e64 s12, v23
	s_cbranch_execz .LBB1325_12
.LBB1325_31:
	v_lshlrev_b32_e32 v9, 3, v23
	v_readfirstlane_b32 s4, v17
	v_readfirstlane_b32 s5, v18
	global_load_b64 v[9:10], v9, s[4:5]
	s_or_b32 exec_lo, exec_lo, s0
	s_delay_alu instid0(SALU_CYCLE_1)
	s_mov_b32 s0, exec_lo
	v_cmpx_gt_u32_e64 s12, v22
	s_cbranch_execz .LBB1325_13
.LBB1325_32:
	v_lshlrev_b32_e32 v11, 3, v22
	v_readfirstlane_b32 s4, v17
	v_readfirstlane_b32 s5, v18
	global_load_b64 v[11:12], v11, s[4:5]
	s_or_b32 exec_lo, exec_lo, s0
	s_delay_alu instid0(SALU_CYCLE_1)
	s_mov_b32 s0, exec_lo
	v_cmpx_gt_u32_e64 s12, v21
	s_cbranch_execz .LBB1325_14
.LBB1325_33:
	v_lshlrev_b32_e32 v13, 3, v21
	v_readfirstlane_b32 s4, v17
	v_readfirstlane_b32 s5, v18
	global_load_b64 v[13:14], v13, s[4:5]
	s_or_b32 exec_lo, exec_lo, s0
	s_delay_alu instid0(SALU_CYCLE_1)
	s_mov_b32 s0, exec_lo
	v_cmpx_gt_u32_e64 s12, v20
	s_cbranch_execnz .LBB1325_15
	s_branch .LBB1325_16
.LBB1325_34:
                                        ; implicit-def: $sgpr0
                                        ; implicit-def: $vgpr20
	s_cbranch_execnz .LBB1325_103
	s_branch .LBB1325_194
.LBB1325_35:
	s_set_inst_prefetch_distance 0x2
	s_or_b32 exec_lo, exec_lo, s27
	v_cmp_gt_i64_e32 vcc_lo, s[14:15], v[25:26]
	s_or_not1_b32 s27, vcc_lo, exec_lo
.LBB1325_36:
	s_or_b32 exec_lo, exec_lo, s28
.LBB1325_37:
	v_mul_lo_u32 v23, v8, s14
	v_mul_lo_u32 v24, v7, s15
	v_mad_u64_u32 v[21:22], null, v7, s14, 0
	s_and_not1_b32 vcc_lo, exec_lo, s26
	s_delay_alu instid0(VALU_DEP_1) | instskip(NEXT) | instid1(VALU_DEP_1)
	v_add3_u32 v22, v22, v24, v23
	v_lshlrev_b64 v[21:22], 1, v[21:22]
	s_cbranch_vccnz .LBB1325_46
; %bb.38:
	s_delay_alu instid0(VALU_DEP_1) | instskip(NEXT) | instid1(VALU_DEP_2)
	v_add_co_u32 v23, vcc_lo, s16, v21
	v_add_co_ci_u32_e32 v24, vcc_lo, s17, v22, vcc_lo
	v_add_co_u32 v19, vcc_lo, s16, v19
	v_add_co_ci_u32_e32 v20, vcc_lo, s17, v20, vcc_lo
	s_mov_b32 s25, -1
	s_clause 0x1
	global_load_u16 v25, v[23:24], off
	global_load_u16 v26, v[19:20], off
	s_mov_b32 s28, exec_lo
	s_waitcnt vmcnt(0)
	v_cmpx_eq_f16_e32 v25, v26
	s_cbranch_execz .LBB1325_45
; %bb.39:
	v_add_co_u32 v19, vcc_lo, v19, 2
	v_add_co_ci_u32_e32 v20, vcc_lo, 0, v20, vcc_lo
	v_add_co_u32 v23, vcc_lo, v23, 2
	v_add_co_ci_u32_e32 v24, vcc_lo, 0, v24, vcc_lo
	s_add_u32 s4, s14, -1
	s_addc_u32 s5, s15, -1
	s_mov_b64 s[6:7], 0
	s_mov_b32 s25, 0
                                        ; implicit-def: $sgpr29
	s_set_inst_prefetch_distance 0x1
	s_branch .LBB1325_42
	.p2align	6
.LBB1325_40:                            ;   in Loop: Header=BB1325_42 Depth=1
	global_load_u16 v25, v[23:24], off
	global_load_u16 v26, v[19:20], off
	v_add_co_u32 v19, vcc_lo, v19, 2
	v_add_co_ci_u32_e32 v20, vcc_lo, 0, v20, vcc_lo
	v_add_co_u32 v23, s0, v23, 2
	s_delay_alu instid0(VALU_DEP_1)
	v_add_co_ci_u32_e64 v24, s0, 0, v24, s0
	s_add_u32 s6, s6, 1
	s_addc_u32 s7, s7, 0
	s_and_not1_b32 s0, s29, exec_lo
	s_waitcnt vmcnt(0)
	v_cmp_neq_f16_e32 vcc_lo, v25, v26
	s_and_b32 s29, vcc_lo, exec_lo
	s_delay_alu instid0(SALU_CYCLE_1)
	s_or_b32 s29, s0, s29
.LBB1325_41:                            ;   in Loop: Header=BB1325_42 Depth=1
	v_dual_mov_b32 v26, s7 :: v_dual_mov_b32 v25, s6
	s_and_b32 s0, exec_lo, s29
	s_delay_alu instid0(SALU_CYCLE_1) | instskip(NEXT) | instid1(SALU_CYCLE_1)
	s_or_b32 s25, s0, s25
	s_and_not1_b32 exec_lo, exec_lo, s25
	s_cbranch_execz .LBB1325_44
.LBB1325_42:                            ; =>This Inner Loop Header: Depth=1
	s_or_b32 s29, s29, exec_lo
	s_cmp_eq_u64 s[4:5], s[6:7]
	s_cbranch_scc0 .LBB1325_40
; %bb.43:                               ;   in Loop: Header=BB1325_42 Depth=1
	s_mov_b64 s[6:7], s[14:15]
                                        ; implicit-def: $vgpr19_vgpr20
                                        ; implicit-def: $vgpr23_vgpr24
	s_branch .LBB1325_41
.LBB1325_44:
	s_set_inst_prefetch_distance 0x2
	s_or_b32 exec_lo, exec_lo, s25
	v_cmp_gt_i64_e32 vcc_lo, s[14:15], v[25:26]
	s_or_not1_b32 s25, vcc_lo, exec_lo
.LBB1325_45:
	s_or_b32 exec_lo, exec_lo, s28
.LBB1325_46:
	v_mul_lo_u32 v23, v6, s14
	v_mul_lo_u32 v24, v5, s15
	v_mad_u64_u32 v[19:20], null, v5, s14, 0
	s_mov_b32 s28, 0
	s_and_not1_b32 vcc_lo, exec_lo, s26
	s_mov_b32 s29, 0
	s_delay_alu instid0(VALU_DEP_1) | instskip(NEXT) | instid1(VALU_DEP_1)
	v_add3_u32 v20, v20, v24, v23
	v_lshlrev_b64 v[23:24], 1, v[19:20]
	s_cbranch_vccnz .LBB1325_55
; %bb.47:
	s_delay_alu instid0(VALU_DEP_1) | instskip(NEXT) | instid1(VALU_DEP_2)
	v_add_co_u32 v25, vcc_lo, s16, v23
	v_add_co_ci_u32_e32 v26, vcc_lo, s17, v24, vcc_lo
	v_add_co_u32 v19, vcc_lo, s16, v21
	v_add_co_ci_u32_e32 v20, vcc_lo, s17, v22, vcc_lo
	s_mov_b32 s29, -1
	s_clause 0x1
	global_load_u16 v21, v[25:26], off
	global_load_u16 v22, v[19:20], off
	s_mov_b32 s30, exec_lo
	s_waitcnt vmcnt(0)
	v_cmpx_eq_f16_e32 v21, v22
	s_cbranch_execz .LBB1325_54
; %bb.48:
	v_add_co_u32 v19, vcc_lo, v19, 2
	v_add_co_ci_u32_e32 v20, vcc_lo, 0, v20, vcc_lo
	v_add_co_u32 v21, vcc_lo, v25, 2
	v_add_co_ci_u32_e32 v22, vcc_lo, 0, v26, vcc_lo
	s_add_u32 s4, s14, -1
	s_addc_u32 s5, s15, -1
	s_mov_b64 s[6:7], 0
	s_mov_b32 s29, 0
                                        ; implicit-def: $sgpr31
	s_set_inst_prefetch_distance 0x1
	s_branch .LBB1325_51
	.p2align	6
.LBB1325_49:                            ;   in Loop: Header=BB1325_51 Depth=1
	global_load_u16 v25, v[21:22], off
	global_load_u16 v26, v[19:20], off
	v_add_co_u32 v19, vcc_lo, v19, 2
	v_add_co_ci_u32_e32 v20, vcc_lo, 0, v20, vcc_lo
	v_add_co_u32 v21, s0, v21, 2
	s_delay_alu instid0(VALU_DEP_1)
	v_add_co_ci_u32_e64 v22, s0, 0, v22, s0
	s_add_u32 s6, s6, 1
	s_addc_u32 s7, s7, 0
	s_and_not1_b32 s0, s31, exec_lo
	s_waitcnt vmcnt(0)
	v_cmp_neq_f16_e32 vcc_lo, v25, v26
	s_and_b32 s31, vcc_lo, exec_lo
	s_delay_alu instid0(SALU_CYCLE_1)
	s_or_b32 s31, s0, s31
.LBB1325_50:                            ;   in Loop: Header=BB1325_51 Depth=1
	v_dual_mov_b32 v26, s7 :: v_dual_mov_b32 v25, s6
	s_and_b32 s0, exec_lo, s31
	s_delay_alu instid0(SALU_CYCLE_1) | instskip(NEXT) | instid1(SALU_CYCLE_1)
	s_or_b32 s29, s0, s29
	s_and_not1_b32 exec_lo, exec_lo, s29
	s_cbranch_execz .LBB1325_53
.LBB1325_51:                            ; =>This Inner Loop Header: Depth=1
	s_or_b32 s31, s31, exec_lo
	s_cmp_eq_u64 s[4:5], s[6:7]
	s_cbranch_scc0 .LBB1325_49
; %bb.52:                               ;   in Loop: Header=BB1325_51 Depth=1
	s_mov_b64 s[6:7], s[14:15]
                                        ; implicit-def: $vgpr19_vgpr20
                                        ; implicit-def: $vgpr21_vgpr22
	s_branch .LBB1325_50
.LBB1325_53:
	s_set_inst_prefetch_distance 0x2
	s_or_b32 exec_lo, exec_lo, s29
	v_cmp_gt_i64_e32 vcc_lo, s[14:15], v[25:26]
	s_or_not1_b32 s29, vcc_lo, exec_lo
.LBB1325_54:
	s_or_b32 exec_lo, exec_lo, s30
.LBB1325_55:
	v_mul_lo_u32 v21, v12, s14
	v_mul_lo_u32 v22, v11, s15
	v_mad_u64_u32 v[19:20], null, v11, s14, 0
	s_and_not1_b32 vcc_lo, exec_lo, s26
	s_delay_alu instid0(VALU_DEP_1) | instskip(NEXT) | instid1(VALU_DEP_1)
	v_add3_u32 v20, v20, v22, v21
	v_lshlrev_b64 v[19:20], 1, v[19:20]
	s_cbranch_vccnz .LBB1325_64
; %bb.56:
	s_delay_alu instid0(VALU_DEP_1) | instskip(NEXT) | instid1(VALU_DEP_2)
	v_add_co_u32 v25, vcc_lo, s16, v19
	v_add_co_ci_u32_e32 v26, vcc_lo, s17, v20, vcc_lo
	v_add_co_u32 v21, vcc_lo, s16, v23
	v_add_co_ci_u32_e32 v22, vcc_lo, s17, v24, vcc_lo
	s_mov_b32 s28, -1
	s_clause 0x1
	global_load_u16 v23, v[25:26], off
	global_load_u16 v24, v[21:22], off
	s_mov_b32 s30, exec_lo
	s_waitcnt vmcnt(0)
	v_cmpx_eq_f16_e32 v23, v24
	s_cbranch_execz .LBB1325_63
; %bb.57:
	v_add_co_u32 v21, vcc_lo, v21, 2
	v_add_co_ci_u32_e32 v22, vcc_lo, 0, v22, vcc_lo
	v_add_co_u32 v23, vcc_lo, v25, 2
	v_add_co_ci_u32_e32 v24, vcc_lo, 0, v26, vcc_lo
	s_add_u32 s4, s14, -1
	s_addc_u32 s5, s15, -1
	s_mov_b64 s[6:7], 0
	s_mov_b32 s28, 0
                                        ; implicit-def: $sgpr31
	s_set_inst_prefetch_distance 0x1
	s_branch .LBB1325_60
	.p2align	6
.LBB1325_58:                            ;   in Loop: Header=BB1325_60 Depth=1
	global_load_u16 v25, v[23:24], off
	global_load_u16 v26, v[21:22], off
	v_add_co_u32 v21, vcc_lo, v21, 2
	v_add_co_ci_u32_e32 v22, vcc_lo, 0, v22, vcc_lo
	v_add_co_u32 v23, s0, v23, 2
	s_delay_alu instid0(VALU_DEP_1)
	v_add_co_ci_u32_e64 v24, s0, 0, v24, s0
	s_add_u32 s6, s6, 1
	s_addc_u32 s7, s7, 0
	s_and_not1_b32 s0, s31, exec_lo
	s_waitcnt vmcnt(0)
	v_cmp_neq_f16_e32 vcc_lo, v25, v26
	s_and_b32 s31, vcc_lo, exec_lo
	s_delay_alu instid0(SALU_CYCLE_1)
	s_or_b32 s31, s0, s31
.LBB1325_59:                            ;   in Loop: Header=BB1325_60 Depth=1
	v_dual_mov_b32 v26, s7 :: v_dual_mov_b32 v25, s6
	s_and_b32 s0, exec_lo, s31
	s_delay_alu instid0(SALU_CYCLE_1) | instskip(NEXT) | instid1(SALU_CYCLE_1)
	s_or_b32 s28, s0, s28
	s_and_not1_b32 exec_lo, exec_lo, s28
	s_cbranch_execz .LBB1325_62
.LBB1325_60:                            ; =>This Inner Loop Header: Depth=1
	s_or_b32 s31, s31, exec_lo
	s_cmp_eq_u64 s[4:5], s[6:7]
	s_cbranch_scc0 .LBB1325_58
; %bb.61:                               ;   in Loop: Header=BB1325_60 Depth=1
	s_mov_b64 s[6:7], s[14:15]
                                        ; implicit-def: $vgpr21_vgpr22
                                        ; implicit-def: $vgpr23_vgpr24
	s_branch .LBB1325_59
.LBB1325_62:
	s_set_inst_prefetch_distance 0x2
	s_or_b32 exec_lo, exec_lo, s28
	v_cmp_gt_i64_e32 vcc_lo, s[14:15], v[25:26]
	s_or_not1_b32 s28, vcc_lo, exec_lo
.LBB1325_63:
	s_or_b32 exec_lo, exec_lo, s30
.LBB1325_64:
	v_mul_lo_u32 v23, v10, s14
	v_mul_lo_u32 v24, v9, s15
	v_mad_u64_u32 v[21:22], null, v9, s14, 0
	s_mov_b32 s30, 0
	s_and_not1_b32 vcc_lo, exec_lo, s26
	s_mov_b32 s31, 0
	s_delay_alu instid0(VALU_DEP_1) | instskip(NEXT) | instid1(VALU_DEP_1)
	v_add3_u32 v22, v22, v24, v23
	v_lshlrev_b64 v[23:24], 1, v[21:22]
	s_cbranch_vccnz .LBB1325_73
; %bb.65:
	s_delay_alu instid0(VALU_DEP_1) | instskip(NEXT) | instid1(VALU_DEP_2)
	v_add_co_u32 v21, vcc_lo, s16, v23
	v_add_co_ci_u32_e32 v22, vcc_lo, s17, v24, vcc_lo
	v_add_co_u32 v19, vcc_lo, s16, v19
	v_add_co_ci_u32_e32 v20, vcc_lo, s17, v20, vcc_lo
	s_mov_b32 s31, -1
	s_clause 0x1
	global_load_u16 v25, v[21:22], off
	global_load_u16 v26, v[19:20], off
	s_mov_b32 s33, exec_lo
	s_waitcnt vmcnt(0)
	v_cmpx_eq_f16_e32 v25, v26
	s_cbranch_execz .LBB1325_72
; %bb.66:
	v_add_co_u32 v19, vcc_lo, v19, 2
	v_add_co_ci_u32_e32 v20, vcc_lo, 0, v20, vcc_lo
	v_add_co_u32 v21, vcc_lo, v21, 2
	v_add_co_ci_u32_e32 v22, vcc_lo, 0, v22, vcc_lo
	s_add_u32 s4, s14, -1
	s_addc_u32 s5, s15, -1
	s_mov_b64 s[6:7], 0
	s_mov_b32 s31, 0
                                        ; implicit-def: $sgpr34
	s_set_inst_prefetch_distance 0x1
	s_branch .LBB1325_69
	.p2align	6
.LBB1325_67:                            ;   in Loop: Header=BB1325_69 Depth=1
	global_load_u16 v25, v[21:22], off
	global_load_u16 v26, v[19:20], off
	v_add_co_u32 v19, vcc_lo, v19, 2
	v_add_co_ci_u32_e32 v20, vcc_lo, 0, v20, vcc_lo
	v_add_co_u32 v21, s0, v21, 2
	s_delay_alu instid0(VALU_DEP_1)
	v_add_co_ci_u32_e64 v22, s0, 0, v22, s0
	s_add_u32 s6, s6, 1
	s_addc_u32 s7, s7, 0
	s_and_not1_b32 s0, s34, exec_lo
	s_waitcnt vmcnt(0)
	v_cmp_neq_f16_e32 vcc_lo, v25, v26
	s_and_b32 s34, vcc_lo, exec_lo
	s_delay_alu instid0(SALU_CYCLE_1)
	s_or_b32 s34, s0, s34
.LBB1325_68:                            ;   in Loop: Header=BB1325_69 Depth=1
	v_dual_mov_b32 v26, s7 :: v_dual_mov_b32 v25, s6
	s_and_b32 s0, exec_lo, s34
	s_delay_alu instid0(SALU_CYCLE_1) | instskip(NEXT) | instid1(SALU_CYCLE_1)
	s_or_b32 s31, s0, s31
	s_and_not1_b32 exec_lo, exec_lo, s31
	s_cbranch_execz .LBB1325_71
.LBB1325_69:                            ; =>This Inner Loop Header: Depth=1
	s_or_b32 s34, s34, exec_lo
	s_cmp_eq_u64 s[4:5], s[6:7]
	s_cbranch_scc0 .LBB1325_67
; %bb.70:                               ;   in Loop: Header=BB1325_69 Depth=1
	s_mov_b64 s[6:7], s[14:15]
                                        ; implicit-def: $vgpr19_vgpr20
                                        ; implicit-def: $vgpr21_vgpr22
	s_branch .LBB1325_68
.LBB1325_71:
	s_set_inst_prefetch_distance 0x2
	s_or_b32 exec_lo, exec_lo, s31
	v_cmp_gt_i64_e32 vcc_lo, s[14:15], v[25:26]
	s_or_not1_b32 s31, vcc_lo, exec_lo
.LBB1325_72:
	s_or_b32 exec_lo, exec_lo, s33
.LBB1325_73:
	v_mul_lo_u32 v21, v16, s14
	v_mul_lo_u32 v22, v15, s15
	v_mad_u64_u32 v[19:20], null, v15, s14, 0
	s_and_not1_b32 vcc_lo, exec_lo, s26
	s_delay_alu instid0(VALU_DEP_1) | instskip(NEXT) | instid1(VALU_DEP_1)
	v_add3_u32 v20, v20, v22, v21
	v_lshlrev_b64 v[21:22], 1, v[19:20]
	s_cbranch_vccnz .LBB1325_82
; %bb.74:
	s_delay_alu instid0(VALU_DEP_1) | instskip(NEXT) | instid1(VALU_DEP_2)
	v_add_co_u32 v25, vcc_lo, s16, v21
	v_add_co_ci_u32_e32 v26, vcc_lo, s17, v22, vcc_lo
	v_add_co_u32 v19, vcc_lo, s16, v23
	v_add_co_ci_u32_e32 v20, vcc_lo, s17, v24, vcc_lo
	s_mov_b32 s30, -1
	s_clause 0x1
	global_load_u16 v23, v[25:26], off
	global_load_u16 v24, v[19:20], off
	s_mov_b32 s33, exec_lo
	s_waitcnt vmcnt(0)
	v_cmpx_eq_f16_e32 v23, v24
	s_cbranch_execz .LBB1325_81
; %bb.75:
	v_add_co_u32 v19, vcc_lo, v19, 2
	v_add_co_ci_u32_e32 v20, vcc_lo, 0, v20, vcc_lo
	v_add_co_u32 v23, vcc_lo, v25, 2
	v_add_co_ci_u32_e32 v24, vcc_lo, 0, v26, vcc_lo
	s_add_u32 s4, s14, -1
	s_addc_u32 s5, s15, -1
	s_mov_b64 s[6:7], 0
	s_mov_b32 s30, 0
                                        ; implicit-def: $sgpr34
	s_set_inst_prefetch_distance 0x1
	s_branch .LBB1325_78
	.p2align	6
.LBB1325_76:                            ;   in Loop: Header=BB1325_78 Depth=1
	global_load_u16 v25, v[23:24], off
	global_load_u16 v26, v[19:20], off
	v_add_co_u32 v19, vcc_lo, v19, 2
	v_add_co_ci_u32_e32 v20, vcc_lo, 0, v20, vcc_lo
	v_add_co_u32 v23, s0, v23, 2
	s_delay_alu instid0(VALU_DEP_1)
	v_add_co_ci_u32_e64 v24, s0, 0, v24, s0
	s_add_u32 s6, s6, 1
	s_addc_u32 s7, s7, 0
	s_and_not1_b32 s0, s34, exec_lo
	s_waitcnt vmcnt(0)
	v_cmp_neq_f16_e32 vcc_lo, v25, v26
	s_and_b32 s34, vcc_lo, exec_lo
	s_delay_alu instid0(SALU_CYCLE_1)
	s_or_b32 s34, s0, s34
.LBB1325_77:                            ;   in Loop: Header=BB1325_78 Depth=1
	v_dual_mov_b32 v26, s7 :: v_dual_mov_b32 v25, s6
	s_and_b32 s0, exec_lo, s34
	s_delay_alu instid0(SALU_CYCLE_1) | instskip(NEXT) | instid1(SALU_CYCLE_1)
	s_or_b32 s30, s0, s30
	s_and_not1_b32 exec_lo, exec_lo, s30
	s_cbranch_execz .LBB1325_80
.LBB1325_78:                            ; =>This Inner Loop Header: Depth=1
	s_or_b32 s34, s34, exec_lo
	s_cmp_eq_u64 s[4:5], s[6:7]
	s_cbranch_scc0 .LBB1325_76
; %bb.79:                               ;   in Loop: Header=BB1325_78 Depth=1
	s_mov_b64 s[6:7], s[14:15]
                                        ; implicit-def: $vgpr19_vgpr20
                                        ; implicit-def: $vgpr23_vgpr24
	s_branch .LBB1325_77
.LBB1325_80:
	s_set_inst_prefetch_distance 0x2
	s_or_b32 exec_lo, exec_lo, s30
	v_cmp_gt_i64_e32 vcc_lo, s[14:15], v[25:26]
	s_or_not1_b32 s30, vcc_lo, exec_lo
.LBB1325_81:
	s_or_b32 exec_lo, exec_lo, s33
.LBB1325_82:
	v_mul_lo_u32 v23, v14, s14
	v_mul_lo_u32 v24, v13, s15
	v_mad_u64_u32 v[19:20], null, v13, s14, 0
	s_and_not1_b32 vcc_lo, exec_lo, s26
	s_mov_b32 s0, 0
	s_delay_alu instid0(VALU_DEP_1) | instskip(NEXT) | instid1(VALU_DEP_1)
	v_add3_u32 v20, v20, v24, v23
	v_lshlrev_b64 v[19:20], 1, v[19:20]
	s_cbranch_vccnz .LBB1325_91
; %bb.83:
	s_delay_alu instid0(VALU_DEP_1) | instskip(NEXT) | instid1(VALU_DEP_2)
	v_add_co_u32 v23, vcc_lo, s16, v19
	v_add_co_ci_u32_e32 v24, vcc_lo, s17, v20, vcc_lo
	v_add_co_u32 v21, vcc_lo, s16, v21
	v_add_co_ci_u32_e32 v22, vcc_lo, s17, v22, vcc_lo
	s_mov_b32 s0, -1
	s_clause 0x1
	global_load_u16 v25, v[23:24], off
	global_load_u16 v26, v[21:22], off
	s_mov_b32 s33, exec_lo
	s_waitcnt vmcnt(0)
	v_cmpx_eq_f16_e32 v25, v26
	s_cbranch_execz .LBB1325_90
; %bb.84:
	v_add_co_u32 v21, vcc_lo, v21, 2
	v_add_co_ci_u32_e32 v22, vcc_lo, 0, v22, vcc_lo
	v_add_co_u32 v23, vcc_lo, v23, 2
	v_add_co_ci_u32_e32 v24, vcc_lo, 0, v24, vcc_lo
	s_add_u32 s4, s14, -1
	s_addc_u32 s5, s15, -1
	s_mov_b64 s[6:7], 0
	s_mov_b32 s34, 0
                                        ; implicit-def: $sgpr35
	s_set_inst_prefetch_distance 0x1
	s_branch .LBB1325_87
	.p2align	6
.LBB1325_85:                            ;   in Loop: Header=BB1325_87 Depth=1
	global_load_u16 v25, v[23:24], off
	global_load_u16 v26, v[21:22], off
	v_add_co_u32 v21, vcc_lo, v21, 2
	v_add_co_ci_u32_e32 v22, vcc_lo, 0, v22, vcc_lo
	v_add_co_u32 v23, s0, v23, 2
	s_delay_alu instid0(VALU_DEP_1)
	v_add_co_ci_u32_e64 v24, s0, 0, v24, s0
	s_add_u32 s6, s6, 1
	s_addc_u32 s7, s7, 0
	s_and_not1_b32 s0, s35, exec_lo
	s_waitcnt vmcnt(0)
	v_cmp_neq_f16_e32 vcc_lo, v25, v26
	s_and_b32 s35, vcc_lo, exec_lo
	s_delay_alu instid0(SALU_CYCLE_1)
	s_or_b32 s35, s0, s35
.LBB1325_86:                            ;   in Loop: Header=BB1325_87 Depth=1
	v_dual_mov_b32 v26, s7 :: v_dual_mov_b32 v25, s6
	s_and_b32 s0, exec_lo, s35
	s_delay_alu instid0(SALU_CYCLE_1) | instskip(NEXT) | instid1(SALU_CYCLE_1)
	s_or_b32 s34, s0, s34
	s_and_not1_b32 exec_lo, exec_lo, s34
	s_cbranch_execz .LBB1325_89
.LBB1325_87:                            ; =>This Inner Loop Header: Depth=1
	s_or_b32 s35, s35, exec_lo
	s_cmp_eq_u64 s[4:5], s[6:7]
	s_cbranch_scc0 .LBB1325_85
; %bb.88:                               ;   in Loop: Header=BB1325_87 Depth=1
	s_mov_b64 s[6:7], s[14:15]
                                        ; implicit-def: $vgpr21_vgpr22
                                        ; implicit-def: $vgpr23_vgpr24
	s_branch .LBB1325_86
.LBB1325_89:
	s_set_inst_prefetch_distance 0x2
	s_or_b32 exec_lo, exec_lo, s34
	v_cmp_gt_i64_e32 vcc_lo, s[14:15], v[25:26]
	s_or_not1_b32 s0, vcc_lo, exec_lo
.LBB1325_90:
	s_or_b32 exec_lo, exec_lo, s33
.LBB1325_91:
	s_waitcnt vmcnt(0)
	v_dual_mov_b32 v22, v18 :: v_dual_mov_b32 v21, v17
	s_waitcnt lgkmcnt(0)
	s_barrier
	buffer_gl0_inv
	s_and_saveexec_b32 s4, s3
	s_cbranch_execz .LBB1325_93
; %bb.92:
	v_add_nc_u32_e32 v21, -8, v39
	ds_load_b64 v[21:22], v21
.LBB1325_93:
	s_or_b32 exec_lo, exec_lo, s4
	v_cndmask_b32_e64 v24, 0, 1, s31
	v_cndmask_b32_e64 v26, 0, 1, s29
	;; [unrolled: 1-line block ×7, first 2 shown]
	v_lshlrev_b16 v24, 8, v24
	v_lshlrev_b16 v26, 8, v26
	;; [unrolled: 1-line block ×4, first 2 shown]
	s_mov_b32 s25, 0
	v_or_b32_e32 v23, v23, v24
	v_or_b32_e32 v24, v25, v26
	;; [unrolled: 1-line block ×3, first 2 shown]
	v_and_b32_e32 v25, 0xffff, v29
	s_and_not1_b32 vcc_lo, exec_lo, s26
	v_lshlrev_b32_e32 v26, 16, v23
	v_and_b32_e32 v28, 0xffff, v24
	v_lshlrev_b32_e32 v29, 16, v30
	s_mov_b32 s0, 0
	s_cbranch_vccnz .LBB1325_102
; %bb.94:
	s_waitcnt lgkmcnt(0)
	v_mul_lo_u32 v24, v22, s14
	v_mul_lo_u32 v30, v21, s15
	v_mad_u64_u32 v[22:23], null, v21, s14, 0
	s_mov_b32 s0, -1
	s_mov_b32 s27, exec_lo
	s_delay_alu instid0(VALU_DEP_1) | instskip(NEXT) | instid1(VALU_DEP_1)
	v_add3_u32 v23, v23, v30, v24
	v_lshlrev_b64 v[21:22], 1, v[22:23]
	s_delay_alu instid0(VALU_DEP_1) | instskip(NEXT) | instid1(VALU_DEP_2)
	v_add_co_u32 v21, vcc_lo, s16, v21
	v_add_co_ci_u32_e32 v22, vcc_lo, s17, v22, vcc_lo
	v_add_co_u32 v19, vcc_lo, s16, v19
	v_add_co_ci_u32_e32 v20, vcc_lo, s17, v20, vcc_lo
	s_clause 0x1
	global_load_u16 v23, v[21:22], off
	global_load_u16 v24, v[19:20], off
	s_waitcnt vmcnt(0)
	v_cmpx_eq_f16_e32 v23, v24
	s_cbranch_execz .LBB1325_101
; %bb.95:
	v_add_co_u32 v19, vcc_lo, v19, 2
	v_add_co_ci_u32_e32 v20, vcc_lo, 0, v20, vcc_lo
	v_add_co_u32 v21, vcc_lo, v21, 2
	v_add_co_ci_u32_e32 v22, vcc_lo, 0, v22, vcc_lo
	s_add_u32 s4, s14, -1
	s_addc_u32 s5, s15, -1
	s_mov_b64 s[6:7], 0
	s_mov_b32 s28, 0
                                        ; implicit-def: $sgpr29
	s_set_inst_prefetch_distance 0x1
	s_branch .LBB1325_98
	.p2align	6
.LBB1325_96:                            ;   in Loop: Header=BB1325_98 Depth=1
	global_load_u16 v23, v[21:22], off
	global_load_u16 v24, v[19:20], off
	v_add_co_u32 v19, vcc_lo, v19, 2
	v_add_co_ci_u32_e32 v20, vcc_lo, 0, v20, vcc_lo
	v_add_co_u32 v21, s0, v21, 2
	s_delay_alu instid0(VALU_DEP_1)
	v_add_co_ci_u32_e64 v22, s0, 0, v22, s0
	s_add_u32 s6, s6, 1
	s_addc_u32 s7, s7, 0
	s_and_not1_b32 s0, s29, exec_lo
	s_waitcnt vmcnt(0)
	v_cmp_neq_f16_e32 vcc_lo, v23, v24
	s_and_b32 s29, vcc_lo, exec_lo
	s_delay_alu instid0(SALU_CYCLE_1)
	s_or_b32 s29, s0, s29
.LBB1325_97:                            ;   in Loop: Header=BB1325_98 Depth=1
	v_dual_mov_b32 v24, s7 :: v_dual_mov_b32 v23, s6
	s_and_b32 s0, exec_lo, s29
	s_delay_alu instid0(SALU_CYCLE_1) | instskip(NEXT) | instid1(SALU_CYCLE_1)
	s_or_b32 s28, s0, s28
	s_and_not1_b32 exec_lo, exec_lo, s28
	s_cbranch_execz .LBB1325_100
.LBB1325_98:                            ; =>This Inner Loop Header: Depth=1
	s_or_b32 s29, s29, exec_lo
	s_cmp_eq_u64 s[4:5], s[6:7]
	s_cbranch_scc0 .LBB1325_96
; %bb.99:                               ;   in Loop: Header=BB1325_98 Depth=1
	s_mov_b64 s[6:7], s[14:15]
                                        ; implicit-def: $vgpr19_vgpr20
                                        ; implicit-def: $vgpr21_vgpr22
	s_branch .LBB1325_97
.LBB1325_100:
	s_set_inst_prefetch_distance 0x2
	s_or_b32 exec_lo, exec_lo, s28
	v_cmp_gt_i64_e32 vcc_lo, s[14:15], v[23:24]
	s_or_not1_b32 s0, vcc_lo, exec_lo
.LBB1325_101:
	s_or_b32 exec_lo, exec_lo, s27
.LBB1325_102:
	v_or_b32_e32 v19, v25, v26
	s_delay_alu instid0(VALU_DEP_2)
	v_or_b32_e32 v20, v28, v29
	s_and_b32 vcc_lo, exec_lo, s25
	s_cbranch_vccz .LBB1325_194
.LBB1325_103:
	v_or_b32_e32 v19, 7, v39
	s_mov_b32 s25, 0
	s_mov_b32 s27, 0
	s_mov_b32 s28, exec_lo
	s_delay_alu instid0(VALU_DEP_1)
	v_cmpx_gt_u32_e64 s12, v19
	s_cbranch_execz .LBB1325_114
; %bb.104:
	s_and_not1_b32 vcc_lo, exec_lo, s26
	s_mov_b32 s0, 0
	s_cbranch_vccnz .LBB1325_113
; %bb.105:
	v_mul_lo_u32 v23, v2, s14
	v_mul_lo_u32 v24, v1, s15
	v_mad_u64_u32 v[19:20], null, v1, s14, 0
	v_mul_lo_u32 v25, v4, s14
	v_mul_lo_u32 v26, v3, s15
	s_waitcnt lgkmcnt(0)
	v_mad_u64_u32 v[21:22], null, v3, s14, 0
	s_mov_b32 s0, -1
	s_mov_b32 s26, exec_lo
	s_delay_alu instid0(VALU_DEP_4) | instskip(NEXT) | instid1(VALU_DEP_2)
	v_add3_u32 v20, v20, v24, v23
	v_add3_u32 v22, v22, v26, v25
	s_delay_alu instid0(VALU_DEP_2) | instskip(NEXT) | instid1(VALU_DEP_2)
	v_lshlrev_b64 v[19:20], 1, v[19:20]
	v_lshlrev_b64 v[23:24], 1, v[21:22]
	s_delay_alu instid0(VALU_DEP_2) | instskip(NEXT) | instid1(VALU_DEP_3)
	v_add_co_u32 v21, vcc_lo, s16, v19
	v_add_co_ci_u32_e32 v22, vcc_lo, s17, v20, vcc_lo
	s_delay_alu instid0(VALU_DEP_3) | instskip(NEXT) | instid1(VALU_DEP_4)
	v_add_co_u32 v19, vcc_lo, s16, v23
	v_add_co_ci_u32_e32 v20, vcc_lo, s17, v24, vcc_lo
	s_clause 0x1
	global_load_u16 v23, v[21:22], off
	global_load_u16 v24, v[19:20], off
	s_waitcnt vmcnt(0)
	v_cmpx_eq_f16_e32 v23, v24
	s_cbranch_execz .LBB1325_112
; %bb.106:
	v_add_co_u32 v19, vcc_lo, v19, 2
	v_add_co_ci_u32_e32 v20, vcc_lo, 0, v20, vcc_lo
	v_add_co_u32 v21, vcc_lo, v21, 2
	v_add_co_ci_u32_e32 v22, vcc_lo, 0, v22, vcc_lo
	s_add_u32 s4, s14, -1
	s_addc_u32 s5, s15, -1
	s_mov_b64 s[6:7], 0
                                        ; implicit-def: $sgpr29
	s_set_inst_prefetch_distance 0x1
	s_branch .LBB1325_109
	.p2align	6
.LBB1325_107:                           ;   in Loop: Header=BB1325_109 Depth=1
	global_load_u16 v23, v[21:22], off
	global_load_u16 v24, v[19:20], off
	v_add_co_u32 v19, vcc_lo, v19, 2
	v_add_co_ci_u32_e32 v20, vcc_lo, 0, v20, vcc_lo
	v_add_co_u32 v21, s0, v21, 2
	s_delay_alu instid0(VALU_DEP_1)
	v_add_co_ci_u32_e64 v22, s0, 0, v22, s0
	s_add_u32 s6, s6, 1
	s_addc_u32 s7, s7, 0
	s_and_not1_b32 s0, s29, exec_lo
	s_waitcnt vmcnt(0)
	v_cmp_neq_f16_e32 vcc_lo, v23, v24
	s_and_b32 s29, vcc_lo, exec_lo
	s_delay_alu instid0(SALU_CYCLE_1)
	s_or_b32 s29, s0, s29
.LBB1325_108:                           ;   in Loop: Header=BB1325_109 Depth=1
	v_dual_mov_b32 v24, s7 :: v_dual_mov_b32 v23, s6
	s_and_b32 s0, exec_lo, s29
	s_delay_alu instid0(SALU_CYCLE_1) | instskip(NEXT) | instid1(SALU_CYCLE_1)
	s_or_b32 s27, s0, s27
	s_and_not1_b32 exec_lo, exec_lo, s27
	s_cbranch_execz .LBB1325_111
.LBB1325_109:                           ; =>This Inner Loop Header: Depth=1
	s_or_b32 s29, s29, exec_lo
	s_cmp_eq_u64 s[4:5], s[6:7]
	s_cbranch_scc0 .LBB1325_107
; %bb.110:                              ;   in Loop: Header=BB1325_109 Depth=1
	s_mov_b64 s[6:7], s[14:15]
                                        ; implicit-def: $vgpr19_vgpr20
                                        ; implicit-def: $vgpr21_vgpr22
	s_branch .LBB1325_108
.LBB1325_111:
	s_set_inst_prefetch_distance 0x2
	s_or_b32 exec_lo, exec_lo, s27
	v_cmp_gt_i64_e32 vcc_lo, s[14:15], v[23:24]
	s_or_not1_b32 s0, vcc_lo, exec_lo
.LBB1325_112:
	s_or_b32 exec_lo, exec_lo, s26
.LBB1325_113:
	s_delay_alu instid0(SALU_CYCLE_1)
	s_and_b32 s27, s0, exec_lo
.LBB1325_114:
	s_or_b32 exec_lo, exec_lo, s28
	v_or_b32_e32 v19, 6, v39
	s_mov_b32 s26, exec_lo
	s_delay_alu instid0(VALU_DEP_1)
	v_cmpx_gt_u32_e64 s12, v19
	s_cbranch_execz .LBB1325_125
; %bb.115:
	v_cmp_ne_u32_e32 vcc_lo, 1, v27
	s_mov_b32 s0, 0
	s_cbranch_vccnz .LBB1325_124
; %bb.116:
	v_mul_lo_u32 v23, v8, s14
	v_mul_lo_u32 v24, v7, s15
	v_mad_u64_u32 v[19:20], null, v7, s14, 0
	v_mul_lo_u32 v25, v2, s14
	v_mul_lo_u32 v26, v1, s15
	s_waitcnt lgkmcnt(0)
	v_mad_u64_u32 v[21:22], null, v1, s14, 0
	s_mov_b32 s0, -1
	s_mov_b32 s25, exec_lo
	s_delay_alu instid0(VALU_DEP_4) | instskip(NEXT) | instid1(VALU_DEP_2)
	v_add3_u32 v20, v20, v24, v23
	v_add3_u32 v22, v22, v26, v25
	s_delay_alu instid0(VALU_DEP_2) | instskip(NEXT) | instid1(VALU_DEP_2)
	v_lshlrev_b64 v[19:20], 1, v[19:20]
	v_lshlrev_b64 v[23:24], 1, v[21:22]
	s_delay_alu instid0(VALU_DEP_2) | instskip(NEXT) | instid1(VALU_DEP_3)
	v_add_co_u32 v21, vcc_lo, s16, v19
	v_add_co_ci_u32_e32 v22, vcc_lo, s17, v20, vcc_lo
	s_delay_alu instid0(VALU_DEP_3) | instskip(NEXT) | instid1(VALU_DEP_4)
	v_add_co_u32 v19, vcc_lo, s16, v23
	v_add_co_ci_u32_e32 v20, vcc_lo, s17, v24, vcc_lo
	s_clause 0x1
	global_load_u16 v23, v[21:22], off
	global_load_u16 v24, v[19:20], off
	s_waitcnt vmcnt(0)
	v_cmpx_eq_f16_e32 v23, v24
	s_cbranch_execz .LBB1325_123
; %bb.117:
	v_add_co_u32 v19, vcc_lo, v19, 2
	v_add_co_ci_u32_e32 v20, vcc_lo, 0, v20, vcc_lo
	v_add_co_u32 v21, vcc_lo, v21, 2
	v_add_co_ci_u32_e32 v22, vcc_lo, 0, v22, vcc_lo
	s_add_u32 s4, s14, -1
	s_addc_u32 s5, s15, -1
	s_mov_b64 s[6:7], 0
	s_mov_b32 s28, 0
                                        ; implicit-def: $sgpr29
	s_set_inst_prefetch_distance 0x1
	s_branch .LBB1325_120
	.p2align	6
.LBB1325_118:                           ;   in Loop: Header=BB1325_120 Depth=1
	global_load_u16 v23, v[21:22], off
	global_load_u16 v24, v[19:20], off
	v_add_co_u32 v19, vcc_lo, v19, 2
	v_add_co_ci_u32_e32 v20, vcc_lo, 0, v20, vcc_lo
	v_add_co_u32 v21, s0, v21, 2
	s_delay_alu instid0(VALU_DEP_1)
	v_add_co_ci_u32_e64 v22, s0, 0, v22, s0
	s_add_u32 s6, s6, 1
	s_addc_u32 s7, s7, 0
	s_and_not1_b32 s0, s29, exec_lo
	s_waitcnt vmcnt(0)
	v_cmp_neq_f16_e32 vcc_lo, v23, v24
	s_and_b32 s29, vcc_lo, exec_lo
	s_delay_alu instid0(SALU_CYCLE_1)
	s_or_b32 s29, s0, s29
.LBB1325_119:                           ;   in Loop: Header=BB1325_120 Depth=1
	v_dual_mov_b32 v24, s7 :: v_dual_mov_b32 v23, s6
	s_and_b32 s0, exec_lo, s29
	s_delay_alu instid0(SALU_CYCLE_1) | instskip(NEXT) | instid1(SALU_CYCLE_1)
	s_or_b32 s28, s0, s28
	s_and_not1_b32 exec_lo, exec_lo, s28
	s_cbranch_execz .LBB1325_122
.LBB1325_120:                           ; =>This Inner Loop Header: Depth=1
	s_or_b32 s29, s29, exec_lo
	s_cmp_eq_u64 s[4:5], s[6:7]
	s_cbranch_scc0 .LBB1325_118
; %bb.121:                              ;   in Loop: Header=BB1325_120 Depth=1
	s_mov_b64 s[6:7], s[14:15]
                                        ; implicit-def: $vgpr19_vgpr20
                                        ; implicit-def: $vgpr21_vgpr22
	s_branch .LBB1325_119
.LBB1325_122:
	s_set_inst_prefetch_distance 0x2
	s_or_b32 exec_lo, exec_lo, s28
	v_cmp_gt_i64_e32 vcc_lo, s[14:15], v[23:24]
	s_or_not1_b32 s0, vcc_lo, exec_lo
.LBB1325_123:
	s_or_b32 exec_lo, exec_lo, s25
.LBB1325_124:
	s_delay_alu instid0(SALU_CYCLE_1)
	s_and_b32 s25, s0, exec_lo
.LBB1325_125:
	s_or_b32 exec_lo, exec_lo, s26
	v_or_b32_e32 v19, 5, v39
	s_mov_b32 s28, 0
	s_mov_b32 s26, 0
	s_mov_b32 s29, exec_lo
	s_delay_alu instid0(VALU_DEP_1)
	v_cmpx_gt_u32_e64 s12, v19
	s_cbranch_execz .LBB1325_136
; %bb.126:
	v_cmp_ne_u32_e32 vcc_lo, 1, v27
	s_mov_b32 s0, 0
	s_cbranch_vccnz .LBB1325_135
; %bb.127:
	v_mul_lo_u32 v23, v6, s14
	v_mul_lo_u32 v24, v5, s15
	v_mad_u64_u32 v[19:20], null, v5, s14, 0
	v_mul_lo_u32 v25, v8, s14
	v_mul_lo_u32 v26, v7, s15
	s_waitcnt lgkmcnt(0)
	v_mad_u64_u32 v[21:22], null, v7, s14, 0
	s_mov_b32 s0, -1
	s_mov_b32 s26, exec_lo
	s_delay_alu instid0(VALU_DEP_4) | instskip(NEXT) | instid1(VALU_DEP_2)
	v_add3_u32 v20, v20, v24, v23
	v_add3_u32 v22, v22, v26, v25
	s_delay_alu instid0(VALU_DEP_2) | instskip(NEXT) | instid1(VALU_DEP_2)
	v_lshlrev_b64 v[19:20], 1, v[19:20]
	v_lshlrev_b64 v[23:24], 1, v[21:22]
	s_delay_alu instid0(VALU_DEP_2) | instskip(NEXT) | instid1(VALU_DEP_3)
	v_add_co_u32 v21, vcc_lo, s16, v19
	v_add_co_ci_u32_e32 v22, vcc_lo, s17, v20, vcc_lo
	s_delay_alu instid0(VALU_DEP_3) | instskip(NEXT) | instid1(VALU_DEP_4)
	v_add_co_u32 v19, vcc_lo, s16, v23
	v_add_co_ci_u32_e32 v20, vcc_lo, s17, v24, vcc_lo
	s_clause 0x1
	global_load_u16 v23, v[21:22], off
	global_load_u16 v24, v[19:20], off
	s_waitcnt vmcnt(0)
	v_cmpx_eq_f16_e32 v23, v24
	s_cbranch_execz .LBB1325_134
; %bb.128:
	v_add_co_u32 v19, vcc_lo, v19, 2
	v_add_co_ci_u32_e32 v20, vcc_lo, 0, v20, vcc_lo
	v_add_co_u32 v21, vcc_lo, v21, 2
	v_add_co_ci_u32_e32 v22, vcc_lo, 0, v22, vcc_lo
	s_add_u32 s4, s14, -1
	s_addc_u32 s5, s15, -1
	s_mov_b64 s[6:7], 0
	s_mov_b32 s30, 0
                                        ; implicit-def: $sgpr31
	s_set_inst_prefetch_distance 0x1
	s_branch .LBB1325_131
	.p2align	6
.LBB1325_129:                           ;   in Loop: Header=BB1325_131 Depth=1
	global_load_u16 v23, v[21:22], off
	global_load_u16 v24, v[19:20], off
	v_add_co_u32 v19, vcc_lo, v19, 2
	v_add_co_ci_u32_e32 v20, vcc_lo, 0, v20, vcc_lo
	v_add_co_u32 v21, s0, v21, 2
	s_delay_alu instid0(VALU_DEP_1)
	v_add_co_ci_u32_e64 v22, s0, 0, v22, s0
	s_add_u32 s6, s6, 1
	s_addc_u32 s7, s7, 0
	s_and_not1_b32 s0, s31, exec_lo
	s_waitcnt vmcnt(0)
	v_cmp_neq_f16_e32 vcc_lo, v23, v24
	s_and_b32 s31, vcc_lo, exec_lo
	s_delay_alu instid0(SALU_CYCLE_1)
	s_or_b32 s31, s0, s31
.LBB1325_130:                           ;   in Loop: Header=BB1325_131 Depth=1
	v_dual_mov_b32 v24, s7 :: v_dual_mov_b32 v23, s6
	s_and_b32 s0, exec_lo, s31
	s_delay_alu instid0(SALU_CYCLE_1) | instskip(NEXT) | instid1(SALU_CYCLE_1)
	s_or_b32 s30, s0, s30
	s_and_not1_b32 exec_lo, exec_lo, s30
	s_cbranch_execz .LBB1325_133
.LBB1325_131:                           ; =>This Inner Loop Header: Depth=1
	s_or_b32 s31, s31, exec_lo
	s_cmp_eq_u64 s[4:5], s[6:7]
	s_cbranch_scc0 .LBB1325_129
; %bb.132:                              ;   in Loop: Header=BB1325_131 Depth=1
	s_mov_b64 s[6:7], s[14:15]
                                        ; implicit-def: $vgpr19_vgpr20
                                        ; implicit-def: $vgpr21_vgpr22
	s_branch .LBB1325_130
.LBB1325_133:
	s_set_inst_prefetch_distance 0x2
	s_or_b32 exec_lo, exec_lo, s30
	v_cmp_gt_i64_e32 vcc_lo, s[14:15], v[23:24]
	s_or_not1_b32 s0, vcc_lo, exec_lo
.LBB1325_134:
	s_or_b32 exec_lo, exec_lo, s26
.LBB1325_135:
	s_delay_alu instid0(SALU_CYCLE_1)
	s_and_b32 s26, s0, exec_lo
.LBB1325_136:
	s_or_b32 exec_lo, exec_lo, s29
	v_or_b32_e32 v19, 4, v39
	s_mov_b32 s29, exec_lo
	s_delay_alu instid0(VALU_DEP_1)
	v_cmpx_gt_u32_e64 s12, v19
	s_cbranch_execz .LBB1325_147
; %bb.137:
	v_cmp_ne_u32_e32 vcc_lo, 1, v27
	s_mov_b32 s0, 0
	s_cbranch_vccnz .LBB1325_146
; %bb.138:
	v_mul_lo_u32 v23, v12, s14
	v_mul_lo_u32 v24, v11, s15
	v_mad_u64_u32 v[19:20], null, v11, s14, 0
	v_mul_lo_u32 v25, v6, s14
	v_mul_lo_u32 v26, v5, s15
	s_waitcnt lgkmcnt(0)
	v_mad_u64_u32 v[21:22], null, v5, s14, 0
	s_mov_b32 s0, -1
	s_mov_b32 s28, exec_lo
	s_delay_alu instid0(VALU_DEP_4) | instskip(NEXT) | instid1(VALU_DEP_2)
	v_add3_u32 v20, v20, v24, v23
	v_add3_u32 v22, v22, v26, v25
	s_delay_alu instid0(VALU_DEP_2) | instskip(NEXT) | instid1(VALU_DEP_2)
	v_lshlrev_b64 v[19:20], 1, v[19:20]
	v_lshlrev_b64 v[23:24], 1, v[21:22]
	s_delay_alu instid0(VALU_DEP_2) | instskip(NEXT) | instid1(VALU_DEP_3)
	v_add_co_u32 v21, vcc_lo, s16, v19
	v_add_co_ci_u32_e32 v22, vcc_lo, s17, v20, vcc_lo
	s_delay_alu instid0(VALU_DEP_3) | instskip(NEXT) | instid1(VALU_DEP_4)
	v_add_co_u32 v19, vcc_lo, s16, v23
	v_add_co_ci_u32_e32 v20, vcc_lo, s17, v24, vcc_lo
	s_clause 0x1
	global_load_u16 v23, v[21:22], off
	global_load_u16 v24, v[19:20], off
	s_waitcnt vmcnt(0)
	v_cmpx_eq_f16_e32 v23, v24
	s_cbranch_execz .LBB1325_145
; %bb.139:
	v_add_co_u32 v19, vcc_lo, v19, 2
	v_add_co_ci_u32_e32 v20, vcc_lo, 0, v20, vcc_lo
	v_add_co_u32 v21, vcc_lo, v21, 2
	v_add_co_ci_u32_e32 v22, vcc_lo, 0, v22, vcc_lo
	s_add_u32 s4, s14, -1
	s_addc_u32 s5, s15, -1
	s_mov_b64 s[6:7], 0
	s_mov_b32 s30, 0
                                        ; implicit-def: $sgpr31
	s_set_inst_prefetch_distance 0x1
	s_branch .LBB1325_142
	.p2align	6
.LBB1325_140:                           ;   in Loop: Header=BB1325_142 Depth=1
	global_load_u16 v23, v[21:22], off
	global_load_u16 v24, v[19:20], off
	v_add_co_u32 v19, vcc_lo, v19, 2
	v_add_co_ci_u32_e32 v20, vcc_lo, 0, v20, vcc_lo
	v_add_co_u32 v21, s0, v21, 2
	s_delay_alu instid0(VALU_DEP_1)
	v_add_co_ci_u32_e64 v22, s0, 0, v22, s0
	s_add_u32 s6, s6, 1
	s_addc_u32 s7, s7, 0
	s_and_not1_b32 s0, s31, exec_lo
	s_waitcnt vmcnt(0)
	v_cmp_neq_f16_e32 vcc_lo, v23, v24
	s_and_b32 s31, vcc_lo, exec_lo
	s_delay_alu instid0(SALU_CYCLE_1)
	s_or_b32 s31, s0, s31
.LBB1325_141:                           ;   in Loop: Header=BB1325_142 Depth=1
	v_dual_mov_b32 v24, s7 :: v_dual_mov_b32 v23, s6
	s_and_b32 s0, exec_lo, s31
	s_delay_alu instid0(SALU_CYCLE_1) | instskip(NEXT) | instid1(SALU_CYCLE_1)
	s_or_b32 s30, s0, s30
	s_and_not1_b32 exec_lo, exec_lo, s30
	s_cbranch_execz .LBB1325_144
.LBB1325_142:                           ; =>This Inner Loop Header: Depth=1
	s_or_b32 s31, s31, exec_lo
	s_cmp_eq_u64 s[4:5], s[6:7]
	s_cbranch_scc0 .LBB1325_140
; %bb.143:                              ;   in Loop: Header=BB1325_142 Depth=1
	s_mov_b64 s[6:7], s[14:15]
                                        ; implicit-def: $vgpr19_vgpr20
                                        ; implicit-def: $vgpr21_vgpr22
	s_branch .LBB1325_141
.LBB1325_144:
	s_set_inst_prefetch_distance 0x2
	s_or_b32 exec_lo, exec_lo, s30
	v_cmp_gt_i64_e32 vcc_lo, s[14:15], v[23:24]
	s_or_not1_b32 s0, vcc_lo, exec_lo
.LBB1325_145:
	s_or_b32 exec_lo, exec_lo, s28
.LBB1325_146:
	s_delay_alu instid0(SALU_CYCLE_1)
	s_and_b32 s28, s0, exec_lo
.LBB1325_147:
	s_or_b32 exec_lo, exec_lo, s29
	v_or_b32_e32 v19, 3, v39
	s_mov_b32 s30, 0
	s_mov_b32 s29, 0
	s_mov_b32 s31, exec_lo
	s_delay_alu instid0(VALU_DEP_1)
	v_cmpx_gt_u32_e64 s12, v19
	s_cbranch_execz .LBB1325_158
; %bb.148:
	v_cmp_ne_u32_e32 vcc_lo, 1, v27
	s_mov_b32 s0, 0
	s_cbranch_vccnz .LBB1325_157
; %bb.149:
	v_mul_lo_u32 v23, v10, s14
	v_mul_lo_u32 v24, v9, s15
	v_mad_u64_u32 v[19:20], null, v9, s14, 0
	v_mul_lo_u32 v25, v12, s14
	v_mul_lo_u32 v26, v11, s15
	s_waitcnt lgkmcnt(0)
	v_mad_u64_u32 v[21:22], null, v11, s14, 0
	s_mov_b32 s0, -1
	s_mov_b32 s29, exec_lo
	s_delay_alu instid0(VALU_DEP_4) | instskip(NEXT) | instid1(VALU_DEP_2)
	v_add3_u32 v20, v20, v24, v23
	v_add3_u32 v22, v22, v26, v25
	s_delay_alu instid0(VALU_DEP_2) | instskip(NEXT) | instid1(VALU_DEP_2)
	v_lshlrev_b64 v[19:20], 1, v[19:20]
	v_lshlrev_b64 v[23:24], 1, v[21:22]
	s_delay_alu instid0(VALU_DEP_2) | instskip(NEXT) | instid1(VALU_DEP_3)
	v_add_co_u32 v21, vcc_lo, s16, v19
	v_add_co_ci_u32_e32 v22, vcc_lo, s17, v20, vcc_lo
	s_delay_alu instid0(VALU_DEP_3) | instskip(NEXT) | instid1(VALU_DEP_4)
	v_add_co_u32 v19, vcc_lo, s16, v23
	v_add_co_ci_u32_e32 v20, vcc_lo, s17, v24, vcc_lo
	s_clause 0x1
	global_load_u16 v23, v[21:22], off
	global_load_u16 v24, v[19:20], off
	s_waitcnt vmcnt(0)
	v_cmpx_eq_f16_e32 v23, v24
	s_cbranch_execz .LBB1325_156
; %bb.150:
	v_add_co_u32 v19, vcc_lo, v19, 2
	v_add_co_ci_u32_e32 v20, vcc_lo, 0, v20, vcc_lo
	v_add_co_u32 v21, vcc_lo, v21, 2
	v_add_co_ci_u32_e32 v22, vcc_lo, 0, v22, vcc_lo
	s_add_u32 s4, s14, -1
	s_addc_u32 s5, s15, -1
	s_mov_b64 s[6:7], 0
	s_mov_b32 s33, 0
                                        ; implicit-def: $sgpr34
	s_set_inst_prefetch_distance 0x1
	s_branch .LBB1325_153
	.p2align	6
.LBB1325_151:                           ;   in Loop: Header=BB1325_153 Depth=1
	global_load_u16 v23, v[21:22], off
	global_load_u16 v24, v[19:20], off
	v_add_co_u32 v19, vcc_lo, v19, 2
	v_add_co_ci_u32_e32 v20, vcc_lo, 0, v20, vcc_lo
	v_add_co_u32 v21, s0, v21, 2
	s_delay_alu instid0(VALU_DEP_1)
	v_add_co_ci_u32_e64 v22, s0, 0, v22, s0
	s_add_u32 s6, s6, 1
	s_addc_u32 s7, s7, 0
	s_and_not1_b32 s0, s34, exec_lo
	s_waitcnt vmcnt(0)
	v_cmp_neq_f16_e32 vcc_lo, v23, v24
	s_and_b32 s34, vcc_lo, exec_lo
	s_delay_alu instid0(SALU_CYCLE_1)
	s_or_b32 s34, s0, s34
.LBB1325_152:                           ;   in Loop: Header=BB1325_153 Depth=1
	v_dual_mov_b32 v24, s7 :: v_dual_mov_b32 v23, s6
	s_and_b32 s0, exec_lo, s34
	s_delay_alu instid0(SALU_CYCLE_1) | instskip(NEXT) | instid1(SALU_CYCLE_1)
	s_or_b32 s33, s0, s33
	s_and_not1_b32 exec_lo, exec_lo, s33
	s_cbranch_execz .LBB1325_155
.LBB1325_153:                           ; =>This Inner Loop Header: Depth=1
	s_or_b32 s34, s34, exec_lo
	s_cmp_eq_u64 s[4:5], s[6:7]
	s_cbranch_scc0 .LBB1325_151
; %bb.154:                              ;   in Loop: Header=BB1325_153 Depth=1
	s_mov_b64 s[6:7], s[14:15]
                                        ; implicit-def: $vgpr19_vgpr20
                                        ; implicit-def: $vgpr21_vgpr22
	s_branch .LBB1325_152
.LBB1325_155:
	s_set_inst_prefetch_distance 0x2
	s_or_b32 exec_lo, exec_lo, s33
	v_cmp_gt_i64_e32 vcc_lo, s[14:15], v[23:24]
	s_or_not1_b32 s0, vcc_lo, exec_lo
.LBB1325_156:
	s_or_b32 exec_lo, exec_lo, s29
.LBB1325_157:
	s_delay_alu instid0(SALU_CYCLE_1)
	s_and_b32 s29, s0, exec_lo
.LBB1325_158:
	s_or_b32 exec_lo, exec_lo, s31
	v_or_b32_e32 v19, 2, v39
	s_mov_b32 s31, exec_lo
	s_delay_alu instid0(VALU_DEP_1)
	v_cmpx_gt_u32_e64 s12, v19
	s_cbranch_execz .LBB1325_169
; %bb.159:
	v_cmp_ne_u32_e32 vcc_lo, 1, v27
	s_mov_b32 s0, 0
	s_cbranch_vccnz .LBB1325_168
; %bb.160:
	v_mul_lo_u32 v23, v16, s14
	v_mul_lo_u32 v24, v15, s15
	v_mad_u64_u32 v[19:20], null, v15, s14, 0
	v_mul_lo_u32 v25, v10, s14
	v_mul_lo_u32 v26, v9, s15
	s_waitcnt lgkmcnt(0)
	v_mad_u64_u32 v[21:22], null, v9, s14, 0
	s_mov_b32 s0, -1
	s_mov_b32 s30, exec_lo
	s_delay_alu instid0(VALU_DEP_4) | instskip(NEXT) | instid1(VALU_DEP_2)
	v_add3_u32 v20, v20, v24, v23
	v_add3_u32 v22, v22, v26, v25
	s_delay_alu instid0(VALU_DEP_2) | instskip(NEXT) | instid1(VALU_DEP_2)
	v_lshlrev_b64 v[19:20], 1, v[19:20]
	v_lshlrev_b64 v[23:24], 1, v[21:22]
	s_delay_alu instid0(VALU_DEP_2) | instskip(NEXT) | instid1(VALU_DEP_3)
	v_add_co_u32 v21, vcc_lo, s16, v19
	v_add_co_ci_u32_e32 v22, vcc_lo, s17, v20, vcc_lo
	s_delay_alu instid0(VALU_DEP_3) | instskip(NEXT) | instid1(VALU_DEP_4)
	v_add_co_u32 v19, vcc_lo, s16, v23
	v_add_co_ci_u32_e32 v20, vcc_lo, s17, v24, vcc_lo
	s_clause 0x1
	global_load_u16 v23, v[21:22], off
	global_load_u16 v24, v[19:20], off
	s_waitcnt vmcnt(0)
	v_cmpx_eq_f16_e32 v23, v24
	s_cbranch_execz .LBB1325_167
; %bb.161:
	v_add_co_u32 v19, vcc_lo, v19, 2
	v_add_co_ci_u32_e32 v20, vcc_lo, 0, v20, vcc_lo
	v_add_co_u32 v21, vcc_lo, v21, 2
	v_add_co_ci_u32_e32 v22, vcc_lo, 0, v22, vcc_lo
	s_add_u32 s4, s14, -1
	s_addc_u32 s5, s15, -1
	s_mov_b64 s[6:7], 0
	s_mov_b32 s33, 0
                                        ; implicit-def: $sgpr34
	s_set_inst_prefetch_distance 0x1
	s_branch .LBB1325_164
	.p2align	6
.LBB1325_162:                           ;   in Loop: Header=BB1325_164 Depth=1
	global_load_u16 v23, v[21:22], off
	global_load_u16 v24, v[19:20], off
	v_add_co_u32 v19, vcc_lo, v19, 2
	v_add_co_ci_u32_e32 v20, vcc_lo, 0, v20, vcc_lo
	v_add_co_u32 v21, s0, v21, 2
	s_delay_alu instid0(VALU_DEP_1)
	v_add_co_ci_u32_e64 v22, s0, 0, v22, s0
	s_add_u32 s6, s6, 1
	s_addc_u32 s7, s7, 0
	s_and_not1_b32 s0, s34, exec_lo
	s_waitcnt vmcnt(0)
	v_cmp_neq_f16_e32 vcc_lo, v23, v24
	s_and_b32 s34, vcc_lo, exec_lo
	s_delay_alu instid0(SALU_CYCLE_1)
	s_or_b32 s34, s0, s34
.LBB1325_163:                           ;   in Loop: Header=BB1325_164 Depth=1
	v_dual_mov_b32 v24, s7 :: v_dual_mov_b32 v23, s6
	s_and_b32 s0, exec_lo, s34
	s_delay_alu instid0(SALU_CYCLE_1) | instskip(NEXT) | instid1(SALU_CYCLE_1)
	s_or_b32 s33, s0, s33
	s_and_not1_b32 exec_lo, exec_lo, s33
	s_cbranch_execz .LBB1325_166
.LBB1325_164:                           ; =>This Inner Loop Header: Depth=1
	s_or_b32 s34, s34, exec_lo
	s_cmp_eq_u64 s[4:5], s[6:7]
	s_cbranch_scc0 .LBB1325_162
; %bb.165:                              ;   in Loop: Header=BB1325_164 Depth=1
	s_mov_b64 s[6:7], s[14:15]
                                        ; implicit-def: $vgpr19_vgpr20
                                        ; implicit-def: $vgpr21_vgpr22
	s_branch .LBB1325_163
.LBB1325_166:
	s_set_inst_prefetch_distance 0x2
	s_or_b32 exec_lo, exec_lo, s33
	v_cmp_gt_i64_e32 vcc_lo, s[14:15], v[23:24]
	s_or_not1_b32 s0, vcc_lo, exec_lo
.LBB1325_167:
	s_or_b32 exec_lo, exec_lo, s30
.LBB1325_168:
	s_delay_alu instid0(SALU_CYCLE_1)
	s_and_b32 s30, s0, exec_lo
.LBB1325_169:
	s_or_b32 exec_lo, exec_lo, s31
	v_or_b32_e32 v19, 1, v39
	s_mov_b32 s0, 0
	s_mov_b32 s31, exec_lo
	s_delay_alu instid0(VALU_DEP_1)
	v_cmpx_gt_u32_e64 s12, v19
	s_cbranch_execz .LBB1325_180
; %bb.170:
	v_cmp_ne_u32_e32 vcc_lo, 1, v27
	s_cbranch_vccnz .LBB1325_179
; %bb.171:
	v_mul_lo_u32 v23, v14, s14
	v_mul_lo_u32 v24, v13, s15
	v_mad_u64_u32 v[19:20], null, v13, s14, 0
	v_mul_lo_u32 v25, v16, s14
	v_mul_lo_u32 v26, v15, s15
	s_waitcnt lgkmcnt(0)
	v_mad_u64_u32 v[21:22], null, v15, s14, 0
	s_mov_b32 s0, -1
	s_mov_b32 s33, exec_lo
	s_delay_alu instid0(VALU_DEP_4) | instskip(NEXT) | instid1(VALU_DEP_2)
	v_add3_u32 v20, v20, v24, v23
	v_add3_u32 v22, v22, v26, v25
	s_delay_alu instid0(VALU_DEP_2) | instskip(NEXT) | instid1(VALU_DEP_2)
	v_lshlrev_b64 v[19:20], 1, v[19:20]
	v_lshlrev_b64 v[23:24], 1, v[21:22]
	s_delay_alu instid0(VALU_DEP_2) | instskip(NEXT) | instid1(VALU_DEP_3)
	v_add_co_u32 v21, vcc_lo, s16, v19
	v_add_co_ci_u32_e32 v22, vcc_lo, s17, v20, vcc_lo
	s_delay_alu instid0(VALU_DEP_3) | instskip(NEXT) | instid1(VALU_DEP_4)
	v_add_co_u32 v19, vcc_lo, s16, v23
	v_add_co_ci_u32_e32 v20, vcc_lo, s17, v24, vcc_lo
	s_clause 0x1
	global_load_u16 v23, v[21:22], off
	global_load_u16 v24, v[19:20], off
	s_waitcnt vmcnt(0)
	v_cmpx_eq_f16_e32 v23, v24
	s_cbranch_execz .LBB1325_178
; %bb.172:
	v_add_co_u32 v19, vcc_lo, v19, 2
	v_add_co_ci_u32_e32 v20, vcc_lo, 0, v20, vcc_lo
	v_add_co_u32 v21, vcc_lo, v21, 2
	v_add_co_ci_u32_e32 v22, vcc_lo, 0, v22, vcc_lo
	s_add_u32 s4, s14, -1
	s_addc_u32 s5, s15, -1
	s_mov_b64 s[6:7], 0
	s_mov_b32 s34, 0
                                        ; implicit-def: $sgpr35
	s_set_inst_prefetch_distance 0x1
	s_branch .LBB1325_175
	.p2align	6
.LBB1325_173:                           ;   in Loop: Header=BB1325_175 Depth=1
	global_load_u16 v23, v[21:22], off
	global_load_u16 v24, v[19:20], off
	v_add_co_u32 v19, vcc_lo, v19, 2
	v_add_co_ci_u32_e32 v20, vcc_lo, 0, v20, vcc_lo
	v_add_co_u32 v21, s0, v21, 2
	s_delay_alu instid0(VALU_DEP_1)
	v_add_co_ci_u32_e64 v22, s0, 0, v22, s0
	s_add_u32 s6, s6, 1
	s_addc_u32 s7, s7, 0
	s_and_not1_b32 s0, s35, exec_lo
	s_waitcnt vmcnt(0)
	v_cmp_neq_f16_e32 vcc_lo, v23, v24
	s_and_b32 s35, vcc_lo, exec_lo
	s_delay_alu instid0(SALU_CYCLE_1)
	s_or_b32 s35, s0, s35
.LBB1325_174:                           ;   in Loop: Header=BB1325_175 Depth=1
	v_dual_mov_b32 v24, s7 :: v_dual_mov_b32 v23, s6
	s_and_b32 s0, exec_lo, s35
	s_delay_alu instid0(SALU_CYCLE_1) | instskip(NEXT) | instid1(SALU_CYCLE_1)
	s_or_b32 s34, s0, s34
	s_and_not1_b32 exec_lo, exec_lo, s34
	s_cbranch_execz .LBB1325_177
.LBB1325_175:                           ; =>This Inner Loop Header: Depth=1
	s_or_b32 s35, s35, exec_lo
	s_cmp_eq_u64 s[4:5], s[6:7]
	s_cbranch_scc0 .LBB1325_173
; %bb.176:                              ;   in Loop: Header=BB1325_175 Depth=1
	s_mov_b64 s[6:7], s[14:15]
                                        ; implicit-def: $vgpr19_vgpr20
                                        ; implicit-def: $vgpr21_vgpr22
	s_branch .LBB1325_174
.LBB1325_177:
	s_set_inst_prefetch_distance 0x2
	s_or_b32 exec_lo, exec_lo, s34
	v_cmp_gt_i64_e32 vcc_lo, s[14:15], v[23:24]
	s_or_not1_b32 s0, vcc_lo, exec_lo
.LBB1325_178:
	s_or_b32 exec_lo, exec_lo, s33
.LBB1325_179:
	s_delay_alu instid0(SALU_CYCLE_1)
	s_and_b32 s0, s0, exec_lo
.LBB1325_180:
	s_or_b32 exec_lo, exec_lo, s31
	s_waitcnt vmcnt(0) lgkmcnt(0)
	s_barrier
	buffer_gl0_inv
	s_and_saveexec_b32 s4, s3
	s_cbranch_execz .LBB1325_182
; %bb.181:
	v_add_nc_u32_e32 v17, -8, v39
	ds_load_b64 v[17:18], v17
.LBB1325_182:
	s_or_b32 exec_lo, exec_lo, s4
	v_cndmask_b32_e64 v20, 0, 1, s29
	v_cndmask_b32_e64 v22, 0, 1, s26
	;; [unrolled: 1-line block ×7, first 2 shown]
	v_lshlrev_b16 v20, 8, v20
	v_lshlrev_b16 v22, 8, v22
	;; [unrolled: 1-line block ×3, first 2 shown]
	s_mov_b32 s0, 0
	v_lshlrev_b16 v25, 8, v25
	v_or_b32_e32 v19, v19, v20
	v_or_b32_e32 v20, v21, v22
	;; [unrolled: 1-line block ×3, first 2 shown]
	s_mov_b32 s25, exec_lo
	v_and_b32_e32 v23, 0xffff, v25
	v_lshlrev_b32_e32 v24, 16, v19
	v_and_b32_e32 v25, 0xffff, v20
	v_lshlrev_b32_e32 v26, 16, v21
	v_cmpx_gt_u32_e64 s12, v39
	s_cbranch_execz .LBB1325_193
; %bb.183:
	v_cmp_ne_u32_e32 vcc_lo, 1, v27
	s_cbranch_vccnz .LBB1325_192
; %bb.184:
	s_waitcnt lgkmcnt(0)
	v_mul_lo_u32 v22, v18, s14
	v_mul_lo_u32 v27, v17, s15
	v_mad_u64_u32 v[18:19], null, v17, s14, 0
	v_mul_lo_u32 v17, v14, s14
	v_mul_lo_u32 v28, v13, s15
	v_mad_u64_u32 v[20:21], null, v13, s14, 0
	s_mov_b32 s0, -1
	s_mov_b32 s26, exec_lo
	s_delay_alu instid0(VALU_DEP_4) | instskip(NEXT) | instid1(VALU_DEP_2)
	v_add3_u32 v19, v19, v27, v22
	v_add3_u32 v21, v21, v28, v17
	s_delay_alu instid0(VALU_DEP_2) | instskip(NEXT) | instid1(VALU_DEP_2)
	v_lshlrev_b64 v[17:18], 1, v[18:19]
	v_lshlrev_b64 v[21:22], 1, v[20:21]
	s_delay_alu instid0(VALU_DEP_2) | instskip(NEXT) | instid1(VALU_DEP_3)
	v_add_co_u32 v19, vcc_lo, s16, v17
	v_add_co_ci_u32_e32 v20, vcc_lo, s17, v18, vcc_lo
	s_delay_alu instid0(VALU_DEP_3) | instskip(NEXT) | instid1(VALU_DEP_4)
	v_add_co_u32 v17, vcc_lo, s16, v21
	v_add_co_ci_u32_e32 v18, vcc_lo, s17, v22, vcc_lo
	s_clause 0x1
	global_load_u16 v21, v[19:20], off
	global_load_u16 v22, v[17:18], off
	s_waitcnt vmcnt(0)
	v_cmpx_eq_f16_e32 v21, v22
	s_cbranch_execz .LBB1325_191
; %bb.185:
	v_add_co_u32 v17, vcc_lo, v17, 2
	v_add_co_ci_u32_e32 v18, vcc_lo, 0, v18, vcc_lo
	v_add_co_u32 v19, vcc_lo, v19, 2
	v_add_co_ci_u32_e32 v20, vcc_lo, 0, v20, vcc_lo
	s_add_u32 s4, s14, -1
	s_addc_u32 s5, s15, -1
	s_mov_b64 s[6:7], 0
	s_mov_b32 s27, 0
                                        ; implicit-def: $sgpr28
	s_set_inst_prefetch_distance 0x1
	s_branch .LBB1325_188
	.p2align	6
.LBB1325_186:                           ;   in Loop: Header=BB1325_188 Depth=1
	global_load_u16 v21, v[19:20], off
	global_load_u16 v22, v[17:18], off
	v_add_co_u32 v17, vcc_lo, v17, 2
	v_add_co_ci_u32_e32 v18, vcc_lo, 0, v18, vcc_lo
	v_add_co_u32 v19, s0, v19, 2
	s_delay_alu instid0(VALU_DEP_1)
	v_add_co_ci_u32_e64 v20, s0, 0, v20, s0
	s_add_u32 s6, s6, 1
	s_addc_u32 s7, s7, 0
	s_and_not1_b32 s0, s28, exec_lo
	s_waitcnt vmcnt(0)
	v_cmp_neq_f16_e32 vcc_lo, v21, v22
	s_and_b32 s28, vcc_lo, exec_lo
	s_delay_alu instid0(SALU_CYCLE_1)
	s_or_b32 s28, s0, s28
.LBB1325_187:                           ;   in Loop: Header=BB1325_188 Depth=1
	v_dual_mov_b32 v22, s7 :: v_dual_mov_b32 v21, s6
	s_and_b32 s0, exec_lo, s28
	s_delay_alu instid0(SALU_CYCLE_1) | instskip(NEXT) | instid1(SALU_CYCLE_1)
	s_or_b32 s27, s0, s27
	s_and_not1_b32 exec_lo, exec_lo, s27
	s_cbranch_execz .LBB1325_190
.LBB1325_188:                           ; =>This Inner Loop Header: Depth=1
	s_or_b32 s28, s28, exec_lo
	s_cmp_eq_u64 s[4:5], s[6:7]
	s_cbranch_scc0 .LBB1325_186
; %bb.189:                              ;   in Loop: Header=BB1325_188 Depth=1
	s_mov_b64 s[6:7], s[14:15]
                                        ; implicit-def: $vgpr17_vgpr18
                                        ; implicit-def: $vgpr19_vgpr20
	s_branch .LBB1325_187
.LBB1325_190:
	s_set_inst_prefetch_distance 0x2
	s_or_b32 exec_lo, exec_lo, s27
	v_cmp_gt_i64_e32 vcc_lo, s[14:15], v[21:22]
	s_or_not1_b32 s0, vcc_lo, exec_lo
.LBB1325_191:
	s_or_b32 exec_lo, exec_lo, s26
.LBB1325_192:
	s_delay_alu instid0(SALU_CYCLE_1)
	s_and_b32 s0, s0, exec_lo
.LBB1325_193:
	s_or_b32 exec_lo, exec_lo, s25
	v_or_b32_e32 v19, v23, v24
	v_or_b32_e32 v20, v25, v26
.LBB1325_194:
	s_mov_b32 s25, -1
	s_cbranch_execnz .LBB1325_363
.LBB1325_195:
	v_cmp_gt_i64_e64 s26, s[14:15], 0
	s_and_b32 vcc_lo, exec_lo, s22
	ds_store_b64 v39, v[3:4]
	s_cbranch_vccz .LBB1325_203
; %bb.196:
	v_mul_lo_u32 v19, v2, s14
	v_mul_lo_u32 v20, v1, s15
	s_waitcnt vmcnt(0) lgkmcnt(1)
	v_mad_u64_u32 v[17:18], null, v1, s14, 0
	s_mov_b32 s27, 0
	s_and_not1_b32 vcc_lo, exec_lo, s26
	s_mov_b32 s28, 0
	s_delay_alu instid0(VALU_DEP_1) | instskip(NEXT) | instid1(VALU_DEP_1)
	v_add3_u32 v18, v18, v20, v19
	v_lshlrev_b64 v[17:18], 1, v[17:18]
	s_cbranch_vccnz .LBB1325_206
; %bb.197:
	v_mul_lo_u32 v21, v4, s14
	v_mul_lo_u32 v22, v3, s15
	v_mad_u64_u32 v[19:20], null, v3, s14, 0
	s_mov_b32 s28, -1
	s_mov_b32 s29, exec_lo
	s_delay_alu instid0(VALU_DEP_1) | instskip(SKIP_2) | instid1(VALU_DEP_3)
	v_add3_u32 v20, v20, v22, v21
	v_add_co_u32 v21, vcc_lo, s16, v17
	v_add_co_ci_u32_e32 v22, vcc_lo, s17, v18, vcc_lo
	v_lshlrev_b64 v[19:20], 1, v[19:20]
	s_delay_alu instid0(VALU_DEP_1) | instskip(NEXT) | instid1(VALU_DEP_2)
	v_add_co_u32 v19, vcc_lo, s16, v19
	v_add_co_ci_u32_e32 v20, vcc_lo, s17, v20, vcc_lo
	s_clause 0x1
	global_load_u16 v23, v[21:22], off
	global_load_u16 v24, v[19:20], off
	s_waitcnt vmcnt(0)
	v_cmpx_eq_f16_e32 v23, v24
	s_cbranch_execz .LBB1325_205
; %bb.198:
	v_add_co_u32 v19, vcc_lo, v19, 2
	v_add_co_ci_u32_e32 v20, vcc_lo, 0, v20, vcc_lo
	v_add_co_u32 v21, vcc_lo, v21, 2
	v_add_co_ci_u32_e32 v22, vcc_lo, 0, v22, vcc_lo
	s_add_u32 s4, s14, -1
	s_addc_u32 s5, s15, -1
	s_mov_b64 s[6:7], 0
	s_mov_b32 s28, 0
                                        ; implicit-def: $sgpr30
	s_set_inst_prefetch_distance 0x1
	s_branch .LBB1325_201
	.p2align	6
.LBB1325_199:                           ;   in Loop: Header=BB1325_201 Depth=1
	global_load_u16 v23, v[21:22], off
	global_load_u16 v24, v[19:20], off
	v_add_co_u32 v19, vcc_lo, v19, 2
	v_add_co_ci_u32_e32 v20, vcc_lo, 0, v20, vcc_lo
	v_add_co_u32 v21, s0, v21, 2
	s_delay_alu instid0(VALU_DEP_1)
	v_add_co_ci_u32_e64 v22, s0, 0, v22, s0
	s_add_u32 s6, s6, 1
	s_addc_u32 s7, s7, 0
	s_and_not1_b32 s0, s30, exec_lo
	s_waitcnt vmcnt(0)
	v_cmp_neq_f16_e32 vcc_lo, v23, v24
	s_and_b32 s30, vcc_lo, exec_lo
	s_delay_alu instid0(SALU_CYCLE_1)
	s_or_b32 s30, s0, s30
.LBB1325_200:                           ;   in Loop: Header=BB1325_201 Depth=1
	v_dual_mov_b32 v24, s7 :: v_dual_mov_b32 v23, s6
	s_and_b32 s0, exec_lo, s30
	s_delay_alu instid0(SALU_CYCLE_1) | instskip(NEXT) | instid1(SALU_CYCLE_1)
	s_or_b32 s28, s0, s28
	s_and_not1_b32 exec_lo, exec_lo, s28
	s_cbranch_execz .LBB1325_204
.LBB1325_201:                           ; =>This Inner Loop Header: Depth=1
	s_or_b32 s30, s30, exec_lo
	s_cmp_eq_u64 s[4:5], s[6:7]
	s_cbranch_scc0 .LBB1325_199
; %bb.202:                              ;   in Loop: Header=BB1325_201 Depth=1
	s_mov_b64 s[6:7], s[14:15]
                                        ; implicit-def: $vgpr19_vgpr20
                                        ; implicit-def: $vgpr21_vgpr22
	s_branch .LBB1325_200
.LBB1325_203:
                                        ; implicit-def: $sgpr0
                                        ; implicit-def: $vgpr20
	s_cbranch_execnz .LBB1325_272
	s_branch .LBB1325_363
.LBB1325_204:
	s_set_inst_prefetch_distance 0x2
	s_or_b32 exec_lo, exec_lo, s28
	v_cmp_gt_i64_e32 vcc_lo, s[14:15], v[23:24]
	s_or_not1_b32 s28, vcc_lo, exec_lo
.LBB1325_205:
	s_or_b32 exec_lo, exec_lo, s29
.LBB1325_206:
	v_mul_lo_u32 v21, v8, s14
	v_mul_lo_u32 v22, v7, s15
	v_mad_u64_u32 v[19:20], null, v7, s14, 0
	s_and_not1_b32 vcc_lo, exec_lo, s26
	s_delay_alu instid0(VALU_DEP_1) | instskip(NEXT) | instid1(VALU_DEP_1)
	v_add3_u32 v20, v20, v22, v21
	v_lshlrev_b64 v[19:20], 1, v[19:20]
	s_cbranch_vccnz .LBB1325_215
; %bb.207:
	s_delay_alu instid0(VALU_DEP_1) | instskip(NEXT) | instid1(VALU_DEP_2)
	v_add_co_u32 v21, vcc_lo, s16, v19
	v_add_co_ci_u32_e32 v22, vcc_lo, s17, v20, vcc_lo
	v_add_co_u32 v17, vcc_lo, s16, v17
	v_add_co_ci_u32_e32 v18, vcc_lo, s17, v18, vcc_lo
	s_mov_b32 s27, -1
	s_clause 0x1
	global_load_u16 v23, v[21:22], off
	global_load_u16 v24, v[17:18], off
	s_mov_b32 s29, exec_lo
	s_waitcnt vmcnt(0)
	v_cmpx_eq_f16_e32 v23, v24
	s_cbranch_execz .LBB1325_214
; %bb.208:
	v_add_co_u32 v17, vcc_lo, v17, 2
	v_add_co_ci_u32_e32 v18, vcc_lo, 0, v18, vcc_lo
	v_add_co_u32 v21, vcc_lo, v21, 2
	v_add_co_ci_u32_e32 v22, vcc_lo, 0, v22, vcc_lo
	s_add_u32 s4, s14, -1
	s_addc_u32 s5, s15, -1
	s_mov_b64 s[6:7], 0
	s_mov_b32 s27, 0
                                        ; implicit-def: $sgpr30
	s_set_inst_prefetch_distance 0x1
	s_branch .LBB1325_211
	.p2align	6
.LBB1325_209:                           ;   in Loop: Header=BB1325_211 Depth=1
	global_load_u16 v23, v[21:22], off
	global_load_u16 v24, v[17:18], off
	v_add_co_u32 v17, vcc_lo, v17, 2
	v_add_co_ci_u32_e32 v18, vcc_lo, 0, v18, vcc_lo
	v_add_co_u32 v21, s0, v21, 2
	s_delay_alu instid0(VALU_DEP_1)
	v_add_co_ci_u32_e64 v22, s0, 0, v22, s0
	s_add_u32 s6, s6, 1
	s_addc_u32 s7, s7, 0
	s_and_not1_b32 s0, s30, exec_lo
	s_waitcnt vmcnt(0)
	v_cmp_neq_f16_e32 vcc_lo, v23, v24
	s_and_b32 s30, vcc_lo, exec_lo
	s_delay_alu instid0(SALU_CYCLE_1)
	s_or_b32 s30, s0, s30
.LBB1325_210:                           ;   in Loop: Header=BB1325_211 Depth=1
	v_dual_mov_b32 v24, s7 :: v_dual_mov_b32 v23, s6
	s_and_b32 s0, exec_lo, s30
	s_delay_alu instid0(SALU_CYCLE_1) | instskip(NEXT) | instid1(SALU_CYCLE_1)
	s_or_b32 s27, s0, s27
	s_and_not1_b32 exec_lo, exec_lo, s27
	s_cbranch_execz .LBB1325_213
.LBB1325_211:                           ; =>This Inner Loop Header: Depth=1
	s_or_b32 s30, s30, exec_lo
	s_cmp_eq_u64 s[4:5], s[6:7]
	s_cbranch_scc0 .LBB1325_209
; %bb.212:                              ;   in Loop: Header=BB1325_211 Depth=1
	s_mov_b64 s[6:7], s[14:15]
                                        ; implicit-def: $vgpr17_vgpr18
                                        ; implicit-def: $vgpr21_vgpr22
	s_branch .LBB1325_210
.LBB1325_213:
	s_set_inst_prefetch_distance 0x2
	s_or_b32 exec_lo, exec_lo, s27
	v_cmp_gt_i64_e32 vcc_lo, s[14:15], v[23:24]
	s_or_not1_b32 s27, vcc_lo, exec_lo
.LBB1325_214:
	s_or_b32 exec_lo, exec_lo, s29
.LBB1325_215:
	v_mul_lo_u32 v21, v6, s14
	v_mul_lo_u32 v22, v5, s15
	v_mad_u64_u32 v[17:18], null, v5, s14, 0
	s_mov_b32 s29, 0
	s_and_not1_b32 vcc_lo, exec_lo, s26
	s_mov_b32 s30, 0
	s_delay_alu instid0(VALU_DEP_1) | instskip(NEXT) | instid1(VALU_DEP_1)
	v_add3_u32 v18, v18, v22, v21
	v_lshlrev_b64 v[21:22], 1, v[17:18]
	s_cbranch_vccnz .LBB1325_224
; %bb.216:
	s_delay_alu instid0(VALU_DEP_1) | instskip(NEXT) | instid1(VALU_DEP_2)
	v_add_co_u32 v23, vcc_lo, s16, v21
	v_add_co_ci_u32_e32 v24, vcc_lo, s17, v22, vcc_lo
	v_add_co_u32 v17, vcc_lo, s16, v19
	v_add_co_ci_u32_e32 v18, vcc_lo, s17, v20, vcc_lo
	s_mov_b32 s30, -1
	s_clause 0x1
	global_load_u16 v19, v[23:24], off
	global_load_u16 v20, v[17:18], off
	s_mov_b32 s31, exec_lo
	s_waitcnt vmcnt(0)
	v_cmpx_eq_f16_e32 v19, v20
	s_cbranch_execz .LBB1325_223
; %bb.217:
	v_add_co_u32 v17, vcc_lo, v17, 2
	v_add_co_ci_u32_e32 v18, vcc_lo, 0, v18, vcc_lo
	v_add_co_u32 v19, vcc_lo, v23, 2
	v_add_co_ci_u32_e32 v20, vcc_lo, 0, v24, vcc_lo
	s_add_u32 s4, s14, -1
	s_addc_u32 s5, s15, -1
	s_mov_b64 s[6:7], 0
	s_mov_b32 s30, 0
                                        ; implicit-def: $sgpr33
	s_set_inst_prefetch_distance 0x1
	s_branch .LBB1325_220
	.p2align	6
.LBB1325_218:                           ;   in Loop: Header=BB1325_220 Depth=1
	global_load_u16 v23, v[19:20], off
	global_load_u16 v24, v[17:18], off
	v_add_co_u32 v17, vcc_lo, v17, 2
	v_add_co_ci_u32_e32 v18, vcc_lo, 0, v18, vcc_lo
	v_add_co_u32 v19, s0, v19, 2
	s_delay_alu instid0(VALU_DEP_1)
	v_add_co_ci_u32_e64 v20, s0, 0, v20, s0
	s_add_u32 s6, s6, 1
	s_addc_u32 s7, s7, 0
	s_and_not1_b32 s0, s33, exec_lo
	s_waitcnt vmcnt(0)
	v_cmp_neq_f16_e32 vcc_lo, v23, v24
	s_and_b32 s33, vcc_lo, exec_lo
	s_delay_alu instid0(SALU_CYCLE_1)
	s_or_b32 s33, s0, s33
.LBB1325_219:                           ;   in Loop: Header=BB1325_220 Depth=1
	v_dual_mov_b32 v24, s7 :: v_dual_mov_b32 v23, s6
	s_and_b32 s0, exec_lo, s33
	s_delay_alu instid0(SALU_CYCLE_1) | instskip(NEXT) | instid1(SALU_CYCLE_1)
	s_or_b32 s30, s0, s30
	s_and_not1_b32 exec_lo, exec_lo, s30
	s_cbranch_execz .LBB1325_222
.LBB1325_220:                           ; =>This Inner Loop Header: Depth=1
	s_or_b32 s33, s33, exec_lo
	s_cmp_eq_u64 s[4:5], s[6:7]
	s_cbranch_scc0 .LBB1325_218
; %bb.221:                              ;   in Loop: Header=BB1325_220 Depth=1
	s_mov_b64 s[6:7], s[14:15]
                                        ; implicit-def: $vgpr17_vgpr18
                                        ; implicit-def: $vgpr19_vgpr20
	s_branch .LBB1325_219
.LBB1325_222:
	s_set_inst_prefetch_distance 0x2
	s_or_b32 exec_lo, exec_lo, s30
	v_cmp_gt_i64_e32 vcc_lo, s[14:15], v[23:24]
	s_or_not1_b32 s30, vcc_lo, exec_lo
.LBB1325_223:
	s_or_b32 exec_lo, exec_lo, s31
.LBB1325_224:
	v_mul_lo_u32 v19, v12, s14
	v_mul_lo_u32 v20, v11, s15
	v_mad_u64_u32 v[17:18], null, v11, s14, 0
	s_and_not1_b32 vcc_lo, exec_lo, s26
	s_delay_alu instid0(VALU_DEP_1) | instskip(NEXT) | instid1(VALU_DEP_1)
	v_add3_u32 v18, v18, v20, v19
	v_lshlrev_b64 v[17:18], 1, v[17:18]
	s_cbranch_vccnz .LBB1325_233
; %bb.225:
	s_delay_alu instid0(VALU_DEP_1) | instskip(NEXT) | instid1(VALU_DEP_2)
	v_add_co_u32 v23, vcc_lo, s16, v17
	v_add_co_ci_u32_e32 v24, vcc_lo, s17, v18, vcc_lo
	v_add_co_u32 v19, vcc_lo, s16, v21
	v_add_co_ci_u32_e32 v20, vcc_lo, s17, v22, vcc_lo
	s_mov_b32 s29, -1
	s_clause 0x1
	global_load_u16 v21, v[23:24], off
	global_load_u16 v22, v[19:20], off
	s_mov_b32 s31, exec_lo
	s_waitcnt vmcnt(0)
	v_cmpx_eq_f16_e32 v21, v22
	s_cbranch_execz .LBB1325_232
; %bb.226:
	v_add_co_u32 v19, vcc_lo, v19, 2
	v_add_co_ci_u32_e32 v20, vcc_lo, 0, v20, vcc_lo
	v_add_co_u32 v21, vcc_lo, v23, 2
	v_add_co_ci_u32_e32 v22, vcc_lo, 0, v24, vcc_lo
	s_add_u32 s4, s14, -1
	s_addc_u32 s5, s15, -1
	s_mov_b64 s[6:7], 0
	s_mov_b32 s29, 0
                                        ; implicit-def: $sgpr33
	s_set_inst_prefetch_distance 0x1
	s_branch .LBB1325_229
	.p2align	6
.LBB1325_227:                           ;   in Loop: Header=BB1325_229 Depth=1
	global_load_u16 v23, v[21:22], off
	global_load_u16 v24, v[19:20], off
	v_add_co_u32 v19, vcc_lo, v19, 2
	v_add_co_ci_u32_e32 v20, vcc_lo, 0, v20, vcc_lo
	v_add_co_u32 v21, s0, v21, 2
	s_delay_alu instid0(VALU_DEP_1)
	v_add_co_ci_u32_e64 v22, s0, 0, v22, s0
	s_add_u32 s6, s6, 1
	s_addc_u32 s7, s7, 0
	s_and_not1_b32 s0, s33, exec_lo
	s_waitcnt vmcnt(0)
	v_cmp_neq_f16_e32 vcc_lo, v23, v24
	s_and_b32 s33, vcc_lo, exec_lo
	s_delay_alu instid0(SALU_CYCLE_1)
	s_or_b32 s33, s0, s33
.LBB1325_228:                           ;   in Loop: Header=BB1325_229 Depth=1
	v_dual_mov_b32 v24, s7 :: v_dual_mov_b32 v23, s6
	s_and_b32 s0, exec_lo, s33
	s_delay_alu instid0(SALU_CYCLE_1) | instskip(NEXT) | instid1(SALU_CYCLE_1)
	s_or_b32 s29, s0, s29
	s_and_not1_b32 exec_lo, exec_lo, s29
	s_cbranch_execz .LBB1325_231
.LBB1325_229:                           ; =>This Inner Loop Header: Depth=1
	s_or_b32 s33, s33, exec_lo
	s_cmp_eq_u64 s[4:5], s[6:7]
	s_cbranch_scc0 .LBB1325_227
; %bb.230:                              ;   in Loop: Header=BB1325_229 Depth=1
	s_mov_b64 s[6:7], s[14:15]
                                        ; implicit-def: $vgpr19_vgpr20
                                        ; implicit-def: $vgpr21_vgpr22
	s_branch .LBB1325_228
.LBB1325_231:
	s_set_inst_prefetch_distance 0x2
	s_or_b32 exec_lo, exec_lo, s29
	v_cmp_gt_i64_e32 vcc_lo, s[14:15], v[23:24]
	s_or_not1_b32 s29, vcc_lo, exec_lo
.LBB1325_232:
	s_or_b32 exec_lo, exec_lo, s31
.LBB1325_233:
	v_mul_lo_u32 v21, v10, s14
	v_mul_lo_u32 v22, v9, s15
	v_mad_u64_u32 v[19:20], null, v9, s14, 0
	s_mov_b32 s31, 0
	s_and_not1_b32 vcc_lo, exec_lo, s26
	s_mov_b32 s33, 0
	s_delay_alu instid0(VALU_DEP_1) | instskip(NEXT) | instid1(VALU_DEP_1)
	v_add3_u32 v20, v20, v22, v21
	v_lshlrev_b64 v[21:22], 1, v[19:20]
	s_cbranch_vccnz .LBB1325_242
; %bb.234:
	s_delay_alu instid0(VALU_DEP_1) | instskip(NEXT) | instid1(VALU_DEP_2)
	v_add_co_u32 v19, vcc_lo, s16, v21
	v_add_co_ci_u32_e32 v20, vcc_lo, s17, v22, vcc_lo
	v_add_co_u32 v17, vcc_lo, s16, v17
	v_add_co_ci_u32_e32 v18, vcc_lo, s17, v18, vcc_lo
	s_mov_b32 s33, -1
	s_clause 0x1
	global_load_u16 v23, v[19:20], off
	global_load_u16 v24, v[17:18], off
	s_mov_b32 s34, exec_lo
	s_waitcnt vmcnt(0)
	v_cmpx_eq_f16_e32 v23, v24
	s_cbranch_execz .LBB1325_241
; %bb.235:
	v_add_co_u32 v17, vcc_lo, v17, 2
	v_add_co_ci_u32_e32 v18, vcc_lo, 0, v18, vcc_lo
	v_add_co_u32 v19, vcc_lo, v19, 2
	v_add_co_ci_u32_e32 v20, vcc_lo, 0, v20, vcc_lo
	s_add_u32 s4, s14, -1
	s_addc_u32 s5, s15, -1
	s_mov_b64 s[6:7], 0
	s_mov_b32 s33, 0
                                        ; implicit-def: $sgpr35
	s_set_inst_prefetch_distance 0x1
	s_branch .LBB1325_238
	.p2align	6
.LBB1325_236:                           ;   in Loop: Header=BB1325_238 Depth=1
	global_load_u16 v23, v[19:20], off
	global_load_u16 v24, v[17:18], off
	v_add_co_u32 v17, vcc_lo, v17, 2
	v_add_co_ci_u32_e32 v18, vcc_lo, 0, v18, vcc_lo
	v_add_co_u32 v19, s0, v19, 2
	s_delay_alu instid0(VALU_DEP_1)
	v_add_co_ci_u32_e64 v20, s0, 0, v20, s0
	s_add_u32 s6, s6, 1
	s_addc_u32 s7, s7, 0
	s_and_not1_b32 s0, s35, exec_lo
	s_waitcnt vmcnt(0)
	v_cmp_neq_f16_e32 vcc_lo, v23, v24
	s_and_b32 s35, vcc_lo, exec_lo
	s_delay_alu instid0(SALU_CYCLE_1)
	s_or_b32 s35, s0, s35
.LBB1325_237:                           ;   in Loop: Header=BB1325_238 Depth=1
	v_dual_mov_b32 v24, s7 :: v_dual_mov_b32 v23, s6
	s_and_b32 s0, exec_lo, s35
	s_delay_alu instid0(SALU_CYCLE_1) | instskip(NEXT) | instid1(SALU_CYCLE_1)
	s_or_b32 s33, s0, s33
	s_and_not1_b32 exec_lo, exec_lo, s33
	s_cbranch_execz .LBB1325_240
.LBB1325_238:                           ; =>This Inner Loop Header: Depth=1
	s_or_b32 s35, s35, exec_lo
	s_cmp_eq_u64 s[4:5], s[6:7]
	s_cbranch_scc0 .LBB1325_236
; %bb.239:                              ;   in Loop: Header=BB1325_238 Depth=1
	s_mov_b64 s[6:7], s[14:15]
                                        ; implicit-def: $vgpr17_vgpr18
                                        ; implicit-def: $vgpr19_vgpr20
	s_branch .LBB1325_237
.LBB1325_240:
	s_set_inst_prefetch_distance 0x2
	s_or_b32 exec_lo, exec_lo, s33
	v_cmp_gt_i64_e32 vcc_lo, s[14:15], v[23:24]
	s_or_not1_b32 s33, vcc_lo, exec_lo
.LBB1325_241:
	s_or_b32 exec_lo, exec_lo, s34
.LBB1325_242:
	v_mul_lo_u32 v19, v16, s14
	v_mul_lo_u32 v20, v15, s15
	v_mad_u64_u32 v[17:18], null, v15, s14, 0
	s_and_not1_b32 vcc_lo, exec_lo, s26
	s_delay_alu instid0(VALU_DEP_1) | instskip(NEXT) | instid1(VALU_DEP_1)
	v_add3_u32 v18, v18, v20, v19
	v_lshlrev_b64 v[19:20], 1, v[17:18]
	s_cbranch_vccnz .LBB1325_251
; %bb.243:
	s_delay_alu instid0(VALU_DEP_1) | instskip(NEXT) | instid1(VALU_DEP_2)
	v_add_co_u32 v23, vcc_lo, s16, v19
	v_add_co_ci_u32_e32 v24, vcc_lo, s17, v20, vcc_lo
	v_add_co_u32 v17, vcc_lo, s16, v21
	v_add_co_ci_u32_e32 v18, vcc_lo, s17, v22, vcc_lo
	s_mov_b32 s31, -1
	s_clause 0x1
	global_load_u16 v21, v[23:24], off
	global_load_u16 v22, v[17:18], off
	s_mov_b32 s34, exec_lo
	s_waitcnt vmcnt(0)
	v_cmpx_eq_f16_e32 v21, v22
	s_cbranch_execz .LBB1325_250
; %bb.244:
	v_add_co_u32 v17, vcc_lo, v17, 2
	v_add_co_ci_u32_e32 v18, vcc_lo, 0, v18, vcc_lo
	v_add_co_u32 v21, vcc_lo, v23, 2
	v_add_co_ci_u32_e32 v22, vcc_lo, 0, v24, vcc_lo
	s_add_u32 s4, s14, -1
	s_addc_u32 s5, s15, -1
	s_mov_b64 s[6:7], 0
	s_mov_b32 s31, 0
                                        ; implicit-def: $sgpr35
	s_set_inst_prefetch_distance 0x1
	s_branch .LBB1325_247
	.p2align	6
.LBB1325_245:                           ;   in Loop: Header=BB1325_247 Depth=1
	global_load_u16 v23, v[21:22], off
	global_load_u16 v24, v[17:18], off
	v_add_co_u32 v17, vcc_lo, v17, 2
	v_add_co_ci_u32_e32 v18, vcc_lo, 0, v18, vcc_lo
	v_add_co_u32 v21, s0, v21, 2
	s_delay_alu instid0(VALU_DEP_1)
	v_add_co_ci_u32_e64 v22, s0, 0, v22, s0
	s_add_u32 s6, s6, 1
	s_addc_u32 s7, s7, 0
	s_and_not1_b32 s0, s35, exec_lo
	s_waitcnt vmcnt(0)
	v_cmp_neq_f16_e32 vcc_lo, v23, v24
	s_and_b32 s35, vcc_lo, exec_lo
	s_delay_alu instid0(SALU_CYCLE_1)
	s_or_b32 s35, s0, s35
.LBB1325_246:                           ;   in Loop: Header=BB1325_247 Depth=1
	v_dual_mov_b32 v24, s7 :: v_dual_mov_b32 v23, s6
	s_and_b32 s0, exec_lo, s35
	s_delay_alu instid0(SALU_CYCLE_1) | instskip(NEXT) | instid1(SALU_CYCLE_1)
	s_or_b32 s31, s0, s31
	s_and_not1_b32 exec_lo, exec_lo, s31
	s_cbranch_execz .LBB1325_249
.LBB1325_247:                           ; =>This Inner Loop Header: Depth=1
	s_or_b32 s35, s35, exec_lo
	s_cmp_eq_u64 s[4:5], s[6:7]
	s_cbranch_scc0 .LBB1325_245
; %bb.248:                              ;   in Loop: Header=BB1325_247 Depth=1
	s_mov_b64 s[6:7], s[14:15]
                                        ; implicit-def: $vgpr17_vgpr18
                                        ; implicit-def: $vgpr21_vgpr22
	s_branch .LBB1325_246
.LBB1325_249:
	s_set_inst_prefetch_distance 0x2
	s_or_b32 exec_lo, exec_lo, s31
	v_cmp_gt_i64_e32 vcc_lo, s[14:15], v[23:24]
	s_or_not1_b32 s31, vcc_lo, exec_lo
.LBB1325_250:
	s_or_b32 exec_lo, exec_lo, s34
.LBB1325_251:
	v_mul_lo_u32 v21, v14, s14
	v_mul_lo_u32 v22, v13, s15
	v_mad_u64_u32 v[17:18], null, v13, s14, 0
	s_and_not1_b32 vcc_lo, exec_lo, s26
	s_mov_b32 s0, 0
	s_delay_alu instid0(VALU_DEP_1)
	v_add3_u32 v18, v18, v22, v21
	s_cbranch_vccnz .LBB1325_260
; %bb.252:
	s_delay_alu instid0(VALU_DEP_1) | instskip(SKIP_2) | instid1(VALU_DEP_1)
	v_lshlrev_b64 v[21:22], 1, v[17:18]
	s_mov_b32 s0, -1
	s_mov_b32 s34, exec_lo
	v_add_co_u32 v21, vcc_lo, s16, v21
	s_delay_alu instid0(VALU_DEP_2)
	v_add_co_ci_u32_e32 v22, vcc_lo, s17, v22, vcc_lo
	v_add_co_u32 v19, vcc_lo, s16, v19
	v_add_co_ci_u32_e32 v20, vcc_lo, s17, v20, vcc_lo
	s_clause 0x1
	global_load_u16 v23, v[21:22], off
	global_load_u16 v24, v[19:20], off
	s_waitcnt vmcnt(0)
	v_cmpx_eq_f16_e32 v23, v24
	s_cbranch_execz .LBB1325_259
; %bb.253:
	v_add_co_u32 v19, vcc_lo, v19, 2
	v_add_co_ci_u32_e32 v20, vcc_lo, 0, v20, vcc_lo
	v_add_co_u32 v21, vcc_lo, v21, 2
	v_add_co_ci_u32_e32 v22, vcc_lo, 0, v22, vcc_lo
	s_add_u32 s4, s14, -1
	s_addc_u32 s5, s15, -1
	s_mov_b64 s[6:7], 0
	s_mov_b32 s35, 0
                                        ; implicit-def: $sgpr36
	s_set_inst_prefetch_distance 0x1
	s_branch .LBB1325_256
	.p2align	6
.LBB1325_254:                           ;   in Loop: Header=BB1325_256 Depth=1
	global_load_u16 v23, v[21:22], off
	global_load_u16 v24, v[19:20], off
	v_add_co_u32 v19, vcc_lo, v19, 2
	v_add_co_ci_u32_e32 v20, vcc_lo, 0, v20, vcc_lo
	v_add_co_u32 v21, s0, v21, 2
	s_delay_alu instid0(VALU_DEP_1)
	v_add_co_ci_u32_e64 v22, s0, 0, v22, s0
	s_add_u32 s6, s6, 1
	s_addc_u32 s7, s7, 0
	s_and_not1_b32 s0, s36, exec_lo
	s_waitcnt vmcnt(0)
	v_cmp_neq_f16_e32 vcc_lo, v23, v24
	s_and_b32 s36, vcc_lo, exec_lo
	s_delay_alu instid0(SALU_CYCLE_1)
	s_or_b32 s36, s0, s36
.LBB1325_255:                           ;   in Loop: Header=BB1325_256 Depth=1
	v_dual_mov_b32 v24, s7 :: v_dual_mov_b32 v23, s6
	s_and_b32 s0, exec_lo, s36
	s_delay_alu instid0(SALU_CYCLE_1) | instskip(NEXT) | instid1(SALU_CYCLE_1)
	s_or_b32 s35, s0, s35
	s_and_not1_b32 exec_lo, exec_lo, s35
	s_cbranch_execz .LBB1325_258
.LBB1325_256:                           ; =>This Inner Loop Header: Depth=1
	s_or_b32 s36, s36, exec_lo
	s_cmp_eq_u64 s[4:5], s[6:7]
	s_cbranch_scc0 .LBB1325_254
; %bb.257:                              ;   in Loop: Header=BB1325_256 Depth=1
	s_mov_b64 s[6:7], s[14:15]
                                        ; implicit-def: $vgpr19_vgpr20
                                        ; implicit-def: $vgpr21_vgpr22
	s_branch .LBB1325_255
.LBB1325_258:
	s_set_inst_prefetch_distance 0x2
	s_or_b32 exec_lo, exec_lo, s35
	v_cmp_gt_i64_e32 vcc_lo, s[14:15], v[23:24]
	s_or_not1_b32 s0, vcc_lo, exec_lo
.LBB1325_259:
	s_or_b32 exec_lo, exec_lo, s34
.LBB1325_260:
	v_cndmask_b32_e64 v20, 0, 1, s33
	v_cndmask_b32_e64 v21, 0, 1, s30
	;; [unrolled: 1-line block ×7, first 2 shown]
	v_lshlrev_b16 v21, 8, v21
	v_lshlrev_b16 v22, 8, v22
	v_lshlrev_b16 v23, 8, v23
	v_lshlrev_b16 v20, 8, v20
	s_waitcnt lgkmcnt(0)
	v_or_b32_e32 v21, v24, v21
	v_or_b32_e32 v22, v25, v22
	;; [unrolled: 1-line block ×4, first 2 shown]
	s_barrier
	v_and_b32_e32 v20, 0xffff, v21
	v_lshlrev_b32_e32 v21, 16, v22
	v_and_b32_e32 v22, 0xffff, v23
	v_lshlrev_b32_e32 v19, 16, v19
	buffer_gl0_inv
                                        ; implicit-def: $sgpr0
	v_or_b32_e32 v20, v20, v21
	v_or_b32_e32 v19, v22, v19
	s_and_saveexec_b32 s4, s3
	s_delay_alu instid0(SALU_CYCLE_1)
	s_xor_b32 s27, exec_lo, s4
	s_cbranch_execz .LBB1325_271
; %bb.261:
	s_and_not1_b32 vcc_lo, exec_lo, s26
	s_mov_b32 s0, 0
	s_cbranch_vccnz .LBB1325_270
; %bb.262:
	v_add_nc_u32_e32 v21, -8, v39
	v_lshlrev_b64 v[17:18], 1, v[17:18]
	s_mov_b32 s0, -1
	s_mov_b32 s28, exec_lo
	ds_load_b64 v[21:22], v21
	s_waitcnt lgkmcnt(0)
	v_mul_lo_u32 v24, v22, s14
	v_mul_lo_u32 v25, v21, s15
	v_mad_u64_u32 v[22:23], null, v21, s14, 0
	s_delay_alu instid0(VALU_DEP_1) | instskip(NEXT) | instid1(VALU_DEP_1)
	v_add3_u32 v23, v23, v25, v24
	v_lshlrev_b64 v[21:22], 1, v[22:23]
	s_delay_alu instid0(VALU_DEP_1) | instskip(NEXT) | instid1(VALU_DEP_2)
	v_add_co_u32 v21, vcc_lo, s16, v21
	v_add_co_ci_u32_e32 v22, vcc_lo, s17, v22, vcc_lo
	v_add_co_u32 v17, vcc_lo, s16, v17
	v_add_co_ci_u32_e32 v18, vcc_lo, s17, v18, vcc_lo
	s_clause 0x1
	global_load_u16 v23, v[21:22], off
	global_load_u16 v24, v[17:18], off
	s_waitcnt vmcnt(0)
	v_cmpx_eq_f16_e32 v23, v24
	s_cbranch_execz .LBB1325_269
; %bb.263:
	v_add_co_u32 v17, vcc_lo, v17, 2
	v_add_co_ci_u32_e32 v18, vcc_lo, 0, v18, vcc_lo
	v_add_co_u32 v21, vcc_lo, v21, 2
	v_add_co_ci_u32_e32 v22, vcc_lo, 0, v22, vcc_lo
	s_add_u32 s4, s14, -1
	s_addc_u32 s5, s15, -1
	s_mov_b64 s[6:7], 0
	s_mov_b32 s29, 0
                                        ; implicit-def: $sgpr30
	s_set_inst_prefetch_distance 0x1
	s_branch .LBB1325_266
	.p2align	6
.LBB1325_264:                           ;   in Loop: Header=BB1325_266 Depth=1
	global_load_u16 v23, v[21:22], off
	global_load_u16 v24, v[17:18], off
	v_add_co_u32 v17, vcc_lo, v17, 2
	v_add_co_ci_u32_e32 v18, vcc_lo, 0, v18, vcc_lo
	v_add_co_u32 v21, s0, v21, 2
	s_delay_alu instid0(VALU_DEP_1)
	v_add_co_ci_u32_e64 v22, s0, 0, v22, s0
	s_add_u32 s6, s6, 1
	s_addc_u32 s7, s7, 0
	s_and_not1_b32 s0, s30, exec_lo
	s_waitcnt vmcnt(0)
	v_cmp_neq_f16_e32 vcc_lo, v23, v24
	s_and_b32 s30, vcc_lo, exec_lo
	s_delay_alu instid0(SALU_CYCLE_1)
	s_or_b32 s30, s0, s30
.LBB1325_265:                           ;   in Loop: Header=BB1325_266 Depth=1
	v_dual_mov_b32 v24, s7 :: v_dual_mov_b32 v23, s6
	s_and_b32 s0, exec_lo, s30
	s_delay_alu instid0(SALU_CYCLE_1) | instskip(NEXT) | instid1(SALU_CYCLE_1)
	s_or_b32 s29, s0, s29
	s_and_not1_b32 exec_lo, exec_lo, s29
	s_cbranch_execz .LBB1325_268
.LBB1325_266:                           ; =>This Inner Loop Header: Depth=1
	s_or_b32 s30, s30, exec_lo
	s_cmp_eq_u64 s[4:5], s[6:7]
	s_cbranch_scc0 .LBB1325_264
; %bb.267:                              ;   in Loop: Header=BB1325_266 Depth=1
	s_mov_b64 s[6:7], s[14:15]
                                        ; implicit-def: $vgpr17_vgpr18
                                        ; implicit-def: $vgpr21_vgpr22
	s_branch .LBB1325_265
.LBB1325_268:
	s_set_inst_prefetch_distance 0x2
	s_or_b32 exec_lo, exec_lo, s29
	v_cmp_gt_i64_e32 vcc_lo, s[14:15], v[23:24]
	s_or_not1_b32 s0, vcc_lo, exec_lo
.LBB1325_269:
	s_or_b32 exec_lo, exec_lo, s28
.LBB1325_270:
	s_delay_alu instid0(SALU_CYCLE_1)
	s_and_b32 s0, s0, exec_lo
	s_or_b32 s25, s25, exec_lo
.LBB1325_271:
	s_or_b32 exec_lo, exec_lo, s27
	s_branch .LBB1325_363
.LBB1325_272:
	s_waitcnt vmcnt(0) lgkmcnt(1)
	v_or_b32_e32 v17, 7, v39
	s_mov_b32 s27, 0
	s_mov_b32 s28, 0
	s_mov_b32 s29, exec_lo
	s_delay_alu instid0(VALU_DEP_1)
	v_cmpx_gt_u32_e64 s12, v17
	s_cbranch_execz .LBB1325_283
; %bb.273:
	s_and_not1_b32 vcc_lo, exec_lo, s26
	s_mov_b32 s0, 0
	s_cbranch_vccnz .LBB1325_282
; %bb.274:
	v_mul_lo_u32 v21, v2, s14
	v_mul_lo_u32 v22, v1, s15
	v_mad_u64_u32 v[17:18], null, v1, s14, 0
	v_mul_lo_u32 v23, v4, s14
	v_mul_lo_u32 v24, v3, s15
	v_mad_u64_u32 v[19:20], null, v3, s14, 0
	s_mov_b32 s0, -1
	s_mov_b32 s28, exec_lo
	s_delay_alu instid0(VALU_DEP_4) | instskip(NEXT) | instid1(VALU_DEP_2)
	v_add3_u32 v18, v18, v22, v21
	v_add3_u32 v20, v20, v24, v23
	s_delay_alu instid0(VALU_DEP_2) | instskip(NEXT) | instid1(VALU_DEP_2)
	v_lshlrev_b64 v[17:18], 1, v[17:18]
	v_lshlrev_b64 v[21:22], 1, v[19:20]
	s_delay_alu instid0(VALU_DEP_2) | instskip(NEXT) | instid1(VALU_DEP_3)
	v_add_co_u32 v19, vcc_lo, s16, v17
	v_add_co_ci_u32_e32 v20, vcc_lo, s17, v18, vcc_lo
	s_delay_alu instid0(VALU_DEP_3) | instskip(NEXT) | instid1(VALU_DEP_4)
	v_add_co_u32 v17, vcc_lo, s16, v21
	v_add_co_ci_u32_e32 v18, vcc_lo, s17, v22, vcc_lo
	s_clause 0x1
	global_load_u16 v21, v[19:20], off
	global_load_u16 v22, v[17:18], off
	s_waitcnt vmcnt(0)
	v_cmpx_eq_f16_e32 v21, v22
	s_cbranch_execz .LBB1325_281
; %bb.275:
	v_add_co_u32 v17, vcc_lo, v17, 2
	v_add_co_ci_u32_e32 v18, vcc_lo, 0, v18, vcc_lo
	v_add_co_u32 v19, vcc_lo, v19, 2
	v_add_co_ci_u32_e32 v20, vcc_lo, 0, v20, vcc_lo
	s_add_u32 s4, s14, -1
	s_addc_u32 s5, s15, -1
	s_mov_b64 s[6:7], 0
	s_mov_b32 s30, 0
                                        ; implicit-def: $sgpr31
	s_set_inst_prefetch_distance 0x1
	s_branch .LBB1325_278
	.p2align	6
.LBB1325_276:                           ;   in Loop: Header=BB1325_278 Depth=1
	global_load_u16 v21, v[19:20], off
	global_load_u16 v22, v[17:18], off
	v_add_co_u32 v17, vcc_lo, v17, 2
	v_add_co_ci_u32_e32 v18, vcc_lo, 0, v18, vcc_lo
	v_add_co_u32 v19, s0, v19, 2
	s_delay_alu instid0(VALU_DEP_1)
	v_add_co_ci_u32_e64 v20, s0, 0, v20, s0
	s_add_u32 s6, s6, 1
	s_addc_u32 s7, s7, 0
	s_and_not1_b32 s0, s31, exec_lo
	s_waitcnt vmcnt(0)
	v_cmp_neq_f16_e32 vcc_lo, v21, v22
	s_and_b32 s31, vcc_lo, exec_lo
	s_delay_alu instid0(SALU_CYCLE_1)
	s_or_b32 s31, s0, s31
.LBB1325_277:                           ;   in Loop: Header=BB1325_278 Depth=1
	v_dual_mov_b32 v22, s7 :: v_dual_mov_b32 v21, s6
	s_and_b32 s0, exec_lo, s31
	s_delay_alu instid0(SALU_CYCLE_1) | instskip(NEXT) | instid1(SALU_CYCLE_1)
	s_or_b32 s30, s0, s30
	s_and_not1_b32 exec_lo, exec_lo, s30
	s_cbranch_execz .LBB1325_280
.LBB1325_278:                           ; =>This Inner Loop Header: Depth=1
	s_or_b32 s31, s31, exec_lo
	s_cmp_eq_u64 s[4:5], s[6:7]
	s_cbranch_scc0 .LBB1325_276
; %bb.279:                              ;   in Loop: Header=BB1325_278 Depth=1
	s_mov_b64 s[6:7], s[14:15]
                                        ; implicit-def: $vgpr17_vgpr18
                                        ; implicit-def: $vgpr19_vgpr20
	s_branch .LBB1325_277
.LBB1325_280:
	s_set_inst_prefetch_distance 0x2
	s_or_b32 exec_lo, exec_lo, s30
	v_cmp_gt_i64_e32 vcc_lo, s[14:15], v[21:22]
	s_or_not1_b32 s0, vcc_lo, exec_lo
.LBB1325_281:
	s_or_b32 exec_lo, exec_lo, s28
.LBB1325_282:
	s_delay_alu instid0(SALU_CYCLE_1)
	s_and_b32 s28, s0, exec_lo
.LBB1325_283:
	s_or_b32 exec_lo, exec_lo, s29
	v_or_b32_e32 v17, 6, v39
	s_mov_b32 s29, exec_lo
	s_delay_alu instid0(VALU_DEP_1)
	v_cmpx_gt_u32_e64 s12, v17
	s_cbranch_execz .LBB1325_294
; %bb.284:
	s_and_not1_b32 vcc_lo, exec_lo, s26
	s_mov_b32 s0, 0
	s_cbranch_vccnz .LBB1325_293
; %bb.285:
	v_mul_lo_u32 v21, v8, s14
	v_mul_lo_u32 v22, v7, s15
	v_mad_u64_u32 v[17:18], null, v7, s14, 0
	v_mul_lo_u32 v23, v2, s14
	v_mul_lo_u32 v24, v1, s15
	v_mad_u64_u32 v[19:20], null, v1, s14, 0
	s_mov_b32 s0, -1
	s_mov_b32 s27, exec_lo
	s_delay_alu instid0(VALU_DEP_4) | instskip(NEXT) | instid1(VALU_DEP_2)
	v_add3_u32 v18, v18, v22, v21
	v_add3_u32 v20, v20, v24, v23
	s_delay_alu instid0(VALU_DEP_2) | instskip(NEXT) | instid1(VALU_DEP_2)
	v_lshlrev_b64 v[17:18], 1, v[17:18]
	v_lshlrev_b64 v[21:22], 1, v[19:20]
	s_delay_alu instid0(VALU_DEP_2) | instskip(NEXT) | instid1(VALU_DEP_3)
	v_add_co_u32 v19, vcc_lo, s16, v17
	v_add_co_ci_u32_e32 v20, vcc_lo, s17, v18, vcc_lo
	s_delay_alu instid0(VALU_DEP_3) | instskip(NEXT) | instid1(VALU_DEP_4)
	v_add_co_u32 v17, vcc_lo, s16, v21
	v_add_co_ci_u32_e32 v18, vcc_lo, s17, v22, vcc_lo
	s_clause 0x1
	global_load_u16 v21, v[19:20], off
	global_load_u16 v22, v[17:18], off
	s_waitcnt vmcnt(0)
	v_cmpx_eq_f16_e32 v21, v22
	s_cbranch_execz .LBB1325_292
; %bb.286:
	v_add_co_u32 v17, vcc_lo, v17, 2
	v_add_co_ci_u32_e32 v18, vcc_lo, 0, v18, vcc_lo
	v_add_co_u32 v19, vcc_lo, v19, 2
	v_add_co_ci_u32_e32 v20, vcc_lo, 0, v20, vcc_lo
	s_add_u32 s4, s14, -1
	s_addc_u32 s5, s15, -1
	s_mov_b64 s[6:7], 0
	s_mov_b32 s30, 0
                                        ; implicit-def: $sgpr31
	s_set_inst_prefetch_distance 0x1
	s_branch .LBB1325_289
	.p2align	6
.LBB1325_287:                           ;   in Loop: Header=BB1325_289 Depth=1
	global_load_u16 v21, v[19:20], off
	global_load_u16 v22, v[17:18], off
	v_add_co_u32 v17, vcc_lo, v17, 2
	v_add_co_ci_u32_e32 v18, vcc_lo, 0, v18, vcc_lo
	v_add_co_u32 v19, s0, v19, 2
	s_delay_alu instid0(VALU_DEP_1)
	v_add_co_ci_u32_e64 v20, s0, 0, v20, s0
	s_add_u32 s6, s6, 1
	s_addc_u32 s7, s7, 0
	s_and_not1_b32 s0, s31, exec_lo
	s_waitcnt vmcnt(0)
	v_cmp_neq_f16_e32 vcc_lo, v21, v22
	s_and_b32 s31, vcc_lo, exec_lo
	s_delay_alu instid0(SALU_CYCLE_1)
	s_or_b32 s31, s0, s31
.LBB1325_288:                           ;   in Loop: Header=BB1325_289 Depth=1
	v_dual_mov_b32 v22, s7 :: v_dual_mov_b32 v21, s6
	s_and_b32 s0, exec_lo, s31
	s_delay_alu instid0(SALU_CYCLE_1) | instskip(NEXT) | instid1(SALU_CYCLE_1)
	s_or_b32 s30, s0, s30
	s_and_not1_b32 exec_lo, exec_lo, s30
	s_cbranch_execz .LBB1325_291
.LBB1325_289:                           ; =>This Inner Loop Header: Depth=1
	s_or_b32 s31, s31, exec_lo
	s_cmp_eq_u64 s[4:5], s[6:7]
	s_cbranch_scc0 .LBB1325_287
; %bb.290:                              ;   in Loop: Header=BB1325_289 Depth=1
	s_mov_b64 s[6:7], s[14:15]
                                        ; implicit-def: $vgpr17_vgpr18
                                        ; implicit-def: $vgpr19_vgpr20
	s_branch .LBB1325_288
.LBB1325_291:
	s_set_inst_prefetch_distance 0x2
	s_or_b32 exec_lo, exec_lo, s30
	v_cmp_gt_i64_e32 vcc_lo, s[14:15], v[21:22]
	s_or_not1_b32 s0, vcc_lo, exec_lo
.LBB1325_292:
	s_or_b32 exec_lo, exec_lo, s27
.LBB1325_293:
	s_delay_alu instid0(SALU_CYCLE_1)
	s_and_b32 s27, s0, exec_lo
.LBB1325_294:
	s_or_b32 exec_lo, exec_lo, s29
	v_or_b32_e32 v17, 5, v39
	s_mov_b32 s29, 0
	s_mov_b32 s30, 0
	s_mov_b32 s31, exec_lo
	s_delay_alu instid0(VALU_DEP_1)
	v_cmpx_gt_u32_e64 s12, v17
	s_cbranch_execz .LBB1325_305
; %bb.295:
	s_and_not1_b32 vcc_lo, exec_lo, s26
	s_mov_b32 s0, 0
	s_cbranch_vccnz .LBB1325_304
; %bb.296:
	v_mul_lo_u32 v21, v6, s14
	v_mul_lo_u32 v22, v5, s15
	v_mad_u64_u32 v[17:18], null, v5, s14, 0
	v_mul_lo_u32 v23, v8, s14
	v_mul_lo_u32 v24, v7, s15
	v_mad_u64_u32 v[19:20], null, v7, s14, 0
	s_mov_b32 s0, -1
	s_mov_b32 s30, exec_lo
	s_delay_alu instid0(VALU_DEP_4) | instskip(NEXT) | instid1(VALU_DEP_2)
	v_add3_u32 v18, v18, v22, v21
	v_add3_u32 v20, v20, v24, v23
	s_delay_alu instid0(VALU_DEP_2) | instskip(NEXT) | instid1(VALU_DEP_2)
	v_lshlrev_b64 v[17:18], 1, v[17:18]
	v_lshlrev_b64 v[21:22], 1, v[19:20]
	s_delay_alu instid0(VALU_DEP_2) | instskip(NEXT) | instid1(VALU_DEP_3)
	v_add_co_u32 v19, vcc_lo, s16, v17
	v_add_co_ci_u32_e32 v20, vcc_lo, s17, v18, vcc_lo
	s_delay_alu instid0(VALU_DEP_3) | instskip(NEXT) | instid1(VALU_DEP_4)
	v_add_co_u32 v17, vcc_lo, s16, v21
	v_add_co_ci_u32_e32 v18, vcc_lo, s17, v22, vcc_lo
	s_clause 0x1
	global_load_u16 v21, v[19:20], off
	global_load_u16 v22, v[17:18], off
	s_waitcnt vmcnt(0)
	v_cmpx_eq_f16_e32 v21, v22
	s_cbranch_execz .LBB1325_303
; %bb.297:
	v_add_co_u32 v17, vcc_lo, v17, 2
	v_add_co_ci_u32_e32 v18, vcc_lo, 0, v18, vcc_lo
	v_add_co_u32 v19, vcc_lo, v19, 2
	v_add_co_ci_u32_e32 v20, vcc_lo, 0, v20, vcc_lo
	s_add_u32 s4, s14, -1
	s_addc_u32 s5, s15, -1
	s_mov_b64 s[6:7], 0
	s_mov_b32 s33, 0
                                        ; implicit-def: $sgpr34
	s_set_inst_prefetch_distance 0x1
	s_branch .LBB1325_300
	.p2align	6
.LBB1325_298:                           ;   in Loop: Header=BB1325_300 Depth=1
	global_load_u16 v21, v[19:20], off
	global_load_u16 v22, v[17:18], off
	v_add_co_u32 v17, vcc_lo, v17, 2
	v_add_co_ci_u32_e32 v18, vcc_lo, 0, v18, vcc_lo
	v_add_co_u32 v19, s0, v19, 2
	s_delay_alu instid0(VALU_DEP_1)
	v_add_co_ci_u32_e64 v20, s0, 0, v20, s0
	s_add_u32 s6, s6, 1
	s_addc_u32 s7, s7, 0
	s_and_not1_b32 s0, s34, exec_lo
	s_waitcnt vmcnt(0)
	v_cmp_neq_f16_e32 vcc_lo, v21, v22
	s_and_b32 s34, vcc_lo, exec_lo
	s_delay_alu instid0(SALU_CYCLE_1)
	s_or_b32 s34, s0, s34
.LBB1325_299:                           ;   in Loop: Header=BB1325_300 Depth=1
	v_dual_mov_b32 v22, s7 :: v_dual_mov_b32 v21, s6
	s_and_b32 s0, exec_lo, s34
	s_delay_alu instid0(SALU_CYCLE_1) | instskip(NEXT) | instid1(SALU_CYCLE_1)
	s_or_b32 s33, s0, s33
	s_and_not1_b32 exec_lo, exec_lo, s33
	s_cbranch_execz .LBB1325_302
.LBB1325_300:                           ; =>This Inner Loop Header: Depth=1
	s_or_b32 s34, s34, exec_lo
	s_cmp_eq_u64 s[4:5], s[6:7]
	s_cbranch_scc0 .LBB1325_298
; %bb.301:                              ;   in Loop: Header=BB1325_300 Depth=1
	s_mov_b64 s[6:7], s[14:15]
                                        ; implicit-def: $vgpr17_vgpr18
                                        ; implicit-def: $vgpr19_vgpr20
	s_branch .LBB1325_299
.LBB1325_302:
	s_set_inst_prefetch_distance 0x2
	s_or_b32 exec_lo, exec_lo, s33
	v_cmp_gt_i64_e32 vcc_lo, s[14:15], v[21:22]
	s_or_not1_b32 s0, vcc_lo, exec_lo
.LBB1325_303:
	s_or_b32 exec_lo, exec_lo, s30
.LBB1325_304:
	s_delay_alu instid0(SALU_CYCLE_1)
	s_and_b32 s30, s0, exec_lo
.LBB1325_305:
	s_or_b32 exec_lo, exec_lo, s31
	v_or_b32_e32 v17, 4, v39
	s_mov_b32 s31, exec_lo
	s_delay_alu instid0(VALU_DEP_1)
	v_cmpx_gt_u32_e64 s12, v17
	s_cbranch_execz .LBB1325_316
; %bb.306:
	s_and_not1_b32 vcc_lo, exec_lo, s26
	s_mov_b32 s0, 0
	s_cbranch_vccnz .LBB1325_315
; %bb.307:
	v_mul_lo_u32 v21, v12, s14
	v_mul_lo_u32 v22, v11, s15
	v_mad_u64_u32 v[17:18], null, v11, s14, 0
	v_mul_lo_u32 v23, v6, s14
	v_mul_lo_u32 v24, v5, s15
	v_mad_u64_u32 v[19:20], null, v5, s14, 0
	s_mov_b32 s0, -1
	s_mov_b32 s29, exec_lo
	s_delay_alu instid0(VALU_DEP_4) | instskip(NEXT) | instid1(VALU_DEP_2)
	v_add3_u32 v18, v18, v22, v21
	v_add3_u32 v20, v20, v24, v23
	s_delay_alu instid0(VALU_DEP_2) | instskip(NEXT) | instid1(VALU_DEP_2)
	v_lshlrev_b64 v[17:18], 1, v[17:18]
	v_lshlrev_b64 v[21:22], 1, v[19:20]
	s_delay_alu instid0(VALU_DEP_2) | instskip(NEXT) | instid1(VALU_DEP_3)
	v_add_co_u32 v19, vcc_lo, s16, v17
	v_add_co_ci_u32_e32 v20, vcc_lo, s17, v18, vcc_lo
	s_delay_alu instid0(VALU_DEP_3) | instskip(NEXT) | instid1(VALU_DEP_4)
	v_add_co_u32 v17, vcc_lo, s16, v21
	v_add_co_ci_u32_e32 v18, vcc_lo, s17, v22, vcc_lo
	s_clause 0x1
	global_load_u16 v21, v[19:20], off
	global_load_u16 v22, v[17:18], off
	s_waitcnt vmcnt(0)
	v_cmpx_eq_f16_e32 v21, v22
	s_cbranch_execz .LBB1325_314
; %bb.308:
	v_add_co_u32 v17, vcc_lo, v17, 2
	v_add_co_ci_u32_e32 v18, vcc_lo, 0, v18, vcc_lo
	v_add_co_u32 v19, vcc_lo, v19, 2
	v_add_co_ci_u32_e32 v20, vcc_lo, 0, v20, vcc_lo
	s_add_u32 s4, s14, -1
	s_addc_u32 s5, s15, -1
	s_mov_b64 s[6:7], 0
	s_mov_b32 s33, 0
                                        ; implicit-def: $sgpr34
	s_set_inst_prefetch_distance 0x1
	s_branch .LBB1325_311
	.p2align	6
.LBB1325_309:                           ;   in Loop: Header=BB1325_311 Depth=1
	global_load_u16 v21, v[19:20], off
	global_load_u16 v22, v[17:18], off
	v_add_co_u32 v17, vcc_lo, v17, 2
	v_add_co_ci_u32_e32 v18, vcc_lo, 0, v18, vcc_lo
	v_add_co_u32 v19, s0, v19, 2
	s_delay_alu instid0(VALU_DEP_1)
	v_add_co_ci_u32_e64 v20, s0, 0, v20, s0
	s_add_u32 s6, s6, 1
	s_addc_u32 s7, s7, 0
	s_and_not1_b32 s0, s34, exec_lo
	s_waitcnt vmcnt(0)
	v_cmp_neq_f16_e32 vcc_lo, v21, v22
	s_and_b32 s34, vcc_lo, exec_lo
	s_delay_alu instid0(SALU_CYCLE_1)
	s_or_b32 s34, s0, s34
.LBB1325_310:                           ;   in Loop: Header=BB1325_311 Depth=1
	v_dual_mov_b32 v22, s7 :: v_dual_mov_b32 v21, s6
	s_and_b32 s0, exec_lo, s34
	s_delay_alu instid0(SALU_CYCLE_1) | instskip(NEXT) | instid1(SALU_CYCLE_1)
	s_or_b32 s33, s0, s33
	s_and_not1_b32 exec_lo, exec_lo, s33
	s_cbranch_execz .LBB1325_313
.LBB1325_311:                           ; =>This Inner Loop Header: Depth=1
	s_or_b32 s34, s34, exec_lo
	s_cmp_eq_u64 s[4:5], s[6:7]
	s_cbranch_scc0 .LBB1325_309
; %bb.312:                              ;   in Loop: Header=BB1325_311 Depth=1
	s_mov_b64 s[6:7], s[14:15]
                                        ; implicit-def: $vgpr17_vgpr18
                                        ; implicit-def: $vgpr19_vgpr20
	s_branch .LBB1325_310
.LBB1325_313:
	s_set_inst_prefetch_distance 0x2
	s_or_b32 exec_lo, exec_lo, s33
	v_cmp_gt_i64_e32 vcc_lo, s[14:15], v[21:22]
	s_or_not1_b32 s0, vcc_lo, exec_lo
.LBB1325_314:
	s_or_b32 exec_lo, exec_lo, s29
.LBB1325_315:
	s_delay_alu instid0(SALU_CYCLE_1)
	s_and_b32 s29, s0, exec_lo
.LBB1325_316:
	s_or_b32 exec_lo, exec_lo, s31
	v_or_b32_e32 v17, 3, v39
	s_mov_b32 s33, 0
	s_mov_b32 s31, 0
	s_mov_b32 s34, exec_lo
	s_delay_alu instid0(VALU_DEP_1)
	v_cmpx_gt_u32_e64 s12, v17
	s_cbranch_execz .LBB1325_327
; %bb.317:
	s_and_not1_b32 vcc_lo, exec_lo, s26
	s_mov_b32 s0, 0
	s_cbranch_vccnz .LBB1325_326
; %bb.318:
	v_mul_lo_u32 v21, v10, s14
	v_mul_lo_u32 v22, v9, s15
	v_mad_u64_u32 v[17:18], null, v9, s14, 0
	v_mul_lo_u32 v23, v12, s14
	v_mul_lo_u32 v24, v11, s15
	v_mad_u64_u32 v[19:20], null, v11, s14, 0
	s_mov_b32 s0, -1
	s_mov_b32 s31, exec_lo
	s_delay_alu instid0(VALU_DEP_4) | instskip(NEXT) | instid1(VALU_DEP_2)
	v_add3_u32 v18, v18, v22, v21
	v_add3_u32 v20, v20, v24, v23
	s_delay_alu instid0(VALU_DEP_2) | instskip(NEXT) | instid1(VALU_DEP_2)
	v_lshlrev_b64 v[17:18], 1, v[17:18]
	v_lshlrev_b64 v[21:22], 1, v[19:20]
	s_delay_alu instid0(VALU_DEP_2) | instskip(NEXT) | instid1(VALU_DEP_3)
	v_add_co_u32 v19, vcc_lo, s16, v17
	v_add_co_ci_u32_e32 v20, vcc_lo, s17, v18, vcc_lo
	s_delay_alu instid0(VALU_DEP_3) | instskip(NEXT) | instid1(VALU_DEP_4)
	v_add_co_u32 v17, vcc_lo, s16, v21
	v_add_co_ci_u32_e32 v18, vcc_lo, s17, v22, vcc_lo
	s_clause 0x1
	global_load_u16 v21, v[19:20], off
	global_load_u16 v22, v[17:18], off
	s_waitcnt vmcnt(0)
	v_cmpx_eq_f16_e32 v21, v22
	s_cbranch_execz .LBB1325_325
; %bb.319:
	v_add_co_u32 v17, vcc_lo, v17, 2
	v_add_co_ci_u32_e32 v18, vcc_lo, 0, v18, vcc_lo
	v_add_co_u32 v19, vcc_lo, v19, 2
	v_add_co_ci_u32_e32 v20, vcc_lo, 0, v20, vcc_lo
	s_add_u32 s4, s14, -1
	s_addc_u32 s5, s15, -1
	s_mov_b64 s[6:7], 0
	s_mov_b32 s35, 0
                                        ; implicit-def: $sgpr36
	s_set_inst_prefetch_distance 0x1
	s_branch .LBB1325_322
	.p2align	6
.LBB1325_320:                           ;   in Loop: Header=BB1325_322 Depth=1
	global_load_u16 v21, v[19:20], off
	global_load_u16 v22, v[17:18], off
	v_add_co_u32 v17, vcc_lo, v17, 2
	v_add_co_ci_u32_e32 v18, vcc_lo, 0, v18, vcc_lo
	v_add_co_u32 v19, s0, v19, 2
	s_delay_alu instid0(VALU_DEP_1)
	v_add_co_ci_u32_e64 v20, s0, 0, v20, s0
	s_add_u32 s6, s6, 1
	s_addc_u32 s7, s7, 0
	s_and_not1_b32 s0, s36, exec_lo
	s_waitcnt vmcnt(0)
	v_cmp_neq_f16_e32 vcc_lo, v21, v22
	s_and_b32 s36, vcc_lo, exec_lo
	s_delay_alu instid0(SALU_CYCLE_1)
	s_or_b32 s36, s0, s36
.LBB1325_321:                           ;   in Loop: Header=BB1325_322 Depth=1
	v_dual_mov_b32 v22, s7 :: v_dual_mov_b32 v21, s6
	s_and_b32 s0, exec_lo, s36
	s_delay_alu instid0(SALU_CYCLE_1) | instskip(NEXT) | instid1(SALU_CYCLE_1)
	s_or_b32 s35, s0, s35
	s_and_not1_b32 exec_lo, exec_lo, s35
	s_cbranch_execz .LBB1325_324
.LBB1325_322:                           ; =>This Inner Loop Header: Depth=1
	s_or_b32 s36, s36, exec_lo
	s_cmp_eq_u64 s[4:5], s[6:7]
	s_cbranch_scc0 .LBB1325_320
; %bb.323:                              ;   in Loop: Header=BB1325_322 Depth=1
	s_mov_b64 s[6:7], s[14:15]
                                        ; implicit-def: $vgpr17_vgpr18
                                        ; implicit-def: $vgpr19_vgpr20
	s_branch .LBB1325_321
.LBB1325_324:
	s_set_inst_prefetch_distance 0x2
	s_or_b32 exec_lo, exec_lo, s35
	v_cmp_gt_i64_e32 vcc_lo, s[14:15], v[21:22]
	s_or_not1_b32 s0, vcc_lo, exec_lo
.LBB1325_325:
	s_or_b32 exec_lo, exec_lo, s31
.LBB1325_326:
	s_delay_alu instid0(SALU_CYCLE_1)
	s_and_b32 s31, s0, exec_lo
.LBB1325_327:
	s_or_b32 exec_lo, exec_lo, s34
	v_or_b32_e32 v17, 2, v39
	s_mov_b32 s34, exec_lo
	s_delay_alu instid0(VALU_DEP_1)
	v_cmpx_gt_u32_e64 s12, v17
	s_cbranch_execz .LBB1325_338
; %bb.328:
	s_and_not1_b32 vcc_lo, exec_lo, s26
	s_mov_b32 s0, 0
	s_cbranch_vccnz .LBB1325_337
; %bb.329:
	v_mul_lo_u32 v21, v16, s14
	v_mul_lo_u32 v22, v15, s15
	v_mad_u64_u32 v[17:18], null, v15, s14, 0
	v_mul_lo_u32 v23, v10, s14
	v_mul_lo_u32 v24, v9, s15
	v_mad_u64_u32 v[19:20], null, v9, s14, 0
	s_mov_b32 s0, -1
	s_mov_b32 s33, exec_lo
	s_delay_alu instid0(VALU_DEP_4) | instskip(NEXT) | instid1(VALU_DEP_2)
	v_add3_u32 v18, v18, v22, v21
	v_add3_u32 v20, v20, v24, v23
	s_delay_alu instid0(VALU_DEP_2) | instskip(NEXT) | instid1(VALU_DEP_2)
	v_lshlrev_b64 v[17:18], 1, v[17:18]
	v_lshlrev_b64 v[21:22], 1, v[19:20]
	s_delay_alu instid0(VALU_DEP_2) | instskip(NEXT) | instid1(VALU_DEP_3)
	v_add_co_u32 v19, vcc_lo, s16, v17
	v_add_co_ci_u32_e32 v20, vcc_lo, s17, v18, vcc_lo
	s_delay_alu instid0(VALU_DEP_3) | instskip(NEXT) | instid1(VALU_DEP_4)
	v_add_co_u32 v17, vcc_lo, s16, v21
	v_add_co_ci_u32_e32 v18, vcc_lo, s17, v22, vcc_lo
	s_clause 0x1
	global_load_u16 v21, v[19:20], off
	global_load_u16 v22, v[17:18], off
	s_waitcnt vmcnt(0)
	v_cmpx_eq_f16_e32 v21, v22
	s_cbranch_execz .LBB1325_336
; %bb.330:
	v_add_co_u32 v17, vcc_lo, v17, 2
	v_add_co_ci_u32_e32 v18, vcc_lo, 0, v18, vcc_lo
	v_add_co_u32 v19, vcc_lo, v19, 2
	v_add_co_ci_u32_e32 v20, vcc_lo, 0, v20, vcc_lo
	s_add_u32 s4, s14, -1
	s_addc_u32 s5, s15, -1
	s_mov_b64 s[6:7], 0
	s_mov_b32 s35, 0
                                        ; implicit-def: $sgpr36
	s_set_inst_prefetch_distance 0x1
	s_branch .LBB1325_333
	.p2align	6
.LBB1325_331:                           ;   in Loop: Header=BB1325_333 Depth=1
	global_load_u16 v21, v[19:20], off
	global_load_u16 v22, v[17:18], off
	v_add_co_u32 v17, vcc_lo, v17, 2
	v_add_co_ci_u32_e32 v18, vcc_lo, 0, v18, vcc_lo
	v_add_co_u32 v19, s0, v19, 2
	s_delay_alu instid0(VALU_DEP_1)
	v_add_co_ci_u32_e64 v20, s0, 0, v20, s0
	s_add_u32 s6, s6, 1
	s_addc_u32 s7, s7, 0
	s_and_not1_b32 s0, s36, exec_lo
	s_waitcnt vmcnt(0)
	v_cmp_neq_f16_e32 vcc_lo, v21, v22
	s_and_b32 s36, vcc_lo, exec_lo
	s_delay_alu instid0(SALU_CYCLE_1)
	s_or_b32 s36, s0, s36
.LBB1325_332:                           ;   in Loop: Header=BB1325_333 Depth=1
	v_dual_mov_b32 v22, s7 :: v_dual_mov_b32 v21, s6
	s_and_b32 s0, exec_lo, s36
	s_delay_alu instid0(SALU_CYCLE_1) | instskip(NEXT) | instid1(SALU_CYCLE_1)
	s_or_b32 s35, s0, s35
	s_and_not1_b32 exec_lo, exec_lo, s35
	s_cbranch_execz .LBB1325_335
.LBB1325_333:                           ; =>This Inner Loop Header: Depth=1
	s_or_b32 s36, s36, exec_lo
	s_cmp_eq_u64 s[4:5], s[6:7]
	s_cbranch_scc0 .LBB1325_331
; %bb.334:                              ;   in Loop: Header=BB1325_333 Depth=1
	s_mov_b64 s[6:7], s[14:15]
                                        ; implicit-def: $vgpr17_vgpr18
                                        ; implicit-def: $vgpr19_vgpr20
	s_branch .LBB1325_332
.LBB1325_335:
	s_set_inst_prefetch_distance 0x2
	s_or_b32 exec_lo, exec_lo, s35
	v_cmp_gt_i64_e32 vcc_lo, s[14:15], v[21:22]
	s_or_not1_b32 s0, vcc_lo, exec_lo
.LBB1325_336:
	s_or_b32 exec_lo, exec_lo, s33
.LBB1325_337:
	s_delay_alu instid0(SALU_CYCLE_1)
	s_and_b32 s33, s0, exec_lo
.LBB1325_338:
	s_or_b32 exec_lo, exec_lo, s34
	v_or_b32_e32 v17, 1, v39
	s_mov_b32 s0, 0
	s_mov_b32 s34, exec_lo
	s_delay_alu instid0(VALU_DEP_1)
	v_cmpx_gt_u32_e64 s12, v17
	s_cbranch_execz .LBB1325_349
; %bb.339:
	s_and_not1_b32 vcc_lo, exec_lo, s26
	s_cbranch_vccnz .LBB1325_348
; %bb.340:
	v_mul_lo_u32 v21, v14, s14
	v_mul_lo_u32 v22, v13, s15
	v_mad_u64_u32 v[17:18], null, v13, s14, 0
	v_mul_lo_u32 v23, v16, s14
	v_mul_lo_u32 v24, v15, s15
	v_mad_u64_u32 v[19:20], null, v15, s14, 0
	s_mov_b32 s0, -1
	s_mov_b32 s35, exec_lo
	s_delay_alu instid0(VALU_DEP_4) | instskip(NEXT) | instid1(VALU_DEP_2)
	v_add3_u32 v18, v18, v22, v21
	v_add3_u32 v20, v20, v24, v23
	s_delay_alu instid0(VALU_DEP_2) | instskip(NEXT) | instid1(VALU_DEP_2)
	v_lshlrev_b64 v[17:18], 1, v[17:18]
	v_lshlrev_b64 v[21:22], 1, v[19:20]
	s_delay_alu instid0(VALU_DEP_2) | instskip(NEXT) | instid1(VALU_DEP_3)
	v_add_co_u32 v19, vcc_lo, s16, v17
	v_add_co_ci_u32_e32 v20, vcc_lo, s17, v18, vcc_lo
	s_delay_alu instid0(VALU_DEP_3) | instskip(NEXT) | instid1(VALU_DEP_4)
	v_add_co_u32 v17, vcc_lo, s16, v21
	v_add_co_ci_u32_e32 v18, vcc_lo, s17, v22, vcc_lo
	s_clause 0x1
	global_load_u16 v21, v[19:20], off
	global_load_u16 v22, v[17:18], off
	s_waitcnt vmcnt(0)
	v_cmpx_eq_f16_e32 v21, v22
	s_cbranch_execz .LBB1325_347
; %bb.341:
	v_add_co_u32 v17, vcc_lo, v17, 2
	v_add_co_ci_u32_e32 v18, vcc_lo, 0, v18, vcc_lo
	v_add_co_u32 v19, vcc_lo, v19, 2
	v_add_co_ci_u32_e32 v20, vcc_lo, 0, v20, vcc_lo
	s_add_u32 s4, s14, -1
	s_addc_u32 s5, s15, -1
	s_mov_b64 s[6:7], 0
	s_mov_b32 s36, 0
                                        ; implicit-def: $sgpr37
	s_set_inst_prefetch_distance 0x1
	s_branch .LBB1325_344
	.p2align	6
.LBB1325_342:                           ;   in Loop: Header=BB1325_344 Depth=1
	global_load_u16 v21, v[19:20], off
	global_load_u16 v22, v[17:18], off
	v_add_co_u32 v17, vcc_lo, v17, 2
	v_add_co_ci_u32_e32 v18, vcc_lo, 0, v18, vcc_lo
	v_add_co_u32 v19, s0, v19, 2
	s_delay_alu instid0(VALU_DEP_1)
	v_add_co_ci_u32_e64 v20, s0, 0, v20, s0
	s_add_u32 s6, s6, 1
	s_addc_u32 s7, s7, 0
	s_and_not1_b32 s0, s37, exec_lo
	s_waitcnt vmcnt(0)
	v_cmp_neq_f16_e32 vcc_lo, v21, v22
	s_and_b32 s37, vcc_lo, exec_lo
	s_delay_alu instid0(SALU_CYCLE_1)
	s_or_b32 s37, s0, s37
.LBB1325_343:                           ;   in Loop: Header=BB1325_344 Depth=1
	v_dual_mov_b32 v22, s7 :: v_dual_mov_b32 v21, s6
	s_and_b32 s0, exec_lo, s37
	s_delay_alu instid0(SALU_CYCLE_1) | instskip(NEXT) | instid1(SALU_CYCLE_1)
	s_or_b32 s36, s0, s36
	s_and_not1_b32 exec_lo, exec_lo, s36
	s_cbranch_execz .LBB1325_346
.LBB1325_344:                           ; =>This Inner Loop Header: Depth=1
	s_or_b32 s37, s37, exec_lo
	s_cmp_eq_u64 s[4:5], s[6:7]
	s_cbranch_scc0 .LBB1325_342
; %bb.345:                              ;   in Loop: Header=BB1325_344 Depth=1
	s_mov_b64 s[6:7], s[14:15]
                                        ; implicit-def: $vgpr17_vgpr18
                                        ; implicit-def: $vgpr19_vgpr20
	s_branch .LBB1325_343
.LBB1325_346:
	s_set_inst_prefetch_distance 0x2
	s_or_b32 exec_lo, exec_lo, s36
	v_cmp_gt_i64_e32 vcc_lo, s[14:15], v[21:22]
	s_or_not1_b32 s0, vcc_lo, exec_lo
.LBB1325_347:
	s_or_b32 exec_lo, exec_lo, s35
.LBB1325_348:
	s_delay_alu instid0(SALU_CYCLE_1)
	s_and_b32 s0, s0, exec_lo
.LBB1325_349:
	s_or_b32 exec_lo, exec_lo, s34
	v_cndmask_b32_e64 v18, 0, 1, s31
	v_cndmask_b32_e64 v19, 0, 1, s30
	;; [unrolled: 1-line block ×7, first 2 shown]
	v_lshlrev_b16 v19, 8, v19
	v_lshlrev_b16 v20, 8, v20
	;; [unrolled: 1-line block ×4, first 2 shown]
	s_waitcnt lgkmcnt(0)
	v_or_b32_e32 v19, v22, v19
	v_or_b32_e32 v20, v23, v20
	;; [unrolled: 1-line block ×4, first 2 shown]
	s_barrier
	v_and_b32_e32 v18, 0xffff, v19
	v_lshlrev_b32_e32 v19, 16, v20
	v_and_b32_e32 v21, 0xffff, v21
	v_lshlrev_b32_e32 v17, 16, v17
	buffer_gl0_inv
                                        ; implicit-def: $sgpr0
	v_or_b32_e32 v20, v18, v19
	v_or_b32_e32 v19, v21, v17
	s_and_saveexec_b32 s27, s3
	s_cbranch_execz .LBB1325_362
; %bb.350:
	s_mov_b32 s0, 0
	s_mov_b32 s3, exec_lo
	v_cmpx_gt_u32_e64 s12, v39
	s_cbranch_execz .LBB1325_361
; %bb.351:
	s_and_not1_b32 vcc_lo, exec_lo, s26
	s_cbranch_vccnz .LBB1325_360
; %bb.352:
	v_add_nc_u32_e32 v17, -8, v39
	v_mul_lo_u32 v25, v14, s14
	v_mul_lo_u32 v26, v13, s15
	s_mov_b32 s0, -1
	ds_load_b64 v[17:18], v17
	s_waitcnt lgkmcnt(0)
	v_mul_lo_u32 v23, v18, s14
	v_mul_lo_u32 v24, v17, s15
	v_mad_u64_u32 v[21:22], null, v17, s14, 0
	v_mad_u64_u32 v[17:18], null, v13, s14, 0
	s_delay_alu instid0(VALU_DEP_2) | instskip(NEXT) | instid1(VALU_DEP_2)
	v_add3_u32 v22, v22, v24, v23
	v_add3_u32 v18, v18, v26, v25
	s_delay_alu instid0(VALU_DEP_2) | instskip(NEXT) | instid1(VALU_DEP_2)
	v_lshlrev_b64 v[21:22], 1, v[21:22]
	v_lshlrev_b64 v[17:18], 1, v[17:18]
	s_delay_alu instid0(VALU_DEP_2) | instskip(NEXT) | instid1(VALU_DEP_3)
	v_add_co_u32 v21, vcc_lo, s16, v21
	v_add_co_ci_u32_e32 v22, vcc_lo, s17, v22, vcc_lo
	s_delay_alu instid0(VALU_DEP_3) | instskip(NEXT) | instid1(VALU_DEP_4)
	v_add_co_u32 v17, vcc_lo, s16, v17
	v_add_co_ci_u32_e32 v18, vcc_lo, s17, v18, vcc_lo
	s_clause 0x1
	global_load_u16 v23, v[21:22], off
	global_load_u16 v24, v[17:18], off
	s_mov_b32 s16, exec_lo
	s_waitcnt vmcnt(0)
	v_cmpx_eq_f16_e32 v23, v24
	s_cbranch_execz .LBB1325_359
; %bb.353:
	v_add_co_u32 v17, vcc_lo, v17, 2
	v_add_co_ci_u32_e32 v18, vcc_lo, 0, v18, vcc_lo
	v_add_co_u32 v21, vcc_lo, v21, 2
	v_add_co_ci_u32_e32 v22, vcc_lo, 0, v22, vcc_lo
	s_add_u32 s4, s14, -1
	s_addc_u32 s5, s15, -1
	s_mov_b64 s[6:7], 0
	s_mov_b32 s17, 0
                                        ; implicit-def: $sgpr26
	s_set_inst_prefetch_distance 0x1
	s_branch .LBB1325_356
	.p2align	6
.LBB1325_354:                           ;   in Loop: Header=BB1325_356 Depth=1
	global_load_u16 v23, v[21:22], off
	global_load_u16 v24, v[17:18], off
	v_add_co_u32 v17, vcc_lo, v17, 2
	v_add_co_ci_u32_e32 v18, vcc_lo, 0, v18, vcc_lo
	v_add_co_u32 v21, s0, v21, 2
	s_delay_alu instid0(VALU_DEP_1)
	v_add_co_ci_u32_e64 v22, s0, 0, v22, s0
	s_add_u32 s6, s6, 1
	s_addc_u32 s7, s7, 0
	s_and_not1_b32 s0, s26, exec_lo
	s_waitcnt vmcnt(0)
	v_cmp_neq_f16_e32 vcc_lo, v23, v24
	s_and_b32 s26, vcc_lo, exec_lo
	s_delay_alu instid0(SALU_CYCLE_1)
	s_or_b32 s26, s0, s26
.LBB1325_355:                           ;   in Loop: Header=BB1325_356 Depth=1
	v_dual_mov_b32 v24, s7 :: v_dual_mov_b32 v23, s6
	s_and_b32 s0, exec_lo, s26
	s_delay_alu instid0(SALU_CYCLE_1) | instskip(NEXT) | instid1(SALU_CYCLE_1)
	s_or_b32 s17, s0, s17
	s_and_not1_b32 exec_lo, exec_lo, s17
	s_cbranch_execz .LBB1325_358
.LBB1325_356:                           ; =>This Inner Loop Header: Depth=1
	s_or_b32 s26, s26, exec_lo
	s_cmp_eq_u64 s[4:5], s[6:7]
	s_cbranch_scc0 .LBB1325_354
; %bb.357:                              ;   in Loop: Header=BB1325_356 Depth=1
	s_mov_b64 s[6:7], s[14:15]
                                        ; implicit-def: $vgpr17_vgpr18
                                        ; implicit-def: $vgpr21_vgpr22
	s_branch .LBB1325_355
.LBB1325_358:
	s_set_inst_prefetch_distance 0x2
	s_or_b32 exec_lo, exec_lo, s17
	v_cmp_gt_i64_e32 vcc_lo, s[14:15], v[23:24]
	s_or_not1_b32 s0, vcc_lo, exec_lo
.LBB1325_359:
	s_or_b32 exec_lo, exec_lo, s16
.LBB1325_360:
	s_delay_alu instid0(SALU_CYCLE_1)
	s_and_b32 s0, s0, exec_lo
.LBB1325_361:
	s_or_b32 exec_lo, exec_lo, s3
	s_delay_alu instid0(SALU_CYCLE_1)
	s_and_b32 s0, s0, exec_lo
	s_or_b32 s25, s25, exec_lo
.LBB1325_362:
	s_or_b32 exec_lo, exec_lo, s27
.LBB1325_363:
	s_and_saveexec_b32 s3, s25
	s_cbranch_execz .LBB1325_365
; %bb.364:
	s_waitcnt vmcnt(0) lgkmcnt(0)
	v_and_b32_e32 v17, 0xffffff00, v19
	v_cndmask_b32_e64 v18, 0, 1, s0
	s_delay_alu instid0(VALU_DEP_1) | instskip(NEXT) | instid1(VALU_DEP_1)
	v_or_b32_e32 v17, v18, v17
	v_and_b32_e32 v17, 0xffff, v17
	s_delay_alu instid0(VALU_DEP_1)
	v_and_or_b32 v19, 0xffff0000, v19, v17
.LBB1325_365:
	s_or_b32 exec_lo, exec_lo, s3
	s_delay_alu instid0(SALU_CYCLE_1)
	s_and_not1_b32 vcc_lo, exec_lo, s1
	s_cbranch_vccnz .LBB1325_367
; %bb.366:
	v_cmp_gt_u32_e32 vcc_lo, s12, v39
	s_waitcnt vmcnt(0) lgkmcnt(0)
	v_or_b32_e32 v18, 1, v39
	v_and_b32_e32 v21, 0xffffff00, v20
	v_or_b32_e32 v22, 2, v39
	v_cndmask_b32_e32 v17, 0, v19, vcc_lo
	s_delay_alu instid0(VALU_DEP_4) | instskip(SKIP_1) | instid1(VALU_DEP_4)
	v_cmp_gt_u32_e32 vcc_lo, s12, v18
	v_or_b32_e32 v18, 4, v39
	v_cmp_gt_u32_e64 s0, s12, v22
	v_or_b32_e32 v22, 3, v39
	v_and_b32_e32 v17, 0xff, v17
	s_delay_alu instid0(VALU_DEP_2) | instskip(NEXT) | instid1(VALU_DEP_2)
	v_cmp_gt_u32_e64 s1, s12, v22
	v_cndmask_b32_e32 v17, v17, v19, vcc_lo
	v_cmp_gt_u32_e32 vcc_lo, s12, v18
	v_cndmask_b32_e32 v18, v21, v20, vcc_lo
	v_or_b32_e32 v21, 5, v39
	s_delay_alu instid0(VALU_DEP_2) | instskip(SKIP_1) | instid1(VALU_DEP_1)
	v_and_b32_e32 v18, 0xffff00ff, v18
	v_and_b32_e32 v17, 0xffff, v17
	v_cndmask_b32_e64 v17, v17, v19, s0
	s_delay_alu instid0(VALU_DEP_4) | instskip(SKIP_1) | instid1(VALU_DEP_3)
	v_cmp_gt_u32_e64 s0, s12, v21
	v_or_b32_e32 v21, 6, v39
	v_and_b32_e32 v17, 0xffffff, v17
	s_delay_alu instid0(VALU_DEP_3) | instskip(NEXT) | instid1(VALU_DEP_2)
	v_cndmask_b32_e64 v18, v18, v20, s0
	v_cndmask_b32_e64 v17, v17, v19, s1
	s_delay_alu instid0(VALU_DEP_1) | instskip(SKIP_2) | instid1(VALU_DEP_3)
	v_dual_cndmask_b32 v17, v17, v19 :: v_dual_and_b32 v18, 0xff00ffff, v18
	v_cmp_gt_u32_e32 vcc_lo, s12, v21
	v_or_b32_e32 v21, 7, v39
	v_cndmask_b32_e64 v17, v17, v19, s0
	s_delay_alu instid0(VALU_DEP_1) | instskip(NEXT) | instid1(VALU_DEP_1)
	v_dual_cndmask_b32 v18, v18, v20 :: v_dual_cndmask_b32 v17, v17, v19
	v_and_b32_e32 v18, 0xffffff, v18
	s_delay_alu instid0(VALU_DEP_4) | instskip(NEXT) | instid1(VALU_DEP_2)
	v_cmp_gt_u32_e32 vcc_lo, s12, v21
	v_dual_cndmask_b32 v20, v18, v20 :: v_dual_cndmask_b32 v19, v17, v19
.LBB1325_367:
	s_delay_alu instid0(VALU_DEP_1) | instskip(SKIP_1) | instid1(VALU_DEP_2)
	v_and_b32_e32 v28, 0xff, v19
	s_waitcnt vmcnt(0) lgkmcnt(0)
	v_alignbit_b32 v17, v20, v19, 24
	v_bfe_u32 v30, v19, 8, 8
	v_bfe_u32 v32, v19, 16, 8
	v_and_b32_e32 v36, 0xff, v20
	v_bfe_u32 v38, v20, 8, 8
	v_and_b32_e32 v34, 0xff, v17
	v_add_nc_u32_e32 v17, v30, v28
	v_mbcnt_lo_u32_b32 v42, -1, 0
	v_bfe_u32 v41, v20, 16, 8
	v_lshrrev_b32_e32 v40, 24, v20
	v_lshrrev_b32_e32 v43, 5, v0
	v_add3_u32 v17, v17, v32, v34
	v_and_b32_e32 v18, 15, v42
	v_and_b32_e32 v21, 16, v42
	s_and_b32 vcc_lo, exec_lo, s24
	s_mov_b32 s7, -1
	v_add3_u32 v17, v17, v36, v38
	v_cmp_eq_u32_e64 s3, 0, v18
	v_cmp_lt_u32_e64 s0, 1, v18
	v_cmp_lt_u32_e64 s4, 3, v18
	;; [unrolled: 1-line block ×3, first 2 shown]
	v_add3_u32 v44, v17, v41, v40
	v_or_b32_e32 v17, 31, v0
	v_cmp_eq_u32_e64 s6, 0, v21
	s_barrier
	buffer_gl0_inv
	v_cmp_eq_u32_e64 s5, v17, v0
	s_cbranch_vccz .LBB1325_393
; %bb.368:
	v_mov_b32_dpp v17, v44 row_shr:1 row_mask:0xf bank_mask:0xf
	s_delay_alu instid0(VALU_DEP_1) | instskip(NEXT) | instid1(VALU_DEP_1)
	v_cndmask_b32_e64 v17, v17, 0, s3
	v_add_nc_u32_e32 v17, v17, v44
	s_delay_alu instid0(VALU_DEP_1) | instskip(NEXT) | instid1(VALU_DEP_1)
	v_mov_b32_dpp v18, v17 row_shr:2 row_mask:0xf bank_mask:0xf
	v_cndmask_b32_e64 v18, 0, v18, s0
	s_delay_alu instid0(VALU_DEP_1) | instskip(NEXT) | instid1(VALU_DEP_1)
	v_add_nc_u32_e32 v17, v17, v18
	v_mov_b32_dpp v18, v17 row_shr:4 row_mask:0xf bank_mask:0xf
	s_delay_alu instid0(VALU_DEP_1) | instskip(NEXT) | instid1(VALU_DEP_1)
	v_cndmask_b32_e64 v18, 0, v18, s4
	v_add_nc_u32_e32 v17, v17, v18
	s_delay_alu instid0(VALU_DEP_1) | instskip(NEXT) | instid1(VALU_DEP_1)
	v_mov_b32_dpp v18, v17 row_shr:8 row_mask:0xf bank_mask:0xf
	v_cndmask_b32_e64 v18, 0, v18, s1
	s_delay_alu instid0(VALU_DEP_1) | instskip(SKIP_3) | instid1(VALU_DEP_1)
	v_add_nc_u32_e32 v17, v17, v18
	ds_swizzle_b32 v18, v17 offset:swizzle(BROADCAST,32,15)
	s_waitcnt lgkmcnt(0)
	v_cndmask_b32_e64 v18, v18, 0, s6
	v_add_nc_u32_e32 v17, v17, v18
	s_and_saveexec_b32 s7, s5
	s_cbranch_execz .LBB1325_370
; %bb.369:
	v_lshlrev_b32_e32 v18, 2, v43
	ds_store_b32 v18, v17
.LBB1325_370:
	s_or_b32 exec_lo, exec_lo, s7
	s_delay_alu instid0(SALU_CYCLE_1)
	s_mov_b32 s7, exec_lo
	s_waitcnt lgkmcnt(0)
	s_barrier
	buffer_gl0_inv
	v_cmpx_gt_u32_e32 16, v0
	s_cbranch_execz .LBB1325_372
; %bb.371:
	v_lshlrev_b32_e32 v18, 2, v0
	ds_load_b32 v21, v18
	s_waitcnt lgkmcnt(0)
	v_mov_b32_dpp v22, v21 row_shr:1 row_mask:0xf bank_mask:0xf
	s_delay_alu instid0(VALU_DEP_1) | instskip(NEXT) | instid1(VALU_DEP_1)
	v_cndmask_b32_e64 v22, v22, 0, s3
	v_add_nc_u32_e32 v21, v22, v21
	s_delay_alu instid0(VALU_DEP_1) | instskip(NEXT) | instid1(VALU_DEP_1)
	v_mov_b32_dpp v22, v21 row_shr:2 row_mask:0xf bank_mask:0xf
	v_cndmask_b32_e64 v22, 0, v22, s0
	s_delay_alu instid0(VALU_DEP_1) | instskip(NEXT) | instid1(VALU_DEP_1)
	v_add_nc_u32_e32 v21, v21, v22
	v_mov_b32_dpp v22, v21 row_shr:4 row_mask:0xf bank_mask:0xf
	s_delay_alu instid0(VALU_DEP_1) | instskip(NEXT) | instid1(VALU_DEP_1)
	v_cndmask_b32_e64 v22, 0, v22, s4
	v_add_nc_u32_e32 v21, v21, v22
	s_delay_alu instid0(VALU_DEP_1) | instskip(NEXT) | instid1(VALU_DEP_1)
	v_mov_b32_dpp v22, v21 row_shr:8 row_mask:0xf bank_mask:0xf
	v_cndmask_b32_e64 v22, 0, v22, s1
	s_delay_alu instid0(VALU_DEP_1)
	v_add_nc_u32_e32 v21, v21, v22
	ds_store_b32 v18, v21
.LBB1325_372:
	s_or_b32 exec_lo, exec_lo, s7
	v_cmp_gt_u32_e32 vcc_lo, 32, v0
	s_mov_b32 s12, exec_lo
	s_waitcnt lgkmcnt(0)
	s_barrier
	buffer_gl0_inv
                                        ; implicit-def: $vgpr27
	v_cmpx_lt_u32_e32 31, v0
	s_cbranch_execz .LBB1325_374
; %bb.373:
	v_lshl_add_u32 v18, v43, 2, -4
	ds_load_b32 v27, v18
	s_waitcnt lgkmcnt(0)
	v_add_nc_u32_e32 v17, v27, v17
.LBB1325_374:
	s_or_b32 exec_lo, exec_lo, s12
	v_add_nc_u32_e32 v18, -1, v42
	s_delay_alu instid0(VALU_DEP_1) | instskip(NEXT) | instid1(VALU_DEP_1)
	v_cmp_gt_i32_e64 s7, 0, v18
	v_cndmask_b32_e64 v18, v18, v42, s7
	v_cmp_eq_u32_e64 s7, 0, v42
	s_delay_alu instid0(VALU_DEP_2)
	v_lshlrev_b32_e32 v18, 2, v18
	ds_bpermute_b32 v29, v18, v17
	s_and_saveexec_b32 s12, vcc_lo
	s_cbranch_execz .LBB1325_392
; %bb.375:
	v_mov_b32_e32 v23, 0
	ds_load_b32 v17, v23 offset:60
	s_and_saveexec_b32 s14, s7
	s_cbranch_execz .LBB1325_377
; %bb.376:
	s_add_i32 s16, s23, 32
	s_mov_b32 s17, 0
	v_mov_b32_e32 v18, 1
	s_lshl_b64 s[16:17], s[16:17], 3
	s_delay_alu instid0(SALU_CYCLE_1)
	s_add_u32 s16, s18, s16
	s_addc_u32 s17, s19, s17
	s_waitcnt lgkmcnt(0)
	global_store_b64 v23, v[17:18], s[16:17]
.LBB1325_377:
	s_or_b32 exec_lo, exec_lo, s14
	v_xad_u32 v21, v42, -1, s23
	s_mov_b32 s15, 0
	s_mov_b32 s14, exec_lo
	s_delay_alu instid0(VALU_DEP_1) | instskip(NEXT) | instid1(VALU_DEP_1)
	v_add_nc_u32_e32 v22, 32, v21
	v_lshlrev_b64 v[22:23], 3, v[22:23]
	s_delay_alu instid0(VALU_DEP_1) | instskip(NEXT) | instid1(VALU_DEP_2)
	v_add_co_u32 v25, vcc_lo, s18, v22
	v_add_co_ci_u32_e32 v26, vcc_lo, s19, v23, vcc_lo
	global_load_b64 v[23:24], v[25:26], off glc
	s_waitcnt vmcnt(0)
	v_and_b32_e32 v18, 0xff, v24
	s_delay_alu instid0(VALU_DEP_1)
	v_cmpx_eq_u16_e32 0, v18
	s_cbranch_execz .LBB1325_380
.LBB1325_378:                           ; =>This Inner Loop Header: Depth=1
	global_load_b64 v[23:24], v[25:26], off glc
	s_waitcnt vmcnt(0)
	v_and_b32_e32 v18, 0xff, v24
	s_delay_alu instid0(VALU_DEP_1) | instskip(SKIP_1) | instid1(SALU_CYCLE_1)
	v_cmp_ne_u16_e32 vcc_lo, 0, v18
	s_or_b32 s15, vcc_lo, s15
	s_and_not1_b32 exec_lo, exec_lo, s15
	s_cbranch_execnz .LBB1325_378
; %bb.379:
	s_or_b32 exec_lo, exec_lo, s15
.LBB1325_380:
	s_delay_alu instid0(SALU_CYCLE_1)
	s_or_b32 exec_lo, exec_lo, s14
	v_cmp_ne_u32_e32 vcc_lo, 31, v42
	v_and_b32_e32 v22, 0xff, v24
	v_lshlrev_b32_e64 v31, v42, -1
	v_add_nc_u32_e32 v35, 2, v42
	v_add_nc_u32_e32 v45, 4, v42
	v_add_co_ci_u32_e32 v18, vcc_lo, 0, v42, vcc_lo
	v_cmp_eq_u16_e32 vcc_lo, 2, v22
	v_add_nc_u32_e32 v48, 8, v42
	v_add_nc_u32_e32 v50, 16, v42
	v_and_or_b32 v22, vcc_lo, v31, 0x80000000
	v_cmp_gt_u32_e32 vcc_lo, 30, v42
	s_delay_alu instid0(VALU_DEP_2) | instskip(SKIP_1) | instid1(VALU_DEP_2)
	v_ctz_i32_b32_e32 v22, v22
	v_cndmask_b32_e64 v26, 0, 1, vcc_lo
	v_cmp_lt_u32_e32 vcc_lo, v42, v22
	v_lshlrev_b32_e32 v18, 2, v18
	s_delay_alu instid0(VALU_DEP_3)
	v_lshlrev_b32_e32 v26, 1, v26
	ds_bpermute_b32 v25, v18, v23
	v_add_lshl_u32 v33, v26, v42, 2
	s_waitcnt lgkmcnt(0)
	v_cndmask_b32_e32 v25, 0, v25, vcc_lo
	v_cmp_gt_u32_e32 vcc_lo, 28, v42
	s_delay_alu instid0(VALU_DEP_2) | instskip(SKIP_4) | instid1(VALU_DEP_1)
	v_add_nc_u32_e32 v23, v25, v23
	v_cndmask_b32_e64 v26, 0, 1, vcc_lo
	v_cmp_le_u32_e32 vcc_lo, v35, v22
	ds_bpermute_b32 v25, v33, v23
	v_lshlrev_b32_e32 v26, 2, v26
	v_add_lshl_u32 v37, v26, v42, 2
	s_waitcnt lgkmcnt(0)
	v_cndmask_b32_e32 v25, 0, v25, vcc_lo
	v_cmp_gt_u32_e32 vcc_lo, 24, v42
	s_delay_alu instid0(VALU_DEP_2) | instskip(SKIP_4) | instid1(VALU_DEP_1)
	v_add_nc_u32_e32 v23, v23, v25
	v_cndmask_b32_e64 v26, 0, 1, vcc_lo
	v_cmp_le_u32_e32 vcc_lo, v45, v22
	ds_bpermute_b32 v25, v37, v23
	v_lshlrev_b32_e32 v26, 3, v26
	;; [unrolled: 10-line block ×3, first 2 shown]
	v_add_lshl_u32 v49, v26, v42, 2
	s_waitcnt lgkmcnt(0)
	v_cndmask_b32_e32 v25, 0, v25, vcc_lo
	v_cmp_le_u32_e32 vcc_lo, v50, v22
	s_delay_alu instid0(VALU_DEP_2) | instskip(SKIP_3) | instid1(VALU_DEP_1)
	v_add_nc_u32_e32 v23, v23, v25
	ds_bpermute_b32 v25, v49, v23
	s_waitcnt lgkmcnt(0)
	v_cndmask_b32_e32 v22, 0, v25, vcc_lo
	v_dual_mov_b32 v22, 0 :: v_dual_add_nc_u32 v23, v23, v22
	s_branch .LBB1325_382
.LBB1325_381:                           ;   in Loop: Header=BB1325_382 Depth=1
	s_or_b32 exec_lo, exec_lo, s14
	ds_bpermute_b32 v26, v18, v23
	v_and_b32_e32 v25, 0xff, v24
	v_subrev_nc_u32_e32 v21, 32, v21
	s_delay_alu instid0(VALU_DEP_2) | instskip(SKIP_1) | instid1(VALU_DEP_1)
	v_cmp_eq_u16_e32 vcc_lo, 2, v25
	v_and_or_b32 v25, vcc_lo, v31, 0x80000000
	v_ctz_i32_b32_e32 v25, v25
	s_delay_alu instid0(VALU_DEP_1) | instskip(SKIP_3) | instid1(VALU_DEP_2)
	v_cmp_lt_u32_e32 vcc_lo, v42, v25
	s_waitcnt lgkmcnt(0)
	v_cndmask_b32_e32 v26, 0, v26, vcc_lo
	v_cmp_le_u32_e32 vcc_lo, v35, v25
	v_add_nc_u32_e32 v23, v26, v23
	ds_bpermute_b32 v26, v33, v23
	s_waitcnt lgkmcnt(0)
	v_cndmask_b32_e32 v26, 0, v26, vcc_lo
	v_cmp_le_u32_e32 vcc_lo, v45, v25
	s_delay_alu instid0(VALU_DEP_2) | instskip(SKIP_4) | instid1(VALU_DEP_2)
	v_add_nc_u32_e32 v23, v23, v26
	ds_bpermute_b32 v26, v37, v23
	s_waitcnt lgkmcnt(0)
	v_cndmask_b32_e32 v26, 0, v26, vcc_lo
	v_cmp_le_u32_e32 vcc_lo, v48, v25
	v_add_nc_u32_e32 v23, v23, v26
	ds_bpermute_b32 v26, v47, v23
	s_waitcnt lgkmcnt(0)
	v_cndmask_b32_e32 v26, 0, v26, vcc_lo
	v_cmp_le_u32_e32 vcc_lo, v50, v25
	s_delay_alu instid0(VALU_DEP_2) | instskip(SKIP_3) | instid1(VALU_DEP_1)
	v_add_nc_u32_e32 v23, v23, v26
	ds_bpermute_b32 v26, v49, v23
	s_waitcnt lgkmcnt(0)
	v_cndmask_b32_e32 v25, 0, v26, vcc_lo
	v_add3_u32 v23, v25, v46, v23
.LBB1325_382:                           ; =>This Loop Header: Depth=1
                                        ;     Child Loop BB1325_385 Depth 2
	v_and_b32_e32 v24, 0xff, v24
	s_delay_alu instid0(VALU_DEP_2) | instskip(NEXT) | instid1(VALU_DEP_2)
	v_mov_b32_e32 v46, v23
	v_cmp_ne_u16_e32 vcc_lo, 2, v24
	v_cndmask_b32_e64 v24, 0, 1, vcc_lo
	;;#ASMSTART
	;;#ASMEND
	s_delay_alu instid0(VALU_DEP_1)
	v_cmp_ne_u32_e32 vcc_lo, 0, v24
	s_cmp_lg_u32 vcc_lo, exec_lo
	s_cbranch_scc1 .LBB1325_387
; %bb.383:                              ;   in Loop: Header=BB1325_382 Depth=1
	v_lshlrev_b64 v[23:24], 3, v[21:22]
	s_mov_b32 s14, exec_lo
	s_delay_alu instid0(VALU_DEP_1) | instskip(NEXT) | instid1(VALU_DEP_2)
	v_add_co_u32 v25, vcc_lo, s18, v23
	v_add_co_ci_u32_e32 v26, vcc_lo, s19, v24, vcc_lo
	global_load_b64 v[23:24], v[25:26], off glc
	s_waitcnt vmcnt(0)
	v_and_b32_e32 v51, 0xff, v24
	s_delay_alu instid0(VALU_DEP_1)
	v_cmpx_eq_u16_e32 0, v51
	s_cbranch_execz .LBB1325_381
; %bb.384:                              ;   in Loop: Header=BB1325_382 Depth=1
	s_mov_b32 s15, 0
.LBB1325_385:                           ;   Parent Loop BB1325_382 Depth=1
                                        ; =>  This Inner Loop Header: Depth=2
	global_load_b64 v[23:24], v[25:26], off glc
	s_waitcnt vmcnt(0)
	v_and_b32_e32 v51, 0xff, v24
	s_delay_alu instid0(VALU_DEP_1) | instskip(SKIP_1) | instid1(SALU_CYCLE_1)
	v_cmp_ne_u16_e32 vcc_lo, 0, v51
	s_or_b32 s15, vcc_lo, s15
	s_and_not1_b32 exec_lo, exec_lo, s15
	s_cbranch_execnz .LBB1325_385
; %bb.386:                              ;   in Loop: Header=BB1325_382 Depth=1
	s_or_b32 exec_lo, exec_lo, s15
	s_branch .LBB1325_381
.LBB1325_387:                           ;   in Loop: Header=BB1325_382 Depth=1
                                        ; implicit-def: $vgpr23
                                        ; implicit-def: $vgpr24
	s_cbranch_execz .LBB1325_382
; %bb.388:
	s_and_saveexec_b32 s14, s7
	s_cbranch_execz .LBB1325_390
; %bb.389:
	s_add_i32 s16, s23, 32
	s_mov_b32 s17, 0
	v_dual_mov_b32 v22, 2 :: v_dual_add_nc_u32 v21, v46, v17
	s_lshl_b64 s[16:17], s[16:17], 3
	v_mov_b32_e32 v18, 0
	v_add_nc_u32_e64 v23, 0x8400, 0
	s_add_u32 s16, s18, s16
	s_addc_u32 s17, s19, s17
	global_store_b64 v18, v[21:22], s[16:17]
	ds_store_2addr_b32 v23, v17, v46 offset1:2
.LBB1325_390:
	s_or_b32 exec_lo, exec_lo, s14
	s_delay_alu instid0(SALU_CYCLE_1)
	s_and_b32 exec_lo, exec_lo, s2
	s_cbranch_execz .LBB1325_392
; %bb.391:
	v_mov_b32_e32 v17, 0
	ds_store_b32 v17, v46 offset:60
.LBB1325_392:
	s_or_b32 exec_lo, exec_lo, s12
	v_mov_b32_e32 v17, 0
	s_waitcnt lgkmcnt(0)
	s_waitcnt_vscnt null, 0x0
	s_barrier
	buffer_gl0_inv
	v_cndmask_b32_e64 v18, v29, v27, s7
	ds_load_b32 v17, v17 offset:60
	s_waitcnt lgkmcnt(0)
	s_barrier
	buffer_gl0_inv
	v_cndmask_b32_e64 v18, v18, 0, s2
	s_delay_alu instid0(VALU_DEP_1) | instskip(SKIP_1) | instid1(VALU_DEP_2)
	v_add_nc_u32_e32 v37, v17, v18
	v_add_nc_u32_e64 v17, 0x8400, 0
	v_add_nc_u32_e32 v35, v37, v28
	ds_load_2addr_b32 v[17:18], v17 offset1:2
	v_add_nc_u32_e32 v33, v35, v30
	s_delay_alu instid0(VALU_DEP_1) | instskip(NEXT) | instid1(VALU_DEP_1)
	v_add_nc_u32_e32 v31, v33, v32
	v_add_nc_u32_e32 v29, v31, v34
	s_delay_alu instid0(VALU_DEP_1) | instskip(NEXT) | instid1(VALU_DEP_1)
	v_add_nc_u32_e32 v27, v29, v36
	v_add_nc_u32_e32 v25, v27, v38
	s_delay_alu instid0(VALU_DEP_1)
	v_add_nc_u32_e32 v23, v25, v41
	v_lshrrev_b64 v[21:22], 24, v[19:20]
	s_branch .LBB1325_403
.LBB1325_393:
                                        ; implicit-def: $vgpr23
                                        ; implicit-def: $vgpr25
                                        ; implicit-def: $vgpr27
                                        ; implicit-def: $vgpr29
                                        ; implicit-def: $vgpr31
                                        ; implicit-def: $vgpr33
                                        ; implicit-def: $vgpr35
                                        ; implicit-def: $vgpr37
                                        ; implicit-def: $vgpr18
	v_lshrrev_b64 v[21:22], 24, v[19:20]
	s_and_b32 vcc_lo, exec_lo, s7
	s_cbranch_vccz .LBB1325_403
; %bb.394:
	s_waitcnt lgkmcnt(0)
	v_mov_b32_dpp v17, v44 row_shr:1 row_mask:0xf bank_mask:0xf
	s_delay_alu instid0(VALU_DEP_1) | instskip(NEXT) | instid1(VALU_DEP_1)
	v_cndmask_b32_e64 v17, v17, 0, s3
	v_add_nc_u32_e32 v17, v17, v44
	s_delay_alu instid0(VALU_DEP_1) | instskip(NEXT) | instid1(VALU_DEP_1)
	v_mov_b32_dpp v18, v17 row_shr:2 row_mask:0xf bank_mask:0xf
	v_cndmask_b32_e64 v18, 0, v18, s0
	s_delay_alu instid0(VALU_DEP_1) | instskip(NEXT) | instid1(VALU_DEP_1)
	v_add_nc_u32_e32 v17, v17, v18
	v_mov_b32_dpp v18, v17 row_shr:4 row_mask:0xf bank_mask:0xf
	s_delay_alu instid0(VALU_DEP_1) | instskip(NEXT) | instid1(VALU_DEP_1)
	v_cndmask_b32_e64 v18, 0, v18, s4
	v_add_nc_u32_e32 v17, v17, v18
	s_delay_alu instid0(VALU_DEP_1) | instskip(NEXT) | instid1(VALU_DEP_1)
	v_mov_b32_dpp v18, v17 row_shr:8 row_mask:0xf bank_mask:0xf
	v_cndmask_b32_e64 v18, 0, v18, s1
	s_delay_alu instid0(VALU_DEP_1) | instskip(SKIP_3) | instid1(VALU_DEP_1)
	v_add_nc_u32_e32 v17, v17, v18
	ds_swizzle_b32 v18, v17 offset:swizzle(BROADCAST,32,15)
	s_waitcnt lgkmcnt(0)
	v_cndmask_b32_e64 v18, v18, 0, s6
	v_add_nc_u32_e32 v17, v17, v18
	s_and_saveexec_b32 s6, s5
	s_cbranch_execz .LBB1325_396
; %bb.395:
	v_lshlrev_b32_e32 v18, 2, v43
	ds_store_b32 v18, v17
.LBB1325_396:
	s_or_b32 exec_lo, exec_lo, s6
	s_delay_alu instid0(SALU_CYCLE_1)
	s_mov_b32 s5, exec_lo
	s_waitcnt lgkmcnt(0)
	s_barrier
	buffer_gl0_inv
	v_cmpx_gt_u32_e32 16, v0
	s_cbranch_execz .LBB1325_398
; %bb.397:
	v_lshlrev_b32_e32 v18, 2, v0
	ds_load_b32 v22, v18
	s_waitcnt lgkmcnt(0)
	v_mov_b32_dpp v23, v22 row_shr:1 row_mask:0xf bank_mask:0xf
	s_delay_alu instid0(VALU_DEP_1) | instskip(NEXT) | instid1(VALU_DEP_1)
	v_cndmask_b32_e64 v23, v23, 0, s3
	v_add_nc_u32_e32 v22, v23, v22
	s_delay_alu instid0(VALU_DEP_1) | instskip(NEXT) | instid1(VALU_DEP_1)
	v_mov_b32_dpp v23, v22 row_shr:2 row_mask:0xf bank_mask:0xf
	v_cndmask_b32_e64 v23, 0, v23, s0
	s_delay_alu instid0(VALU_DEP_1) | instskip(NEXT) | instid1(VALU_DEP_1)
	v_add_nc_u32_e32 v22, v22, v23
	v_mov_b32_dpp v23, v22 row_shr:4 row_mask:0xf bank_mask:0xf
	s_delay_alu instid0(VALU_DEP_1) | instskip(NEXT) | instid1(VALU_DEP_1)
	v_cndmask_b32_e64 v23, 0, v23, s4
	v_add_nc_u32_e32 v22, v22, v23
	s_delay_alu instid0(VALU_DEP_1) | instskip(NEXT) | instid1(VALU_DEP_1)
	v_mov_b32_dpp v23, v22 row_shr:8 row_mask:0xf bank_mask:0xf
	v_cndmask_b32_e64 v23, 0, v23, s1
	s_delay_alu instid0(VALU_DEP_1)
	v_add_nc_u32_e32 v22, v22, v23
	ds_store_b32 v18, v22
.LBB1325_398:
	s_or_b32 exec_lo, exec_lo, s5
	v_mov_b32_e32 v18, 0
	v_mov_b32_e32 v22, 0
	s_mov_b32 s0, exec_lo
	s_waitcnt lgkmcnt(0)
	s_barrier
	buffer_gl0_inv
	v_cmpx_lt_u32_e32 31, v0
	s_cbranch_execz .LBB1325_400
; %bb.399:
	v_lshl_add_u32 v22, v43, 2, -4
	ds_load_b32 v22, v22
.LBB1325_400:
	s_or_b32 exec_lo, exec_lo, s0
	v_add_nc_u32_e32 v23, -1, v42
	s_waitcnt lgkmcnt(0)
	v_add_nc_u32_e32 v17, v22, v17
	s_delay_alu instid0(VALU_DEP_2) | instskip(SKIP_1) | instid1(VALU_DEP_1)
	v_cmp_gt_i32_e32 vcc_lo, 0, v23
	v_cndmask_b32_e32 v23, v23, v42, vcc_lo
	v_lshlrev_b32_e32 v23, 2, v23
	ds_bpermute_b32 v23, v23, v17
	ds_load_b32 v17, v18 offset:60
	s_and_saveexec_b32 s0, s2
	s_cbranch_execz .LBB1325_402
; %bb.401:
	v_mov_b32_e32 v24, 0
	v_mov_b32_e32 v18, 2
	s_waitcnt lgkmcnt(0)
	global_store_b64 v24, v[17:18], s[18:19] offset:256
.LBB1325_402:
	s_or_b32 exec_lo, exec_lo, s0
	v_cmp_eq_u32_e32 vcc_lo, 0, v42
	s_waitcnt lgkmcnt(0)
	s_waitcnt_vscnt null, 0x0
	s_barrier
	buffer_gl0_inv
	v_cndmask_b32_e32 v18, v23, v22, vcc_lo
	s_delay_alu instid0(VALU_DEP_1) | instskip(NEXT) | instid1(VALU_DEP_1)
	v_cndmask_b32_e64 v37, v18, 0, s2
	v_dual_mov_b32 v18, 0 :: v_dual_add_nc_u32 v35, v37, v28
	s_delay_alu instid0(VALU_DEP_1) | instskip(NEXT) | instid1(VALU_DEP_1)
	v_add_nc_u32_e32 v33, v35, v30
	v_add_nc_u32_e32 v31, v33, v32
	s_delay_alu instid0(VALU_DEP_1) | instskip(NEXT) | instid1(VALU_DEP_1)
	v_add_nc_u32_e32 v29, v31, v34
	v_add_nc_u32_e32 v27, v29, v36
	;; [unrolled: 3-line block ×3, first 2 shown]
.LBB1325_403:
	s_waitcnt lgkmcnt(0)
	v_cmp_gt_u32_e32 vcc_lo, 0x201, v17
	v_lshrrev_b32_e32 v43, 8, v19
	v_lshrrev_b32_e32 v42, 16, v19
	;; [unrolled: 1-line block ×4, first 2 shown]
	s_mov_b32 s0, -1
	s_cbranch_vccnz .LBB1325_407
; %bb.404:
	s_and_b32 vcc_lo, exec_lo, s0
	s_cbranch_vccnz .LBB1325_432
.LBB1325_405:
	s_and_b32 s0, s2, s13
	s_delay_alu instid0(SALU_CYCLE_1)
	s_and_saveexec_b32 s1, s0
	s_cbranch_execnz .LBB1325_452
.LBB1325_406:
	s_nop 0
	s_sendmsg sendmsg(MSG_DEALLOC_VGPRS)
	s_endpgm
.LBB1325_407:
	v_add_nc_u32_e32 v24, v18, v17
	s_delay_alu instid0(VALU_DEP_1) | instskip(SKIP_1) | instid1(SALU_CYCLE_1)
	v_cmp_lt_u32_e32 vcc_lo, v37, v24
	s_or_b32 s1, s22, vcc_lo
	s_and_saveexec_b32 s0, s1
	s_cbranch_execz .LBB1325_410
; %bb.408:
	v_and_b32_e32 v26, 1, v19
	s_delay_alu instid0(VALU_DEP_1)
	v_cmp_eq_u32_e32 vcc_lo, 1, v26
	s_and_b32 exec_lo, exec_lo, vcc_lo
	s_cbranch_execz .LBB1325_410
; %bb.409:
	v_mov_b32_e32 v38, 0
	s_lshl_b64 s[4:5], s[10:11], 3
	s_delay_alu instid0(SALU_CYCLE_1) | instskip(SKIP_1) | instid1(VALU_DEP_1)
	s_add_u32 s1, s20, s4
	s_addc_u32 s3, s21, s5
	v_lshlrev_b64 v[44:45], 3, v[37:38]
	s_delay_alu instid0(VALU_DEP_1) | instskip(NEXT) | instid1(VALU_DEP_2)
	v_add_co_u32 v44, vcc_lo, s1, v44
	v_add_co_ci_u32_e32 v45, vcc_lo, s3, v45, vcc_lo
	global_store_b64 v[44:45], v[13:14], off
.LBB1325_410:
	s_or_b32 exec_lo, exec_lo, s0
	v_cmp_lt_u32_e32 vcc_lo, v35, v24
	s_or_b32 s1, s22, vcc_lo
	s_delay_alu instid0(SALU_CYCLE_1)
	s_and_saveexec_b32 s0, s1
	s_cbranch_execz .LBB1325_413
; %bb.411:
	v_and_b32_e32 v26, 1, v43
	s_delay_alu instid0(VALU_DEP_1)
	v_cmp_eq_u32_e32 vcc_lo, 1, v26
	s_and_b32 exec_lo, exec_lo, vcc_lo
	s_cbranch_execz .LBB1325_413
; %bb.412:
	v_mov_b32_e32 v36, 0
	s_lshl_b64 s[4:5], s[10:11], 3
	s_delay_alu instid0(SALU_CYCLE_1) | instskip(SKIP_1) | instid1(VALU_DEP_1)
	s_add_u32 s1, s20, s4
	s_addc_u32 s3, s21, s5
	v_lshlrev_b64 v[44:45], 3, v[35:36]
	s_delay_alu instid0(VALU_DEP_1) | instskip(NEXT) | instid1(VALU_DEP_2)
	v_add_co_u32 v44, vcc_lo, s1, v44
	v_add_co_ci_u32_e32 v45, vcc_lo, s3, v45, vcc_lo
	global_store_b64 v[44:45], v[15:16], off
.LBB1325_413:
	s_or_b32 exec_lo, exec_lo, s0
	v_cmp_lt_u32_e32 vcc_lo, v33, v24
	s_or_b32 s1, s22, vcc_lo
	s_delay_alu instid0(SALU_CYCLE_1)
	;; [unrolled: 24-line block ×7, first 2 shown]
	s_and_saveexec_b32 s0, s1
	s_cbranch_execz .LBB1325_431
; %bb.429:
	v_and_b32_e32 v24, 1, v40
	s_delay_alu instid0(VALU_DEP_1)
	v_cmp_eq_u32_e32 vcc_lo, 1, v24
	s_and_b32 exec_lo, exec_lo, vcc_lo
	s_cbranch_execz .LBB1325_431
; %bb.430:
	v_mov_b32_e32 v24, 0
	s_lshl_b64 s[4:5], s[10:11], 3
	s_delay_alu instid0(SALU_CYCLE_1) | instskip(SKIP_1) | instid1(VALU_DEP_1)
	s_add_u32 s1, s20, s4
	s_addc_u32 s3, s21, s5
	v_lshlrev_b64 v[44:45], 3, v[23:24]
	s_delay_alu instid0(VALU_DEP_1) | instskip(NEXT) | instid1(VALU_DEP_2)
	v_add_co_u32 v44, vcc_lo, s1, v44
	v_add_co_ci_u32_e32 v45, vcc_lo, s3, v45, vcc_lo
	global_store_b64 v[44:45], v[3:4], off
.LBB1325_431:
	s_or_b32 exec_lo, exec_lo, s0
	s_branch .LBB1325_405
.LBB1325_432:
	v_and_b32_e32 v19, 1, v19
	s_mov_b32 s0, exec_lo
	s_delay_alu instid0(VALU_DEP_1)
	v_cmpx_eq_u32_e32 1, v19
	s_cbranch_execz .LBB1325_434
; %bb.433:
	v_sub_nc_u32_e32 v19, v37, v18
	s_delay_alu instid0(VALU_DEP_1)
	v_lshlrev_b32_e32 v19, 3, v19
	ds_store_b64 v19, v[13:14]
.LBB1325_434:
	s_or_b32 exec_lo, exec_lo, s0
	v_and_b32_e32 v13, 1, v43
	s_mov_b32 s0, exec_lo
	s_delay_alu instid0(VALU_DEP_1)
	v_cmpx_eq_u32_e32 1, v13
	s_cbranch_execz .LBB1325_436
; %bb.435:
	v_sub_nc_u32_e32 v13, v35, v18
	s_delay_alu instid0(VALU_DEP_1)
	v_lshlrev_b32_e32 v13, 3, v13
	ds_store_b64 v13, v[15:16]
.LBB1325_436:
	s_or_b32 exec_lo, exec_lo, s0
	;; [unrolled: 12-line block ×8, first 2 shown]
	s_delay_alu instid0(SALU_CYCLE_1)
	s_mov_b32 s1, exec_lo
	s_waitcnt lgkmcnt(0)
	s_waitcnt_vscnt null, 0x0
	s_barrier
	buffer_gl0_inv
	v_cmpx_lt_u32_e64 v0, v17
	s_cbranch_execz .LBB1325_451
; %bb.449:
	v_dual_mov_b32 v2, 0 :: v_dual_mov_b32 v1, v18
	s_lshl_b64 s[4:5], s[10:11], 3
	s_mov_b32 s3, 0
	s_delay_alu instid0(VALU_DEP_1) | instskip(NEXT) | instid1(VALU_DEP_1)
	v_lshlrev_b64 v[1:2], 3, v[1:2]
	v_add_co_u32 v1, vcc_lo, s4, v1
	s_delay_alu instid0(VALU_DEP_2) | instskip(NEXT) | instid1(VALU_DEP_2)
	v_add_co_ci_u32_e32 v2, vcc_lo, s5, v2, vcc_lo
	v_add_co_u32 v1, vcc_lo, s20, v1
	s_delay_alu instid0(VALU_DEP_2) | instskip(NEXT) | instid1(VALU_DEP_2)
	v_add_co_ci_u32_e32 v2, vcc_lo, s21, v2, vcc_lo
	v_add_co_u32 v1, vcc_lo, v1, v39
	s_delay_alu instid0(VALU_DEP_2)
	v_add_co_ci_u32_e32 v2, vcc_lo, 0, v2, vcc_lo
	.p2align	6
.LBB1325_450:                           ; =>This Inner Loop Header: Depth=1
	ds_load_b64 v[3:4], v39
	v_add_nc_u32_e32 v0, 0x200, v0
	v_add_nc_u32_e32 v39, 0x1000, v39
	s_delay_alu instid0(VALU_DEP_2) | instskip(SKIP_4) | instid1(VALU_DEP_1)
	v_cmp_ge_u32_e32 vcc_lo, v0, v17
	s_or_b32 s3, vcc_lo, s3
	s_waitcnt lgkmcnt(0)
	global_store_b64 v[1:2], v[3:4], off
	v_add_co_u32 v1, s0, 0x1000, v1
	v_add_co_ci_u32_e64 v2, s0, 0, v2, s0
	s_and_not1_b32 exec_lo, exec_lo, s3
	s_cbranch_execnz .LBB1325_450
.LBB1325_451:
	s_or_b32 exec_lo, exec_lo, s1
	s_and_b32 s0, s2, s13
	s_delay_alu instid0(SALU_CYCLE_1)
	s_and_saveexec_b32 s1, s0
	s_cbranch_execz .LBB1325_406
.LBB1325_452:
	v_add_co_u32 v0, s0, s10, v17
	s_delay_alu instid0(VALU_DEP_1) | instskip(SKIP_1) | instid1(VALU_DEP_3)
	v_add_co_ci_u32_e64 v1, null, s11, 0, s0
	v_mov_b32_e32 v2, 0
	v_add_co_u32 v0, vcc_lo, v0, v18
	s_delay_alu instid0(VALU_DEP_3)
	v_add_co_ci_u32_e32 v1, vcc_lo, 0, v1, vcc_lo
	global_store_b64 v2, v[0:1], s[8:9]
	s_nop 0
	s_sendmsg sendmsg(MSG_DEALLOC_VGPRS)
	s_endpgm
	.section	.rodata,"a",@progbits
	.p2align	6, 0x0
	.amdhsa_kernel _ZN7rocprim17ROCPRIM_400000_NS6detail17trampoline_kernelINS0_14default_configENS1_25partition_config_selectorILNS1_17partition_subalgoE8ElNS0_10empty_typeEbEEZZNS1_14partition_implILS5_8ELb0ES3_jPlPS6_PKS6_NS0_5tupleIJS9_S6_EEENSD_IJSA_SA_EEENS0_18inequality_wrapperIZN2at6native12_GLOBAL__N_124unique_dim_cuda_templateIN3c104HalfEEESt5tupleIJNSH_6TensorESO_SO_EERKSO_lbbbEUlllE0_EEPmJS6_EEE10hipError_tPvRmT3_T4_T5_T6_T7_T9_mT8_P12ihipStream_tbDpT10_ENKUlT_T0_E_clISt17integral_constantIbLb0EES1D_IbLb1EEEEDaS19_S1A_EUlS19_E_NS1_11comp_targetILNS1_3genE9ELNS1_11target_archE1100ELNS1_3gpuE3ELNS1_3repE0EEENS1_30default_config_static_selectorELNS0_4arch9wavefront6targetE0EEEvT1_
		.amdhsa_group_segment_fixed_size 33804
		.amdhsa_private_segment_fixed_size 0
		.amdhsa_kernarg_size 136
		.amdhsa_user_sgpr_count 15
		.amdhsa_user_sgpr_dispatch_ptr 0
		.amdhsa_user_sgpr_queue_ptr 0
		.amdhsa_user_sgpr_kernarg_segment_ptr 1
		.amdhsa_user_sgpr_dispatch_id 0
		.amdhsa_user_sgpr_private_segment_size 0
		.amdhsa_wavefront_size32 1
		.amdhsa_uses_dynamic_stack 0
		.amdhsa_enable_private_segment 0
		.amdhsa_system_sgpr_workgroup_id_x 1
		.amdhsa_system_sgpr_workgroup_id_y 0
		.amdhsa_system_sgpr_workgroup_id_z 0
		.amdhsa_system_sgpr_workgroup_info 0
		.amdhsa_system_vgpr_workitem_id 0
		.amdhsa_next_free_vgpr 52
		.amdhsa_next_free_sgpr 38
		.amdhsa_reserve_vcc 1
		.amdhsa_float_round_mode_32 0
		.amdhsa_float_round_mode_16_64 0
		.amdhsa_float_denorm_mode_32 3
		.amdhsa_float_denorm_mode_16_64 3
		.amdhsa_dx10_clamp 1
		.amdhsa_ieee_mode 1
		.amdhsa_fp16_overflow 0
		.amdhsa_workgroup_processor_mode 1
		.amdhsa_memory_ordered 1
		.amdhsa_forward_progress 0
		.amdhsa_shared_vgpr_count 0
		.amdhsa_exception_fp_ieee_invalid_op 0
		.amdhsa_exception_fp_denorm_src 0
		.amdhsa_exception_fp_ieee_div_zero 0
		.amdhsa_exception_fp_ieee_overflow 0
		.amdhsa_exception_fp_ieee_underflow 0
		.amdhsa_exception_fp_ieee_inexact 0
		.amdhsa_exception_int_div_zero 0
	.end_amdhsa_kernel
	.section	.text._ZN7rocprim17ROCPRIM_400000_NS6detail17trampoline_kernelINS0_14default_configENS1_25partition_config_selectorILNS1_17partition_subalgoE8ElNS0_10empty_typeEbEEZZNS1_14partition_implILS5_8ELb0ES3_jPlPS6_PKS6_NS0_5tupleIJS9_S6_EEENSD_IJSA_SA_EEENS0_18inequality_wrapperIZN2at6native12_GLOBAL__N_124unique_dim_cuda_templateIN3c104HalfEEESt5tupleIJNSH_6TensorESO_SO_EERKSO_lbbbEUlllE0_EEPmJS6_EEE10hipError_tPvRmT3_T4_T5_T6_T7_T9_mT8_P12ihipStream_tbDpT10_ENKUlT_T0_E_clISt17integral_constantIbLb0EES1D_IbLb1EEEEDaS19_S1A_EUlS19_E_NS1_11comp_targetILNS1_3genE9ELNS1_11target_archE1100ELNS1_3gpuE3ELNS1_3repE0EEENS1_30default_config_static_selectorELNS0_4arch9wavefront6targetE0EEEvT1_,"axG",@progbits,_ZN7rocprim17ROCPRIM_400000_NS6detail17trampoline_kernelINS0_14default_configENS1_25partition_config_selectorILNS1_17partition_subalgoE8ElNS0_10empty_typeEbEEZZNS1_14partition_implILS5_8ELb0ES3_jPlPS6_PKS6_NS0_5tupleIJS9_S6_EEENSD_IJSA_SA_EEENS0_18inequality_wrapperIZN2at6native12_GLOBAL__N_124unique_dim_cuda_templateIN3c104HalfEEESt5tupleIJNSH_6TensorESO_SO_EERKSO_lbbbEUlllE0_EEPmJS6_EEE10hipError_tPvRmT3_T4_T5_T6_T7_T9_mT8_P12ihipStream_tbDpT10_ENKUlT_T0_E_clISt17integral_constantIbLb0EES1D_IbLb1EEEEDaS19_S1A_EUlS19_E_NS1_11comp_targetILNS1_3genE9ELNS1_11target_archE1100ELNS1_3gpuE3ELNS1_3repE0EEENS1_30default_config_static_selectorELNS0_4arch9wavefront6targetE0EEEvT1_,comdat
.Lfunc_end1325:
	.size	_ZN7rocprim17ROCPRIM_400000_NS6detail17trampoline_kernelINS0_14default_configENS1_25partition_config_selectorILNS1_17partition_subalgoE8ElNS0_10empty_typeEbEEZZNS1_14partition_implILS5_8ELb0ES3_jPlPS6_PKS6_NS0_5tupleIJS9_S6_EEENSD_IJSA_SA_EEENS0_18inequality_wrapperIZN2at6native12_GLOBAL__N_124unique_dim_cuda_templateIN3c104HalfEEESt5tupleIJNSH_6TensorESO_SO_EERKSO_lbbbEUlllE0_EEPmJS6_EEE10hipError_tPvRmT3_T4_T5_T6_T7_T9_mT8_P12ihipStream_tbDpT10_ENKUlT_T0_E_clISt17integral_constantIbLb0EES1D_IbLb1EEEEDaS19_S1A_EUlS19_E_NS1_11comp_targetILNS1_3genE9ELNS1_11target_archE1100ELNS1_3gpuE3ELNS1_3repE0EEENS1_30default_config_static_selectorELNS0_4arch9wavefront6targetE0EEEvT1_, .Lfunc_end1325-_ZN7rocprim17ROCPRIM_400000_NS6detail17trampoline_kernelINS0_14default_configENS1_25partition_config_selectorILNS1_17partition_subalgoE8ElNS0_10empty_typeEbEEZZNS1_14partition_implILS5_8ELb0ES3_jPlPS6_PKS6_NS0_5tupleIJS9_S6_EEENSD_IJSA_SA_EEENS0_18inequality_wrapperIZN2at6native12_GLOBAL__N_124unique_dim_cuda_templateIN3c104HalfEEESt5tupleIJNSH_6TensorESO_SO_EERKSO_lbbbEUlllE0_EEPmJS6_EEE10hipError_tPvRmT3_T4_T5_T6_T7_T9_mT8_P12ihipStream_tbDpT10_ENKUlT_T0_E_clISt17integral_constantIbLb0EES1D_IbLb1EEEEDaS19_S1A_EUlS19_E_NS1_11comp_targetILNS1_3genE9ELNS1_11target_archE1100ELNS1_3gpuE3ELNS1_3repE0EEENS1_30default_config_static_selectorELNS0_4arch9wavefront6targetE0EEEvT1_
                                        ; -- End function
	.section	.AMDGPU.csdata,"",@progbits
; Kernel info:
; codeLenInByte = 18292
; NumSgprs: 40
; NumVgprs: 52
; ScratchSize: 0
; MemoryBound: 0
; FloatMode: 240
; IeeeMode: 1
; LDSByteSize: 33804 bytes/workgroup (compile time only)
; SGPRBlocks: 4
; VGPRBlocks: 6
; NumSGPRsForWavesPerEU: 40
; NumVGPRsForWavesPerEU: 52
; Occupancy: 12
; WaveLimiterHint : 1
; COMPUTE_PGM_RSRC2:SCRATCH_EN: 0
; COMPUTE_PGM_RSRC2:USER_SGPR: 15
; COMPUTE_PGM_RSRC2:TRAP_HANDLER: 0
; COMPUTE_PGM_RSRC2:TGID_X_EN: 1
; COMPUTE_PGM_RSRC2:TGID_Y_EN: 0
; COMPUTE_PGM_RSRC2:TGID_Z_EN: 0
; COMPUTE_PGM_RSRC2:TIDIG_COMP_CNT: 0
	.section	.text._ZN7rocprim17ROCPRIM_400000_NS6detail17trampoline_kernelINS0_14default_configENS1_25partition_config_selectorILNS1_17partition_subalgoE8ElNS0_10empty_typeEbEEZZNS1_14partition_implILS5_8ELb0ES3_jPlPS6_PKS6_NS0_5tupleIJS9_S6_EEENSD_IJSA_SA_EEENS0_18inequality_wrapperIZN2at6native12_GLOBAL__N_124unique_dim_cuda_templateIN3c104HalfEEESt5tupleIJNSH_6TensorESO_SO_EERKSO_lbbbEUlllE0_EEPmJS6_EEE10hipError_tPvRmT3_T4_T5_T6_T7_T9_mT8_P12ihipStream_tbDpT10_ENKUlT_T0_E_clISt17integral_constantIbLb0EES1D_IbLb1EEEEDaS19_S1A_EUlS19_E_NS1_11comp_targetILNS1_3genE8ELNS1_11target_archE1030ELNS1_3gpuE2ELNS1_3repE0EEENS1_30default_config_static_selectorELNS0_4arch9wavefront6targetE0EEEvT1_,"axG",@progbits,_ZN7rocprim17ROCPRIM_400000_NS6detail17trampoline_kernelINS0_14default_configENS1_25partition_config_selectorILNS1_17partition_subalgoE8ElNS0_10empty_typeEbEEZZNS1_14partition_implILS5_8ELb0ES3_jPlPS6_PKS6_NS0_5tupleIJS9_S6_EEENSD_IJSA_SA_EEENS0_18inequality_wrapperIZN2at6native12_GLOBAL__N_124unique_dim_cuda_templateIN3c104HalfEEESt5tupleIJNSH_6TensorESO_SO_EERKSO_lbbbEUlllE0_EEPmJS6_EEE10hipError_tPvRmT3_T4_T5_T6_T7_T9_mT8_P12ihipStream_tbDpT10_ENKUlT_T0_E_clISt17integral_constantIbLb0EES1D_IbLb1EEEEDaS19_S1A_EUlS19_E_NS1_11comp_targetILNS1_3genE8ELNS1_11target_archE1030ELNS1_3gpuE2ELNS1_3repE0EEENS1_30default_config_static_selectorELNS0_4arch9wavefront6targetE0EEEvT1_,comdat
	.globl	_ZN7rocprim17ROCPRIM_400000_NS6detail17trampoline_kernelINS0_14default_configENS1_25partition_config_selectorILNS1_17partition_subalgoE8ElNS0_10empty_typeEbEEZZNS1_14partition_implILS5_8ELb0ES3_jPlPS6_PKS6_NS0_5tupleIJS9_S6_EEENSD_IJSA_SA_EEENS0_18inequality_wrapperIZN2at6native12_GLOBAL__N_124unique_dim_cuda_templateIN3c104HalfEEESt5tupleIJNSH_6TensorESO_SO_EERKSO_lbbbEUlllE0_EEPmJS6_EEE10hipError_tPvRmT3_T4_T5_T6_T7_T9_mT8_P12ihipStream_tbDpT10_ENKUlT_T0_E_clISt17integral_constantIbLb0EES1D_IbLb1EEEEDaS19_S1A_EUlS19_E_NS1_11comp_targetILNS1_3genE8ELNS1_11target_archE1030ELNS1_3gpuE2ELNS1_3repE0EEENS1_30default_config_static_selectorELNS0_4arch9wavefront6targetE0EEEvT1_ ; -- Begin function _ZN7rocprim17ROCPRIM_400000_NS6detail17trampoline_kernelINS0_14default_configENS1_25partition_config_selectorILNS1_17partition_subalgoE8ElNS0_10empty_typeEbEEZZNS1_14partition_implILS5_8ELb0ES3_jPlPS6_PKS6_NS0_5tupleIJS9_S6_EEENSD_IJSA_SA_EEENS0_18inequality_wrapperIZN2at6native12_GLOBAL__N_124unique_dim_cuda_templateIN3c104HalfEEESt5tupleIJNSH_6TensorESO_SO_EERKSO_lbbbEUlllE0_EEPmJS6_EEE10hipError_tPvRmT3_T4_T5_T6_T7_T9_mT8_P12ihipStream_tbDpT10_ENKUlT_T0_E_clISt17integral_constantIbLb0EES1D_IbLb1EEEEDaS19_S1A_EUlS19_E_NS1_11comp_targetILNS1_3genE8ELNS1_11target_archE1030ELNS1_3gpuE2ELNS1_3repE0EEENS1_30default_config_static_selectorELNS0_4arch9wavefront6targetE0EEEvT1_
	.p2align	8
	.type	_ZN7rocprim17ROCPRIM_400000_NS6detail17trampoline_kernelINS0_14default_configENS1_25partition_config_selectorILNS1_17partition_subalgoE8ElNS0_10empty_typeEbEEZZNS1_14partition_implILS5_8ELb0ES3_jPlPS6_PKS6_NS0_5tupleIJS9_S6_EEENSD_IJSA_SA_EEENS0_18inequality_wrapperIZN2at6native12_GLOBAL__N_124unique_dim_cuda_templateIN3c104HalfEEESt5tupleIJNSH_6TensorESO_SO_EERKSO_lbbbEUlllE0_EEPmJS6_EEE10hipError_tPvRmT3_T4_T5_T6_T7_T9_mT8_P12ihipStream_tbDpT10_ENKUlT_T0_E_clISt17integral_constantIbLb0EES1D_IbLb1EEEEDaS19_S1A_EUlS19_E_NS1_11comp_targetILNS1_3genE8ELNS1_11target_archE1030ELNS1_3gpuE2ELNS1_3repE0EEENS1_30default_config_static_selectorELNS0_4arch9wavefront6targetE0EEEvT1_,@function
_ZN7rocprim17ROCPRIM_400000_NS6detail17trampoline_kernelINS0_14default_configENS1_25partition_config_selectorILNS1_17partition_subalgoE8ElNS0_10empty_typeEbEEZZNS1_14partition_implILS5_8ELb0ES3_jPlPS6_PKS6_NS0_5tupleIJS9_S6_EEENSD_IJSA_SA_EEENS0_18inequality_wrapperIZN2at6native12_GLOBAL__N_124unique_dim_cuda_templateIN3c104HalfEEESt5tupleIJNSH_6TensorESO_SO_EERKSO_lbbbEUlllE0_EEPmJS6_EEE10hipError_tPvRmT3_T4_T5_T6_T7_T9_mT8_P12ihipStream_tbDpT10_ENKUlT_T0_E_clISt17integral_constantIbLb0EES1D_IbLb1EEEEDaS19_S1A_EUlS19_E_NS1_11comp_targetILNS1_3genE8ELNS1_11target_archE1030ELNS1_3gpuE2ELNS1_3repE0EEENS1_30default_config_static_selectorELNS0_4arch9wavefront6targetE0EEEvT1_: ; @_ZN7rocprim17ROCPRIM_400000_NS6detail17trampoline_kernelINS0_14default_configENS1_25partition_config_selectorILNS1_17partition_subalgoE8ElNS0_10empty_typeEbEEZZNS1_14partition_implILS5_8ELb0ES3_jPlPS6_PKS6_NS0_5tupleIJS9_S6_EEENSD_IJSA_SA_EEENS0_18inequality_wrapperIZN2at6native12_GLOBAL__N_124unique_dim_cuda_templateIN3c104HalfEEESt5tupleIJNSH_6TensorESO_SO_EERKSO_lbbbEUlllE0_EEPmJS6_EEE10hipError_tPvRmT3_T4_T5_T6_T7_T9_mT8_P12ihipStream_tbDpT10_ENKUlT_T0_E_clISt17integral_constantIbLb0EES1D_IbLb1EEEEDaS19_S1A_EUlS19_E_NS1_11comp_targetILNS1_3genE8ELNS1_11target_archE1030ELNS1_3gpuE2ELNS1_3repE0EEENS1_30default_config_static_selectorELNS0_4arch9wavefront6targetE0EEEvT1_
; %bb.0:
	.section	.rodata,"a",@progbits
	.p2align	6, 0x0
	.amdhsa_kernel _ZN7rocprim17ROCPRIM_400000_NS6detail17trampoline_kernelINS0_14default_configENS1_25partition_config_selectorILNS1_17partition_subalgoE8ElNS0_10empty_typeEbEEZZNS1_14partition_implILS5_8ELb0ES3_jPlPS6_PKS6_NS0_5tupleIJS9_S6_EEENSD_IJSA_SA_EEENS0_18inequality_wrapperIZN2at6native12_GLOBAL__N_124unique_dim_cuda_templateIN3c104HalfEEESt5tupleIJNSH_6TensorESO_SO_EERKSO_lbbbEUlllE0_EEPmJS6_EEE10hipError_tPvRmT3_T4_T5_T6_T7_T9_mT8_P12ihipStream_tbDpT10_ENKUlT_T0_E_clISt17integral_constantIbLb0EES1D_IbLb1EEEEDaS19_S1A_EUlS19_E_NS1_11comp_targetILNS1_3genE8ELNS1_11target_archE1030ELNS1_3gpuE2ELNS1_3repE0EEENS1_30default_config_static_selectorELNS0_4arch9wavefront6targetE0EEEvT1_
		.amdhsa_group_segment_fixed_size 0
		.amdhsa_private_segment_fixed_size 0
		.amdhsa_kernarg_size 136
		.amdhsa_user_sgpr_count 15
		.amdhsa_user_sgpr_dispatch_ptr 0
		.amdhsa_user_sgpr_queue_ptr 0
		.amdhsa_user_sgpr_kernarg_segment_ptr 1
		.amdhsa_user_sgpr_dispatch_id 0
		.amdhsa_user_sgpr_private_segment_size 0
		.amdhsa_wavefront_size32 1
		.amdhsa_uses_dynamic_stack 0
		.amdhsa_enable_private_segment 0
		.amdhsa_system_sgpr_workgroup_id_x 1
		.amdhsa_system_sgpr_workgroup_id_y 0
		.amdhsa_system_sgpr_workgroup_id_z 0
		.amdhsa_system_sgpr_workgroup_info 0
		.amdhsa_system_vgpr_workitem_id 0
		.amdhsa_next_free_vgpr 1
		.amdhsa_next_free_sgpr 1
		.amdhsa_reserve_vcc 0
		.amdhsa_float_round_mode_32 0
		.amdhsa_float_round_mode_16_64 0
		.amdhsa_float_denorm_mode_32 3
		.amdhsa_float_denorm_mode_16_64 3
		.amdhsa_dx10_clamp 1
		.amdhsa_ieee_mode 1
		.amdhsa_fp16_overflow 0
		.amdhsa_workgroup_processor_mode 1
		.amdhsa_memory_ordered 1
		.amdhsa_forward_progress 0
		.amdhsa_shared_vgpr_count 0
		.amdhsa_exception_fp_ieee_invalid_op 0
		.amdhsa_exception_fp_denorm_src 0
		.amdhsa_exception_fp_ieee_div_zero 0
		.amdhsa_exception_fp_ieee_overflow 0
		.amdhsa_exception_fp_ieee_underflow 0
		.amdhsa_exception_fp_ieee_inexact 0
		.amdhsa_exception_int_div_zero 0
	.end_amdhsa_kernel
	.section	.text._ZN7rocprim17ROCPRIM_400000_NS6detail17trampoline_kernelINS0_14default_configENS1_25partition_config_selectorILNS1_17partition_subalgoE8ElNS0_10empty_typeEbEEZZNS1_14partition_implILS5_8ELb0ES3_jPlPS6_PKS6_NS0_5tupleIJS9_S6_EEENSD_IJSA_SA_EEENS0_18inequality_wrapperIZN2at6native12_GLOBAL__N_124unique_dim_cuda_templateIN3c104HalfEEESt5tupleIJNSH_6TensorESO_SO_EERKSO_lbbbEUlllE0_EEPmJS6_EEE10hipError_tPvRmT3_T4_T5_T6_T7_T9_mT8_P12ihipStream_tbDpT10_ENKUlT_T0_E_clISt17integral_constantIbLb0EES1D_IbLb1EEEEDaS19_S1A_EUlS19_E_NS1_11comp_targetILNS1_3genE8ELNS1_11target_archE1030ELNS1_3gpuE2ELNS1_3repE0EEENS1_30default_config_static_selectorELNS0_4arch9wavefront6targetE0EEEvT1_,"axG",@progbits,_ZN7rocprim17ROCPRIM_400000_NS6detail17trampoline_kernelINS0_14default_configENS1_25partition_config_selectorILNS1_17partition_subalgoE8ElNS0_10empty_typeEbEEZZNS1_14partition_implILS5_8ELb0ES3_jPlPS6_PKS6_NS0_5tupleIJS9_S6_EEENSD_IJSA_SA_EEENS0_18inequality_wrapperIZN2at6native12_GLOBAL__N_124unique_dim_cuda_templateIN3c104HalfEEESt5tupleIJNSH_6TensorESO_SO_EERKSO_lbbbEUlllE0_EEPmJS6_EEE10hipError_tPvRmT3_T4_T5_T6_T7_T9_mT8_P12ihipStream_tbDpT10_ENKUlT_T0_E_clISt17integral_constantIbLb0EES1D_IbLb1EEEEDaS19_S1A_EUlS19_E_NS1_11comp_targetILNS1_3genE8ELNS1_11target_archE1030ELNS1_3gpuE2ELNS1_3repE0EEENS1_30default_config_static_selectorELNS0_4arch9wavefront6targetE0EEEvT1_,comdat
.Lfunc_end1326:
	.size	_ZN7rocprim17ROCPRIM_400000_NS6detail17trampoline_kernelINS0_14default_configENS1_25partition_config_selectorILNS1_17partition_subalgoE8ElNS0_10empty_typeEbEEZZNS1_14partition_implILS5_8ELb0ES3_jPlPS6_PKS6_NS0_5tupleIJS9_S6_EEENSD_IJSA_SA_EEENS0_18inequality_wrapperIZN2at6native12_GLOBAL__N_124unique_dim_cuda_templateIN3c104HalfEEESt5tupleIJNSH_6TensorESO_SO_EERKSO_lbbbEUlllE0_EEPmJS6_EEE10hipError_tPvRmT3_T4_T5_T6_T7_T9_mT8_P12ihipStream_tbDpT10_ENKUlT_T0_E_clISt17integral_constantIbLb0EES1D_IbLb1EEEEDaS19_S1A_EUlS19_E_NS1_11comp_targetILNS1_3genE8ELNS1_11target_archE1030ELNS1_3gpuE2ELNS1_3repE0EEENS1_30default_config_static_selectorELNS0_4arch9wavefront6targetE0EEEvT1_, .Lfunc_end1326-_ZN7rocprim17ROCPRIM_400000_NS6detail17trampoline_kernelINS0_14default_configENS1_25partition_config_selectorILNS1_17partition_subalgoE8ElNS0_10empty_typeEbEEZZNS1_14partition_implILS5_8ELb0ES3_jPlPS6_PKS6_NS0_5tupleIJS9_S6_EEENSD_IJSA_SA_EEENS0_18inequality_wrapperIZN2at6native12_GLOBAL__N_124unique_dim_cuda_templateIN3c104HalfEEESt5tupleIJNSH_6TensorESO_SO_EERKSO_lbbbEUlllE0_EEPmJS6_EEE10hipError_tPvRmT3_T4_T5_T6_T7_T9_mT8_P12ihipStream_tbDpT10_ENKUlT_T0_E_clISt17integral_constantIbLb0EES1D_IbLb1EEEEDaS19_S1A_EUlS19_E_NS1_11comp_targetILNS1_3genE8ELNS1_11target_archE1030ELNS1_3gpuE2ELNS1_3repE0EEENS1_30default_config_static_selectorELNS0_4arch9wavefront6targetE0EEEvT1_
                                        ; -- End function
	.section	.AMDGPU.csdata,"",@progbits
; Kernel info:
; codeLenInByte = 0
; NumSgprs: 0
; NumVgprs: 0
; ScratchSize: 0
; MemoryBound: 0
; FloatMode: 240
; IeeeMode: 1
; LDSByteSize: 0 bytes/workgroup (compile time only)
; SGPRBlocks: 0
; VGPRBlocks: 0
; NumSGPRsForWavesPerEU: 1
; NumVGPRsForWavesPerEU: 1
; Occupancy: 16
; WaveLimiterHint : 0
; COMPUTE_PGM_RSRC2:SCRATCH_EN: 0
; COMPUTE_PGM_RSRC2:USER_SGPR: 15
; COMPUTE_PGM_RSRC2:TRAP_HANDLER: 0
; COMPUTE_PGM_RSRC2:TGID_X_EN: 1
; COMPUTE_PGM_RSRC2:TGID_Y_EN: 0
; COMPUTE_PGM_RSRC2:TGID_Z_EN: 0
; COMPUTE_PGM_RSRC2:TIDIG_COMP_CNT: 0
	.section	.text._ZN7rocprim17ROCPRIM_400000_NS6detail17trampoline_kernelINS0_14default_configENS1_25partition_config_selectorILNS1_17partition_subalgoE9EllbEEZZNS1_14partition_implILS5_9ELb0ES3_jPlS8_PNS0_10empty_typeENS0_5tupleIJS8_S9_EEENSB_IJS8_SA_EEENS0_18inequality_wrapperIZN2at6native12_GLOBAL__N_124unique_dim_cuda_templateIN3c104HalfEEESt5tupleIJNSF_6TensorESM_SM_EERKSM_lbbbEUlllE0_EEPmJS9_EEE10hipError_tPvRmT3_T4_T5_T6_T7_T9_mT8_P12ihipStream_tbDpT10_ENKUlT_T0_E_clISt17integral_constantIbLb0EES1C_EEDaS17_S18_EUlS17_E_NS1_11comp_targetILNS1_3genE0ELNS1_11target_archE4294967295ELNS1_3gpuE0ELNS1_3repE0EEENS1_30default_config_static_selectorELNS0_4arch9wavefront6targetE0EEEvT1_,"axG",@progbits,_ZN7rocprim17ROCPRIM_400000_NS6detail17trampoline_kernelINS0_14default_configENS1_25partition_config_selectorILNS1_17partition_subalgoE9EllbEEZZNS1_14partition_implILS5_9ELb0ES3_jPlS8_PNS0_10empty_typeENS0_5tupleIJS8_S9_EEENSB_IJS8_SA_EEENS0_18inequality_wrapperIZN2at6native12_GLOBAL__N_124unique_dim_cuda_templateIN3c104HalfEEESt5tupleIJNSF_6TensorESM_SM_EERKSM_lbbbEUlllE0_EEPmJS9_EEE10hipError_tPvRmT3_T4_T5_T6_T7_T9_mT8_P12ihipStream_tbDpT10_ENKUlT_T0_E_clISt17integral_constantIbLb0EES1C_EEDaS17_S18_EUlS17_E_NS1_11comp_targetILNS1_3genE0ELNS1_11target_archE4294967295ELNS1_3gpuE0ELNS1_3repE0EEENS1_30default_config_static_selectorELNS0_4arch9wavefront6targetE0EEEvT1_,comdat
	.globl	_ZN7rocprim17ROCPRIM_400000_NS6detail17trampoline_kernelINS0_14default_configENS1_25partition_config_selectorILNS1_17partition_subalgoE9EllbEEZZNS1_14partition_implILS5_9ELb0ES3_jPlS8_PNS0_10empty_typeENS0_5tupleIJS8_S9_EEENSB_IJS8_SA_EEENS0_18inequality_wrapperIZN2at6native12_GLOBAL__N_124unique_dim_cuda_templateIN3c104HalfEEESt5tupleIJNSF_6TensorESM_SM_EERKSM_lbbbEUlllE0_EEPmJS9_EEE10hipError_tPvRmT3_T4_T5_T6_T7_T9_mT8_P12ihipStream_tbDpT10_ENKUlT_T0_E_clISt17integral_constantIbLb0EES1C_EEDaS17_S18_EUlS17_E_NS1_11comp_targetILNS1_3genE0ELNS1_11target_archE4294967295ELNS1_3gpuE0ELNS1_3repE0EEENS1_30default_config_static_selectorELNS0_4arch9wavefront6targetE0EEEvT1_ ; -- Begin function _ZN7rocprim17ROCPRIM_400000_NS6detail17trampoline_kernelINS0_14default_configENS1_25partition_config_selectorILNS1_17partition_subalgoE9EllbEEZZNS1_14partition_implILS5_9ELb0ES3_jPlS8_PNS0_10empty_typeENS0_5tupleIJS8_S9_EEENSB_IJS8_SA_EEENS0_18inequality_wrapperIZN2at6native12_GLOBAL__N_124unique_dim_cuda_templateIN3c104HalfEEESt5tupleIJNSF_6TensorESM_SM_EERKSM_lbbbEUlllE0_EEPmJS9_EEE10hipError_tPvRmT3_T4_T5_T6_T7_T9_mT8_P12ihipStream_tbDpT10_ENKUlT_T0_E_clISt17integral_constantIbLb0EES1C_EEDaS17_S18_EUlS17_E_NS1_11comp_targetILNS1_3genE0ELNS1_11target_archE4294967295ELNS1_3gpuE0ELNS1_3repE0EEENS1_30default_config_static_selectorELNS0_4arch9wavefront6targetE0EEEvT1_
	.p2align	8
	.type	_ZN7rocprim17ROCPRIM_400000_NS6detail17trampoline_kernelINS0_14default_configENS1_25partition_config_selectorILNS1_17partition_subalgoE9EllbEEZZNS1_14partition_implILS5_9ELb0ES3_jPlS8_PNS0_10empty_typeENS0_5tupleIJS8_S9_EEENSB_IJS8_SA_EEENS0_18inequality_wrapperIZN2at6native12_GLOBAL__N_124unique_dim_cuda_templateIN3c104HalfEEESt5tupleIJNSF_6TensorESM_SM_EERKSM_lbbbEUlllE0_EEPmJS9_EEE10hipError_tPvRmT3_T4_T5_T6_T7_T9_mT8_P12ihipStream_tbDpT10_ENKUlT_T0_E_clISt17integral_constantIbLb0EES1C_EEDaS17_S18_EUlS17_E_NS1_11comp_targetILNS1_3genE0ELNS1_11target_archE4294967295ELNS1_3gpuE0ELNS1_3repE0EEENS1_30default_config_static_selectorELNS0_4arch9wavefront6targetE0EEEvT1_,@function
_ZN7rocprim17ROCPRIM_400000_NS6detail17trampoline_kernelINS0_14default_configENS1_25partition_config_selectorILNS1_17partition_subalgoE9EllbEEZZNS1_14partition_implILS5_9ELb0ES3_jPlS8_PNS0_10empty_typeENS0_5tupleIJS8_S9_EEENSB_IJS8_SA_EEENS0_18inequality_wrapperIZN2at6native12_GLOBAL__N_124unique_dim_cuda_templateIN3c104HalfEEESt5tupleIJNSF_6TensorESM_SM_EERKSM_lbbbEUlllE0_EEPmJS9_EEE10hipError_tPvRmT3_T4_T5_T6_T7_T9_mT8_P12ihipStream_tbDpT10_ENKUlT_T0_E_clISt17integral_constantIbLb0EES1C_EEDaS17_S18_EUlS17_E_NS1_11comp_targetILNS1_3genE0ELNS1_11target_archE4294967295ELNS1_3gpuE0ELNS1_3repE0EEENS1_30default_config_static_selectorELNS0_4arch9wavefront6targetE0EEEvT1_: ; @_ZN7rocprim17ROCPRIM_400000_NS6detail17trampoline_kernelINS0_14default_configENS1_25partition_config_selectorILNS1_17partition_subalgoE9EllbEEZZNS1_14partition_implILS5_9ELb0ES3_jPlS8_PNS0_10empty_typeENS0_5tupleIJS8_S9_EEENSB_IJS8_SA_EEENS0_18inequality_wrapperIZN2at6native12_GLOBAL__N_124unique_dim_cuda_templateIN3c104HalfEEESt5tupleIJNSF_6TensorESM_SM_EERKSM_lbbbEUlllE0_EEPmJS9_EEE10hipError_tPvRmT3_T4_T5_T6_T7_T9_mT8_P12ihipStream_tbDpT10_ENKUlT_T0_E_clISt17integral_constantIbLb0EES1C_EEDaS17_S18_EUlS17_E_NS1_11comp_targetILNS1_3genE0ELNS1_11target_archE4294967295ELNS1_3gpuE0ELNS1_3repE0EEENS1_30default_config_static_selectorELNS0_4arch9wavefront6targetE0EEEvT1_
; %bb.0:
	.section	.rodata,"a",@progbits
	.p2align	6, 0x0
	.amdhsa_kernel _ZN7rocprim17ROCPRIM_400000_NS6detail17trampoline_kernelINS0_14default_configENS1_25partition_config_selectorILNS1_17partition_subalgoE9EllbEEZZNS1_14partition_implILS5_9ELb0ES3_jPlS8_PNS0_10empty_typeENS0_5tupleIJS8_S9_EEENSB_IJS8_SA_EEENS0_18inequality_wrapperIZN2at6native12_GLOBAL__N_124unique_dim_cuda_templateIN3c104HalfEEESt5tupleIJNSF_6TensorESM_SM_EERKSM_lbbbEUlllE0_EEPmJS9_EEE10hipError_tPvRmT3_T4_T5_T6_T7_T9_mT8_P12ihipStream_tbDpT10_ENKUlT_T0_E_clISt17integral_constantIbLb0EES1C_EEDaS17_S18_EUlS17_E_NS1_11comp_targetILNS1_3genE0ELNS1_11target_archE4294967295ELNS1_3gpuE0ELNS1_3repE0EEENS1_30default_config_static_selectorELNS0_4arch9wavefront6targetE0EEEvT1_
		.amdhsa_group_segment_fixed_size 0
		.amdhsa_private_segment_fixed_size 0
		.amdhsa_kernarg_size 120
		.amdhsa_user_sgpr_count 15
		.amdhsa_user_sgpr_dispatch_ptr 0
		.amdhsa_user_sgpr_queue_ptr 0
		.amdhsa_user_sgpr_kernarg_segment_ptr 1
		.amdhsa_user_sgpr_dispatch_id 0
		.amdhsa_user_sgpr_private_segment_size 0
		.amdhsa_wavefront_size32 1
		.amdhsa_uses_dynamic_stack 0
		.amdhsa_enable_private_segment 0
		.amdhsa_system_sgpr_workgroup_id_x 1
		.amdhsa_system_sgpr_workgroup_id_y 0
		.amdhsa_system_sgpr_workgroup_id_z 0
		.amdhsa_system_sgpr_workgroup_info 0
		.amdhsa_system_vgpr_workitem_id 0
		.amdhsa_next_free_vgpr 1
		.amdhsa_next_free_sgpr 1
		.amdhsa_reserve_vcc 0
		.amdhsa_float_round_mode_32 0
		.amdhsa_float_round_mode_16_64 0
		.amdhsa_float_denorm_mode_32 3
		.amdhsa_float_denorm_mode_16_64 3
		.amdhsa_dx10_clamp 1
		.amdhsa_ieee_mode 1
		.amdhsa_fp16_overflow 0
		.amdhsa_workgroup_processor_mode 1
		.amdhsa_memory_ordered 1
		.amdhsa_forward_progress 0
		.amdhsa_shared_vgpr_count 0
		.amdhsa_exception_fp_ieee_invalid_op 0
		.amdhsa_exception_fp_denorm_src 0
		.amdhsa_exception_fp_ieee_div_zero 0
		.amdhsa_exception_fp_ieee_overflow 0
		.amdhsa_exception_fp_ieee_underflow 0
		.amdhsa_exception_fp_ieee_inexact 0
		.amdhsa_exception_int_div_zero 0
	.end_amdhsa_kernel
	.section	.text._ZN7rocprim17ROCPRIM_400000_NS6detail17trampoline_kernelINS0_14default_configENS1_25partition_config_selectorILNS1_17partition_subalgoE9EllbEEZZNS1_14partition_implILS5_9ELb0ES3_jPlS8_PNS0_10empty_typeENS0_5tupleIJS8_S9_EEENSB_IJS8_SA_EEENS0_18inequality_wrapperIZN2at6native12_GLOBAL__N_124unique_dim_cuda_templateIN3c104HalfEEESt5tupleIJNSF_6TensorESM_SM_EERKSM_lbbbEUlllE0_EEPmJS9_EEE10hipError_tPvRmT3_T4_T5_T6_T7_T9_mT8_P12ihipStream_tbDpT10_ENKUlT_T0_E_clISt17integral_constantIbLb0EES1C_EEDaS17_S18_EUlS17_E_NS1_11comp_targetILNS1_3genE0ELNS1_11target_archE4294967295ELNS1_3gpuE0ELNS1_3repE0EEENS1_30default_config_static_selectorELNS0_4arch9wavefront6targetE0EEEvT1_,"axG",@progbits,_ZN7rocprim17ROCPRIM_400000_NS6detail17trampoline_kernelINS0_14default_configENS1_25partition_config_selectorILNS1_17partition_subalgoE9EllbEEZZNS1_14partition_implILS5_9ELb0ES3_jPlS8_PNS0_10empty_typeENS0_5tupleIJS8_S9_EEENSB_IJS8_SA_EEENS0_18inequality_wrapperIZN2at6native12_GLOBAL__N_124unique_dim_cuda_templateIN3c104HalfEEESt5tupleIJNSF_6TensorESM_SM_EERKSM_lbbbEUlllE0_EEPmJS9_EEE10hipError_tPvRmT3_T4_T5_T6_T7_T9_mT8_P12ihipStream_tbDpT10_ENKUlT_T0_E_clISt17integral_constantIbLb0EES1C_EEDaS17_S18_EUlS17_E_NS1_11comp_targetILNS1_3genE0ELNS1_11target_archE4294967295ELNS1_3gpuE0ELNS1_3repE0EEENS1_30default_config_static_selectorELNS0_4arch9wavefront6targetE0EEEvT1_,comdat
.Lfunc_end1327:
	.size	_ZN7rocprim17ROCPRIM_400000_NS6detail17trampoline_kernelINS0_14default_configENS1_25partition_config_selectorILNS1_17partition_subalgoE9EllbEEZZNS1_14partition_implILS5_9ELb0ES3_jPlS8_PNS0_10empty_typeENS0_5tupleIJS8_S9_EEENSB_IJS8_SA_EEENS0_18inequality_wrapperIZN2at6native12_GLOBAL__N_124unique_dim_cuda_templateIN3c104HalfEEESt5tupleIJNSF_6TensorESM_SM_EERKSM_lbbbEUlllE0_EEPmJS9_EEE10hipError_tPvRmT3_T4_T5_T6_T7_T9_mT8_P12ihipStream_tbDpT10_ENKUlT_T0_E_clISt17integral_constantIbLb0EES1C_EEDaS17_S18_EUlS17_E_NS1_11comp_targetILNS1_3genE0ELNS1_11target_archE4294967295ELNS1_3gpuE0ELNS1_3repE0EEENS1_30default_config_static_selectorELNS0_4arch9wavefront6targetE0EEEvT1_, .Lfunc_end1327-_ZN7rocprim17ROCPRIM_400000_NS6detail17trampoline_kernelINS0_14default_configENS1_25partition_config_selectorILNS1_17partition_subalgoE9EllbEEZZNS1_14partition_implILS5_9ELb0ES3_jPlS8_PNS0_10empty_typeENS0_5tupleIJS8_S9_EEENSB_IJS8_SA_EEENS0_18inequality_wrapperIZN2at6native12_GLOBAL__N_124unique_dim_cuda_templateIN3c104HalfEEESt5tupleIJNSF_6TensorESM_SM_EERKSM_lbbbEUlllE0_EEPmJS9_EEE10hipError_tPvRmT3_T4_T5_T6_T7_T9_mT8_P12ihipStream_tbDpT10_ENKUlT_T0_E_clISt17integral_constantIbLb0EES1C_EEDaS17_S18_EUlS17_E_NS1_11comp_targetILNS1_3genE0ELNS1_11target_archE4294967295ELNS1_3gpuE0ELNS1_3repE0EEENS1_30default_config_static_selectorELNS0_4arch9wavefront6targetE0EEEvT1_
                                        ; -- End function
	.section	.AMDGPU.csdata,"",@progbits
; Kernel info:
; codeLenInByte = 0
; NumSgprs: 0
; NumVgprs: 0
; ScratchSize: 0
; MemoryBound: 0
; FloatMode: 240
; IeeeMode: 1
; LDSByteSize: 0 bytes/workgroup (compile time only)
; SGPRBlocks: 0
; VGPRBlocks: 0
; NumSGPRsForWavesPerEU: 1
; NumVGPRsForWavesPerEU: 1
; Occupancy: 16
; WaveLimiterHint : 0
; COMPUTE_PGM_RSRC2:SCRATCH_EN: 0
; COMPUTE_PGM_RSRC2:USER_SGPR: 15
; COMPUTE_PGM_RSRC2:TRAP_HANDLER: 0
; COMPUTE_PGM_RSRC2:TGID_X_EN: 1
; COMPUTE_PGM_RSRC2:TGID_Y_EN: 0
; COMPUTE_PGM_RSRC2:TGID_Z_EN: 0
; COMPUTE_PGM_RSRC2:TIDIG_COMP_CNT: 0
	.section	.text._ZN7rocprim17ROCPRIM_400000_NS6detail17trampoline_kernelINS0_14default_configENS1_25partition_config_selectorILNS1_17partition_subalgoE9EllbEEZZNS1_14partition_implILS5_9ELb0ES3_jPlS8_PNS0_10empty_typeENS0_5tupleIJS8_S9_EEENSB_IJS8_SA_EEENS0_18inequality_wrapperIZN2at6native12_GLOBAL__N_124unique_dim_cuda_templateIN3c104HalfEEESt5tupleIJNSF_6TensorESM_SM_EERKSM_lbbbEUlllE0_EEPmJS9_EEE10hipError_tPvRmT3_T4_T5_T6_T7_T9_mT8_P12ihipStream_tbDpT10_ENKUlT_T0_E_clISt17integral_constantIbLb0EES1C_EEDaS17_S18_EUlS17_E_NS1_11comp_targetILNS1_3genE5ELNS1_11target_archE942ELNS1_3gpuE9ELNS1_3repE0EEENS1_30default_config_static_selectorELNS0_4arch9wavefront6targetE0EEEvT1_,"axG",@progbits,_ZN7rocprim17ROCPRIM_400000_NS6detail17trampoline_kernelINS0_14default_configENS1_25partition_config_selectorILNS1_17partition_subalgoE9EllbEEZZNS1_14partition_implILS5_9ELb0ES3_jPlS8_PNS0_10empty_typeENS0_5tupleIJS8_S9_EEENSB_IJS8_SA_EEENS0_18inequality_wrapperIZN2at6native12_GLOBAL__N_124unique_dim_cuda_templateIN3c104HalfEEESt5tupleIJNSF_6TensorESM_SM_EERKSM_lbbbEUlllE0_EEPmJS9_EEE10hipError_tPvRmT3_T4_T5_T6_T7_T9_mT8_P12ihipStream_tbDpT10_ENKUlT_T0_E_clISt17integral_constantIbLb0EES1C_EEDaS17_S18_EUlS17_E_NS1_11comp_targetILNS1_3genE5ELNS1_11target_archE942ELNS1_3gpuE9ELNS1_3repE0EEENS1_30default_config_static_selectorELNS0_4arch9wavefront6targetE0EEEvT1_,comdat
	.globl	_ZN7rocprim17ROCPRIM_400000_NS6detail17trampoline_kernelINS0_14default_configENS1_25partition_config_selectorILNS1_17partition_subalgoE9EllbEEZZNS1_14partition_implILS5_9ELb0ES3_jPlS8_PNS0_10empty_typeENS0_5tupleIJS8_S9_EEENSB_IJS8_SA_EEENS0_18inequality_wrapperIZN2at6native12_GLOBAL__N_124unique_dim_cuda_templateIN3c104HalfEEESt5tupleIJNSF_6TensorESM_SM_EERKSM_lbbbEUlllE0_EEPmJS9_EEE10hipError_tPvRmT3_T4_T5_T6_T7_T9_mT8_P12ihipStream_tbDpT10_ENKUlT_T0_E_clISt17integral_constantIbLb0EES1C_EEDaS17_S18_EUlS17_E_NS1_11comp_targetILNS1_3genE5ELNS1_11target_archE942ELNS1_3gpuE9ELNS1_3repE0EEENS1_30default_config_static_selectorELNS0_4arch9wavefront6targetE0EEEvT1_ ; -- Begin function _ZN7rocprim17ROCPRIM_400000_NS6detail17trampoline_kernelINS0_14default_configENS1_25partition_config_selectorILNS1_17partition_subalgoE9EllbEEZZNS1_14partition_implILS5_9ELb0ES3_jPlS8_PNS0_10empty_typeENS0_5tupleIJS8_S9_EEENSB_IJS8_SA_EEENS0_18inequality_wrapperIZN2at6native12_GLOBAL__N_124unique_dim_cuda_templateIN3c104HalfEEESt5tupleIJNSF_6TensorESM_SM_EERKSM_lbbbEUlllE0_EEPmJS9_EEE10hipError_tPvRmT3_T4_T5_T6_T7_T9_mT8_P12ihipStream_tbDpT10_ENKUlT_T0_E_clISt17integral_constantIbLb0EES1C_EEDaS17_S18_EUlS17_E_NS1_11comp_targetILNS1_3genE5ELNS1_11target_archE942ELNS1_3gpuE9ELNS1_3repE0EEENS1_30default_config_static_selectorELNS0_4arch9wavefront6targetE0EEEvT1_
	.p2align	8
	.type	_ZN7rocprim17ROCPRIM_400000_NS6detail17trampoline_kernelINS0_14default_configENS1_25partition_config_selectorILNS1_17partition_subalgoE9EllbEEZZNS1_14partition_implILS5_9ELb0ES3_jPlS8_PNS0_10empty_typeENS0_5tupleIJS8_S9_EEENSB_IJS8_SA_EEENS0_18inequality_wrapperIZN2at6native12_GLOBAL__N_124unique_dim_cuda_templateIN3c104HalfEEESt5tupleIJNSF_6TensorESM_SM_EERKSM_lbbbEUlllE0_EEPmJS9_EEE10hipError_tPvRmT3_T4_T5_T6_T7_T9_mT8_P12ihipStream_tbDpT10_ENKUlT_T0_E_clISt17integral_constantIbLb0EES1C_EEDaS17_S18_EUlS17_E_NS1_11comp_targetILNS1_3genE5ELNS1_11target_archE942ELNS1_3gpuE9ELNS1_3repE0EEENS1_30default_config_static_selectorELNS0_4arch9wavefront6targetE0EEEvT1_,@function
_ZN7rocprim17ROCPRIM_400000_NS6detail17trampoline_kernelINS0_14default_configENS1_25partition_config_selectorILNS1_17partition_subalgoE9EllbEEZZNS1_14partition_implILS5_9ELb0ES3_jPlS8_PNS0_10empty_typeENS0_5tupleIJS8_S9_EEENSB_IJS8_SA_EEENS0_18inequality_wrapperIZN2at6native12_GLOBAL__N_124unique_dim_cuda_templateIN3c104HalfEEESt5tupleIJNSF_6TensorESM_SM_EERKSM_lbbbEUlllE0_EEPmJS9_EEE10hipError_tPvRmT3_T4_T5_T6_T7_T9_mT8_P12ihipStream_tbDpT10_ENKUlT_T0_E_clISt17integral_constantIbLb0EES1C_EEDaS17_S18_EUlS17_E_NS1_11comp_targetILNS1_3genE5ELNS1_11target_archE942ELNS1_3gpuE9ELNS1_3repE0EEENS1_30default_config_static_selectorELNS0_4arch9wavefront6targetE0EEEvT1_: ; @_ZN7rocprim17ROCPRIM_400000_NS6detail17trampoline_kernelINS0_14default_configENS1_25partition_config_selectorILNS1_17partition_subalgoE9EllbEEZZNS1_14partition_implILS5_9ELb0ES3_jPlS8_PNS0_10empty_typeENS0_5tupleIJS8_S9_EEENSB_IJS8_SA_EEENS0_18inequality_wrapperIZN2at6native12_GLOBAL__N_124unique_dim_cuda_templateIN3c104HalfEEESt5tupleIJNSF_6TensorESM_SM_EERKSM_lbbbEUlllE0_EEPmJS9_EEE10hipError_tPvRmT3_T4_T5_T6_T7_T9_mT8_P12ihipStream_tbDpT10_ENKUlT_T0_E_clISt17integral_constantIbLb0EES1C_EEDaS17_S18_EUlS17_E_NS1_11comp_targetILNS1_3genE5ELNS1_11target_archE942ELNS1_3gpuE9ELNS1_3repE0EEENS1_30default_config_static_selectorELNS0_4arch9wavefront6targetE0EEEvT1_
; %bb.0:
	.section	.rodata,"a",@progbits
	.p2align	6, 0x0
	.amdhsa_kernel _ZN7rocprim17ROCPRIM_400000_NS6detail17trampoline_kernelINS0_14default_configENS1_25partition_config_selectorILNS1_17partition_subalgoE9EllbEEZZNS1_14partition_implILS5_9ELb0ES3_jPlS8_PNS0_10empty_typeENS0_5tupleIJS8_S9_EEENSB_IJS8_SA_EEENS0_18inequality_wrapperIZN2at6native12_GLOBAL__N_124unique_dim_cuda_templateIN3c104HalfEEESt5tupleIJNSF_6TensorESM_SM_EERKSM_lbbbEUlllE0_EEPmJS9_EEE10hipError_tPvRmT3_T4_T5_T6_T7_T9_mT8_P12ihipStream_tbDpT10_ENKUlT_T0_E_clISt17integral_constantIbLb0EES1C_EEDaS17_S18_EUlS17_E_NS1_11comp_targetILNS1_3genE5ELNS1_11target_archE942ELNS1_3gpuE9ELNS1_3repE0EEENS1_30default_config_static_selectorELNS0_4arch9wavefront6targetE0EEEvT1_
		.amdhsa_group_segment_fixed_size 0
		.amdhsa_private_segment_fixed_size 0
		.amdhsa_kernarg_size 120
		.amdhsa_user_sgpr_count 15
		.amdhsa_user_sgpr_dispatch_ptr 0
		.amdhsa_user_sgpr_queue_ptr 0
		.amdhsa_user_sgpr_kernarg_segment_ptr 1
		.amdhsa_user_sgpr_dispatch_id 0
		.amdhsa_user_sgpr_private_segment_size 0
		.amdhsa_wavefront_size32 1
		.amdhsa_uses_dynamic_stack 0
		.amdhsa_enable_private_segment 0
		.amdhsa_system_sgpr_workgroup_id_x 1
		.amdhsa_system_sgpr_workgroup_id_y 0
		.amdhsa_system_sgpr_workgroup_id_z 0
		.amdhsa_system_sgpr_workgroup_info 0
		.amdhsa_system_vgpr_workitem_id 0
		.amdhsa_next_free_vgpr 1
		.amdhsa_next_free_sgpr 1
		.amdhsa_reserve_vcc 0
		.amdhsa_float_round_mode_32 0
		.amdhsa_float_round_mode_16_64 0
		.amdhsa_float_denorm_mode_32 3
		.amdhsa_float_denorm_mode_16_64 3
		.amdhsa_dx10_clamp 1
		.amdhsa_ieee_mode 1
		.amdhsa_fp16_overflow 0
		.amdhsa_workgroup_processor_mode 1
		.amdhsa_memory_ordered 1
		.amdhsa_forward_progress 0
		.amdhsa_shared_vgpr_count 0
		.amdhsa_exception_fp_ieee_invalid_op 0
		.amdhsa_exception_fp_denorm_src 0
		.amdhsa_exception_fp_ieee_div_zero 0
		.amdhsa_exception_fp_ieee_overflow 0
		.amdhsa_exception_fp_ieee_underflow 0
		.amdhsa_exception_fp_ieee_inexact 0
		.amdhsa_exception_int_div_zero 0
	.end_amdhsa_kernel
	.section	.text._ZN7rocprim17ROCPRIM_400000_NS6detail17trampoline_kernelINS0_14default_configENS1_25partition_config_selectorILNS1_17partition_subalgoE9EllbEEZZNS1_14partition_implILS5_9ELb0ES3_jPlS8_PNS0_10empty_typeENS0_5tupleIJS8_S9_EEENSB_IJS8_SA_EEENS0_18inequality_wrapperIZN2at6native12_GLOBAL__N_124unique_dim_cuda_templateIN3c104HalfEEESt5tupleIJNSF_6TensorESM_SM_EERKSM_lbbbEUlllE0_EEPmJS9_EEE10hipError_tPvRmT3_T4_T5_T6_T7_T9_mT8_P12ihipStream_tbDpT10_ENKUlT_T0_E_clISt17integral_constantIbLb0EES1C_EEDaS17_S18_EUlS17_E_NS1_11comp_targetILNS1_3genE5ELNS1_11target_archE942ELNS1_3gpuE9ELNS1_3repE0EEENS1_30default_config_static_selectorELNS0_4arch9wavefront6targetE0EEEvT1_,"axG",@progbits,_ZN7rocprim17ROCPRIM_400000_NS6detail17trampoline_kernelINS0_14default_configENS1_25partition_config_selectorILNS1_17partition_subalgoE9EllbEEZZNS1_14partition_implILS5_9ELb0ES3_jPlS8_PNS0_10empty_typeENS0_5tupleIJS8_S9_EEENSB_IJS8_SA_EEENS0_18inequality_wrapperIZN2at6native12_GLOBAL__N_124unique_dim_cuda_templateIN3c104HalfEEESt5tupleIJNSF_6TensorESM_SM_EERKSM_lbbbEUlllE0_EEPmJS9_EEE10hipError_tPvRmT3_T4_T5_T6_T7_T9_mT8_P12ihipStream_tbDpT10_ENKUlT_T0_E_clISt17integral_constantIbLb0EES1C_EEDaS17_S18_EUlS17_E_NS1_11comp_targetILNS1_3genE5ELNS1_11target_archE942ELNS1_3gpuE9ELNS1_3repE0EEENS1_30default_config_static_selectorELNS0_4arch9wavefront6targetE0EEEvT1_,comdat
.Lfunc_end1328:
	.size	_ZN7rocprim17ROCPRIM_400000_NS6detail17trampoline_kernelINS0_14default_configENS1_25partition_config_selectorILNS1_17partition_subalgoE9EllbEEZZNS1_14partition_implILS5_9ELb0ES3_jPlS8_PNS0_10empty_typeENS0_5tupleIJS8_S9_EEENSB_IJS8_SA_EEENS0_18inequality_wrapperIZN2at6native12_GLOBAL__N_124unique_dim_cuda_templateIN3c104HalfEEESt5tupleIJNSF_6TensorESM_SM_EERKSM_lbbbEUlllE0_EEPmJS9_EEE10hipError_tPvRmT3_T4_T5_T6_T7_T9_mT8_P12ihipStream_tbDpT10_ENKUlT_T0_E_clISt17integral_constantIbLb0EES1C_EEDaS17_S18_EUlS17_E_NS1_11comp_targetILNS1_3genE5ELNS1_11target_archE942ELNS1_3gpuE9ELNS1_3repE0EEENS1_30default_config_static_selectorELNS0_4arch9wavefront6targetE0EEEvT1_, .Lfunc_end1328-_ZN7rocprim17ROCPRIM_400000_NS6detail17trampoline_kernelINS0_14default_configENS1_25partition_config_selectorILNS1_17partition_subalgoE9EllbEEZZNS1_14partition_implILS5_9ELb0ES3_jPlS8_PNS0_10empty_typeENS0_5tupleIJS8_S9_EEENSB_IJS8_SA_EEENS0_18inequality_wrapperIZN2at6native12_GLOBAL__N_124unique_dim_cuda_templateIN3c104HalfEEESt5tupleIJNSF_6TensorESM_SM_EERKSM_lbbbEUlllE0_EEPmJS9_EEE10hipError_tPvRmT3_T4_T5_T6_T7_T9_mT8_P12ihipStream_tbDpT10_ENKUlT_T0_E_clISt17integral_constantIbLb0EES1C_EEDaS17_S18_EUlS17_E_NS1_11comp_targetILNS1_3genE5ELNS1_11target_archE942ELNS1_3gpuE9ELNS1_3repE0EEENS1_30default_config_static_selectorELNS0_4arch9wavefront6targetE0EEEvT1_
                                        ; -- End function
	.section	.AMDGPU.csdata,"",@progbits
; Kernel info:
; codeLenInByte = 0
; NumSgprs: 0
; NumVgprs: 0
; ScratchSize: 0
; MemoryBound: 0
; FloatMode: 240
; IeeeMode: 1
; LDSByteSize: 0 bytes/workgroup (compile time only)
; SGPRBlocks: 0
; VGPRBlocks: 0
; NumSGPRsForWavesPerEU: 1
; NumVGPRsForWavesPerEU: 1
; Occupancy: 16
; WaveLimiterHint : 0
; COMPUTE_PGM_RSRC2:SCRATCH_EN: 0
; COMPUTE_PGM_RSRC2:USER_SGPR: 15
; COMPUTE_PGM_RSRC2:TRAP_HANDLER: 0
; COMPUTE_PGM_RSRC2:TGID_X_EN: 1
; COMPUTE_PGM_RSRC2:TGID_Y_EN: 0
; COMPUTE_PGM_RSRC2:TGID_Z_EN: 0
; COMPUTE_PGM_RSRC2:TIDIG_COMP_CNT: 0
	.section	.text._ZN7rocprim17ROCPRIM_400000_NS6detail17trampoline_kernelINS0_14default_configENS1_25partition_config_selectorILNS1_17partition_subalgoE9EllbEEZZNS1_14partition_implILS5_9ELb0ES3_jPlS8_PNS0_10empty_typeENS0_5tupleIJS8_S9_EEENSB_IJS8_SA_EEENS0_18inequality_wrapperIZN2at6native12_GLOBAL__N_124unique_dim_cuda_templateIN3c104HalfEEESt5tupleIJNSF_6TensorESM_SM_EERKSM_lbbbEUlllE0_EEPmJS9_EEE10hipError_tPvRmT3_T4_T5_T6_T7_T9_mT8_P12ihipStream_tbDpT10_ENKUlT_T0_E_clISt17integral_constantIbLb0EES1C_EEDaS17_S18_EUlS17_E_NS1_11comp_targetILNS1_3genE4ELNS1_11target_archE910ELNS1_3gpuE8ELNS1_3repE0EEENS1_30default_config_static_selectorELNS0_4arch9wavefront6targetE0EEEvT1_,"axG",@progbits,_ZN7rocprim17ROCPRIM_400000_NS6detail17trampoline_kernelINS0_14default_configENS1_25partition_config_selectorILNS1_17partition_subalgoE9EllbEEZZNS1_14partition_implILS5_9ELb0ES3_jPlS8_PNS0_10empty_typeENS0_5tupleIJS8_S9_EEENSB_IJS8_SA_EEENS0_18inequality_wrapperIZN2at6native12_GLOBAL__N_124unique_dim_cuda_templateIN3c104HalfEEESt5tupleIJNSF_6TensorESM_SM_EERKSM_lbbbEUlllE0_EEPmJS9_EEE10hipError_tPvRmT3_T4_T5_T6_T7_T9_mT8_P12ihipStream_tbDpT10_ENKUlT_T0_E_clISt17integral_constantIbLb0EES1C_EEDaS17_S18_EUlS17_E_NS1_11comp_targetILNS1_3genE4ELNS1_11target_archE910ELNS1_3gpuE8ELNS1_3repE0EEENS1_30default_config_static_selectorELNS0_4arch9wavefront6targetE0EEEvT1_,comdat
	.globl	_ZN7rocprim17ROCPRIM_400000_NS6detail17trampoline_kernelINS0_14default_configENS1_25partition_config_selectorILNS1_17partition_subalgoE9EllbEEZZNS1_14partition_implILS5_9ELb0ES3_jPlS8_PNS0_10empty_typeENS0_5tupleIJS8_S9_EEENSB_IJS8_SA_EEENS0_18inequality_wrapperIZN2at6native12_GLOBAL__N_124unique_dim_cuda_templateIN3c104HalfEEESt5tupleIJNSF_6TensorESM_SM_EERKSM_lbbbEUlllE0_EEPmJS9_EEE10hipError_tPvRmT3_T4_T5_T6_T7_T9_mT8_P12ihipStream_tbDpT10_ENKUlT_T0_E_clISt17integral_constantIbLb0EES1C_EEDaS17_S18_EUlS17_E_NS1_11comp_targetILNS1_3genE4ELNS1_11target_archE910ELNS1_3gpuE8ELNS1_3repE0EEENS1_30default_config_static_selectorELNS0_4arch9wavefront6targetE0EEEvT1_ ; -- Begin function _ZN7rocprim17ROCPRIM_400000_NS6detail17trampoline_kernelINS0_14default_configENS1_25partition_config_selectorILNS1_17partition_subalgoE9EllbEEZZNS1_14partition_implILS5_9ELb0ES3_jPlS8_PNS0_10empty_typeENS0_5tupleIJS8_S9_EEENSB_IJS8_SA_EEENS0_18inequality_wrapperIZN2at6native12_GLOBAL__N_124unique_dim_cuda_templateIN3c104HalfEEESt5tupleIJNSF_6TensorESM_SM_EERKSM_lbbbEUlllE0_EEPmJS9_EEE10hipError_tPvRmT3_T4_T5_T6_T7_T9_mT8_P12ihipStream_tbDpT10_ENKUlT_T0_E_clISt17integral_constantIbLb0EES1C_EEDaS17_S18_EUlS17_E_NS1_11comp_targetILNS1_3genE4ELNS1_11target_archE910ELNS1_3gpuE8ELNS1_3repE0EEENS1_30default_config_static_selectorELNS0_4arch9wavefront6targetE0EEEvT1_
	.p2align	8
	.type	_ZN7rocprim17ROCPRIM_400000_NS6detail17trampoline_kernelINS0_14default_configENS1_25partition_config_selectorILNS1_17partition_subalgoE9EllbEEZZNS1_14partition_implILS5_9ELb0ES3_jPlS8_PNS0_10empty_typeENS0_5tupleIJS8_S9_EEENSB_IJS8_SA_EEENS0_18inequality_wrapperIZN2at6native12_GLOBAL__N_124unique_dim_cuda_templateIN3c104HalfEEESt5tupleIJNSF_6TensorESM_SM_EERKSM_lbbbEUlllE0_EEPmJS9_EEE10hipError_tPvRmT3_T4_T5_T6_T7_T9_mT8_P12ihipStream_tbDpT10_ENKUlT_T0_E_clISt17integral_constantIbLb0EES1C_EEDaS17_S18_EUlS17_E_NS1_11comp_targetILNS1_3genE4ELNS1_11target_archE910ELNS1_3gpuE8ELNS1_3repE0EEENS1_30default_config_static_selectorELNS0_4arch9wavefront6targetE0EEEvT1_,@function
_ZN7rocprim17ROCPRIM_400000_NS6detail17trampoline_kernelINS0_14default_configENS1_25partition_config_selectorILNS1_17partition_subalgoE9EllbEEZZNS1_14partition_implILS5_9ELb0ES3_jPlS8_PNS0_10empty_typeENS0_5tupleIJS8_S9_EEENSB_IJS8_SA_EEENS0_18inequality_wrapperIZN2at6native12_GLOBAL__N_124unique_dim_cuda_templateIN3c104HalfEEESt5tupleIJNSF_6TensorESM_SM_EERKSM_lbbbEUlllE0_EEPmJS9_EEE10hipError_tPvRmT3_T4_T5_T6_T7_T9_mT8_P12ihipStream_tbDpT10_ENKUlT_T0_E_clISt17integral_constantIbLb0EES1C_EEDaS17_S18_EUlS17_E_NS1_11comp_targetILNS1_3genE4ELNS1_11target_archE910ELNS1_3gpuE8ELNS1_3repE0EEENS1_30default_config_static_selectorELNS0_4arch9wavefront6targetE0EEEvT1_: ; @_ZN7rocprim17ROCPRIM_400000_NS6detail17trampoline_kernelINS0_14default_configENS1_25partition_config_selectorILNS1_17partition_subalgoE9EllbEEZZNS1_14partition_implILS5_9ELb0ES3_jPlS8_PNS0_10empty_typeENS0_5tupleIJS8_S9_EEENSB_IJS8_SA_EEENS0_18inequality_wrapperIZN2at6native12_GLOBAL__N_124unique_dim_cuda_templateIN3c104HalfEEESt5tupleIJNSF_6TensorESM_SM_EERKSM_lbbbEUlllE0_EEPmJS9_EEE10hipError_tPvRmT3_T4_T5_T6_T7_T9_mT8_P12ihipStream_tbDpT10_ENKUlT_T0_E_clISt17integral_constantIbLb0EES1C_EEDaS17_S18_EUlS17_E_NS1_11comp_targetILNS1_3genE4ELNS1_11target_archE910ELNS1_3gpuE8ELNS1_3repE0EEENS1_30default_config_static_selectorELNS0_4arch9wavefront6targetE0EEEvT1_
; %bb.0:
	.section	.rodata,"a",@progbits
	.p2align	6, 0x0
	.amdhsa_kernel _ZN7rocprim17ROCPRIM_400000_NS6detail17trampoline_kernelINS0_14default_configENS1_25partition_config_selectorILNS1_17partition_subalgoE9EllbEEZZNS1_14partition_implILS5_9ELb0ES3_jPlS8_PNS0_10empty_typeENS0_5tupleIJS8_S9_EEENSB_IJS8_SA_EEENS0_18inequality_wrapperIZN2at6native12_GLOBAL__N_124unique_dim_cuda_templateIN3c104HalfEEESt5tupleIJNSF_6TensorESM_SM_EERKSM_lbbbEUlllE0_EEPmJS9_EEE10hipError_tPvRmT3_T4_T5_T6_T7_T9_mT8_P12ihipStream_tbDpT10_ENKUlT_T0_E_clISt17integral_constantIbLb0EES1C_EEDaS17_S18_EUlS17_E_NS1_11comp_targetILNS1_3genE4ELNS1_11target_archE910ELNS1_3gpuE8ELNS1_3repE0EEENS1_30default_config_static_selectorELNS0_4arch9wavefront6targetE0EEEvT1_
		.amdhsa_group_segment_fixed_size 0
		.amdhsa_private_segment_fixed_size 0
		.amdhsa_kernarg_size 120
		.amdhsa_user_sgpr_count 15
		.amdhsa_user_sgpr_dispatch_ptr 0
		.amdhsa_user_sgpr_queue_ptr 0
		.amdhsa_user_sgpr_kernarg_segment_ptr 1
		.amdhsa_user_sgpr_dispatch_id 0
		.amdhsa_user_sgpr_private_segment_size 0
		.amdhsa_wavefront_size32 1
		.amdhsa_uses_dynamic_stack 0
		.amdhsa_enable_private_segment 0
		.amdhsa_system_sgpr_workgroup_id_x 1
		.amdhsa_system_sgpr_workgroup_id_y 0
		.amdhsa_system_sgpr_workgroup_id_z 0
		.amdhsa_system_sgpr_workgroup_info 0
		.amdhsa_system_vgpr_workitem_id 0
		.amdhsa_next_free_vgpr 1
		.amdhsa_next_free_sgpr 1
		.amdhsa_reserve_vcc 0
		.amdhsa_float_round_mode_32 0
		.amdhsa_float_round_mode_16_64 0
		.amdhsa_float_denorm_mode_32 3
		.amdhsa_float_denorm_mode_16_64 3
		.amdhsa_dx10_clamp 1
		.amdhsa_ieee_mode 1
		.amdhsa_fp16_overflow 0
		.amdhsa_workgroup_processor_mode 1
		.amdhsa_memory_ordered 1
		.amdhsa_forward_progress 0
		.amdhsa_shared_vgpr_count 0
		.amdhsa_exception_fp_ieee_invalid_op 0
		.amdhsa_exception_fp_denorm_src 0
		.amdhsa_exception_fp_ieee_div_zero 0
		.amdhsa_exception_fp_ieee_overflow 0
		.amdhsa_exception_fp_ieee_underflow 0
		.amdhsa_exception_fp_ieee_inexact 0
		.amdhsa_exception_int_div_zero 0
	.end_amdhsa_kernel
	.section	.text._ZN7rocprim17ROCPRIM_400000_NS6detail17trampoline_kernelINS0_14default_configENS1_25partition_config_selectorILNS1_17partition_subalgoE9EllbEEZZNS1_14partition_implILS5_9ELb0ES3_jPlS8_PNS0_10empty_typeENS0_5tupleIJS8_S9_EEENSB_IJS8_SA_EEENS0_18inequality_wrapperIZN2at6native12_GLOBAL__N_124unique_dim_cuda_templateIN3c104HalfEEESt5tupleIJNSF_6TensorESM_SM_EERKSM_lbbbEUlllE0_EEPmJS9_EEE10hipError_tPvRmT3_T4_T5_T6_T7_T9_mT8_P12ihipStream_tbDpT10_ENKUlT_T0_E_clISt17integral_constantIbLb0EES1C_EEDaS17_S18_EUlS17_E_NS1_11comp_targetILNS1_3genE4ELNS1_11target_archE910ELNS1_3gpuE8ELNS1_3repE0EEENS1_30default_config_static_selectorELNS0_4arch9wavefront6targetE0EEEvT1_,"axG",@progbits,_ZN7rocprim17ROCPRIM_400000_NS6detail17trampoline_kernelINS0_14default_configENS1_25partition_config_selectorILNS1_17partition_subalgoE9EllbEEZZNS1_14partition_implILS5_9ELb0ES3_jPlS8_PNS0_10empty_typeENS0_5tupleIJS8_S9_EEENSB_IJS8_SA_EEENS0_18inequality_wrapperIZN2at6native12_GLOBAL__N_124unique_dim_cuda_templateIN3c104HalfEEESt5tupleIJNSF_6TensorESM_SM_EERKSM_lbbbEUlllE0_EEPmJS9_EEE10hipError_tPvRmT3_T4_T5_T6_T7_T9_mT8_P12ihipStream_tbDpT10_ENKUlT_T0_E_clISt17integral_constantIbLb0EES1C_EEDaS17_S18_EUlS17_E_NS1_11comp_targetILNS1_3genE4ELNS1_11target_archE910ELNS1_3gpuE8ELNS1_3repE0EEENS1_30default_config_static_selectorELNS0_4arch9wavefront6targetE0EEEvT1_,comdat
.Lfunc_end1329:
	.size	_ZN7rocprim17ROCPRIM_400000_NS6detail17trampoline_kernelINS0_14default_configENS1_25partition_config_selectorILNS1_17partition_subalgoE9EllbEEZZNS1_14partition_implILS5_9ELb0ES3_jPlS8_PNS0_10empty_typeENS0_5tupleIJS8_S9_EEENSB_IJS8_SA_EEENS0_18inequality_wrapperIZN2at6native12_GLOBAL__N_124unique_dim_cuda_templateIN3c104HalfEEESt5tupleIJNSF_6TensorESM_SM_EERKSM_lbbbEUlllE0_EEPmJS9_EEE10hipError_tPvRmT3_T4_T5_T6_T7_T9_mT8_P12ihipStream_tbDpT10_ENKUlT_T0_E_clISt17integral_constantIbLb0EES1C_EEDaS17_S18_EUlS17_E_NS1_11comp_targetILNS1_3genE4ELNS1_11target_archE910ELNS1_3gpuE8ELNS1_3repE0EEENS1_30default_config_static_selectorELNS0_4arch9wavefront6targetE0EEEvT1_, .Lfunc_end1329-_ZN7rocprim17ROCPRIM_400000_NS6detail17trampoline_kernelINS0_14default_configENS1_25partition_config_selectorILNS1_17partition_subalgoE9EllbEEZZNS1_14partition_implILS5_9ELb0ES3_jPlS8_PNS0_10empty_typeENS0_5tupleIJS8_S9_EEENSB_IJS8_SA_EEENS0_18inequality_wrapperIZN2at6native12_GLOBAL__N_124unique_dim_cuda_templateIN3c104HalfEEESt5tupleIJNSF_6TensorESM_SM_EERKSM_lbbbEUlllE0_EEPmJS9_EEE10hipError_tPvRmT3_T4_T5_T6_T7_T9_mT8_P12ihipStream_tbDpT10_ENKUlT_T0_E_clISt17integral_constantIbLb0EES1C_EEDaS17_S18_EUlS17_E_NS1_11comp_targetILNS1_3genE4ELNS1_11target_archE910ELNS1_3gpuE8ELNS1_3repE0EEENS1_30default_config_static_selectorELNS0_4arch9wavefront6targetE0EEEvT1_
                                        ; -- End function
	.section	.AMDGPU.csdata,"",@progbits
; Kernel info:
; codeLenInByte = 0
; NumSgprs: 0
; NumVgprs: 0
; ScratchSize: 0
; MemoryBound: 0
; FloatMode: 240
; IeeeMode: 1
; LDSByteSize: 0 bytes/workgroup (compile time only)
; SGPRBlocks: 0
; VGPRBlocks: 0
; NumSGPRsForWavesPerEU: 1
; NumVGPRsForWavesPerEU: 1
; Occupancy: 16
; WaveLimiterHint : 0
; COMPUTE_PGM_RSRC2:SCRATCH_EN: 0
; COMPUTE_PGM_RSRC2:USER_SGPR: 15
; COMPUTE_PGM_RSRC2:TRAP_HANDLER: 0
; COMPUTE_PGM_RSRC2:TGID_X_EN: 1
; COMPUTE_PGM_RSRC2:TGID_Y_EN: 0
; COMPUTE_PGM_RSRC2:TGID_Z_EN: 0
; COMPUTE_PGM_RSRC2:TIDIG_COMP_CNT: 0
	.section	.text._ZN7rocprim17ROCPRIM_400000_NS6detail17trampoline_kernelINS0_14default_configENS1_25partition_config_selectorILNS1_17partition_subalgoE9EllbEEZZNS1_14partition_implILS5_9ELb0ES3_jPlS8_PNS0_10empty_typeENS0_5tupleIJS8_S9_EEENSB_IJS8_SA_EEENS0_18inequality_wrapperIZN2at6native12_GLOBAL__N_124unique_dim_cuda_templateIN3c104HalfEEESt5tupleIJNSF_6TensorESM_SM_EERKSM_lbbbEUlllE0_EEPmJS9_EEE10hipError_tPvRmT3_T4_T5_T6_T7_T9_mT8_P12ihipStream_tbDpT10_ENKUlT_T0_E_clISt17integral_constantIbLb0EES1C_EEDaS17_S18_EUlS17_E_NS1_11comp_targetILNS1_3genE3ELNS1_11target_archE908ELNS1_3gpuE7ELNS1_3repE0EEENS1_30default_config_static_selectorELNS0_4arch9wavefront6targetE0EEEvT1_,"axG",@progbits,_ZN7rocprim17ROCPRIM_400000_NS6detail17trampoline_kernelINS0_14default_configENS1_25partition_config_selectorILNS1_17partition_subalgoE9EllbEEZZNS1_14partition_implILS5_9ELb0ES3_jPlS8_PNS0_10empty_typeENS0_5tupleIJS8_S9_EEENSB_IJS8_SA_EEENS0_18inequality_wrapperIZN2at6native12_GLOBAL__N_124unique_dim_cuda_templateIN3c104HalfEEESt5tupleIJNSF_6TensorESM_SM_EERKSM_lbbbEUlllE0_EEPmJS9_EEE10hipError_tPvRmT3_T4_T5_T6_T7_T9_mT8_P12ihipStream_tbDpT10_ENKUlT_T0_E_clISt17integral_constantIbLb0EES1C_EEDaS17_S18_EUlS17_E_NS1_11comp_targetILNS1_3genE3ELNS1_11target_archE908ELNS1_3gpuE7ELNS1_3repE0EEENS1_30default_config_static_selectorELNS0_4arch9wavefront6targetE0EEEvT1_,comdat
	.globl	_ZN7rocprim17ROCPRIM_400000_NS6detail17trampoline_kernelINS0_14default_configENS1_25partition_config_selectorILNS1_17partition_subalgoE9EllbEEZZNS1_14partition_implILS5_9ELb0ES3_jPlS8_PNS0_10empty_typeENS0_5tupleIJS8_S9_EEENSB_IJS8_SA_EEENS0_18inequality_wrapperIZN2at6native12_GLOBAL__N_124unique_dim_cuda_templateIN3c104HalfEEESt5tupleIJNSF_6TensorESM_SM_EERKSM_lbbbEUlllE0_EEPmJS9_EEE10hipError_tPvRmT3_T4_T5_T6_T7_T9_mT8_P12ihipStream_tbDpT10_ENKUlT_T0_E_clISt17integral_constantIbLb0EES1C_EEDaS17_S18_EUlS17_E_NS1_11comp_targetILNS1_3genE3ELNS1_11target_archE908ELNS1_3gpuE7ELNS1_3repE0EEENS1_30default_config_static_selectorELNS0_4arch9wavefront6targetE0EEEvT1_ ; -- Begin function _ZN7rocprim17ROCPRIM_400000_NS6detail17trampoline_kernelINS0_14default_configENS1_25partition_config_selectorILNS1_17partition_subalgoE9EllbEEZZNS1_14partition_implILS5_9ELb0ES3_jPlS8_PNS0_10empty_typeENS0_5tupleIJS8_S9_EEENSB_IJS8_SA_EEENS0_18inequality_wrapperIZN2at6native12_GLOBAL__N_124unique_dim_cuda_templateIN3c104HalfEEESt5tupleIJNSF_6TensorESM_SM_EERKSM_lbbbEUlllE0_EEPmJS9_EEE10hipError_tPvRmT3_T4_T5_T6_T7_T9_mT8_P12ihipStream_tbDpT10_ENKUlT_T0_E_clISt17integral_constantIbLb0EES1C_EEDaS17_S18_EUlS17_E_NS1_11comp_targetILNS1_3genE3ELNS1_11target_archE908ELNS1_3gpuE7ELNS1_3repE0EEENS1_30default_config_static_selectorELNS0_4arch9wavefront6targetE0EEEvT1_
	.p2align	8
	.type	_ZN7rocprim17ROCPRIM_400000_NS6detail17trampoline_kernelINS0_14default_configENS1_25partition_config_selectorILNS1_17partition_subalgoE9EllbEEZZNS1_14partition_implILS5_9ELb0ES3_jPlS8_PNS0_10empty_typeENS0_5tupleIJS8_S9_EEENSB_IJS8_SA_EEENS0_18inequality_wrapperIZN2at6native12_GLOBAL__N_124unique_dim_cuda_templateIN3c104HalfEEESt5tupleIJNSF_6TensorESM_SM_EERKSM_lbbbEUlllE0_EEPmJS9_EEE10hipError_tPvRmT3_T4_T5_T6_T7_T9_mT8_P12ihipStream_tbDpT10_ENKUlT_T0_E_clISt17integral_constantIbLb0EES1C_EEDaS17_S18_EUlS17_E_NS1_11comp_targetILNS1_3genE3ELNS1_11target_archE908ELNS1_3gpuE7ELNS1_3repE0EEENS1_30default_config_static_selectorELNS0_4arch9wavefront6targetE0EEEvT1_,@function
_ZN7rocprim17ROCPRIM_400000_NS6detail17trampoline_kernelINS0_14default_configENS1_25partition_config_selectorILNS1_17partition_subalgoE9EllbEEZZNS1_14partition_implILS5_9ELb0ES3_jPlS8_PNS0_10empty_typeENS0_5tupleIJS8_S9_EEENSB_IJS8_SA_EEENS0_18inequality_wrapperIZN2at6native12_GLOBAL__N_124unique_dim_cuda_templateIN3c104HalfEEESt5tupleIJNSF_6TensorESM_SM_EERKSM_lbbbEUlllE0_EEPmJS9_EEE10hipError_tPvRmT3_T4_T5_T6_T7_T9_mT8_P12ihipStream_tbDpT10_ENKUlT_T0_E_clISt17integral_constantIbLb0EES1C_EEDaS17_S18_EUlS17_E_NS1_11comp_targetILNS1_3genE3ELNS1_11target_archE908ELNS1_3gpuE7ELNS1_3repE0EEENS1_30default_config_static_selectorELNS0_4arch9wavefront6targetE0EEEvT1_: ; @_ZN7rocprim17ROCPRIM_400000_NS6detail17trampoline_kernelINS0_14default_configENS1_25partition_config_selectorILNS1_17partition_subalgoE9EllbEEZZNS1_14partition_implILS5_9ELb0ES3_jPlS8_PNS0_10empty_typeENS0_5tupleIJS8_S9_EEENSB_IJS8_SA_EEENS0_18inequality_wrapperIZN2at6native12_GLOBAL__N_124unique_dim_cuda_templateIN3c104HalfEEESt5tupleIJNSF_6TensorESM_SM_EERKSM_lbbbEUlllE0_EEPmJS9_EEE10hipError_tPvRmT3_T4_T5_T6_T7_T9_mT8_P12ihipStream_tbDpT10_ENKUlT_T0_E_clISt17integral_constantIbLb0EES1C_EEDaS17_S18_EUlS17_E_NS1_11comp_targetILNS1_3genE3ELNS1_11target_archE908ELNS1_3gpuE7ELNS1_3repE0EEENS1_30default_config_static_selectorELNS0_4arch9wavefront6targetE0EEEvT1_
; %bb.0:
	.section	.rodata,"a",@progbits
	.p2align	6, 0x0
	.amdhsa_kernel _ZN7rocprim17ROCPRIM_400000_NS6detail17trampoline_kernelINS0_14default_configENS1_25partition_config_selectorILNS1_17partition_subalgoE9EllbEEZZNS1_14partition_implILS5_9ELb0ES3_jPlS8_PNS0_10empty_typeENS0_5tupleIJS8_S9_EEENSB_IJS8_SA_EEENS0_18inequality_wrapperIZN2at6native12_GLOBAL__N_124unique_dim_cuda_templateIN3c104HalfEEESt5tupleIJNSF_6TensorESM_SM_EERKSM_lbbbEUlllE0_EEPmJS9_EEE10hipError_tPvRmT3_T4_T5_T6_T7_T9_mT8_P12ihipStream_tbDpT10_ENKUlT_T0_E_clISt17integral_constantIbLb0EES1C_EEDaS17_S18_EUlS17_E_NS1_11comp_targetILNS1_3genE3ELNS1_11target_archE908ELNS1_3gpuE7ELNS1_3repE0EEENS1_30default_config_static_selectorELNS0_4arch9wavefront6targetE0EEEvT1_
		.amdhsa_group_segment_fixed_size 0
		.amdhsa_private_segment_fixed_size 0
		.amdhsa_kernarg_size 120
		.amdhsa_user_sgpr_count 15
		.amdhsa_user_sgpr_dispatch_ptr 0
		.amdhsa_user_sgpr_queue_ptr 0
		.amdhsa_user_sgpr_kernarg_segment_ptr 1
		.amdhsa_user_sgpr_dispatch_id 0
		.amdhsa_user_sgpr_private_segment_size 0
		.amdhsa_wavefront_size32 1
		.amdhsa_uses_dynamic_stack 0
		.amdhsa_enable_private_segment 0
		.amdhsa_system_sgpr_workgroup_id_x 1
		.amdhsa_system_sgpr_workgroup_id_y 0
		.amdhsa_system_sgpr_workgroup_id_z 0
		.amdhsa_system_sgpr_workgroup_info 0
		.amdhsa_system_vgpr_workitem_id 0
		.amdhsa_next_free_vgpr 1
		.amdhsa_next_free_sgpr 1
		.amdhsa_reserve_vcc 0
		.amdhsa_float_round_mode_32 0
		.amdhsa_float_round_mode_16_64 0
		.amdhsa_float_denorm_mode_32 3
		.amdhsa_float_denorm_mode_16_64 3
		.amdhsa_dx10_clamp 1
		.amdhsa_ieee_mode 1
		.amdhsa_fp16_overflow 0
		.amdhsa_workgroup_processor_mode 1
		.amdhsa_memory_ordered 1
		.amdhsa_forward_progress 0
		.amdhsa_shared_vgpr_count 0
		.amdhsa_exception_fp_ieee_invalid_op 0
		.amdhsa_exception_fp_denorm_src 0
		.amdhsa_exception_fp_ieee_div_zero 0
		.amdhsa_exception_fp_ieee_overflow 0
		.amdhsa_exception_fp_ieee_underflow 0
		.amdhsa_exception_fp_ieee_inexact 0
		.amdhsa_exception_int_div_zero 0
	.end_amdhsa_kernel
	.section	.text._ZN7rocprim17ROCPRIM_400000_NS6detail17trampoline_kernelINS0_14default_configENS1_25partition_config_selectorILNS1_17partition_subalgoE9EllbEEZZNS1_14partition_implILS5_9ELb0ES3_jPlS8_PNS0_10empty_typeENS0_5tupleIJS8_S9_EEENSB_IJS8_SA_EEENS0_18inequality_wrapperIZN2at6native12_GLOBAL__N_124unique_dim_cuda_templateIN3c104HalfEEESt5tupleIJNSF_6TensorESM_SM_EERKSM_lbbbEUlllE0_EEPmJS9_EEE10hipError_tPvRmT3_T4_T5_T6_T7_T9_mT8_P12ihipStream_tbDpT10_ENKUlT_T0_E_clISt17integral_constantIbLb0EES1C_EEDaS17_S18_EUlS17_E_NS1_11comp_targetILNS1_3genE3ELNS1_11target_archE908ELNS1_3gpuE7ELNS1_3repE0EEENS1_30default_config_static_selectorELNS0_4arch9wavefront6targetE0EEEvT1_,"axG",@progbits,_ZN7rocprim17ROCPRIM_400000_NS6detail17trampoline_kernelINS0_14default_configENS1_25partition_config_selectorILNS1_17partition_subalgoE9EllbEEZZNS1_14partition_implILS5_9ELb0ES3_jPlS8_PNS0_10empty_typeENS0_5tupleIJS8_S9_EEENSB_IJS8_SA_EEENS0_18inequality_wrapperIZN2at6native12_GLOBAL__N_124unique_dim_cuda_templateIN3c104HalfEEESt5tupleIJNSF_6TensorESM_SM_EERKSM_lbbbEUlllE0_EEPmJS9_EEE10hipError_tPvRmT3_T4_T5_T6_T7_T9_mT8_P12ihipStream_tbDpT10_ENKUlT_T0_E_clISt17integral_constantIbLb0EES1C_EEDaS17_S18_EUlS17_E_NS1_11comp_targetILNS1_3genE3ELNS1_11target_archE908ELNS1_3gpuE7ELNS1_3repE0EEENS1_30default_config_static_selectorELNS0_4arch9wavefront6targetE0EEEvT1_,comdat
.Lfunc_end1330:
	.size	_ZN7rocprim17ROCPRIM_400000_NS6detail17trampoline_kernelINS0_14default_configENS1_25partition_config_selectorILNS1_17partition_subalgoE9EllbEEZZNS1_14partition_implILS5_9ELb0ES3_jPlS8_PNS0_10empty_typeENS0_5tupleIJS8_S9_EEENSB_IJS8_SA_EEENS0_18inequality_wrapperIZN2at6native12_GLOBAL__N_124unique_dim_cuda_templateIN3c104HalfEEESt5tupleIJNSF_6TensorESM_SM_EERKSM_lbbbEUlllE0_EEPmJS9_EEE10hipError_tPvRmT3_T4_T5_T6_T7_T9_mT8_P12ihipStream_tbDpT10_ENKUlT_T0_E_clISt17integral_constantIbLb0EES1C_EEDaS17_S18_EUlS17_E_NS1_11comp_targetILNS1_3genE3ELNS1_11target_archE908ELNS1_3gpuE7ELNS1_3repE0EEENS1_30default_config_static_selectorELNS0_4arch9wavefront6targetE0EEEvT1_, .Lfunc_end1330-_ZN7rocprim17ROCPRIM_400000_NS6detail17trampoline_kernelINS0_14default_configENS1_25partition_config_selectorILNS1_17partition_subalgoE9EllbEEZZNS1_14partition_implILS5_9ELb0ES3_jPlS8_PNS0_10empty_typeENS0_5tupleIJS8_S9_EEENSB_IJS8_SA_EEENS0_18inequality_wrapperIZN2at6native12_GLOBAL__N_124unique_dim_cuda_templateIN3c104HalfEEESt5tupleIJNSF_6TensorESM_SM_EERKSM_lbbbEUlllE0_EEPmJS9_EEE10hipError_tPvRmT3_T4_T5_T6_T7_T9_mT8_P12ihipStream_tbDpT10_ENKUlT_T0_E_clISt17integral_constantIbLb0EES1C_EEDaS17_S18_EUlS17_E_NS1_11comp_targetILNS1_3genE3ELNS1_11target_archE908ELNS1_3gpuE7ELNS1_3repE0EEENS1_30default_config_static_selectorELNS0_4arch9wavefront6targetE0EEEvT1_
                                        ; -- End function
	.section	.AMDGPU.csdata,"",@progbits
; Kernel info:
; codeLenInByte = 0
; NumSgprs: 0
; NumVgprs: 0
; ScratchSize: 0
; MemoryBound: 0
; FloatMode: 240
; IeeeMode: 1
; LDSByteSize: 0 bytes/workgroup (compile time only)
; SGPRBlocks: 0
; VGPRBlocks: 0
; NumSGPRsForWavesPerEU: 1
; NumVGPRsForWavesPerEU: 1
; Occupancy: 16
; WaveLimiterHint : 0
; COMPUTE_PGM_RSRC2:SCRATCH_EN: 0
; COMPUTE_PGM_RSRC2:USER_SGPR: 15
; COMPUTE_PGM_RSRC2:TRAP_HANDLER: 0
; COMPUTE_PGM_RSRC2:TGID_X_EN: 1
; COMPUTE_PGM_RSRC2:TGID_Y_EN: 0
; COMPUTE_PGM_RSRC2:TGID_Z_EN: 0
; COMPUTE_PGM_RSRC2:TIDIG_COMP_CNT: 0
	.section	.text._ZN7rocprim17ROCPRIM_400000_NS6detail17trampoline_kernelINS0_14default_configENS1_25partition_config_selectorILNS1_17partition_subalgoE9EllbEEZZNS1_14partition_implILS5_9ELb0ES3_jPlS8_PNS0_10empty_typeENS0_5tupleIJS8_S9_EEENSB_IJS8_SA_EEENS0_18inequality_wrapperIZN2at6native12_GLOBAL__N_124unique_dim_cuda_templateIN3c104HalfEEESt5tupleIJNSF_6TensorESM_SM_EERKSM_lbbbEUlllE0_EEPmJS9_EEE10hipError_tPvRmT3_T4_T5_T6_T7_T9_mT8_P12ihipStream_tbDpT10_ENKUlT_T0_E_clISt17integral_constantIbLb0EES1C_EEDaS17_S18_EUlS17_E_NS1_11comp_targetILNS1_3genE2ELNS1_11target_archE906ELNS1_3gpuE6ELNS1_3repE0EEENS1_30default_config_static_selectorELNS0_4arch9wavefront6targetE0EEEvT1_,"axG",@progbits,_ZN7rocprim17ROCPRIM_400000_NS6detail17trampoline_kernelINS0_14default_configENS1_25partition_config_selectorILNS1_17partition_subalgoE9EllbEEZZNS1_14partition_implILS5_9ELb0ES3_jPlS8_PNS0_10empty_typeENS0_5tupleIJS8_S9_EEENSB_IJS8_SA_EEENS0_18inequality_wrapperIZN2at6native12_GLOBAL__N_124unique_dim_cuda_templateIN3c104HalfEEESt5tupleIJNSF_6TensorESM_SM_EERKSM_lbbbEUlllE0_EEPmJS9_EEE10hipError_tPvRmT3_T4_T5_T6_T7_T9_mT8_P12ihipStream_tbDpT10_ENKUlT_T0_E_clISt17integral_constantIbLb0EES1C_EEDaS17_S18_EUlS17_E_NS1_11comp_targetILNS1_3genE2ELNS1_11target_archE906ELNS1_3gpuE6ELNS1_3repE0EEENS1_30default_config_static_selectorELNS0_4arch9wavefront6targetE0EEEvT1_,comdat
	.globl	_ZN7rocprim17ROCPRIM_400000_NS6detail17trampoline_kernelINS0_14default_configENS1_25partition_config_selectorILNS1_17partition_subalgoE9EllbEEZZNS1_14partition_implILS5_9ELb0ES3_jPlS8_PNS0_10empty_typeENS0_5tupleIJS8_S9_EEENSB_IJS8_SA_EEENS0_18inequality_wrapperIZN2at6native12_GLOBAL__N_124unique_dim_cuda_templateIN3c104HalfEEESt5tupleIJNSF_6TensorESM_SM_EERKSM_lbbbEUlllE0_EEPmJS9_EEE10hipError_tPvRmT3_T4_T5_T6_T7_T9_mT8_P12ihipStream_tbDpT10_ENKUlT_T0_E_clISt17integral_constantIbLb0EES1C_EEDaS17_S18_EUlS17_E_NS1_11comp_targetILNS1_3genE2ELNS1_11target_archE906ELNS1_3gpuE6ELNS1_3repE0EEENS1_30default_config_static_selectorELNS0_4arch9wavefront6targetE0EEEvT1_ ; -- Begin function _ZN7rocprim17ROCPRIM_400000_NS6detail17trampoline_kernelINS0_14default_configENS1_25partition_config_selectorILNS1_17partition_subalgoE9EllbEEZZNS1_14partition_implILS5_9ELb0ES3_jPlS8_PNS0_10empty_typeENS0_5tupleIJS8_S9_EEENSB_IJS8_SA_EEENS0_18inequality_wrapperIZN2at6native12_GLOBAL__N_124unique_dim_cuda_templateIN3c104HalfEEESt5tupleIJNSF_6TensorESM_SM_EERKSM_lbbbEUlllE0_EEPmJS9_EEE10hipError_tPvRmT3_T4_T5_T6_T7_T9_mT8_P12ihipStream_tbDpT10_ENKUlT_T0_E_clISt17integral_constantIbLb0EES1C_EEDaS17_S18_EUlS17_E_NS1_11comp_targetILNS1_3genE2ELNS1_11target_archE906ELNS1_3gpuE6ELNS1_3repE0EEENS1_30default_config_static_selectorELNS0_4arch9wavefront6targetE0EEEvT1_
	.p2align	8
	.type	_ZN7rocprim17ROCPRIM_400000_NS6detail17trampoline_kernelINS0_14default_configENS1_25partition_config_selectorILNS1_17partition_subalgoE9EllbEEZZNS1_14partition_implILS5_9ELb0ES3_jPlS8_PNS0_10empty_typeENS0_5tupleIJS8_S9_EEENSB_IJS8_SA_EEENS0_18inequality_wrapperIZN2at6native12_GLOBAL__N_124unique_dim_cuda_templateIN3c104HalfEEESt5tupleIJNSF_6TensorESM_SM_EERKSM_lbbbEUlllE0_EEPmJS9_EEE10hipError_tPvRmT3_T4_T5_T6_T7_T9_mT8_P12ihipStream_tbDpT10_ENKUlT_T0_E_clISt17integral_constantIbLb0EES1C_EEDaS17_S18_EUlS17_E_NS1_11comp_targetILNS1_3genE2ELNS1_11target_archE906ELNS1_3gpuE6ELNS1_3repE0EEENS1_30default_config_static_selectorELNS0_4arch9wavefront6targetE0EEEvT1_,@function
_ZN7rocprim17ROCPRIM_400000_NS6detail17trampoline_kernelINS0_14default_configENS1_25partition_config_selectorILNS1_17partition_subalgoE9EllbEEZZNS1_14partition_implILS5_9ELb0ES3_jPlS8_PNS0_10empty_typeENS0_5tupleIJS8_S9_EEENSB_IJS8_SA_EEENS0_18inequality_wrapperIZN2at6native12_GLOBAL__N_124unique_dim_cuda_templateIN3c104HalfEEESt5tupleIJNSF_6TensorESM_SM_EERKSM_lbbbEUlllE0_EEPmJS9_EEE10hipError_tPvRmT3_T4_T5_T6_T7_T9_mT8_P12ihipStream_tbDpT10_ENKUlT_T0_E_clISt17integral_constantIbLb0EES1C_EEDaS17_S18_EUlS17_E_NS1_11comp_targetILNS1_3genE2ELNS1_11target_archE906ELNS1_3gpuE6ELNS1_3repE0EEENS1_30default_config_static_selectorELNS0_4arch9wavefront6targetE0EEEvT1_: ; @_ZN7rocprim17ROCPRIM_400000_NS6detail17trampoline_kernelINS0_14default_configENS1_25partition_config_selectorILNS1_17partition_subalgoE9EllbEEZZNS1_14partition_implILS5_9ELb0ES3_jPlS8_PNS0_10empty_typeENS0_5tupleIJS8_S9_EEENSB_IJS8_SA_EEENS0_18inequality_wrapperIZN2at6native12_GLOBAL__N_124unique_dim_cuda_templateIN3c104HalfEEESt5tupleIJNSF_6TensorESM_SM_EERKSM_lbbbEUlllE0_EEPmJS9_EEE10hipError_tPvRmT3_T4_T5_T6_T7_T9_mT8_P12ihipStream_tbDpT10_ENKUlT_T0_E_clISt17integral_constantIbLb0EES1C_EEDaS17_S18_EUlS17_E_NS1_11comp_targetILNS1_3genE2ELNS1_11target_archE906ELNS1_3gpuE6ELNS1_3repE0EEENS1_30default_config_static_selectorELNS0_4arch9wavefront6targetE0EEEvT1_
; %bb.0:
	.section	.rodata,"a",@progbits
	.p2align	6, 0x0
	.amdhsa_kernel _ZN7rocprim17ROCPRIM_400000_NS6detail17trampoline_kernelINS0_14default_configENS1_25partition_config_selectorILNS1_17partition_subalgoE9EllbEEZZNS1_14partition_implILS5_9ELb0ES3_jPlS8_PNS0_10empty_typeENS0_5tupleIJS8_S9_EEENSB_IJS8_SA_EEENS0_18inequality_wrapperIZN2at6native12_GLOBAL__N_124unique_dim_cuda_templateIN3c104HalfEEESt5tupleIJNSF_6TensorESM_SM_EERKSM_lbbbEUlllE0_EEPmJS9_EEE10hipError_tPvRmT3_T4_T5_T6_T7_T9_mT8_P12ihipStream_tbDpT10_ENKUlT_T0_E_clISt17integral_constantIbLb0EES1C_EEDaS17_S18_EUlS17_E_NS1_11comp_targetILNS1_3genE2ELNS1_11target_archE906ELNS1_3gpuE6ELNS1_3repE0EEENS1_30default_config_static_selectorELNS0_4arch9wavefront6targetE0EEEvT1_
		.amdhsa_group_segment_fixed_size 0
		.amdhsa_private_segment_fixed_size 0
		.amdhsa_kernarg_size 120
		.amdhsa_user_sgpr_count 15
		.amdhsa_user_sgpr_dispatch_ptr 0
		.amdhsa_user_sgpr_queue_ptr 0
		.amdhsa_user_sgpr_kernarg_segment_ptr 1
		.amdhsa_user_sgpr_dispatch_id 0
		.amdhsa_user_sgpr_private_segment_size 0
		.amdhsa_wavefront_size32 1
		.amdhsa_uses_dynamic_stack 0
		.amdhsa_enable_private_segment 0
		.amdhsa_system_sgpr_workgroup_id_x 1
		.amdhsa_system_sgpr_workgroup_id_y 0
		.amdhsa_system_sgpr_workgroup_id_z 0
		.amdhsa_system_sgpr_workgroup_info 0
		.amdhsa_system_vgpr_workitem_id 0
		.amdhsa_next_free_vgpr 1
		.amdhsa_next_free_sgpr 1
		.amdhsa_reserve_vcc 0
		.amdhsa_float_round_mode_32 0
		.amdhsa_float_round_mode_16_64 0
		.amdhsa_float_denorm_mode_32 3
		.amdhsa_float_denorm_mode_16_64 3
		.amdhsa_dx10_clamp 1
		.amdhsa_ieee_mode 1
		.amdhsa_fp16_overflow 0
		.amdhsa_workgroup_processor_mode 1
		.amdhsa_memory_ordered 1
		.amdhsa_forward_progress 0
		.amdhsa_shared_vgpr_count 0
		.amdhsa_exception_fp_ieee_invalid_op 0
		.amdhsa_exception_fp_denorm_src 0
		.amdhsa_exception_fp_ieee_div_zero 0
		.amdhsa_exception_fp_ieee_overflow 0
		.amdhsa_exception_fp_ieee_underflow 0
		.amdhsa_exception_fp_ieee_inexact 0
		.amdhsa_exception_int_div_zero 0
	.end_amdhsa_kernel
	.section	.text._ZN7rocprim17ROCPRIM_400000_NS6detail17trampoline_kernelINS0_14default_configENS1_25partition_config_selectorILNS1_17partition_subalgoE9EllbEEZZNS1_14partition_implILS5_9ELb0ES3_jPlS8_PNS0_10empty_typeENS0_5tupleIJS8_S9_EEENSB_IJS8_SA_EEENS0_18inequality_wrapperIZN2at6native12_GLOBAL__N_124unique_dim_cuda_templateIN3c104HalfEEESt5tupleIJNSF_6TensorESM_SM_EERKSM_lbbbEUlllE0_EEPmJS9_EEE10hipError_tPvRmT3_T4_T5_T6_T7_T9_mT8_P12ihipStream_tbDpT10_ENKUlT_T0_E_clISt17integral_constantIbLb0EES1C_EEDaS17_S18_EUlS17_E_NS1_11comp_targetILNS1_3genE2ELNS1_11target_archE906ELNS1_3gpuE6ELNS1_3repE0EEENS1_30default_config_static_selectorELNS0_4arch9wavefront6targetE0EEEvT1_,"axG",@progbits,_ZN7rocprim17ROCPRIM_400000_NS6detail17trampoline_kernelINS0_14default_configENS1_25partition_config_selectorILNS1_17partition_subalgoE9EllbEEZZNS1_14partition_implILS5_9ELb0ES3_jPlS8_PNS0_10empty_typeENS0_5tupleIJS8_S9_EEENSB_IJS8_SA_EEENS0_18inequality_wrapperIZN2at6native12_GLOBAL__N_124unique_dim_cuda_templateIN3c104HalfEEESt5tupleIJNSF_6TensorESM_SM_EERKSM_lbbbEUlllE0_EEPmJS9_EEE10hipError_tPvRmT3_T4_T5_T6_T7_T9_mT8_P12ihipStream_tbDpT10_ENKUlT_T0_E_clISt17integral_constantIbLb0EES1C_EEDaS17_S18_EUlS17_E_NS1_11comp_targetILNS1_3genE2ELNS1_11target_archE906ELNS1_3gpuE6ELNS1_3repE0EEENS1_30default_config_static_selectorELNS0_4arch9wavefront6targetE0EEEvT1_,comdat
.Lfunc_end1331:
	.size	_ZN7rocprim17ROCPRIM_400000_NS6detail17trampoline_kernelINS0_14default_configENS1_25partition_config_selectorILNS1_17partition_subalgoE9EllbEEZZNS1_14partition_implILS5_9ELb0ES3_jPlS8_PNS0_10empty_typeENS0_5tupleIJS8_S9_EEENSB_IJS8_SA_EEENS0_18inequality_wrapperIZN2at6native12_GLOBAL__N_124unique_dim_cuda_templateIN3c104HalfEEESt5tupleIJNSF_6TensorESM_SM_EERKSM_lbbbEUlllE0_EEPmJS9_EEE10hipError_tPvRmT3_T4_T5_T6_T7_T9_mT8_P12ihipStream_tbDpT10_ENKUlT_T0_E_clISt17integral_constantIbLb0EES1C_EEDaS17_S18_EUlS17_E_NS1_11comp_targetILNS1_3genE2ELNS1_11target_archE906ELNS1_3gpuE6ELNS1_3repE0EEENS1_30default_config_static_selectorELNS0_4arch9wavefront6targetE0EEEvT1_, .Lfunc_end1331-_ZN7rocprim17ROCPRIM_400000_NS6detail17trampoline_kernelINS0_14default_configENS1_25partition_config_selectorILNS1_17partition_subalgoE9EllbEEZZNS1_14partition_implILS5_9ELb0ES3_jPlS8_PNS0_10empty_typeENS0_5tupleIJS8_S9_EEENSB_IJS8_SA_EEENS0_18inequality_wrapperIZN2at6native12_GLOBAL__N_124unique_dim_cuda_templateIN3c104HalfEEESt5tupleIJNSF_6TensorESM_SM_EERKSM_lbbbEUlllE0_EEPmJS9_EEE10hipError_tPvRmT3_T4_T5_T6_T7_T9_mT8_P12ihipStream_tbDpT10_ENKUlT_T0_E_clISt17integral_constantIbLb0EES1C_EEDaS17_S18_EUlS17_E_NS1_11comp_targetILNS1_3genE2ELNS1_11target_archE906ELNS1_3gpuE6ELNS1_3repE0EEENS1_30default_config_static_selectorELNS0_4arch9wavefront6targetE0EEEvT1_
                                        ; -- End function
	.section	.AMDGPU.csdata,"",@progbits
; Kernel info:
; codeLenInByte = 0
; NumSgprs: 0
; NumVgprs: 0
; ScratchSize: 0
; MemoryBound: 0
; FloatMode: 240
; IeeeMode: 1
; LDSByteSize: 0 bytes/workgroup (compile time only)
; SGPRBlocks: 0
; VGPRBlocks: 0
; NumSGPRsForWavesPerEU: 1
; NumVGPRsForWavesPerEU: 1
; Occupancy: 15
; WaveLimiterHint : 0
; COMPUTE_PGM_RSRC2:SCRATCH_EN: 0
; COMPUTE_PGM_RSRC2:USER_SGPR: 15
; COMPUTE_PGM_RSRC2:TRAP_HANDLER: 0
; COMPUTE_PGM_RSRC2:TGID_X_EN: 1
; COMPUTE_PGM_RSRC2:TGID_Y_EN: 0
; COMPUTE_PGM_RSRC2:TGID_Z_EN: 0
; COMPUTE_PGM_RSRC2:TIDIG_COMP_CNT: 0
	.section	.text._ZN7rocprim17ROCPRIM_400000_NS6detail17trampoline_kernelINS0_14default_configENS1_25partition_config_selectorILNS1_17partition_subalgoE9EllbEEZZNS1_14partition_implILS5_9ELb0ES3_jPlS8_PNS0_10empty_typeENS0_5tupleIJS8_S9_EEENSB_IJS8_SA_EEENS0_18inequality_wrapperIZN2at6native12_GLOBAL__N_124unique_dim_cuda_templateIN3c104HalfEEESt5tupleIJNSF_6TensorESM_SM_EERKSM_lbbbEUlllE0_EEPmJS9_EEE10hipError_tPvRmT3_T4_T5_T6_T7_T9_mT8_P12ihipStream_tbDpT10_ENKUlT_T0_E_clISt17integral_constantIbLb0EES1C_EEDaS17_S18_EUlS17_E_NS1_11comp_targetILNS1_3genE10ELNS1_11target_archE1200ELNS1_3gpuE4ELNS1_3repE0EEENS1_30default_config_static_selectorELNS0_4arch9wavefront6targetE0EEEvT1_,"axG",@progbits,_ZN7rocprim17ROCPRIM_400000_NS6detail17trampoline_kernelINS0_14default_configENS1_25partition_config_selectorILNS1_17partition_subalgoE9EllbEEZZNS1_14partition_implILS5_9ELb0ES3_jPlS8_PNS0_10empty_typeENS0_5tupleIJS8_S9_EEENSB_IJS8_SA_EEENS0_18inequality_wrapperIZN2at6native12_GLOBAL__N_124unique_dim_cuda_templateIN3c104HalfEEESt5tupleIJNSF_6TensorESM_SM_EERKSM_lbbbEUlllE0_EEPmJS9_EEE10hipError_tPvRmT3_T4_T5_T6_T7_T9_mT8_P12ihipStream_tbDpT10_ENKUlT_T0_E_clISt17integral_constantIbLb0EES1C_EEDaS17_S18_EUlS17_E_NS1_11comp_targetILNS1_3genE10ELNS1_11target_archE1200ELNS1_3gpuE4ELNS1_3repE0EEENS1_30default_config_static_selectorELNS0_4arch9wavefront6targetE0EEEvT1_,comdat
	.globl	_ZN7rocprim17ROCPRIM_400000_NS6detail17trampoline_kernelINS0_14default_configENS1_25partition_config_selectorILNS1_17partition_subalgoE9EllbEEZZNS1_14partition_implILS5_9ELb0ES3_jPlS8_PNS0_10empty_typeENS0_5tupleIJS8_S9_EEENSB_IJS8_SA_EEENS0_18inequality_wrapperIZN2at6native12_GLOBAL__N_124unique_dim_cuda_templateIN3c104HalfEEESt5tupleIJNSF_6TensorESM_SM_EERKSM_lbbbEUlllE0_EEPmJS9_EEE10hipError_tPvRmT3_T4_T5_T6_T7_T9_mT8_P12ihipStream_tbDpT10_ENKUlT_T0_E_clISt17integral_constantIbLb0EES1C_EEDaS17_S18_EUlS17_E_NS1_11comp_targetILNS1_3genE10ELNS1_11target_archE1200ELNS1_3gpuE4ELNS1_3repE0EEENS1_30default_config_static_selectorELNS0_4arch9wavefront6targetE0EEEvT1_ ; -- Begin function _ZN7rocprim17ROCPRIM_400000_NS6detail17trampoline_kernelINS0_14default_configENS1_25partition_config_selectorILNS1_17partition_subalgoE9EllbEEZZNS1_14partition_implILS5_9ELb0ES3_jPlS8_PNS0_10empty_typeENS0_5tupleIJS8_S9_EEENSB_IJS8_SA_EEENS0_18inequality_wrapperIZN2at6native12_GLOBAL__N_124unique_dim_cuda_templateIN3c104HalfEEESt5tupleIJNSF_6TensorESM_SM_EERKSM_lbbbEUlllE0_EEPmJS9_EEE10hipError_tPvRmT3_T4_T5_T6_T7_T9_mT8_P12ihipStream_tbDpT10_ENKUlT_T0_E_clISt17integral_constantIbLb0EES1C_EEDaS17_S18_EUlS17_E_NS1_11comp_targetILNS1_3genE10ELNS1_11target_archE1200ELNS1_3gpuE4ELNS1_3repE0EEENS1_30default_config_static_selectorELNS0_4arch9wavefront6targetE0EEEvT1_
	.p2align	8
	.type	_ZN7rocprim17ROCPRIM_400000_NS6detail17trampoline_kernelINS0_14default_configENS1_25partition_config_selectorILNS1_17partition_subalgoE9EllbEEZZNS1_14partition_implILS5_9ELb0ES3_jPlS8_PNS0_10empty_typeENS0_5tupleIJS8_S9_EEENSB_IJS8_SA_EEENS0_18inequality_wrapperIZN2at6native12_GLOBAL__N_124unique_dim_cuda_templateIN3c104HalfEEESt5tupleIJNSF_6TensorESM_SM_EERKSM_lbbbEUlllE0_EEPmJS9_EEE10hipError_tPvRmT3_T4_T5_T6_T7_T9_mT8_P12ihipStream_tbDpT10_ENKUlT_T0_E_clISt17integral_constantIbLb0EES1C_EEDaS17_S18_EUlS17_E_NS1_11comp_targetILNS1_3genE10ELNS1_11target_archE1200ELNS1_3gpuE4ELNS1_3repE0EEENS1_30default_config_static_selectorELNS0_4arch9wavefront6targetE0EEEvT1_,@function
_ZN7rocprim17ROCPRIM_400000_NS6detail17trampoline_kernelINS0_14default_configENS1_25partition_config_selectorILNS1_17partition_subalgoE9EllbEEZZNS1_14partition_implILS5_9ELb0ES3_jPlS8_PNS0_10empty_typeENS0_5tupleIJS8_S9_EEENSB_IJS8_SA_EEENS0_18inequality_wrapperIZN2at6native12_GLOBAL__N_124unique_dim_cuda_templateIN3c104HalfEEESt5tupleIJNSF_6TensorESM_SM_EERKSM_lbbbEUlllE0_EEPmJS9_EEE10hipError_tPvRmT3_T4_T5_T6_T7_T9_mT8_P12ihipStream_tbDpT10_ENKUlT_T0_E_clISt17integral_constantIbLb0EES1C_EEDaS17_S18_EUlS17_E_NS1_11comp_targetILNS1_3genE10ELNS1_11target_archE1200ELNS1_3gpuE4ELNS1_3repE0EEENS1_30default_config_static_selectorELNS0_4arch9wavefront6targetE0EEEvT1_: ; @_ZN7rocprim17ROCPRIM_400000_NS6detail17trampoline_kernelINS0_14default_configENS1_25partition_config_selectorILNS1_17partition_subalgoE9EllbEEZZNS1_14partition_implILS5_9ELb0ES3_jPlS8_PNS0_10empty_typeENS0_5tupleIJS8_S9_EEENSB_IJS8_SA_EEENS0_18inequality_wrapperIZN2at6native12_GLOBAL__N_124unique_dim_cuda_templateIN3c104HalfEEESt5tupleIJNSF_6TensorESM_SM_EERKSM_lbbbEUlllE0_EEPmJS9_EEE10hipError_tPvRmT3_T4_T5_T6_T7_T9_mT8_P12ihipStream_tbDpT10_ENKUlT_T0_E_clISt17integral_constantIbLb0EES1C_EEDaS17_S18_EUlS17_E_NS1_11comp_targetILNS1_3genE10ELNS1_11target_archE1200ELNS1_3gpuE4ELNS1_3repE0EEENS1_30default_config_static_selectorELNS0_4arch9wavefront6targetE0EEEvT1_
; %bb.0:
	.section	.rodata,"a",@progbits
	.p2align	6, 0x0
	.amdhsa_kernel _ZN7rocprim17ROCPRIM_400000_NS6detail17trampoline_kernelINS0_14default_configENS1_25partition_config_selectorILNS1_17partition_subalgoE9EllbEEZZNS1_14partition_implILS5_9ELb0ES3_jPlS8_PNS0_10empty_typeENS0_5tupleIJS8_S9_EEENSB_IJS8_SA_EEENS0_18inequality_wrapperIZN2at6native12_GLOBAL__N_124unique_dim_cuda_templateIN3c104HalfEEESt5tupleIJNSF_6TensorESM_SM_EERKSM_lbbbEUlllE0_EEPmJS9_EEE10hipError_tPvRmT3_T4_T5_T6_T7_T9_mT8_P12ihipStream_tbDpT10_ENKUlT_T0_E_clISt17integral_constantIbLb0EES1C_EEDaS17_S18_EUlS17_E_NS1_11comp_targetILNS1_3genE10ELNS1_11target_archE1200ELNS1_3gpuE4ELNS1_3repE0EEENS1_30default_config_static_selectorELNS0_4arch9wavefront6targetE0EEEvT1_
		.amdhsa_group_segment_fixed_size 0
		.amdhsa_private_segment_fixed_size 0
		.amdhsa_kernarg_size 120
		.amdhsa_user_sgpr_count 15
		.amdhsa_user_sgpr_dispatch_ptr 0
		.amdhsa_user_sgpr_queue_ptr 0
		.amdhsa_user_sgpr_kernarg_segment_ptr 1
		.amdhsa_user_sgpr_dispatch_id 0
		.amdhsa_user_sgpr_private_segment_size 0
		.amdhsa_wavefront_size32 1
		.amdhsa_uses_dynamic_stack 0
		.amdhsa_enable_private_segment 0
		.amdhsa_system_sgpr_workgroup_id_x 1
		.amdhsa_system_sgpr_workgroup_id_y 0
		.amdhsa_system_sgpr_workgroup_id_z 0
		.amdhsa_system_sgpr_workgroup_info 0
		.amdhsa_system_vgpr_workitem_id 0
		.amdhsa_next_free_vgpr 1
		.amdhsa_next_free_sgpr 1
		.amdhsa_reserve_vcc 0
		.amdhsa_float_round_mode_32 0
		.amdhsa_float_round_mode_16_64 0
		.amdhsa_float_denorm_mode_32 3
		.amdhsa_float_denorm_mode_16_64 3
		.amdhsa_dx10_clamp 1
		.amdhsa_ieee_mode 1
		.amdhsa_fp16_overflow 0
		.amdhsa_workgroup_processor_mode 1
		.amdhsa_memory_ordered 1
		.amdhsa_forward_progress 0
		.amdhsa_shared_vgpr_count 0
		.amdhsa_exception_fp_ieee_invalid_op 0
		.amdhsa_exception_fp_denorm_src 0
		.amdhsa_exception_fp_ieee_div_zero 0
		.amdhsa_exception_fp_ieee_overflow 0
		.amdhsa_exception_fp_ieee_underflow 0
		.amdhsa_exception_fp_ieee_inexact 0
		.amdhsa_exception_int_div_zero 0
	.end_amdhsa_kernel
	.section	.text._ZN7rocprim17ROCPRIM_400000_NS6detail17trampoline_kernelINS0_14default_configENS1_25partition_config_selectorILNS1_17partition_subalgoE9EllbEEZZNS1_14partition_implILS5_9ELb0ES3_jPlS8_PNS0_10empty_typeENS0_5tupleIJS8_S9_EEENSB_IJS8_SA_EEENS0_18inequality_wrapperIZN2at6native12_GLOBAL__N_124unique_dim_cuda_templateIN3c104HalfEEESt5tupleIJNSF_6TensorESM_SM_EERKSM_lbbbEUlllE0_EEPmJS9_EEE10hipError_tPvRmT3_T4_T5_T6_T7_T9_mT8_P12ihipStream_tbDpT10_ENKUlT_T0_E_clISt17integral_constantIbLb0EES1C_EEDaS17_S18_EUlS17_E_NS1_11comp_targetILNS1_3genE10ELNS1_11target_archE1200ELNS1_3gpuE4ELNS1_3repE0EEENS1_30default_config_static_selectorELNS0_4arch9wavefront6targetE0EEEvT1_,"axG",@progbits,_ZN7rocprim17ROCPRIM_400000_NS6detail17trampoline_kernelINS0_14default_configENS1_25partition_config_selectorILNS1_17partition_subalgoE9EllbEEZZNS1_14partition_implILS5_9ELb0ES3_jPlS8_PNS0_10empty_typeENS0_5tupleIJS8_S9_EEENSB_IJS8_SA_EEENS0_18inequality_wrapperIZN2at6native12_GLOBAL__N_124unique_dim_cuda_templateIN3c104HalfEEESt5tupleIJNSF_6TensorESM_SM_EERKSM_lbbbEUlllE0_EEPmJS9_EEE10hipError_tPvRmT3_T4_T5_T6_T7_T9_mT8_P12ihipStream_tbDpT10_ENKUlT_T0_E_clISt17integral_constantIbLb0EES1C_EEDaS17_S18_EUlS17_E_NS1_11comp_targetILNS1_3genE10ELNS1_11target_archE1200ELNS1_3gpuE4ELNS1_3repE0EEENS1_30default_config_static_selectorELNS0_4arch9wavefront6targetE0EEEvT1_,comdat
.Lfunc_end1332:
	.size	_ZN7rocprim17ROCPRIM_400000_NS6detail17trampoline_kernelINS0_14default_configENS1_25partition_config_selectorILNS1_17partition_subalgoE9EllbEEZZNS1_14partition_implILS5_9ELb0ES3_jPlS8_PNS0_10empty_typeENS0_5tupleIJS8_S9_EEENSB_IJS8_SA_EEENS0_18inequality_wrapperIZN2at6native12_GLOBAL__N_124unique_dim_cuda_templateIN3c104HalfEEESt5tupleIJNSF_6TensorESM_SM_EERKSM_lbbbEUlllE0_EEPmJS9_EEE10hipError_tPvRmT3_T4_T5_T6_T7_T9_mT8_P12ihipStream_tbDpT10_ENKUlT_T0_E_clISt17integral_constantIbLb0EES1C_EEDaS17_S18_EUlS17_E_NS1_11comp_targetILNS1_3genE10ELNS1_11target_archE1200ELNS1_3gpuE4ELNS1_3repE0EEENS1_30default_config_static_selectorELNS0_4arch9wavefront6targetE0EEEvT1_, .Lfunc_end1332-_ZN7rocprim17ROCPRIM_400000_NS6detail17trampoline_kernelINS0_14default_configENS1_25partition_config_selectorILNS1_17partition_subalgoE9EllbEEZZNS1_14partition_implILS5_9ELb0ES3_jPlS8_PNS0_10empty_typeENS0_5tupleIJS8_S9_EEENSB_IJS8_SA_EEENS0_18inequality_wrapperIZN2at6native12_GLOBAL__N_124unique_dim_cuda_templateIN3c104HalfEEESt5tupleIJNSF_6TensorESM_SM_EERKSM_lbbbEUlllE0_EEPmJS9_EEE10hipError_tPvRmT3_T4_T5_T6_T7_T9_mT8_P12ihipStream_tbDpT10_ENKUlT_T0_E_clISt17integral_constantIbLb0EES1C_EEDaS17_S18_EUlS17_E_NS1_11comp_targetILNS1_3genE10ELNS1_11target_archE1200ELNS1_3gpuE4ELNS1_3repE0EEENS1_30default_config_static_selectorELNS0_4arch9wavefront6targetE0EEEvT1_
                                        ; -- End function
	.section	.AMDGPU.csdata,"",@progbits
; Kernel info:
; codeLenInByte = 0
; NumSgprs: 0
; NumVgprs: 0
; ScratchSize: 0
; MemoryBound: 0
; FloatMode: 240
; IeeeMode: 1
; LDSByteSize: 0 bytes/workgroup (compile time only)
; SGPRBlocks: 0
; VGPRBlocks: 0
; NumSGPRsForWavesPerEU: 1
; NumVGPRsForWavesPerEU: 1
; Occupancy: 15
; WaveLimiterHint : 0
; COMPUTE_PGM_RSRC2:SCRATCH_EN: 0
; COMPUTE_PGM_RSRC2:USER_SGPR: 15
; COMPUTE_PGM_RSRC2:TRAP_HANDLER: 0
; COMPUTE_PGM_RSRC2:TGID_X_EN: 1
; COMPUTE_PGM_RSRC2:TGID_Y_EN: 0
; COMPUTE_PGM_RSRC2:TGID_Z_EN: 0
; COMPUTE_PGM_RSRC2:TIDIG_COMP_CNT: 0
	.section	.text._ZN7rocprim17ROCPRIM_400000_NS6detail17trampoline_kernelINS0_14default_configENS1_25partition_config_selectorILNS1_17partition_subalgoE9EllbEEZZNS1_14partition_implILS5_9ELb0ES3_jPlS8_PNS0_10empty_typeENS0_5tupleIJS8_S9_EEENSB_IJS8_SA_EEENS0_18inequality_wrapperIZN2at6native12_GLOBAL__N_124unique_dim_cuda_templateIN3c104HalfEEESt5tupleIJNSF_6TensorESM_SM_EERKSM_lbbbEUlllE0_EEPmJS9_EEE10hipError_tPvRmT3_T4_T5_T6_T7_T9_mT8_P12ihipStream_tbDpT10_ENKUlT_T0_E_clISt17integral_constantIbLb0EES1C_EEDaS17_S18_EUlS17_E_NS1_11comp_targetILNS1_3genE9ELNS1_11target_archE1100ELNS1_3gpuE3ELNS1_3repE0EEENS1_30default_config_static_selectorELNS0_4arch9wavefront6targetE0EEEvT1_,"axG",@progbits,_ZN7rocprim17ROCPRIM_400000_NS6detail17trampoline_kernelINS0_14default_configENS1_25partition_config_selectorILNS1_17partition_subalgoE9EllbEEZZNS1_14partition_implILS5_9ELb0ES3_jPlS8_PNS0_10empty_typeENS0_5tupleIJS8_S9_EEENSB_IJS8_SA_EEENS0_18inequality_wrapperIZN2at6native12_GLOBAL__N_124unique_dim_cuda_templateIN3c104HalfEEESt5tupleIJNSF_6TensorESM_SM_EERKSM_lbbbEUlllE0_EEPmJS9_EEE10hipError_tPvRmT3_T4_T5_T6_T7_T9_mT8_P12ihipStream_tbDpT10_ENKUlT_T0_E_clISt17integral_constantIbLb0EES1C_EEDaS17_S18_EUlS17_E_NS1_11comp_targetILNS1_3genE9ELNS1_11target_archE1100ELNS1_3gpuE3ELNS1_3repE0EEENS1_30default_config_static_selectorELNS0_4arch9wavefront6targetE0EEEvT1_,comdat
	.globl	_ZN7rocprim17ROCPRIM_400000_NS6detail17trampoline_kernelINS0_14default_configENS1_25partition_config_selectorILNS1_17partition_subalgoE9EllbEEZZNS1_14partition_implILS5_9ELb0ES3_jPlS8_PNS0_10empty_typeENS0_5tupleIJS8_S9_EEENSB_IJS8_SA_EEENS0_18inequality_wrapperIZN2at6native12_GLOBAL__N_124unique_dim_cuda_templateIN3c104HalfEEESt5tupleIJNSF_6TensorESM_SM_EERKSM_lbbbEUlllE0_EEPmJS9_EEE10hipError_tPvRmT3_T4_T5_T6_T7_T9_mT8_P12ihipStream_tbDpT10_ENKUlT_T0_E_clISt17integral_constantIbLb0EES1C_EEDaS17_S18_EUlS17_E_NS1_11comp_targetILNS1_3genE9ELNS1_11target_archE1100ELNS1_3gpuE3ELNS1_3repE0EEENS1_30default_config_static_selectorELNS0_4arch9wavefront6targetE0EEEvT1_ ; -- Begin function _ZN7rocprim17ROCPRIM_400000_NS6detail17trampoline_kernelINS0_14default_configENS1_25partition_config_selectorILNS1_17partition_subalgoE9EllbEEZZNS1_14partition_implILS5_9ELb0ES3_jPlS8_PNS0_10empty_typeENS0_5tupleIJS8_S9_EEENSB_IJS8_SA_EEENS0_18inequality_wrapperIZN2at6native12_GLOBAL__N_124unique_dim_cuda_templateIN3c104HalfEEESt5tupleIJNSF_6TensorESM_SM_EERKSM_lbbbEUlllE0_EEPmJS9_EEE10hipError_tPvRmT3_T4_T5_T6_T7_T9_mT8_P12ihipStream_tbDpT10_ENKUlT_T0_E_clISt17integral_constantIbLb0EES1C_EEDaS17_S18_EUlS17_E_NS1_11comp_targetILNS1_3genE9ELNS1_11target_archE1100ELNS1_3gpuE3ELNS1_3repE0EEENS1_30default_config_static_selectorELNS0_4arch9wavefront6targetE0EEEvT1_
	.p2align	8
	.type	_ZN7rocprim17ROCPRIM_400000_NS6detail17trampoline_kernelINS0_14default_configENS1_25partition_config_selectorILNS1_17partition_subalgoE9EllbEEZZNS1_14partition_implILS5_9ELb0ES3_jPlS8_PNS0_10empty_typeENS0_5tupleIJS8_S9_EEENSB_IJS8_SA_EEENS0_18inequality_wrapperIZN2at6native12_GLOBAL__N_124unique_dim_cuda_templateIN3c104HalfEEESt5tupleIJNSF_6TensorESM_SM_EERKSM_lbbbEUlllE0_EEPmJS9_EEE10hipError_tPvRmT3_T4_T5_T6_T7_T9_mT8_P12ihipStream_tbDpT10_ENKUlT_T0_E_clISt17integral_constantIbLb0EES1C_EEDaS17_S18_EUlS17_E_NS1_11comp_targetILNS1_3genE9ELNS1_11target_archE1100ELNS1_3gpuE3ELNS1_3repE0EEENS1_30default_config_static_selectorELNS0_4arch9wavefront6targetE0EEEvT1_,@function
_ZN7rocprim17ROCPRIM_400000_NS6detail17trampoline_kernelINS0_14default_configENS1_25partition_config_selectorILNS1_17partition_subalgoE9EllbEEZZNS1_14partition_implILS5_9ELb0ES3_jPlS8_PNS0_10empty_typeENS0_5tupleIJS8_S9_EEENSB_IJS8_SA_EEENS0_18inequality_wrapperIZN2at6native12_GLOBAL__N_124unique_dim_cuda_templateIN3c104HalfEEESt5tupleIJNSF_6TensorESM_SM_EERKSM_lbbbEUlllE0_EEPmJS9_EEE10hipError_tPvRmT3_T4_T5_T6_T7_T9_mT8_P12ihipStream_tbDpT10_ENKUlT_T0_E_clISt17integral_constantIbLb0EES1C_EEDaS17_S18_EUlS17_E_NS1_11comp_targetILNS1_3genE9ELNS1_11target_archE1100ELNS1_3gpuE3ELNS1_3repE0EEENS1_30default_config_static_selectorELNS0_4arch9wavefront6targetE0EEEvT1_: ; @_ZN7rocprim17ROCPRIM_400000_NS6detail17trampoline_kernelINS0_14default_configENS1_25partition_config_selectorILNS1_17partition_subalgoE9EllbEEZZNS1_14partition_implILS5_9ELb0ES3_jPlS8_PNS0_10empty_typeENS0_5tupleIJS8_S9_EEENSB_IJS8_SA_EEENS0_18inequality_wrapperIZN2at6native12_GLOBAL__N_124unique_dim_cuda_templateIN3c104HalfEEESt5tupleIJNSF_6TensorESM_SM_EERKSM_lbbbEUlllE0_EEPmJS9_EEE10hipError_tPvRmT3_T4_T5_T6_T7_T9_mT8_P12ihipStream_tbDpT10_ENKUlT_T0_E_clISt17integral_constantIbLb0EES1C_EEDaS17_S18_EUlS17_E_NS1_11comp_targetILNS1_3genE9ELNS1_11target_archE1100ELNS1_3gpuE3ELNS1_3repE0EEENS1_30default_config_static_selectorELNS0_4arch9wavefront6targetE0EEEvT1_
; %bb.0:
	s_clause 0x3
	s_load_b128 s[4:7], s[0:1], 0x8
	s_load_b32 s8, s[0:1], 0x70
	s_load_b256 s[16:23], s[0:1], 0x40
	s_load_b64 s[24:25], s[0:1], 0x18
	s_mov_b32 s3, 0
	v_lshlrev_b32_e32 v55, 3, v0
	v_lshrrev_b32_e32 v33, 2, v0
	v_or_b32_e32 v38, 0x200, v0
	v_or_b32_e32 v36, 0x400, v0
	;; [unrolled: 1-line block ×7, first 2 shown]
	s_waitcnt lgkmcnt(0)
	s_lshl_b64 s[26:27], s[6:7], 3
	s_delay_alu instid0(SALU_CYCLE_1)
	s_add_u32 s9, s4, s26
	s_addc_u32 s10, s5, s27
	s_add_i32 s11, s8, -1
	s_load_b64 s[12:13], s[18:19], 0x0
	s_lshl_b32 s4, s11, 12
	s_lshl_b32 s5, s8, 12
	s_add_i32 s4, s6, s4
	s_lshl_b32 s2, s15, 12
	s_sub_i32 s28, s20, s4
	s_add_u32 s4, s6, s5
	s_addc_u32 s5, s7, 0
	s_cmp_eq_u32 s15, s11
	v_cmp_ge_u64_e64 s4, s[4:5], s[20:21]
	s_cselect_b32 s14, -1, 0
	s_lshl_b64 s[18:19], s[2:3], 3
	s_mov_b32 s3, -1
	s_delay_alu instid0(VALU_DEP_1) | instskip(NEXT) | instid1(SALU_CYCLE_1)
	s_and_b32 s21, s14, s4
	s_xor_b32 s20, s21, -1
	s_add_u32 s4, s9, s18
	s_addc_u32 s5, s10, s19
	s_and_b32 vcc_lo, exec_lo, s20
	s_cbranch_vccz .LBB1333_2
; %bb.1:
	v_add_co_u32 v9, s2, s4, v55
	s_delay_alu instid0(VALU_DEP_1)
	v_add_co_ci_u32_e64 v10, null, s5, 0, s2
	global_load_b64 v[1:2], v55, s[4:5]
	v_add_co_u32 v3, vcc_lo, v9, 0x2000
	v_add_co_ci_u32_e32 v4, vcc_lo, 0, v10, vcc_lo
	v_add_co_u32 v5, vcc_lo, v9, 0x4000
	v_add_co_ci_u32_e32 v6, vcc_lo, 0, v10, vcc_lo
	;; [unrolled: 2-line block ×4, first 2 shown]
	s_clause 0x6
	global_load_b64 v[11:12], v[3:4], off offset:-4096
	global_load_b64 v[3:4], v[3:4], off
	global_load_b64 v[13:14], v[5:6], off offset:-4096
	global_load_b64 v[5:6], v[5:6], off
	;; [unrolled: 2-line block ×3, first 2 shown]
	global_load_b64 v[9:10], v[9:10], off
	v_lshrrev_b32_e32 v18, 2, v38
	v_lshrrev_b32_e32 v19, 2, v36
	;; [unrolled: 1-line block ×4, first 2 shown]
	v_and_b32_e32 v17, 0x78, v33
	v_lshrrev_b32_e32 v22, 2, v37
	v_lshrrev_b32_e32 v23, 2, v34
	;; [unrolled: 1-line block ×3, first 2 shown]
	v_and_b32_e32 v18, 0xf8, v18
	v_and_b32_e32 v19, 0x178, v19
	;; [unrolled: 1-line block ×4, first 2 shown]
	v_add_nc_u32_e32 v17, v17, v55
	v_and_b32_e32 v22, 0x2f8, v22
	v_and_b32_e32 v23, 0x378, v23
	;; [unrolled: 1-line block ×3, first 2 shown]
	v_add_nc_u32_e32 v18, v18, v55
	v_add_nc_u32_e32 v19, v19, v55
	;; [unrolled: 1-line block ×4, first 2 shown]
	s_mov_b32 s3, 0
	v_add_nc_u32_e32 v22, v22, v55
	v_add_nc_u32_e32 v23, v23, v55
	;; [unrolled: 1-line block ×3, first 2 shown]
	s_waitcnt vmcnt(7)
	ds_store_b64 v17, v[1:2]
	s_waitcnt vmcnt(6)
	ds_store_b64 v18, v[11:12] offset:4096
	s_waitcnt vmcnt(5)
	ds_store_b64 v19, v[3:4] offset:8192
	;; [unrolled: 2-line block ×7, first 2 shown]
	s_waitcnt lgkmcnt(0)
	s_barrier
.LBB1333_2:
	s_load_b128 s[8:11], s[0:1], 0x60
	v_cmp_gt_u32_e64 s2, s28, v0
	s_and_not1_b32 vcc_lo, exec_lo, s3
	s_cbranch_vccnz .LBB1333_20
; %bb.3:
                                        ; implicit-def: $vgpr1_vgpr2_vgpr3_vgpr4_vgpr5_vgpr6_vgpr7_vgpr8_vgpr9_vgpr10_vgpr11_vgpr12_vgpr13_vgpr14_vgpr15_vgpr16
	s_delay_alu instid0(VALU_DEP_1)
	s_and_saveexec_b32 s3, s2
	s_cbranch_execz .LBB1333_11
; %bb.4:
	global_load_b64 v[1:2], v55, s[4:5]
	s_or_b32 exec_lo, exec_lo, s3
	s_delay_alu instid0(SALU_CYCLE_1)
	s_mov_b32 s2, exec_lo
	v_cmpx_gt_u32_e64 s28, v38
	s_cbranch_execnz .LBB1333_12
.LBB1333_5:
	s_or_b32 exec_lo, exec_lo, s2
	s_delay_alu instid0(SALU_CYCLE_1)
	s_mov_b32 s2, exec_lo
	v_cmpx_gt_u32_e64 s28, v36
	s_cbranch_execz .LBB1333_13
.LBB1333_6:
	v_lshlrev_b32_e32 v5, 3, v36
	global_load_b64 v[5:6], v5, s[4:5]
	s_or_b32 exec_lo, exec_lo, s2
	s_delay_alu instid0(SALU_CYCLE_1)
	s_mov_b32 s2, exec_lo
	v_cmpx_gt_u32_e64 s28, v40
	s_cbranch_execnz .LBB1333_14
.LBB1333_7:
	s_or_b32 exec_lo, exec_lo, s2
	s_delay_alu instid0(SALU_CYCLE_1)
	s_mov_b32 s2, exec_lo
	v_cmpx_gt_u32_e64 s28, v39
	s_cbranch_execz .LBB1333_15
.LBB1333_8:
	v_lshlrev_b32_e32 v9, 3, v39
	global_load_b64 v[9:10], v9, s[4:5]
	s_or_b32 exec_lo, exec_lo, s2
	s_delay_alu instid0(SALU_CYCLE_1)
	s_mov_b32 s2, exec_lo
	v_cmpx_gt_u32_e64 s28, v37
	s_cbranch_execnz .LBB1333_16
.LBB1333_9:
	s_or_b32 exec_lo, exec_lo, s2
	s_delay_alu instid0(SALU_CYCLE_1)
	s_mov_b32 s2, exec_lo
	v_cmpx_gt_u32_e64 s28, v34
	s_cbranch_execz .LBB1333_17
.LBB1333_10:
	v_lshlrev_b32_e32 v13, 3, v34
	global_load_b64 v[13:14], v13, s[4:5]
	s_or_b32 exec_lo, exec_lo, s2
	s_delay_alu instid0(SALU_CYCLE_1)
	s_mov_b32 s2, exec_lo
	v_cmpx_gt_u32_e64 s28, v35
	s_cbranch_execnz .LBB1333_18
	s_branch .LBB1333_19
.LBB1333_11:
	s_or_b32 exec_lo, exec_lo, s3
	s_delay_alu instid0(SALU_CYCLE_1)
	s_mov_b32 s2, exec_lo
	v_cmpx_gt_u32_e64 s28, v38
	s_cbranch_execz .LBB1333_5
.LBB1333_12:
	v_lshlrev_b32_e32 v3, 3, v38
	global_load_b64 v[3:4], v3, s[4:5]
	s_or_b32 exec_lo, exec_lo, s2
	s_delay_alu instid0(SALU_CYCLE_1)
	s_mov_b32 s2, exec_lo
	v_cmpx_gt_u32_e64 s28, v36
	s_cbranch_execnz .LBB1333_6
.LBB1333_13:
	s_or_b32 exec_lo, exec_lo, s2
	s_delay_alu instid0(SALU_CYCLE_1)
	s_mov_b32 s2, exec_lo
	v_cmpx_gt_u32_e64 s28, v40
	s_cbranch_execz .LBB1333_7
.LBB1333_14:
	v_lshlrev_b32_e32 v7, 3, v40
	global_load_b64 v[7:8], v7, s[4:5]
	s_or_b32 exec_lo, exec_lo, s2
	s_delay_alu instid0(SALU_CYCLE_1)
	s_mov_b32 s2, exec_lo
	v_cmpx_gt_u32_e64 s28, v39
	s_cbranch_execnz .LBB1333_8
.LBB1333_15:
	s_or_b32 exec_lo, exec_lo, s2
	s_delay_alu instid0(SALU_CYCLE_1)
	s_mov_b32 s2, exec_lo
	v_cmpx_gt_u32_e64 s28, v37
	s_cbranch_execz .LBB1333_9
.LBB1333_16:
	v_lshlrev_b32_e32 v11, 3, v37
	global_load_b64 v[11:12], v11, s[4:5]
	s_or_b32 exec_lo, exec_lo, s2
	s_delay_alu instid0(SALU_CYCLE_1)
	s_mov_b32 s2, exec_lo
	v_cmpx_gt_u32_e64 s28, v34
	s_cbranch_execnz .LBB1333_10
.LBB1333_17:
	s_or_b32 exec_lo, exec_lo, s2
	s_delay_alu instid0(SALU_CYCLE_1)
	s_mov_b32 s2, exec_lo
	v_cmpx_gt_u32_e64 s28, v35
	s_cbranch_execz .LBB1333_19
.LBB1333_18:
	v_lshlrev_b32_e32 v15, 3, v35
	global_load_b64 v[15:16], v15, s[4:5]
.LBB1333_19:
	s_or_b32 exec_lo, exec_lo, s2
	v_lshrrev_b32_e32 v17, 2, v38
	v_lshrrev_b32_e32 v18, 2, v36
	;; [unrolled: 1-line block ×4, first 2 shown]
	v_and_b32_e32 v19, 0x78, v33
	v_lshrrev_b32_e32 v22, 2, v37
	v_lshrrev_b32_e32 v23, 2, v34
	;; [unrolled: 1-line block ×3, first 2 shown]
	v_and_b32_e32 v17, 0xf8, v17
	v_and_b32_e32 v18, 0x1f8, v18
	;; [unrolled: 1-line block ×4, first 2 shown]
	v_add_nc_u32_e32 v19, v19, v55
	v_and_b32_e32 v22, 0x3f8, v22
	v_and_b32_e32 v23, 0x3f8, v23
	;; [unrolled: 1-line block ×3, first 2 shown]
	v_add_nc_u32_e32 v17, v17, v55
	v_add_nc_u32_e32 v18, v18, v55
	;; [unrolled: 1-line block ×7, first 2 shown]
	s_waitcnt vmcnt(0)
	ds_store_b64 v19, v[1:2]
	ds_store_b64 v17, v[3:4] offset:4096
	ds_store_b64 v18, v[5:6] offset:8192
	;; [unrolled: 1-line block ×7, first 2 shown]
	s_waitcnt lgkmcnt(0)
	s_barrier
.LBB1333_20:
	v_add_lshl_u32 v41, v33, v55, 3
	s_waitcnt lgkmcnt(0)
	buffer_gl0_inv
	s_add_u32 s2, s24, s26
	s_addc_u32 s3, s25, s27
	s_add_u32 s2, s2, s18
	ds_load_2addr_b64 v[29:32], v41 offset1:1
	ds_load_2addr_b64 v[25:28], v41 offset0:2 offset1:3
	ds_load_2addr_b64 v[21:24], v41 offset0:4 offset1:5
	ds_load_2addr_b64 v[17:20], v41 offset0:6 offset1:7
	s_addc_u32 s3, s3, s19
	s_and_b32 vcc_lo, exec_lo, s20
	s_mov_b32 s18, -1
	s_waitcnt lgkmcnt(0)
	s_barrier
	buffer_gl0_inv
	s_cbranch_vccz .LBB1333_22
; %bb.21:
	v_add_co_u32 v9, s18, s2, v55
	s_delay_alu instid0(VALU_DEP_1)
	v_add_co_ci_u32_e64 v10, null, s3, 0, s18
	global_load_b64 v[1:2], v55, s[2:3]
	v_add_co_u32 v3, vcc_lo, v9, 0x2000
	v_add_co_ci_u32_e32 v4, vcc_lo, 0, v10, vcc_lo
	v_add_co_u32 v5, vcc_lo, v9, 0x4000
	v_add_co_ci_u32_e32 v6, vcc_lo, 0, v10, vcc_lo
	v_add_co_u32 v7, vcc_lo, v9, 0x6000
	v_add_co_ci_u32_e32 v8, vcc_lo, 0, v10, vcc_lo
	v_add_co_u32 v9, vcc_lo, 0x7000, v9
	v_add_co_ci_u32_e32 v10, vcc_lo, 0, v10, vcc_lo
	s_clause 0x6
	global_load_b64 v[11:12], v[3:4], off offset:-4096
	global_load_b64 v[3:4], v[3:4], off
	global_load_b64 v[13:14], v[5:6], off offset:-4096
	global_load_b64 v[5:6], v[5:6], off
	;; [unrolled: 2-line block ×3, first 2 shown]
	global_load_b64 v[9:10], v[9:10], off
	v_lshrrev_b32_e32 v43, 2, v38
	v_lshrrev_b32_e32 v44, 2, v36
	;; [unrolled: 1-line block ×4, first 2 shown]
	v_and_b32_e32 v42, 0x78, v33
	v_lshrrev_b32_e32 v47, 2, v37
	v_lshrrev_b32_e32 v48, 2, v34
	;; [unrolled: 1-line block ×3, first 2 shown]
	v_and_b32_e32 v43, 0xf8, v43
	v_and_b32_e32 v44, 0x178, v44
	;; [unrolled: 1-line block ×4, first 2 shown]
	v_add_nc_u32_e32 v42, v42, v55
	v_and_b32_e32 v47, 0x2f8, v47
	v_and_b32_e32 v48, 0x378, v48
	;; [unrolled: 1-line block ×3, first 2 shown]
	v_add_nc_u32_e32 v43, v43, v55
	v_add_nc_u32_e32 v44, v44, v55
	;; [unrolled: 1-line block ×4, first 2 shown]
	s_mov_b32 s18, 0
	v_add_nc_u32_e32 v47, v47, v55
	v_add_nc_u32_e32 v48, v48, v55
	v_add_nc_u32_e32 v49, v49, v55
	s_waitcnt vmcnt(7)
	ds_store_b64 v42, v[1:2]
	s_waitcnt vmcnt(6)
	ds_store_b64 v43, v[11:12] offset:4096
	s_waitcnt vmcnt(5)
	ds_store_b64 v44, v[3:4] offset:8192
	;; [unrolled: 2-line block ×7, first 2 shown]
	s_waitcnt lgkmcnt(0)
	s_barrier
.LBB1333_22:
	s_and_not1_b32 vcc_lo, exec_lo, s18
	s_cbranch_vccnz .LBB1333_40
; %bb.23:
	s_mov_b32 s18, exec_lo
                                        ; implicit-def: $vgpr1_vgpr2
	v_cmpx_gt_u32_e64 s28, v0
	s_cbranch_execz .LBB1333_25
; %bb.24:
	global_load_b64 v[1:2], v55, s[2:3]
.LBB1333_25:
	s_or_b32 exec_lo, exec_lo, s18
	s_delay_alu instid0(SALU_CYCLE_1)
	s_mov_b32 s18, exec_lo
                                        ; implicit-def: $vgpr3_vgpr4
	v_cmpx_gt_u32_e64 s28, v38
	s_cbranch_execz .LBB1333_27
; %bb.26:
	v_lshlrev_b32_e32 v3, 3, v38
	global_load_b64 v[3:4], v3, s[2:3]
.LBB1333_27:
	s_or_b32 exec_lo, exec_lo, s18
	s_delay_alu instid0(SALU_CYCLE_1)
	s_mov_b32 s18, exec_lo
                                        ; implicit-def: $vgpr5_vgpr6
	v_cmpx_gt_u32_e64 s28, v36
	s_cbranch_execz .LBB1333_29
; %bb.28:
	v_lshlrev_b32_e32 v5, 3, v36
	global_load_b64 v[5:6], v5, s[2:3]
.LBB1333_29:
	s_or_b32 exec_lo, exec_lo, s18
	s_delay_alu instid0(SALU_CYCLE_1)
	s_mov_b32 s18, exec_lo
                                        ; implicit-def: $vgpr7_vgpr8
	v_cmpx_gt_u32_e64 s28, v40
	s_cbranch_execz .LBB1333_31
; %bb.30:
	v_lshlrev_b32_e32 v7, 3, v40
	global_load_b64 v[7:8], v7, s[2:3]
.LBB1333_31:
	s_or_b32 exec_lo, exec_lo, s18
	s_delay_alu instid0(SALU_CYCLE_1)
	s_mov_b32 s18, exec_lo
                                        ; implicit-def: $vgpr9_vgpr10
	v_cmpx_gt_u32_e64 s28, v39
	s_cbranch_execz .LBB1333_33
; %bb.32:
	v_lshlrev_b32_e32 v9, 3, v39
	global_load_b64 v[9:10], v9, s[2:3]
.LBB1333_33:
	s_or_b32 exec_lo, exec_lo, s18
	s_delay_alu instid0(SALU_CYCLE_1)
	s_mov_b32 s18, exec_lo
                                        ; implicit-def: $vgpr11_vgpr12
	v_cmpx_gt_u32_e64 s28, v37
	s_cbranch_execz .LBB1333_35
; %bb.34:
	v_lshlrev_b32_e32 v11, 3, v37
	global_load_b64 v[11:12], v11, s[2:3]
.LBB1333_35:
	s_or_b32 exec_lo, exec_lo, s18
	s_delay_alu instid0(SALU_CYCLE_1)
	s_mov_b32 s18, exec_lo
                                        ; implicit-def: $vgpr13_vgpr14
	v_cmpx_gt_u32_e64 s28, v34
	s_cbranch_execz .LBB1333_37
; %bb.36:
	v_lshlrev_b32_e32 v13, 3, v34
	global_load_b64 v[13:14], v13, s[2:3]
.LBB1333_37:
	s_or_b32 exec_lo, exec_lo, s18
	s_delay_alu instid0(SALU_CYCLE_1)
	s_mov_b32 s18, exec_lo
                                        ; implicit-def: $vgpr15_vgpr16
	v_cmpx_gt_u32_e64 s28, v35
	s_cbranch_execz .LBB1333_39
; %bb.38:
	v_lshlrev_b32_e32 v15, 3, v35
	global_load_b64 v[15:16], v15, s[2:3]
.LBB1333_39:
	s_or_b32 exec_lo, exec_lo, s18
	v_lshrrev_b32_e32 v38, 2, v38
	v_lshrrev_b32_e32 v36, 2, v36
	;; [unrolled: 1-line block ×4, first 2 shown]
	v_and_b32_e32 v33, 0x78, v33
	v_lshrrev_b32_e32 v37, 2, v37
	v_lshrrev_b32_e32 v34, 2, v34
	;; [unrolled: 1-line block ×3, first 2 shown]
	v_and_b32_e32 v38, 0xf8, v38
	v_and_b32_e32 v36, 0x1f8, v36
	;; [unrolled: 1-line block ×4, first 2 shown]
	v_add_nc_u32_e32 v33, v33, v55
	v_and_b32_e32 v37, 0x3f8, v37
	v_and_b32_e32 v34, 0x3f8, v34
	;; [unrolled: 1-line block ×3, first 2 shown]
	v_add_nc_u32_e32 v38, v38, v55
	v_add_nc_u32_e32 v36, v36, v55
	;; [unrolled: 1-line block ×7, first 2 shown]
	s_waitcnt vmcnt(0)
	ds_store_b64 v33, v[1:2]
	ds_store_b64 v38, v[3:4] offset:4096
	ds_store_b64 v36, v[5:6] offset:8192
	;; [unrolled: 1-line block ×7, first 2 shown]
	s_waitcnt lgkmcnt(0)
	s_barrier
.LBB1333_40:
	buffer_gl0_inv
	ds_load_2addr_b64 v[13:16], v41 offset1:1
	ds_load_2addr_b64 v[9:12], v41 offset0:2 offset1:3
	ds_load_2addr_b64 v[5:8], v41 offset0:4 offset1:5
	;; [unrolled: 1-line block ×3, first 2 shown]
	s_cmp_lg_u32 s15, 0
	v_cmp_gt_i64_e64 s25, s[22:23], 0
	s_cselect_b32 s24, -1, 0
	s_cmp_lg_u64 s[6:7], 0
	s_mov_b32 s3, 0
	s_cselect_b32 s2, -1, 0
	s_waitcnt lgkmcnt(0)
	s_or_b32 s2, s24, s2
	s_barrier
	s_and_b32 vcc_lo, exec_lo, s2
	buffer_gl0_inv
	s_cbranch_vccz .LBB1333_49
; %bb.41:
	s_add_u32 s2, s4, -8
	s_addc_u32 s3, s5, -1
	v_cndmask_b32_e64 v41, 0, 1, s25
	s_load_b64 s[4:5], s[2:3], 0x0
	s_and_b32 vcc_lo, exec_lo, s20
	ds_store_b64 v55, v[19:20]
	v_cmp_ne_u32_e64 s2, 1, v41
	s_cbranch_vccz .LBB1333_50
; %bb.42:
	v_mul_lo_u32 v35, v18, s22
	v_mul_lo_u32 v36, v17, s23
	v_mad_u64_u32 v[33:34], null, v17, s22, 0
	s_mov_b32 s3, 0
	s_and_b32 vcc_lo, exec_lo, s2
	s_mov_b32 s26, 0
	s_delay_alu instid0(VALU_DEP_1) | instskip(NEXT) | instid1(VALU_DEP_1)
	v_add3_u32 v34, v34, v36, v35
	v_lshlrev_b64 v[33:34], 1, v[33:34]
	s_cbranch_vccnz .LBB1333_53
; %bb.43:
	v_mul_lo_u32 v37, v20, s22
	v_mul_lo_u32 v38, v19, s23
	v_mad_u64_u32 v[35:36], null, v19, s22, 0
	s_mov_b32 s26, -1
	s_mov_b32 s27, exec_lo
	s_delay_alu instid0(VALU_DEP_1) | instskip(SKIP_2) | instid1(VALU_DEP_3)
	v_add3_u32 v36, v36, v38, v37
	v_add_co_u32 v37, vcc_lo, s8, v33
	v_add_co_ci_u32_e32 v38, vcc_lo, s9, v34, vcc_lo
	v_lshlrev_b64 v[35:36], 1, v[35:36]
	s_delay_alu instid0(VALU_DEP_1) | instskip(NEXT) | instid1(VALU_DEP_2)
	v_add_co_u32 v35, vcc_lo, s8, v35
	v_add_co_ci_u32_e32 v36, vcc_lo, s9, v36, vcc_lo
	s_clause 0x1
	global_load_u16 v39, v[37:38], off
	global_load_u16 v40, v[35:36], off
	s_waitcnt vmcnt(0)
	v_cmpx_eq_f16_e32 v39, v40
	s_cbranch_execz .LBB1333_52
; %bb.44:
	v_add_co_u32 v35, vcc_lo, v35, 2
	v_add_co_ci_u32_e32 v36, vcc_lo, 0, v36, vcc_lo
	v_add_co_u32 v37, vcc_lo, v37, 2
	v_add_co_ci_u32_e32 v38, vcc_lo, 0, v38, vcc_lo
	s_add_u32 s6, s22, -1
	s_addc_u32 s7, s23, -1
	s_mov_b64 s[18:19], 0
	s_mov_b32 s26, 0
                                        ; implicit-def: $sgpr29
	s_set_inst_prefetch_distance 0x1
	s_branch .LBB1333_47
	.p2align	6
.LBB1333_45:                            ;   in Loop: Header=BB1333_47 Depth=1
	global_load_u16 v39, v[37:38], off
	global_load_u16 v40, v[35:36], off
	v_add_co_u32 v35, vcc_lo, v35, 2
	v_add_co_ci_u32_e32 v36, vcc_lo, 0, v36, vcc_lo
	v_add_co_u32 v37, s2, v37, 2
	s_delay_alu instid0(VALU_DEP_1)
	v_add_co_ci_u32_e64 v38, s2, 0, v38, s2
	s_add_u32 s18, s18, 1
	s_addc_u32 s19, s19, 0
	s_and_not1_b32 s2, s29, exec_lo
	s_waitcnt vmcnt(0)
	v_cmp_neq_f16_e32 vcc_lo, v39, v40
	s_and_b32 s29, vcc_lo, exec_lo
	s_delay_alu instid0(SALU_CYCLE_1)
	s_or_b32 s29, s2, s29
.LBB1333_46:                            ;   in Loop: Header=BB1333_47 Depth=1
	v_dual_mov_b32 v40, s19 :: v_dual_mov_b32 v39, s18
	s_and_b32 s2, exec_lo, s29
	s_delay_alu instid0(SALU_CYCLE_1) | instskip(NEXT) | instid1(SALU_CYCLE_1)
	s_or_b32 s26, s2, s26
	s_and_not1_b32 exec_lo, exec_lo, s26
	s_cbranch_execz .LBB1333_51
.LBB1333_47:                            ; =>This Inner Loop Header: Depth=1
	s_or_b32 s29, s29, exec_lo
	s_cmp_eq_u64 s[6:7], s[18:19]
	s_cbranch_scc0 .LBB1333_45
; %bb.48:                               ;   in Loop: Header=BB1333_47 Depth=1
	s_mov_b64 s[18:19], s[22:23]
                                        ; implicit-def: $vgpr35_vgpr36
                                        ; implicit-def: $vgpr37_vgpr38
	s_branch .LBB1333_46
.LBB1333_49:
                                        ; implicit-def: $sgpr2
                                        ; implicit-def: $vgpr34
	s_branch .LBB1333_211
.LBB1333_50:
                                        ; implicit-def: $sgpr2
                                        ; implicit-def: $vgpr34
	s_cbranch_execnz .LBB1333_119
	s_branch .LBB1333_210
.LBB1333_51:
	s_set_inst_prefetch_distance 0x2
	s_or_b32 exec_lo, exec_lo, s26
	v_cmp_gt_i64_e32 vcc_lo, s[22:23], v[39:40]
	s_or_not1_b32 s26, vcc_lo, exec_lo
.LBB1333_52:
	s_or_b32 exec_lo, exec_lo, s27
.LBB1333_53:
	v_mul_lo_u32 v37, v24, s22
	v_mul_lo_u32 v38, v23, s23
	v_mad_u64_u32 v[35:36], null, v23, s22, 0
	s_and_not1_b32 vcc_lo, exec_lo, s25
	s_delay_alu instid0(VALU_DEP_1) | instskip(NEXT) | instid1(VALU_DEP_1)
	v_add3_u32 v36, v36, v38, v37
	v_lshlrev_b64 v[35:36], 1, v[35:36]
	s_cbranch_vccnz .LBB1333_62
; %bb.54:
	s_delay_alu instid0(VALU_DEP_1) | instskip(NEXT) | instid1(VALU_DEP_2)
	v_add_co_u32 v37, vcc_lo, s8, v35
	v_add_co_ci_u32_e32 v38, vcc_lo, s9, v36, vcc_lo
	v_add_co_u32 v33, vcc_lo, s8, v33
	v_add_co_ci_u32_e32 v34, vcc_lo, s9, v34, vcc_lo
	s_mov_b32 s3, -1
	s_clause 0x1
	global_load_u16 v39, v[37:38], off
	global_load_u16 v40, v[33:34], off
	s_mov_b32 s27, exec_lo
	s_waitcnt vmcnt(0)
	v_cmpx_eq_f16_e32 v39, v40
	s_cbranch_execz .LBB1333_61
; %bb.55:
	v_add_co_u32 v33, vcc_lo, v33, 2
	v_add_co_ci_u32_e32 v34, vcc_lo, 0, v34, vcc_lo
	v_add_co_u32 v37, vcc_lo, v37, 2
	v_add_co_ci_u32_e32 v38, vcc_lo, 0, v38, vcc_lo
	s_add_u32 s6, s22, -1
	s_addc_u32 s7, s23, -1
	s_mov_b64 s[18:19], 0
	s_mov_b32 s3, 0
                                        ; implicit-def: $sgpr29
	s_set_inst_prefetch_distance 0x1
	s_branch .LBB1333_58
	.p2align	6
.LBB1333_56:                            ;   in Loop: Header=BB1333_58 Depth=1
	global_load_u16 v39, v[37:38], off
	global_load_u16 v40, v[33:34], off
	v_add_co_u32 v33, vcc_lo, v33, 2
	v_add_co_ci_u32_e32 v34, vcc_lo, 0, v34, vcc_lo
	v_add_co_u32 v37, s2, v37, 2
	s_delay_alu instid0(VALU_DEP_1)
	v_add_co_ci_u32_e64 v38, s2, 0, v38, s2
	s_add_u32 s18, s18, 1
	s_addc_u32 s19, s19, 0
	s_and_not1_b32 s2, s29, exec_lo
	s_waitcnt vmcnt(0)
	v_cmp_neq_f16_e32 vcc_lo, v39, v40
	s_and_b32 s29, vcc_lo, exec_lo
	s_delay_alu instid0(SALU_CYCLE_1)
	s_or_b32 s29, s2, s29
.LBB1333_57:                            ;   in Loop: Header=BB1333_58 Depth=1
	v_dual_mov_b32 v40, s19 :: v_dual_mov_b32 v39, s18
	s_and_b32 s2, exec_lo, s29
	s_delay_alu instid0(SALU_CYCLE_1) | instskip(NEXT) | instid1(SALU_CYCLE_1)
	s_or_b32 s3, s2, s3
	s_and_not1_b32 exec_lo, exec_lo, s3
	s_cbranch_execz .LBB1333_60
.LBB1333_58:                            ; =>This Inner Loop Header: Depth=1
	s_or_b32 s29, s29, exec_lo
	s_cmp_eq_u64 s[6:7], s[18:19]
	s_cbranch_scc0 .LBB1333_56
; %bb.59:                               ;   in Loop: Header=BB1333_58 Depth=1
	s_mov_b64 s[18:19], s[22:23]
                                        ; implicit-def: $vgpr33_vgpr34
                                        ; implicit-def: $vgpr37_vgpr38
	s_branch .LBB1333_57
.LBB1333_60:
	s_set_inst_prefetch_distance 0x2
	s_or_b32 exec_lo, exec_lo, s3
	v_cmp_gt_i64_e32 vcc_lo, s[22:23], v[39:40]
	s_or_not1_b32 s3, vcc_lo, exec_lo
.LBB1333_61:
	s_or_b32 exec_lo, exec_lo, s27
.LBB1333_62:
	v_mul_lo_u32 v37, v22, s22
	v_mul_lo_u32 v38, v21, s23
	v_mad_u64_u32 v[33:34], null, v21, s22, 0
	s_mov_b32 s27, 0
	s_and_not1_b32 vcc_lo, exec_lo, s25
	s_mov_b32 s29, 0
	s_delay_alu instid0(VALU_DEP_1) | instskip(NEXT) | instid1(VALU_DEP_1)
	v_add3_u32 v34, v34, v38, v37
	v_lshlrev_b64 v[37:38], 1, v[33:34]
	s_cbranch_vccnz .LBB1333_71
; %bb.63:
	s_delay_alu instid0(VALU_DEP_1) | instskip(NEXT) | instid1(VALU_DEP_2)
	v_add_co_u32 v39, vcc_lo, s8, v37
	v_add_co_ci_u32_e32 v40, vcc_lo, s9, v38, vcc_lo
	v_add_co_u32 v33, vcc_lo, s8, v35
	v_add_co_ci_u32_e32 v34, vcc_lo, s9, v36, vcc_lo
	s_mov_b32 s29, -1
	s_clause 0x1
	global_load_u16 v35, v[39:40], off
	global_load_u16 v36, v[33:34], off
	s_mov_b32 s30, exec_lo
	s_waitcnt vmcnt(0)
	v_cmpx_eq_f16_e32 v35, v36
	s_cbranch_execz .LBB1333_70
; %bb.64:
	v_add_co_u32 v33, vcc_lo, v33, 2
	v_add_co_ci_u32_e32 v34, vcc_lo, 0, v34, vcc_lo
	v_add_co_u32 v35, vcc_lo, v39, 2
	v_add_co_ci_u32_e32 v36, vcc_lo, 0, v40, vcc_lo
	s_add_u32 s6, s22, -1
	s_addc_u32 s7, s23, -1
	s_mov_b64 s[18:19], 0
	s_mov_b32 s29, 0
                                        ; implicit-def: $sgpr31
	s_set_inst_prefetch_distance 0x1
	s_branch .LBB1333_67
	.p2align	6
.LBB1333_65:                            ;   in Loop: Header=BB1333_67 Depth=1
	global_load_u16 v39, v[35:36], off
	global_load_u16 v40, v[33:34], off
	v_add_co_u32 v33, vcc_lo, v33, 2
	v_add_co_ci_u32_e32 v34, vcc_lo, 0, v34, vcc_lo
	v_add_co_u32 v35, s2, v35, 2
	s_delay_alu instid0(VALU_DEP_1)
	v_add_co_ci_u32_e64 v36, s2, 0, v36, s2
	s_add_u32 s18, s18, 1
	s_addc_u32 s19, s19, 0
	s_and_not1_b32 s2, s31, exec_lo
	s_waitcnt vmcnt(0)
	v_cmp_neq_f16_e32 vcc_lo, v39, v40
	s_and_b32 s31, vcc_lo, exec_lo
	s_delay_alu instid0(SALU_CYCLE_1)
	s_or_b32 s31, s2, s31
.LBB1333_66:                            ;   in Loop: Header=BB1333_67 Depth=1
	v_dual_mov_b32 v40, s19 :: v_dual_mov_b32 v39, s18
	s_and_b32 s2, exec_lo, s31
	s_delay_alu instid0(SALU_CYCLE_1) | instskip(NEXT) | instid1(SALU_CYCLE_1)
	s_or_b32 s29, s2, s29
	s_and_not1_b32 exec_lo, exec_lo, s29
	s_cbranch_execz .LBB1333_69
.LBB1333_67:                            ; =>This Inner Loop Header: Depth=1
	s_or_b32 s31, s31, exec_lo
	s_cmp_eq_u64 s[6:7], s[18:19]
	s_cbranch_scc0 .LBB1333_65
; %bb.68:                               ;   in Loop: Header=BB1333_67 Depth=1
	s_mov_b64 s[18:19], s[22:23]
                                        ; implicit-def: $vgpr33_vgpr34
                                        ; implicit-def: $vgpr35_vgpr36
	s_branch .LBB1333_66
.LBB1333_69:
	s_set_inst_prefetch_distance 0x2
	s_or_b32 exec_lo, exec_lo, s29
	v_cmp_gt_i64_e32 vcc_lo, s[22:23], v[39:40]
	s_or_not1_b32 s29, vcc_lo, exec_lo
.LBB1333_70:
	s_or_b32 exec_lo, exec_lo, s30
.LBB1333_71:
	v_mul_lo_u32 v35, v28, s22
	v_mul_lo_u32 v36, v27, s23
	v_mad_u64_u32 v[33:34], null, v27, s22, 0
	s_and_not1_b32 vcc_lo, exec_lo, s25
	s_delay_alu instid0(VALU_DEP_1) | instskip(NEXT) | instid1(VALU_DEP_1)
	v_add3_u32 v34, v34, v36, v35
	v_lshlrev_b64 v[33:34], 1, v[33:34]
	s_cbranch_vccnz .LBB1333_80
; %bb.72:
	s_delay_alu instid0(VALU_DEP_1) | instskip(NEXT) | instid1(VALU_DEP_2)
	v_add_co_u32 v39, vcc_lo, s8, v33
	v_add_co_ci_u32_e32 v40, vcc_lo, s9, v34, vcc_lo
	v_add_co_u32 v35, vcc_lo, s8, v37
	v_add_co_ci_u32_e32 v36, vcc_lo, s9, v38, vcc_lo
	s_mov_b32 s27, -1
	s_clause 0x1
	global_load_u16 v37, v[39:40], off
	global_load_u16 v38, v[35:36], off
	s_mov_b32 s30, exec_lo
	s_waitcnt vmcnt(0)
	v_cmpx_eq_f16_e32 v37, v38
	s_cbranch_execz .LBB1333_79
; %bb.73:
	v_add_co_u32 v35, vcc_lo, v35, 2
	v_add_co_ci_u32_e32 v36, vcc_lo, 0, v36, vcc_lo
	v_add_co_u32 v37, vcc_lo, v39, 2
	v_add_co_ci_u32_e32 v38, vcc_lo, 0, v40, vcc_lo
	s_add_u32 s6, s22, -1
	s_addc_u32 s7, s23, -1
	s_mov_b64 s[18:19], 0
	s_mov_b32 s27, 0
                                        ; implicit-def: $sgpr31
	s_set_inst_prefetch_distance 0x1
	s_branch .LBB1333_76
	.p2align	6
.LBB1333_74:                            ;   in Loop: Header=BB1333_76 Depth=1
	global_load_u16 v39, v[37:38], off
	global_load_u16 v40, v[35:36], off
	v_add_co_u32 v35, vcc_lo, v35, 2
	v_add_co_ci_u32_e32 v36, vcc_lo, 0, v36, vcc_lo
	v_add_co_u32 v37, s2, v37, 2
	s_delay_alu instid0(VALU_DEP_1)
	v_add_co_ci_u32_e64 v38, s2, 0, v38, s2
	s_add_u32 s18, s18, 1
	s_addc_u32 s19, s19, 0
	s_and_not1_b32 s2, s31, exec_lo
	s_waitcnt vmcnt(0)
	v_cmp_neq_f16_e32 vcc_lo, v39, v40
	s_and_b32 s31, vcc_lo, exec_lo
	s_delay_alu instid0(SALU_CYCLE_1)
	s_or_b32 s31, s2, s31
.LBB1333_75:                            ;   in Loop: Header=BB1333_76 Depth=1
	v_dual_mov_b32 v40, s19 :: v_dual_mov_b32 v39, s18
	s_and_b32 s2, exec_lo, s31
	s_delay_alu instid0(SALU_CYCLE_1) | instskip(NEXT) | instid1(SALU_CYCLE_1)
	s_or_b32 s27, s2, s27
	s_and_not1_b32 exec_lo, exec_lo, s27
	s_cbranch_execz .LBB1333_78
.LBB1333_76:                            ; =>This Inner Loop Header: Depth=1
	s_or_b32 s31, s31, exec_lo
	s_cmp_eq_u64 s[6:7], s[18:19]
	s_cbranch_scc0 .LBB1333_74
; %bb.77:                               ;   in Loop: Header=BB1333_76 Depth=1
	s_mov_b64 s[18:19], s[22:23]
                                        ; implicit-def: $vgpr35_vgpr36
                                        ; implicit-def: $vgpr37_vgpr38
	s_branch .LBB1333_75
.LBB1333_78:
	s_set_inst_prefetch_distance 0x2
	s_or_b32 exec_lo, exec_lo, s27
	v_cmp_gt_i64_e32 vcc_lo, s[22:23], v[39:40]
	s_or_not1_b32 s27, vcc_lo, exec_lo
.LBB1333_79:
	s_or_b32 exec_lo, exec_lo, s30
.LBB1333_80:
	v_mul_lo_u32 v37, v26, s22
	v_mul_lo_u32 v38, v25, s23
	v_mad_u64_u32 v[35:36], null, v25, s22, 0
	s_mov_b32 s30, 0
	s_and_not1_b32 vcc_lo, exec_lo, s25
	s_mov_b32 s31, 0
	s_delay_alu instid0(VALU_DEP_1) | instskip(NEXT) | instid1(VALU_DEP_1)
	v_add3_u32 v36, v36, v38, v37
	v_lshlrev_b64 v[37:38], 1, v[35:36]
	s_cbranch_vccnz .LBB1333_89
; %bb.81:
	s_delay_alu instid0(VALU_DEP_1) | instskip(NEXT) | instid1(VALU_DEP_2)
	v_add_co_u32 v35, vcc_lo, s8, v37
	v_add_co_ci_u32_e32 v36, vcc_lo, s9, v38, vcc_lo
	v_add_co_u32 v33, vcc_lo, s8, v33
	v_add_co_ci_u32_e32 v34, vcc_lo, s9, v34, vcc_lo
	s_mov_b32 s31, -1
	s_clause 0x1
	global_load_u16 v39, v[35:36], off
	global_load_u16 v40, v[33:34], off
	s_mov_b32 s33, exec_lo
	s_waitcnt vmcnt(0)
	v_cmpx_eq_f16_e32 v39, v40
	s_cbranch_execz .LBB1333_88
; %bb.82:
	v_add_co_u32 v33, vcc_lo, v33, 2
	v_add_co_ci_u32_e32 v34, vcc_lo, 0, v34, vcc_lo
	v_add_co_u32 v35, vcc_lo, v35, 2
	v_add_co_ci_u32_e32 v36, vcc_lo, 0, v36, vcc_lo
	s_add_u32 s6, s22, -1
	s_addc_u32 s7, s23, -1
	s_mov_b64 s[18:19], 0
	s_mov_b32 s31, 0
                                        ; implicit-def: $sgpr34
	s_set_inst_prefetch_distance 0x1
	s_branch .LBB1333_85
	.p2align	6
.LBB1333_83:                            ;   in Loop: Header=BB1333_85 Depth=1
	global_load_u16 v39, v[35:36], off
	global_load_u16 v40, v[33:34], off
	v_add_co_u32 v33, vcc_lo, v33, 2
	v_add_co_ci_u32_e32 v34, vcc_lo, 0, v34, vcc_lo
	v_add_co_u32 v35, s2, v35, 2
	s_delay_alu instid0(VALU_DEP_1)
	v_add_co_ci_u32_e64 v36, s2, 0, v36, s2
	s_add_u32 s18, s18, 1
	s_addc_u32 s19, s19, 0
	s_and_not1_b32 s2, s34, exec_lo
	s_waitcnt vmcnt(0)
	v_cmp_neq_f16_e32 vcc_lo, v39, v40
	s_and_b32 s34, vcc_lo, exec_lo
	s_delay_alu instid0(SALU_CYCLE_1)
	s_or_b32 s34, s2, s34
.LBB1333_84:                            ;   in Loop: Header=BB1333_85 Depth=1
	v_dual_mov_b32 v40, s19 :: v_dual_mov_b32 v39, s18
	s_and_b32 s2, exec_lo, s34
	s_delay_alu instid0(SALU_CYCLE_1) | instskip(NEXT) | instid1(SALU_CYCLE_1)
	s_or_b32 s31, s2, s31
	s_and_not1_b32 exec_lo, exec_lo, s31
	s_cbranch_execz .LBB1333_87
.LBB1333_85:                            ; =>This Inner Loop Header: Depth=1
	s_or_b32 s34, s34, exec_lo
	s_cmp_eq_u64 s[6:7], s[18:19]
	s_cbranch_scc0 .LBB1333_83
; %bb.86:                               ;   in Loop: Header=BB1333_85 Depth=1
	s_mov_b64 s[18:19], s[22:23]
                                        ; implicit-def: $vgpr33_vgpr34
                                        ; implicit-def: $vgpr35_vgpr36
	s_branch .LBB1333_84
.LBB1333_87:
	s_set_inst_prefetch_distance 0x2
	s_or_b32 exec_lo, exec_lo, s31
	v_cmp_gt_i64_e32 vcc_lo, s[22:23], v[39:40]
	s_or_not1_b32 s31, vcc_lo, exec_lo
.LBB1333_88:
	s_or_b32 exec_lo, exec_lo, s33
.LBB1333_89:
	v_mul_lo_u32 v35, v32, s22
	v_mul_lo_u32 v36, v31, s23
	v_mad_u64_u32 v[33:34], null, v31, s22, 0
	s_and_not1_b32 vcc_lo, exec_lo, s25
	s_delay_alu instid0(VALU_DEP_1) | instskip(NEXT) | instid1(VALU_DEP_1)
	v_add3_u32 v34, v34, v36, v35
	v_lshlrev_b64 v[35:36], 1, v[33:34]
	s_cbranch_vccnz .LBB1333_98
; %bb.90:
	s_delay_alu instid0(VALU_DEP_1) | instskip(NEXT) | instid1(VALU_DEP_2)
	v_add_co_u32 v39, vcc_lo, s8, v35
	v_add_co_ci_u32_e32 v40, vcc_lo, s9, v36, vcc_lo
	v_add_co_u32 v33, vcc_lo, s8, v37
	v_add_co_ci_u32_e32 v34, vcc_lo, s9, v38, vcc_lo
	s_mov_b32 s30, -1
	s_clause 0x1
	global_load_u16 v37, v[39:40], off
	global_load_u16 v38, v[33:34], off
	s_mov_b32 s33, exec_lo
	s_waitcnt vmcnt(0)
	v_cmpx_eq_f16_e32 v37, v38
	s_cbranch_execz .LBB1333_97
; %bb.91:
	v_add_co_u32 v33, vcc_lo, v33, 2
	v_add_co_ci_u32_e32 v34, vcc_lo, 0, v34, vcc_lo
	v_add_co_u32 v37, vcc_lo, v39, 2
	v_add_co_ci_u32_e32 v38, vcc_lo, 0, v40, vcc_lo
	s_add_u32 s6, s22, -1
	s_addc_u32 s7, s23, -1
	s_mov_b64 s[18:19], 0
	s_mov_b32 s30, 0
                                        ; implicit-def: $sgpr34
	s_set_inst_prefetch_distance 0x1
	s_branch .LBB1333_94
	.p2align	6
.LBB1333_92:                            ;   in Loop: Header=BB1333_94 Depth=1
	global_load_u16 v39, v[37:38], off
	global_load_u16 v40, v[33:34], off
	v_add_co_u32 v33, vcc_lo, v33, 2
	v_add_co_ci_u32_e32 v34, vcc_lo, 0, v34, vcc_lo
	v_add_co_u32 v37, s2, v37, 2
	s_delay_alu instid0(VALU_DEP_1)
	v_add_co_ci_u32_e64 v38, s2, 0, v38, s2
	s_add_u32 s18, s18, 1
	s_addc_u32 s19, s19, 0
	s_and_not1_b32 s2, s34, exec_lo
	s_waitcnt vmcnt(0)
	v_cmp_neq_f16_e32 vcc_lo, v39, v40
	s_and_b32 s34, vcc_lo, exec_lo
	s_delay_alu instid0(SALU_CYCLE_1)
	s_or_b32 s34, s2, s34
.LBB1333_93:                            ;   in Loop: Header=BB1333_94 Depth=1
	v_dual_mov_b32 v40, s19 :: v_dual_mov_b32 v39, s18
	s_and_b32 s2, exec_lo, s34
	s_delay_alu instid0(SALU_CYCLE_1) | instskip(NEXT) | instid1(SALU_CYCLE_1)
	s_or_b32 s30, s2, s30
	s_and_not1_b32 exec_lo, exec_lo, s30
	s_cbranch_execz .LBB1333_96
.LBB1333_94:                            ; =>This Inner Loop Header: Depth=1
	s_or_b32 s34, s34, exec_lo
	s_cmp_eq_u64 s[6:7], s[18:19]
	s_cbranch_scc0 .LBB1333_92
; %bb.95:                               ;   in Loop: Header=BB1333_94 Depth=1
	s_mov_b64 s[18:19], s[22:23]
                                        ; implicit-def: $vgpr33_vgpr34
                                        ; implicit-def: $vgpr37_vgpr38
	s_branch .LBB1333_93
.LBB1333_96:
	s_set_inst_prefetch_distance 0x2
	s_or_b32 exec_lo, exec_lo, s30
	v_cmp_gt_i64_e32 vcc_lo, s[22:23], v[39:40]
	s_or_not1_b32 s30, vcc_lo, exec_lo
.LBB1333_97:
	s_or_b32 exec_lo, exec_lo, s33
.LBB1333_98:
	v_mul_lo_u32 v37, v30, s22
	v_mul_lo_u32 v38, v29, s23
	v_mad_u64_u32 v[33:34], null, v29, s22, 0
	s_and_not1_b32 vcc_lo, exec_lo, s25
	s_mov_b32 s2, 0
	s_delay_alu instid0(VALU_DEP_1) | instskip(NEXT) | instid1(VALU_DEP_1)
	v_add3_u32 v34, v34, v38, v37
	v_lshlrev_b64 v[33:34], 1, v[33:34]
	s_cbranch_vccnz .LBB1333_107
; %bb.99:
	s_delay_alu instid0(VALU_DEP_1) | instskip(NEXT) | instid1(VALU_DEP_2)
	v_add_co_u32 v37, vcc_lo, s8, v33
	v_add_co_ci_u32_e32 v38, vcc_lo, s9, v34, vcc_lo
	v_add_co_u32 v35, vcc_lo, s8, v35
	v_add_co_ci_u32_e32 v36, vcc_lo, s9, v36, vcc_lo
	s_mov_b32 s2, -1
	s_clause 0x1
	global_load_u16 v39, v[37:38], off
	global_load_u16 v40, v[35:36], off
	s_mov_b32 s33, exec_lo
	s_waitcnt vmcnt(0)
	v_cmpx_eq_f16_e32 v39, v40
	s_cbranch_execz .LBB1333_106
; %bb.100:
	v_add_co_u32 v35, vcc_lo, v35, 2
	v_add_co_ci_u32_e32 v36, vcc_lo, 0, v36, vcc_lo
	v_add_co_u32 v37, vcc_lo, v37, 2
	v_add_co_ci_u32_e32 v38, vcc_lo, 0, v38, vcc_lo
	s_add_u32 s6, s22, -1
	s_addc_u32 s7, s23, -1
	s_mov_b64 s[18:19], 0
	s_mov_b32 s34, 0
                                        ; implicit-def: $sgpr35
	s_set_inst_prefetch_distance 0x1
	s_branch .LBB1333_103
	.p2align	6
.LBB1333_101:                           ;   in Loop: Header=BB1333_103 Depth=1
	global_load_u16 v39, v[37:38], off
	global_load_u16 v40, v[35:36], off
	v_add_co_u32 v35, vcc_lo, v35, 2
	v_add_co_ci_u32_e32 v36, vcc_lo, 0, v36, vcc_lo
	v_add_co_u32 v37, s2, v37, 2
	s_delay_alu instid0(VALU_DEP_1)
	v_add_co_ci_u32_e64 v38, s2, 0, v38, s2
	s_add_u32 s18, s18, 1
	s_addc_u32 s19, s19, 0
	s_and_not1_b32 s2, s35, exec_lo
	s_waitcnt vmcnt(0)
	v_cmp_neq_f16_e32 vcc_lo, v39, v40
	s_and_b32 s35, vcc_lo, exec_lo
	s_delay_alu instid0(SALU_CYCLE_1)
	s_or_b32 s35, s2, s35
.LBB1333_102:                           ;   in Loop: Header=BB1333_103 Depth=1
	v_dual_mov_b32 v40, s19 :: v_dual_mov_b32 v39, s18
	s_and_b32 s2, exec_lo, s35
	s_delay_alu instid0(SALU_CYCLE_1) | instskip(NEXT) | instid1(SALU_CYCLE_1)
	s_or_b32 s34, s2, s34
	s_and_not1_b32 exec_lo, exec_lo, s34
	s_cbranch_execz .LBB1333_105
.LBB1333_103:                           ; =>This Inner Loop Header: Depth=1
	s_or_b32 s35, s35, exec_lo
	s_cmp_eq_u64 s[6:7], s[18:19]
	s_cbranch_scc0 .LBB1333_101
; %bb.104:                              ;   in Loop: Header=BB1333_103 Depth=1
	s_mov_b64 s[18:19], s[22:23]
                                        ; implicit-def: $vgpr35_vgpr36
                                        ; implicit-def: $vgpr37_vgpr38
	s_branch .LBB1333_102
.LBB1333_105:
	s_set_inst_prefetch_distance 0x2
	s_or_b32 exec_lo, exec_lo, s34
	v_cmp_gt_i64_e32 vcc_lo, s[22:23], v[39:40]
	s_or_not1_b32 s2, vcc_lo, exec_lo
.LBB1333_106:
	s_or_b32 exec_lo, exec_lo, s33
.LBB1333_107:
	s_waitcnt lgkmcnt(0)
	v_dual_mov_b32 v36, s5 :: v_dual_mov_b32 v35, s4
	s_mov_b32 s6, exec_lo
	s_barrier
	buffer_gl0_inv
	v_cmpx_ne_u32_e32 0, v0
	s_cbranch_execz .LBB1333_109
; %bb.108:
	v_add_nc_u32_e32 v35, -8, v55
	ds_load_b64 v[35:36], v35
.LBB1333_109:
	s_or_b32 exec_lo, exec_lo, s6
	v_cndmask_b32_e64 v38, 0, 1, s31
	v_cndmask_b32_e64 v40, 0, 1, s29
	;; [unrolled: 1-line block ×7, first 2 shown]
	v_lshlrev_b16 v38, 8, v38
	v_lshlrev_b16 v40, 8, v40
	;; [unrolled: 1-line block ×4, first 2 shown]
	s_mov_b32 s3, 0
	v_or_b32_e32 v37, v37, v38
	v_or_b32_e32 v38, v39, v40
	;; [unrolled: 1-line block ×3, first 2 shown]
	v_and_b32_e32 v39, 0xffff, v43
	s_and_not1_b32 vcc_lo, exec_lo, s25
	v_lshlrev_b32_e32 v40, 16, v37
	v_and_b32_e32 v42, 0xffff, v38
	v_lshlrev_b32_e32 v43, 16, v44
	s_mov_b32 s2, 0
	s_cbranch_vccnz .LBB1333_118
; %bb.110:
	s_waitcnt lgkmcnt(0)
	v_mul_lo_u32 v38, v36, s22
	v_mul_lo_u32 v44, v35, s23
	v_mad_u64_u32 v[36:37], null, v35, s22, 0
	s_mov_b32 s2, -1
	s_mov_b32 s26, exec_lo
	s_delay_alu instid0(VALU_DEP_1) | instskip(NEXT) | instid1(VALU_DEP_1)
	v_add3_u32 v37, v37, v44, v38
	v_lshlrev_b64 v[35:36], 1, v[36:37]
	s_delay_alu instid0(VALU_DEP_1) | instskip(NEXT) | instid1(VALU_DEP_2)
	v_add_co_u32 v35, vcc_lo, s8, v35
	v_add_co_ci_u32_e32 v36, vcc_lo, s9, v36, vcc_lo
	v_add_co_u32 v33, vcc_lo, s8, v33
	v_add_co_ci_u32_e32 v34, vcc_lo, s9, v34, vcc_lo
	s_clause 0x1
	global_load_u16 v37, v[35:36], off
	global_load_u16 v38, v[33:34], off
	s_waitcnt vmcnt(0)
	v_cmpx_eq_f16_e32 v37, v38
	s_cbranch_execz .LBB1333_117
; %bb.111:
	v_add_co_u32 v33, vcc_lo, v33, 2
	v_add_co_ci_u32_e32 v34, vcc_lo, 0, v34, vcc_lo
	v_add_co_u32 v35, vcc_lo, v35, 2
	v_add_co_ci_u32_e32 v36, vcc_lo, 0, v36, vcc_lo
	s_add_u32 s6, s22, -1
	s_addc_u32 s7, s23, -1
	s_mov_b64 s[18:19], 0
	s_mov_b32 s27, 0
                                        ; implicit-def: $sgpr29
	s_set_inst_prefetch_distance 0x1
	s_branch .LBB1333_114
	.p2align	6
.LBB1333_112:                           ;   in Loop: Header=BB1333_114 Depth=1
	global_load_u16 v37, v[35:36], off
	global_load_u16 v38, v[33:34], off
	v_add_co_u32 v33, vcc_lo, v33, 2
	v_add_co_ci_u32_e32 v34, vcc_lo, 0, v34, vcc_lo
	v_add_co_u32 v35, s2, v35, 2
	s_delay_alu instid0(VALU_DEP_1)
	v_add_co_ci_u32_e64 v36, s2, 0, v36, s2
	s_add_u32 s18, s18, 1
	s_addc_u32 s19, s19, 0
	s_and_not1_b32 s2, s29, exec_lo
	s_waitcnt vmcnt(0)
	v_cmp_neq_f16_e32 vcc_lo, v37, v38
	s_and_b32 s29, vcc_lo, exec_lo
	s_delay_alu instid0(SALU_CYCLE_1)
	s_or_b32 s29, s2, s29
.LBB1333_113:                           ;   in Loop: Header=BB1333_114 Depth=1
	v_dual_mov_b32 v38, s19 :: v_dual_mov_b32 v37, s18
	s_and_b32 s2, exec_lo, s29
	s_delay_alu instid0(SALU_CYCLE_1) | instskip(NEXT) | instid1(SALU_CYCLE_1)
	s_or_b32 s27, s2, s27
	s_and_not1_b32 exec_lo, exec_lo, s27
	s_cbranch_execz .LBB1333_116
.LBB1333_114:                           ; =>This Inner Loop Header: Depth=1
	s_or_b32 s29, s29, exec_lo
	s_cmp_eq_u64 s[6:7], s[18:19]
	s_cbranch_scc0 .LBB1333_112
; %bb.115:                              ;   in Loop: Header=BB1333_114 Depth=1
	s_mov_b64 s[18:19], s[22:23]
                                        ; implicit-def: $vgpr33_vgpr34
                                        ; implicit-def: $vgpr35_vgpr36
	s_branch .LBB1333_113
.LBB1333_116:
	s_set_inst_prefetch_distance 0x2
	s_or_b32 exec_lo, exec_lo, s27
	v_cmp_gt_i64_e32 vcc_lo, s[22:23], v[37:38]
	s_or_not1_b32 s2, vcc_lo, exec_lo
.LBB1333_117:
	s_or_b32 exec_lo, exec_lo, s26
.LBB1333_118:
	v_or_b32_e32 v33, v39, v40
	s_delay_alu instid0(VALU_DEP_2)
	v_or_b32_e32 v34, v42, v43
	s_and_b32 vcc_lo, exec_lo, s3
	s_cbranch_vccz .LBB1333_210
.LBB1333_119:
	v_or_b32_e32 v33, 7, v55
	s_mov_b32 s3, 0
	s_mov_b32 s26, 0
	s_mov_b32 s27, exec_lo
	s_delay_alu instid0(VALU_DEP_1)
	v_cmpx_gt_u32_e64 s28, v33
	s_cbranch_execz .LBB1333_130
; %bb.120:
	s_and_not1_b32 vcc_lo, exec_lo, s25
	s_mov_b32 s2, 0
	s_cbranch_vccnz .LBB1333_129
; %bb.121:
	v_mul_lo_u32 v37, v18, s22
	v_mul_lo_u32 v38, v17, s23
	v_mad_u64_u32 v[33:34], null, v17, s22, 0
	v_mul_lo_u32 v39, v20, s22
	v_mul_lo_u32 v40, v19, s23
	s_waitcnt lgkmcnt(0)
	v_mad_u64_u32 v[35:36], null, v19, s22, 0
	s_mov_b32 s2, -1
	s_mov_b32 s25, exec_lo
	s_delay_alu instid0(VALU_DEP_4) | instskip(NEXT) | instid1(VALU_DEP_2)
	v_add3_u32 v34, v34, v38, v37
	v_add3_u32 v36, v36, v40, v39
	s_delay_alu instid0(VALU_DEP_2) | instskip(NEXT) | instid1(VALU_DEP_2)
	v_lshlrev_b64 v[33:34], 1, v[33:34]
	v_lshlrev_b64 v[37:38], 1, v[35:36]
	s_delay_alu instid0(VALU_DEP_2) | instskip(NEXT) | instid1(VALU_DEP_3)
	v_add_co_u32 v35, vcc_lo, s8, v33
	v_add_co_ci_u32_e32 v36, vcc_lo, s9, v34, vcc_lo
	s_delay_alu instid0(VALU_DEP_3) | instskip(NEXT) | instid1(VALU_DEP_4)
	v_add_co_u32 v33, vcc_lo, s8, v37
	v_add_co_ci_u32_e32 v34, vcc_lo, s9, v38, vcc_lo
	s_clause 0x1
	global_load_u16 v37, v[35:36], off
	global_load_u16 v38, v[33:34], off
	s_waitcnt vmcnt(0)
	v_cmpx_eq_f16_e32 v37, v38
	s_cbranch_execz .LBB1333_128
; %bb.122:
	v_add_co_u32 v33, vcc_lo, v33, 2
	v_add_co_ci_u32_e32 v34, vcc_lo, 0, v34, vcc_lo
	v_add_co_u32 v35, vcc_lo, v35, 2
	v_add_co_ci_u32_e32 v36, vcc_lo, 0, v36, vcc_lo
	s_add_u32 s6, s22, -1
	s_addc_u32 s7, s23, -1
	s_mov_b64 s[18:19], 0
                                        ; implicit-def: $sgpr29
	s_set_inst_prefetch_distance 0x1
	s_branch .LBB1333_125
	.p2align	6
.LBB1333_123:                           ;   in Loop: Header=BB1333_125 Depth=1
	global_load_u16 v37, v[35:36], off
	global_load_u16 v38, v[33:34], off
	v_add_co_u32 v33, vcc_lo, v33, 2
	v_add_co_ci_u32_e32 v34, vcc_lo, 0, v34, vcc_lo
	v_add_co_u32 v35, s2, v35, 2
	s_delay_alu instid0(VALU_DEP_1)
	v_add_co_ci_u32_e64 v36, s2, 0, v36, s2
	s_add_u32 s18, s18, 1
	s_addc_u32 s19, s19, 0
	s_and_not1_b32 s2, s29, exec_lo
	s_waitcnt vmcnt(0)
	v_cmp_neq_f16_e32 vcc_lo, v37, v38
	s_and_b32 s29, vcc_lo, exec_lo
	s_delay_alu instid0(SALU_CYCLE_1)
	s_or_b32 s29, s2, s29
.LBB1333_124:                           ;   in Loop: Header=BB1333_125 Depth=1
	v_dual_mov_b32 v38, s19 :: v_dual_mov_b32 v37, s18
	s_and_b32 s2, exec_lo, s29
	s_delay_alu instid0(SALU_CYCLE_1) | instskip(NEXT) | instid1(SALU_CYCLE_1)
	s_or_b32 s26, s2, s26
	s_and_not1_b32 exec_lo, exec_lo, s26
	s_cbranch_execz .LBB1333_127
.LBB1333_125:                           ; =>This Inner Loop Header: Depth=1
	s_or_b32 s29, s29, exec_lo
	s_cmp_eq_u64 s[6:7], s[18:19]
	s_cbranch_scc0 .LBB1333_123
; %bb.126:                              ;   in Loop: Header=BB1333_125 Depth=1
	s_mov_b64 s[18:19], s[22:23]
                                        ; implicit-def: $vgpr33_vgpr34
                                        ; implicit-def: $vgpr35_vgpr36
	s_branch .LBB1333_124
.LBB1333_127:
	s_set_inst_prefetch_distance 0x2
	s_or_b32 exec_lo, exec_lo, s26
	v_cmp_gt_i64_e32 vcc_lo, s[22:23], v[37:38]
	s_or_not1_b32 s2, vcc_lo, exec_lo
.LBB1333_128:
	s_or_b32 exec_lo, exec_lo, s25
.LBB1333_129:
	s_delay_alu instid0(SALU_CYCLE_1)
	s_and_b32 s26, s2, exec_lo
.LBB1333_130:
	s_or_b32 exec_lo, exec_lo, s27
	v_or_b32_e32 v33, 6, v55
	s_mov_b32 s25, exec_lo
	s_delay_alu instid0(VALU_DEP_1)
	v_cmpx_gt_u32_e64 s28, v33
	s_cbranch_execz .LBB1333_141
; %bb.131:
	v_cmp_ne_u32_e32 vcc_lo, 1, v41
	s_mov_b32 s2, 0
	s_cbranch_vccnz .LBB1333_140
; %bb.132:
	v_mul_lo_u32 v37, v24, s22
	v_mul_lo_u32 v38, v23, s23
	v_mad_u64_u32 v[33:34], null, v23, s22, 0
	v_mul_lo_u32 v39, v18, s22
	v_mul_lo_u32 v40, v17, s23
	s_waitcnt lgkmcnt(0)
	v_mad_u64_u32 v[35:36], null, v17, s22, 0
	s_mov_b32 s2, -1
	s_mov_b32 s3, exec_lo
	s_delay_alu instid0(VALU_DEP_4) | instskip(NEXT) | instid1(VALU_DEP_2)
	v_add3_u32 v34, v34, v38, v37
	v_add3_u32 v36, v36, v40, v39
	s_delay_alu instid0(VALU_DEP_2) | instskip(NEXT) | instid1(VALU_DEP_2)
	v_lshlrev_b64 v[33:34], 1, v[33:34]
	v_lshlrev_b64 v[37:38], 1, v[35:36]
	s_delay_alu instid0(VALU_DEP_2) | instskip(NEXT) | instid1(VALU_DEP_3)
	v_add_co_u32 v35, vcc_lo, s8, v33
	v_add_co_ci_u32_e32 v36, vcc_lo, s9, v34, vcc_lo
	s_delay_alu instid0(VALU_DEP_3) | instskip(NEXT) | instid1(VALU_DEP_4)
	v_add_co_u32 v33, vcc_lo, s8, v37
	v_add_co_ci_u32_e32 v34, vcc_lo, s9, v38, vcc_lo
	s_clause 0x1
	global_load_u16 v37, v[35:36], off
	global_load_u16 v38, v[33:34], off
	s_waitcnt vmcnt(0)
	v_cmpx_eq_f16_e32 v37, v38
	s_cbranch_execz .LBB1333_139
; %bb.133:
	v_add_co_u32 v33, vcc_lo, v33, 2
	v_add_co_ci_u32_e32 v34, vcc_lo, 0, v34, vcc_lo
	v_add_co_u32 v35, vcc_lo, v35, 2
	v_add_co_ci_u32_e32 v36, vcc_lo, 0, v36, vcc_lo
	s_add_u32 s6, s22, -1
	s_addc_u32 s7, s23, -1
	s_mov_b64 s[18:19], 0
	s_mov_b32 s27, 0
                                        ; implicit-def: $sgpr29
	s_set_inst_prefetch_distance 0x1
	s_branch .LBB1333_136
	.p2align	6
.LBB1333_134:                           ;   in Loop: Header=BB1333_136 Depth=1
	global_load_u16 v37, v[35:36], off
	global_load_u16 v38, v[33:34], off
	v_add_co_u32 v33, vcc_lo, v33, 2
	v_add_co_ci_u32_e32 v34, vcc_lo, 0, v34, vcc_lo
	v_add_co_u32 v35, s2, v35, 2
	s_delay_alu instid0(VALU_DEP_1)
	v_add_co_ci_u32_e64 v36, s2, 0, v36, s2
	s_add_u32 s18, s18, 1
	s_addc_u32 s19, s19, 0
	s_and_not1_b32 s2, s29, exec_lo
	s_waitcnt vmcnt(0)
	v_cmp_neq_f16_e32 vcc_lo, v37, v38
	s_and_b32 s29, vcc_lo, exec_lo
	s_delay_alu instid0(SALU_CYCLE_1)
	s_or_b32 s29, s2, s29
.LBB1333_135:                           ;   in Loop: Header=BB1333_136 Depth=1
	v_dual_mov_b32 v38, s19 :: v_dual_mov_b32 v37, s18
	s_and_b32 s2, exec_lo, s29
	s_delay_alu instid0(SALU_CYCLE_1) | instskip(NEXT) | instid1(SALU_CYCLE_1)
	s_or_b32 s27, s2, s27
	s_and_not1_b32 exec_lo, exec_lo, s27
	s_cbranch_execz .LBB1333_138
.LBB1333_136:                           ; =>This Inner Loop Header: Depth=1
	s_or_b32 s29, s29, exec_lo
	s_cmp_eq_u64 s[6:7], s[18:19]
	s_cbranch_scc0 .LBB1333_134
; %bb.137:                              ;   in Loop: Header=BB1333_136 Depth=1
	s_mov_b64 s[18:19], s[22:23]
                                        ; implicit-def: $vgpr33_vgpr34
                                        ; implicit-def: $vgpr35_vgpr36
	s_branch .LBB1333_135
.LBB1333_138:
	s_set_inst_prefetch_distance 0x2
	s_or_b32 exec_lo, exec_lo, s27
	v_cmp_gt_i64_e32 vcc_lo, s[22:23], v[37:38]
	s_or_not1_b32 s2, vcc_lo, exec_lo
.LBB1333_139:
	s_or_b32 exec_lo, exec_lo, s3
.LBB1333_140:
	s_delay_alu instid0(SALU_CYCLE_1)
	s_and_b32 s3, s2, exec_lo
.LBB1333_141:
	s_or_b32 exec_lo, exec_lo, s25
	v_or_b32_e32 v33, 5, v55
	s_mov_b32 s27, 0
	s_mov_b32 s25, 0
	s_mov_b32 s29, exec_lo
	s_delay_alu instid0(VALU_DEP_1)
	v_cmpx_gt_u32_e64 s28, v33
	s_cbranch_execz .LBB1333_152
; %bb.142:
	v_cmp_ne_u32_e32 vcc_lo, 1, v41
	s_mov_b32 s2, 0
	s_cbranch_vccnz .LBB1333_151
; %bb.143:
	v_mul_lo_u32 v37, v22, s22
	v_mul_lo_u32 v38, v21, s23
	v_mad_u64_u32 v[33:34], null, v21, s22, 0
	v_mul_lo_u32 v39, v24, s22
	v_mul_lo_u32 v40, v23, s23
	s_waitcnt lgkmcnt(0)
	v_mad_u64_u32 v[35:36], null, v23, s22, 0
	s_mov_b32 s2, -1
	s_mov_b32 s25, exec_lo
	s_delay_alu instid0(VALU_DEP_4) | instskip(NEXT) | instid1(VALU_DEP_2)
	v_add3_u32 v34, v34, v38, v37
	v_add3_u32 v36, v36, v40, v39
	s_delay_alu instid0(VALU_DEP_2) | instskip(NEXT) | instid1(VALU_DEP_2)
	v_lshlrev_b64 v[33:34], 1, v[33:34]
	v_lshlrev_b64 v[37:38], 1, v[35:36]
	s_delay_alu instid0(VALU_DEP_2) | instskip(NEXT) | instid1(VALU_DEP_3)
	v_add_co_u32 v35, vcc_lo, s8, v33
	v_add_co_ci_u32_e32 v36, vcc_lo, s9, v34, vcc_lo
	s_delay_alu instid0(VALU_DEP_3) | instskip(NEXT) | instid1(VALU_DEP_4)
	v_add_co_u32 v33, vcc_lo, s8, v37
	v_add_co_ci_u32_e32 v34, vcc_lo, s9, v38, vcc_lo
	s_clause 0x1
	global_load_u16 v37, v[35:36], off
	global_load_u16 v38, v[33:34], off
	s_waitcnt vmcnt(0)
	v_cmpx_eq_f16_e32 v37, v38
	s_cbranch_execz .LBB1333_150
; %bb.144:
	v_add_co_u32 v33, vcc_lo, v33, 2
	v_add_co_ci_u32_e32 v34, vcc_lo, 0, v34, vcc_lo
	v_add_co_u32 v35, vcc_lo, v35, 2
	v_add_co_ci_u32_e32 v36, vcc_lo, 0, v36, vcc_lo
	s_add_u32 s6, s22, -1
	s_addc_u32 s7, s23, -1
	s_mov_b64 s[18:19], 0
	s_mov_b32 s30, 0
                                        ; implicit-def: $sgpr31
	s_set_inst_prefetch_distance 0x1
	s_branch .LBB1333_147
	.p2align	6
.LBB1333_145:                           ;   in Loop: Header=BB1333_147 Depth=1
	global_load_u16 v37, v[35:36], off
	global_load_u16 v38, v[33:34], off
	v_add_co_u32 v33, vcc_lo, v33, 2
	v_add_co_ci_u32_e32 v34, vcc_lo, 0, v34, vcc_lo
	v_add_co_u32 v35, s2, v35, 2
	s_delay_alu instid0(VALU_DEP_1)
	v_add_co_ci_u32_e64 v36, s2, 0, v36, s2
	s_add_u32 s18, s18, 1
	s_addc_u32 s19, s19, 0
	s_and_not1_b32 s2, s31, exec_lo
	s_waitcnt vmcnt(0)
	v_cmp_neq_f16_e32 vcc_lo, v37, v38
	s_and_b32 s31, vcc_lo, exec_lo
	s_delay_alu instid0(SALU_CYCLE_1)
	s_or_b32 s31, s2, s31
.LBB1333_146:                           ;   in Loop: Header=BB1333_147 Depth=1
	v_dual_mov_b32 v38, s19 :: v_dual_mov_b32 v37, s18
	s_and_b32 s2, exec_lo, s31
	s_delay_alu instid0(SALU_CYCLE_1) | instskip(NEXT) | instid1(SALU_CYCLE_1)
	s_or_b32 s30, s2, s30
	s_and_not1_b32 exec_lo, exec_lo, s30
	s_cbranch_execz .LBB1333_149
.LBB1333_147:                           ; =>This Inner Loop Header: Depth=1
	s_or_b32 s31, s31, exec_lo
	s_cmp_eq_u64 s[6:7], s[18:19]
	s_cbranch_scc0 .LBB1333_145
; %bb.148:                              ;   in Loop: Header=BB1333_147 Depth=1
	s_mov_b64 s[18:19], s[22:23]
                                        ; implicit-def: $vgpr33_vgpr34
                                        ; implicit-def: $vgpr35_vgpr36
	s_branch .LBB1333_146
.LBB1333_149:
	s_set_inst_prefetch_distance 0x2
	s_or_b32 exec_lo, exec_lo, s30
	v_cmp_gt_i64_e32 vcc_lo, s[22:23], v[37:38]
	s_or_not1_b32 s2, vcc_lo, exec_lo
.LBB1333_150:
	s_or_b32 exec_lo, exec_lo, s25
.LBB1333_151:
	s_delay_alu instid0(SALU_CYCLE_1)
	s_and_b32 s25, s2, exec_lo
.LBB1333_152:
	s_or_b32 exec_lo, exec_lo, s29
	v_or_b32_e32 v33, 4, v55
	s_mov_b32 s29, exec_lo
	s_delay_alu instid0(VALU_DEP_1)
	v_cmpx_gt_u32_e64 s28, v33
	s_cbranch_execz .LBB1333_163
; %bb.153:
	v_cmp_ne_u32_e32 vcc_lo, 1, v41
	s_mov_b32 s2, 0
	s_cbranch_vccnz .LBB1333_162
; %bb.154:
	v_mul_lo_u32 v37, v28, s22
	v_mul_lo_u32 v38, v27, s23
	v_mad_u64_u32 v[33:34], null, v27, s22, 0
	v_mul_lo_u32 v39, v22, s22
	v_mul_lo_u32 v40, v21, s23
	s_waitcnt lgkmcnt(0)
	v_mad_u64_u32 v[35:36], null, v21, s22, 0
	s_mov_b32 s2, -1
	s_mov_b32 s27, exec_lo
	s_delay_alu instid0(VALU_DEP_4) | instskip(NEXT) | instid1(VALU_DEP_2)
	v_add3_u32 v34, v34, v38, v37
	v_add3_u32 v36, v36, v40, v39
	s_delay_alu instid0(VALU_DEP_2) | instskip(NEXT) | instid1(VALU_DEP_2)
	v_lshlrev_b64 v[33:34], 1, v[33:34]
	v_lshlrev_b64 v[37:38], 1, v[35:36]
	s_delay_alu instid0(VALU_DEP_2) | instskip(NEXT) | instid1(VALU_DEP_3)
	v_add_co_u32 v35, vcc_lo, s8, v33
	v_add_co_ci_u32_e32 v36, vcc_lo, s9, v34, vcc_lo
	s_delay_alu instid0(VALU_DEP_3) | instskip(NEXT) | instid1(VALU_DEP_4)
	v_add_co_u32 v33, vcc_lo, s8, v37
	v_add_co_ci_u32_e32 v34, vcc_lo, s9, v38, vcc_lo
	s_clause 0x1
	global_load_u16 v37, v[35:36], off
	global_load_u16 v38, v[33:34], off
	s_waitcnt vmcnt(0)
	v_cmpx_eq_f16_e32 v37, v38
	s_cbranch_execz .LBB1333_161
; %bb.155:
	v_add_co_u32 v33, vcc_lo, v33, 2
	v_add_co_ci_u32_e32 v34, vcc_lo, 0, v34, vcc_lo
	v_add_co_u32 v35, vcc_lo, v35, 2
	v_add_co_ci_u32_e32 v36, vcc_lo, 0, v36, vcc_lo
	s_add_u32 s6, s22, -1
	s_addc_u32 s7, s23, -1
	s_mov_b64 s[18:19], 0
	s_mov_b32 s30, 0
                                        ; implicit-def: $sgpr31
	s_set_inst_prefetch_distance 0x1
	s_branch .LBB1333_158
	.p2align	6
.LBB1333_156:                           ;   in Loop: Header=BB1333_158 Depth=1
	global_load_u16 v37, v[35:36], off
	global_load_u16 v38, v[33:34], off
	v_add_co_u32 v33, vcc_lo, v33, 2
	v_add_co_ci_u32_e32 v34, vcc_lo, 0, v34, vcc_lo
	v_add_co_u32 v35, s2, v35, 2
	s_delay_alu instid0(VALU_DEP_1)
	v_add_co_ci_u32_e64 v36, s2, 0, v36, s2
	s_add_u32 s18, s18, 1
	s_addc_u32 s19, s19, 0
	s_and_not1_b32 s2, s31, exec_lo
	s_waitcnt vmcnt(0)
	v_cmp_neq_f16_e32 vcc_lo, v37, v38
	s_and_b32 s31, vcc_lo, exec_lo
	s_delay_alu instid0(SALU_CYCLE_1)
	s_or_b32 s31, s2, s31
.LBB1333_157:                           ;   in Loop: Header=BB1333_158 Depth=1
	v_dual_mov_b32 v38, s19 :: v_dual_mov_b32 v37, s18
	s_and_b32 s2, exec_lo, s31
	s_delay_alu instid0(SALU_CYCLE_1) | instskip(NEXT) | instid1(SALU_CYCLE_1)
	s_or_b32 s30, s2, s30
	s_and_not1_b32 exec_lo, exec_lo, s30
	s_cbranch_execz .LBB1333_160
.LBB1333_158:                           ; =>This Inner Loop Header: Depth=1
	s_or_b32 s31, s31, exec_lo
	s_cmp_eq_u64 s[6:7], s[18:19]
	s_cbranch_scc0 .LBB1333_156
; %bb.159:                              ;   in Loop: Header=BB1333_158 Depth=1
	s_mov_b64 s[18:19], s[22:23]
                                        ; implicit-def: $vgpr33_vgpr34
                                        ; implicit-def: $vgpr35_vgpr36
	s_branch .LBB1333_157
.LBB1333_160:
	s_set_inst_prefetch_distance 0x2
	s_or_b32 exec_lo, exec_lo, s30
	v_cmp_gt_i64_e32 vcc_lo, s[22:23], v[37:38]
	s_or_not1_b32 s2, vcc_lo, exec_lo
.LBB1333_161:
	s_or_b32 exec_lo, exec_lo, s27
.LBB1333_162:
	s_delay_alu instid0(SALU_CYCLE_1)
	s_and_b32 s27, s2, exec_lo
.LBB1333_163:
	s_or_b32 exec_lo, exec_lo, s29
	v_or_b32_e32 v33, 3, v55
	s_mov_b32 s30, 0
	s_mov_b32 s29, 0
	s_mov_b32 s31, exec_lo
	s_delay_alu instid0(VALU_DEP_1)
	v_cmpx_gt_u32_e64 s28, v33
	s_cbranch_execz .LBB1333_174
; %bb.164:
	v_cmp_ne_u32_e32 vcc_lo, 1, v41
	s_mov_b32 s2, 0
	s_cbranch_vccnz .LBB1333_173
; %bb.165:
	v_mul_lo_u32 v37, v26, s22
	v_mul_lo_u32 v38, v25, s23
	v_mad_u64_u32 v[33:34], null, v25, s22, 0
	v_mul_lo_u32 v39, v28, s22
	v_mul_lo_u32 v40, v27, s23
	s_waitcnt lgkmcnt(0)
	v_mad_u64_u32 v[35:36], null, v27, s22, 0
	s_mov_b32 s2, -1
	s_mov_b32 s29, exec_lo
	s_delay_alu instid0(VALU_DEP_4) | instskip(NEXT) | instid1(VALU_DEP_2)
	v_add3_u32 v34, v34, v38, v37
	v_add3_u32 v36, v36, v40, v39
	s_delay_alu instid0(VALU_DEP_2) | instskip(NEXT) | instid1(VALU_DEP_2)
	v_lshlrev_b64 v[33:34], 1, v[33:34]
	v_lshlrev_b64 v[37:38], 1, v[35:36]
	s_delay_alu instid0(VALU_DEP_2) | instskip(NEXT) | instid1(VALU_DEP_3)
	v_add_co_u32 v35, vcc_lo, s8, v33
	v_add_co_ci_u32_e32 v36, vcc_lo, s9, v34, vcc_lo
	s_delay_alu instid0(VALU_DEP_3) | instskip(NEXT) | instid1(VALU_DEP_4)
	v_add_co_u32 v33, vcc_lo, s8, v37
	v_add_co_ci_u32_e32 v34, vcc_lo, s9, v38, vcc_lo
	s_clause 0x1
	global_load_u16 v37, v[35:36], off
	global_load_u16 v38, v[33:34], off
	s_waitcnt vmcnt(0)
	v_cmpx_eq_f16_e32 v37, v38
	s_cbranch_execz .LBB1333_172
; %bb.166:
	v_add_co_u32 v33, vcc_lo, v33, 2
	v_add_co_ci_u32_e32 v34, vcc_lo, 0, v34, vcc_lo
	v_add_co_u32 v35, vcc_lo, v35, 2
	v_add_co_ci_u32_e32 v36, vcc_lo, 0, v36, vcc_lo
	s_add_u32 s6, s22, -1
	s_addc_u32 s7, s23, -1
	s_mov_b64 s[18:19], 0
	s_mov_b32 s33, 0
                                        ; implicit-def: $sgpr34
	s_set_inst_prefetch_distance 0x1
	s_branch .LBB1333_169
	.p2align	6
.LBB1333_167:                           ;   in Loop: Header=BB1333_169 Depth=1
	global_load_u16 v37, v[35:36], off
	global_load_u16 v38, v[33:34], off
	v_add_co_u32 v33, vcc_lo, v33, 2
	v_add_co_ci_u32_e32 v34, vcc_lo, 0, v34, vcc_lo
	v_add_co_u32 v35, s2, v35, 2
	s_delay_alu instid0(VALU_DEP_1)
	v_add_co_ci_u32_e64 v36, s2, 0, v36, s2
	s_add_u32 s18, s18, 1
	s_addc_u32 s19, s19, 0
	s_and_not1_b32 s2, s34, exec_lo
	s_waitcnt vmcnt(0)
	v_cmp_neq_f16_e32 vcc_lo, v37, v38
	s_and_b32 s34, vcc_lo, exec_lo
	s_delay_alu instid0(SALU_CYCLE_1)
	s_or_b32 s34, s2, s34
.LBB1333_168:                           ;   in Loop: Header=BB1333_169 Depth=1
	v_dual_mov_b32 v38, s19 :: v_dual_mov_b32 v37, s18
	s_and_b32 s2, exec_lo, s34
	s_delay_alu instid0(SALU_CYCLE_1) | instskip(NEXT) | instid1(SALU_CYCLE_1)
	s_or_b32 s33, s2, s33
	s_and_not1_b32 exec_lo, exec_lo, s33
	s_cbranch_execz .LBB1333_171
.LBB1333_169:                           ; =>This Inner Loop Header: Depth=1
	s_or_b32 s34, s34, exec_lo
	s_cmp_eq_u64 s[6:7], s[18:19]
	s_cbranch_scc0 .LBB1333_167
; %bb.170:                              ;   in Loop: Header=BB1333_169 Depth=1
	s_mov_b64 s[18:19], s[22:23]
                                        ; implicit-def: $vgpr33_vgpr34
                                        ; implicit-def: $vgpr35_vgpr36
	s_branch .LBB1333_168
.LBB1333_171:
	s_set_inst_prefetch_distance 0x2
	s_or_b32 exec_lo, exec_lo, s33
	v_cmp_gt_i64_e32 vcc_lo, s[22:23], v[37:38]
	s_or_not1_b32 s2, vcc_lo, exec_lo
.LBB1333_172:
	s_or_b32 exec_lo, exec_lo, s29
.LBB1333_173:
	s_delay_alu instid0(SALU_CYCLE_1)
	s_and_b32 s29, s2, exec_lo
.LBB1333_174:
	s_or_b32 exec_lo, exec_lo, s31
	v_or_b32_e32 v33, 2, v55
	s_mov_b32 s31, exec_lo
	s_delay_alu instid0(VALU_DEP_1)
	v_cmpx_gt_u32_e64 s28, v33
	s_cbranch_execz .LBB1333_185
; %bb.175:
	v_cmp_ne_u32_e32 vcc_lo, 1, v41
	s_mov_b32 s2, 0
	s_cbranch_vccnz .LBB1333_184
; %bb.176:
	v_mul_lo_u32 v37, v32, s22
	v_mul_lo_u32 v38, v31, s23
	v_mad_u64_u32 v[33:34], null, v31, s22, 0
	v_mul_lo_u32 v39, v26, s22
	v_mul_lo_u32 v40, v25, s23
	s_waitcnt lgkmcnt(0)
	v_mad_u64_u32 v[35:36], null, v25, s22, 0
	s_mov_b32 s2, -1
	s_mov_b32 s30, exec_lo
	s_delay_alu instid0(VALU_DEP_4) | instskip(NEXT) | instid1(VALU_DEP_2)
	v_add3_u32 v34, v34, v38, v37
	v_add3_u32 v36, v36, v40, v39
	s_delay_alu instid0(VALU_DEP_2) | instskip(NEXT) | instid1(VALU_DEP_2)
	v_lshlrev_b64 v[33:34], 1, v[33:34]
	v_lshlrev_b64 v[37:38], 1, v[35:36]
	s_delay_alu instid0(VALU_DEP_2) | instskip(NEXT) | instid1(VALU_DEP_3)
	v_add_co_u32 v35, vcc_lo, s8, v33
	v_add_co_ci_u32_e32 v36, vcc_lo, s9, v34, vcc_lo
	s_delay_alu instid0(VALU_DEP_3) | instskip(NEXT) | instid1(VALU_DEP_4)
	v_add_co_u32 v33, vcc_lo, s8, v37
	v_add_co_ci_u32_e32 v34, vcc_lo, s9, v38, vcc_lo
	s_clause 0x1
	global_load_u16 v37, v[35:36], off
	global_load_u16 v38, v[33:34], off
	s_waitcnt vmcnt(0)
	v_cmpx_eq_f16_e32 v37, v38
	s_cbranch_execz .LBB1333_183
; %bb.177:
	v_add_co_u32 v33, vcc_lo, v33, 2
	v_add_co_ci_u32_e32 v34, vcc_lo, 0, v34, vcc_lo
	v_add_co_u32 v35, vcc_lo, v35, 2
	v_add_co_ci_u32_e32 v36, vcc_lo, 0, v36, vcc_lo
	s_add_u32 s6, s22, -1
	s_addc_u32 s7, s23, -1
	s_mov_b64 s[18:19], 0
	s_mov_b32 s33, 0
                                        ; implicit-def: $sgpr34
	s_set_inst_prefetch_distance 0x1
	s_branch .LBB1333_180
	.p2align	6
.LBB1333_178:                           ;   in Loop: Header=BB1333_180 Depth=1
	global_load_u16 v37, v[35:36], off
	global_load_u16 v38, v[33:34], off
	v_add_co_u32 v33, vcc_lo, v33, 2
	v_add_co_ci_u32_e32 v34, vcc_lo, 0, v34, vcc_lo
	v_add_co_u32 v35, s2, v35, 2
	s_delay_alu instid0(VALU_DEP_1)
	v_add_co_ci_u32_e64 v36, s2, 0, v36, s2
	s_add_u32 s18, s18, 1
	s_addc_u32 s19, s19, 0
	s_and_not1_b32 s2, s34, exec_lo
	s_waitcnt vmcnt(0)
	v_cmp_neq_f16_e32 vcc_lo, v37, v38
	s_and_b32 s34, vcc_lo, exec_lo
	s_delay_alu instid0(SALU_CYCLE_1)
	s_or_b32 s34, s2, s34
.LBB1333_179:                           ;   in Loop: Header=BB1333_180 Depth=1
	v_dual_mov_b32 v38, s19 :: v_dual_mov_b32 v37, s18
	s_and_b32 s2, exec_lo, s34
	s_delay_alu instid0(SALU_CYCLE_1) | instskip(NEXT) | instid1(SALU_CYCLE_1)
	s_or_b32 s33, s2, s33
	s_and_not1_b32 exec_lo, exec_lo, s33
	s_cbranch_execz .LBB1333_182
.LBB1333_180:                           ; =>This Inner Loop Header: Depth=1
	s_or_b32 s34, s34, exec_lo
	s_cmp_eq_u64 s[6:7], s[18:19]
	s_cbranch_scc0 .LBB1333_178
; %bb.181:                              ;   in Loop: Header=BB1333_180 Depth=1
	s_mov_b64 s[18:19], s[22:23]
                                        ; implicit-def: $vgpr33_vgpr34
                                        ; implicit-def: $vgpr35_vgpr36
	s_branch .LBB1333_179
.LBB1333_182:
	s_set_inst_prefetch_distance 0x2
	s_or_b32 exec_lo, exec_lo, s33
	v_cmp_gt_i64_e32 vcc_lo, s[22:23], v[37:38]
	s_or_not1_b32 s2, vcc_lo, exec_lo
.LBB1333_183:
	s_or_b32 exec_lo, exec_lo, s30
.LBB1333_184:
	s_delay_alu instid0(SALU_CYCLE_1)
	s_and_b32 s30, s2, exec_lo
.LBB1333_185:
	s_or_b32 exec_lo, exec_lo, s31
	v_or_b32_e32 v33, 1, v55
	s_mov_b32 s2, 0
	s_mov_b32 s31, exec_lo
	s_delay_alu instid0(VALU_DEP_1)
	v_cmpx_gt_u32_e64 s28, v33
	s_cbranch_execz .LBB1333_196
; %bb.186:
	v_cmp_ne_u32_e32 vcc_lo, 1, v41
	s_cbranch_vccnz .LBB1333_195
; %bb.187:
	v_mul_lo_u32 v37, v30, s22
	v_mul_lo_u32 v38, v29, s23
	v_mad_u64_u32 v[33:34], null, v29, s22, 0
	v_mul_lo_u32 v39, v32, s22
	v_mul_lo_u32 v40, v31, s23
	s_waitcnt lgkmcnt(0)
	v_mad_u64_u32 v[35:36], null, v31, s22, 0
	s_mov_b32 s2, -1
	s_mov_b32 s33, exec_lo
	s_delay_alu instid0(VALU_DEP_4) | instskip(NEXT) | instid1(VALU_DEP_2)
	v_add3_u32 v34, v34, v38, v37
	v_add3_u32 v36, v36, v40, v39
	s_delay_alu instid0(VALU_DEP_2) | instskip(NEXT) | instid1(VALU_DEP_2)
	v_lshlrev_b64 v[33:34], 1, v[33:34]
	v_lshlrev_b64 v[37:38], 1, v[35:36]
	s_delay_alu instid0(VALU_DEP_2) | instskip(NEXT) | instid1(VALU_DEP_3)
	v_add_co_u32 v35, vcc_lo, s8, v33
	v_add_co_ci_u32_e32 v36, vcc_lo, s9, v34, vcc_lo
	s_delay_alu instid0(VALU_DEP_3) | instskip(NEXT) | instid1(VALU_DEP_4)
	v_add_co_u32 v33, vcc_lo, s8, v37
	v_add_co_ci_u32_e32 v34, vcc_lo, s9, v38, vcc_lo
	s_clause 0x1
	global_load_u16 v37, v[35:36], off
	global_load_u16 v38, v[33:34], off
	s_waitcnt vmcnt(0)
	v_cmpx_eq_f16_e32 v37, v38
	s_cbranch_execz .LBB1333_194
; %bb.188:
	v_add_co_u32 v33, vcc_lo, v33, 2
	v_add_co_ci_u32_e32 v34, vcc_lo, 0, v34, vcc_lo
	v_add_co_u32 v35, vcc_lo, v35, 2
	v_add_co_ci_u32_e32 v36, vcc_lo, 0, v36, vcc_lo
	s_add_u32 s6, s22, -1
	s_addc_u32 s7, s23, -1
	s_mov_b64 s[18:19], 0
	s_mov_b32 s34, 0
                                        ; implicit-def: $sgpr35
	s_set_inst_prefetch_distance 0x1
	s_branch .LBB1333_191
	.p2align	6
.LBB1333_189:                           ;   in Loop: Header=BB1333_191 Depth=1
	global_load_u16 v37, v[35:36], off
	global_load_u16 v38, v[33:34], off
	v_add_co_u32 v33, vcc_lo, v33, 2
	v_add_co_ci_u32_e32 v34, vcc_lo, 0, v34, vcc_lo
	v_add_co_u32 v35, s2, v35, 2
	s_delay_alu instid0(VALU_DEP_1)
	v_add_co_ci_u32_e64 v36, s2, 0, v36, s2
	s_add_u32 s18, s18, 1
	s_addc_u32 s19, s19, 0
	s_and_not1_b32 s2, s35, exec_lo
	s_waitcnt vmcnt(0)
	v_cmp_neq_f16_e32 vcc_lo, v37, v38
	s_and_b32 s35, vcc_lo, exec_lo
	s_delay_alu instid0(SALU_CYCLE_1)
	s_or_b32 s35, s2, s35
.LBB1333_190:                           ;   in Loop: Header=BB1333_191 Depth=1
	v_dual_mov_b32 v38, s19 :: v_dual_mov_b32 v37, s18
	s_and_b32 s2, exec_lo, s35
	s_delay_alu instid0(SALU_CYCLE_1) | instskip(NEXT) | instid1(SALU_CYCLE_1)
	s_or_b32 s34, s2, s34
	s_and_not1_b32 exec_lo, exec_lo, s34
	s_cbranch_execz .LBB1333_193
.LBB1333_191:                           ; =>This Inner Loop Header: Depth=1
	s_or_b32 s35, s35, exec_lo
	s_cmp_eq_u64 s[6:7], s[18:19]
	s_cbranch_scc0 .LBB1333_189
; %bb.192:                              ;   in Loop: Header=BB1333_191 Depth=1
	s_mov_b64 s[18:19], s[22:23]
                                        ; implicit-def: $vgpr33_vgpr34
                                        ; implicit-def: $vgpr35_vgpr36
	s_branch .LBB1333_190
.LBB1333_193:
	s_set_inst_prefetch_distance 0x2
	s_or_b32 exec_lo, exec_lo, s34
	v_cmp_gt_i64_e32 vcc_lo, s[22:23], v[37:38]
	s_or_not1_b32 s2, vcc_lo, exec_lo
.LBB1333_194:
	s_or_b32 exec_lo, exec_lo, s33
.LBB1333_195:
	s_delay_alu instid0(SALU_CYCLE_1)
	s_and_b32 s2, s2, exec_lo
.LBB1333_196:
	s_or_b32 exec_lo, exec_lo, s31
	s_waitcnt lgkmcnt(0)
	v_dual_mov_b32 v34, s5 :: v_dual_mov_b32 v33, s4
	s_mov_b32 s4, exec_lo
	s_barrier
	buffer_gl0_inv
	v_cmpx_ne_u32_e32 0, v0
	s_cbranch_execz .LBB1333_198
; %bb.197:
	v_add_nc_u32_e32 v33, -8, v55
	ds_load_b64 v[33:34], v33
.LBB1333_198:
	s_or_b32 exec_lo, exec_lo, s4
	v_cndmask_b32_e64 v36, 0, 1, s29
	v_cndmask_b32_e64 v38, 0, 1, s25
	;; [unrolled: 1-line block ×7, first 2 shown]
	v_lshlrev_b16 v36, 8, v36
	v_lshlrev_b16 v38, 8, v38
	;; [unrolled: 1-line block ×3, first 2 shown]
	s_mov_b32 s2, 0
	v_lshlrev_b16 v42, 8, v42
	v_or_b32_e32 v35, v35, v36
	v_or_b32_e32 v36, v37, v38
	;; [unrolled: 1-line block ×3, first 2 shown]
	s_mov_b32 s3, exec_lo
	v_and_b32_e32 v39, 0xffff, v42
	v_lshlrev_b32_e32 v40, 16, v35
	v_and_b32_e32 v42, 0xffff, v36
	v_lshlrev_b32_e32 v43, 16, v37
	v_cmpx_gt_u32_e64 s28, v55
	s_cbranch_execz .LBB1333_209
; %bb.199:
	v_cmp_ne_u32_e32 vcc_lo, 1, v41
	s_cbranch_vccnz .LBB1333_208
; %bb.200:
	s_waitcnt lgkmcnt(0)
	v_mul_lo_u32 v38, v34, s22
	v_mul_lo_u32 v41, v33, s23
	v_mad_u64_u32 v[34:35], null, v33, s22, 0
	v_mul_lo_u32 v33, v30, s22
	v_mul_lo_u32 v44, v29, s23
	v_mad_u64_u32 v[36:37], null, v29, s22, 0
	s_mov_b32 s2, -1
	s_mov_b32 s18, exec_lo
	s_delay_alu instid0(VALU_DEP_4) | instskip(NEXT) | instid1(VALU_DEP_2)
	v_add3_u32 v35, v35, v41, v38
	v_add3_u32 v37, v37, v44, v33
	s_delay_alu instid0(VALU_DEP_2) | instskip(NEXT) | instid1(VALU_DEP_2)
	v_lshlrev_b64 v[33:34], 1, v[34:35]
	v_lshlrev_b64 v[37:38], 1, v[36:37]
	s_delay_alu instid0(VALU_DEP_2) | instskip(NEXT) | instid1(VALU_DEP_3)
	v_add_co_u32 v35, vcc_lo, s8, v33
	v_add_co_ci_u32_e32 v36, vcc_lo, s9, v34, vcc_lo
	s_delay_alu instid0(VALU_DEP_3) | instskip(NEXT) | instid1(VALU_DEP_4)
	v_add_co_u32 v33, vcc_lo, s8, v37
	v_add_co_ci_u32_e32 v34, vcc_lo, s9, v38, vcc_lo
	s_clause 0x1
	global_load_u16 v37, v[35:36], off
	global_load_u16 v38, v[33:34], off
	s_waitcnt vmcnt(0)
	v_cmpx_eq_f16_e32 v37, v38
	s_cbranch_execz .LBB1333_207
; %bb.201:
	v_add_co_u32 v33, vcc_lo, v33, 2
	v_add_co_ci_u32_e32 v34, vcc_lo, 0, v34, vcc_lo
	v_add_co_u32 v35, vcc_lo, v35, 2
	v_add_co_ci_u32_e32 v36, vcc_lo, 0, v36, vcc_lo
	s_add_u32 s4, s22, -1
	s_addc_u32 s5, s23, -1
	s_mov_b64 s[6:7], 0
	s_mov_b32 s19, 0
                                        ; implicit-def: $sgpr25
	s_set_inst_prefetch_distance 0x1
	s_branch .LBB1333_204
	.p2align	6
.LBB1333_202:                           ;   in Loop: Header=BB1333_204 Depth=1
	global_load_u16 v37, v[35:36], off
	global_load_u16 v38, v[33:34], off
	v_add_co_u32 v33, vcc_lo, v33, 2
	v_add_co_ci_u32_e32 v34, vcc_lo, 0, v34, vcc_lo
	v_add_co_u32 v35, s2, v35, 2
	s_delay_alu instid0(VALU_DEP_1)
	v_add_co_ci_u32_e64 v36, s2, 0, v36, s2
	s_add_u32 s6, s6, 1
	s_addc_u32 s7, s7, 0
	s_and_not1_b32 s2, s25, exec_lo
	s_waitcnt vmcnt(0)
	v_cmp_neq_f16_e32 vcc_lo, v37, v38
	s_and_b32 s25, vcc_lo, exec_lo
	s_delay_alu instid0(SALU_CYCLE_1)
	s_or_b32 s25, s2, s25
.LBB1333_203:                           ;   in Loop: Header=BB1333_204 Depth=1
	v_dual_mov_b32 v38, s7 :: v_dual_mov_b32 v37, s6
	s_and_b32 s2, exec_lo, s25
	s_delay_alu instid0(SALU_CYCLE_1) | instskip(NEXT) | instid1(SALU_CYCLE_1)
	s_or_b32 s19, s2, s19
	s_and_not1_b32 exec_lo, exec_lo, s19
	s_cbranch_execz .LBB1333_206
.LBB1333_204:                           ; =>This Inner Loop Header: Depth=1
	s_or_b32 s25, s25, exec_lo
	s_cmp_eq_u64 s[4:5], s[6:7]
	s_cbranch_scc0 .LBB1333_202
; %bb.205:                              ;   in Loop: Header=BB1333_204 Depth=1
	s_mov_b64 s[6:7], s[22:23]
                                        ; implicit-def: $vgpr33_vgpr34
                                        ; implicit-def: $vgpr35_vgpr36
	s_branch .LBB1333_203
.LBB1333_206:
	s_set_inst_prefetch_distance 0x2
	s_or_b32 exec_lo, exec_lo, s19
	v_cmp_gt_i64_e32 vcc_lo, s[22:23], v[37:38]
	s_or_not1_b32 s2, vcc_lo, exec_lo
.LBB1333_207:
	s_or_b32 exec_lo, exec_lo, s18
.LBB1333_208:
	s_delay_alu instid0(SALU_CYCLE_1)
	s_and_b32 s2, s2, exec_lo
.LBB1333_209:
	s_or_b32 exec_lo, exec_lo, s3
	s_waitcnt lgkmcnt(0)
	v_or_b32_e32 v33, v39, v40
	v_or_b32_e32 v34, v42, v43
.LBB1333_210:
	s_waitcnt lgkmcnt(0)
	s_mov_b32 s3, -1
	s_cbranch_execnz .LBB1333_379
.LBB1333_211:
	v_cmp_gt_i64_e64 s18, s[22:23], 0
	s_and_b32 vcc_lo, exec_lo, s20
	ds_store_b64 v55, v[19:20]
	s_cbranch_vccz .LBB1333_219
; %bb.212:
	v_mul_lo_u32 v35, v18, s22
	v_mul_lo_u32 v36, v17, s23
	v_mad_u64_u32 v[33:34], null, v17, s22, 0
	s_mov_b32 s19, 0
	s_and_not1_b32 vcc_lo, exec_lo, s18
	s_mov_b32 s25, 0
	s_delay_alu instid0(VALU_DEP_1) | instskip(NEXT) | instid1(VALU_DEP_1)
	v_add3_u32 v34, v34, v36, v35
	v_lshlrev_b64 v[33:34], 1, v[33:34]
	s_cbranch_vccnz .LBB1333_222
; %bb.213:
	v_mul_lo_u32 v37, v20, s22
	v_mul_lo_u32 v38, v19, s23
	v_mad_u64_u32 v[35:36], null, v19, s22, 0
	s_mov_b32 s25, -1
	s_mov_b32 s26, exec_lo
	s_delay_alu instid0(VALU_DEP_1) | instskip(SKIP_2) | instid1(VALU_DEP_3)
	v_add3_u32 v36, v36, v38, v37
	v_add_co_u32 v37, vcc_lo, s8, v33
	v_add_co_ci_u32_e32 v38, vcc_lo, s9, v34, vcc_lo
	v_lshlrev_b64 v[35:36], 1, v[35:36]
	s_delay_alu instid0(VALU_DEP_1) | instskip(NEXT) | instid1(VALU_DEP_2)
	v_add_co_u32 v35, vcc_lo, s8, v35
	v_add_co_ci_u32_e32 v36, vcc_lo, s9, v36, vcc_lo
	s_clause 0x1
	global_load_u16 v39, v[37:38], off
	global_load_u16 v40, v[35:36], off
	s_waitcnt vmcnt(0)
	v_cmpx_eq_f16_e32 v39, v40
	s_cbranch_execz .LBB1333_221
; %bb.214:
	v_add_co_u32 v35, vcc_lo, v35, 2
	v_add_co_ci_u32_e32 v36, vcc_lo, 0, v36, vcc_lo
	v_add_co_u32 v37, vcc_lo, v37, 2
	v_add_co_ci_u32_e32 v38, vcc_lo, 0, v38, vcc_lo
	s_add_u32 s4, s22, -1
	s_addc_u32 s5, s23, -1
	s_mov_b64 s[6:7], 0
	s_mov_b32 s25, 0
                                        ; implicit-def: $sgpr27
	s_set_inst_prefetch_distance 0x1
	s_branch .LBB1333_217
	.p2align	6
.LBB1333_215:                           ;   in Loop: Header=BB1333_217 Depth=1
	global_load_u16 v39, v[37:38], off
	global_load_u16 v40, v[35:36], off
	v_add_co_u32 v35, vcc_lo, v35, 2
	v_add_co_ci_u32_e32 v36, vcc_lo, 0, v36, vcc_lo
	v_add_co_u32 v37, s2, v37, 2
	s_delay_alu instid0(VALU_DEP_1)
	v_add_co_ci_u32_e64 v38, s2, 0, v38, s2
	s_add_u32 s6, s6, 1
	s_addc_u32 s7, s7, 0
	s_and_not1_b32 s2, s27, exec_lo
	s_waitcnt vmcnt(0)
	v_cmp_neq_f16_e32 vcc_lo, v39, v40
	s_and_b32 s27, vcc_lo, exec_lo
	s_delay_alu instid0(SALU_CYCLE_1)
	s_or_b32 s27, s2, s27
.LBB1333_216:                           ;   in Loop: Header=BB1333_217 Depth=1
	v_dual_mov_b32 v40, s7 :: v_dual_mov_b32 v39, s6
	s_and_b32 s2, exec_lo, s27
	s_delay_alu instid0(SALU_CYCLE_1) | instskip(NEXT) | instid1(SALU_CYCLE_1)
	s_or_b32 s25, s2, s25
	s_and_not1_b32 exec_lo, exec_lo, s25
	s_cbranch_execz .LBB1333_220
.LBB1333_217:                           ; =>This Inner Loop Header: Depth=1
	s_or_b32 s27, s27, exec_lo
	s_cmp_eq_u64 s[4:5], s[6:7]
	s_cbranch_scc0 .LBB1333_215
; %bb.218:                              ;   in Loop: Header=BB1333_217 Depth=1
	s_mov_b64 s[6:7], s[22:23]
                                        ; implicit-def: $vgpr35_vgpr36
                                        ; implicit-def: $vgpr37_vgpr38
	s_branch .LBB1333_216
.LBB1333_219:
                                        ; implicit-def: $sgpr2
                                        ; implicit-def: $vgpr34
	s_cbranch_execnz .LBB1333_288
	s_branch .LBB1333_379
.LBB1333_220:
	s_set_inst_prefetch_distance 0x2
	s_or_b32 exec_lo, exec_lo, s25
	v_cmp_gt_i64_e32 vcc_lo, s[22:23], v[39:40]
	s_or_not1_b32 s25, vcc_lo, exec_lo
.LBB1333_221:
	s_or_b32 exec_lo, exec_lo, s26
.LBB1333_222:
	v_mul_lo_u32 v37, v24, s22
	v_mul_lo_u32 v38, v23, s23
	v_mad_u64_u32 v[35:36], null, v23, s22, 0
	s_and_not1_b32 vcc_lo, exec_lo, s18
	s_delay_alu instid0(VALU_DEP_1) | instskip(NEXT) | instid1(VALU_DEP_1)
	v_add3_u32 v36, v36, v38, v37
	v_lshlrev_b64 v[35:36], 1, v[35:36]
	s_cbranch_vccnz .LBB1333_231
; %bb.223:
	s_delay_alu instid0(VALU_DEP_1) | instskip(NEXT) | instid1(VALU_DEP_2)
	v_add_co_u32 v37, vcc_lo, s8, v35
	v_add_co_ci_u32_e32 v38, vcc_lo, s9, v36, vcc_lo
	v_add_co_u32 v33, vcc_lo, s8, v33
	v_add_co_ci_u32_e32 v34, vcc_lo, s9, v34, vcc_lo
	s_mov_b32 s19, -1
	s_clause 0x1
	global_load_u16 v39, v[37:38], off
	global_load_u16 v40, v[33:34], off
	s_mov_b32 s26, exec_lo
	s_waitcnt vmcnt(0)
	v_cmpx_eq_f16_e32 v39, v40
	s_cbranch_execz .LBB1333_230
; %bb.224:
	v_add_co_u32 v33, vcc_lo, v33, 2
	v_add_co_ci_u32_e32 v34, vcc_lo, 0, v34, vcc_lo
	v_add_co_u32 v37, vcc_lo, v37, 2
	v_add_co_ci_u32_e32 v38, vcc_lo, 0, v38, vcc_lo
	s_add_u32 s4, s22, -1
	s_addc_u32 s5, s23, -1
	s_mov_b64 s[6:7], 0
	s_mov_b32 s19, 0
                                        ; implicit-def: $sgpr27
	s_set_inst_prefetch_distance 0x1
	s_branch .LBB1333_227
	.p2align	6
.LBB1333_225:                           ;   in Loop: Header=BB1333_227 Depth=1
	global_load_u16 v39, v[37:38], off
	global_load_u16 v40, v[33:34], off
	v_add_co_u32 v33, vcc_lo, v33, 2
	v_add_co_ci_u32_e32 v34, vcc_lo, 0, v34, vcc_lo
	v_add_co_u32 v37, s2, v37, 2
	s_delay_alu instid0(VALU_DEP_1)
	v_add_co_ci_u32_e64 v38, s2, 0, v38, s2
	s_add_u32 s6, s6, 1
	s_addc_u32 s7, s7, 0
	s_and_not1_b32 s2, s27, exec_lo
	s_waitcnt vmcnt(0)
	v_cmp_neq_f16_e32 vcc_lo, v39, v40
	s_and_b32 s27, vcc_lo, exec_lo
	s_delay_alu instid0(SALU_CYCLE_1)
	s_or_b32 s27, s2, s27
.LBB1333_226:                           ;   in Loop: Header=BB1333_227 Depth=1
	v_dual_mov_b32 v40, s7 :: v_dual_mov_b32 v39, s6
	s_and_b32 s2, exec_lo, s27
	s_delay_alu instid0(SALU_CYCLE_1) | instskip(NEXT) | instid1(SALU_CYCLE_1)
	s_or_b32 s19, s2, s19
	s_and_not1_b32 exec_lo, exec_lo, s19
	s_cbranch_execz .LBB1333_229
.LBB1333_227:                           ; =>This Inner Loop Header: Depth=1
	s_or_b32 s27, s27, exec_lo
	s_cmp_eq_u64 s[4:5], s[6:7]
	s_cbranch_scc0 .LBB1333_225
; %bb.228:                              ;   in Loop: Header=BB1333_227 Depth=1
	s_mov_b64 s[6:7], s[22:23]
                                        ; implicit-def: $vgpr33_vgpr34
                                        ; implicit-def: $vgpr37_vgpr38
	s_branch .LBB1333_226
.LBB1333_229:
	s_set_inst_prefetch_distance 0x2
	s_or_b32 exec_lo, exec_lo, s19
	v_cmp_gt_i64_e32 vcc_lo, s[22:23], v[39:40]
	s_or_not1_b32 s19, vcc_lo, exec_lo
.LBB1333_230:
	s_or_b32 exec_lo, exec_lo, s26
.LBB1333_231:
	v_mul_lo_u32 v37, v22, s22
	v_mul_lo_u32 v38, v21, s23
	v_mad_u64_u32 v[33:34], null, v21, s22, 0
	s_mov_b32 s26, 0
	s_and_not1_b32 vcc_lo, exec_lo, s18
	s_mov_b32 s27, 0
	s_delay_alu instid0(VALU_DEP_1) | instskip(NEXT) | instid1(VALU_DEP_1)
	v_add3_u32 v34, v34, v38, v37
	v_lshlrev_b64 v[37:38], 1, v[33:34]
	s_cbranch_vccnz .LBB1333_240
; %bb.232:
	s_delay_alu instid0(VALU_DEP_1) | instskip(NEXT) | instid1(VALU_DEP_2)
	v_add_co_u32 v39, vcc_lo, s8, v37
	v_add_co_ci_u32_e32 v40, vcc_lo, s9, v38, vcc_lo
	v_add_co_u32 v33, vcc_lo, s8, v35
	v_add_co_ci_u32_e32 v34, vcc_lo, s9, v36, vcc_lo
	s_mov_b32 s27, -1
	s_clause 0x1
	global_load_u16 v35, v[39:40], off
	global_load_u16 v36, v[33:34], off
	s_mov_b32 s29, exec_lo
	s_waitcnt vmcnt(0)
	v_cmpx_eq_f16_e32 v35, v36
	s_cbranch_execz .LBB1333_239
; %bb.233:
	v_add_co_u32 v33, vcc_lo, v33, 2
	v_add_co_ci_u32_e32 v34, vcc_lo, 0, v34, vcc_lo
	v_add_co_u32 v35, vcc_lo, v39, 2
	v_add_co_ci_u32_e32 v36, vcc_lo, 0, v40, vcc_lo
	s_add_u32 s4, s22, -1
	s_addc_u32 s5, s23, -1
	s_mov_b64 s[6:7], 0
	s_mov_b32 s27, 0
                                        ; implicit-def: $sgpr30
	s_set_inst_prefetch_distance 0x1
	s_branch .LBB1333_236
	.p2align	6
.LBB1333_234:                           ;   in Loop: Header=BB1333_236 Depth=1
	global_load_u16 v39, v[35:36], off
	global_load_u16 v40, v[33:34], off
	v_add_co_u32 v33, vcc_lo, v33, 2
	v_add_co_ci_u32_e32 v34, vcc_lo, 0, v34, vcc_lo
	v_add_co_u32 v35, s2, v35, 2
	s_delay_alu instid0(VALU_DEP_1)
	v_add_co_ci_u32_e64 v36, s2, 0, v36, s2
	s_add_u32 s6, s6, 1
	s_addc_u32 s7, s7, 0
	s_and_not1_b32 s2, s30, exec_lo
	s_waitcnt vmcnt(0)
	v_cmp_neq_f16_e32 vcc_lo, v39, v40
	s_and_b32 s30, vcc_lo, exec_lo
	s_delay_alu instid0(SALU_CYCLE_1)
	s_or_b32 s30, s2, s30
.LBB1333_235:                           ;   in Loop: Header=BB1333_236 Depth=1
	v_dual_mov_b32 v40, s7 :: v_dual_mov_b32 v39, s6
	s_and_b32 s2, exec_lo, s30
	s_delay_alu instid0(SALU_CYCLE_1) | instskip(NEXT) | instid1(SALU_CYCLE_1)
	s_or_b32 s27, s2, s27
	s_and_not1_b32 exec_lo, exec_lo, s27
	s_cbranch_execz .LBB1333_238
.LBB1333_236:                           ; =>This Inner Loop Header: Depth=1
	s_or_b32 s30, s30, exec_lo
	s_cmp_eq_u64 s[4:5], s[6:7]
	s_cbranch_scc0 .LBB1333_234
; %bb.237:                              ;   in Loop: Header=BB1333_236 Depth=1
	s_mov_b64 s[6:7], s[22:23]
                                        ; implicit-def: $vgpr33_vgpr34
                                        ; implicit-def: $vgpr35_vgpr36
	s_branch .LBB1333_235
.LBB1333_238:
	s_set_inst_prefetch_distance 0x2
	s_or_b32 exec_lo, exec_lo, s27
	v_cmp_gt_i64_e32 vcc_lo, s[22:23], v[39:40]
	s_or_not1_b32 s27, vcc_lo, exec_lo
.LBB1333_239:
	s_or_b32 exec_lo, exec_lo, s29
.LBB1333_240:
	v_mul_lo_u32 v35, v28, s22
	v_mul_lo_u32 v36, v27, s23
	v_mad_u64_u32 v[33:34], null, v27, s22, 0
	s_and_not1_b32 vcc_lo, exec_lo, s18
	s_delay_alu instid0(VALU_DEP_1) | instskip(NEXT) | instid1(VALU_DEP_1)
	v_add3_u32 v34, v34, v36, v35
	v_lshlrev_b64 v[33:34], 1, v[33:34]
	s_cbranch_vccnz .LBB1333_249
; %bb.241:
	s_delay_alu instid0(VALU_DEP_1) | instskip(NEXT) | instid1(VALU_DEP_2)
	v_add_co_u32 v39, vcc_lo, s8, v33
	v_add_co_ci_u32_e32 v40, vcc_lo, s9, v34, vcc_lo
	v_add_co_u32 v35, vcc_lo, s8, v37
	v_add_co_ci_u32_e32 v36, vcc_lo, s9, v38, vcc_lo
	s_mov_b32 s26, -1
	s_clause 0x1
	global_load_u16 v37, v[39:40], off
	global_load_u16 v38, v[35:36], off
	s_mov_b32 s29, exec_lo
	s_waitcnt vmcnt(0)
	v_cmpx_eq_f16_e32 v37, v38
	s_cbranch_execz .LBB1333_248
; %bb.242:
	v_add_co_u32 v35, vcc_lo, v35, 2
	v_add_co_ci_u32_e32 v36, vcc_lo, 0, v36, vcc_lo
	v_add_co_u32 v37, vcc_lo, v39, 2
	v_add_co_ci_u32_e32 v38, vcc_lo, 0, v40, vcc_lo
	s_add_u32 s4, s22, -1
	s_addc_u32 s5, s23, -1
	s_mov_b64 s[6:7], 0
	s_mov_b32 s26, 0
                                        ; implicit-def: $sgpr30
	s_set_inst_prefetch_distance 0x1
	s_branch .LBB1333_245
	.p2align	6
.LBB1333_243:                           ;   in Loop: Header=BB1333_245 Depth=1
	global_load_u16 v39, v[37:38], off
	global_load_u16 v40, v[35:36], off
	v_add_co_u32 v35, vcc_lo, v35, 2
	v_add_co_ci_u32_e32 v36, vcc_lo, 0, v36, vcc_lo
	v_add_co_u32 v37, s2, v37, 2
	s_delay_alu instid0(VALU_DEP_1)
	v_add_co_ci_u32_e64 v38, s2, 0, v38, s2
	s_add_u32 s6, s6, 1
	s_addc_u32 s7, s7, 0
	s_and_not1_b32 s2, s30, exec_lo
	s_waitcnt vmcnt(0)
	v_cmp_neq_f16_e32 vcc_lo, v39, v40
	s_and_b32 s30, vcc_lo, exec_lo
	s_delay_alu instid0(SALU_CYCLE_1)
	s_or_b32 s30, s2, s30
.LBB1333_244:                           ;   in Loop: Header=BB1333_245 Depth=1
	v_dual_mov_b32 v40, s7 :: v_dual_mov_b32 v39, s6
	s_and_b32 s2, exec_lo, s30
	s_delay_alu instid0(SALU_CYCLE_1) | instskip(NEXT) | instid1(SALU_CYCLE_1)
	s_or_b32 s26, s2, s26
	s_and_not1_b32 exec_lo, exec_lo, s26
	s_cbranch_execz .LBB1333_247
.LBB1333_245:                           ; =>This Inner Loop Header: Depth=1
	s_or_b32 s30, s30, exec_lo
	s_cmp_eq_u64 s[4:5], s[6:7]
	s_cbranch_scc0 .LBB1333_243
; %bb.246:                              ;   in Loop: Header=BB1333_245 Depth=1
	s_mov_b64 s[6:7], s[22:23]
                                        ; implicit-def: $vgpr35_vgpr36
                                        ; implicit-def: $vgpr37_vgpr38
	s_branch .LBB1333_244
.LBB1333_247:
	s_set_inst_prefetch_distance 0x2
	s_or_b32 exec_lo, exec_lo, s26
	v_cmp_gt_i64_e32 vcc_lo, s[22:23], v[39:40]
	s_or_not1_b32 s26, vcc_lo, exec_lo
.LBB1333_248:
	s_or_b32 exec_lo, exec_lo, s29
.LBB1333_249:
	v_mul_lo_u32 v37, v26, s22
	v_mul_lo_u32 v38, v25, s23
	v_mad_u64_u32 v[35:36], null, v25, s22, 0
	s_mov_b32 s29, 0
	s_and_not1_b32 vcc_lo, exec_lo, s18
	s_mov_b32 s30, 0
	s_delay_alu instid0(VALU_DEP_1) | instskip(NEXT) | instid1(VALU_DEP_1)
	v_add3_u32 v36, v36, v38, v37
	v_lshlrev_b64 v[35:36], 1, v[35:36]
	s_cbranch_vccnz .LBB1333_258
; %bb.250:
	s_delay_alu instid0(VALU_DEP_1) | instskip(NEXT) | instid1(VALU_DEP_2)
	v_add_co_u32 v37, vcc_lo, s8, v35
	v_add_co_ci_u32_e32 v38, vcc_lo, s9, v36, vcc_lo
	v_add_co_u32 v33, vcc_lo, s8, v33
	v_add_co_ci_u32_e32 v34, vcc_lo, s9, v34, vcc_lo
	s_mov_b32 s30, -1
	s_clause 0x1
	global_load_u16 v39, v[37:38], off
	global_load_u16 v40, v[33:34], off
	s_mov_b32 s31, exec_lo
	s_waitcnt vmcnt(0)
	v_cmpx_eq_f16_e32 v39, v40
	s_cbranch_execz .LBB1333_257
; %bb.251:
	v_add_co_u32 v33, vcc_lo, v33, 2
	v_add_co_ci_u32_e32 v34, vcc_lo, 0, v34, vcc_lo
	v_add_co_u32 v37, vcc_lo, v37, 2
	v_add_co_ci_u32_e32 v38, vcc_lo, 0, v38, vcc_lo
	s_add_u32 s4, s22, -1
	s_addc_u32 s5, s23, -1
	s_mov_b64 s[6:7], 0
	s_mov_b32 s30, 0
                                        ; implicit-def: $sgpr33
	s_set_inst_prefetch_distance 0x1
	s_branch .LBB1333_254
	.p2align	6
.LBB1333_252:                           ;   in Loop: Header=BB1333_254 Depth=1
	global_load_u16 v39, v[37:38], off
	global_load_u16 v40, v[33:34], off
	v_add_co_u32 v33, vcc_lo, v33, 2
	v_add_co_ci_u32_e32 v34, vcc_lo, 0, v34, vcc_lo
	v_add_co_u32 v37, s2, v37, 2
	s_delay_alu instid0(VALU_DEP_1)
	v_add_co_ci_u32_e64 v38, s2, 0, v38, s2
	s_add_u32 s6, s6, 1
	s_addc_u32 s7, s7, 0
	s_and_not1_b32 s2, s33, exec_lo
	s_waitcnt vmcnt(0)
	v_cmp_neq_f16_e32 vcc_lo, v39, v40
	s_and_b32 s33, vcc_lo, exec_lo
	s_delay_alu instid0(SALU_CYCLE_1)
	s_or_b32 s33, s2, s33
.LBB1333_253:                           ;   in Loop: Header=BB1333_254 Depth=1
	v_dual_mov_b32 v40, s7 :: v_dual_mov_b32 v39, s6
	s_and_b32 s2, exec_lo, s33
	s_delay_alu instid0(SALU_CYCLE_1) | instskip(NEXT) | instid1(SALU_CYCLE_1)
	s_or_b32 s30, s2, s30
	s_and_not1_b32 exec_lo, exec_lo, s30
	s_cbranch_execz .LBB1333_256
.LBB1333_254:                           ; =>This Inner Loop Header: Depth=1
	s_or_b32 s33, s33, exec_lo
	s_cmp_eq_u64 s[4:5], s[6:7]
	s_cbranch_scc0 .LBB1333_252
; %bb.255:                              ;   in Loop: Header=BB1333_254 Depth=1
	s_mov_b64 s[6:7], s[22:23]
                                        ; implicit-def: $vgpr33_vgpr34
                                        ; implicit-def: $vgpr37_vgpr38
	s_branch .LBB1333_253
.LBB1333_256:
	s_set_inst_prefetch_distance 0x2
	s_or_b32 exec_lo, exec_lo, s30
	v_cmp_gt_i64_e32 vcc_lo, s[22:23], v[39:40]
	s_or_not1_b32 s30, vcc_lo, exec_lo
.LBB1333_257:
	s_or_b32 exec_lo, exec_lo, s31
.LBB1333_258:
	v_mul_lo_u32 v37, v32, s22
	v_mul_lo_u32 v38, v31, s23
	v_mad_u64_u32 v[33:34], null, v31, s22, 0
	s_and_not1_b32 vcc_lo, exec_lo, s18
	s_delay_alu instid0(VALU_DEP_1) | instskip(NEXT) | instid1(VALU_DEP_1)
	v_add3_u32 v34, v34, v38, v37
	v_lshlrev_b64 v[33:34], 1, v[33:34]
	s_cbranch_vccnz .LBB1333_267
; %bb.259:
	s_delay_alu instid0(VALU_DEP_1) | instskip(NEXT) | instid1(VALU_DEP_2)
	v_add_co_u32 v37, vcc_lo, s8, v33
	v_add_co_ci_u32_e32 v38, vcc_lo, s9, v34, vcc_lo
	v_add_co_u32 v35, vcc_lo, s8, v35
	v_add_co_ci_u32_e32 v36, vcc_lo, s9, v36, vcc_lo
	s_mov_b32 s29, -1
	s_clause 0x1
	global_load_u16 v39, v[37:38], off
	global_load_u16 v40, v[35:36], off
	s_mov_b32 s31, exec_lo
	s_waitcnt vmcnt(0)
	v_cmpx_eq_f16_e32 v39, v40
	s_cbranch_execz .LBB1333_266
; %bb.260:
	v_add_co_u32 v35, vcc_lo, v35, 2
	v_add_co_ci_u32_e32 v36, vcc_lo, 0, v36, vcc_lo
	v_add_co_u32 v37, vcc_lo, v37, 2
	v_add_co_ci_u32_e32 v38, vcc_lo, 0, v38, vcc_lo
	s_add_u32 s4, s22, -1
	s_addc_u32 s5, s23, -1
	s_mov_b64 s[6:7], 0
	s_mov_b32 s29, 0
                                        ; implicit-def: $sgpr33
	s_set_inst_prefetch_distance 0x1
	s_branch .LBB1333_263
	.p2align	6
.LBB1333_261:                           ;   in Loop: Header=BB1333_263 Depth=1
	global_load_u16 v39, v[37:38], off
	global_load_u16 v40, v[35:36], off
	v_add_co_u32 v35, vcc_lo, v35, 2
	v_add_co_ci_u32_e32 v36, vcc_lo, 0, v36, vcc_lo
	v_add_co_u32 v37, s2, v37, 2
	s_delay_alu instid0(VALU_DEP_1)
	v_add_co_ci_u32_e64 v38, s2, 0, v38, s2
	s_add_u32 s6, s6, 1
	s_addc_u32 s7, s7, 0
	s_and_not1_b32 s2, s33, exec_lo
	s_waitcnt vmcnt(0)
	v_cmp_neq_f16_e32 vcc_lo, v39, v40
	s_and_b32 s33, vcc_lo, exec_lo
	s_delay_alu instid0(SALU_CYCLE_1)
	s_or_b32 s33, s2, s33
.LBB1333_262:                           ;   in Loop: Header=BB1333_263 Depth=1
	v_dual_mov_b32 v40, s7 :: v_dual_mov_b32 v39, s6
	s_and_b32 s2, exec_lo, s33
	s_delay_alu instid0(SALU_CYCLE_1) | instskip(NEXT) | instid1(SALU_CYCLE_1)
	s_or_b32 s29, s2, s29
	s_and_not1_b32 exec_lo, exec_lo, s29
	s_cbranch_execz .LBB1333_265
.LBB1333_263:                           ; =>This Inner Loop Header: Depth=1
	s_or_b32 s33, s33, exec_lo
	s_cmp_eq_u64 s[4:5], s[6:7]
	s_cbranch_scc0 .LBB1333_261
; %bb.264:                              ;   in Loop: Header=BB1333_263 Depth=1
	s_mov_b64 s[6:7], s[22:23]
                                        ; implicit-def: $vgpr35_vgpr36
                                        ; implicit-def: $vgpr37_vgpr38
	s_branch .LBB1333_262
.LBB1333_265:
	s_set_inst_prefetch_distance 0x2
	s_or_b32 exec_lo, exec_lo, s29
	v_cmp_gt_i64_e32 vcc_lo, s[22:23], v[39:40]
	s_or_not1_b32 s29, vcc_lo, exec_lo
.LBB1333_266:
	s_or_b32 exec_lo, exec_lo, s31
.LBB1333_267:
	v_mul_lo_u32 v37, v30, s22
	v_mul_lo_u32 v38, v29, s23
	v_mad_u64_u32 v[35:36], null, v29, s22, 0
	s_and_not1_b32 vcc_lo, exec_lo, s18
	s_mov_b32 s2, 0
	s_delay_alu instid0(VALU_DEP_1)
	v_add3_u32 v36, v36, v38, v37
	s_cbranch_vccnz .LBB1333_276
; %bb.268:
	s_delay_alu instid0(VALU_DEP_1) | instskip(SKIP_2) | instid1(VALU_DEP_1)
	v_lshlrev_b64 v[37:38], 1, v[35:36]
	s_mov_b32 s2, -1
	s_mov_b32 s31, exec_lo
	v_add_co_u32 v37, vcc_lo, s8, v37
	s_delay_alu instid0(VALU_DEP_2)
	v_add_co_ci_u32_e32 v38, vcc_lo, s9, v38, vcc_lo
	v_add_co_u32 v33, vcc_lo, s8, v33
	v_add_co_ci_u32_e32 v34, vcc_lo, s9, v34, vcc_lo
	s_clause 0x1
	global_load_u16 v39, v[37:38], off
	global_load_u16 v40, v[33:34], off
	s_waitcnt vmcnt(0)
	v_cmpx_eq_f16_e32 v39, v40
	s_cbranch_execz .LBB1333_275
; %bb.269:
	v_add_co_u32 v33, vcc_lo, v33, 2
	v_add_co_ci_u32_e32 v34, vcc_lo, 0, v34, vcc_lo
	v_add_co_u32 v37, vcc_lo, v37, 2
	v_add_co_ci_u32_e32 v38, vcc_lo, 0, v38, vcc_lo
	s_add_u32 s4, s22, -1
	s_addc_u32 s5, s23, -1
	s_mov_b64 s[6:7], 0
	s_mov_b32 s33, 0
                                        ; implicit-def: $sgpr34
	s_set_inst_prefetch_distance 0x1
	s_branch .LBB1333_272
	.p2align	6
.LBB1333_270:                           ;   in Loop: Header=BB1333_272 Depth=1
	global_load_u16 v39, v[37:38], off
	global_load_u16 v40, v[33:34], off
	v_add_co_u32 v33, vcc_lo, v33, 2
	v_add_co_ci_u32_e32 v34, vcc_lo, 0, v34, vcc_lo
	v_add_co_u32 v37, s2, v37, 2
	s_delay_alu instid0(VALU_DEP_1)
	v_add_co_ci_u32_e64 v38, s2, 0, v38, s2
	s_add_u32 s6, s6, 1
	s_addc_u32 s7, s7, 0
	s_and_not1_b32 s2, s34, exec_lo
	s_waitcnt vmcnt(0)
	v_cmp_neq_f16_e32 vcc_lo, v39, v40
	s_and_b32 s34, vcc_lo, exec_lo
	s_delay_alu instid0(SALU_CYCLE_1)
	s_or_b32 s34, s2, s34
.LBB1333_271:                           ;   in Loop: Header=BB1333_272 Depth=1
	v_dual_mov_b32 v40, s7 :: v_dual_mov_b32 v39, s6
	s_and_b32 s2, exec_lo, s34
	s_delay_alu instid0(SALU_CYCLE_1) | instskip(NEXT) | instid1(SALU_CYCLE_1)
	s_or_b32 s33, s2, s33
	s_and_not1_b32 exec_lo, exec_lo, s33
	s_cbranch_execz .LBB1333_274
.LBB1333_272:                           ; =>This Inner Loop Header: Depth=1
	s_or_b32 s34, s34, exec_lo
	s_cmp_eq_u64 s[4:5], s[6:7]
	s_cbranch_scc0 .LBB1333_270
; %bb.273:                              ;   in Loop: Header=BB1333_272 Depth=1
	s_mov_b64 s[6:7], s[22:23]
                                        ; implicit-def: $vgpr33_vgpr34
                                        ; implicit-def: $vgpr37_vgpr38
	s_branch .LBB1333_271
.LBB1333_274:
	s_set_inst_prefetch_distance 0x2
	s_or_b32 exec_lo, exec_lo, s33
	v_cmp_gt_i64_e32 vcc_lo, s[22:23], v[39:40]
	s_or_not1_b32 s2, vcc_lo, exec_lo
.LBB1333_275:
	s_or_b32 exec_lo, exec_lo, s31
.LBB1333_276:
	v_cndmask_b32_e64 v34, 0, 1, s30
	v_cndmask_b32_e64 v37, 0, 1, s27
	;; [unrolled: 1-line block ×7, first 2 shown]
	v_lshlrev_b16 v37, 8, v37
	v_lshlrev_b16 v38, 8, v38
	;; [unrolled: 1-line block ×4, first 2 shown]
	s_waitcnt lgkmcnt(0)
	v_or_b32_e32 v37, v40, v37
	v_or_b32_e32 v38, v41, v38
	v_or_b32_e32 v39, 1, v39
	v_or_b32_e32 v33, v33, v34
	s_barrier
	v_and_b32_e32 v34, 0xffff, v37
	v_lshlrev_b32_e32 v37, 16, v38
	v_and_b32_e32 v38, 0xffff, v39
	v_lshlrev_b32_e32 v33, 16, v33
	buffer_gl0_inv
                                        ; implicit-def: $sgpr2
	s_mov_b32 s4, exec_lo
	v_or_b32_e32 v34, v34, v37
	v_or_b32_e32 v33, v38, v33
	v_cmpx_ne_u32_e32 0, v0
	s_xor_b32 s19, exec_lo, s4
	s_cbranch_execz .LBB1333_287
; %bb.277:
	s_and_not1_b32 vcc_lo, exec_lo, s18
	s_mov_b32 s2, 0
	s_cbranch_vccnz .LBB1333_286
; %bb.278:
	v_add_nc_u32_e32 v37, -8, v55
	v_lshlrev_b64 v[35:36], 1, v[35:36]
	s_mov_b32 s2, -1
	s_mov_b32 s25, exec_lo
	ds_load_b64 v[37:38], v37
	s_waitcnt lgkmcnt(0)
	v_mul_lo_u32 v40, v38, s22
	v_mul_lo_u32 v41, v37, s23
	v_mad_u64_u32 v[38:39], null, v37, s22, 0
	s_delay_alu instid0(VALU_DEP_1) | instskip(NEXT) | instid1(VALU_DEP_1)
	v_add3_u32 v39, v39, v41, v40
	v_lshlrev_b64 v[37:38], 1, v[38:39]
	s_delay_alu instid0(VALU_DEP_1) | instskip(NEXT) | instid1(VALU_DEP_2)
	v_add_co_u32 v37, vcc_lo, s8, v37
	v_add_co_ci_u32_e32 v38, vcc_lo, s9, v38, vcc_lo
	v_add_co_u32 v35, vcc_lo, s8, v35
	v_add_co_ci_u32_e32 v36, vcc_lo, s9, v36, vcc_lo
	s_clause 0x1
	global_load_u16 v39, v[37:38], off
	global_load_u16 v40, v[35:36], off
	s_waitcnt vmcnt(0)
	v_cmpx_eq_f16_e32 v39, v40
	s_cbranch_execz .LBB1333_285
; %bb.279:
	v_add_co_u32 v35, vcc_lo, v35, 2
	v_add_co_ci_u32_e32 v36, vcc_lo, 0, v36, vcc_lo
	v_add_co_u32 v37, vcc_lo, v37, 2
	v_add_co_ci_u32_e32 v38, vcc_lo, 0, v38, vcc_lo
	s_add_u32 s4, s22, -1
	s_addc_u32 s5, s23, -1
	s_mov_b64 s[6:7], 0
	s_mov_b32 s26, 0
                                        ; implicit-def: $sgpr27
	s_set_inst_prefetch_distance 0x1
	s_branch .LBB1333_282
	.p2align	6
.LBB1333_280:                           ;   in Loop: Header=BB1333_282 Depth=1
	global_load_u16 v39, v[37:38], off
	global_load_u16 v40, v[35:36], off
	v_add_co_u32 v35, vcc_lo, v35, 2
	v_add_co_ci_u32_e32 v36, vcc_lo, 0, v36, vcc_lo
	v_add_co_u32 v37, s2, v37, 2
	s_delay_alu instid0(VALU_DEP_1)
	v_add_co_ci_u32_e64 v38, s2, 0, v38, s2
	s_add_u32 s6, s6, 1
	s_addc_u32 s7, s7, 0
	s_and_not1_b32 s2, s27, exec_lo
	s_waitcnt vmcnt(0)
	v_cmp_neq_f16_e32 vcc_lo, v39, v40
	s_and_b32 s27, vcc_lo, exec_lo
	s_delay_alu instid0(SALU_CYCLE_1)
	s_or_b32 s27, s2, s27
.LBB1333_281:                           ;   in Loop: Header=BB1333_282 Depth=1
	v_dual_mov_b32 v40, s7 :: v_dual_mov_b32 v39, s6
	s_and_b32 s2, exec_lo, s27
	s_delay_alu instid0(SALU_CYCLE_1) | instskip(NEXT) | instid1(SALU_CYCLE_1)
	s_or_b32 s26, s2, s26
	s_and_not1_b32 exec_lo, exec_lo, s26
	s_cbranch_execz .LBB1333_284
.LBB1333_282:                           ; =>This Inner Loop Header: Depth=1
	s_or_b32 s27, s27, exec_lo
	s_cmp_eq_u64 s[4:5], s[6:7]
	s_cbranch_scc0 .LBB1333_280
; %bb.283:                              ;   in Loop: Header=BB1333_282 Depth=1
	s_mov_b64 s[6:7], s[22:23]
                                        ; implicit-def: $vgpr35_vgpr36
                                        ; implicit-def: $vgpr37_vgpr38
	s_branch .LBB1333_281
.LBB1333_284:
	s_set_inst_prefetch_distance 0x2
	s_or_b32 exec_lo, exec_lo, s26
	v_cmp_gt_i64_e32 vcc_lo, s[22:23], v[39:40]
	s_or_not1_b32 s2, vcc_lo, exec_lo
.LBB1333_285:
	s_or_b32 exec_lo, exec_lo, s25
.LBB1333_286:
	s_delay_alu instid0(SALU_CYCLE_1)
	s_and_b32 s2, s2, exec_lo
	s_or_b32 s3, s3, exec_lo
.LBB1333_287:
	s_or_b32 exec_lo, exec_lo, s19
	s_branch .LBB1333_379
.LBB1333_288:
	v_or_b32_e32 v33, 7, v55
	s_mov_b32 s19, 0
	s_mov_b32 s25, 0
	s_mov_b32 s26, exec_lo
	s_delay_alu instid0(VALU_DEP_1)
	v_cmpx_gt_u32_e64 s28, v33
	s_cbranch_execz .LBB1333_299
; %bb.289:
	s_and_not1_b32 vcc_lo, exec_lo, s18
	s_mov_b32 s2, 0
	s_cbranch_vccnz .LBB1333_298
; %bb.290:
	v_mul_lo_u32 v37, v18, s22
	v_mul_lo_u32 v38, v17, s23
	v_mad_u64_u32 v[33:34], null, v17, s22, 0
	v_mul_lo_u32 v39, v20, s22
	v_mul_lo_u32 v40, v19, s23
	v_mad_u64_u32 v[35:36], null, v19, s22, 0
	s_mov_b32 s2, -1
	s_mov_b32 s25, exec_lo
	s_delay_alu instid0(VALU_DEP_4) | instskip(NEXT) | instid1(VALU_DEP_2)
	v_add3_u32 v34, v34, v38, v37
	v_add3_u32 v36, v36, v40, v39
	s_delay_alu instid0(VALU_DEP_2) | instskip(NEXT) | instid1(VALU_DEP_2)
	v_lshlrev_b64 v[33:34], 1, v[33:34]
	v_lshlrev_b64 v[37:38], 1, v[35:36]
	s_delay_alu instid0(VALU_DEP_2) | instskip(NEXT) | instid1(VALU_DEP_3)
	v_add_co_u32 v35, vcc_lo, s8, v33
	v_add_co_ci_u32_e32 v36, vcc_lo, s9, v34, vcc_lo
	s_delay_alu instid0(VALU_DEP_3) | instskip(NEXT) | instid1(VALU_DEP_4)
	v_add_co_u32 v33, vcc_lo, s8, v37
	v_add_co_ci_u32_e32 v34, vcc_lo, s9, v38, vcc_lo
	s_clause 0x1
	global_load_u16 v37, v[35:36], off
	global_load_u16 v38, v[33:34], off
	s_waitcnt vmcnt(0)
	v_cmpx_eq_f16_e32 v37, v38
	s_cbranch_execz .LBB1333_297
; %bb.291:
	v_add_co_u32 v33, vcc_lo, v33, 2
	v_add_co_ci_u32_e32 v34, vcc_lo, 0, v34, vcc_lo
	v_add_co_u32 v35, vcc_lo, v35, 2
	v_add_co_ci_u32_e32 v36, vcc_lo, 0, v36, vcc_lo
	s_add_u32 s4, s22, -1
	s_addc_u32 s5, s23, -1
	s_mov_b64 s[6:7], 0
	s_mov_b32 s27, 0
                                        ; implicit-def: $sgpr29
	s_set_inst_prefetch_distance 0x1
	s_branch .LBB1333_294
	.p2align	6
.LBB1333_292:                           ;   in Loop: Header=BB1333_294 Depth=1
	global_load_u16 v37, v[35:36], off
	global_load_u16 v38, v[33:34], off
	v_add_co_u32 v33, vcc_lo, v33, 2
	v_add_co_ci_u32_e32 v34, vcc_lo, 0, v34, vcc_lo
	v_add_co_u32 v35, s2, v35, 2
	s_delay_alu instid0(VALU_DEP_1)
	v_add_co_ci_u32_e64 v36, s2, 0, v36, s2
	s_add_u32 s6, s6, 1
	s_addc_u32 s7, s7, 0
	s_and_not1_b32 s2, s29, exec_lo
	s_waitcnt vmcnt(0)
	v_cmp_neq_f16_e32 vcc_lo, v37, v38
	s_and_b32 s29, vcc_lo, exec_lo
	s_delay_alu instid0(SALU_CYCLE_1)
	s_or_b32 s29, s2, s29
.LBB1333_293:                           ;   in Loop: Header=BB1333_294 Depth=1
	v_dual_mov_b32 v38, s7 :: v_dual_mov_b32 v37, s6
	s_and_b32 s2, exec_lo, s29
	s_delay_alu instid0(SALU_CYCLE_1) | instskip(NEXT) | instid1(SALU_CYCLE_1)
	s_or_b32 s27, s2, s27
	s_and_not1_b32 exec_lo, exec_lo, s27
	s_cbranch_execz .LBB1333_296
.LBB1333_294:                           ; =>This Inner Loop Header: Depth=1
	s_or_b32 s29, s29, exec_lo
	s_cmp_eq_u64 s[4:5], s[6:7]
	s_cbranch_scc0 .LBB1333_292
; %bb.295:                              ;   in Loop: Header=BB1333_294 Depth=1
	s_mov_b64 s[6:7], s[22:23]
                                        ; implicit-def: $vgpr33_vgpr34
                                        ; implicit-def: $vgpr35_vgpr36
	s_branch .LBB1333_293
.LBB1333_296:
	s_set_inst_prefetch_distance 0x2
	s_or_b32 exec_lo, exec_lo, s27
	v_cmp_gt_i64_e32 vcc_lo, s[22:23], v[37:38]
	s_or_not1_b32 s2, vcc_lo, exec_lo
.LBB1333_297:
	s_or_b32 exec_lo, exec_lo, s25
.LBB1333_298:
	s_delay_alu instid0(SALU_CYCLE_1)
	s_and_b32 s25, s2, exec_lo
.LBB1333_299:
	s_or_b32 exec_lo, exec_lo, s26
	v_or_b32_e32 v33, 6, v55
	s_mov_b32 s26, exec_lo
	s_delay_alu instid0(VALU_DEP_1)
	v_cmpx_gt_u32_e64 s28, v33
	s_cbranch_execz .LBB1333_310
; %bb.300:
	s_and_not1_b32 vcc_lo, exec_lo, s18
	s_mov_b32 s2, 0
	s_cbranch_vccnz .LBB1333_309
; %bb.301:
	v_mul_lo_u32 v37, v24, s22
	v_mul_lo_u32 v38, v23, s23
	v_mad_u64_u32 v[33:34], null, v23, s22, 0
	v_mul_lo_u32 v39, v18, s22
	v_mul_lo_u32 v40, v17, s23
	v_mad_u64_u32 v[35:36], null, v17, s22, 0
	s_mov_b32 s2, -1
	s_mov_b32 s19, exec_lo
	s_delay_alu instid0(VALU_DEP_4) | instskip(NEXT) | instid1(VALU_DEP_2)
	v_add3_u32 v34, v34, v38, v37
	v_add3_u32 v36, v36, v40, v39
	s_delay_alu instid0(VALU_DEP_2) | instskip(NEXT) | instid1(VALU_DEP_2)
	v_lshlrev_b64 v[33:34], 1, v[33:34]
	v_lshlrev_b64 v[37:38], 1, v[35:36]
	s_delay_alu instid0(VALU_DEP_2) | instskip(NEXT) | instid1(VALU_DEP_3)
	v_add_co_u32 v35, vcc_lo, s8, v33
	v_add_co_ci_u32_e32 v36, vcc_lo, s9, v34, vcc_lo
	s_delay_alu instid0(VALU_DEP_3) | instskip(NEXT) | instid1(VALU_DEP_4)
	v_add_co_u32 v33, vcc_lo, s8, v37
	v_add_co_ci_u32_e32 v34, vcc_lo, s9, v38, vcc_lo
	s_clause 0x1
	global_load_u16 v37, v[35:36], off
	global_load_u16 v38, v[33:34], off
	s_waitcnt vmcnt(0)
	v_cmpx_eq_f16_e32 v37, v38
	s_cbranch_execz .LBB1333_308
; %bb.302:
	v_add_co_u32 v33, vcc_lo, v33, 2
	v_add_co_ci_u32_e32 v34, vcc_lo, 0, v34, vcc_lo
	v_add_co_u32 v35, vcc_lo, v35, 2
	v_add_co_ci_u32_e32 v36, vcc_lo, 0, v36, vcc_lo
	s_add_u32 s4, s22, -1
	s_addc_u32 s5, s23, -1
	s_mov_b64 s[6:7], 0
	s_mov_b32 s27, 0
                                        ; implicit-def: $sgpr29
	s_set_inst_prefetch_distance 0x1
	s_branch .LBB1333_305
	.p2align	6
.LBB1333_303:                           ;   in Loop: Header=BB1333_305 Depth=1
	global_load_u16 v37, v[35:36], off
	global_load_u16 v38, v[33:34], off
	v_add_co_u32 v33, vcc_lo, v33, 2
	v_add_co_ci_u32_e32 v34, vcc_lo, 0, v34, vcc_lo
	v_add_co_u32 v35, s2, v35, 2
	s_delay_alu instid0(VALU_DEP_1)
	v_add_co_ci_u32_e64 v36, s2, 0, v36, s2
	s_add_u32 s6, s6, 1
	s_addc_u32 s7, s7, 0
	s_and_not1_b32 s2, s29, exec_lo
	s_waitcnt vmcnt(0)
	v_cmp_neq_f16_e32 vcc_lo, v37, v38
	s_and_b32 s29, vcc_lo, exec_lo
	s_delay_alu instid0(SALU_CYCLE_1)
	s_or_b32 s29, s2, s29
.LBB1333_304:                           ;   in Loop: Header=BB1333_305 Depth=1
	v_dual_mov_b32 v38, s7 :: v_dual_mov_b32 v37, s6
	s_and_b32 s2, exec_lo, s29
	s_delay_alu instid0(SALU_CYCLE_1) | instskip(NEXT) | instid1(SALU_CYCLE_1)
	s_or_b32 s27, s2, s27
	s_and_not1_b32 exec_lo, exec_lo, s27
	s_cbranch_execz .LBB1333_307
.LBB1333_305:                           ; =>This Inner Loop Header: Depth=1
	s_or_b32 s29, s29, exec_lo
	s_cmp_eq_u64 s[4:5], s[6:7]
	s_cbranch_scc0 .LBB1333_303
; %bb.306:                              ;   in Loop: Header=BB1333_305 Depth=1
	s_mov_b64 s[6:7], s[22:23]
                                        ; implicit-def: $vgpr33_vgpr34
                                        ; implicit-def: $vgpr35_vgpr36
	s_branch .LBB1333_304
.LBB1333_307:
	s_set_inst_prefetch_distance 0x2
	s_or_b32 exec_lo, exec_lo, s27
	v_cmp_gt_i64_e32 vcc_lo, s[22:23], v[37:38]
	s_or_not1_b32 s2, vcc_lo, exec_lo
.LBB1333_308:
	s_or_b32 exec_lo, exec_lo, s19
.LBB1333_309:
	s_delay_alu instid0(SALU_CYCLE_1)
	s_and_b32 s19, s2, exec_lo
.LBB1333_310:
	s_or_b32 exec_lo, exec_lo, s26
	v_or_b32_e32 v33, 5, v55
	s_mov_b32 s26, 0
	s_mov_b32 s27, 0
	s_mov_b32 s29, exec_lo
	s_delay_alu instid0(VALU_DEP_1)
	v_cmpx_gt_u32_e64 s28, v33
	s_cbranch_execz .LBB1333_321
; %bb.311:
	s_and_not1_b32 vcc_lo, exec_lo, s18
	s_mov_b32 s2, 0
	s_cbranch_vccnz .LBB1333_320
; %bb.312:
	v_mul_lo_u32 v37, v22, s22
	v_mul_lo_u32 v38, v21, s23
	v_mad_u64_u32 v[33:34], null, v21, s22, 0
	v_mul_lo_u32 v39, v24, s22
	v_mul_lo_u32 v40, v23, s23
	v_mad_u64_u32 v[35:36], null, v23, s22, 0
	s_mov_b32 s2, -1
	s_mov_b32 s27, exec_lo
	s_delay_alu instid0(VALU_DEP_4) | instskip(NEXT) | instid1(VALU_DEP_2)
	v_add3_u32 v34, v34, v38, v37
	v_add3_u32 v36, v36, v40, v39
	s_delay_alu instid0(VALU_DEP_2) | instskip(NEXT) | instid1(VALU_DEP_2)
	v_lshlrev_b64 v[33:34], 1, v[33:34]
	v_lshlrev_b64 v[37:38], 1, v[35:36]
	s_delay_alu instid0(VALU_DEP_2) | instskip(NEXT) | instid1(VALU_DEP_3)
	v_add_co_u32 v35, vcc_lo, s8, v33
	v_add_co_ci_u32_e32 v36, vcc_lo, s9, v34, vcc_lo
	s_delay_alu instid0(VALU_DEP_3) | instskip(NEXT) | instid1(VALU_DEP_4)
	v_add_co_u32 v33, vcc_lo, s8, v37
	v_add_co_ci_u32_e32 v34, vcc_lo, s9, v38, vcc_lo
	s_clause 0x1
	global_load_u16 v37, v[35:36], off
	global_load_u16 v38, v[33:34], off
	s_waitcnt vmcnt(0)
	v_cmpx_eq_f16_e32 v37, v38
	s_cbranch_execz .LBB1333_319
; %bb.313:
	v_add_co_u32 v33, vcc_lo, v33, 2
	v_add_co_ci_u32_e32 v34, vcc_lo, 0, v34, vcc_lo
	v_add_co_u32 v35, vcc_lo, v35, 2
	v_add_co_ci_u32_e32 v36, vcc_lo, 0, v36, vcc_lo
	s_add_u32 s4, s22, -1
	s_addc_u32 s5, s23, -1
	s_mov_b64 s[6:7], 0
	s_mov_b32 s30, 0
                                        ; implicit-def: $sgpr31
	s_set_inst_prefetch_distance 0x1
	s_branch .LBB1333_316
	.p2align	6
.LBB1333_314:                           ;   in Loop: Header=BB1333_316 Depth=1
	global_load_u16 v37, v[35:36], off
	global_load_u16 v38, v[33:34], off
	v_add_co_u32 v33, vcc_lo, v33, 2
	v_add_co_ci_u32_e32 v34, vcc_lo, 0, v34, vcc_lo
	v_add_co_u32 v35, s2, v35, 2
	s_delay_alu instid0(VALU_DEP_1)
	v_add_co_ci_u32_e64 v36, s2, 0, v36, s2
	s_add_u32 s6, s6, 1
	s_addc_u32 s7, s7, 0
	s_and_not1_b32 s2, s31, exec_lo
	s_waitcnt vmcnt(0)
	v_cmp_neq_f16_e32 vcc_lo, v37, v38
	s_and_b32 s31, vcc_lo, exec_lo
	s_delay_alu instid0(SALU_CYCLE_1)
	s_or_b32 s31, s2, s31
.LBB1333_315:                           ;   in Loop: Header=BB1333_316 Depth=1
	v_dual_mov_b32 v38, s7 :: v_dual_mov_b32 v37, s6
	s_and_b32 s2, exec_lo, s31
	s_delay_alu instid0(SALU_CYCLE_1) | instskip(NEXT) | instid1(SALU_CYCLE_1)
	s_or_b32 s30, s2, s30
	s_and_not1_b32 exec_lo, exec_lo, s30
	s_cbranch_execz .LBB1333_318
.LBB1333_316:                           ; =>This Inner Loop Header: Depth=1
	s_or_b32 s31, s31, exec_lo
	s_cmp_eq_u64 s[4:5], s[6:7]
	s_cbranch_scc0 .LBB1333_314
; %bb.317:                              ;   in Loop: Header=BB1333_316 Depth=1
	s_mov_b64 s[6:7], s[22:23]
                                        ; implicit-def: $vgpr33_vgpr34
                                        ; implicit-def: $vgpr35_vgpr36
	s_branch .LBB1333_315
.LBB1333_318:
	s_set_inst_prefetch_distance 0x2
	s_or_b32 exec_lo, exec_lo, s30
	v_cmp_gt_i64_e32 vcc_lo, s[22:23], v[37:38]
	s_or_not1_b32 s2, vcc_lo, exec_lo
.LBB1333_319:
	s_or_b32 exec_lo, exec_lo, s27
.LBB1333_320:
	s_delay_alu instid0(SALU_CYCLE_1)
	s_and_b32 s27, s2, exec_lo
.LBB1333_321:
	s_or_b32 exec_lo, exec_lo, s29
	v_or_b32_e32 v33, 4, v55
	s_mov_b32 s29, exec_lo
	s_delay_alu instid0(VALU_DEP_1)
	v_cmpx_gt_u32_e64 s28, v33
	s_cbranch_execz .LBB1333_332
; %bb.322:
	s_and_not1_b32 vcc_lo, exec_lo, s18
	s_mov_b32 s2, 0
	s_cbranch_vccnz .LBB1333_331
; %bb.323:
	v_mul_lo_u32 v37, v28, s22
	v_mul_lo_u32 v38, v27, s23
	v_mad_u64_u32 v[33:34], null, v27, s22, 0
	v_mul_lo_u32 v39, v22, s22
	v_mul_lo_u32 v40, v21, s23
	v_mad_u64_u32 v[35:36], null, v21, s22, 0
	s_mov_b32 s2, -1
	s_mov_b32 s26, exec_lo
	s_delay_alu instid0(VALU_DEP_4) | instskip(NEXT) | instid1(VALU_DEP_2)
	v_add3_u32 v34, v34, v38, v37
	v_add3_u32 v36, v36, v40, v39
	s_delay_alu instid0(VALU_DEP_2) | instskip(NEXT) | instid1(VALU_DEP_2)
	v_lshlrev_b64 v[33:34], 1, v[33:34]
	v_lshlrev_b64 v[37:38], 1, v[35:36]
	s_delay_alu instid0(VALU_DEP_2) | instskip(NEXT) | instid1(VALU_DEP_3)
	v_add_co_u32 v35, vcc_lo, s8, v33
	v_add_co_ci_u32_e32 v36, vcc_lo, s9, v34, vcc_lo
	s_delay_alu instid0(VALU_DEP_3) | instskip(NEXT) | instid1(VALU_DEP_4)
	v_add_co_u32 v33, vcc_lo, s8, v37
	v_add_co_ci_u32_e32 v34, vcc_lo, s9, v38, vcc_lo
	s_clause 0x1
	global_load_u16 v37, v[35:36], off
	global_load_u16 v38, v[33:34], off
	s_waitcnt vmcnt(0)
	v_cmpx_eq_f16_e32 v37, v38
	s_cbranch_execz .LBB1333_330
; %bb.324:
	v_add_co_u32 v33, vcc_lo, v33, 2
	v_add_co_ci_u32_e32 v34, vcc_lo, 0, v34, vcc_lo
	v_add_co_u32 v35, vcc_lo, v35, 2
	v_add_co_ci_u32_e32 v36, vcc_lo, 0, v36, vcc_lo
	s_add_u32 s4, s22, -1
	s_addc_u32 s5, s23, -1
	s_mov_b64 s[6:7], 0
	s_mov_b32 s30, 0
                                        ; implicit-def: $sgpr31
	s_set_inst_prefetch_distance 0x1
	s_branch .LBB1333_327
	.p2align	6
.LBB1333_325:                           ;   in Loop: Header=BB1333_327 Depth=1
	global_load_u16 v37, v[35:36], off
	global_load_u16 v38, v[33:34], off
	v_add_co_u32 v33, vcc_lo, v33, 2
	v_add_co_ci_u32_e32 v34, vcc_lo, 0, v34, vcc_lo
	v_add_co_u32 v35, s2, v35, 2
	s_delay_alu instid0(VALU_DEP_1)
	v_add_co_ci_u32_e64 v36, s2, 0, v36, s2
	s_add_u32 s6, s6, 1
	s_addc_u32 s7, s7, 0
	s_and_not1_b32 s2, s31, exec_lo
	s_waitcnt vmcnt(0)
	v_cmp_neq_f16_e32 vcc_lo, v37, v38
	s_and_b32 s31, vcc_lo, exec_lo
	s_delay_alu instid0(SALU_CYCLE_1)
	s_or_b32 s31, s2, s31
.LBB1333_326:                           ;   in Loop: Header=BB1333_327 Depth=1
	v_dual_mov_b32 v38, s7 :: v_dual_mov_b32 v37, s6
	s_and_b32 s2, exec_lo, s31
	s_delay_alu instid0(SALU_CYCLE_1) | instskip(NEXT) | instid1(SALU_CYCLE_1)
	s_or_b32 s30, s2, s30
	s_and_not1_b32 exec_lo, exec_lo, s30
	s_cbranch_execz .LBB1333_329
.LBB1333_327:                           ; =>This Inner Loop Header: Depth=1
	s_or_b32 s31, s31, exec_lo
	s_cmp_eq_u64 s[4:5], s[6:7]
	s_cbranch_scc0 .LBB1333_325
; %bb.328:                              ;   in Loop: Header=BB1333_327 Depth=1
	s_mov_b64 s[6:7], s[22:23]
                                        ; implicit-def: $vgpr33_vgpr34
                                        ; implicit-def: $vgpr35_vgpr36
	s_branch .LBB1333_326
.LBB1333_329:
	s_set_inst_prefetch_distance 0x2
	s_or_b32 exec_lo, exec_lo, s30
	v_cmp_gt_i64_e32 vcc_lo, s[22:23], v[37:38]
	s_or_not1_b32 s2, vcc_lo, exec_lo
.LBB1333_330:
	s_or_b32 exec_lo, exec_lo, s26
.LBB1333_331:
	s_delay_alu instid0(SALU_CYCLE_1)
	s_and_b32 s26, s2, exec_lo
.LBB1333_332:
	s_or_b32 exec_lo, exec_lo, s29
	v_or_b32_e32 v33, 3, v55
	s_mov_b32 s30, 0
	s_mov_b32 s29, 0
	s_mov_b32 s31, exec_lo
	s_delay_alu instid0(VALU_DEP_1)
	v_cmpx_gt_u32_e64 s28, v33
	s_cbranch_execz .LBB1333_343
; %bb.333:
	s_and_not1_b32 vcc_lo, exec_lo, s18
	s_mov_b32 s2, 0
	s_cbranch_vccnz .LBB1333_342
; %bb.334:
	v_mul_lo_u32 v37, v26, s22
	v_mul_lo_u32 v38, v25, s23
	v_mad_u64_u32 v[33:34], null, v25, s22, 0
	v_mul_lo_u32 v39, v28, s22
	v_mul_lo_u32 v40, v27, s23
	v_mad_u64_u32 v[35:36], null, v27, s22, 0
	s_mov_b32 s2, -1
	s_mov_b32 s29, exec_lo
	s_delay_alu instid0(VALU_DEP_4) | instskip(NEXT) | instid1(VALU_DEP_2)
	v_add3_u32 v34, v34, v38, v37
	v_add3_u32 v36, v36, v40, v39
	s_delay_alu instid0(VALU_DEP_2) | instskip(NEXT) | instid1(VALU_DEP_2)
	v_lshlrev_b64 v[33:34], 1, v[33:34]
	v_lshlrev_b64 v[37:38], 1, v[35:36]
	s_delay_alu instid0(VALU_DEP_2) | instskip(NEXT) | instid1(VALU_DEP_3)
	v_add_co_u32 v35, vcc_lo, s8, v33
	v_add_co_ci_u32_e32 v36, vcc_lo, s9, v34, vcc_lo
	s_delay_alu instid0(VALU_DEP_3) | instskip(NEXT) | instid1(VALU_DEP_4)
	v_add_co_u32 v33, vcc_lo, s8, v37
	v_add_co_ci_u32_e32 v34, vcc_lo, s9, v38, vcc_lo
	s_clause 0x1
	global_load_u16 v37, v[35:36], off
	global_load_u16 v38, v[33:34], off
	s_waitcnt vmcnt(0)
	v_cmpx_eq_f16_e32 v37, v38
	s_cbranch_execz .LBB1333_341
; %bb.335:
	v_add_co_u32 v33, vcc_lo, v33, 2
	v_add_co_ci_u32_e32 v34, vcc_lo, 0, v34, vcc_lo
	v_add_co_u32 v35, vcc_lo, v35, 2
	v_add_co_ci_u32_e32 v36, vcc_lo, 0, v36, vcc_lo
	s_add_u32 s4, s22, -1
	s_addc_u32 s5, s23, -1
	s_mov_b64 s[6:7], 0
	s_mov_b32 s33, 0
                                        ; implicit-def: $sgpr34
	s_set_inst_prefetch_distance 0x1
	s_branch .LBB1333_338
	.p2align	6
.LBB1333_336:                           ;   in Loop: Header=BB1333_338 Depth=1
	global_load_u16 v37, v[35:36], off
	global_load_u16 v38, v[33:34], off
	v_add_co_u32 v33, vcc_lo, v33, 2
	v_add_co_ci_u32_e32 v34, vcc_lo, 0, v34, vcc_lo
	v_add_co_u32 v35, s2, v35, 2
	s_delay_alu instid0(VALU_DEP_1)
	v_add_co_ci_u32_e64 v36, s2, 0, v36, s2
	s_add_u32 s6, s6, 1
	s_addc_u32 s7, s7, 0
	s_and_not1_b32 s2, s34, exec_lo
	s_waitcnt vmcnt(0)
	v_cmp_neq_f16_e32 vcc_lo, v37, v38
	s_and_b32 s34, vcc_lo, exec_lo
	s_delay_alu instid0(SALU_CYCLE_1)
	s_or_b32 s34, s2, s34
.LBB1333_337:                           ;   in Loop: Header=BB1333_338 Depth=1
	v_dual_mov_b32 v38, s7 :: v_dual_mov_b32 v37, s6
	s_and_b32 s2, exec_lo, s34
	s_delay_alu instid0(SALU_CYCLE_1) | instskip(NEXT) | instid1(SALU_CYCLE_1)
	s_or_b32 s33, s2, s33
	s_and_not1_b32 exec_lo, exec_lo, s33
	s_cbranch_execz .LBB1333_340
.LBB1333_338:                           ; =>This Inner Loop Header: Depth=1
	s_or_b32 s34, s34, exec_lo
	s_cmp_eq_u64 s[4:5], s[6:7]
	s_cbranch_scc0 .LBB1333_336
; %bb.339:                              ;   in Loop: Header=BB1333_338 Depth=1
	s_mov_b64 s[6:7], s[22:23]
                                        ; implicit-def: $vgpr33_vgpr34
                                        ; implicit-def: $vgpr35_vgpr36
	s_branch .LBB1333_337
.LBB1333_340:
	s_set_inst_prefetch_distance 0x2
	s_or_b32 exec_lo, exec_lo, s33
	v_cmp_gt_i64_e32 vcc_lo, s[22:23], v[37:38]
	s_or_not1_b32 s2, vcc_lo, exec_lo
.LBB1333_341:
	s_or_b32 exec_lo, exec_lo, s29
.LBB1333_342:
	s_delay_alu instid0(SALU_CYCLE_1)
	s_and_b32 s29, s2, exec_lo
.LBB1333_343:
	s_or_b32 exec_lo, exec_lo, s31
	v_or_b32_e32 v33, 2, v55
	s_mov_b32 s31, exec_lo
	s_delay_alu instid0(VALU_DEP_1)
	v_cmpx_gt_u32_e64 s28, v33
	s_cbranch_execz .LBB1333_354
; %bb.344:
	s_and_not1_b32 vcc_lo, exec_lo, s18
	s_mov_b32 s2, 0
	s_cbranch_vccnz .LBB1333_353
; %bb.345:
	v_mul_lo_u32 v37, v32, s22
	v_mul_lo_u32 v38, v31, s23
	v_mad_u64_u32 v[33:34], null, v31, s22, 0
	v_mul_lo_u32 v39, v26, s22
	v_mul_lo_u32 v40, v25, s23
	v_mad_u64_u32 v[35:36], null, v25, s22, 0
	s_mov_b32 s2, -1
	s_mov_b32 s30, exec_lo
	s_delay_alu instid0(VALU_DEP_4) | instskip(NEXT) | instid1(VALU_DEP_2)
	v_add3_u32 v34, v34, v38, v37
	v_add3_u32 v36, v36, v40, v39
	s_delay_alu instid0(VALU_DEP_2) | instskip(NEXT) | instid1(VALU_DEP_2)
	v_lshlrev_b64 v[33:34], 1, v[33:34]
	v_lshlrev_b64 v[37:38], 1, v[35:36]
	s_delay_alu instid0(VALU_DEP_2) | instskip(NEXT) | instid1(VALU_DEP_3)
	v_add_co_u32 v35, vcc_lo, s8, v33
	v_add_co_ci_u32_e32 v36, vcc_lo, s9, v34, vcc_lo
	s_delay_alu instid0(VALU_DEP_3) | instskip(NEXT) | instid1(VALU_DEP_4)
	v_add_co_u32 v33, vcc_lo, s8, v37
	v_add_co_ci_u32_e32 v34, vcc_lo, s9, v38, vcc_lo
	s_clause 0x1
	global_load_u16 v37, v[35:36], off
	global_load_u16 v38, v[33:34], off
	s_waitcnt vmcnt(0)
	v_cmpx_eq_f16_e32 v37, v38
	s_cbranch_execz .LBB1333_352
; %bb.346:
	v_add_co_u32 v33, vcc_lo, v33, 2
	v_add_co_ci_u32_e32 v34, vcc_lo, 0, v34, vcc_lo
	v_add_co_u32 v35, vcc_lo, v35, 2
	v_add_co_ci_u32_e32 v36, vcc_lo, 0, v36, vcc_lo
	s_add_u32 s4, s22, -1
	s_addc_u32 s5, s23, -1
	s_mov_b64 s[6:7], 0
	s_mov_b32 s33, 0
                                        ; implicit-def: $sgpr34
	s_set_inst_prefetch_distance 0x1
	s_branch .LBB1333_349
	.p2align	6
.LBB1333_347:                           ;   in Loop: Header=BB1333_349 Depth=1
	global_load_u16 v37, v[35:36], off
	global_load_u16 v38, v[33:34], off
	v_add_co_u32 v33, vcc_lo, v33, 2
	v_add_co_ci_u32_e32 v34, vcc_lo, 0, v34, vcc_lo
	v_add_co_u32 v35, s2, v35, 2
	s_delay_alu instid0(VALU_DEP_1)
	v_add_co_ci_u32_e64 v36, s2, 0, v36, s2
	s_add_u32 s6, s6, 1
	s_addc_u32 s7, s7, 0
	s_and_not1_b32 s2, s34, exec_lo
	s_waitcnt vmcnt(0)
	v_cmp_neq_f16_e32 vcc_lo, v37, v38
	s_and_b32 s34, vcc_lo, exec_lo
	s_delay_alu instid0(SALU_CYCLE_1)
	s_or_b32 s34, s2, s34
.LBB1333_348:                           ;   in Loop: Header=BB1333_349 Depth=1
	v_dual_mov_b32 v38, s7 :: v_dual_mov_b32 v37, s6
	s_and_b32 s2, exec_lo, s34
	s_delay_alu instid0(SALU_CYCLE_1) | instskip(NEXT) | instid1(SALU_CYCLE_1)
	s_or_b32 s33, s2, s33
	s_and_not1_b32 exec_lo, exec_lo, s33
	s_cbranch_execz .LBB1333_351
.LBB1333_349:                           ; =>This Inner Loop Header: Depth=1
	s_or_b32 s34, s34, exec_lo
	s_cmp_eq_u64 s[4:5], s[6:7]
	s_cbranch_scc0 .LBB1333_347
; %bb.350:                              ;   in Loop: Header=BB1333_349 Depth=1
	s_mov_b64 s[6:7], s[22:23]
                                        ; implicit-def: $vgpr33_vgpr34
                                        ; implicit-def: $vgpr35_vgpr36
	s_branch .LBB1333_348
.LBB1333_351:
	s_set_inst_prefetch_distance 0x2
	s_or_b32 exec_lo, exec_lo, s33
	v_cmp_gt_i64_e32 vcc_lo, s[22:23], v[37:38]
	s_or_not1_b32 s2, vcc_lo, exec_lo
.LBB1333_352:
	s_or_b32 exec_lo, exec_lo, s30
.LBB1333_353:
	s_delay_alu instid0(SALU_CYCLE_1)
	s_and_b32 s30, s2, exec_lo
.LBB1333_354:
	s_or_b32 exec_lo, exec_lo, s31
	v_or_b32_e32 v33, 1, v55
	s_mov_b32 s2, 0
	s_mov_b32 s31, exec_lo
	s_delay_alu instid0(VALU_DEP_1)
	v_cmpx_gt_u32_e64 s28, v33
	s_cbranch_execz .LBB1333_365
; %bb.355:
	s_and_not1_b32 vcc_lo, exec_lo, s18
	s_cbranch_vccnz .LBB1333_364
; %bb.356:
	v_mul_lo_u32 v37, v30, s22
	v_mul_lo_u32 v38, v29, s23
	v_mad_u64_u32 v[33:34], null, v29, s22, 0
	v_mul_lo_u32 v39, v32, s22
	v_mul_lo_u32 v40, v31, s23
	v_mad_u64_u32 v[35:36], null, v31, s22, 0
	s_mov_b32 s2, -1
	s_mov_b32 s33, exec_lo
	s_delay_alu instid0(VALU_DEP_4) | instskip(NEXT) | instid1(VALU_DEP_2)
	v_add3_u32 v34, v34, v38, v37
	v_add3_u32 v36, v36, v40, v39
	s_delay_alu instid0(VALU_DEP_2) | instskip(NEXT) | instid1(VALU_DEP_2)
	v_lshlrev_b64 v[33:34], 1, v[33:34]
	v_lshlrev_b64 v[37:38], 1, v[35:36]
	s_delay_alu instid0(VALU_DEP_2) | instskip(NEXT) | instid1(VALU_DEP_3)
	v_add_co_u32 v35, vcc_lo, s8, v33
	v_add_co_ci_u32_e32 v36, vcc_lo, s9, v34, vcc_lo
	s_delay_alu instid0(VALU_DEP_3) | instskip(NEXT) | instid1(VALU_DEP_4)
	v_add_co_u32 v33, vcc_lo, s8, v37
	v_add_co_ci_u32_e32 v34, vcc_lo, s9, v38, vcc_lo
	s_clause 0x1
	global_load_u16 v37, v[35:36], off
	global_load_u16 v38, v[33:34], off
	s_waitcnt vmcnt(0)
	v_cmpx_eq_f16_e32 v37, v38
	s_cbranch_execz .LBB1333_363
; %bb.357:
	v_add_co_u32 v33, vcc_lo, v33, 2
	v_add_co_ci_u32_e32 v34, vcc_lo, 0, v34, vcc_lo
	v_add_co_u32 v35, vcc_lo, v35, 2
	v_add_co_ci_u32_e32 v36, vcc_lo, 0, v36, vcc_lo
	s_add_u32 s4, s22, -1
	s_addc_u32 s5, s23, -1
	s_mov_b64 s[6:7], 0
	s_mov_b32 s34, 0
                                        ; implicit-def: $sgpr35
	s_set_inst_prefetch_distance 0x1
	s_branch .LBB1333_360
	.p2align	6
.LBB1333_358:                           ;   in Loop: Header=BB1333_360 Depth=1
	global_load_u16 v37, v[35:36], off
	global_load_u16 v38, v[33:34], off
	v_add_co_u32 v33, vcc_lo, v33, 2
	v_add_co_ci_u32_e32 v34, vcc_lo, 0, v34, vcc_lo
	v_add_co_u32 v35, s2, v35, 2
	s_delay_alu instid0(VALU_DEP_1)
	v_add_co_ci_u32_e64 v36, s2, 0, v36, s2
	s_add_u32 s6, s6, 1
	s_addc_u32 s7, s7, 0
	s_and_not1_b32 s2, s35, exec_lo
	s_waitcnt vmcnt(0)
	v_cmp_neq_f16_e32 vcc_lo, v37, v38
	s_and_b32 s35, vcc_lo, exec_lo
	s_delay_alu instid0(SALU_CYCLE_1)
	s_or_b32 s35, s2, s35
.LBB1333_359:                           ;   in Loop: Header=BB1333_360 Depth=1
	v_dual_mov_b32 v38, s7 :: v_dual_mov_b32 v37, s6
	s_and_b32 s2, exec_lo, s35
	s_delay_alu instid0(SALU_CYCLE_1) | instskip(NEXT) | instid1(SALU_CYCLE_1)
	s_or_b32 s34, s2, s34
	s_and_not1_b32 exec_lo, exec_lo, s34
	s_cbranch_execz .LBB1333_362
.LBB1333_360:                           ; =>This Inner Loop Header: Depth=1
	s_or_b32 s35, s35, exec_lo
	s_cmp_eq_u64 s[4:5], s[6:7]
	s_cbranch_scc0 .LBB1333_358
; %bb.361:                              ;   in Loop: Header=BB1333_360 Depth=1
	s_mov_b64 s[6:7], s[22:23]
                                        ; implicit-def: $vgpr33_vgpr34
                                        ; implicit-def: $vgpr35_vgpr36
	s_branch .LBB1333_359
.LBB1333_362:
	s_set_inst_prefetch_distance 0x2
	s_or_b32 exec_lo, exec_lo, s34
	v_cmp_gt_i64_e32 vcc_lo, s[22:23], v[37:38]
	s_or_not1_b32 s2, vcc_lo, exec_lo
.LBB1333_363:
	s_or_b32 exec_lo, exec_lo, s33
.LBB1333_364:
	s_delay_alu instid0(SALU_CYCLE_1)
	s_and_b32 s2, s2, exec_lo
.LBB1333_365:
	s_or_b32 exec_lo, exec_lo, s31
	v_cndmask_b32_e64 v34, 0, 1, s29
	v_cndmask_b32_e64 v35, 0, 1, s27
	;; [unrolled: 1-line block ×7, first 2 shown]
	v_lshlrev_b16 v35, 8, v35
	v_lshlrev_b16 v36, 8, v36
	;; [unrolled: 1-line block ×4, first 2 shown]
	s_mov_b32 s19, exec_lo
	v_or_b32_e32 v35, v38, v35
	v_or_b32_e32 v36, v39, v36
	;; [unrolled: 1-line block ×4, first 2 shown]
	s_waitcnt lgkmcnt(0)
	v_and_b32_e32 v34, 0xffff, v35
	v_lshlrev_b32_e32 v35, 16, v36
	v_and_b32_e32 v36, 0xffff, v37
	v_lshlrev_b32_e32 v33, 16, v33
	s_barrier
	buffer_gl0_inv
	v_or_b32_e32 v34, v34, v35
                                        ; implicit-def: $sgpr2
	v_or_b32_e32 v33, v36, v33
	v_cmpx_ne_u32_e32 0, v0
	s_cbranch_execz .LBB1333_378
; %bb.366:
	s_mov_b32 s2, 0
	s_mov_b32 s25, exec_lo
	v_cmpx_gt_u32_e64 s28, v55
	s_cbranch_execz .LBB1333_377
; %bb.367:
	s_and_not1_b32 vcc_lo, exec_lo, s18
	s_cbranch_vccnz .LBB1333_376
; %bb.368:
	v_add_nc_u32_e32 v35, -8, v55
	v_mul_lo_u32 v42, v29, s23
	v_mad_u64_u32 v[38:39], null, v29, s22, 0
	s_mov_b32 s2, -1
	ds_load_b64 v[35:36], v35
	s_waitcnt lgkmcnt(0)
	v_mul_lo_u32 v40, v36, s22
	v_mul_lo_u32 v41, v35, s23
	v_mad_u64_u32 v[36:37], null, v35, s22, 0
	v_mul_lo_u32 v35, v30, s22
	s_delay_alu instid0(VALU_DEP_2) | instskip(NEXT) | instid1(VALU_DEP_2)
	v_add3_u32 v37, v37, v41, v40
	v_add3_u32 v39, v39, v42, v35
	s_delay_alu instid0(VALU_DEP_2) | instskip(NEXT) | instid1(VALU_DEP_2)
	v_lshlrev_b64 v[35:36], 1, v[36:37]
	v_lshlrev_b64 v[39:40], 1, v[38:39]
	s_delay_alu instid0(VALU_DEP_2) | instskip(NEXT) | instid1(VALU_DEP_3)
	v_add_co_u32 v37, vcc_lo, s8, v35
	v_add_co_ci_u32_e32 v38, vcc_lo, s9, v36, vcc_lo
	s_delay_alu instid0(VALU_DEP_3) | instskip(NEXT) | instid1(VALU_DEP_4)
	v_add_co_u32 v35, vcc_lo, s8, v39
	v_add_co_ci_u32_e32 v36, vcc_lo, s9, v40, vcc_lo
	s_clause 0x1
	global_load_u16 v39, v[37:38], off
	global_load_u16 v40, v[35:36], off
	s_mov_b32 s8, exec_lo
	s_waitcnt vmcnt(0)
	v_cmpx_eq_f16_e32 v39, v40
	s_cbranch_execz .LBB1333_375
; %bb.369:
	v_add_co_u32 v35, vcc_lo, v35, 2
	v_add_co_ci_u32_e32 v36, vcc_lo, 0, v36, vcc_lo
	v_add_co_u32 v37, vcc_lo, v37, 2
	v_add_co_ci_u32_e32 v38, vcc_lo, 0, v38, vcc_lo
	s_add_u32 s4, s22, -1
	s_addc_u32 s5, s23, -1
	s_mov_b64 s[6:7], 0
	s_mov_b32 s9, 0
                                        ; implicit-def: $sgpr18
	s_set_inst_prefetch_distance 0x1
	s_branch .LBB1333_372
	.p2align	6
.LBB1333_370:                           ;   in Loop: Header=BB1333_372 Depth=1
	global_load_u16 v39, v[37:38], off
	global_load_u16 v40, v[35:36], off
	v_add_co_u32 v35, vcc_lo, v35, 2
	v_add_co_ci_u32_e32 v36, vcc_lo, 0, v36, vcc_lo
	v_add_co_u32 v37, s2, v37, 2
	s_delay_alu instid0(VALU_DEP_1)
	v_add_co_ci_u32_e64 v38, s2, 0, v38, s2
	s_add_u32 s6, s6, 1
	s_addc_u32 s7, s7, 0
	s_and_not1_b32 s2, s18, exec_lo
	s_waitcnt vmcnt(0)
	v_cmp_neq_f16_e32 vcc_lo, v39, v40
	s_and_b32 s18, vcc_lo, exec_lo
	s_delay_alu instid0(SALU_CYCLE_1)
	s_or_b32 s18, s2, s18
.LBB1333_371:                           ;   in Loop: Header=BB1333_372 Depth=1
	v_dual_mov_b32 v40, s7 :: v_dual_mov_b32 v39, s6
	s_and_b32 s2, exec_lo, s18
	s_delay_alu instid0(SALU_CYCLE_1) | instskip(NEXT) | instid1(SALU_CYCLE_1)
	s_or_b32 s9, s2, s9
	s_and_not1_b32 exec_lo, exec_lo, s9
	s_cbranch_execz .LBB1333_374
.LBB1333_372:                           ; =>This Inner Loop Header: Depth=1
	s_or_b32 s18, s18, exec_lo
	s_cmp_eq_u64 s[4:5], s[6:7]
	s_cbranch_scc0 .LBB1333_370
; %bb.373:                              ;   in Loop: Header=BB1333_372 Depth=1
	s_mov_b64 s[6:7], s[22:23]
                                        ; implicit-def: $vgpr35_vgpr36
                                        ; implicit-def: $vgpr37_vgpr38
	s_branch .LBB1333_371
.LBB1333_374:
	s_set_inst_prefetch_distance 0x2
	s_or_b32 exec_lo, exec_lo, s9
	v_cmp_gt_i64_e32 vcc_lo, s[22:23], v[39:40]
	s_or_not1_b32 s2, vcc_lo, exec_lo
.LBB1333_375:
	s_or_b32 exec_lo, exec_lo, s8
.LBB1333_376:
	s_delay_alu instid0(SALU_CYCLE_1)
	s_and_b32 s2, s2, exec_lo
.LBB1333_377:
	s_or_b32 exec_lo, exec_lo, s25
	s_delay_alu instid0(SALU_CYCLE_1)
	s_and_b32 s2, s2, exec_lo
	s_or_b32 s3, s3, exec_lo
.LBB1333_378:
	s_or_b32 exec_lo, exec_lo, s19
.LBB1333_379:
	s_and_saveexec_b32 s4, s3
; %bb.380:
	v_and_b32_e32 v35, 0xffffff00, v33
	v_cndmask_b32_e64 v36, 0, 1, s2
	s_delay_alu instid0(VALU_DEP_1) | instskip(NEXT) | instid1(VALU_DEP_1)
	v_or_b32_e32 v35, v36, v35
	v_and_b32_e32 v35, 0xffff, v35
	s_delay_alu instid0(VALU_DEP_1)
	v_and_or_b32 v33, 0xffff0000, v33, v35
; %bb.381:
	s_or_b32 exec_lo, exec_lo, s4
	s_delay_alu instid0(SALU_CYCLE_1)
	s_and_not1_b32 vcc_lo, exec_lo, s21
	s_cbranch_vccnz .LBB1333_383
; %bb.382:
	v_cmp_gt_u32_e32 vcc_lo, s28, v55
	v_or_b32_e32 v36, 1, v55
	v_and_b32_e32 v37, 0xffffff00, v34
	v_or_b32_e32 v38, 2, v55
	v_cndmask_b32_e32 v35, 0, v33, vcc_lo
	s_delay_alu instid0(VALU_DEP_4) | instskip(SKIP_1) | instid1(VALU_DEP_4)
	v_cmp_gt_u32_e32 vcc_lo, s28, v36
	v_or_b32_e32 v36, 4, v55
	v_cmp_gt_u32_e64 s2, s28, v38
	v_or_b32_e32 v38, 3, v55
	v_and_b32_e32 v35, 0xff, v35
	s_delay_alu instid0(VALU_DEP_2) | instskip(NEXT) | instid1(VALU_DEP_2)
	v_cmp_gt_u32_e64 s3, s28, v38
	v_cndmask_b32_e32 v35, v35, v33, vcc_lo
	v_cmp_gt_u32_e32 vcc_lo, s28, v36
	v_cndmask_b32_e32 v36, v37, v34, vcc_lo
	v_or_b32_e32 v37, 5, v55
	s_delay_alu instid0(VALU_DEP_2) | instskip(SKIP_1) | instid1(VALU_DEP_1)
	v_and_b32_e32 v36, 0xffff00ff, v36
	v_and_b32_e32 v35, 0xffff, v35
	v_cndmask_b32_e64 v35, v35, v33, s2
	s_delay_alu instid0(VALU_DEP_4) | instskip(SKIP_1) | instid1(VALU_DEP_3)
	v_cmp_gt_u32_e64 s2, s28, v37
	v_or_b32_e32 v37, 6, v55
	v_and_b32_e32 v35, 0xffffff, v35
	s_delay_alu instid0(VALU_DEP_3) | instskip(NEXT) | instid1(VALU_DEP_2)
	v_cndmask_b32_e64 v36, v36, v34, s2
	v_cndmask_b32_e64 v35, v35, v33, s3
	s_delay_alu instid0(VALU_DEP_1) | instskip(SKIP_2) | instid1(VALU_DEP_3)
	v_dual_cndmask_b32 v35, v35, v33 :: v_dual_and_b32 v36, 0xff00ffff, v36
	v_cmp_gt_u32_e32 vcc_lo, s28, v37
	v_or_b32_e32 v37, 7, v55
	v_cndmask_b32_e64 v35, v35, v33, s2
	s_delay_alu instid0(VALU_DEP_1) | instskip(NEXT) | instid1(VALU_DEP_1)
	v_dual_cndmask_b32 v36, v36, v34 :: v_dual_cndmask_b32 v35, v35, v33
	v_and_b32_e32 v36, 0xffffff, v36
	s_delay_alu instid0(VALU_DEP_4) | instskip(NEXT) | instid1(VALU_DEP_2)
	v_cmp_gt_u32_e32 vcc_lo, s28, v37
	v_dual_cndmask_b32 v34, v36, v34 :: v_dual_cndmask_b32 v33, v35, v33
.LBB1333_383:
	s_delay_alu instid0(VALU_DEP_1) | instskip(NEXT) | instid1(VALU_DEP_2)
	v_and_b32_e32 v42, 0xff, v33
	v_alignbit_b32 v35, v34, v33, 24
	v_bfe_u32 v44, v33, 8, 8
	v_bfe_u32 v46, v33, 16, 8
	v_and_b32_e32 v50, 0xff, v34
	v_bfe_u32 v52, v34, 8, 8
	v_and_b32_e32 v48, 0xff, v35
	v_add_nc_u32_e32 v35, v44, v42
	v_mbcnt_lo_u32_b32 v57, -1, 0
	v_bfe_u32 v54, v34, 16, 8
	v_lshrrev_b32_e32 v56, 24, v34
	v_lshrrev_b32_e32 v58, 5, v0
	v_add3_u32 v35, v35, v46, v48
	v_and_b32_e32 v36, 15, v57
	v_and_b32_e32 v37, 16, v57
	s_and_b32 vcc_lo, exec_lo, s24
	s_mov_b32 s9, -1
	v_add3_u32 v35, v35, v50, v52
	v_cmp_eq_u32_e64 s4, 0, v36
	v_cmp_lt_u32_e64 s2, 1, v36
	v_cmp_lt_u32_e64 s5, 3, v36
	v_cmp_lt_u32_e64 s3, 7, v36
	v_add3_u32 v59, v35, v54, v56
	v_or_b32_e32 v35, 31, v0
	v_cmp_eq_u32_e64 s7, 0, v37
	s_waitcnt lgkmcnt(0)
	s_barrier
	buffer_gl0_inv
	v_cmp_eq_u32_e64 s6, v35, v0
	s_cbranch_vccz .LBB1333_409
; %bb.384:
	v_mov_b32_dpp v35, v59 row_shr:1 row_mask:0xf bank_mask:0xf
	s_delay_alu instid0(VALU_DEP_1) | instskip(NEXT) | instid1(VALU_DEP_1)
	v_cndmask_b32_e64 v35, v35, 0, s4
	v_add_nc_u32_e32 v35, v35, v59
	s_delay_alu instid0(VALU_DEP_1) | instskip(NEXT) | instid1(VALU_DEP_1)
	v_mov_b32_dpp v36, v35 row_shr:2 row_mask:0xf bank_mask:0xf
	v_cndmask_b32_e64 v36, 0, v36, s2
	s_delay_alu instid0(VALU_DEP_1) | instskip(NEXT) | instid1(VALU_DEP_1)
	v_add_nc_u32_e32 v35, v35, v36
	v_mov_b32_dpp v36, v35 row_shr:4 row_mask:0xf bank_mask:0xf
	s_delay_alu instid0(VALU_DEP_1) | instskip(NEXT) | instid1(VALU_DEP_1)
	v_cndmask_b32_e64 v36, 0, v36, s5
	v_add_nc_u32_e32 v35, v35, v36
	s_delay_alu instid0(VALU_DEP_1) | instskip(NEXT) | instid1(VALU_DEP_1)
	v_mov_b32_dpp v36, v35 row_shr:8 row_mask:0xf bank_mask:0xf
	v_cndmask_b32_e64 v36, 0, v36, s3
	s_delay_alu instid0(VALU_DEP_1) | instskip(SKIP_3) | instid1(VALU_DEP_1)
	v_add_nc_u32_e32 v35, v35, v36
	ds_swizzle_b32 v36, v35 offset:swizzle(BROADCAST,32,15)
	s_waitcnt lgkmcnt(0)
	v_cndmask_b32_e64 v36, v36, 0, s7
	v_add_nc_u32_e32 v35, v35, v36
	s_and_saveexec_b32 s8, s6
	s_cbranch_execz .LBB1333_386
; %bb.385:
	v_lshlrev_b32_e32 v36, 2, v58
	ds_store_b32 v36, v35
.LBB1333_386:
	s_or_b32 exec_lo, exec_lo, s8
	s_delay_alu instid0(SALU_CYCLE_1)
	s_mov_b32 s8, exec_lo
	s_waitcnt lgkmcnt(0)
	s_barrier
	buffer_gl0_inv
	v_cmpx_gt_u32_e32 16, v0
	s_cbranch_execz .LBB1333_388
; %bb.387:
	v_lshlrev_b32_e32 v36, 2, v0
	ds_load_b32 v37, v36
	s_waitcnt lgkmcnt(0)
	v_mov_b32_dpp v38, v37 row_shr:1 row_mask:0xf bank_mask:0xf
	s_delay_alu instid0(VALU_DEP_1) | instskip(NEXT) | instid1(VALU_DEP_1)
	v_cndmask_b32_e64 v38, v38, 0, s4
	v_add_nc_u32_e32 v37, v38, v37
	s_delay_alu instid0(VALU_DEP_1) | instskip(NEXT) | instid1(VALU_DEP_1)
	v_mov_b32_dpp v38, v37 row_shr:2 row_mask:0xf bank_mask:0xf
	v_cndmask_b32_e64 v38, 0, v38, s2
	s_delay_alu instid0(VALU_DEP_1) | instskip(NEXT) | instid1(VALU_DEP_1)
	v_add_nc_u32_e32 v37, v37, v38
	v_mov_b32_dpp v38, v37 row_shr:4 row_mask:0xf bank_mask:0xf
	s_delay_alu instid0(VALU_DEP_1) | instskip(NEXT) | instid1(VALU_DEP_1)
	v_cndmask_b32_e64 v38, 0, v38, s5
	v_add_nc_u32_e32 v37, v37, v38
	s_delay_alu instid0(VALU_DEP_1) | instskip(NEXT) | instid1(VALU_DEP_1)
	v_mov_b32_dpp v38, v37 row_shr:8 row_mask:0xf bank_mask:0xf
	v_cndmask_b32_e64 v38, 0, v38, s3
	s_delay_alu instid0(VALU_DEP_1)
	v_add_nc_u32_e32 v37, v37, v38
	ds_store_b32 v36, v37
.LBB1333_388:
	s_or_b32 exec_lo, exec_lo, s8
	v_cmp_gt_u32_e32 vcc_lo, 32, v0
	s_mov_b32 s9, exec_lo
	s_waitcnt lgkmcnt(0)
	s_barrier
	buffer_gl0_inv
                                        ; implicit-def: $vgpr43
	v_cmpx_lt_u32_e32 31, v0
	s_cbranch_execz .LBB1333_390
; %bb.389:
	v_lshl_add_u32 v36, v58, 2, -4
	ds_load_b32 v43, v36
	s_waitcnt lgkmcnt(0)
	v_add_nc_u32_e32 v35, v43, v35
.LBB1333_390:
	s_or_b32 exec_lo, exec_lo, s9
	v_add_nc_u32_e32 v36, -1, v57
	s_delay_alu instid0(VALU_DEP_1) | instskip(NEXT) | instid1(VALU_DEP_1)
	v_cmp_gt_i32_e64 s8, 0, v36
	v_cndmask_b32_e64 v36, v36, v57, s8
	v_cmp_eq_u32_e64 s8, 0, v57
	s_delay_alu instid0(VALU_DEP_2)
	v_lshlrev_b32_e32 v36, 2, v36
	ds_bpermute_b32 v45, v36, v35
	s_and_saveexec_b32 s9, vcc_lo
	s_cbranch_execz .LBB1333_408
; %bb.391:
	v_mov_b32_e32 v38, 0
	ds_load_b32 v35, v38 offset:60
	s_and_saveexec_b32 s18, s8
	s_cbranch_execz .LBB1333_393
; %bb.392:
	s_add_i32 s22, s15, 32
	s_mov_b32 s23, 0
	v_mov_b32_e32 v36, 1
	s_lshl_b64 s[22:23], s[22:23], 3
	s_delay_alu instid0(SALU_CYCLE_1)
	s_add_u32 s22, s10, s22
	s_addc_u32 s23, s11, s23
	s_waitcnt lgkmcnt(0)
	global_store_b64 v38, v[35:36], s[22:23]
.LBB1333_393:
	s_or_b32 exec_lo, exec_lo, s18
	v_xad_u32 v36, v57, -1, s15
	s_mov_b32 s19, 0
	s_mov_b32 s18, exec_lo
	s_delay_alu instid0(VALU_DEP_1) | instskip(NEXT) | instid1(VALU_DEP_1)
	v_add_nc_u32_e32 v37, 32, v36
	v_lshlrev_b64 v[37:38], 3, v[37:38]
	s_delay_alu instid0(VALU_DEP_1) | instskip(NEXT) | instid1(VALU_DEP_2)
	v_add_co_u32 v40, vcc_lo, s10, v37
	v_add_co_ci_u32_e32 v41, vcc_lo, s11, v38, vcc_lo
	global_load_b64 v[38:39], v[40:41], off glc
	s_waitcnt vmcnt(0)
	v_and_b32_e32 v37, 0xff, v39
	s_delay_alu instid0(VALU_DEP_1)
	v_cmpx_eq_u16_e32 0, v37
	s_cbranch_execz .LBB1333_396
.LBB1333_394:                           ; =>This Inner Loop Header: Depth=1
	global_load_b64 v[38:39], v[40:41], off glc
	s_waitcnt vmcnt(0)
	v_and_b32_e32 v37, 0xff, v39
	s_delay_alu instid0(VALU_DEP_1) | instskip(SKIP_1) | instid1(SALU_CYCLE_1)
	v_cmp_ne_u16_e32 vcc_lo, 0, v37
	s_or_b32 s19, vcc_lo, s19
	s_and_not1_b32 exec_lo, exec_lo, s19
	s_cbranch_execnz .LBB1333_394
; %bb.395:
	s_or_b32 exec_lo, exec_lo, s19
.LBB1333_396:
	s_delay_alu instid0(SALU_CYCLE_1)
	s_or_b32 exec_lo, exec_lo, s18
	v_cmp_ne_u32_e32 vcc_lo, 31, v57
	v_lshlrev_b32_e64 v49, v57, -1
	v_add_nc_u32_e32 v53, 2, v57
	v_add_nc_u32_e32 v62, 4, v57
	;; [unrolled: 1-line block ×3, first 2 shown]
	v_add_co_ci_u32_e32 v37, vcc_lo, 0, v57, vcc_lo
	v_add_nc_u32_e32 v66, 16, v57
	s_delay_alu instid0(VALU_DEP_2)
	v_lshlrev_b32_e32 v47, 2, v37
	v_and_b32_e32 v37, 0xff, v39
	ds_bpermute_b32 v40, v47, v38
	v_cmp_eq_u16_e32 vcc_lo, 2, v37
	v_and_or_b32 v37, vcc_lo, v49, 0x80000000
	v_cmp_gt_u32_e32 vcc_lo, 30, v57
	s_delay_alu instid0(VALU_DEP_2) | instskip(SKIP_1) | instid1(VALU_DEP_2)
	v_ctz_i32_b32_e32 v37, v37
	v_cndmask_b32_e64 v41, 0, 1, vcc_lo
	v_cmp_lt_u32_e32 vcc_lo, v57, v37
	s_waitcnt lgkmcnt(0)
	s_delay_alu instid0(VALU_DEP_2) | instskip(NEXT) | instid1(VALU_DEP_1)
	v_dual_cndmask_b32 v40, 0, v40 :: v_dual_lshlrev_b32 v41, 1, v41
	v_add_lshl_u32 v51, v41, v57, 2
	v_cmp_gt_u32_e32 vcc_lo, 28, v57
	s_delay_alu instid0(VALU_DEP_3) | instskip(SKIP_4) | instid1(VALU_DEP_1)
	v_add_nc_u32_e32 v38, v40, v38
	v_cndmask_b32_e64 v41, 0, 1, vcc_lo
	v_cmp_le_u32_e32 vcc_lo, v53, v37
	ds_bpermute_b32 v40, v51, v38
	v_lshlrev_b32_e32 v41, 2, v41
	v_add_lshl_u32 v60, v41, v57, 2
	s_waitcnt lgkmcnt(0)
	v_cndmask_b32_e32 v40, 0, v40, vcc_lo
	v_cmp_gt_u32_e32 vcc_lo, 24, v57
	s_delay_alu instid0(VALU_DEP_2) | instskip(SKIP_4) | instid1(VALU_DEP_1)
	v_add_nc_u32_e32 v38, v38, v40
	v_cndmask_b32_e64 v41, 0, 1, vcc_lo
	v_cmp_le_u32_e32 vcc_lo, v62, v37
	ds_bpermute_b32 v40, v60, v38
	v_lshlrev_b32_e32 v41, 3, v41
	v_add_lshl_u32 v63, v41, v57, 2
	s_waitcnt lgkmcnt(0)
	v_cndmask_b32_e32 v40, 0, v40, vcc_lo
	v_cmp_gt_u32_e32 vcc_lo, 16, v57
	s_delay_alu instid0(VALU_DEP_2) | instskip(SKIP_4) | instid1(VALU_DEP_1)
	v_add_nc_u32_e32 v38, v38, v40
	v_cndmask_b32_e64 v41, 0, 1, vcc_lo
	v_cmp_le_u32_e32 vcc_lo, v64, v37
	ds_bpermute_b32 v40, v63, v38
	v_lshlrev_b32_e32 v41, 4, v41
	v_add_lshl_u32 v65, v41, v57, 2
	s_waitcnt lgkmcnt(0)
	v_cndmask_b32_e32 v40, 0, v40, vcc_lo
	v_cmp_le_u32_e32 vcc_lo, v66, v37
	s_delay_alu instid0(VALU_DEP_2) | instskip(SKIP_3) | instid1(VALU_DEP_1)
	v_add_nc_u32_e32 v38, v38, v40
	ds_bpermute_b32 v40, v65, v38
	s_waitcnt lgkmcnt(0)
	v_cndmask_b32_e32 v37, 0, v40, vcc_lo
	v_dual_mov_b32 v37, 0 :: v_dual_add_nc_u32 v38, v38, v37
	s_branch .LBB1333_398
.LBB1333_397:                           ;   in Loop: Header=BB1333_398 Depth=1
	s_or_b32 exec_lo, exec_lo, s18
	ds_bpermute_b32 v41, v47, v38
	v_and_b32_e32 v40, 0xff, v39
	v_subrev_nc_u32_e32 v36, 32, v36
	s_delay_alu instid0(VALU_DEP_2) | instskip(SKIP_1) | instid1(VALU_DEP_1)
	v_cmp_eq_u16_e32 vcc_lo, 2, v40
	v_and_or_b32 v40, vcc_lo, v49, 0x80000000
	v_ctz_i32_b32_e32 v40, v40
	s_delay_alu instid0(VALU_DEP_1) | instskip(SKIP_3) | instid1(VALU_DEP_2)
	v_cmp_lt_u32_e32 vcc_lo, v57, v40
	s_waitcnt lgkmcnt(0)
	v_cndmask_b32_e32 v41, 0, v41, vcc_lo
	v_cmp_le_u32_e32 vcc_lo, v53, v40
	v_add_nc_u32_e32 v38, v41, v38
	ds_bpermute_b32 v41, v51, v38
	s_waitcnt lgkmcnt(0)
	v_cndmask_b32_e32 v41, 0, v41, vcc_lo
	v_cmp_le_u32_e32 vcc_lo, v62, v40
	s_delay_alu instid0(VALU_DEP_2) | instskip(SKIP_4) | instid1(VALU_DEP_2)
	v_add_nc_u32_e32 v38, v38, v41
	ds_bpermute_b32 v41, v60, v38
	s_waitcnt lgkmcnt(0)
	v_cndmask_b32_e32 v41, 0, v41, vcc_lo
	v_cmp_le_u32_e32 vcc_lo, v64, v40
	v_add_nc_u32_e32 v38, v38, v41
	ds_bpermute_b32 v41, v63, v38
	s_waitcnt lgkmcnt(0)
	v_cndmask_b32_e32 v41, 0, v41, vcc_lo
	v_cmp_le_u32_e32 vcc_lo, v66, v40
	s_delay_alu instid0(VALU_DEP_2) | instskip(SKIP_3) | instid1(VALU_DEP_1)
	v_add_nc_u32_e32 v38, v38, v41
	ds_bpermute_b32 v41, v65, v38
	s_waitcnt lgkmcnt(0)
	v_cndmask_b32_e32 v40, 0, v41, vcc_lo
	v_add3_u32 v38, v40, v61, v38
.LBB1333_398:                           ; =>This Loop Header: Depth=1
                                        ;     Child Loop BB1333_401 Depth 2
	v_and_b32_e32 v39, 0xff, v39
	s_delay_alu instid0(VALU_DEP_2) | instskip(NEXT) | instid1(VALU_DEP_2)
	v_mov_b32_e32 v61, v38
	v_cmp_ne_u16_e32 vcc_lo, 2, v39
	v_cndmask_b32_e64 v39, 0, 1, vcc_lo
	;;#ASMSTART
	;;#ASMEND
	s_delay_alu instid0(VALU_DEP_1)
	v_cmp_ne_u32_e32 vcc_lo, 0, v39
	s_cmp_lg_u32 vcc_lo, exec_lo
	s_cbranch_scc1 .LBB1333_403
; %bb.399:                              ;   in Loop: Header=BB1333_398 Depth=1
	v_lshlrev_b64 v[38:39], 3, v[36:37]
	s_mov_b32 s18, exec_lo
	s_delay_alu instid0(VALU_DEP_1) | instskip(NEXT) | instid1(VALU_DEP_2)
	v_add_co_u32 v40, vcc_lo, s10, v38
	v_add_co_ci_u32_e32 v41, vcc_lo, s11, v39, vcc_lo
	global_load_b64 v[38:39], v[40:41], off glc
	s_waitcnt vmcnt(0)
	v_and_b32_e32 v67, 0xff, v39
	s_delay_alu instid0(VALU_DEP_1)
	v_cmpx_eq_u16_e32 0, v67
	s_cbranch_execz .LBB1333_397
; %bb.400:                              ;   in Loop: Header=BB1333_398 Depth=1
	s_mov_b32 s19, 0
.LBB1333_401:                           ;   Parent Loop BB1333_398 Depth=1
                                        ; =>  This Inner Loop Header: Depth=2
	global_load_b64 v[38:39], v[40:41], off glc
	s_waitcnt vmcnt(0)
	v_and_b32_e32 v67, 0xff, v39
	s_delay_alu instid0(VALU_DEP_1) | instskip(SKIP_1) | instid1(SALU_CYCLE_1)
	v_cmp_ne_u16_e32 vcc_lo, 0, v67
	s_or_b32 s19, vcc_lo, s19
	s_and_not1_b32 exec_lo, exec_lo, s19
	s_cbranch_execnz .LBB1333_401
; %bb.402:                              ;   in Loop: Header=BB1333_398 Depth=1
	s_or_b32 exec_lo, exec_lo, s19
	s_branch .LBB1333_397
.LBB1333_403:                           ;   in Loop: Header=BB1333_398 Depth=1
                                        ; implicit-def: $vgpr38
                                        ; implicit-def: $vgpr39
	s_cbranch_execz .LBB1333_398
; %bb.404:
	s_and_saveexec_b32 s18, s8
	s_cbranch_execz .LBB1333_406
; %bb.405:
	s_add_i32 s22, s15, 32
	s_mov_b32 s23, 0
	v_dual_mov_b32 v37, 2 :: v_dual_add_nc_u32 v36, v61, v35
	s_lshl_b64 s[22:23], s[22:23], 3
	v_mov_b32_e32 v38, 0
	v_add_nc_u32_e64 v39, 0x8400, 0
	s_add_u32 s22, s10, s22
	s_addc_u32 s23, s11, s23
	global_store_b64 v38, v[36:37], s[22:23]
	ds_store_2addr_b32 v39, v35, v61 offset1:2
.LBB1333_406:
	s_or_b32 exec_lo, exec_lo, s18
	v_cmp_eq_u32_e32 vcc_lo, 0, v0
	s_and_b32 exec_lo, exec_lo, vcc_lo
	s_cbranch_execz .LBB1333_408
; %bb.407:
	v_mov_b32_e32 v35, 0
	ds_store_b32 v35, v61 offset:60
.LBB1333_408:
	s_or_b32 exec_lo, exec_lo, s9
	s_waitcnt lgkmcnt(0)
	v_cndmask_b32_e64 v36, v45, v43, s8
	v_cmp_ne_u32_e32 vcc_lo, 0, v0
	v_mov_b32_e32 v35, 0
	s_waitcnt_vscnt null, 0x0
	s_barrier
	buffer_gl0_inv
	v_cndmask_b32_e32 v36, 0, v36, vcc_lo
	ds_load_b32 v35, v35 offset:60
	s_waitcnt lgkmcnt(0)
	s_barrier
	buffer_gl0_inv
	v_add_nc_u32_e32 v53, v35, v36
	v_add_nc_u32_e64 v35, 0x8400, 0
	s_delay_alu instid0(VALU_DEP_2) | instskip(SKIP_2) | instid1(VALU_DEP_1)
	v_add_nc_u32_e32 v51, v53, v42
	ds_load_2addr_b32 v[35:36], v35 offset1:2
	v_add_nc_u32_e32 v49, v51, v44
	v_add_nc_u32_e32 v47, v49, v46
	s_delay_alu instid0(VALU_DEP_1) | instskip(NEXT) | instid1(VALU_DEP_1)
	v_add_nc_u32_e32 v45, v47, v48
	v_add_nc_u32_e32 v43, v45, v50
	s_waitcnt lgkmcnt(0)
	v_readfirstlane_b32 s8, v36
	s_delay_alu instid0(VALU_DEP_2) | instskip(NEXT) | instid1(VALU_DEP_1)
	v_add_nc_u32_e32 v41, v43, v52
	v_add_nc_u32_e32 v39, v41, v54
	v_lshrrev_b64 v[37:38], 24, v[33:34]
	s_branch .LBB1333_419
.LBB1333_409:
                                        ; implicit-def: $vgpr39
                                        ; implicit-def: $vgpr41
                                        ; implicit-def: $vgpr43
                                        ; implicit-def: $vgpr45
                                        ; implicit-def: $vgpr47
                                        ; implicit-def: $vgpr49
                                        ; implicit-def: $vgpr51
                                        ; implicit-def: $vgpr53
                                        ; implicit-def: $sgpr8
                                        ; implicit-def: $vgpr35
	v_lshrrev_b64 v[37:38], 24, v[33:34]
	s_and_b32 vcc_lo, exec_lo, s9
	s_cbranch_vccz .LBB1333_419
; %bb.410:
	v_mov_b32_dpp v35, v59 row_shr:1 row_mask:0xf bank_mask:0xf
	s_delay_alu instid0(VALU_DEP_1) | instskip(NEXT) | instid1(VALU_DEP_1)
	v_cndmask_b32_e64 v35, v35, 0, s4
	v_add_nc_u32_e32 v35, v35, v59
	s_delay_alu instid0(VALU_DEP_1) | instskip(NEXT) | instid1(VALU_DEP_1)
	v_mov_b32_dpp v36, v35 row_shr:2 row_mask:0xf bank_mask:0xf
	v_cndmask_b32_e64 v36, 0, v36, s2
	s_delay_alu instid0(VALU_DEP_1) | instskip(NEXT) | instid1(VALU_DEP_1)
	v_add_nc_u32_e32 v35, v35, v36
	v_mov_b32_dpp v36, v35 row_shr:4 row_mask:0xf bank_mask:0xf
	s_delay_alu instid0(VALU_DEP_1) | instskip(NEXT) | instid1(VALU_DEP_1)
	v_cndmask_b32_e64 v36, 0, v36, s5
	v_add_nc_u32_e32 v35, v35, v36
	s_delay_alu instid0(VALU_DEP_1) | instskip(NEXT) | instid1(VALU_DEP_1)
	v_mov_b32_dpp v36, v35 row_shr:8 row_mask:0xf bank_mask:0xf
	v_cndmask_b32_e64 v36, 0, v36, s3
	s_delay_alu instid0(VALU_DEP_1) | instskip(SKIP_3) | instid1(VALU_DEP_1)
	v_add_nc_u32_e32 v35, v35, v36
	ds_swizzle_b32 v36, v35 offset:swizzle(BROADCAST,32,15)
	s_waitcnt lgkmcnt(0)
	v_cndmask_b32_e64 v36, v36, 0, s7
	v_add_nc_u32_e32 v35, v35, v36
	s_and_saveexec_b32 s7, s6
	s_cbranch_execz .LBB1333_412
; %bb.411:
	v_lshlrev_b32_e32 v36, 2, v58
	ds_store_b32 v36, v35
.LBB1333_412:
	s_or_b32 exec_lo, exec_lo, s7
	s_delay_alu instid0(SALU_CYCLE_1)
	s_mov_b32 s6, exec_lo
	s_waitcnt lgkmcnt(0)
	s_barrier
	buffer_gl0_inv
	v_cmpx_gt_u32_e32 16, v0
	s_cbranch_execz .LBB1333_414
; %bb.413:
	v_lshlrev_b32_e32 v36, 2, v0
	ds_load_b32 v38, v36
	s_waitcnt lgkmcnt(0)
	v_mov_b32_dpp v39, v38 row_shr:1 row_mask:0xf bank_mask:0xf
	s_delay_alu instid0(VALU_DEP_1) | instskip(NEXT) | instid1(VALU_DEP_1)
	v_cndmask_b32_e64 v39, v39, 0, s4
	v_add_nc_u32_e32 v38, v39, v38
	s_delay_alu instid0(VALU_DEP_1) | instskip(NEXT) | instid1(VALU_DEP_1)
	v_mov_b32_dpp v39, v38 row_shr:2 row_mask:0xf bank_mask:0xf
	v_cndmask_b32_e64 v39, 0, v39, s2
	s_delay_alu instid0(VALU_DEP_1) | instskip(NEXT) | instid1(VALU_DEP_1)
	v_add_nc_u32_e32 v38, v38, v39
	v_mov_b32_dpp v39, v38 row_shr:4 row_mask:0xf bank_mask:0xf
	s_delay_alu instid0(VALU_DEP_1) | instskip(NEXT) | instid1(VALU_DEP_1)
	v_cndmask_b32_e64 v39, 0, v39, s5
	v_add_nc_u32_e32 v38, v38, v39
	s_delay_alu instid0(VALU_DEP_1) | instskip(NEXT) | instid1(VALU_DEP_1)
	v_mov_b32_dpp v39, v38 row_shr:8 row_mask:0xf bank_mask:0xf
	v_cndmask_b32_e64 v39, 0, v39, s3
	s_delay_alu instid0(VALU_DEP_1)
	v_add_nc_u32_e32 v38, v38, v39
	ds_store_b32 v36, v38
.LBB1333_414:
	s_or_b32 exec_lo, exec_lo, s6
	v_mov_b32_e32 v36, 0
	v_mov_b32_e32 v38, 0
	s_mov_b32 s2, exec_lo
	s_waitcnt lgkmcnt(0)
	s_barrier
	buffer_gl0_inv
	v_cmpx_lt_u32_e32 31, v0
	s_cbranch_execz .LBB1333_416
; %bb.415:
	v_lshl_add_u32 v38, v58, 2, -4
	ds_load_b32 v38, v38
.LBB1333_416:
	s_or_b32 exec_lo, exec_lo, s2
	v_add_nc_u32_e32 v39, -1, v57
	s_waitcnt lgkmcnt(0)
	v_add_nc_u32_e32 v35, v38, v35
	s_mov_b32 s8, 0
	s_delay_alu instid0(VALU_DEP_2) | instskip(SKIP_2) | instid1(VALU_DEP_2)
	v_cmp_gt_i32_e32 vcc_lo, 0, v39
	v_cndmask_b32_e32 v39, v39, v57, vcc_lo
	v_cmp_eq_u32_e32 vcc_lo, 0, v0
	v_lshlrev_b32_e32 v39, 2, v39
	ds_bpermute_b32 v39, v39, v35
	ds_load_b32 v35, v36 offset:60
	s_and_saveexec_b32 s2, vcc_lo
	s_cbranch_execz .LBB1333_418
; %bb.417:
	v_mov_b32_e32 v40, 0
	v_mov_b32_e32 v36, 2
	s_waitcnt lgkmcnt(0)
	global_store_b64 v40, v[35:36], s[10:11] offset:256
.LBB1333_418:
	s_or_b32 exec_lo, exec_lo, s2
	v_cmp_eq_u32_e64 s2, 0, v57
	s_waitcnt lgkmcnt(0)
	s_waitcnt_vscnt null, 0x0
	s_barrier
	buffer_gl0_inv
	v_cndmask_b32_e64 v36, v39, v38, s2
	s_delay_alu instid0(VALU_DEP_1) | instskip(NEXT) | instid1(VALU_DEP_1)
	v_cndmask_b32_e64 v53, v36, 0, vcc_lo
	v_add_nc_u32_e32 v51, v53, v42
	s_delay_alu instid0(VALU_DEP_1) | instskip(NEXT) | instid1(VALU_DEP_1)
	v_add_nc_u32_e32 v49, v51, v44
	v_add_nc_u32_e32 v47, v49, v46
	s_delay_alu instid0(VALU_DEP_1) | instskip(NEXT) | instid1(VALU_DEP_1)
	v_add_nc_u32_e32 v45, v47, v48
	;; [unrolled: 3-line block ×3, first 2 shown]
	v_add_nc_u32_e32 v39, v41, v54
.LBB1333_419:
	s_load_b128 s[4:7], s[0:1], 0x28
	v_add_nc_u32_e32 v59, s8, v35
	v_cmp_gt_u32_e64 s0, 0x201, v35
	v_lshrrev_b32_e32 v58, 8, v33
	v_lshrrev_b32_e32 v57, 16, v33
	;; [unrolled: 1-line block ×4, first 2 shown]
	v_cmp_lt_u32_e64 s1, v53, v59
	s_and_b32 vcc_lo, exec_lo, s0
	s_mov_b32 s2, -1
	s_cbranch_vccz .LBB1333_445
; %bb.420:
	s_delay_alu instid0(VALU_DEP_1) | instskip(NEXT) | instid1(SALU_CYCLE_1)
	s_or_b32 s2, s20, s1
	s_and_saveexec_b32 s1, s2
	s_cbranch_execz .LBB1333_423
; %bb.421:
	v_and_b32_e32 v40, 1, v33
	s_delay_alu instid0(VALU_DEP_1)
	v_cmp_eq_u32_e32 vcc_lo, 1, v40
	s_and_b32 exec_lo, exec_lo, vcc_lo
	s_cbranch_execz .LBB1333_423
; %bb.422:
	v_mov_b32_e32 v54, 0
	s_lshl_b64 s[2:3], s[12:13], 3
	s_waitcnt lgkmcnt(0)
	s_add_u32 s2, s4, s2
	s_addc_u32 s3, s5, s3
	v_lshlrev_b64 v[60:61], 3, v[53:54]
	s_delay_alu instid0(VALU_DEP_1) | instskip(NEXT) | instid1(VALU_DEP_2)
	v_add_co_u32 v60, vcc_lo, s2, v60
	v_add_co_ci_u32_e32 v61, vcc_lo, s3, v61, vcc_lo
	global_store_b64 v[60:61], v[29:30], off
.LBB1333_423:
	s_or_b32 exec_lo, exec_lo, s1
	v_cmp_lt_u32_e32 vcc_lo, v51, v59
	s_or_b32 s2, s20, vcc_lo
	s_delay_alu instid0(SALU_CYCLE_1)
	s_and_saveexec_b32 s1, s2
	s_cbranch_execz .LBB1333_426
; %bb.424:
	v_and_b32_e32 v40, 1, v58
	s_delay_alu instid0(VALU_DEP_1)
	v_cmp_eq_u32_e32 vcc_lo, 1, v40
	s_and_b32 exec_lo, exec_lo, vcc_lo
	s_cbranch_execz .LBB1333_426
; %bb.425:
	v_mov_b32_e32 v52, 0
	s_lshl_b64 s[2:3], s[12:13], 3
	s_waitcnt lgkmcnt(0)
	s_add_u32 s2, s4, s2
	s_addc_u32 s3, s5, s3
	v_lshlrev_b64 v[60:61], 3, v[51:52]
	s_delay_alu instid0(VALU_DEP_1) | instskip(NEXT) | instid1(VALU_DEP_2)
	v_add_co_u32 v60, vcc_lo, s2, v60
	v_add_co_ci_u32_e32 v61, vcc_lo, s3, v61, vcc_lo
	global_store_b64 v[60:61], v[31:32], off
.LBB1333_426:
	s_or_b32 exec_lo, exec_lo, s1
	v_cmp_lt_u32_e32 vcc_lo, v49, v59
	s_or_b32 s2, s20, vcc_lo
	s_delay_alu instid0(SALU_CYCLE_1)
	;; [unrolled: 24-line block ×7, first 2 shown]
	s_and_saveexec_b32 s1, s2
	s_cbranch_execz .LBB1333_444
; %bb.442:
	v_and_b32_e32 v40, 1, v56
	s_delay_alu instid0(VALU_DEP_1)
	v_cmp_eq_u32_e32 vcc_lo, 1, v40
	s_and_b32 exec_lo, exec_lo, vcc_lo
	s_cbranch_execz .LBB1333_444
; %bb.443:
	v_mov_b32_e32 v40, 0
	s_lshl_b64 s[2:3], s[12:13], 3
	s_waitcnt lgkmcnt(0)
	s_add_u32 s2, s4, s2
	s_addc_u32 s3, s5, s3
	v_lshlrev_b64 v[60:61], 3, v[39:40]
	s_delay_alu instid0(VALU_DEP_1) | instskip(NEXT) | instid1(VALU_DEP_2)
	v_add_co_u32 v60, vcc_lo, s2, v60
	v_add_co_ci_u32_e32 v61, vcc_lo, s3, v61, vcc_lo
	global_store_b64 v[60:61], v[19:20], off
.LBB1333_444:
	s_or_b32 exec_lo, exec_lo, s1
	s_mov_b32 s2, 0
.LBB1333_445:
	v_and_b32_e32 v33, 1, v33
	s_and_b32 vcc_lo, exec_lo, s2
	s_delay_alu instid0(VALU_DEP_1)
	v_cmp_eq_u32_e64 s1, 1, v33
	s_cbranch_vccz .LBB1333_466
; %bb.446:
	s_delay_alu instid0(VALU_DEP_1)
	s_and_saveexec_b32 s2, s1
	s_cbranch_execz .LBB1333_448
; %bb.447:
	v_subrev_nc_u32_e32 v40, s8, v53
	s_delay_alu instid0(VALU_DEP_1)
	v_lshlrev_b32_e32 v40, 3, v40
	ds_store_b64 v40, v[29:30]
.LBB1333_448:
	s_or_b32 exec_lo, exec_lo, s2
	v_and_b32_e32 v29, 1, v58
	s_mov_b32 s1, exec_lo
	s_delay_alu instid0(VALU_DEP_1)
	v_cmpx_eq_u32_e32 1, v29
	s_cbranch_execz .LBB1333_450
; %bb.449:
	v_subrev_nc_u32_e32 v29, s8, v51
	s_delay_alu instid0(VALU_DEP_1)
	v_lshlrev_b32_e32 v29, 3, v29
	ds_store_b64 v29, v[31:32]
.LBB1333_450:
	s_or_b32 exec_lo, exec_lo, s1
	v_and_b32_e32 v29, 1, v57
	s_mov_b32 s1, exec_lo
	s_delay_alu instid0(VALU_DEP_1)
	v_cmpx_eq_u32_e32 1, v29
	;; [unrolled: 12-line block ×7, first 2 shown]
	s_cbranch_execz .LBB1333_462
; %bb.461:
	v_subrev_nc_u32_e32 v17, s8, v39
	s_delay_alu instid0(VALU_DEP_1)
	v_lshlrev_b32_e32 v17, 3, v17
	ds_store_b64 v17, v[19:20]
.LBB1333_462:
	s_or_b32 exec_lo, exec_lo, s1
	s_delay_alu instid0(SALU_CYCLE_1)
	s_mov_b32 s2, exec_lo
	s_waitcnt lgkmcnt(0)
	s_waitcnt_vscnt null, 0x0
	s_barrier
	buffer_gl0_inv
	v_cmpx_lt_u32_e64 v0, v35
	s_cbranch_execz .LBB1333_465
; %bb.463:
	s_mov_b32 s9, 0
	s_lshl_b64 s[10:11], s[12:13], 3
	s_lshl_b64 s[18:19], s[8:9], 3
	v_dual_mov_b32 v19, v55 :: v_dual_mov_b32 v20, v0
	s_add_u32 s1, s10, s18
	s_addc_u32 s3, s11, s19
	s_add_u32 s1, s4, s1
	s_addc_u32 s3, s5, s3
	v_add_co_u32 v17, s1, s1, v55
	s_delay_alu instid0(VALU_DEP_1)
	v_add_co_ci_u32_e64 v18, null, s3, 0, s1
	.p2align	6
.LBB1333_464:                           ; =>This Inner Loop Header: Depth=1
	ds_load_b64 v[21:22], v19
	v_add_nc_u32_e32 v20, 0x200, v20
	v_add_nc_u32_e32 v19, 0x1000, v19
	s_delay_alu instid0(VALU_DEP_2) | instskip(SKIP_4) | instid1(VALU_DEP_1)
	v_cmp_ge_u32_e32 vcc_lo, v20, v35
	s_or_b32 s9, vcc_lo, s9
	s_waitcnt lgkmcnt(0)
	global_store_b64 v[17:18], v[21:22], off
	v_add_co_u32 v17, s1, 0x1000, v17
	v_add_co_ci_u32_e64 v18, s1, 0, v18, s1
	s_and_not1_b32 exec_lo, exec_lo, s9
	s_cbranch_execnz .LBB1333_464
.LBB1333_465:
	s_or_b32 exec_lo, exec_lo, s2
.LBB1333_466:
	s_delay_alu instid0(SALU_CYCLE_1)
	s_and_b32 vcc_lo, exec_lo, s0
	s_mov_b32 s0, -1
	s_waitcnt lgkmcnt(0)
	s_waitcnt_vscnt null, 0x0
	s_barrier
	buffer_gl0_inv
	s_cbranch_vccz .LBB1333_494
; %bb.467:
	v_cmp_lt_u32_e32 vcc_lo, v53, v59
	s_or_b32 s1, s20, vcc_lo
	s_delay_alu instid0(SALU_CYCLE_1)
	s_and_saveexec_b32 s0, s1
	s_cbranch_execz .LBB1333_470
; %bb.468:
	v_cmp_eq_u32_e32 vcc_lo, 1, v33
	s_and_b32 exec_lo, exec_lo, vcc_lo
	s_cbranch_execz .LBB1333_470
; %bb.469:
	v_mov_b32_e32 v54, 0
	s_lshl_b64 s[2:3], s[12:13], 3
	s_delay_alu instid0(SALU_CYCLE_1) | instskip(SKIP_1) | instid1(VALU_DEP_1)
	s_add_u32 s1, s6, s2
	s_addc_u32 s2, s7, s3
	v_lshlrev_b64 v[17:18], 3, v[53:54]
	s_delay_alu instid0(VALU_DEP_1) | instskip(NEXT) | instid1(VALU_DEP_2)
	v_add_co_u32 v17, vcc_lo, s1, v17
	v_add_co_ci_u32_e32 v18, vcc_lo, s2, v18, vcc_lo
	global_store_b64 v[17:18], v[13:14], off
.LBB1333_470:
	s_or_b32 exec_lo, exec_lo, s0
	v_cmp_lt_u32_e32 vcc_lo, v51, v59
	s_or_b32 s1, s20, vcc_lo
	s_delay_alu instid0(SALU_CYCLE_1)
	s_and_saveexec_b32 s0, s1
	s_cbranch_execz .LBB1333_473
; %bb.471:
	v_and_b32_e32 v17, 1, v58
	s_delay_alu instid0(VALU_DEP_1)
	v_cmp_eq_u32_e32 vcc_lo, 1, v17
	s_and_b32 exec_lo, exec_lo, vcc_lo
	s_cbranch_execz .LBB1333_473
; %bb.472:
	v_mov_b32_e32 v52, 0
	s_lshl_b64 s[2:3], s[12:13], 3
	s_delay_alu instid0(SALU_CYCLE_1) | instskip(SKIP_1) | instid1(VALU_DEP_1)
	s_add_u32 s1, s6, s2
	s_addc_u32 s2, s7, s3
	v_lshlrev_b64 v[17:18], 3, v[51:52]
	s_delay_alu instid0(VALU_DEP_1) | instskip(NEXT) | instid1(VALU_DEP_2)
	v_add_co_u32 v17, vcc_lo, s1, v17
	v_add_co_ci_u32_e32 v18, vcc_lo, s2, v18, vcc_lo
	global_store_b64 v[17:18], v[15:16], off
.LBB1333_473:
	s_or_b32 exec_lo, exec_lo, s0
	v_cmp_lt_u32_e32 vcc_lo, v49, v59
	s_or_b32 s1, s20, vcc_lo
	s_delay_alu instid0(SALU_CYCLE_1)
	s_and_saveexec_b32 s0, s1
	s_cbranch_execz .LBB1333_476
; %bb.474:
	v_and_b32_e32 v17, 1, v57
	s_delay_alu instid0(VALU_DEP_1)
	v_cmp_eq_u32_e32 vcc_lo, 1, v17
	s_and_b32 exec_lo, exec_lo, vcc_lo
	s_cbranch_execz .LBB1333_476
; %bb.475:
	v_mov_b32_e32 v50, 0
	s_lshl_b64 s[2:3], s[12:13], 3
	s_delay_alu instid0(SALU_CYCLE_1) | instskip(SKIP_1) | instid1(VALU_DEP_1)
	s_add_u32 s1, s6, s2
	s_addc_u32 s2, s7, s3
	v_lshlrev_b64 v[17:18], 3, v[49:50]
	s_delay_alu instid0(VALU_DEP_1) | instskip(NEXT) | instid1(VALU_DEP_2)
	v_add_co_u32 v17, vcc_lo, s1, v17
	v_add_co_ci_u32_e32 v18, vcc_lo, s2, v18, vcc_lo
	global_store_b64 v[17:18], v[9:10], off
.LBB1333_476:
	s_or_b32 exec_lo, exec_lo, s0
	v_cmp_lt_u32_e32 vcc_lo, v47, v59
	s_or_b32 s1, s20, vcc_lo
	s_delay_alu instid0(SALU_CYCLE_1)
	s_and_saveexec_b32 s0, s1
	s_cbranch_execz .LBB1333_479
; %bb.477:
	v_and_b32_e32 v17, 1, v37
	s_delay_alu instid0(VALU_DEP_1)
	v_cmp_eq_u32_e32 vcc_lo, 1, v17
	s_and_b32 exec_lo, exec_lo, vcc_lo
	s_cbranch_execz .LBB1333_479
; %bb.478:
	v_mov_b32_e32 v48, 0
	s_lshl_b64 s[2:3], s[12:13], 3
	s_delay_alu instid0(SALU_CYCLE_1) | instskip(SKIP_1) | instid1(VALU_DEP_1)
	s_add_u32 s1, s6, s2
	s_addc_u32 s2, s7, s3
	v_lshlrev_b64 v[17:18], 3, v[47:48]
	s_delay_alu instid0(VALU_DEP_1) | instskip(NEXT) | instid1(VALU_DEP_2)
	v_add_co_u32 v17, vcc_lo, s1, v17
	v_add_co_ci_u32_e32 v18, vcc_lo, s2, v18, vcc_lo
	global_store_b64 v[17:18], v[11:12], off
.LBB1333_479:
	s_or_b32 exec_lo, exec_lo, s0
	v_cmp_lt_u32_e32 vcc_lo, v45, v59
	s_or_b32 s1, s20, vcc_lo
	s_delay_alu instid0(SALU_CYCLE_1)
	s_and_saveexec_b32 s0, s1
	s_cbranch_execz .LBB1333_482
; %bb.480:
	v_and_b32_e32 v17, 1, v34
	s_delay_alu instid0(VALU_DEP_1)
	v_cmp_eq_u32_e32 vcc_lo, 1, v17
	s_and_b32 exec_lo, exec_lo, vcc_lo
	s_cbranch_execz .LBB1333_482
; %bb.481:
	v_mov_b32_e32 v46, 0
	s_lshl_b64 s[2:3], s[12:13], 3
	s_delay_alu instid0(SALU_CYCLE_1) | instskip(SKIP_1) | instid1(VALU_DEP_1)
	s_add_u32 s1, s6, s2
	s_addc_u32 s2, s7, s3
	v_lshlrev_b64 v[17:18], 3, v[45:46]
	s_delay_alu instid0(VALU_DEP_1) | instskip(NEXT) | instid1(VALU_DEP_2)
	v_add_co_u32 v17, vcc_lo, s1, v17
	v_add_co_ci_u32_e32 v18, vcc_lo, s2, v18, vcc_lo
	global_store_b64 v[17:18], v[5:6], off
.LBB1333_482:
	s_or_b32 exec_lo, exec_lo, s0
	v_cmp_lt_u32_e32 vcc_lo, v43, v59
	s_or_b32 s1, s20, vcc_lo
	s_delay_alu instid0(SALU_CYCLE_1)
	s_and_saveexec_b32 s0, s1
	s_cbranch_execz .LBB1333_485
; %bb.483:
	v_and_b32_e32 v17, 1, v38
	s_delay_alu instid0(VALU_DEP_1)
	v_cmp_eq_u32_e32 vcc_lo, 1, v17
	s_and_b32 exec_lo, exec_lo, vcc_lo
	s_cbranch_execz .LBB1333_485
; %bb.484:
	v_mov_b32_e32 v44, 0
	s_lshl_b64 s[2:3], s[12:13], 3
	s_delay_alu instid0(SALU_CYCLE_1) | instskip(SKIP_1) | instid1(VALU_DEP_1)
	s_add_u32 s1, s6, s2
	s_addc_u32 s2, s7, s3
	v_lshlrev_b64 v[17:18], 3, v[43:44]
	s_delay_alu instid0(VALU_DEP_1) | instskip(NEXT) | instid1(VALU_DEP_2)
	v_add_co_u32 v17, vcc_lo, s1, v17
	v_add_co_ci_u32_e32 v18, vcc_lo, s2, v18, vcc_lo
	global_store_b64 v[17:18], v[7:8], off
.LBB1333_485:
	s_or_b32 exec_lo, exec_lo, s0
	v_cmp_lt_u32_e32 vcc_lo, v41, v59
	s_or_b32 s1, s20, vcc_lo
	s_delay_alu instid0(SALU_CYCLE_1)
	s_and_saveexec_b32 s0, s1
	s_cbranch_execz .LBB1333_488
; %bb.486:
	v_and_b32_e32 v17, 1, v36
	s_delay_alu instid0(VALU_DEP_1)
	v_cmp_eq_u32_e32 vcc_lo, 1, v17
	s_and_b32 exec_lo, exec_lo, vcc_lo
	s_cbranch_execz .LBB1333_488
; %bb.487:
	v_mov_b32_e32 v42, 0
	s_lshl_b64 s[2:3], s[12:13], 3
	s_delay_alu instid0(SALU_CYCLE_1) | instskip(SKIP_1) | instid1(VALU_DEP_1)
	s_add_u32 s1, s6, s2
	s_addc_u32 s2, s7, s3
	v_lshlrev_b64 v[17:18], 3, v[41:42]
	s_delay_alu instid0(VALU_DEP_1) | instskip(NEXT) | instid1(VALU_DEP_2)
	v_add_co_u32 v17, vcc_lo, s1, v17
	v_add_co_ci_u32_e32 v18, vcc_lo, s2, v18, vcc_lo
	global_store_b64 v[17:18], v[1:2], off
.LBB1333_488:
	s_or_b32 exec_lo, exec_lo, s0
	v_cmp_lt_u32_e32 vcc_lo, v39, v59
	s_or_b32 s1, s20, vcc_lo
	s_delay_alu instid0(SALU_CYCLE_1)
	s_and_saveexec_b32 s0, s1
	s_cbranch_execz .LBB1333_491
; %bb.489:
	v_and_b32_e32 v17, 1, v56
	s_delay_alu instid0(VALU_DEP_1)
	v_cmp_eq_u32_e32 vcc_lo, 1, v17
	s_and_b32 exec_lo, exec_lo, vcc_lo
	s_cbranch_execz .LBB1333_491
; %bb.490:
	v_mov_b32_e32 v40, 0
	s_lshl_b64 s[2:3], s[12:13], 3
	s_delay_alu instid0(SALU_CYCLE_1) | instskip(SKIP_1) | instid1(VALU_DEP_1)
	s_add_u32 s1, s6, s2
	s_addc_u32 s2, s7, s3
	v_lshlrev_b64 v[17:18], 3, v[39:40]
	s_delay_alu instid0(VALU_DEP_1) | instskip(NEXT) | instid1(VALU_DEP_2)
	v_add_co_u32 v17, vcc_lo, s1, v17
	v_add_co_ci_u32_e32 v18, vcc_lo, s2, v18, vcc_lo
	global_store_b64 v[17:18], v[3:4], off
.LBB1333_491:
	s_or_b32 exec_lo, exec_lo, s0
.LBB1333_492:
	v_cmp_eq_u32_e32 vcc_lo, 0, v0
	s_and_b32 s0, vcc_lo, s14
	s_delay_alu instid0(SALU_CYCLE_1)
	s_and_saveexec_b32 s1, s0
	s_cbranch_execz .LBB1333_515
.LBB1333_493:
	v_add_co_u32 v0, s0, s12, v35
	s_delay_alu instid0(VALU_DEP_1) | instskip(SKIP_1) | instid1(VALU_DEP_3)
	v_add_co_ci_u32_e64 v1, null, s13, 0, s0
	v_mov_b32_e32 v2, 0
	v_add_co_u32 v0, vcc_lo, v0, s8
	s_delay_alu instid0(VALU_DEP_3)
	v_add_co_ci_u32_e32 v1, vcc_lo, 0, v1, vcc_lo
	global_store_b64 v2, v[0:1], s[16:17]
	s_nop 0
	s_sendmsg sendmsg(MSG_DEALLOC_VGPRS)
	s_endpgm
.LBB1333_494:
	s_and_b32 vcc_lo, exec_lo, s0
	s_cbranch_vccz .LBB1333_492
; %bb.495:
	s_mov_b32 s0, exec_lo
	v_cmpx_eq_u32_e32 1, v33
	s_cbranch_execz .LBB1333_497
; %bb.496:
	v_subrev_nc_u32_e32 v17, s8, v53
	s_delay_alu instid0(VALU_DEP_1)
	v_lshlrev_b32_e32 v17, 3, v17
	ds_store_b64 v17, v[13:14]
.LBB1333_497:
	s_or_b32 exec_lo, exec_lo, s0
	v_and_b32_e32 v13, 1, v58
	s_mov_b32 s0, exec_lo
	s_delay_alu instid0(VALU_DEP_1)
	v_cmpx_eq_u32_e32 1, v13
	s_cbranch_execz .LBB1333_499
; %bb.498:
	v_subrev_nc_u32_e32 v13, s8, v51
	s_delay_alu instid0(VALU_DEP_1)
	v_lshlrev_b32_e32 v13, 3, v13
	ds_store_b64 v13, v[15:16]
.LBB1333_499:
	s_or_b32 exec_lo, exec_lo, s0
	v_and_b32_e32 v13, 1, v57
	s_mov_b32 s0, exec_lo
	s_delay_alu instid0(VALU_DEP_1)
	v_cmpx_eq_u32_e32 1, v13
	s_cbranch_execz .LBB1333_501
; %bb.500:
	v_subrev_nc_u32_e32 v13, s8, v49
	s_delay_alu instid0(VALU_DEP_1)
	v_lshlrev_b32_e32 v13, 3, v13
	ds_store_b64 v13, v[9:10]
.LBB1333_501:
	s_or_b32 exec_lo, exec_lo, s0
	v_and_b32_e32 v9, 1, v37
	s_mov_b32 s0, exec_lo
	s_delay_alu instid0(VALU_DEP_1)
	v_cmpx_eq_u32_e32 1, v9
	s_cbranch_execz .LBB1333_503
; %bb.502:
	v_subrev_nc_u32_e32 v9, s8, v47
	s_delay_alu instid0(VALU_DEP_1)
	v_lshlrev_b32_e32 v9, 3, v9
	ds_store_b64 v9, v[11:12]
.LBB1333_503:
	s_or_b32 exec_lo, exec_lo, s0
	v_and_b32_e32 v9, 1, v34
	s_mov_b32 s0, exec_lo
	s_delay_alu instid0(VALU_DEP_1)
	v_cmpx_eq_u32_e32 1, v9
	s_cbranch_execz .LBB1333_505
; %bb.504:
	v_subrev_nc_u32_e32 v9, s8, v45
	s_delay_alu instid0(VALU_DEP_1)
	v_lshlrev_b32_e32 v9, 3, v9
	ds_store_b64 v9, v[5:6]
.LBB1333_505:
	s_or_b32 exec_lo, exec_lo, s0
	v_and_b32_e32 v5, 1, v38
	s_mov_b32 s0, exec_lo
	s_delay_alu instid0(VALU_DEP_1)
	v_cmpx_eq_u32_e32 1, v5
	s_cbranch_execz .LBB1333_507
; %bb.506:
	v_subrev_nc_u32_e32 v5, s8, v43
	s_delay_alu instid0(VALU_DEP_1)
	v_lshlrev_b32_e32 v5, 3, v5
	ds_store_b64 v5, v[7:8]
.LBB1333_507:
	s_or_b32 exec_lo, exec_lo, s0
	v_and_b32_e32 v5, 1, v36
	s_mov_b32 s0, exec_lo
	s_delay_alu instid0(VALU_DEP_1)
	v_cmpx_eq_u32_e32 1, v5
	s_cbranch_execz .LBB1333_509
; %bb.508:
	v_subrev_nc_u32_e32 v5, s8, v41
	s_delay_alu instid0(VALU_DEP_1)
	v_lshlrev_b32_e32 v5, 3, v5
	ds_store_b64 v5, v[1:2]
.LBB1333_509:
	s_or_b32 exec_lo, exec_lo, s0
	v_and_b32_e32 v1, 1, v56
	s_mov_b32 s0, exec_lo
	s_delay_alu instid0(VALU_DEP_1)
	v_cmpx_eq_u32_e32 1, v1
	s_cbranch_execz .LBB1333_511
; %bb.510:
	v_subrev_nc_u32_e32 v1, s8, v39
	s_delay_alu instid0(VALU_DEP_1)
	v_lshlrev_b32_e32 v1, 3, v1
	ds_store_b64 v1, v[3:4]
.LBB1333_511:
	s_or_b32 exec_lo, exec_lo, s0
	s_delay_alu instid0(SALU_CYCLE_1)
	s_mov_b32 s1, exec_lo
	s_waitcnt lgkmcnt(0)
	s_waitcnt_vscnt null, 0x0
	s_barrier
	buffer_gl0_inv
	v_cmpx_lt_u32_e64 v0, v35
	s_cbranch_execz .LBB1333_514
; %bb.512:
	s_mov_b32 s9, 0
	s_lshl_b64 s[2:3], s[12:13], 3
	s_lshl_b64 s[4:5], s[8:9], 3
	v_mov_b32_e32 v3, v0
	s_add_u32 s0, s2, s4
	s_addc_u32 s2, s3, s5
	s_add_u32 s0, s6, s0
	s_addc_u32 s2, s7, s2
	v_add_co_u32 v1, s0, s0, v55
	s_delay_alu instid0(VALU_DEP_1)
	v_add_co_ci_u32_e64 v2, null, s2, 0, s0
	.p2align	6
.LBB1333_513:                           ; =>This Inner Loop Header: Depth=1
	ds_load_b64 v[4:5], v55
	v_add_nc_u32_e32 v3, 0x200, v3
	v_add_nc_u32_e32 v55, 0x1000, v55
	s_delay_alu instid0(VALU_DEP_2) | instskip(SKIP_4) | instid1(VALU_DEP_1)
	v_cmp_ge_u32_e32 vcc_lo, v3, v35
	s_or_b32 s9, vcc_lo, s9
	s_waitcnt lgkmcnt(0)
	global_store_b64 v[1:2], v[4:5], off
	v_add_co_u32 v1, s0, 0x1000, v1
	v_add_co_ci_u32_e64 v2, s0, 0, v2, s0
	s_and_not1_b32 exec_lo, exec_lo, s9
	s_cbranch_execnz .LBB1333_513
.LBB1333_514:
	s_or_b32 exec_lo, exec_lo, s1
	v_cmp_eq_u32_e32 vcc_lo, 0, v0
	s_and_b32 s0, vcc_lo, s14
	s_delay_alu instid0(SALU_CYCLE_1)
	s_and_saveexec_b32 s1, s0
	s_cbranch_execnz .LBB1333_493
.LBB1333_515:
	s_nop 0
	s_sendmsg sendmsg(MSG_DEALLOC_VGPRS)
	s_endpgm
	.section	.rodata,"a",@progbits
	.p2align	6, 0x0
	.amdhsa_kernel _ZN7rocprim17ROCPRIM_400000_NS6detail17trampoline_kernelINS0_14default_configENS1_25partition_config_selectorILNS1_17partition_subalgoE9EllbEEZZNS1_14partition_implILS5_9ELb0ES3_jPlS8_PNS0_10empty_typeENS0_5tupleIJS8_S9_EEENSB_IJS8_SA_EEENS0_18inequality_wrapperIZN2at6native12_GLOBAL__N_124unique_dim_cuda_templateIN3c104HalfEEESt5tupleIJNSF_6TensorESM_SM_EERKSM_lbbbEUlllE0_EEPmJS9_EEE10hipError_tPvRmT3_T4_T5_T6_T7_T9_mT8_P12ihipStream_tbDpT10_ENKUlT_T0_E_clISt17integral_constantIbLb0EES1C_EEDaS17_S18_EUlS17_E_NS1_11comp_targetILNS1_3genE9ELNS1_11target_archE1100ELNS1_3gpuE3ELNS1_3repE0EEENS1_30default_config_static_selectorELNS0_4arch9wavefront6targetE0EEEvT1_
		.amdhsa_group_segment_fixed_size 33804
		.amdhsa_private_segment_fixed_size 0
		.amdhsa_kernarg_size 120
		.amdhsa_user_sgpr_count 15
		.amdhsa_user_sgpr_dispatch_ptr 0
		.amdhsa_user_sgpr_queue_ptr 0
		.amdhsa_user_sgpr_kernarg_segment_ptr 1
		.amdhsa_user_sgpr_dispatch_id 0
		.amdhsa_user_sgpr_private_segment_size 0
		.amdhsa_wavefront_size32 1
		.amdhsa_uses_dynamic_stack 0
		.amdhsa_enable_private_segment 0
		.amdhsa_system_sgpr_workgroup_id_x 1
		.amdhsa_system_sgpr_workgroup_id_y 0
		.amdhsa_system_sgpr_workgroup_id_z 0
		.amdhsa_system_sgpr_workgroup_info 0
		.amdhsa_system_vgpr_workitem_id 0
		.amdhsa_next_free_vgpr 68
		.amdhsa_next_free_sgpr 36
		.amdhsa_reserve_vcc 1
		.amdhsa_float_round_mode_32 0
		.amdhsa_float_round_mode_16_64 0
		.amdhsa_float_denorm_mode_32 3
		.amdhsa_float_denorm_mode_16_64 3
		.amdhsa_dx10_clamp 1
		.amdhsa_ieee_mode 1
		.amdhsa_fp16_overflow 0
		.amdhsa_workgroup_processor_mode 1
		.amdhsa_memory_ordered 1
		.amdhsa_forward_progress 0
		.amdhsa_shared_vgpr_count 0
		.amdhsa_exception_fp_ieee_invalid_op 0
		.amdhsa_exception_fp_denorm_src 0
		.amdhsa_exception_fp_ieee_div_zero 0
		.amdhsa_exception_fp_ieee_overflow 0
		.amdhsa_exception_fp_ieee_underflow 0
		.amdhsa_exception_fp_ieee_inexact 0
		.amdhsa_exception_int_div_zero 0
	.end_amdhsa_kernel
	.section	.text._ZN7rocprim17ROCPRIM_400000_NS6detail17trampoline_kernelINS0_14default_configENS1_25partition_config_selectorILNS1_17partition_subalgoE9EllbEEZZNS1_14partition_implILS5_9ELb0ES3_jPlS8_PNS0_10empty_typeENS0_5tupleIJS8_S9_EEENSB_IJS8_SA_EEENS0_18inequality_wrapperIZN2at6native12_GLOBAL__N_124unique_dim_cuda_templateIN3c104HalfEEESt5tupleIJNSF_6TensorESM_SM_EERKSM_lbbbEUlllE0_EEPmJS9_EEE10hipError_tPvRmT3_T4_T5_T6_T7_T9_mT8_P12ihipStream_tbDpT10_ENKUlT_T0_E_clISt17integral_constantIbLb0EES1C_EEDaS17_S18_EUlS17_E_NS1_11comp_targetILNS1_3genE9ELNS1_11target_archE1100ELNS1_3gpuE3ELNS1_3repE0EEENS1_30default_config_static_selectorELNS0_4arch9wavefront6targetE0EEEvT1_,"axG",@progbits,_ZN7rocprim17ROCPRIM_400000_NS6detail17trampoline_kernelINS0_14default_configENS1_25partition_config_selectorILNS1_17partition_subalgoE9EllbEEZZNS1_14partition_implILS5_9ELb0ES3_jPlS8_PNS0_10empty_typeENS0_5tupleIJS8_S9_EEENSB_IJS8_SA_EEENS0_18inequality_wrapperIZN2at6native12_GLOBAL__N_124unique_dim_cuda_templateIN3c104HalfEEESt5tupleIJNSF_6TensorESM_SM_EERKSM_lbbbEUlllE0_EEPmJS9_EEE10hipError_tPvRmT3_T4_T5_T6_T7_T9_mT8_P12ihipStream_tbDpT10_ENKUlT_T0_E_clISt17integral_constantIbLb0EES1C_EEDaS17_S18_EUlS17_E_NS1_11comp_targetILNS1_3genE9ELNS1_11target_archE1100ELNS1_3gpuE3ELNS1_3repE0EEENS1_30default_config_static_selectorELNS0_4arch9wavefront6targetE0EEEvT1_,comdat
.Lfunc_end1333:
	.size	_ZN7rocprim17ROCPRIM_400000_NS6detail17trampoline_kernelINS0_14default_configENS1_25partition_config_selectorILNS1_17partition_subalgoE9EllbEEZZNS1_14partition_implILS5_9ELb0ES3_jPlS8_PNS0_10empty_typeENS0_5tupleIJS8_S9_EEENSB_IJS8_SA_EEENS0_18inequality_wrapperIZN2at6native12_GLOBAL__N_124unique_dim_cuda_templateIN3c104HalfEEESt5tupleIJNSF_6TensorESM_SM_EERKSM_lbbbEUlllE0_EEPmJS9_EEE10hipError_tPvRmT3_T4_T5_T6_T7_T9_mT8_P12ihipStream_tbDpT10_ENKUlT_T0_E_clISt17integral_constantIbLb0EES1C_EEDaS17_S18_EUlS17_E_NS1_11comp_targetILNS1_3genE9ELNS1_11target_archE1100ELNS1_3gpuE3ELNS1_3repE0EEENS1_30default_config_static_selectorELNS0_4arch9wavefront6targetE0EEEvT1_, .Lfunc_end1333-_ZN7rocprim17ROCPRIM_400000_NS6detail17trampoline_kernelINS0_14default_configENS1_25partition_config_selectorILNS1_17partition_subalgoE9EllbEEZZNS1_14partition_implILS5_9ELb0ES3_jPlS8_PNS0_10empty_typeENS0_5tupleIJS8_S9_EEENSB_IJS8_SA_EEENS0_18inequality_wrapperIZN2at6native12_GLOBAL__N_124unique_dim_cuda_templateIN3c104HalfEEESt5tupleIJNSF_6TensorESM_SM_EERKSM_lbbbEUlllE0_EEPmJS9_EEE10hipError_tPvRmT3_T4_T5_T6_T7_T9_mT8_P12ihipStream_tbDpT10_ENKUlT_T0_E_clISt17integral_constantIbLb0EES1C_EEDaS17_S18_EUlS17_E_NS1_11comp_targetILNS1_3genE9ELNS1_11target_archE1100ELNS1_3gpuE3ELNS1_3repE0EEENS1_30default_config_static_selectorELNS0_4arch9wavefront6targetE0EEEvT1_
                                        ; -- End function
	.section	.AMDGPU.csdata,"",@progbits
; Kernel info:
; codeLenInByte = 20360
; NumSgprs: 38
; NumVgprs: 68
; ScratchSize: 0
; MemoryBound: 0
; FloatMode: 240
; IeeeMode: 1
; LDSByteSize: 33804 bytes/workgroup (compile time only)
; SGPRBlocks: 4
; VGPRBlocks: 8
; NumSGPRsForWavesPerEU: 38
; NumVGPRsForWavesPerEU: 68
; Occupancy: 12
; WaveLimiterHint : 1
; COMPUTE_PGM_RSRC2:SCRATCH_EN: 0
; COMPUTE_PGM_RSRC2:USER_SGPR: 15
; COMPUTE_PGM_RSRC2:TRAP_HANDLER: 0
; COMPUTE_PGM_RSRC2:TGID_X_EN: 1
; COMPUTE_PGM_RSRC2:TGID_Y_EN: 0
; COMPUTE_PGM_RSRC2:TGID_Z_EN: 0
; COMPUTE_PGM_RSRC2:TIDIG_COMP_CNT: 0
	.section	.text._ZN7rocprim17ROCPRIM_400000_NS6detail17trampoline_kernelINS0_14default_configENS1_25partition_config_selectorILNS1_17partition_subalgoE9EllbEEZZNS1_14partition_implILS5_9ELb0ES3_jPlS8_PNS0_10empty_typeENS0_5tupleIJS8_S9_EEENSB_IJS8_SA_EEENS0_18inequality_wrapperIZN2at6native12_GLOBAL__N_124unique_dim_cuda_templateIN3c104HalfEEESt5tupleIJNSF_6TensorESM_SM_EERKSM_lbbbEUlllE0_EEPmJS9_EEE10hipError_tPvRmT3_T4_T5_T6_T7_T9_mT8_P12ihipStream_tbDpT10_ENKUlT_T0_E_clISt17integral_constantIbLb0EES1C_EEDaS17_S18_EUlS17_E_NS1_11comp_targetILNS1_3genE8ELNS1_11target_archE1030ELNS1_3gpuE2ELNS1_3repE0EEENS1_30default_config_static_selectorELNS0_4arch9wavefront6targetE0EEEvT1_,"axG",@progbits,_ZN7rocprim17ROCPRIM_400000_NS6detail17trampoline_kernelINS0_14default_configENS1_25partition_config_selectorILNS1_17partition_subalgoE9EllbEEZZNS1_14partition_implILS5_9ELb0ES3_jPlS8_PNS0_10empty_typeENS0_5tupleIJS8_S9_EEENSB_IJS8_SA_EEENS0_18inequality_wrapperIZN2at6native12_GLOBAL__N_124unique_dim_cuda_templateIN3c104HalfEEESt5tupleIJNSF_6TensorESM_SM_EERKSM_lbbbEUlllE0_EEPmJS9_EEE10hipError_tPvRmT3_T4_T5_T6_T7_T9_mT8_P12ihipStream_tbDpT10_ENKUlT_T0_E_clISt17integral_constantIbLb0EES1C_EEDaS17_S18_EUlS17_E_NS1_11comp_targetILNS1_3genE8ELNS1_11target_archE1030ELNS1_3gpuE2ELNS1_3repE0EEENS1_30default_config_static_selectorELNS0_4arch9wavefront6targetE0EEEvT1_,comdat
	.globl	_ZN7rocprim17ROCPRIM_400000_NS6detail17trampoline_kernelINS0_14default_configENS1_25partition_config_selectorILNS1_17partition_subalgoE9EllbEEZZNS1_14partition_implILS5_9ELb0ES3_jPlS8_PNS0_10empty_typeENS0_5tupleIJS8_S9_EEENSB_IJS8_SA_EEENS0_18inequality_wrapperIZN2at6native12_GLOBAL__N_124unique_dim_cuda_templateIN3c104HalfEEESt5tupleIJNSF_6TensorESM_SM_EERKSM_lbbbEUlllE0_EEPmJS9_EEE10hipError_tPvRmT3_T4_T5_T6_T7_T9_mT8_P12ihipStream_tbDpT10_ENKUlT_T0_E_clISt17integral_constantIbLb0EES1C_EEDaS17_S18_EUlS17_E_NS1_11comp_targetILNS1_3genE8ELNS1_11target_archE1030ELNS1_3gpuE2ELNS1_3repE0EEENS1_30default_config_static_selectorELNS0_4arch9wavefront6targetE0EEEvT1_ ; -- Begin function _ZN7rocprim17ROCPRIM_400000_NS6detail17trampoline_kernelINS0_14default_configENS1_25partition_config_selectorILNS1_17partition_subalgoE9EllbEEZZNS1_14partition_implILS5_9ELb0ES3_jPlS8_PNS0_10empty_typeENS0_5tupleIJS8_S9_EEENSB_IJS8_SA_EEENS0_18inequality_wrapperIZN2at6native12_GLOBAL__N_124unique_dim_cuda_templateIN3c104HalfEEESt5tupleIJNSF_6TensorESM_SM_EERKSM_lbbbEUlllE0_EEPmJS9_EEE10hipError_tPvRmT3_T4_T5_T6_T7_T9_mT8_P12ihipStream_tbDpT10_ENKUlT_T0_E_clISt17integral_constantIbLb0EES1C_EEDaS17_S18_EUlS17_E_NS1_11comp_targetILNS1_3genE8ELNS1_11target_archE1030ELNS1_3gpuE2ELNS1_3repE0EEENS1_30default_config_static_selectorELNS0_4arch9wavefront6targetE0EEEvT1_
	.p2align	8
	.type	_ZN7rocprim17ROCPRIM_400000_NS6detail17trampoline_kernelINS0_14default_configENS1_25partition_config_selectorILNS1_17partition_subalgoE9EllbEEZZNS1_14partition_implILS5_9ELb0ES3_jPlS8_PNS0_10empty_typeENS0_5tupleIJS8_S9_EEENSB_IJS8_SA_EEENS0_18inequality_wrapperIZN2at6native12_GLOBAL__N_124unique_dim_cuda_templateIN3c104HalfEEESt5tupleIJNSF_6TensorESM_SM_EERKSM_lbbbEUlllE0_EEPmJS9_EEE10hipError_tPvRmT3_T4_T5_T6_T7_T9_mT8_P12ihipStream_tbDpT10_ENKUlT_T0_E_clISt17integral_constantIbLb0EES1C_EEDaS17_S18_EUlS17_E_NS1_11comp_targetILNS1_3genE8ELNS1_11target_archE1030ELNS1_3gpuE2ELNS1_3repE0EEENS1_30default_config_static_selectorELNS0_4arch9wavefront6targetE0EEEvT1_,@function
_ZN7rocprim17ROCPRIM_400000_NS6detail17trampoline_kernelINS0_14default_configENS1_25partition_config_selectorILNS1_17partition_subalgoE9EllbEEZZNS1_14partition_implILS5_9ELb0ES3_jPlS8_PNS0_10empty_typeENS0_5tupleIJS8_S9_EEENSB_IJS8_SA_EEENS0_18inequality_wrapperIZN2at6native12_GLOBAL__N_124unique_dim_cuda_templateIN3c104HalfEEESt5tupleIJNSF_6TensorESM_SM_EERKSM_lbbbEUlllE0_EEPmJS9_EEE10hipError_tPvRmT3_T4_T5_T6_T7_T9_mT8_P12ihipStream_tbDpT10_ENKUlT_T0_E_clISt17integral_constantIbLb0EES1C_EEDaS17_S18_EUlS17_E_NS1_11comp_targetILNS1_3genE8ELNS1_11target_archE1030ELNS1_3gpuE2ELNS1_3repE0EEENS1_30default_config_static_selectorELNS0_4arch9wavefront6targetE0EEEvT1_: ; @_ZN7rocprim17ROCPRIM_400000_NS6detail17trampoline_kernelINS0_14default_configENS1_25partition_config_selectorILNS1_17partition_subalgoE9EllbEEZZNS1_14partition_implILS5_9ELb0ES3_jPlS8_PNS0_10empty_typeENS0_5tupleIJS8_S9_EEENSB_IJS8_SA_EEENS0_18inequality_wrapperIZN2at6native12_GLOBAL__N_124unique_dim_cuda_templateIN3c104HalfEEESt5tupleIJNSF_6TensorESM_SM_EERKSM_lbbbEUlllE0_EEPmJS9_EEE10hipError_tPvRmT3_T4_T5_T6_T7_T9_mT8_P12ihipStream_tbDpT10_ENKUlT_T0_E_clISt17integral_constantIbLb0EES1C_EEDaS17_S18_EUlS17_E_NS1_11comp_targetILNS1_3genE8ELNS1_11target_archE1030ELNS1_3gpuE2ELNS1_3repE0EEENS1_30default_config_static_selectorELNS0_4arch9wavefront6targetE0EEEvT1_
; %bb.0:
	.section	.rodata,"a",@progbits
	.p2align	6, 0x0
	.amdhsa_kernel _ZN7rocprim17ROCPRIM_400000_NS6detail17trampoline_kernelINS0_14default_configENS1_25partition_config_selectorILNS1_17partition_subalgoE9EllbEEZZNS1_14partition_implILS5_9ELb0ES3_jPlS8_PNS0_10empty_typeENS0_5tupleIJS8_S9_EEENSB_IJS8_SA_EEENS0_18inequality_wrapperIZN2at6native12_GLOBAL__N_124unique_dim_cuda_templateIN3c104HalfEEESt5tupleIJNSF_6TensorESM_SM_EERKSM_lbbbEUlllE0_EEPmJS9_EEE10hipError_tPvRmT3_T4_T5_T6_T7_T9_mT8_P12ihipStream_tbDpT10_ENKUlT_T0_E_clISt17integral_constantIbLb0EES1C_EEDaS17_S18_EUlS17_E_NS1_11comp_targetILNS1_3genE8ELNS1_11target_archE1030ELNS1_3gpuE2ELNS1_3repE0EEENS1_30default_config_static_selectorELNS0_4arch9wavefront6targetE0EEEvT1_
		.amdhsa_group_segment_fixed_size 0
		.amdhsa_private_segment_fixed_size 0
		.amdhsa_kernarg_size 120
		.amdhsa_user_sgpr_count 15
		.amdhsa_user_sgpr_dispatch_ptr 0
		.amdhsa_user_sgpr_queue_ptr 0
		.amdhsa_user_sgpr_kernarg_segment_ptr 1
		.amdhsa_user_sgpr_dispatch_id 0
		.amdhsa_user_sgpr_private_segment_size 0
		.amdhsa_wavefront_size32 1
		.amdhsa_uses_dynamic_stack 0
		.amdhsa_enable_private_segment 0
		.amdhsa_system_sgpr_workgroup_id_x 1
		.amdhsa_system_sgpr_workgroup_id_y 0
		.amdhsa_system_sgpr_workgroup_id_z 0
		.amdhsa_system_sgpr_workgroup_info 0
		.amdhsa_system_vgpr_workitem_id 0
		.amdhsa_next_free_vgpr 1
		.amdhsa_next_free_sgpr 1
		.amdhsa_reserve_vcc 0
		.amdhsa_float_round_mode_32 0
		.amdhsa_float_round_mode_16_64 0
		.amdhsa_float_denorm_mode_32 3
		.amdhsa_float_denorm_mode_16_64 3
		.amdhsa_dx10_clamp 1
		.amdhsa_ieee_mode 1
		.amdhsa_fp16_overflow 0
		.amdhsa_workgroup_processor_mode 1
		.amdhsa_memory_ordered 1
		.amdhsa_forward_progress 0
		.amdhsa_shared_vgpr_count 0
		.amdhsa_exception_fp_ieee_invalid_op 0
		.amdhsa_exception_fp_denorm_src 0
		.amdhsa_exception_fp_ieee_div_zero 0
		.amdhsa_exception_fp_ieee_overflow 0
		.amdhsa_exception_fp_ieee_underflow 0
		.amdhsa_exception_fp_ieee_inexact 0
		.amdhsa_exception_int_div_zero 0
	.end_amdhsa_kernel
	.section	.text._ZN7rocprim17ROCPRIM_400000_NS6detail17trampoline_kernelINS0_14default_configENS1_25partition_config_selectorILNS1_17partition_subalgoE9EllbEEZZNS1_14partition_implILS5_9ELb0ES3_jPlS8_PNS0_10empty_typeENS0_5tupleIJS8_S9_EEENSB_IJS8_SA_EEENS0_18inequality_wrapperIZN2at6native12_GLOBAL__N_124unique_dim_cuda_templateIN3c104HalfEEESt5tupleIJNSF_6TensorESM_SM_EERKSM_lbbbEUlllE0_EEPmJS9_EEE10hipError_tPvRmT3_T4_T5_T6_T7_T9_mT8_P12ihipStream_tbDpT10_ENKUlT_T0_E_clISt17integral_constantIbLb0EES1C_EEDaS17_S18_EUlS17_E_NS1_11comp_targetILNS1_3genE8ELNS1_11target_archE1030ELNS1_3gpuE2ELNS1_3repE0EEENS1_30default_config_static_selectorELNS0_4arch9wavefront6targetE0EEEvT1_,"axG",@progbits,_ZN7rocprim17ROCPRIM_400000_NS6detail17trampoline_kernelINS0_14default_configENS1_25partition_config_selectorILNS1_17partition_subalgoE9EllbEEZZNS1_14partition_implILS5_9ELb0ES3_jPlS8_PNS0_10empty_typeENS0_5tupleIJS8_S9_EEENSB_IJS8_SA_EEENS0_18inequality_wrapperIZN2at6native12_GLOBAL__N_124unique_dim_cuda_templateIN3c104HalfEEESt5tupleIJNSF_6TensorESM_SM_EERKSM_lbbbEUlllE0_EEPmJS9_EEE10hipError_tPvRmT3_T4_T5_T6_T7_T9_mT8_P12ihipStream_tbDpT10_ENKUlT_T0_E_clISt17integral_constantIbLb0EES1C_EEDaS17_S18_EUlS17_E_NS1_11comp_targetILNS1_3genE8ELNS1_11target_archE1030ELNS1_3gpuE2ELNS1_3repE0EEENS1_30default_config_static_selectorELNS0_4arch9wavefront6targetE0EEEvT1_,comdat
.Lfunc_end1334:
	.size	_ZN7rocprim17ROCPRIM_400000_NS6detail17trampoline_kernelINS0_14default_configENS1_25partition_config_selectorILNS1_17partition_subalgoE9EllbEEZZNS1_14partition_implILS5_9ELb0ES3_jPlS8_PNS0_10empty_typeENS0_5tupleIJS8_S9_EEENSB_IJS8_SA_EEENS0_18inequality_wrapperIZN2at6native12_GLOBAL__N_124unique_dim_cuda_templateIN3c104HalfEEESt5tupleIJNSF_6TensorESM_SM_EERKSM_lbbbEUlllE0_EEPmJS9_EEE10hipError_tPvRmT3_T4_T5_T6_T7_T9_mT8_P12ihipStream_tbDpT10_ENKUlT_T0_E_clISt17integral_constantIbLb0EES1C_EEDaS17_S18_EUlS17_E_NS1_11comp_targetILNS1_3genE8ELNS1_11target_archE1030ELNS1_3gpuE2ELNS1_3repE0EEENS1_30default_config_static_selectorELNS0_4arch9wavefront6targetE0EEEvT1_, .Lfunc_end1334-_ZN7rocprim17ROCPRIM_400000_NS6detail17trampoline_kernelINS0_14default_configENS1_25partition_config_selectorILNS1_17partition_subalgoE9EllbEEZZNS1_14partition_implILS5_9ELb0ES3_jPlS8_PNS0_10empty_typeENS0_5tupleIJS8_S9_EEENSB_IJS8_SA_EEENS0_18inequality_wrapperIZN2at6native12_GLOBAL__N_124unique_dim_cuda_templateIN3c104HalfEEESt5tupleIJNSF_6TensorESM_SM_EERKSM_lbbbEUlllE0_EEPmJS9_EEE10hipError_tPvRmT3_T4_T5_T6_T7_T9_mT8_P12ihipStream_tbDpT10_ENKUlT_T0_E_clISt17integral_constantIbLb0EES1C_EEDaS17_S18_EUlS17_E_NS1_11comp_targetILNS1_3genE8ELNS1_11target_archE1030ELNS1_3gpuE2ELNS1_3repE0EEENS1_30default_config_static_selectorELNS0_4arch9wavefront6targetE0EEEvT1_
                                        ; -- End function
	.section	.AMDGPU.csdata,"",@progbits
; Kernel info:
; codeLenInByte = 0
; NumSgprs: 0
; NumVgprs: 0
; ScratchSize: 0
; MemoryBound: 0
; FloatMode: 240
; IeeeMode: 1
; LDSByteSize: 0 bytes/workgroup (compile time only)
; SGPRBlocks: 0
; VGPRBlocks: 0
; NumSGPRsForWavesPerEU: 1
; NumVGPRsForWavesPerEU: 1
; Occupancy: 16
; WaveLimiterHint : 0
; COMPUTE_PGM_RSRC2:SCRATCH_EN: 0
; COMPUTE_PGM_RSRC2:USER_SGPR: 15
; COMPUTE_PGM_RSRC2:TRAP_HANDLER: 0
; COMPUTE_PGM_RSRC2:TGID_X_EN: 1
; COMPUTE_PGM_RSRC2:TGID_Y_EN: 0
; COMPUTE_PGM_RSRC2:TGID_Z_EN: 0
; COMPUTE_PGM_RSRC2:TIDIG_COMP_CNT: 0
	.section	.text._ZN7rocprim17ROCPRIM_400000_NS6detail17trampoline_kernelINS0_14default_configENS1_25partition_config_selectorILNS1_17partition_subalgoE9EllbEEZZNS1_14partition_implILS5_9ELb0ES3_jPlS8_PNS0_10empty_typeENS0_5tupleIJS8_S9_EEENSB_IJS8_SA_EEENS0_18inequality_wrapperIZN2at6native12_GLOBAL__N_124unique_dim_cuda_templateIN3c104HalfEEESt5tupleIJNSF_6TensorESM_SM_EERKSM_lbbbEUlllE0_EEPmJS9_EEE10hipError_tPvRmT3_T4_T5_T6_T7_T9_mT8_P12ihipStream_tbDpT10_ENKUlT_T0_E_clISt17integral_constantIbLb1EES1C_EEDaS17_S18_EUlS17_E_NS1_11comp_targetILNS1_3genE0ELNS1_11target_archE4294967295ELNS1_3gpuE0ELNS1_3repE0EEENS1_30default_config_static_selectorELNS0_4arch9wavefront6targetE0EEEvT1_,"axG",@progbits,_ZN7rocprim17ROCPRIM_400000_NS6detail17trampoline_kernelINS0_14default_configENS1_25partition_config_selectorILNS1_17partition_subalgoE9EllbEEZZNS1_14partition_implILS5_9ELb0ES3_jPlS8_PNS0_10empty_typeENS0_5tupleIJS8_S9_EEENSB_IJS8_SA_EEENS0_18inequality_wrapperIZN2at6native12_GLOBAL__N_124unique_dim_cuda_templateIN3c104HalfEEESt5tupleIJNSF_6TensorESM_SM_EERKSM_lbbbEUlllE0_EEPmJS9_EEE10hipError_tPvRmT3_T4_T5_T6_T7_T9_mT8_P12ihipStream_tbDpT10_ENKUlT_T0_E_clISt17integral_constantIbLb1EES1C_EEDaS17_S18_EUlS17_E_NS1_11comp_targetILNS1_3genE0ELNS1_11target_archE4294967295ELNS1_3gpuE0ELNS1_3repE0EEENS1_30default_config_static_selectorELNS0_4arch9wavefront6targetE0EEEvT1_,comdat
	.globl	_ZN7rocprim17ROCPRIM_400000_NS6detail17trampoline_kernelINS0_14default_configENS1_25partition_config_selectorILNS1_17partition_subalgoE9EllbEEZZNS1_14partition_implILS5_9ELb0ES3_jPlS8_PNS0_10empty_typeENS0_5tupleIJS8_S9_EEENSB_IJS8_SA_EEENS0_18inequality_wrapperIZN2at6native12_GLOBAL__N_124unique_dim_cuda_templateIN3c104HalfEEESt5tupleIJNSF_6TensorESM_SM_EERKSM_lbbbEUlllE0_EEPmJS9_EEE10hipError_tPvRmT3_T4_T5_T6_T7_T9_mT8_P12ihipStream_tbDpT10_ENKUlT_T0_E_clISt17integral_constantIbLb1EES1C_EEDaS17_S18_EUlS17_E_NS1_11comp_targetILNS1_3genE0ELNS1_11target_archE4294967295ELNS1_3gpuE0ELNS1_3repE0EEENS1_30default_config_static_selectorELNS0_4arch9wavefront6targetE0EEEvT1_ ; -- Begin function _ZN7rocprim17ROCPRIM_400000_NS6detail17trampoline_kernelINS0_14default_configENS1_25partition_config_selectorILNS1_17partition_subalgoE9EllbEEZZNS1_14partition_implILS5_9ELb0ES3_jPlS8_PNS0_10empty_typeENS0_5tupleIJS8_S9_EEENSB_IJS8_SA_EEENS0_18inequality_wrapperIZN2at6native12_GLOBAL__N_124unique_dim_cuda_templateIN3c104HalfEEESt5tupleIJNSF_6TensorESM_SM_EERKSM_lbbbEUlllE0_EEPmJS9_EEE10hipError_tPvRmT3_T4_T5_T6_T7_T9_mT8_P12ihipStream_tbDpT10_ENKUlT_T0_E_clISt17integral_constantIbLb1EES1C_EEDaS17_S18_EUlS17_E_NS1_11comp_targetILNS1_3genE0ELNS1_11target_archE4294967295ELNS1_3gpuE0ELNS1_3repE0EEENS1_30default_config_static_selectorELNS0_4arch9wavefront6targetE0EEEvT1_
	.p2align	8
	.type	_ZN7rocprim17ROCPRIM_400000_NS6detail17trampoline_kernelINS0_14default_configENS1_25partition_config_selectorILNS1_17partition_subalgoE9EllbEEZZNS1_14partition_implILS5_9ELb0ES3_jPlS8_PNS0_10empty_typeENS0_5tupleIJS8_S9_EEENSB_IJS8_SA_EEENS0_18inequality_wrapperIZN2at6native12_GLOBAL__N_124unique_dim_cuda_templateIN3c104HalfEEESt5tupleIJNSF_6TensorESM_SM_EERKSM_lbbbEUlllE0_EEPmJS9_EEE10hipError_tPvRmT3_T4_T5_T6_T7_T9_mT8_P12ihipStream_tbDpT10_ENKUlT_T0_E_clISt17integral_constantIbLb1EES1C_EEDaS17_S18_EUlS17_E_NS1_11comp_targetILNS1_3genE0ELNS1_11target_archE4294967295ELNS1_3gpuE0ELNS1_3repE0EEENS1_30default_config_static_selectorELNS0_4arch9wavefront6targetE0EEEvT1_,@function
_ZN7rocprim17ROCPRIM_400000_NS6detail17trampoline_kernelINS0_14default_configENS1_25partition_config_selectorILNS1_17partition_subalgoE9EllbEEZZNS1_14partition_implILS5_9ELb0ES3_jPlS8_PNS0_10empty_typeENS0_5tupleIJS8_S9_EEENSB_IJS8_SA_EEENS0_18inequality_wrapperIZN2at6native12_GLOBAL__N_124unique_dim_cuda_templateIN3c104HalfEEESt5tupleIJNSF_6TensorESM_SM_EERKSM_lbbbEUlllE0_EEPmJS9_EEE10hipError_tPvRmT3_T4_T5_T6_T7_T9_mT8_P12ihipStream_tbDpT10_ENKUlT_T0_E_clISt17integral_constantIbLb1EES1C_EEDaS17_S18_EUlS17_E_NS1_11comp_targetILNS1_3genE0ELNS1_11target_archE4294967295ELNS1_3gpuE0ELNS1_3repE0EEENS1_30default_config_static_selectorELNS0_4arch9wavefront6targetE0EEEvT1_: ; @_ZN7rocprim17ROCPRIM_400000_NS6detail17trampoline_kernelINS0_14default_configENS1_25partition_config_selectorILNS1_17partition_subalgoE9EllbEEZZNS1_14partition_implILS5_9ELb0ES3_jPlS8_PNS0_10empty_typeENS0_5tupleIJS8_S9_EEENSB_IJS8_SA_EEENS0_18inequality_wrapperIZN2at6native12_GLOBAL__N_124unique_dim_cuda_templateIN3c104HalfEEESt5tupleIJNSF_6TensorESM_SM_EERKSM_lbbbEUlllE0_EEPmJS9_EEE10hipError_tPvRmT3_T4_T5_T6_T7_T9_mT8_P12ihipStream_tbDpT10_ENKUlT_T0_E_clISt17integral_constantIbLb1EES1C_EEDaS17_S18_EUlS17_E_NS1_11comp_targetILNS1_3genE0ELNS1_11target_archE4294967295ELNS1_3gpuE0ELNS1_3repE0EEENS1_30default_config_static_selectorELNS0_4arch9wavefront6targetE0EEEvT1_
; %bb.0:
	.section	.rodata,"a",@progbits
	.p2align	6, 0x0
	.amdhsa_kernel _ZN7rocprim17ROCPRIM_400000_NS6detail17trampoline_kernelINS0_14default_configENS1_25partition_config_selectorILNS1_17partition_subalgoE9EllbEEZZNS1_14partition_implILS5_9ELb0ES3_jPlS8_PNS0_10empty_typeENS0_5tupleIJS8_S9_EEENSB_IJS8_SA_EEENS0_18inequality_wrapperIZN2at6native12_GLOBAL__N_124unique_dim_cuda_templateIN3c104HalfEEESt5tupleIJNSF_6TensorESM_SM_EERKSM_lbbbEUlllE0_EEPmJS9_EEE10hipError_tPvRmT3_T4_T5_T6_T7_T9_mT8_P12ihipStream_tbDpT10_ENKUlT_T0_E_clISt17integral_constantIbLb1EES1C_EEDaS17_S18_EUlS17_E_NS1_11comp_targetILNS1_3genE0ELNS1_11target_archE4294967295ELNS1_3gpuE0ELNS1_3repE0EEENS1_30default_config_static_selectorELNS0_4arch9wavefront6targetE0EEEvT1_
		.amdhsa_group_segment_fixed_size 0
		.amdhsa_private_segment_fixed_size 0
		.amdhsa_kernarg_size 136
		.amdhsa_user_sgpr_count 15
		.amdhsa_user_sgpr_dispatch_ptr 0
		.amdhsa_user_sgpr_queue_ptr 0
		.amdhsa_user_sgpr_kernarg_segment_ptr 1
		.amdhsa_user_sgpr_dispatch_id 0
		.amdhsa_user_sgpr_private_segment_size 0
		.amdhsa_wavefront_size32 1
		.amdhsa_uses_dynamic_stack 0
		.amdhsa_enable_private_segment 0
		.amdhsa_system_sgpr_workgroup_id_x 1
		.amdhsa_system_sgpr_workgroup_id_y 0
		.amdhsa_system_sgpr_workgroup_id_z 0
		.amdhsa_system_sgpr_workgroup_info 0
		.amdhsa_system_vgpr_workitem_id 0
		.amdhsa_next_free_vgpr 1
		.amdhsa_next_free_sgpr 1
		.amdhsa_reserve_vcc 0
		.amdhsa_float_round_mode_32 0
		.amdhsa_float_round_mode_16_64 0
		.amdhsa_float_denorm_mode_32 3
		.amdhsa_float_denorm_mode_16_64 3
		.amdhsa_dx10_clamp 1
		.amdhsa_ieee_mode 1
		.amdhsa_fp16_overflow 0
		.amdhsa_workgroup_processor_mode 1
		.amdhsa_memory_ordered 1
		.amdhsa_forward_progress 0
		.amdhsa_shared_vgpr_count 0
		.amdhsa_exception_fp_ieee_invalid_op 0
		.amdhsa_exception_fp_denorm_src 0
		.amdhsa_exception_fp_ieee_div_zero 0
		.amdhsa_exception_fp_ieee_overflow 0
		.amdhsa_exception_fp_ieee_underflow 0
		.amdhsa_exception_fp_ieee_inexact 0
		.amdhsa_exception_int_div_zero 0
	.end_amdhsa_kernel
	.section	.text._ZN7rocprim17ROCPRIM_400000_NS6detail17trampoline_kernelINS0_14default_configENS1_25partition_config_selectorILNS1_17partition_subalgoE9EllbEEZZNS1_14partition_implILS5_9ELb0ES3_jPlS8_PNS0_10empty_typeENS0_5tupleIJS8_S9_EEENSB_IJS8_SA_EEENS0_18inequality_wrapperIZN2at6native12_GLOBAL__N_124unique_dim_cuda_templateIN3c104HalfEEESt5tupleIJNSF_6TensorESM_SM_EERKSM_lbbbEUlllE0_EEPmJS9_EEE10hipError_tPvRmT3_T4_T5_T6_T7_T9_mT8_P12ihipStream_tbDpT10_ENKUlT_T0_E_clISt17integral_constantIbLb1EES1C_EEDaS17_S18_EUlS17_E_NS1_11comp_targetILNS1_3genE0ELNS1_11target_archE4294967295ELNS1_3gpuE0ELNS1_3repE0EEENS1_30default_config_static_selectorELNS0_4arch9wavefront6targetE0EEEvT1_,"axG",@progbits,_ZN7rocprim17ROCPRIM_400000_NS6detail17trampoline_kernelINS0_14default_configENS1_25partition_config_selectorILNS1_17partition_subalgoE9EllbEEZZNS1_14partition_implILS5_9ELb0ES3_jPlS8_PNS0_10empty_typeENS0_5tupleIJS8_S9_EEENSB_IJS8_SA_EEENS0_18inequality_wrapperIZN2at6native12_GLOBAL__N_124unique_dim_cuda_templateIN3c104HalfEEESt5tupleIJNSF_6TensorESM_SM_EERKSM_lbbbEUlllE0_EEPmJS9_EEE10hipError_tPvRmT3_T4_T5_T6_T7_T9_mT8_P12ihipStream_tbDpT10_ENKUlT_T0_E_clISt17integral_constantIbLb1EES1C_EEDaS17_S18_EUlS17_E_NS1_11comp_targetILNS1_3genE0ELNS1_11target_archE4294967295ELNS1_3gpuE0ELNS1_3repE0EEENS1_30default_config_static_selectorELNS0_4arch9wavefront6targetE0EEEvT1_,comdat
.Lfunc_end1335:
	.size	_ZN7rocprim17ROCPRIM_400000_NS6detail17trampoline_kernelINS0_14default_configENS1_25partition_config_selectorILNS1_17partition_subalgoE9EllbEEZZNS1_14partition_implILS5_9ELb0ES3_jPlS8_PNS0_10empty_typeENS0_5tupleIJS8_S9_EEENSB_IJS8_SA_EEENS0_18inequality_wrapperIZN2at6native12_GLOBAL__N_124unique_dim_cuda_templateIN3c104HalfEEESt5tupleIJNSF_6TensorESM_SM_EERKSM_lbbbEUlllE0_EEPmJS9_EEE10hipError_tPvRmT3_T4_T5_T6_T7_T9_mT8_P12ihipStream_tbDpT10_ENKUlT_T0_E_clISt17integral_constantIbLb1EES1C_EEDaS17_S18_EUlS17_E_NS1_11comp_targetILNS1_3genE0ELNS1_11target_archE4294967295ELNS1_3gpuE0ELNS1_3repE0EEENS1_30default_config_static_selectorELNS0_4arch9wavefront6targetE0EEEvT1_, .Lfunc_end1335-_ZN7rocprim17ROCPRIM_400000_NS6detail17trampoline_kernelINS0_14default_configENS1_25partition_config_selectorILNS1_17partition_subalgoE9EllbEEZZNS1_14partition_implILS5_9ELb0ES3_jPlS8_PNS0_10empty_typeENS0_5tupleIJS8_S9_EEENSB_IJS8_SA_EEENS0_18inequality_wrapperIZN2at6native12_GLOBAL__N_124unique_dim_cuda_templateIN3c104HalfEEESt5tupleIJNSF_6TensorESM_SM_EERKSM_lbbbEUlllE0_EEPmJS9_EEE10hipError_tPvRmT3_T4_T5_T6_T7_T9_mT8_P12ihipStream_tbDpT10_ENKUlT_T0_E_clISt17integral_constantIbLb1EES1C_EEDaS17_S18_EUlS17_E_NS1_11comp_targetILNS1_3genE0ELNS1_11target_archE4294967295ELNS1_3gpuE0ELNS1_3repE0EEENS1_30default_config_static_selectorELNS0_4arch9wavefront6targetE0EEEvT1_
                                        ; -- End function
	.section	.AMDGPU.csdata,"",@progbits
; Kernel info:
; codeLenInByte = 0
; NumSgprs: 0
; NumVgprs: 0
; ScratchSize: 0
; MemoryBound: 0
; FloatMode: 240
; IeeeMode: 1
; LDSByteSize: 0 bytes/workgroup (compile time only)
; SGPRBlocks: 0
; VGPRBlocks: 0
; NumSGPRsForWavesPerEU: 1
; NumVGPRsForWavesPerEU: 1
; Occupancy: 16
; WaveLimiterHint : 0
; COMPUTE_PGM_RSRC2:SCRATCH_EN: 0
; COMPUTE_PGM_RSRC2:USER_SGPR: 15
; COMPUTE_PGM_RSRC2:TRAP_HANDLER: 0
; COMPUTE_PGM_RSRC2:TGID_X_EN: 1
; COMPUTE_PGM_RSRC2:TGID_Y_EN: 0
; COMPUTE_PGM_RSRC2:TGID_Z_EN: 0
; COMPUTE_PGM_RSRC2:TIDIG_COMP_CNT: 0
	.section	.text._ZN7rocprim17ROCPRIM_400000_NS6detail17trampoline_kernelINS0_14default_configENS1_25partition_config_selectorILNS1_17partition_subalgoE9EllbEEZZNS1_14partition_implILS5_9ELb0ES3_jPlS8_PNS0_10empty_typeENS0_5tupleIJS8_S9_EEENSB_IJS8_SA_EEENS0_18inequality_wrapperIZN2at6native12_GLOBAL__N_124unique_dim_cuda_templateIN3c104HalfEEESt5tupleIJNSF_6TensorESM_SM_EERKSM_lbbbEUlllE0_EEPmJS9_EEE10hipError_tPvRmT3_T4_T5_T6_T7_T9_mT8_P12ihipStream_tbDpT10_ENKUlT_T0_E_clISt17integral_constantIbLb1EES1C_EEDaS17_S18_EUlS17_E_NS1_11comp_targetILNS1_3genE5ELNS1_11target_archE942ELNS1_3gpuE9ELNS1_3repE0EEENS1_30default_config_static_selectorELNS0_4arch9wavefront6targetE0EEEvT1_,"axG",@progbits,_ZN7rocprim17ROCPRIM_400000_NS6detail17trampoline_kernelINS0_14default_configENS1_25partition_config_selectorILNS1_17partition_subalgoE9EllbEEZZNS1_14partition_implILS5_9ELb0ES3_jPlS8_PNS0_10empty_typeENS0_5tupleIJS8_S9_EEENSB_IJS8_SA_EEENS0_18inequality_wrapperIZN2at6native12_GLOBAL__N_124unique_dim_cuda_templateIN3c104HalfEEESt5tupleIJNSF_6TensorESM_SM_EERKSM_lbbbEUlllE0_EEPmJS9_EEE10hipError_tPvRmT3_T4_T5_T6_T7_T9_mT8_P12ihipStream_tbDpT10_ENKUlT_T0_E_clISt17integral_constantIbLb1EES1C_EEDaS17_S18_EUlS17_E_NS1_11comp_targetILNS1_3genE5ELNS1_11target_archE942ELNS1_3gpuE9ELNS1_3repE0EEENS1_30default_config_static_selectorELNS0_4arch9wavefront6targetE0EEEvT1_,comdat
	.globl	_ZN7rocprim17ROCPRIM_400000_NS6detail17trampoline_kernelINS0_14default_configENS1_25partition_config_selectorILNS1_17partition_subalgoE9EllbEEZZNS1_14partition_implILS5_9ELb0ES3_jPlS8_PNS0_10empty_typeENS0_5tupleIJS8_S9_EEENSB_IJS8_SA_EEENS0_18inequality_wrapperIZN2at6native12_GLOBAL__N_124unique_dim_cuda_templateIN3c104HalfEEESt5tupleIJNSF_6TensorESM_SM_EERKSM_lbbbEUlllE0_EEPmJS9_EEE10hipError_tPvRmT3_T4_T5_T6_T7_T9_mT8_P12ihipStream_tbDpT10_ENKUlT_T0_E_clISt17integral_constantIbLb1EES1C_EEDaS17_S18_EUlS17_E_NS1_11comp_targetILNS1_3genE5ELNS1_11target_archE942ELNS1_3gpuE9ELNS1_3repE0EEENS1_30default_config_static_selectorELNS0_4arch9wavefront6targetE0EEEvT1_ ; -- Begin function _ZN7rocprim17ROCPRIM_400000_NS6detail17trampoline_kernelINS0_14default_configENS1_25partition_config_selectorILNS1_17partition_subalgoE9EllbEEZZNS1_14partition_implILS5_9ELb0ES3_jPlS8_PNS0_10empty_typeENS0_5tupleIJS8_S9_EEENSB_IJS8_SA_EEENS0_18inequality_wrapperIZN2at6native12_GLOBAL__N_124unique_dim_cuda_templateIN3c104HalfEEESt5tupleIJNSF_6TensorESM_SM_EERKSM_lbbbEUlllE0_EEPmJS9_EEE10hipError_tPvRmT3_T4_T5_T6_T7_T9_mT8_P12ihipStream_tbDpT10_ENKUlT_T0_E_clISt17integral_constantIbLb1EES1C_EEDaS17_S18_EUlS17_E_NS1_11comp_targetILNS1_3genE5ELNS1_11target_archE942ELNS1_3gpuE9ELNS1_3repE0EEENS1_30default_config_static_selectorELNS0_4arch9wavefront6targetE0EEEvT1_
	.p2align	8
	.type	_ZN7rocprim17ROCPRIM_400000_NS6detail17trampoline_kernelINS0_14default_configENS1_25partition_config_selectorILNS1_17partition_subalgoE9EllbEEZZNS1_14partition_implILS5_9ELb0ES3_jPlS8_PNS0_10empty_typeENS0_5tupleIJS8_S9_EEENSB_IJS8_SA_EEENS0_18inequality_wrapperIZN2at6native12_GLOBAL__N_124unique_dim_cuda_templateIN3c104HalfEEESt5tupleIJNSF_6TensorESM_SM_EERKSM_lbbbEUlllE0_EEPmJS9_EEE10hipError_tPvRmT3_T4_T5_T6_T7_T9_mT8_P12ihipStream_tbDpT10_ENKUlT_T0_E_clISt17integral_constantIbLb1EES1C_EEDaS17_S18_EUlS17_E_NS1_11comp_targetILNS1_3genE5ELNS1_11target_archE942ELNS1_3gpuE9ELNS1_3repE0EEENS1_30default_config_static_selectorELNS0_4arch9wavefront6targetE0EEEvT1_,@function
_ZN7rocprim17ROCPRIM_400000_NS6detail17trampoline_kernelINS0_14default_configENS1_25partition_config_selectorILNS1_17partition_subalgoE9EllbEEZZNS1_14partition_implILS5_9ELb0ES3_jPlS8_PNS0_10empty_typeENS0_5tupleIJS8_S9_EEENSB_IJS8_SA_EEENS0_18inequality_wrapperIZN2at6native12_GLOBAL__N_124unique_dim_cuda_templateIN3c104HalfEEESt5tupleIJNSF_6TensorESM_SM_EERKSM_lbbbEUlllE0_EEPmJS9_EEE10hipError_tPvRmT3_T4_T5_T6_T7_T9_mT8_P12ihipStream_tbDpT10_ENKUlT_T0_E_clISt17integral_constantIbLb1EES1C_EEDaS17_S18_EUlS17_E_NS1_11comp_targetILNS1_3genE5ELNS1_11target_archE942ELNS1_3gpuE9ELNS1_3repE0EEENS1_30default_config_static_selectorELNS0_4arch9wavefront6targetE0EEEvT1_: ; @_ZN7rocprim17ROCPRIM_400000_NS6detail17trampoline_kernelINS0_14default_configENS1_25partition_config_selectorILNS1_17partition_subalgoE9EllbEEZZNS1_14partition_implILS5_9ELb0ES3_jPlS8_PNS0_10empty_typeENS0_5tupleIJS8_S9_EEENSB_IJS8_SA_EEENS0_18inequality_wrapperIZN2at6native12_GLOBAL__N_124unique_dim_cuda_templateIN3c104HalfEEESt5tupleIJNSF_6TensorESM_SM_EERKSM_lbbbEUlllE0_EEPmJS9_EEE10hipError_tPvRmT3_T4_T5_T6_T7_T9_mT8_P12ihipStream_tbDpT10_ENKUlT_T0_E_clISt17integral_constantIbLb1EES1C_EEDaS17_S18_EUlS17_E_NS1_11comp_targetILNS1_3genE5ELNS1_11target_archE942ELNS1_3gpuE9ELNS1_3repE0EEENS1_30default_config_static_selectorELNS0_4arch9wavefront6targetE0EEEvT1_
; %bb.0:
	.section	.rodata,"a",@progbits
	.p2align	6, 0x0
	.amdhsa_kernel _ZN7rocprim17ROCPRIM_400000_NS6detail17trampoline_kernelINS0_14default_configENS1_25partition_config_selectorILNS1_17partition_subalgoE9EllbEEZZNS1_14partition_implILS5_9ELb0ES3_jPlS8_PNS0_10empty_typeENS0_5tupleIJS8_S9_EEENSB_IJS8_SA_EEENS0_18inequality_wrapperIZN2at6native12_GLOBAL__N_124unique_dim_cuda_templateIN3c104HalfEEESt5tupleIJNSF_6TensorESM_SM_EERKSM_lbbbEUlllE0_EEPmJS9_EEE10hipError_tPvRmT3_T4_T5_T6_T7_T9_mT8_P12ihipStream_tbDpT10_ENKUlT_T0_E_clISt17integral_constantIbLb1EES1C_EEDaS17_S18_EUlS17_E_NS1_11comp_targetILNS1_3genE5ELNS1_11target_archE942ELNS1_3gpuE9ELNS1_3repE0EEENS1_30default_config_static_selectorELNS0_4arch9wavefront6targetE0EEEvT1_
		.amdhsa_group_segment_fixed_size 0
		.amdhsa_private_segment_fixed_size 0
		.amdhsa_kernarg_size 136
		.amdhsa_user_sgpr_count 15
		.amdhsa_user_sgpr_dispatch_ptr 0
		.amdhsa_user_sgpr_queue_ptr 0
		.amdhsa_user_sgpr_kernarg_segment_ptr 1
		.amdhsa_user_sgpr_dispatch_id 0
		.amdhsa_user_sgpr_private_segment_size 0
		.amdhsa_wavefront_size32 1
		.amdhsa_uses_dynamic_stack 0
		.amdhsa_enable_private_segment 0
		.amdhsa_system_sgpr_workgroup_id_x 1
		.amdhsa_system_sgpr_workgroup_id_y 0
		.amdhsa_system_sgpr_workgroup_id_z 0
		.amdhsa_system_sgpr_workgroup_info 0
		.amdhsa_system_vgpr_workitem_id 0
		.amdhsa_next_free_vgpr 1
		.amdhsa_next_free_sgpr 1
		.amdhsa_reserve_vcc 0
		.amdhsa_float_round_mode_32 0
		.amdhsa_float_round_mode_16_64 0
		.amdhsa_float_denorm_mode_32 3
		.amdhsa_float_denorm_mode_16_64 3
		.amdhsa_dx10_clamp 1
		.amdhsa_ieee_mode 1
		.amdhsa_fp16_overflow 0
		.amdhsa_workgroup_processor_mode 1
		.amdhsa_memory_ordered 1
		.amdhsa_forward_progress 0
		.amdhsa_shared_vgpr_count 0
		.amdhsa_exception_fp_ieee_invalid_op 0
		.amdhsa_exception_fp_denorm_src 0
		.amdhsa_exception_fp_ieee_div_zero 0
		.amdhsa_exception_fp_ieee_overflow 0
		.amdhsa_exception_fp_ieee_underflow 0
		.amdhsa_exception_fp_ieee_inexact 0
		.amdhsa_exception_int_div_zero 0
	.end_amdhsa_kernel
	.section	.text._ZN7rocprim17ROCPRIM_400000_NS6detail17trampoline_kernelINS0_14default_configENS1_25partition_config_selectorILNS1_17partition_subalgoE9EllbEEZZNS1_14partition_implILS5_9ELb0ES3_jPlS8_PNS0_10empty_typeENS0_5tupleIJS8_S9_EEENSB_IJS8_SA_EEENS0_18inequality_wrapperIZN2at6native12_GLOBAL__N_124unique_dim_cuda_templateIN3c104HalfEEESt5tupleIJNSF_6TensorESM_SM_EERKSM_lbbbEUlllE0_EEPmJS9_EEE10hipError_tPvRmT3_T4_T5_T6_T7_T9_mT8_P12ihipStream_tbDpT10_ENKUlT_T0_E_clISt17integral_constantIbLb1EES1C_EEDaS17_S18_EUlS17_E_NS1_11comp_targetILNS1_3genE5ELNS1_11target_archE942ELNS1_3gpuE9ELNS1_3repE0EEENS1_30default_config_static_selectorELNS0_4arch9wavefront6targetE0EEEvT1_,"axG",@progbits,_ZN7rocprim17ROCPRIM_400000_NS6detail17trampoline_kernelINS0_14default_configENS1_25partition_config_selectorILNS1_17partition_subalgoE9EllbEEZZNS1_14partition_implILS5_9ELb0ES3_jPlS8_PNS0_10empty_typeENS0_5tupleIJS8_S9_EEENSB_IJS8_SA_EEENS0_18inequality_wrapperIZN2at6native12_GLOBAL__N_124unique_dim_cuda_templateIN3c104HalfEEESt5tupleIJNSF_6TensorESM_SM_EERKSM_lbbbEUlllE0_EEPmJS9_EEE10hipError_tPvRmT3_T4_T5_T6_T7_T9_mT8_P12ihipStream_tbDpT10_ENKUlT_T0_E_clISt17integral_constantIbLb1EES1C_EEDaS17_S18_EUlS17_E_NS1_11comp_targetILNS1_3genE5ELNS1_11target_archE942ELNS1_3gpuE9ELNS1_3repE0EEENS1_30default_config_static_selectorELNS0_4arch9wavefront6targetE0EEEvT1_,comdat
.Lfunc_end1336:
	.size	_ZN7rocprim17ROCPRIM_400000_NS6detail17trampoline_kernelINS0_14default_configENS1_25partition_config_selectorILNS1_17partition_subalgoE9EllbEEZZNS1_14partition_implILS5_9ELb0ES3_jPlS8_PNS0_10empty_typeENS0_5tupleIJS8_S9_EEENSB_IJS8_SA_EEENS0_18inequality_wrapperIZN2at6native12_GLOBAL__N_124unique_dim_cuda_templateIN3c104HalfEEESt5tupleIJNSF_6TensorESM_SM_EERKSM_lbbbEUlllE0_EEPmJS9_EEE10hipError_tPvRmT3_T4_T5_T6_T7_T9_mT8_P12ihipStream_tbDpT10_ENKUlT_T0_E_clISt17integral_constantIbLb1EES1C_EEDaS17_S18_EUlS17_E_NS1_11comp_targetILNS1_3genE5ELNS1_11target_archE942ELNS1_3gpuE9ELNS1_3repE0EEENS1_30default_config_static_selectorELNS0_4arch9wavefront6targetE0EEEvT1_, .Lfunc_end1336-_ZN7rocprim17ROCPRIM_400000_NS6detail17trampoline_kernelINS0_14default_configENS1_25partition_config_selectorILNS1_17partition_subalgoE9EllbEEZZNS1_14partition_implILS5_9ELb0ES3_jPlS8_PNS0_10empty_typeENS0_5tupleIJS8_S9_EEENSB_IJS8_SA_EEENS0_18inequality_wrapperIZN2at6native12_GLOBAL__N_124unique_dim_cuda_templateIN3c104HalfEEESt5tupleIJNSF_6TensorESM_SM_EERKSM_lbbbEUlllE0_EEPmJS9_EEE10hipError_tPvRmT3_T4_T5_T6_T7_T9_mT8_P12ihipStream_tbDpT10_ENKUlT_T0_E_clISt17integral_constantIbLb1EES1C_EEDaS17_S18_EUlS17_E_NS1_11comp_targetILNS1_3genE5ELNS1_11target_archE942ELNS1_3gpuE9ELNS1_3repE0EEENS1_30default_config_static_selectorELNS0_4arch9wavefront6targetE0EEEvT1_
                                        ; -- End function
	.section	.AMDGPU.csdata,"",@progbits
; Kernel info:
; codeLenInByte = 0
; NumSgprs: 0
; NumVgprs: 0
; ScratchSize: 0
; MemoryBound: 0
; FloatMode: 240
; IeeeMode: 1
; LDSByteSize: 0 bytes/workgroup (compile time only)
; SGPRBlocks: 0
; VGPRBlocks: 0
; NumSGPRsForWavesPerEU: 1
; NumVGPRsForWavesPerEU: 1
; Occupancy: 16
; WaveLimiterHint : 0
; COMPUTE_PGM_RSRC2:SCRATCH_EN: 0
; COMPUTE_PGM_RSRC2:USER_SGPR: 15
; COMPUTE_PGM_RSRC2:TRAP_HANDLER: 0
; COMPUTE_PGM_RSRC2:TGID_X_EN: 1
; COMPUTE_PGM_RSRC2:TGID_Y_EN: 0
; COMPUTE_PGM_RSRC2:TGID_Z_EN: 0
; COMPUTE_PGM_RSRC2:TIDIG_COMP_CNT: 0
	.section	.text._ZN7rocprim17ROCPRIM_400000_NS6detail17trampoline_kernelINS0_14default_configENS1_25partition_config_selectorILNS1_17partition_subalgoE9EllbEEZZNS1_14partition_implILS5_9ELb0ES3_jPlS8_PNS0_10empty_typeENS0_5tupleIJS8_S9_EEENSB_IJS8_SA_EEENS0_18inequality_wrapperIZN2at6native12_GLOBAL__N_124unique_dim_cuda_templateIN3c104HalfEEESt5tupleIJNSF_6TensorESM_SM_EERKSM_lbbbEUlllE0_EEPmJS9_EEE10hipError_tPvRmT3_T4_T5_T6_T7_T9_mT8_P12ihipStream_tbDpT10_ENKUlT_T0_E_clISt17integral_constantIbLb1EES1C_EEDaS17_S18_EUlS17_E_NS1_11comp_targetILNS1_3genE4ELNS1_11target_archE910ELNS1_3gpuE8ELNS1_3repE0EEENS1_30default_config_static_selectorELNS0_4arch9wavefront6targetE0EEEvT1_,"axG",@progbits,_ZN7rocprim17ROCPRIM_400000_NS6detail17trampoline_kernelINS0_14default_configENS1_25partition_config_selectorILNS1_17partition_subalgoE9EllbEEZZNS1_14partition_implILS5_9ELb0ES3_jPlS8_PNS0_10empty_typeENS0_5tupleIJS8_S9_EEENSB_IJS8_SA_EEENS0_18inequality_wrapperIZN2at6native12_GLOBAL__N_124unique_dim_cuda_templateIN3c104HalfEEESt5tupleIJNSF_6TensorESM_SM_EERKSM_lbbbEUlllE0_EEPmJS9_EEE10hipError_tPvRmT3_T4_T5_T6_T7_T9_mT8_P12ihipStream_tbDpT10_ENKUlT_T0_E_clISt17integral_constantIbLb1EES1C_EEDaS17_S18_EUlS17_E_NS1_11comp_targetILNS1_3genE4ELNS1_11target_archE910ELNS1_3gpuE8ELNS1_3repE0EEENS1_30default_config_static_selectorELNS0_4arch9wavefront6targetE0EEEvT1_,comdat
	.globl	_ZN7rocprim17ROCPRIM_400000_NS6detail17trampoline_kernelINS0_14default_configENS1_25partition_config_selectorILNS1_17partition_subalgoE9EllbEEZZNS1_14partition_implILS5_9ELb0ES3_jPlS8_PNS0_10empty_typeENS0_5tupleIJS8_S9_EEENSB_IJS8_SA_EEENS0_18inequality_wrapperIZN2at6native12_GLOBAL__N_124unique_dim_cuda_templateIN3c104HalfEEESt5tupleIJNSF_6TensorESM_SM_EERKSM_lbbbEUlllE0_EEPmJS9_EEE10hipError_tPvRmT3_T4_T5_T6_T7_T9_mT8_P12ihipStream_tbDpT10_ENKUlT_T0_E_clISt17integral_constantIbLb1EES1C_EEDaS17_S18_EUlS17_E_NS1_11comp_targetILNS1_3genE4ELNS1_11target_archE910ELNS1_3gpuE8ELNS1_3repE0EEENS1_30default_config_static_selectorELNS0_4arch9wavefront6targetE0EEEvT1_ ; -- Begin function _ZN7rocprim17ROCPRIM_400000_NS6detail17trampoline_kernelINS0_14default_configENS1_25partition_config_selectorILNS1_17partition_subalgoE9EllbEEZZNS1_14partition_implILS5_9ELb0ES3_jPlS8_PNS0_10empty_typeENS0_5tupleIJS8_S9_EEENSB_IJS8_SA_EEENS0_18inequality_wrapperIZN2at6native12_GLOBAL__N_124unique_dim_cuda_templateIN3c104HalfEEESt5tupleIJNSF_6TensorESM_SM_EERKSM_lbbbEUlllE0_EEPmJS9_EEE10hipError_tPvRmT3_T4_T5_T6_T7_T9_mT8_P12ihipStream_tbDpT10_ENKUlT_T0_E_clISt17integral_constantIbLb1EES1C_EEDaS17_S18_EUlS17_E_NS1_11comp_targetILNS1_3genE4ELNS1_11target_archE910ELNS1_3gpuE8ELNS1_3repE0EEENS1_30default_config_static_selectorELNS0_4arch9wavefront6targetE0EEEvT1_
	.p2align	8
	.type	_ZN7rocprim17ROCPRIM_400000_NS6detail17trampoline_kernelINS0_14default_configENS1_25partition_config_selectorILNS1_17partition_subalgoE9EllbEEZZNS1_14partition_implILS5_9ELb0ES3_jPlS8_PNS0_10empty_typeENS0_5tupleIJS8_S9_EEENSB_IJS8_SA_EEENS0_18inequality_wrapperIZN2at6native12_GLOBAL__N_124unique_dim_cuda_templateIN3c104HalfEEESt5tupleIJNSF_6TensorESM_SM_EERKSM_lbbbEUlllE0_EEPmJS9_EEE10hipError_tPvRmT3_T4_T5_T6_T7_T9_mT8_P12ihipStream_tbDpT10_ENKUlT_T0_E_clISt17integral_constantIbLb1EES1C_EEDaS17_S18_EUlS17_E_NS1_11comp_targetILNS1_3genE4ELNS1_11target_archE910ELNS1_3gpuE8ELNS1_3repE0EEENS1_30default_config_static_selectorELNS0_4arch9wavefront6targetE0EEEvT1_,@function
_ZN7rocprim17ROCPRIM_400000_NS6detail17trampoline_kernelINS0_14default_configENS1_25partition_config_selectorILNS1_17partition_subalgoE9EllbEEZZNS1_14partition_implILS5_9ELb0ES3_jPlS8_PNS0_10empty_typeENS0_5tupleIJS8_S9_EEENSB_IJS8_SA_EEENS0_18inequality_wrapperIZN2at6native12_GLOBAL__N_124unique_dim_cuda_templateIN3c104HalfEEESt5tupleIJNSF_6TensorESM_SM_EERKSM_lbbbEUlllE0_EEPmJS9_EEE10hipError_tPvRmT3_T4_T5_T6_T7_T9_mT8_P12ihipStream_tbDpT10_ENKUlT_T0_E_clISt17integral_constantIbLb1EES1C_EEDaS17_S18_EUlS17_E_NS1_11comp_targetILNS1_3genE4ELNS1_11target_archE910ELNS1_3gpuE8ELNS1_3repE0EEENS1_30default_config_static_selectorELNS0_4arch9wavefront6targetE0EEEvT1_: ; @_ZN7rocprim17ROCPRIM_400000_NS6detail17trampoline_kernelINS0_14default_configENS1_25partition_config_selectorILNS1_17partition_subalgoE9EllbEEZZNS1_14partition_implILS5_9ELb0ES3_jPlS8_PNS0_10empty_typeENS0_5tupleIJS8_S9_EEENSB_IJS8_SA_EEENS0_18inequality_wrapperIZN2at6native12_GLOBAL__N_124unique_dim_cuda_templateIN3c104HalfEEESt5tupleIJNSF_6TensorESM_SM_EERKSM_lbbbEUlllE0_EEPmJS9_EEE10hipError_tPvRmT3_T4_T5_T6_T7_T9_mT8_P12ihipStream_tbDpT10_ENKUlT_T0_E_clISt17integral_constantIbLb1EES1C_EEDaS17_S18_EUlS17_E_NS1_11comp_targetILNS1_3genE4ELNS1_11target_archE910ELNS1_3gpuE8ELNS1_3repE0EEENS1_30default_config_static_selectorELNS0_4arch9wavefront6targetE0EEEvT1_
; %bb.0:
	.section	.rodata,"a",@progbits
	.p2align	6, 0x0
	.amdhsa_kernel _ZN7rocprim17ROCPRIM_400000_NS6detail17trampoline_kernelINS0_14default_configENS1_25partition_config_selectorILNS1_17partition_subalgoE9EllbEEZZNS1_14partition_implILS5_9ELb0ES3_jPlS8_PNS0_10empty_typeENS0_5tupleIJS8_S9_EEENSB_IJS8_SA_EEENS0_18inequality_wrapperIZN2at6native12_GLOBAL__N_124unique_dim_cuda_templateIN3c104HalfEEESt5tupleIJNSF_6TensorESM_SM_EERKSM_lbbbEUlllE0_EEPmJS9_EEE10hipError_tPvRmT3_T4_T5_T6_T7_T9_mT8_P12ihipStream_tbDpT10_ENKUlT_T0_E_clISt17integral_constantIbLb1EES1C_EEDaS17_S18_EUlS17_E_NS1_11comp_targetILNS1_3genE4ELNS1_11target_archE910ELNS1_3gpuE8ELNS1_3repE0EEENS1_30default_config_static_selectorELNS0_4arch9wavefront6targetE0EEEvT1_
		.amdhsa_group_segment_fixed_size 0
		.amdhsa_private_segment_fixed_size 0
		.amdhsa_kernarg_size 136
		.amdhsa_user_sgpr_count 15
		.amdhsa_user_sgpr_dispatch_ptr 0
		.amdhsa_user_sgpr_queue_ptr 0
		.amdhsa_user_sgpr_kernarg_segment_ptr 1
		.amdhsa_user_sgpr_dispatch_id 0
		.amdhsa_user_sgpr_private_segment_size 0
		.amdhsa_wavefront_size32 1
		.amdhsa_uses_dynamic_stack 0
		.amdhsa_enable_private_segment 0
		.amdhsa_system_sgpr_workgroup_id_x 1
		.amdhsa_system_sgpr_workgroup_id_y 0
		.amdhsa_system_sgpr_workgroup_id_z 0
		.amdhsa_system_sgpr_workgroup_info 0
		.amdhsa_system_vgpr_workitem_id 0
		.amdhsa_next_free_vgpr 1
		.amdhsa_next_free_sgpr 1
		.amdhsa_reserve_vcc 0
		.amdhsa_float_round_mode_32 0
		.amdhsa_float_round_mode_16_64 0
		.amdhsa_float_denorm_mode_32 3
		.amdhsa_float_denorm_mode_16_64 3
		.amdhsa_dx10_clamp 1
		.amdhsa_ieee_mode 1
		.amdhsa_fp16_overflow 0
		.amdhsa_workgroup_processor_mode 1
		.amdhsa_memory_ordered 1
		.amdhsa_forward_progress 0
		.amdhsa_shared_vgpr_count 0
		.amdhsa_exception_fp_ieee_invalid_op 0
		.amdhsa_exception_fp_denorm_src 0
		.amdhsa_exception_fp_ieee_div_zero 0
		.amdhsa_exception_fp_ieee_overflow 0
		.amdhsa_exception_fp_ieee_underflow 0
		.amdhsa_exception_fp_ieee_inexact 0
		.amdhsa_exception_int_div_zero 0
	.end_amdhsa_kernel
	.section	.text._ZN7rocprim17ROCPRIM_400000_NS6detail17trampoline_kernelINS0_14default_configENS1_25partition_config_selectorILNS1_17partition_subalgoE9EllbEEZZNS1_14partition_implILS5_9ELb0ES3_jPlS8_PNS0_10empty_typeENS0_5tupleIJS8_S9_EEENSB_IJS8_SA_EEENS0_18inequality_wrapperIZN2at6native12_GLOBAL__N_124unique_dim_cuda_templateIN3c104HalfEEESt5tupleIJNSF_6TensorESM_SM_EERKSM_lbbbEUlllE0_EEPmJS9_EEE10hipError_tPvRmT3_T4_T5_T6_T7_T9_mT8_P12ihipStream_tbDpT10_ENKUlT_T0_E_clISt17integral_constantIbLb1EES1C_EEDaS17_S18_EUlS17_E_NS1_11comp_targetILNS1_3genE4ELNS1_11target_archE910ELNS1_3gpuE8ELNS1_3repE0EEENS1_30default_config_static_selectorELNS0_4arch9wavefront6targetE0EEEvT1_,"axG",@progbits,_ZN7rocprim17ROCPRIM_400000_NS6detail17trampoline_kernelINS0_14default_configENS1_25partition_config_selectorILNS1_17partition_subalgoE9EllbEEZZNS1_14partition_implILS5_9ELb0ES3_jPlS8_PNS0_10empty_typeENS0_5tupleIJS8_S9_EEENSB_IJS8_SA_EEENS0_18inequality_wrapperIZN2at6native12_GLOBAL__N_124unique_dim_cuda_templateIN3c104HalfEEESt5tupleIJNSF_6TensorESM_SM_EERKSM_lbbbEUlllE0_EEPmJS9_EEE10hipError_tPvRmT3_T4_T5_T6_T7_T9_mT8_P12ihipStream_tbDpT10_ENKUlT_T0_E_clISt17integral_constantIbLb1EES1C_EEDaS17_S18_EUlS17_E_NS1_11comp_targetILNS1_3genE4ELNS1_11target_archE910ELNS1_3gpuE8ELNS1_3repE0EEENS1_30default_config_static_selectorELNS0_4arch9wavefront6targetE0EEEvT1_,comdat
.Lfunc_end1337:
	.size	_ZN7rocprim17ROCPRIM_400000_NS6detail17trampoline_kernelINS0_14default_configENS1_25partition_config_selectorILNS1_17partition_subalgoE9EllbEEZZNS1_14partition_implILS5_9ELb0ES3_jPlS8_PNS0_10empty_typeENS0_5tupleIJS8_S9_EEENSB_IJS8_SA_EEENS0_18inequality_wrapperIZN2at6native12_GLOBAL__N_124unique_dim_cuda_templateIN3c104HalfEEESt5tupleIJNSF_6TensorESM_SM_EERKSM_lbbbEUlllE0_EEPmJS9_EEE10hipError_tPvRmT3_T4_T5_T6_T7_T9_mT8_P12ihipStream_tbDpT10_ENKUlT_T0_E_clISt17integral_constantIbLb1EES1C_EEDaS17_S18_EUlS17_E_NS1_11comp_targetILNS1_3genE4ELNS1_11target_archE910ELNS1_3gpuE8ELNS1_3repE0EEENS1_30default_config_static_selectorELNS0_4arch9wavefront6targetE0EEEvT1_, .Lfunc_end1337-_ZN7rocprim17ROCPRIM_400000_NS6detail17trampoline_kernelINS0_14default_configENS1_25partition_config_selectorILNS1_17partition_subalgoE9EllbEEZZNS1_14partition_implILS5_9ELb0ES3_jPlS8_PNS0_10empty_typeENS0_5tupleIJS8_S9_EEENSB_IJS8_SA_EEENS0_18inequality_wrapperIZN2at6native12_GLOBAL__N_124unique_dim_cuda_templateIN3c104HalfEEESt5tupleIJNSF_6TensorESM_SM_EERKSM_lbbbEUlllE0_EEPmJS9_EEE10hipError_tPvRmT3_T4_T5_T6_T7_T9_mT8_P12ihipStream_tbDpT10_ENKUlT_T0_E_clISt17integral_constantIbLb1EES1C_EEDaS17_S18_EUlS17_E_NS1_11comp_targetILNS1_3genE4ELNS1_11target_archE910ELNS1_3gpuE8ELNS1_3repE0EEENS1_30default_config_static_selectorELNS0_4arch9wavefront6targetE0EEEvT1_
                                        ; -- End function
	.section	.AMDGPU.csdata,"",@progbits
; Kernel info:
; codeLenInByte = 0
; NumSgprs: 0
; NumVgprs: 0
; ScratchSize: 0
; MemoryBound: 0
; FloatMode: 240
; IeeeMode: 1
; LDSByteSize: 0 bytes/workgroup (compile time only)
; SGPRBlocks: 0
; VGPRBlocks: 0
; NumSGPRsForWavesPerEU: 1
; NumVGPRsForWavesPerEU: 1
; Occupancy: 16
; WaveLimiterHint : 0
; COMPUTE_PGM_RSRC2:SCRATCH_EN: 0
; COMPUTE_PGM_RSRC2:USER_SGPR: 15
; COMPUTE_PGM_RSRC2:TRAP_HANDLER: 0
; COMPUTE_PGM_RSRC2:TGID_X_EN: 1
; COMPUTE_PGM_RSRC2:TGID_Y_EN: 0
; COMPUTE_PGM_RSRC2:TGID_Z_EN: 0
; COMPUTE_PGM_RSRC2:TIDIG_COMP_CNT: 0
	.section	.text._ZN7rocprim17ROCPRIM_400000_NS6detail17trampoline_kernelINS0_14default_configENS1_25partition_config_selectorILNS1_17partition_subalgoE9EllbEEZZNS1_14partition_implILS5_9ELb0ES3_jPlS8_PNS0_10empty_typeENS0_5tupleIJS8_S9_EEENSB_IJS8_SA_EEENS0_18inequality_wrapperIZN2at6native12_GLOBAL__N_124unique_dim_cuda_templateIN3c104HalfEEESt5tupleIJNSF_6TensorESM_SM_EERKSM_lbbbEUlllE0_EEPmJS9_EEE10hipError_tPvRmT3_T4_T5_T6_T7_T9_mT8_P12ihipStream_tbDpT10_ENKUlT_T0_E_clISt17integral_constantIbLb1EES1C_EEDaS17_S18_EUlS17_E_NS1_11comp_targetILNS1_3genE3ELNS1_11target_archE908ELNS1_3gpuE7ELNS1_3repE0EEENS1_30default_config_static_selectorELNS0_4arch9wavefront6targetE0EEEvT1_,"axG",@progbits,_ZN7rocprim17ROCPRIM_400000_NS6detail17trampoline_kernelINS0_14default_configENS1_25partition_config_selectorILNS1_17partition_subalgoE9EllbEEZZNS1_14partition_implILS5_9ELb0ES3_jPlS8_PNS0_10empty_typeENS0_5tupleIJS8_S9_EEENSB_IJS8_SA_EEENS0_18inequality_wrapperIZN2at6native12_GLOBAL__N_124unique_dim_cuda_templateIN3c104HalfEEESt5tupleIJNSF_6TensorESM_SM_EERKSM_lbbbEUlllE0_EEPmJS9_EEE10hipError_tPvRmT3_T4_T5_T6_T7_T9_mT8_P12ihipStream_tbDpT10_ENKUlT_T0_E_clISt17integral_constantIbLb1EES1C_EEDaS17_S18_EUlS17_E_NS1_11comp_targetILNS1_3genE3ELNS1_11target_archE908ELNS1_3gpuE7ELNS1_3repE0EEENS1_30default_config_static_selectorELNS0_4arch9wavefront6targetE0EEEvT1_,comdat
	.globl	_ZN7rocprim17ROCPRIM_400000_NS6detail17trampoline_kernelINS0_14default_configENS1_25partition_config_selectorILNS1_17partition_subalgoE9EllbEEZZNS1_14partition_implILS5_9ELb0ES3_jPlS8_PNS0_10empty_typeENS0_5tupleIJS8_S9_EEENSB_IJS8_SA_EEENS0_18inequality_wrapperIZN2at6native12_GLOBAL__N_124unique_dim_cuda_templateIN3c104HalfEEESt5tupleIJNSF_6TensorESM_SM_EERKSM_lbbbEUlllE0_EEPmJS9_EEE10hipError_tPvRmT3_T4_T5_T6_T7_T9_mT8_P12ihipStream_tbDpT10_ENKUlT_T0_E_clISt17integral_constantIbLb1EES1C_EEDaS17_S18_EUlS17_E_NS1_11comp_targetILNS1_3genE3ELNS1_11target_archE908ELNS1_3gpuE7ELNS1_3repE0EEENS1_30default_config_static_selectorELNS0_4arch9wavefront6targetE0EEEvT1_ ; -- Begin function _ZN7rocprim17ROCPRIM_400000_NS6detail17trampoline_kernelINS0_14default_configENS1_25partition_config_selectorILNS1_17partition_subalgoE9EllbEEZZNS1_14partition_implILS5_9ELb0ES3_jPlS8_PNS0_10empty_typeENS0_5tupleIJS8_S9_EEENSB_IJS8_SA_EEENS0_18inequality_wrapperIZN2at6native12_GLOBAL__N_124unique_dim_cuda_templateIN3c104HalfEEESt5tupleIJNSF_6TensorESM_SM_EERKSM_lbbbEUlllE0_EEPmJS9_EEE10hipError_tPvRmT3_T4_T5_T6_T7_T9_mT8_P12ihipStream_tbDpT10_ENKUlT_T0_E_clISt17integral_constantIbLb1EES1C_EEDaS17_S18_EUlS17_E_NS1_11comp_targetILNS1_3genE3ELNS1_11target_archE908ELNS1_3gpuE7ELNS1_3repE0EEENS1_30default_config_static_selectorELNS0_4arch9wavefront6targetE0EEEvT1_
	.p2align	8
	.type	_ZN7rocprim17ROCPRIM_400000_NS6detail17trampoline_kernelINS0_14default_configENS1_25partition_config_selectorILNS1_17partition_subalgoE9EllbEEZZNS1_14partition_implILS5_9ELb0ES3_jPlS8_PNS0_10empty_typeENS0_5tupleIJS8_S9_EEENSB_IJS8_SA_EEENS0_18inequality_wrapperIZN2at6native12_GLOBAL__N_124unique_dim_cuda_templateIN3c104HalfEEESt5tupleIJNSF_6TensorESM_SM_EERKSM_lbbbEUlllE0_EEPmJS9_EEE10hipError_tPvRmT3_T4_T5_T6_T7_T9_mT8_P12ihipStream_tbDpT10_ENKUlT_T0_E_clISt17integral_constantIbLb1EES1C_EEDaS17_S18_EUlS17_E_NS1_11comp_targetILNS1_3genE3ELNS1_11target_archE908ELNS1_3gpuE7ELNS1_3repE0EEENS1_30default_config_static_selectorELNS0_4arch9wavefront6targetE0EEEvT1_,@function
_ZN7rocprim17ROCPRIM_400000_NS6detail17trampoline_kernelINS0_14default_configENS1_25partition_config_selectorILNS1_17partition_subalgoE9EllbEEZZNS1_14partition_implILS5_9ELb0ES3_jPlS8_PNS0_10empty_typeENS0_5tupleIJS8_S9_EEENSB_IJS8_SA_EEENS0_18inequality_wrapperIZN2at6native12_GLOBAL__N_124unique_dim_cuda_templateIN3c104HalfEEESt5tupleIJNSF_6TensorESM_SM_EERKSM_lbbbEUlllE0_EEPmJS9_EEE10hipError_tPvRmT3_T4_T5_T6_T7_T9_mT8_P12ihipStream_tbDpT10_ENKUlT_T0_E_clISt17integral_constantIbLb1EES1C_EEDaS17_S18_EUlS17_E_NS1_11comp_targetILNS1_3genE3ELNS1_11target_archE908ELNS1_3gpuE7ELNS1_3repE0EEENS1_30default_config_static_selectorELNS0_4arch9wavefront6targetE0EEEvT1_: ; @_ZN7rocprim17ROCPRIM_400000_NS6detail17trampoline_kernelINS0_14default_configENS1_25partition_config_selectorILNS1_17partition_subalgoE9EllbEEZZNS1_14partition_implILS5_9ELb0ES3_jPlS8_PNS0_10empty_typeENS0_5tupleIJS8_S9_EEENSB_IJS8_SA_EEENS0_18inequality_wrapperIZN2at6native12_GLOBAL__N_124unique_dim_cuda_templateIN3c104HalfEEESt5tupleIJNSF_6TensorESM_SM_EERKSM_lbbbEUlllE0_EEPmJS9_EEE10hipError_tPvRmT3_T4_T5_T6_T7_T9_mT8_P12ihipStream_tbDpT10_ENKUlT_T0_E_clISt17integral_constantIbLb1EES1C_EEDaS17_S18_EUlS17_E_NS1_11comp_targetILNS1_3genE3ELNS1_11target_archE908ELNS1_3gpuE7ELNS1_3repE0EEENS1_30default_config_static_selectorELNS0_4arch9wavefront6targetE0EEEvT1_
; %bb.0:
	.section	.rodata,"a",@progbits
	.p2align	6, 0x0
	.amdhsa_kernel _ZN7rocprim17ROCPRIM_400000_NS6detail17trampoline_kernelINS0_14default_configENS1_25partition_config_selectorILNS1_17partition_subalgoE9EllbEEZZNS1_14partition_implILS5_9ELb0ES3_jPlS8_PNS0_10empty_typeENS0_5tupleIJS8_S9_EEENSB_IJS8_SA_EEENS0_18inequality_wrapperIZN2at6native12_GLOBAL__N_124unique_dim_cuda_templateIN3c104HalfEEESt5tupleIJNSF_6TensorESM_SM_EERKSM_lbbbEUlllE0_EEPmJS9_EEE10hipError_tPvRmT3_T4_T5_T6_T7_T9_mT8_P12ihipStream_tbDpT10_ENKUlT_T0_E_clISt17integral_constantIbLb1EES1C_EEDaS17_S18_EUlS17_E_NS1_11comp_targetILNS1_3genE3ELNS1_11target_archE908ELNS1_3gpuE7ELNS1_3repE0EEENS1_30default_config_static_selectorELNS0_4arch9wavefront6targetE0EEEvT1_
		.amdhsa_group_segment_fixed_size 0
		.amdhsa_private_segment_fixed_size 0
		.amdhsa_kernarg_size 136
		.amdhsa_user_sgpr_count 15
		.amdhsa_user_sgpr_dispatch_ptr 0
		.amdhsa_user_sgpr_queue_ptr 0
		.amdhsa_user_sgpr_kernarg_segment_ptr 1
		.amdhsa_user_sgpr_dispatch_id 0
		.amdhsa_user_sgpr_private_segment_size 0
		.amdhsa_wavefront_size32 1
		.amdhsa_uses_dynamic_stack 0
		.amdhsa_enable_private_segment 0
		.amdhsa_system_sgpr_workgroup_id_x 1
		.amdhsa_system_sgpr_workgroup_id_y 0
		.amdhsa_system_sgpr_workgroup_id_z 0
		.amdhsa_system_sgpr_workgroup_info 0
		.amdhsa_system_vgpr_workitem_id 0
		.amdhsa_next_free_vgpr 1
		.amdhsa_next_free_sgpr 1
		.amdhsa_reserve_vcc 0
		.amdhsa_float_round_mode_32 0
		.amdhsa_float_round_mode_16_64 0
		.amdhsa_float_denorm_mode_32 3
		.amdhsa_float_denorm_mode_16_64 3
		.amdhsa_dx10_clamp 1
		.amdhsa_ieee_mode 1
		.amdhsa_fp16_overflow 0
		.amdhsa_workgroup_processor_mode 1
		.amdhsa_memory_ordered 1
		.amdhsa_forward_progress 0
		.amdhsa_shared_vgpr_count 0
		.amdhsa_exception_fp_ieee_invalid_op 0
		.amdhsa_exception_fp_denorm_src 0
		.amdhsa_exception_fp_ieee_div_zero 0
		.amdhsa_exception_fp_ieee_overflow 0
		.amdhsa_exception_fp_ieee_underflow 0
		.amdhsa_exception_fp_ieee_inexact 0
		.amdhsa_exception_int_div_zero 0
	.end_amdhsa_kernel
	.section	.text._ZN7rocprim17ROCPRIM_400000_NS6detail17trampoline_kernelINS0_14default_configENS1_25partition_config_selectorILNS1_17partition_subalgoE9EllbEEZZNS1_14partition_implILS5_9ELb0ES3_jPlS8_PNS0_10empty_typeENS0_5tupleIJS8_S9_EEENSB_IJS8_SA_EEENS0_18inequality_wrapperIZN2at6native12_GLOBAL__N_124unique_dim_cuda_templateIN3c104HalfEEESt5tupleIJNSF_6TensorESM_SM_EERKSM_lbbbEUlllE0_EEPmJS9_EEE10hipError_tPvRmT3_T4_T5_T6_T7_T9_mT8_P12ihipStream_tbDpT10_ENKUlT_T0_E_clISt17integral_constantIbLb1EES1C_EEDaS17_S18_EUlS17_E_NS1_11comp_targetILNS1_3genE3ELNS1_11target_archE908ELNS1_3gpuE7ELNS1_3repE0EEENS1_30default_config_static_selectorELNS0_4arch9wavefront6targetE0EEEvT1_,"axG",@progbits,_ZN7rocprim17ROCPRIM_400000_NS6detail17trampoline_kernelINS0_14default_configENS1_25partition_config_selectorILNS1_17partition_subalgoE9EllbEEZZNS1_14partition_implILS5_9ELb0ES3_jPlS8_PNS0_10empty_typeENS0_5tupleIJS8_S9_EEENSB_IJS8_SA_EEENS0_18inequality_wrapperIZN2at6native12_GLOBAL__N_124unique_dim_cuda_templateIN3c104HalfEEESt5tupleIJNSF_6TensorESM_SM_EERKSM_lbbbEUlllE0_EEPmJS9_EEE10hipError_tPvRmT3_T4_T5_T6_T7_T9_mT8_P12ihipStream_tbDpT10_ENKUlT_T0_E_clISt17integral_constantIbLb1EES1C_EEDaS17_S18_EUlS17_E_NS1_11comp_targetILNS1_3genE3ELNS1_11target_archE908ELNS1_3gpuE7ELNS1_3repE0EEENS1_30default_config_static_selectorELNS0_4arch9wavefront6targetE0EEEvT1_,comdat
.Lfunc_end1338:
	.size	_ZN7rocprim17ROCPRIM_400000_NS6detail17trampoline_kernelINS0_14default_configENS1_25partition_config_selectorILNS1_17partition_subalgoE9EllbEEZZNS1_14partition_implILS5_9ELb0ES3_jPlS8_PNS0_10empty_typeENS0_5tupleIJS8_S9_EEENSB_IJS8_SA_EEENS0_18inequality_wrapperIZN2at6native12_GLOBAL__N_124unique_dim_cuda_templateIN3c104HalfEEESt5tupleIJNSF_6TensorESM_SM_EERKSM_lbbbEUlllE0_EEPmJS9_EEE10hipError_tPvRmT3_T4_T5_T6_T7_T9_mT8_P12ihipStream_tbDpT10_ENKUlT_T0_E_clISt17integral_constantIbLb1EES1C_EEDaS17_S18_EUlS17_E_NS1_11comp_targetILNS1_3genE3ELNS1_11target_archE908ELNS1_3gpuE7ELNS1_3repE0EEENS1_30default_config_static_selectorELNS0_4arch9wavefront6targetE0EEEvT1_, .Lfunc_end1338-_ZN7rocprim17ROCPRIM_400000_NS6detail17trampoline_kernelINS0_14default_configENS1_25partition_config_selectorILNS1_17partition_subalgoE9EllbEEZZNS1_14partition_implILS5_9ELb0ES3_jPlS8_PNS0_10empty_typeENS0_5tupleIJS8_S9_EEENSB_IJS8_SA_EEENS0_18inequality_wrapperIZN2at6native12_GLOBAL__N_124unique_dim_cuda_templateIN3c104HalfEEESt5tupleIJNSF_6TensorESM_SM_EERKSM_lbbbEUlllE0_EEPmJS9_EEE10hipError_tPvRmT3_T4_T5_T6_T7_T9_mT8_P12ihipStream_tbDpT10_ENKUlT_T0_E_clISt17integral_constantIbLb1EES1C_EEDaS17_S18_EUlS17_E_NS1_11comp_targetILNS1_3genE3ELNS1_11target_archE908ELNS1_3gpuE7ELNS1_3repE0EEENS1_30default_config_static_selectorELNS0_4arch9wavefront6targetE0EEEvT1_
                                        ; -- End function
	.section	.AMDGPU.csdata,"",@progbits
; Kernel info:
; codeLenInByte = 0
; NumSgprs: 0
; NumVgprs: 0
; ScratchSize: 0
; MemoryBound: 0
; FloatMode: 240
; IeeeMode: 1
; LDSByteSize: 0 bytes/workgroup (compile time only)
; SGPRBlocks: 0
; VGPRBlocks: 0
; NumSGPRsForWavesPerEU: 1
; NumVGPRsForWavesPerEU: 1
; Occupancy: 16
; WaveLimiterHint : 0
; COMPUTE_PGM_RSRC2:SCRATCH_EN: 0
; COMPUTE_PGM_RSRC2:USER_SGPR: 15
; COMPUTE_PGM_RSRC2:TRAP_HANDLER: 0
; COMPUTE_PGM_RSRC2:TGID_X_EN: 1
; COMPUTE_PGM_RSRC2:TGID_Y_EN: 0
; COMPUTE_PGM_RSRC2:TGID_Z_EN: 0
; COMPUTE_PGM_RSRC2:TIDIG_COMP_CNT: 0
	.section	.text._ZN7rocprim17ROCPRIM_400000_NS6detail17trampoline_kernelINS0_14default_configENS1_25partition_config_selectorILNS1_17partition_subalgoE9EllbEEZZNS1_14partition_implILS5_9ELb0ES3_jPlS8_PNS0_10empty_typeENS0_5tupleIJS8_S9_EEENSB_IJS8_SA_EEENS0_18inequality_wrapperIZN2at6native12_GLOBAL__N_124unique_dim_cuda_templateIN3c104HalfEEESt5tupleIJNSF_6TensorESM_SM_EERKSM_lbbbEUlllE0_EEPmJS9_EEE10hipError_tPvRmT3_T4_T5_T6_T7_T9_mT8_P12ihipStream_tbDpT10_ENKUlT_T0_E_clISt17integral_constantIbLb1EES1C_EEDaS17_S18_EUlS17_E_NS1_11comp_targetILNS1_3genE2ELNS1_11target_archE906ELNS1_3gpuE6ELNS1_3repE0EEENS1_30default_config_static_selectorELNS0_4arch9wavefront6targetE0EEEvT1_,"axG",@progbits,_ZN7rocprim17ROCPRIM_400000_NS6detail17trampoline_kernelINS0_14default_configENS1_25partition_config_selectorILNS1_17partition_subalgoE9EllbEEZZNS1_14partition_implILS5_9ELb0ES3_jPlS8_PNS0_10empty_typeENS0_5tupleIJS8_S9_EEENSB_IJS8_SA_EEENS0_18inequality_wrapperIZN2at6native12_GLOBAL__N_124unique_dim_cuda_templateIN3c104HalfEEESt5tupleIJNSF_6TensorESM_SM_EERKSM_lbbbEUlllE0_EEPmJS9_EEE10hipError_tPvRmT3_T4_T5_T6_T7_T9_mT8_P12ihipStream_tbDpT10_ENKUlT_T0_E_clISt17integral_constantIbLb1EES1C_EEDaS17_S18_EUlS17_E_NS1_11comp_targetILNS1_3genE2ELNS1_11target_archE906ELNS1_3gpuE6ELNS1_3repE0EEENS1_30default_config_static_selectorELNS0_4arch9wavefront6targetE0EEEvT1_,comdat
	.globl	_ZN7rocprim17ROCPRIM_400000_NS6detail17trampoline_kernelINS0_14default_configENS1_25partition_config_selectorILNS1_17partition_subalgoE9EllbEEZZNS1_14partition_implILS5_9ELb0ES3_jPlS8_PNS0_10empty_typeENS0_5tupleIJS8_S9_EEENSB_IJS8_SA_EEENS0_18inequality_wrapperIZN2at6native12_GLOBAL__N_124unique_dim_cuda_templateIN3c104HalfEEESt5tupleIJNSF_6TensorESM_SM_EERKSM_lbbbEUlllE0_EEPmJS9_EEE10hipError_tPvRmT3_T4_T5_T6_T7_T9_mT8_P12ihipStream_tbDpT10_ENKUlT_T0_E_clISt17integral_constantIbLb1EES1C_EEDaS17_S18_EUlS17_E_NS1_11comp_targetILNS1_3genE2ELNS1_11target_archE906ELNS1_3gpuE6ELNS1_3repE0EEENS1_30default_config_static_selectorELNS0_4arch9wavefront6targetE0EEEvT1_ ; -- Begin function _ZN7rocprim17ROCPRIM_400000_NS6detail17trampoline_kernelINS0_14default_configENS1_25partition_config_selectorILNS1_17partition_subalgoE9EllbEEZZNS1_14partition_implILS5_9ELb0ES3_jPlS8_PNS0_10empty_typeENS0_5tupleIJS8_S9_EEENSB_IJS8_SA_EEENS0_18inequality_wrapperIZN2at6native12_GLOBAL__N_124unique_dim_cuda_templateIN3c104HalfEEESt5tupleIJNSF_6TensorESM_SM_EERKSM_lbbbEUlllE0_EEPmJS9_EEE10hipError_tPvRmT3_T4_T5_T6_T7_T9_mT8_P12ihipStream_tbDpT10_ENKUlT_T0_E_clISt17integral_constantIbLb1EES1C_EEDaS17_S18_EUlS17_E_NS1_11comp_targetILNS1_3genE2ELNS1_11target_archE906ELNS1_3gpuE6ELNS1_3repE0EEENS1_30default_config_static_selectorELNS0_4arch9wavefront6targetE0EEEvT1_
	.p2align	8
	.type	_ZN7rocprim17ROCPRIM_400000_NS6detail17trampoline_kernelINS0_14default_configENS1_25partition_config_selectorILNS1_17partition_subalgoE9EllbEEZZNS1_14partition_implILS5_9ELb0ES3_jPlS8_PNS0_10empty_typeENS0_5tupleIJS8_S9_EEENSB_IJS8_SA_EEENS0_18inequality_wrapperIZN2at6native12_GLOBAL__N_124unique_dim_cuda_templateIN3c104HalfEEESt5tupleIJNSF_6TensorESM_SM_EERKSM_lbbbEUlllE0_EEPmJS9_EEE10hipError_tPvRmT3_T4_T5_T6_T7_T9_mT8_P12ihipStream_tbDpT10_ENKUlT_T0_E_clISt17integral_constantIbLb1EES1C_EEDaS17_S18_EUlS17_E_NS1_11comp_targetILNS1_3genE2ELNS1_11target_archE906ELNS1_3gpuE6ELNS1_3repE0EEENS1_30default_config_static_selectorELNS0_4arch9wavefront6targetE0EEEvT1_,@function
_ZN7rocprim17ROCPRIM_400000_NS6detail17trampoline_kernelINS0_14default_configENS1_25partition_config_selectorILNS1_17partition_subalgoE9EllbEEZZNS1_14partition_implILS5_9ELb0ES3_jPlS8_PNS0_10empty_typeENS0_5tupleIJS8_S9_EEENSB_IJS8_SA_EEENS0_18inequality_wrapperIZN2at6native12_GLOBAL__N_124unique_dim_cuda_templateIN3c104HalfEEESt5tupleIJNSF_6TensorESM_SM_EERKSM_lbbbEUlllE0_EEPmJS9_EEE10hipError_tPvRmT3_T4_T5_T6_T7_T9_mT8_P12ihipStream_tbDpT10_ENKUlT_T0_E_clISt17integral_constantIbLb1EES1C_EEDaS17_S18_EUlS17_E_NS1_11comp_targetILNS1_3genE2ELNS1_11target_archE906ELNS1_3gpuE6ELNS1_3repE0EEENS1_30default_config_static_selectorELNS0_4arch9wavefront6targetE0EEEvT1_: ; @_ZN7rocprim17ROCPRIM_400000_NS6detail17trampoline_kernelINS0_14default_configENS1_25partition_config_selectorILNS1_17partition_subalgoE9EllbEEZZNS1_14partition_implILS5_9ELb0ES3_jPlS8_PNS0_10empty_typeENS0_5tupleIJS8_S9_EEENSB_IJS8_SA_EEENS0_18inequality_wrapperIZN2at6native12_GLOBAL__N_124unique_dim_cuda_templateIN3c104HalfEEESt5tupleIJNSF_6TensorESM_SM_EERKSM_lbbbEUlllE0_EEPmJS9_EEE10hipError_tPvRmT3_T4_T5_T6_T7_T9_mT8_P12ihipStream_tbDpT10_ENKUlT_T0_E_clISt17integral_constantIbLb1EES1C_EEDaS17_S18_EUlS17_E_NS1_11comp_targetILNS1_3genE2ELNS1_11target_archE906ELNS1_3gpuE6ELNS1_3repE0EEENS1_30default_config_static_selectorELNS0_4arch9wavefront6targetE0EEEvT1_
; %bb.0:
	.section	.rodata,"a",@progbits
	.p2align	6, 0x0
	.amdhsa_kernel _ZN7rocprim17ROCPRIM_400000_NS6detail17trampoline_kernelINS0_14default_configENS1_25partition_config_selectorILNS1_17partition_subalgoE9EllbEEZZNS1_14partition_implILS5_9ELb0ES3_jPlS8_PNS0_10empty_typeENS0_5tupleIJS8_S9_EEENSB_IJS8_SA_EEENS0_18inequality_wrapperIZN2at6native12_GLOBAL__N_124unique_dim_cuda_templateIN3c104HalfEEESt5tupleIJNSF_6TensorESM_SM_EERKSM_lbbbEUlllE0_EEPmJS9_EEE10hipError_tPvRmT3_T4_T5_T6_T7_T9_mT8_P12ihipStream_tbDpT10_ENKUlT_T0_E_clISt17integral_constantIbLb1EES1C_EEDaS17_S18_EUlS17_E_NS1_11comp_targetILNS1_3genE2ELNS1_11target_archE906ELNS1_3gpuE6ELNS1_3repE0EEENS1_30default_config_static_selectorELNS0_4arch9wavefront6targetE0EEEvT1_
		.amdhsa_group_segment_fixed_size 0
		.amdhsa_private_segment_fixed_size 0
		.amdhsa_kernarg_size 136
		.amdhsa_user_sgpr_count 15
		.amdhsa_user_sgpr_dispatch_ptr 0
		.amdhsa_user_sgpr_queue_ptr 0
		.amdhsa_user_sgpr_kernarg_segment_ptr 1
		.amdhsa_user_sgpr_dispatch_id 0
		.amdhsa_user_sgpr_private_segment_size 0
		.amdhsa_wavefront_size32 1
		.amdhsa_uses_dynamic_stack 0
		.amdhsa_enable_private_segment 0
		.amdhsa_system_sgpr_workgroup_id_x 1
		.amdhsa_system_sgpr_workgroup_id_y 0
		.amdhsa_system_sgpr_workgroup_id_z 0
		.amdhsa_system_sgpr_workgroup_info 0
		.amdhsa_system_vgpr_workitem_id 0
		.amdhsa_next_free_vgpr 1
		.amdhsa_next_free_sgpr 1
		.amdhsa_reserve_vcc 0
		.amdhsa_float_round_mode_32 0
		.amdhsa_float_round_mode_16_64 0
		.amdhsa_float_denorm_mode_32 3
		.amdhsa_float_denorm_mode_16_64 3
		.amdhsa_dx10_clamp 1
		.amdhsa_ieee_mode 1
		.amdhsa_fp16_overflow 0
		.amdhsa_workgroup_processor_mode 1
		.amdhsa_memory_ordered 1
		.amdhsa_forward_progress 0
		.amdhsa_shared_vgpr_count 0
		.amdhsa_exception_fp_ieee_invalid_op 0
		.amdhsa_exception_fp_denorm_src 0
		.amdhsa_exception_fp_ieee_div_zero 0
		.amdhsa_exception_fp_ieee_overflow 0
		.amdhsa_exception_fp_ieee_underflow 0
		.amdhsa_exception_fp_ieee_inexact 0
		.amdhsa_exception_int_div_zero 0
	.end_amdhsa_kernel
	.section	.text._ZN7rocprim17ROCPRIM_400000_NS6detail17trampoline_kernelINS0_14default_configENS1_25partition_config_selectorILNS1_17partition_subalgoE9EllbEEZZNS1_14partition_implILS5_9ELb0ES3_jPlS8_PNS0_10empty_typeENS0_5tupleIJS8_S9_EEENSB_IJS8_SA_EEENS0_18inequality_wrapperIZN2at6native12_GLOBAL__N_124unique_dim_cuda_templateIN3c104HalfEEESt5tupleIJNSF_6TensorESM_SM_EERKSM_lbbbEUlllE0_EEPmJS9_EEE10hipError_tPvRmT3_T4_T5_T6_T7_T9_mT8_P12ihipStream_tbDpT10_ENKUlT_T0_E_clISt17integral_constantIbLb1EES1C_EEDaS17_S18_EUlS17_E_NS1_11comp_targetILNS1_3genE2ELNS1_11target_archE906ELNS1_3gpuE6ELNS1_3repE0EEENS1_30default_config_static_selectorELNS0_4arch9wavefront6targetE0EEEvT1_,"axG",@progbits,_ZN7rocprim17ROCPRIM_400000_NS6detail17trampoline_kernelINS0_14default_configENS1_25partition_config_selectorILNS1_17partition_subalgoE9EllbEEZZNS1_14partition_implILS5_9ELb0ES3_jPlS8_PNS0_10empty_typeENS0_5tupleIJS8_S9_EEENSB_IJS8_SA_EEENS0_18inequality_wrapperIZN2at6native12_GLOBAL__N_124unique_dim_cuda_templateIN3c104HalfEEESt5tupleIJNSF_6TensorESM_SM_EERKSM_lbbbEUlllE0_EEPmJS9_EEE10hipError_tPvRmT3_T4_T5_T6_T7_T9_mT8_P12ihipStream_tbDpT10_ENKUlT_T0_E_clISt17integral_constantIbLb1EES1C_EEDaS17_S18_EUlS17_E_NS1_11comp_targetILNS1_3genE2ELNS1_11target_archE906ELNS1_3gpuE6ELNS1_3repE0EEENS1_30default_config_static_selectorELNS0_4arch9wavefront6targetE0EEEvT1_,comdat
.Lfunc_end1339:
	.size	_ZN7rocprim17ROCPRIM_400000_NS6detail17trampoline_kernelINS0_14default_configENS1_25partition_config_selectorILNS1_17partition_subalgoE9EllbEEZZNS1_14partition_implILS5_9ELb0ES3_jPlS8_PNS0_10empty_typeENS0_5tupleIJS8_S9_EEENSB_IJS8_SA_EEENS0_18inequality_wrapperIZN2at6native12_GLOBAL__N_124unique_dim_cuda_templateIN3c104HalfEEESt5tupleIJNSF_6TensorESM_SM_EERKSM_lbbbEUlllE0_EEPmJS9_EEE10hipError_tPvRmT3_T4_T5_T6_T7_T9_mT8_P12ihipStream_tbDpT10_ENKUlT_T0_E_clISt17integral_constantIbLb1EES1C_EEDaS17_S18_EUlS17_E_NS1_11comp_targetILNS1_3genE2ELNS1_11target_archE906ELNS1_3gpuE6ELNS1_3repE0EEENS1_30default_config_static_selectorELNS0_4arch9wavefront6targetE0EEEvT1_, .Lfunc_end1339-_ZN7rocprim17ROCPRIM_400000_NS6detail17trampoline_kernelINS0_14default_configENS1_25partition_config_selectorILNS1_17partition_subalgoE9EllbEEZZNS1_14partition_implILS5_9ELb0ES3_jPlS8_PNS0_10empty_typeENS0_5tupleIJS8_S9_EEENSB_IJS8_SA_EEENS0_18inequality_wrapperIZN2at6native12_GLOBAL__N_124unique_dim_cuda_templateIN3c104HalfEEESt5tupleIJNSF_6TensorESM_SM_EERKSM_lbbbEUlllE0_EEPmJS9_EEE10hipError_tPvRmT3_T4_T5_T6_T7_T9_mT8_P12ihipStream_tbDpT10_ENKUlT_T0_E_clISt17integral_constantIbLb1EES1C_EEDaS17_S18_EUlS17_E_NS1_11comp_targetILNS1_3genE2ELNS1_11target_archE906ELNS1_3gpuE6ELNS1_3repE0EEENS1_30default_config_static_selectorELNS0_4arch9wavefront6targetE0EEEvT1_
                                        ; -- End function
	.section	.AMDGPU.csdata,"",@progbits
; Kernel info:
; codeLenInByte = 0
; NumSgprs: 0
; NumVgprs: 0
; ScratchSize: 0
; MemoryBound: 0
; FloatMode: 240
; IeeeMode: 1
; LDSByteSize: 0 bytes/workgroup (compile time only)
; SGPRBlocks: 0
; VGPRBlocks: 0
; NumSGPRsForWavesPerEU: 1
; NumVGPRsForWavesPerEU: 1
; Occupancy: 15
; WaveLimiterHint : 0
; COMPUTE_PGM_RSRC2:SCRATCH_EN: 0
; COMPUTE_PGM_RSRC2:USER_SGPR: 15
; COMPUTE_PGM_RSRC2:TRAP_HANDLER: 0
; COMPUTE_PGM_RSRC2:TGID_X_EN: 1
; COMPUTE_PGM_RSRC2:TGID_Y_EN: 0
; COMPUTE_PGM_RSRC2:TGID_Z_EN: 0
; COMPUTE_PGM_RSRC2:TIDIG_COMP_CNT: 0
	.section	.text._ZN7rocprim17ROCPRIM_400000_NS6detail17trampoline_kernelINS0_14default_configENS1_25partition_config_selectorILNS1_17partition_subalgoE9EllbEEZZNS1_14partition_implILS5_9ELb0ES3_jPlS8_PNS0_10empty_typeENS0_5tupleIJS8_S9_EEENSB_IJS8_SA_EEENS0_18inequality_wrapperIZN2at6native12_GLOBAL__N_124unique_dim_cuda_templateIN3c104HalfEEESt5tupleIJNSF_6TensorESM_SM_EERKSM_lbbbEUlllE0_EEPmJS9_EEE10hipError_tPvRmT3_T4_T5_T6_T7_T9_mT8_P12ihipStream_tbDpT10_ENKUlT_T0_E_clISt17integral_constantIbLb1EES1C_EEDaS17_S18_EUlS17_E_NS1_11comp_targetILNS1_3genE10ELNS1_11target_archE1200ELNS1_3gpuE4ELNS1_3repE0EEENS1_30default_config_static_selectorELNS0_4arch9wavefront6targetE0EEEvT1_,"axG",@progbits,_ZN7rocprim17ROCPRIM_400000_NS6detail17trampoline_kernelINS0_14default_configENS1_25partition_config_selectorILNS1_17partition_subalgoE9EllbEEZZNS1_14partition_implILS5_9ELb0ES3_jPlS8_PNS0_10empty_typeENS0_5tupleIJS8_S9_EEENSB_IJS8_SA_EEENS0_18inequality_wrapperIZN2at6native12_GLOBAL__N_124unique_dim_cuda_templateIN3c104HalfEEESt5tupleIJNSF_6TensorESM_SM_EERKSM_lbbbEUlllE0_EEPmJS9_EEE10hipError_tPvRmT3_T4_T5_T6_T7_T9_mT8_P12ihipStream_tbDpT10_ENKUlT_T0_E_clISt17integral_constantIbLb1EES1C_EEDaS17_S18_EUlS17_E_NS1_11comp_targetILNS1_3genE10ELNS1_11target_archE1200ELNS1_3gpuE4ELNS1_3repE0EEENS1_30default_config_static_selectorELNS0_4arch9wavefront6targetE0EEEvT1_,comdat
	.globl	_ZN7rocprim17ROCPRIM_400000_NS6detail17trampoline_kernelINS0_14default_configENS1_25partition_config_selectorILNS1_17partition_subalgoE9EllbEEZZNS1_14partition_implILS5_9ELb0ES3_jPlS8_PNS0_10empty_typeENS0_5tupleIJS8_S9_EEENSB_IJS8_SA_EEENS0_18inequality_wrapperIZN2at6native12_GLOBAL__N_124unique_dim_cuda_templateIN3c104HalfEEESt5tupleIJNSF_6TensorESM_SM_EERKSM_lbbbEUlllE0_EEPmJS9_EEE10hipError_tPvRmT3_T4_T5_T6_T7_T9_mT8_P12ihipStream_tbDpT10_ENKUlT_T0_E_clISt17integral_constantIbLb1EES1C_EEDaS17_S18_EUlS17_E_NS1_11comp_targetILNS1_3genE10ELNS1_11target_archE1200ELNS1_3gpuE4ELNS1_3repE0EEENS1_30default_config_static_selectorELNS0_4arch9wavefront6targetE0EEEvT1_ ; -- Begin function _ZN7rocprim17ROCPRIM_400000_NS6detail17trampoline_kernelINS0_14default_configENS1_25partition_config_selectorILNS1_17partition_subalgoE9EllbEEZZNS1_14partition_implILS5_9ELb0ES3_jPlS8_PNS0_10empty_typeENS0_5tupleIJS8_S9_EEENSB_IJS8_SA_EEENS0_18inequality_wrapperIZN2at6native12_GLOBAL__N_124unique_dim_cuda_templateIN3c104HalfEEESt5tupleIJNSF_6TensorESM_SM_EERKSM_lbbbEUlllE0_EEPmJS9_EEE10hipError_tPvRmT3_T4_T5_T6_T7_T9_mT8_P12ihipStream_tbDpT10_ENKUlT_T0_E_clISt17integral_constantIbLb1EES1C_EEDaS17_S18_EUlS17_E_NS1_11comp_targetILNS1_3genE10ELNS1_11target_archE1200ELNS1_3gpuE4ELNS1_3repE0EEENS1_30default_config_static_selectorELNS0_4arch9wavefront6targetE0EEEvT1_
	.p2align	8
	.type	_ZN7rocprim17ROCPRIM_400000_NS6detail17trampoline_kernelINS0_14default_configENS1_25partition_config_selectorILNS1_17partition_subalgoE9EllbEEZZNS1_14partition_implILS5_9ELb0ES3_jPlS8_PNS0_10empty_typeENS0_5tupleIJS8_S9_EEENSB_IJS8_SA_EEENS0_18inequality_wrapperIZN2at6native12_GLOBAL__N_124unique_dim_cuda_templateIN3c104HalfEEESt5tupleIJNSF_6TensorESM_SM_EERKSM_lbbbEUlllE0_EEPmJS9_EEE10hipError_tPvRmT3_T4_T5_T6_T7_T9_mT8_P12ihipStream_tbDpT10_ENKUlT_T0_E_clISt17integral_constantIbLb1EES1C_EEDaS17_S18_EUlS17_E_NS1_11comp_targetILNS1_3genE10ELNS1_11target_archE1200ELNS1_3gpuE4ELNS1_3repE0EEENS1_30default_config_static_selectorELNS0_4arch9wavefront6targetE0EEEvT1_,@function
_ZN7rocprim17ROCPRIM_400000_NS6detail17trampoline_kernelINS0_14default_configENS1_25partition_config_selectorILNS1_17partition_subalgoE9EllbEEZZNS1_14partition_implILS5_9ELb0ES3_jPlS8_PNS0_10empty_typeENS0_5tupleIJS8_S9_EEENSB_IJS8_SA_EEENS0_18inequality_wrapperIZN2at6native12_GLOBAL__N_124unique_dim_cuda_templateIN3c104HalfEEESt5tupleIJNSF_6TensorESM_SM_EERKSM_lbbbEUlllE0_EEPmJS9_EEE10hipError_tPvRmT3_T4_T5_T6_T7_T9_mT8_P12ihipStream_tbDpT10_ENKUlT_T0_E_clISt17integral_constantIbLb1EES1C_EEDaS17_S18_EUlS17_E_NS1_11comp_targetILNS1_3genE10ELNS1_11target_archE1200ELNS1_3gpuE4ELNS1_3repE0EEENS1_30default_config_static_selectorELNS0_4arch9wavefront6targetE0EEEvT1_: ; @_ZN7rocprim17ROCPRIM_400000_NS6detail17trampoline_kernelINS0_14default_configENS1_25partition_config_selectorILNS1_17partition_subalgoE9EllbEEZZNS1_14partition_implILS5_9ELb0ES3_jPlS8_PNS0_10empty_typeENS0_5tupleIJS8_S9_EEENSB_IJS8_SA_EEENS0_18inequality_wrapperIZN2at6native12_GLOBAL__N_124unique_dim_cuda_templateIN3c104HalfEEESt5tupleIJNSF_6TensorESM_SM_EERKSM_lbbbEUlllE0_EEPmJS9_EEE10hipError_tPvRmT3_T4_T5_T6_T7_T9_mT8_P12ihipStream_tbDpT10_ENKUlT_T0_E_clISt17integral_constantIbLb1EES1C_EEDaS17_S18_EUlS17_E_NS1_11comp_targetILNS1_3genE10ELNS1_11target_archE1200ELNS1_3gpuE4ELNS1_3repE0EEENS1_30default_config_static_selectorELNS0_4arch9wavefront6targetE0EEEvT1_
; %bb.0:
	.section	.rodata,"a",@progbits
	.p2align	6, 0x0
	.amdhsa_kernel _ZN7rocprim17ROCPRIM_400000_NS6detail17trampoline_kernelINS0_14default_configENS1_25partition_config_selectorILNS1_17partition_subalgoE9EllbEEZZNS1_14partition_implILS5_9ELb0ES3_jPlS8_PNS0_10empty_typeENS0_5tupleIJS8_S9_EEENSB_IJS8_SA_EEENS0_18inequality_wrapperIZN2at6native12_GLOBAL__N_124unique_dim_cuda_templateIN3c104HalfEEESt5tupleIJNSF_6TensorESM_SM_EERKSM_lbbbEUlllE0_EEPmJS9_EEE10hipError_tPvRmT3_T4_T5_T6_T7_T9_mT8_P12ihipStream_tbDpT10_ENKUlT_T0_E_clISt17integral_constantIbLb1EES1C_EEDaS17_S18_EUlS17_E_NS1_11comp_targetILNS1_3genE10ELNS1_11target_archE1200ELNS1_3gpuE4ELNS1_3repE0EEENS1_30default_config_static_selectorELNS0_4arch9wavefront6targetE0EEEvT1_
		.amdhsa_group_segment_fixed_size 0
		.amdhsa_private_segment_fixed_size 0
		.amdhsa_kernarg_size 136
		.amdhsa_user_sgpr_count 15
		.amdhsa_user_sgpr_dispatch_ptr 0
		.amdhsa_user_sgpr_queue_ptr 0
		.amdhsa_user_sgpr_kernarg_segment_ptr 1
		.amdhsa_user_sgpr_dispatch_id 0
		.amdhsa_user_sgpr_private_segment_size 0
		.amdhsa_wavefront_size32 1
		.amdhsa_uses_dynamic_stack 0
		.amdhsa_enable_private_segment 0
		.amdhsa_system_sgpr_workgroup_id_x 1
		.amdhsa_system_sgpr_workgroup_id_y 0
		.amdhsa_system_sgpr_workgroup_id_z 0
		.amdhsa_system_sgpr_workgroup_info 0
		.amdhsa_system_vgpr_workitem_id 0
		.amdhsa_next_free_vgpr 1
		.amdhsa_next_free_sgpr 1
		.amdhsa_reserve_vcc 0
		.amdhsa_float_round_mode_32 0
		.amdhsa_float_round_mode_16_64 0
		.amdhsa_float_denorm_mode_32 3
		.amdhsa_float_denorm_mode_16_64 3
		.amdhsa_dx10_clamp 1
		.amdhsa_ieee_mode 1
		.amdhsa_fp16_overflow 0
		.amdhsa_workgroup_processor_mode 1
		.amdhsa_memory_ordered 1
		.amdhsa_forward_progress 0
		.amdhsa_shared_vgpr_count 0
		.amdhsa_exception_fp_ieee_invalid_op 0
		.amdhsa_exception_fp_denorm_src 0
		.amdhsa_exception_fp_ieee_div_zero 0
		.amdhsa_exception_fp_ieee_overflow 0
		.amdhsa_exception_fp_ieee_underflow 0
		.amdhsa_exception_fp_ieee_inexact 0
		.amdhsa_exception_int_div_zero 0
	.end_amdhsa_kernel
	.section	.text._ZN7rocprim17ROCPRIM_400000_NS6detail17trampoline_kernelINS0_14default_configENS1_25partition_config_selectorILNS1_17partition_subalgoE9EllbEEZZNS1_14partition_implILS5_9ELb0ES3_jPlS8_PNS0_10empty_typeENS0_5tupleIJS8_S9_EEENSB_IJS8_SA_EEENS0_18inequality_wrapperIZN2at6native12_GLOBAL__N_124unique_dim_cuda_templateIN3c104HalfEEESt5tupleIJNSF_6TensorESM_SM_EERKSM_lbbbEUlllE0_EEPmJS9_EEE10hipError_tPvRmT3_T4_T5_T6_T7_T9_mT8_P12ihipStream_tbDpT10_ENKUlT_T0_E_clISt17integral_constantIbLb1EES1C_EEDaS17_S18_EUlS17_E_NS1_11comp_targetILNS1_3genE10ELNS1_11target_archE1200ELNS1_3gpuE4ELNS1_3repE0EEENS1_30default_config_static_selectorELNS0_4arch9wavefront6targetE0EEEvT1_,"axG",@progbits,_ZN7rocprim17ROCPRIM_400000_NS6detail17trampoline_kernelINS0_14default_configENS1_25partition_config_selectorILNS1_17partition_subalgoE9EllbEEZZNS1_14partition_implILS5_9ELb0ES3_jPlS8_PNS0_10empty_typeENS0_5tupleIJS8_S9_EEENSB_IJS8_SA_EEENS0_18inequality_wrapperIZN2at6native12_GLOBAL__N_124unique_dim_cuda_templateIN3c104HalfEEESt5tupleIJNSF_6TensorESM_SM_EERKSM_lbbbEUlllE0_EEPmJS9_EEE10hipError_tPvRmT3_T4_T5_T6_T7_T9_mT8_P12ihipStream_tbDpT10_ENKUlT_T0_E_clISt17integral_constantIbLb1EES1C_EEDaS17_S18_EUlS17_E_NS1_11comp_targetILNS1_3genE10ELNS1_11target_archE1200ELNS1_3gpuE4ELNS1_3repE0EEENS1_30default_config_static_selectorELNS0_4arch9wavefront6targetE0EEEvT1_,comdat
.Lfunc_end1340:
	.size	_ZN7rocprim17ROCPRIM_400000_NS6detail17trampoline_kernelINS0_14default_configENS1_25partition_config_selectorILNS1_17partition_subalgoE9EllbEEZZNS1_14partition_implILS5_9ELb0ES3_jPlS8_PNS0_10empty_typeENS0_5tupleIJS8_S9_EEENSB_IJS8_SA_EEENS0_18inequality_wrapperIZN2at6native12_GLOBAL__N_124unique_dim_cuda_templateIN3c104HalfEEESt5tupleIJNSF_6TensorESM_SM_EERKSM_lbbbEUlllE0_EEPmJS9_EEE10hipError_tPvRmT3_T4_T5_T6_T7_T9_mT8_P12ihipStream_tbDpT10_ENKUlT_T0_E_clISt17integral_constantIbLb1EES1C_EEDaS17_S18_EUlS17_E_NS1_11comp_targetILNS1_3genE10ELNS1_11target_archE1200ELNS1_3gpuE4ELNS1_3repE0EEENS1_30default_config_static_selectorELNS0_4arch9wavefront6targetE0EEEvT1_, .Lfunc_end1340-_ZN7rocprim17ROCPRIM_400000_NS6detail17trampoline_kernelINS0_14default_configENS1_25partition_config_selectorILNS1_17partition_subalgoE9EllbEEZZNS1_14partition_implILS5_9ELb0ES3_jPlS8_PNS0_10empty_typeENS0_5tupleIJS8_S9_EEENSB_IJS8_SA_EEENS0_18inequality_wrapperIZN2at6native12_GLOBAL__N_124unique_dim_cuda_templateIN3c104HalfEEESt5tupleIJNSF_6TensorESM_SM_EERKSM_lbbbEUlllE0_EEPmJS9_EEE10hipError_tPvRmT3_T4_T5_T6_T7_T9_mT8_P12ihipStream_tbDpT10_ENKUlT_T0_E_clISt17integral_constantIbLb1EES1C_EEDaS17_S18_EUlS17_E_NS1_11comp_targetILNS1_3genE10ELNS1_11target_archE1200ELNS1_3gpuE4ELNS1_3repE0EEENS1_30default_config_static_selectorELNS0_4arch9wavefront6targetE0EEEvT1_
                                        ; -- End function
	.section	.AMDGPU.csdata,"",@progbits
; Kernel info:
; codeLenInByte = 0
; NumSgprs: 0
; NumVgprs: 0
; ScratchSize: 0
; MemoryBound: 0
; FloatMode: 240
; IeeeMode: 1
; LDSByteSize: 0 bytes/workgroup (compile time only)
; SGPRBlocks: 0
; VGPRBlocks: 0
; NumSGPRsForWavesPerEU: 1
; NumVGPRsForWavesPerEU: 1
; Occupancy: 15
; WaveLimiterHint : 0
; COMPUTE_PGM_RSRC2:SCRATCH_EN: 0
; COMPUTE_PGM_RSRC2:USER_SGPR: 15
; COMPUTE_PGM_RSRC2:TRAP_HANDLER: 0
; COMPUTE_PGM_RSRC2:TGID_X_EN: 1
; COMPUTE_PGM_RSRC2:TGID_Y_EN: 0
; COMPUTE_PGM_RSRC2:TGID_Z_EN: 0
; COMPUTE_PGM_RSRC2:TIDIG_COMP_CNT: 0
	.section	.text._ZN7rocprim17ROCPRIM_400000_NS6detail17trampoline_kernelINS0_14default_configENS1_25partition_config_selectorILNS1_17partition_subalgoE9EllbEEZZNS1_14partition_implILS5_9ELb0ES3_jPlS8_PNS0_10empty_typeENS0_5tupleIJS8_S9_EEENSB_IJS8_SA_EEENS0_18inequality_wrapperIZN2at6native12_GLOBAL__N_124unique_dim_cuda_templateIN3c104HalfEEESt5tupleIJNSF_6TensorESM_SM_EERKSM_lbbbEUlllE0_EEPmJS9_EEE10hipError_tPvRmT3_T4_T5_T6_T7_T9_mT8_P12ihipStream_tbDpT10_ENKUlT_T0_E_clISt17integral_constantIbLb1EES1C_EEDaS17_S18_EUlS17_E_NS1_11comp_targetILNS1_3genE9ELNS1_11target_archE1100ELNS1_3gpuE3ELNS1_3repE0EEENS1_30default_config_static_selectorELNS0_4arch9wavefront6targetE0EEEvT1_,"axG",@progbits,_ZN7rocprim17ROCPRIM_400000_NS6detail17trampoline_kernelINS0_14default_configENS1_25partition_config_selectorILNS1_17partition_subalgoE9EllbEEZZNS1_14partition_implILS5_9ELb0ES3_jPlS8_PNS0_10empty_typeENS0_5tupleIJS8_S9_EEENSB_IJS8_SA_EEENS0_18inequality_wrapperIZN2at6native12_GLOBAL__N_124unique_dim_cuda_templateIN3c104HalfEEESt5tupleIJNSF_6TensorESM_SM_EERKSM_lbbbEUlllE0_EEPmJS9_EEE10hipError_tPvRmT3_T4_T5_T6_T7_T9_mT8_P12ihipStream_tbDpT10_ENKUlT_T0_E_clISt17integral_constantIbLb1EES1C_EEDaS17_S18_EUlS17_E_NS1_11comp_targetILNS1_3genE9ELNS1_11target_archE1100ELNS1_3gpuE3ELNS1_3repE0EEENS1_30default_config_static_selectorELNS0_4arch9wavefront6targetE0EEEvT1_,comdat
	.globl	_ZN7rocprim17ROCPRIM_400000_NS6detail17trampoline_kernelINS0_14default_configENS1_25partition_config_selectorILNS1_17partition_subalgoE9EllbEEZZNS1_14partition_implILS5_9ELb0ES3_jPlS8_PNS0_10empty_typeENS0_5tupleIJS8_S9_EEENSB_IJS8_SA_EEENS0_18inequality_wrapperIZN2at6native12_GLOBAL__N_124unique_dim_cuda_templateIN3c104HalfEEESt5tupleIJNSF_6TensorESM_SM_EERKSM_lbbbEUlllE0_EEPmJS9_EEE10hipError_tPvRmT3_T4_T5_T6_T7_T9_mT8_P12ihipStream_tbDpT10_ENKUlT_T0_E_clISt17integral_constantIbLb1EES1C_EEDaS17_S18_EUlS17_E_NS1_11comp_targetILNS1_3genE9ELNS1_11target_archE1100ELNS1_3gpuE3ELNS1_3repE0EEENS1_30default_config_static_selectorELNS0_4arch9wavefront6targetE0EEEvT1_ ; -- Begin function _ZN7rocprim17ROCPRIM_400000_NS6detail17trampoline_kernelINS0_14default_configENS1_25partition_config_selectorILNS1_17partition_subalgoE9EllbEEZZNS1_14partition_implILS5_9ELb0ES3_jPlS8_PNS0_10empty_typeENS0_5tupleIJS8_S9_EEENSB_IJS8_SA_EEENS0_18inequality_wrapperIZN2at6native12_GLOBAL__N_124unique_dim_cuda_templateIN3c104HalfEEESt5tupleIJNSF_6TensorESM_SM_EERKSM_lbbbEUlllE0_EEPmJS9_EEE10hipError_tPvRmT3_T4_T5_T6_T7_T9_mT8_P12ihipStream_tbDpT10_ENKUlT_T0_E_clISt17integral_constantIbLb1EES1C_EEDaS17_S18_EUlS17_E_NS1_11comp_targetILNS1_3genE9ELNS1_11target_archE1100ELNS1_3gpuE3ELNS1_3repE0EEENS1_30default_config_static_selectorELNS0_4arch9wavefront6targetE0EEEvT1_
	.p2align	8
	.type	_ZN7rocprim17ROCPRIM_400000_NS6detail17trampoline_kernelINS0_14default_configENS1_25partition_config_selectorILNS1_17partition_subalgoE9EllbEEZZNS1_14partition_implILS5_9ELb0ES3_jPlS8_PNS0_10empty_typeENS0_5tupleIJS8_S9_EEENSB_IJS8_SA_EEENS0_18inequality_wrapperIZN2at6native12_GLOBAL__N_124unique_dim_cuda_templateIN3c104HalfEEESt5tupleIJNSF_6TensorESM_SM_EERKSM_lbbbEUlllE0_EEPmJS9_EEE10hipError_tPvRmT3_T4_T5_T6_T7_T9_mT8_P12ihipStream_tbDpT10_ENKUlT_T0_E_clISt17integral_constantIbLb1EES1C_EEDaS17_S18_EUlS17_E_NS1_11comp_targetILNS1_3genE9ELNS1_11target_archE1100ELNS1_3gpuE3ELNS1_3repE0EEENS1_30default_config_static_selectorELNS0_4arch9wavefront6targetE0EEEvT1_,@function
_ZN7rocprim17ROCPRIM_400000_NS6detail17trampoline_kernelINS0_14default_configENS1_25partition_config_selectorILNS1_17partition_subalgoE9EllbEEZZNS1_14partition_implILS5_9ELb0ES3_jPlS8_PNS0_10empty_typeENS0_5tupleIJS8_S9_EEENSB_IJS8_SA_EEENS0_18inequality_wrapperIZN2at6native12_GLOBAL__N_124unique_dim_cuda_templateIN3c104HalfEEESt5tupleIJNSF_6TensorESM_SM_EERKSM_lbbbEUlllE0_EEPmJS9_EEE10hipError_tPvRmT3_T4_T5_T6_T7_T9_mT8_P12ihipStream_tbDpT10_ENKUlT_T0_E_clISt17integral_constantIbLb1EES1C_EEDaS17_S18_EUlS17_E_NS1_11comp_targetILNS1_3genE9ELNS1_11target_archE1100ELNS1_3gpuE3ELNS1_3repE0EEENS1_30default_config_static_selectorELNS0_4arch9wavefront6targetE0EEEvT1_: ; @_ZN7rocprim17ROCPRIM_400000_NS6detail17trampoline_kernelINS0_14default_configENS1_25partition_config_selectorILNS1_17partition_subalgoE9EllbEEZZNS1_14partition_implILS5_9ELb0ES3_jPlS8_PNS0_10empty_typeENS0_5tupleIJS8_S9_EEENSB_IJS8_SA_EEENS0_18inequality_wrapperIZN2at6native12_GLOBAL__N_124unique_dim_cuda_templateIN3c104HalfEEESt5tupleIJNSF_6TensorESM_SM_EERKSM_lbbbEUlllE0_EEPmJS9_EEE10hipError_tPvRmT3_T4_T5_T6_T7_T9_mT8_P12ihipStream_tbDpT10_ENKUlT_T0_E_clISt17integral_constantIbLb1EES1C_EEDaS17_S18_EUlS17_E_NS1_11comp_targetILNS1_3genE9ELNS1_11target_archE1100ELNS1_3gpuE3ELNS1_3repE0EEENS1_30default_config_static_selectorELNS0_4arch9wavefront6targetE0EEEvT1_
; %bb.0:
	s_clause 0x3
	s_load_b128 s[4:7], s[0:1], 0x8
	s_load_b64 s[24:25], s[0:1], 0x18
	s_load_b256 s[8:15], s[0:1], 0x40
	s_load_b128 s[20:23], s[0:1], 0x60
	v_cmp_ne_u32_e64 s3, 0, v0
	v_cmp_eq_u32_e64 s2, 0, v0
	s_delay_alu instid0(VALU_DEP_1)
	s_and_saveexec_b32 s16, s2
	s_cbranch_execz .LBB1341_4
; %bb.1:
	s_mov_b32 s18, exec_lo
	s_mov_b32 s17, exec_lo
	v_mbcnt_lo_u32_b32 v1, s18, 0
                                        ; implicit-def: $vgpr2
	s_delay_alu instid0(VALU_DEP_1)
	v_cmpx_eq_u32_e32 0, v1
	s_cbranch_execz .LBB1341_3
; %bb.2:
	s_load_b64 s[26:27], s[0:1], 0x78
	s_bcnt1_i32_b32 s18, s18
	s_delay_alu instid0(SALU_CYCLE_1)
	v_dual_mov_b32 v2, 0 :: v_dual_mov_b32 v3, s18
	s_waitcnt lgkmcnt(0)
	global_atomic_add_u32 v2, v2, v3, s[26:27] glc
.LBB1341_3:
	s_or_b32 exec_lo, exec_lo, s17
	s_waitcnt vmcnt(0)
	v_readfirstlane_b32 s17, v2
	s_delay_alu instid0(VALU_DEP_1)
	v_dual_mov_b32 v2, 0 :: v_dual_add_nc_u32 v1, s17, v1
	ds_store_b32 v2, v1
.LBB1341_4:
	s_or_b32 exec_lo, exec_lo, s16
	v_mov_b32_e32 v1, 0
	s_clause 0x1
	s_load_b128 s[16:19], s[0:1], 0x28
	s_load_b32 s0, s[0:1], 0x70
	s_waitcnt lgkmcnt(0)
	s_barrier
	buffer_gl0_inv
	ds_load_b32 v3, v1
	s_waitcnt lgkmcnt(0)
	s_barrier
	buffer_gl0_inv
	global_load_b64 v[1:2], v1, s[10:11]
	s_lshl_b64 s[26:27], s[6:7], 3
	s_mov_b32 s1, 0
	s_add_u32 s10, s4, s26
	s_addc_u32 s11, s5, s27
	v_lshlrev_b32_e32 v55, 3, v0
	v_lshrrev_b32_e32 v34, 2, v0
	v_or_b32_e32 v39, 0x200, v0
	v_or_b32_e32 v38, 0x400, v0
	;; [unrolled: 1-line block ×5, first 2 shown]
	s_add_i32 s28, s0, -1
	s_lshl_b32 s5, s0, 12
	s_lshl_b32 s4, s28, 12
	v_or_b32_e32 v33, 0xc00, v0
	v_readfirstlane_b32 s30, v3
	s_add_i32 s4, s6, s4
	v_or_b32_e32 v36, 0xe00, v0
	s_sub_i32 s31, s12, s4
	s_delay_alu instid0(VALU_DEP_2)
	s_lshl_b32 s0, s30, 12
	s_add_u32 s4, s6, s5
	s_addc_u32 s5, s7, 0
	s_cmp_eq_u32 s30, s28
	v_cmp_ge_u64_e64 s4, s[4:5], s[12:13]
	s_cselect_b32 s28, -1, 0
	s_lshl_b64 s[12:13], s[0:1], 3
	s_mov_b32 s1, -1
	s_delay_alu instid0(VALU_DEP_1) | instskip(NEXT) | instid1(SALU_CYCLE_1)
	s_and_b32 s33, s4, s28
	s_xor_b32 s29, s33, -1
	s_add_u32 s4, s10, s12
	s_addc_u32 s5, s11, s13
	s_and_b32 vcc_lo, exec_lo, s29
	s_waitcnt vmcnt(0)
	v_readfirstlane_b32 s10, v1
	v_readfirstlane_b32 s11, v2
	s_cbranch_vccz .LBB1341_6
; %bb.5:
	v_add_co_u32 v9, s0, s4, v55
	s_delay_alu instid0(VALU_DEP_1)
	v_add_co_ci_u32_e64 v10, null, s5, 0, s0
	global_load_b64 v[1:2], v55, s[4:5]
	v_add_co_u32 v3, vcc_lo, v9, 0x2000
	v_add_co_ci_u32_e32 v4, vcc_lo, 0, v10, vcc_lo
	v_add_co_u32 v5, vcc_lo, v9, 0x4000
	v_add_co_ci_u32_e32 v6, vcc_lo, 0, v10, vcc_lo
	;; [unrolled: 2-line block ×4, first 2 shown]
	s_clause 0x6
	global_load_b64 v[11:12], v[3:4], off offset:-4096
	global_load_b64 v[3:4], v[3:4], off
	global_load_b64 v[13:14], v[5:6], off offset:-4096
	global_load_b64 v[5:6], v[5:6], off
	;; [unrolled: 2-line block ×3, first 2 shown]
	global_load_b64 v[9:10], v[9:10], off
	v_lshrrev_b32_e32 v18, 2, v39
	v_lshrrev_b32_e32 v19, 2, v38
	;; [unrolled: 1-line block ×4, first 2 shown]
	v_and_b32_e32 v17, 0x78, v34
	v_lshrrev_b32_e32 v22, 2, v35
	v_lshrrev_b32_e32 v23, 2, v33
	;; [unrolled: 1-line block ×3, first 2 shown]
	v_and_b32_e32 v18, 0xf8, v18
	v_and_b32_e32 v19, 0x178, v19
	;; [unrolled: 1-line block ×4, first 2 shown]
	v_add_nc_u32_e32 v17, v17, v55
	v_and_b32_e32 v22, 0x2f8, v22
	v_and_b32_e32 v23, 0x378, v23
	;; [unrolled: 1-line block ×3, first 2 shown]
	v_add_nc_u32_e32 v18, v18, v55
	v_add_nc_u32_e32 v19, v19, v55
	;; [unrolled: 1-line block ×4, first 2 shown]
	s_mov_b32 s1, 0
	v_add_nc_u32_e32 v22, v22, v55
	v_add_nc_u32_e32 v23, v23, v55
	;; [unrolled: 1-line block ×3, first 2 shown]
	s_waitcnt vmcnt(7)
	ds_store_b64 v17, v[1:2]
	s_waitcnt vmcnt(6)
	ds_store_b64 v18, v[11:12] offset:4096
	s_waitcnt vmcnt(5)
	ds_store_b64 v19, v[3:4] offset:8192
	;; [unrolled: 2-line block ×7, first 2 shown]
	s_waitcnt lgkmcnt(0)
	s_barrier
.LBB1341_6:
	v_cmp_gt_u32_e64 s0, s31, v0
	s_and_not1_b32 vcc_lo, exec_lo, s1
	s_cbranch_vccnz .LBB1341_24
; %bb.7:
                                        ; implicit-def: $vgpr1_vgpr2_vgpr3_vgpr4_vgpr5_vgpr6_vgpr7_vgpr8_vgpr9_vgpr10_vgpr11_vgpr12_vgpr13_vgpr14_vgpr15_vgpr16
	s_delay_alu instid0(VALU_DEP_1)
	s_and_saveexec_b32 s1, s0
	s_cbranch_execz .LBB1341_15
; %bb.8:
	global_load_b64 v[1:2], v55, s[4:5]
	s_or_b32 exec_lo, exec_lo, s1
	s_delay_alu instid0(SALU_CYCLE_1)
	s_mov_b32 s0, exec_lo
	v_cmpx_gt_u32_e64 s31, v39
	s_cbranch_execnz .LBB1341_16
.LBB1341_9:
	s_or_b32 exec_lo, exec_lo, s0
	s_delay_alu instid0(SALU_CYCLE_1)
	s_mov_b32 s0, exec_lo
	v_cmpx_gt_u32_e64 s31, v38
	s_cbranch_execz .LBB1341_17
.LBB1341_10:
	v_lshlrev_b32_e32 v5, 3, v38
	global_load_b64 v[5:6], v5, s[4:5]
	s_or_b32 exec_lo, exec_lo, s0
	s_delay_alu instid0(SALU_CYCLE_1)
	s_mov_b32 s0, exec_lo
	v_cmpx_gt_u32_e64 s31, v40
	s_cbranch_execnz .LBB1341_18
.LBB1341_11:
	s_or_b32 exec_lo, exec_lo, s0
	s_delay_alu instid0(SALU_CYCLE_1)
	s_mov_b32 s0, exec_lo
	v_cmpx_gt_u32_e64 s31, v37
	s_cbranch_execz .LBB1341_19
.LBB1341_12:
	v_lshlrev_b32_e32 v9, 3, v37
	global_load_b64 v[9:10], v9, s[4:5]
	s_or_b32 exec_lo, exec_lo, s0
	s_delay_alu instid0(SALU_CYCLE_1)
	s_mov_b32 s0, exec_lo
	v_cmpx_gt_u32_e64 s31, v35
	s_cbranch_execnz .LBB1341_20
.LBB1341_13:
	s_or_b32 exec_lo, exec_lo, s0
	s_delay_alu instid0(SALU_CYCLE_1)
	s_mov_b32 s0, exec_lo
	v_cmpx_gt_u32_e64 s31, v33
	s_cbranch_execz .LBB1341_21
.LBB1341_14:
	v_lshlrev_b32_e32 v13, 3, v33
	global_load_b64 v[13:14], v13, s[4:5]
	s_or_b32 exec_lo, exec_lo, s0
	s_delay_alu instid0(SALU_CYCLE_1)
	s_mov_b32 s0, exec_lo
	v_cmpx_gt_u32_e64 s31, v36
	s_cbranch_execnz .LBB1341_22
	s_branch .LBB1341_23
.LBB1341_15:
	s_or_b32 exec_lo, exec_lo, s1
	s_delay_alu instid0(SALU_CYCLE_1)
	s_mov_b32 s0, exec_lo
	v_cmpx_gt_u32_e64 s31, v39
	s_cbranch_execz .LBB1341_9
.LBB1341_16:
	v_lshlrev_b32_e32 v3, 3, v39
	global_load_b64 v[3:4], v3, s[4:5]
	s_or_b32 exec_lo, exec_lo, s0
	s_delay_alu instid0(SALU_CYCLE_1)
	s_mov_b32 s0, exec_lo
	v_cmpx_gt_u32_e64 s31, v38
	s_cbranch_execnz .LBB1341_10
.LBB1341_17:
	s_or_b32 exec_lo, exec_lo, s0
	s_delay_alu instid0(SALU_CYCLE_1)
	s_mov_b32 s0, exec_lo
	v_cmpx_gt_u32_e64 s31, v40
	s_cbranch_execz .LBB1341_11
.LBB1341_18:
	v_lshlrev_b32_e32 v7, 3, v40
	global_load_b64 v[7:8], v7, s[4:5]
	s_or_b32 exec_lo, exec_lo, s0
	s_delay_alu instid0(SALU_CYCLE_1)
	s_mov_b32 s0, exec_lo
	v_cmpx_gt_u32_e64 s31, v37
	s_cbranch_execnz .LBB1341_12
.LBB1341_19:
	s_or_b32 exec_lo, exec_lo, s0
	s_delay_alu instid0(SALU_CYCLE_1)
	s_mov_b32 s0, exec_lo
	v_cmpx_gt_u32_e64 s31, v35
	s_cbranch_execz .LBB1341_13
.LBB1341_20:
	v_lshlrev_b32_e32 v11, 3, v35
	global_load_b64 v[11:12], v11, s[4:5]
	s_or_b32 exec_lo, exec_lo, s0
	s_delay_alu instid0(SALU_CYCLE_1)
	s_mov_b32 s0, exec_lo
	v_cmpx_gt_u32_e64 s31, v33
	s_cbranch_execnz .LBB1341_14
.LBB1341_21:
	s_or_b32 exec_lo, exec_lo, s0
	s_delay_alu instid0(SALU_CYCLE_1)
	s_mov_b32 s0, exec_lo
	v_cmpx_gt_u32_e64 s31, v36
	s_cbranch_execz .LBB1341_23
.LBB1341_22:
	v_lshlrev_b32_e32 v15, 3, v36
	global_load_b64 v[15:16], v15, s[4:5]
.LBB1341_23:
	s_or_b32 exec_lo, exec_lo, s0
	v_lshrrev_b32_e32 v17, 2, v39
	v_lshrrev_b32_e32 v18, 2, v38
	;; [unrolled: 1-line block ×4, first 2 shown]
	v_and_b32_e32 v19, 0x78, v34
	v_lshrrev_b32_e32 v22, 2, v35
	v_lshrrev_b32_e32 v23, 2, v33
	;; [unrolled: 1-line block ×3, first 2 shown]
	v_and_b32_e32 v17, 0xf8, v17
	v_and_b32_e32 v18, 0x1f8, v18
	;; [unrolled: 1-line block ×4, first 2 shown]
	v_add_nc_u32_e32 v19, v19, v55
	v_and_b32_e32 v22, 0x3f8, v22
	v_and_b32_e32 v23, 0x3f8, v23
	;; [unrolled: 1-line block ×3, first 2 shown]
	v_add_nc_u32_e32 v17, v17, v55
	v_add_nc_u32_e32 v18, v18, v55
	;; [unrolled: 1-line block ×7, first 2 shown]
	s_waitcnt vmcnt(0)
	ds_store_b64 v19, v[1:2]
	ds_store_b64 v17, v[3:4] offset:4096
	ds_store_b64 v18, v[5:6] offset:8192
	;; [unrolled: 1-line block ×7, first 2 shown]
	s_waitcnt lgkmcnt(0)
	s_barrier
.LBB1341_24:
	v_add_lshl_u32 v41, v34, v55, 3
	buffer_gl0_inv
	s_add_u32 s0, s24, s26
	s_addc_u32 s1, s25, s27
	s_add_u32 s0, s0, s12
	ds_load_2addr_b64 v[29:32], v41 offset1:1
	ds_load_2addr_b64 v[25:28], v41 offset0:2 offset1:3
	ds_load_2addr_b64 v[21:24], v41 offset0:4 offset1:5
	ds_load_2addr_b64 v[17:20], v41 offset0:6 offset1:7
	s_addc_u32 s1, s1, s13
	s_and_b32 vcc_lo, exec_lo, s29
	s_mov_b32 s12, -1
	s_waitcnt lgkmcnt(0)
	s_barrier
	buffer_gl0_inv
	s_cbranch_vccz .LBB1341_26
; %bb.25:
	v_add_co_u32 v9, s12, s0, v55
	s_delay_alu instid0(VALU_DEP_1)
	v_add_co_ci_u32_e64 v10, null, s1, 0, s12
	global_load_b64 v[1:2], v55, s[0:1]
	v_add_co_u32 v3, vcc_lo, v9, 0x2000
	v_add_co_ci_u32_e32 v4, vcc_lo, 0, v10, vcc_lo
	v_add_co_u32 v5, vcc_lo, v9, 0x4000
	v_add_co_ci_u32_e32 v6, vcc_lo, 0, v10, vcc_lo
	;; [unrolled: 2-line block ×4, first 2 shown]
	s_clause 0x6
	global_load_b64 v[11:12], v[3:4], off offset:-4096
	global_load_b64 v[3:4], v[3:4], off
	global_load_b64 v[13:14], v[5:6], off offset:-4096
	global_load_b64 v[5:6], v[5:6], off
	;; [unrolled: 2-line block ×3, first 2 shown]
	global_load_b64 v[9:10], v[9:10], off
	v_lshrrev_b32_e32 v43, 2, v39
	v_lshrrev_b32_e32 v44, 2, v38
	;; [unrolled: 1-line block ×4, first 2 shown]
	v_and_b32_e32 v42, 0x78, v34
	v_lshrrev_b32_e32 v47, 2, v35
	v_lshrrev_b32_e32 v48, 2, v33
	;; [unrolled: 1-line block ×3, first 2 shown]
	v_and_b32_e32 v43, 0xf8, v43
	v_and_b32_e32 v44, 0x178, v44
	;; [unrolled: 1-line block ×4, first 2 shown]
	v_add_nc_u32_e32 v42, v42, v55
	v_and_b32_e32 v47, 0x2f8, v47
	v_and_b32_e32 v48, 0x378, v48
	v_and_b32_e32 v49, 0x3f8, v49
	v_add_nc_u32_e32 v43, v43, v55
	v_add_nc_u32_e32 v44, v44, v55
	;; [unrolled: 1-line block ×4, first 2 shown]
	s_mov_b32 s12, 0
	v_add_nc_u32_e32 v47, v47, v55
	v_add_nc_u32_e32 v48, v48, v55
	;; [unrolled: 1-line block ×3, first 2 shown]
	s_waitcnt vmcnt(7)
	ds_store_b64 v42, v[1:2]
	s_waitcnt vmcnt(6)
	ds_store_b64 v43, v[11:12] offset:4096
	s_waitcnt vmcnt(5)
	ds_store_b64 v44, v[3:4] offset:8192
	;; [unrolled: 2-line block ×7, first 2 shown]
	s_waitcnt lgkmcnt(0)
	s_barrier
.LBB1341_26:
	s_and_not1_b32 vcc_lo, exec_lo, s12
	s_cbranch_vccnz .LBB1341_44
; %bb.27:
	s_mov_b32 s12, exec_lo
                                        ; implicit-def: $vgpr1_vgpr2
	v_cmpx_gt_u32_e64 s31, v0
	s_cbranch_execz .LBB1341_29
; %bb.28:
	global_load_b64 v[1:2], v55, s[0:1]
.LBB1341_29:
	s_or_b32 exec_lo, exec_lo, s12
	s_delay_alu instid0(SALU_CYCLE_1)
	s_mov_b32 s12, exec_lo
                                        ; implicit-def: $vgpr3_vgpr4
	v_cmpx_gt_u32_e64 s31, v39
	s_cbranch_execz .LBB1341_31
; %bb.30:
	v_lshlrev_b32_e32 v3, 3, v39
	global_load_b64 v[3:4], v3, s[0:1]
.LBB1341_31:
	s_or_b32 exec_lo, exec_lo, s12
	s_delay_alu instid0(SALU_CYCLE_1)
	s_mov_b32 s12, exec_lo
                                        ; implicit-def: $vgpr5_vgpr6
	v_cmpx_gt_u32_e64 s31, v38
	s_cbranch_execz .LBB1341_33
; %bb.32:
	v_lshlrev_b32_e32 v5, 3, v38
	global_load_b64 v[5:6], v5, s[0:1]
.LBB1341_33:
	s_or_b32 exec_lo, exec_lo, s12
	s_delay_alu instid0(SALU_CYCLE_1)
	s_mov_b32 s12, exec_lo
                                        ; implicit-def: $vgpr7_vgpr8
	v_cmpx_gt_u32_e64 s31, v40
	s_cbranch_execz .LBB1341_35
; %bb.34:
	v_lshlrev_b32_e32 v7, 3, v40
	global_load_b64 v[7:8], v7, s[0:1]
.LBB1341_35:
	s_or_b32 exec_lo, exec_lo, s12
	s_delay_alu instid0(SALU_CYCLE_1)
	s_mov_b32 s12, exec_lo
                                        ; implicit-def: $vgpr9_vgpr10
	v_cmpx_gt_u32_e64 s31, v37
	s_cbranch_execz .LBB1341_37
; %bb.36:
	v_lshlrev_b32_e32 v9, 3, v37
	global_load_b64 v[9:10], v9, s[0:1]
.LBB1341_37:
	s_or_b32 exec_lo, exec_lo, s12
	s_delay_alu instid0(SALU_CYCLE_1)
	s_mov_b32 s12, exec_lo
                                        ; implicit-def: $vgpr11_vgpr12
	v_cmpx_gt_u32_e64 s31, v35
	s_cbranch_execz .LBB1341_39
; %bb.38:
	v_lshlrev_b32_e32 v11, 3, v35
	global_load_b64 v[11:12], v11, s[0:1]
.LBB1341_39:
	s_or_b32 exec_lo, exec_lo, s12
	s_delay_alu instid0(SALU_CYCLE_1)
	s_mov_b32 s12, exec_lo
                                        ; implicit-def: $vgpr13_vgpr14
	v_cmpx_gt_u32_e64 s31, v33
	s_cbranch_execz .LBB1341_41
; %bb.40:
	v_lshlrev_b32_e32 v13, 3, v33
	global_load_b64 v[13:14], v13, s[0:1]
.LBB1341_41:
	s_or_b32 exec_lo, exec_lo, s12
	s_delay_alu instid0(SALU_CYCLE_1)
	s_mov_b32 s12, exec_lo
                                        ; implicit-def: $vgpr15_vgpr16
	v_cmpx_gt_u32_e64 s31, v36
	s_cbranch_execz .LBB1341_43
; %bb.42:
	v_lshlrev_b32_e32 v15, 3, v36
	global_load_b64 v[15:16], v15, s[0:1]
.LBB1341_43:
	s_or_b32 exec_lo, exec_lo, s12
	v_lshrrev_b32_e32 v39, 2, v39
	v_lshrrev_b32_e32 v38, 2, v38
	;; [unrolled: 1-line block ×4, first 2 shown]
	v_and_b32_e32 v34, 0x78, v34
	v_lshrrev_b32_e32 v35, 2, v35
	v_lshrrev_b32_e32 v33, 2, v33
	;; [unrolled: 1-line block ×3, first 2 shown]
	v_and_b32_e32 v39, 0xf8, v39
	v_and_b32_e32 v38, 0x1f8, v38
	;; [unrolled: 1-line block ×4, first 2 shown]
	v_add_nc_u32_e32 v34, v34, v55
	v_and_b32_e32 v35, 0x3f8, v35
	v_and_b32_e32 v33, 0x3f8, v33
	;; [unrolled: 1-line block ×3, first 2 shown]
	v_add_nc_u32_e32 v39, v39, v55
	v_add_nc_u32_e32 v38, v38, v55
	;; [unrolled: 1-line block ×7, first 2 shown]
	s_waitcnt vmcnt(0)
	ds_store_b64 v34, v[1:2]
	ds_store_b64 v39, v[3:4] offset:4096
	ds_store_b64 v38, v[5:6] offset:8192
	;; [unrolled: 1-line block ×7, first 2 shown]
	s_waitcnt lgkmcnt(0)
	s_barrier
.LBB1341_44:
	buffer_gl0_inv
	ds_load_2addr_b64 v[13:16], v41 offset1:1
	ds_load_2addr_b64 v[9:12], v41 offset0:2 offset1:3
	ds_load_2addr_b64 v[5:8], v41 offset0:4 offset1:5
	;; [unrolled: 1-line block ×3, first 2 shown]
	s_cmp_lg_u32 s30, 0
	v_cmp_gt_i64_e64 s13, s[14:15], 0
	s_cselect_b32 s12, -1, 0
	s_cmp_lg_u64 s[6:7], 0
	s_mov_b32 s1, 0
	s_cselect_b32 s0, -1, 0
	s_waitcnt lgkmcnt(0)
	s_or_b32 s0, s0, s12
	s_barrier
	s_and_b32 vcc_lo, exec_lo, s0
	buffer_gl0_inv
	s_cbranch_vccz .LBB1341_53
; %bb.45:
	v_mov_b32_e32 v33, 0
	v_cndmask_b32_e64 v43, 0, 1, s13
	s_and_b32 vcc_lo, exec_lo, s29
	ds_store_b64 v55, v[19:20]
	global_load_b64 v[33:34], v33, s[4:5] offset:-8
	v_cmp_ne_u32_e64 s0, 1, v43
	s_cbranch_vccz .LBB1341_54
; %bb.46:
	v_mul_lo_u32 v37, v18, s14
	v_mul_lo_u32 v38, v17, s15
	v_mad_u64_u32 v[35:36], null, v17, s14, 0
	s_and_b32 vcc_lo, exec_lo, s0
	s_mov_b32 s24, 0
	s_delay_alu instid0(VALU_DEP_1) | instskip(NEXT) | instid1(VALU_DEP_1)
	v_add3_u32 v36, v36, v38, v37
	v_lshlrev_b64 v[35:36], 1, v[35:36]
	s_cbranch_vccnz .LBB1341_57
; %bb.47:
	v_mul_lo_u32 v39, v20, s14
	v_mul_lo_u32 v40, v19, s15
	v_mad_u64_u32 v[37:38], null, v19, s14, 0
	s_mov_b32 s24, -1
	s_mov_b32 s25, exec_lo
	s_delay_alu instid0(VALU_DEP_1) | instskip(SKIP_2) | instid1(VALU_DEP_3)
	v_add3_u32 v38, v38, v40, v39
	v_add_co_u32 v39, vcc_lo, s20, v35
	v_add_co_ci_u32_e32 v40, vcc_lo, s21, v36, vcc_lo
	v_lshlrev_b64 v[37:38], 1, v[37:38]
	s_delay_alu instid0(VALU_DEP_1) | instskip(NEXT) | instid1(VALU_DEP_2)
	v_add_co_u32 v37, vcc_lo, s20, v37
	v_add_co_ci_u32_e32 v38, vcc_lo, s21, v38, vcc_lo
	s_clause 0x1
	global_load_u16 v41, v[39:40], off
	global_load_u16 v42, v[37:38], off
	s_waitcnt vmcnt(0)
	v_cmpx_eq_f16_e32 v41, v42
	s_cbranch_execz .LBB1341_56
; %bb.48:
	v_add_co_u32 v37, vcc_lo, v37, 2
	v_add_co_ci_u32_e32 v38, vcc_lo, 0, v38, vcc_lo
	v_add_co_u32 v39, vcc_lo, v39, 2
	v_add_co_ci_u32_e32 v40, vcc_lo, 0, v40, vcc_lo
	s_add_u32 s4, s14, -1
	s_addc_u32 s5, s15, -1
	s_mov_b64 s[6:7], 0
	s_mov_b32 s24, 0
                                        ; implicit-def: $sgpr26
	s_set_inst_prefetch_distance 0x1
	s_branch .LBB1341_51
	.p2align	6
.LBB1341_49:                            ;   in Loop: Header=BB1341_51 Depth=1
	global_load_u16 v41, v[39:40], off
	global_load_u16 v42, v[37:38], off
	v_add_co_u32 v37, vcc_lo, v37, 2
	v_add_co_ci_u32_e32 v38, vcc_lo, 0, v38, vcc_lo
	v_add_co_u32 v39, s0, v39, 2
	s_delay_alu instid0(VALU_DEP_1)
	v_add_co_ci_u32_e64 v40, s0, 0, v40, s0
	s_add_u32 s6, s6, 1
	s_addc_u32 s7, s7, 0
	s_and_not1_b32 s0, s26, exec_lo
	s_waitcnt vmcnt(0)
	v_cmp_neq_f16_e32 vcc_lo, v41, v42
	s_and_b32 s26, vcc_lo, exec_lo
	s_delay_alu instid0(SALU_CYCLE_1)
	s_or_b32 s26, s0, s26
.LBB1341_50:                            ;   in Loop: Header=BB1341_51 Depth=1
	v_dual_mov_b32 v42, s7 :: v_dual_mov_b32 v41, s6
	s_and_b32 s0, exec_lo, s26
	s_delay_alu instid0(SALU_CYCLE_1) | instskip(NEXT) | instid1(SALU_CYCLE_1)
	s_or_b32 s24, s0, s24
	s_and_not1_b32 exec_lo, exec_lo, s24
	s_cbranch_execz .LBB1341_55
.LBB1341_51:                            ; =>This Inner Loop Header: Depth=1
	s_or_b32 s26, s26, exec_lo
	s_cmp_eq_u64 s[4:5], s[6:7]
	s_cbranch_scc0 .LBB1341_49
; %bb.52:                               ;   in Loop: Header=BB1341_51 Depth=1
	s_mov_b64 s[6:7], s[14:15]
                                        ; implicit-def: $vgpr37_vgpr38
                                        ; implicit-def: $vgpr39_vgpr40
	s_branch .LBB1341_50
.LBB1341_53:
                                        ; implicit-def: $sgpr0
                                        ; implicit-def: $vgpr36
	s_branch .LBB1341_215
.LBB1341_54:
                                        ; implicit-def: $sgpr0
                                        ; implicit-def: $vgpr36
	s_cbranch_execnz .LBB1341_123
	s_branch .LBB1341_214
.LBB1341_55:
	s_set_inst_prefetch_distance 0x2
	s_or_b32 exec_lo, exec_lo, s24
	v_cmp_gt_i64_e32 vcc_lo, s[14:15], v[41:42]
	s_or_not1_b32 s24, vcc_lo, exec_lo
.LBB1341_56:
	s_or_b32 exec_lo, exec_lo, s25
.LBB1341_57:
	v_mul_lo_u32 v39, v24, s14
	v_mul_lo_u32 v40, v23, s15
	v_mad_u64_u32 v[37:38], null, v23, s14, 0
	s_and_not1_b32 vcc_lo, exec_lo, s13
	s_delay_alu instid0(VALU_DEP_1) | instskip(NEXT) | instid1(VALU_DEP_1)
	v_add3_u32 v38, v38, v40, v39
	v_lshlrev_b64 v[37:38], 1, v[37:38]
	s_cbranch_vccnz .LBB1341_66
; %bb.58:
	s_delay_alu instid0(VALU_DEP_1) | instskip(NEXT) | instid1(VALU_DEP_2)
	v_add_co_u32 v39, vcc_lo, s20, v37
	v_add_co_ci_u32_e32 v40, vcc_lo, s21, v38, vcc_lo
	v_add_co_u32 v35, vcc_lo, s20, v35
	v_add_co_ci_u32_e32 v36, vcc_lo, s21, v36, vcc_lo
	s_mov_b32 s1, -1
	s_clause 0x1
	global_load_u16 v41, v[39:40], off
	global_load_u16 v42, v[35:36], off
	s_mov_b32 s25, exec_lo
	s_waitcnt vmcnt(0)
	v_cmpx_eq_f16_e32 v41, v42
	s_cbranch_execz .LBB1341_65
; %bb.59:
	v_add_co_u32 v35, vcc_lo, v35, 2
	v_add_co_ci_u32_e32 v36, vcc_lo, 0, v36, vcc_lo
	v_add_co_u32 v39, vcc_lo, v39, 2
	v_add_co_ci_u32_e32 v40, vcc_lo, 0, v40, vcc_lo
	s_add_u32 s4, s14, -1
	s_addc_u32 s5, s15, -1
	s_mov_b64 s[6:7], 0
	s_mov_b32 s1, 0
                                        ; implicit-def: $sgpr26
	s_set_inst_prefetch_distance 0x1
	s_branch .LBB1341_62
	.p2align	6
.LBB1341_60:                            ;   in Loop: Header=BB1341_62 Depth=1
	global_load_u16 v41, v[39:40], off
	global_load_u16 v42, v[35:36], off
	v_add_co_u32 v35, vcc_lo, v35, 2
	v_add_co_ci_u32_e32 v36, vcc_lo, 0, v36, vcc_lo
	v_add_co_u32 v39, s0, v39, 2
	s_delay_alu instid0(VALU_DEP_1)
	v_add_co_ci_u32_e64 v40, s0, 0, v40, s0
	s_add_u32 s6, s6, 1
	s_addc_u32 s7, s7, 0
	s_and_not1_b32 s0, s26, exec_lo
	s_waitcnt vmcnt(0)
	v_cmp_neq_f16_e32 vcc_lo, v41, v42
	s_and_b32 s26, vcc_lo, exec_lo
	s_delay_alu instid0(SALU_CYCLE_1)
	s_or_b32 s26, s0, s26
.LBB1341_61:                            ;   in Loop: Header=BB1341_62 Depth=1
	v_dual_mov_b32 v42, s7 :: v_dual_mov_b32 v41, s6
	s_and_b32 s0, exec_lo, s26
	s_delay_alu instid0(SALU_CYCLE_1) | instskip(NEXT) | instid1(SALU_CYCLE_1)
	s_or_b32 s1, s0, s1
	s_and_not1_b32 exec_lo, exec_lo, s1
	s_cbranch_execz .LBB1341_64
.LBB1341_62:                            ; =>This Inner Loop Header: Depth=1
	s_or_b32 s26, s26, exec_lo
	s_cmp_eq_u64 s[4:5], s[6:7]
	s_cbranch_scc0 .LBB1341_60
; %bb.63:                               ;   in Loop: Header=BB1341_62 Depth=1
	s_mov_b64 s[6:7], s[14:15]
                                        ; implicit-def: $vgpr35_vgpr36
                                        ; implicit-def: $vgpr39_vgpr40
	s_branch .LBB1341_61
.LBB1341_64:
	s_set_inst_prefetch_distance 0x2
	s_or_b32 exec_lo, exec_lo, s1
	v_cmp_gt_i64_e32 vcc_lo, s[14:15], v[41:42]
	s_or_not1_b32 s1, vcc_lo, exec_lo
.LBB1341_65:
	s_or_b32 exec_lo, exec_lo, s25
.LBB1341_66:
	v_mul_lo_u32 v39, v22, s14
	v_mul_lo_u32 v40, v21, s15
	v_mad_u64_u32 v[35:36], null, v21, s14, 0
	s_mov_b32 s25, 0
	s_and_not1_b32 vcc_lo, exec_lo, s13
	s_mov_b32 s26, 0
	s_delay_alu instid0(VALU_DEP_1) | instskip(NEXT) | instid1(VALU_DEP_1)
	v_add3_u32 v36, v36, v40, v39
	v_lshlrev_b64 v[39:40], 1, v[35:36]
	s_cbranch_vccnz .LBB1341_75
; %bb.67:
	s_delay_alu instid0(VALU_DEP_1) | instskip(NEXT) | instid1(VALU_DEP_2)
	v_add_co_u32 v41, vcc_lo, s20, v39
	v_add_co_ci_u32_e32 v42, vcc_lo, s21, v40, vcc_lo
	v_add_co_u32 v35, vcc_lo, s20, v37
	v_add_co_ci_u32_e32 v36, vcc_lo, s21, v38, vcc_lo
	s_mov_b32 s26, -1
	s_clause 0x1
	global_load_u16 v37, v[41:42], off
	global_load_u16 v38, v[35:36], off
	s_mov_b32 s27, exec_lo
	s_waitcnt vmcnt(0)
	v_cmpx_eq_f16_e32 v37, v38
	s_cbranch_execz .LBB1341_74
; %bb.68:
	v_add_co_u32 v35, vcc_lo, v35, 2
	v_add_co_ci_u32_e32 v36, vcc_lo, 0, v36, vcc_lo
	v_add_co_u32 v37, vcc_lo, v41, 2
	v_add_co_ci_u32_e32 v38, vcc_lo, 0, v42, vcc_lo
	s_add_u32 s4, s14, -1
	s_addc_u32 s5, s15, -1
	s_mov_b64 s[6:7], 0
	s_mov_b32 s26, 0
                                        ; implicit-def: $sgpr34
	s_set_inst_prefetch_distance 0x1
	s_branch .LBB1341_71
	.p2align	6
.LBB1341_69:                            ;   in Loop: Header=BB1341_71 Depth=1
	global_load_u16 v41, v[37:38], off
	global_load_u16 v42, v[35:36], off
	v_add_co_u32 v35, vcc_lo, v35, 2
	v_add_co_ci_u32_e32 v36, vcc_lo, 0, v36, vcc_lo
	v_add_co_u32 v37, s0, v37, 2
	s_delay_alu instid0(VALU_DEP_1)
	v_add_co_ci_u32_e64 v38, s0, 0, v38, s0
	s_add_u32 s6, s6, 1
	s_addc_u32 s7, s7, 0
	s_and_not1_b32 s0, s34, exec_lo
	s_waitcnt vmcnt(0)
	v_cmp_neq_f16_e32 vcc_lo, v41, v42
	s_and_b32 s34, vcc_lo, exec_lo
	s_delay_alu instid0(SALU_CYCLE_1)
	s_or_b32 s34, s0, s34
.LBB1341_70:                            ;   in Loop: Header=BB1341_71 Depth=1
	v_dual_mov_b32 v42, s7 :: v_dual_mov_b32 v41, s6
	s_and_b32 s0, exec_lo, s34
	s_delay_alu instid0(SALU_CYCLE_1) | instskip(NEXT) | instid1(SALU_CYCLE_1)
	s_or_b32 s26, s0, s26
	s_and_not1_b32 exec_lo, exec_lo, s26
	s_cbranch_execz .LBB1341_73
.LBB1341_71:                            ; =>This Inner Loop Header: Depth=1
	s_or_b32 s34, s34, exec_lo
	s_cmp_eq_u64 s[4:5], s[6:7]
	s_cbranch_scc0 .LBB1341_69
; %bb.72:                               ;   in Loop: Header=BB1341_71 Depth=1
	s_mov_b64 s[6:7], s[14:15]
                                        ; implicit-def: $vgpr35_vgpr36
                                        ; implicit-def: $vgpr37_vgpr38
	s_branch .LBB1341_70
.LBB1341_73:
	s_set_inst_prefetch_distance 0x2
	s_or_b32 exec_lo, exec_lo, s26
	v_cmp_gt_i64_e32 vcc_lo, s[14:15], v[41:42]
	s_or_not1_b32 s26, vcc_lo, exec_lo
.LBB1341_74:
	s_or_b32 exec_lo, exec_lo, s27
.LBB1341_75:
	v_mul_lo_u32 v37, v28, s14
	v_mul_lo_u32 v38, v27, s15
	v_mad_u64_u32 v[35:36], null, v27, s14, 0
	s_and_not1_b32 vcc_lo, exec_lo, s13
	s_delay_alu instid0(VALU_DEP_1) | instskip(NEXT) | instid1(VALU_DEP_1)
	v_add3_u32 v36, v36, v38, v37
	v_lshlrev_b64 v[35:36], 1, v[35:36]
	s_cbranch_vccnz .LBB1341_84
; %bb.76:
	s_delay_alu instid0(VALU_DEP_1) | instskip(NEXT) | instid1(VALU_DEP_2)
	v_add_co_u32 v41, vcc_lo, s20, v35
	v_add_co_ci_u32_e32 v42, vcc_lo, s21, v36, vcc_lo
	v_add_co_u32 v37, vcc_lo, s20, v39
	v_add_co_ci_u32_e32 v38, vcc_lo, s21, v40, vcc_lo
	s_mov_b32 s25, -1
	s_clause 0x1
	global_load_u16 v39, v[41:42], off
	global_load_u16 v40, v[37:38], off
	s_mov_b32 s27, exec_lo
	s_waitcnt vmcnt(0)
	v_cmpx_eq_f16_e32 v39, v40
	s_cbranch_execz .LBB1341_83
; %bb.77:
	v_add_co_u32 v37, vcc_lo, v37, 2
	v_add_co_ci_u32_e32 v38, vcc_lo, 0, v38, vcc_lo
	v_add_co_u32 v39, vcc_lo, v41, 2
	v_add_co_ci_u32_e32 v40, vcc_lo, 0, v42, vcc_lo
	s_add_u32 s4, s14, -1
	s_addc_u32 s5, s15, -1
	s_mov_b64 s[6:7], 0
	s_mov_b32 s25, 0
                                        ; implicit-def: $sgpr34
	s_set_inst_prefetch_distance 0x1
	s_branch .LBB1341_80
	.p2align	6
.LBB1341_78:                            ;   in Loop: Header=BB1341_80 Depth=1
	global_load_u16 v41, v[39:40], off
	global_load_u16 v42, v[37:38], off
	v_add_co_u32 v37, vcc_lo, v37, 2
	v_add_co_ci_u32_e32 v38, vcc_lo, 0, v38, vcc_lo
	v_add_co_u32 v39, s0, v39, 2
	s_delay_alu instid0(VALU_DEP_1)
	v_add_co_ci_u32_e64 v40, s0, 0, v40, s0
	s_add_u32 s6, s6, 1
	s_addc_u32 s7, s7, 0
	s_and_not1_b32 s0, s34, exec_lo
	s_waitcnt vmcnt(0)
	v_cmp_neq_f16_e32 vcc_lo, v41, v42
	s_and_b32 s34, vcc_lo, exec_lo
	s_delay_alu instid0(SALU_CYCLE_1)
	s_or_b32 s34, s0, s34
.LBB1341_79:                            ;   in Loop: Header=BB1341_80 Depth=1
	v_dual_mov_b32 v42, s7 :: v_dual_mov_b32 v41, s6
	s_and_b32 s0, exec_lo, s34
	s_delay_alu instid0(SALU_CYCLE_1) | instskip(NEXT) | instid1(SALU_CYCLE_1)
	s_or_b32 s25, s0, s25
	s_and_not1_b32 exec_lo, exec_lo, s25
	s_cbranch_execz .LBB1341_82
.LBB1341_80:                            ; =>This Inner Loop Header: Depth=1
	s_or_b32 s34, s34, exec_lo
	s_cmp_eq_u64 s[4:5], s[6:7]
	s_cbranch_scc0 .LBB1341_78
; %bb.81:                               ;   in Loop: Header=BB1341_80 Depth=1
	s_mov_b64 s[6:7], s[14:15]
                                        ; implicit-def: $vgpr37_vgpr38
                                        ; implicit-def: $vgpr39_vgpr40
	s_branch .LBB1341_79
.LBB1341_82:
	s_set_inst_prefetch_distance 0x2
	s_or_b32 exec_lo, exec_lo, s25
	v_cmp_gt_i64_e32 vcc_lo, s[14:15], v[41:42]
	s_or_not1_b32 s25, vcc_lo, exec_lo
.LBB1341_83:
	s_or_b32 exec_lo, exec_lo, s27
.LBB1341_84:
	v_mul_lo_u32 v39, v26, s14
	v_mul_lo_u32 v40, v25, s15
	v_mad_u64_u32 v[37:38], null, v25, s14, 0
	s_mov_b32 s27, 0
	s_and_not1_b32 vcc_lo, exec_lo, s13
	s_mov_b32 s34, 0
	s_delay_alu instid0(VALU_DEP_1) | instskip(NEXT) | instid1(VALU_DEP_1)
	v_add3_u32 v38, v38, v40, v39
	v_lshlrev_b64 v[39:40], 1, v[37:38]
	s_cbranch_vccnz .LBB1341_93
; %bb.85:
	s_delay_alu instid0(VALU_DEP_1) | instskip(NEXT) | instid1(VALU_DEP_2)
	v_add_co_u32 v37, vcc_lo, s20, v39
	v_add_co_ci_u32_e32 v38, vcc_lo, s21, v40, vcc_lo
	v_add_co_u32 v35, vcc_lo, s20, v35
	v_add_co_ci_u32_e32 v36, vcc_lo, s21, v36, vcc_lo
	s_mov_b32 s34, -1
	s_clause 0x1
	global_load_u16 v41, v[37:38], off
	global_load_u16 v42, v[35:36], off
	s_mov_b32 s35, exec_lo
	s_waitcnt vmcnt(0)
	v_cmpx_eq_f16_e32 v41, v42
	s_cbranch_execz .LBB1341_92
; %bb.86:
	v_add_co_u32 v35, vcc_lo, v35, 2
	v_add_co_ci_u32_e32 v36, vcc_lo, 0, v36, vcc_lo
	v_add_co_u32 v37, vcc_lo, v37, 2
	v_add_co_ci_u32_e32 v38, vcc_lo, 0, v38, vcc_lo
	s_add_u32 s4, s14, -1
	s_addc_u32 s5, s15, -1
	s_mov_b64 s[6:7], 0
	s_mov_b32 s34, 0
                                        ; implicit-def: $sgpr36
	s_set_inst_prefetch_distance 0x1
	s_branch .LBB1341_89
	.p2align	6
.LBB1341_87:                            ;   in Loop: Header=BB1341_89 Depth=1
	global_load_u16 v41, v[37:38], off
	global_load_u16 v42, v[35:36], off
	v_add_co_u32 v35, vcc_lo, v35, 2
	v_add_co_ci_u32_e32 v36, vcc_lo, 0, v36, vcc_lo
	v_add_co_u32 v37, s0, v37, 2
	s_delay_alu instid0(VALU_DEP_1)
	v_add_co_ci_u32_e64 v38, s0, 0, v38, s0
	s_add_u32 s6, s6, 1
	s_addc_u32 s7, s7, 0
	s_and_not1_b32 s0, s36, exec_lo
	s_waitcnt vmcnt(0)
	v_cmp_neq_f16_e32 vcc_lo, v41, v42
	s_and_b32 s36, vcc_lo, exec_lo
	s_delay_alu instid0(SALU_CYCLE_1)
	s_or_b32 s36, s0, s36
.LBB1341_88:                            ;   in Loop: Header=BB1341_89 Depth=1
	v_dual_mov_b32 v42, s7 :: v_dual_mov_b32 v41, s6
	s_and_b32 s0, exec_lo, s36
	s_delay_alu instid0(SALU_CYCLE_1) | instskip(NEXT) | instid1(SALU_CYCLE_1)
	s_or_b32 s34, s0, s34
	s_and_not1_b32 exec_lo, exec_lo, s34
	s_cbranch_execz .LBB1341_91
.LBB1341_89:                            ; =>This Inner Loop Header: Depth=1
	s_or_b32 s36, s36, exec_lo
	s_cmp_eq_u64 s[4:5], s[6:7]
	s_cbranch_scc0 .LBB1341_87
; %bb.90:                               ;   in Loop: Header=BB1341_89 Depth=1
	s_mov_b64 s[6:7], s[14:15]
                                        ; implicit-def: $vgpr35_vgpr36
                                        ; implicit-def: $vgpr37_vgpr38
	s_branch .LBB1341_88
.LBB1341_91:
	s_set_inst_prefetch_distance 0x2
	s_or_b32 exec_lo, exec_lo, s34
	v_cmp_gt_i64_e32 vcc_lo, s[14:15], v[41:42]
	s_or_not1_b32 s34, vcc_lo, exec_lo
.LBB1341_92:
	s_or_b32 exec_lo, exec_lo, s35
.LBB1341_93:
	v_mul_lo_u32 v37, v32, s14
	v_mul_lo_u32 v38, v31, s15
	v_mad_u64_u32 v[35:36], null, v31, s14, 0
	s_and_not1_b32 vcc_lo, exec_lo, s13
	s_delay_alu instid0(VALU_DEP_1) | instskip(NEXT) | instid1(VALU_DEP_1)
	v_add3_u32 v36, v36, v38, v37
	v_lshlrev_b64 v[37:38], 1, v[35:36]
	s_cbranch_vccnz .LBB1341_102
; %bb.94:
	s_delay_alu instid0(VALU_DEP_1) | instskip(NEXT) | instid1(VALU_DEP_2)
	v_add_co_u32 v41, vcc_lo, s20, v37
	v_add_co_ci_u32_e32 v42, vcc_lo, s21, v38, vcc_lo
	v_add_co_u32 v35, vcc_lo, s20, v39
	v_add_co_ci_u32_e32 v36, vcc_lo, s21, v40, vcc_lo
	s_mov_b32 s27, -1
	s_clause 0x1
	global_load_u16 v39, v[41:42], off
	global_load_u16 v40, v[35:36], off
	s_mov_b32 s35, exec_lo
	s_waitcnt vmcnt(0)
	v_cmpx_eq_f16_e32 v39, v40
	s_cbranch_execz .LBB1341_101
; %bb.95:
	v_add_co_u32 v35, vcc_lo, v35, 2
	v_add_co_ci_u32_e32 v36, vcc_lo, 0, v36, vcc_lo
	v_add_co_u32 v39, vcc_lo, v41, 2
	v_add_co_ci_u32_e32 v40, vcc_lo, 0, v42, vcc_lo
	s_add_u32 s4, s14, -1
	s_addc_u32 s5, s15, -1
	s_mov_b64 s[6:7], 0
	s_mov_b32 s27, 0
                                        ; implicit-def: $sgpr36
	s_set_inst_prefetch_distance 0x1
	s_branch .LBB1341_98
	.p2align	6
.LBB1341_96:                            ;   in Loop: Header=BB1341_98 Depth=1
	global_load_u16 v41, v[39:40], off
	global_load_u16 v42, v[35:36], off
	v_add_co_u32 v35, vcc_lo, v35, 2
	v_add_co_ci_u32_e32 v36, vcc_lo, 0, v36, vcc_lo
	v_add_co_u32 v39, s0, v39, 2
	s_delay_alu instid0(VALU_DEP_1)
	v_add_co_ci_u32_e64 v40, s0, 0, v40, s0
	s_add_u32 s6, s6, 1
	s_addc_u32 s7, s7, 0
	s_and_not1_b32 s0, s36, exec_lo
	s_waitcnt vmcnt(0)
	v_cmp_neq_f16_e32 vcc_lo, v41, v42
	s_and_b32 s36, vcc_lo, exec_lo
	s_delay_alu instid0(SALU_CYCLE_1)
	s_or_b32 s36, s0, s36
.LBB1341_97:                            ;   in Loop: Header=BB1341_98 Depth=1
	v_dual_mov_b32 v42, s7 :: v_dual_mov_b32 v41, s6
	s_and_b32 s0, exec_lo, s36
	s_delay_alu instid0(SALU_CYCLE_1) | instskip(NEXT) | instid1(SALU_CYCLE_1)
	s_or_b32 s27, s0, s27
	s_and_not1_b32 exec_lo, exec_lo, s27
	s_cbranch_execz .LBB1341_100
.LBB1341_98:                            ; =>This Inner Loop Header: Depth=1
	s_or_b32 s36, s36, exec_lo
	s_cmp_eq_u64 s[4:5], s[6:7]
	s_cbranch_scc0 .LBB1341_96
; %bb.99:                               ;   in Loop: Header=BB1341_98 Depth=1
	s_mov_b64 s[6:7], s[14:15]
                                        ; implicit-def: $vgpr35_vgpr36
                                        ; implicit-def: $vgpr39_vgpr40
	s_branch .LBB1341_97
.LBB1341_100:
	s_set_inst_prefetch_distance 0x2
	s_or_b32 exec_lo, exec_lo, s27
	v_cmp_gt_i64_e32 vcc_lo, s[14:15], v[41:42]
	s_or_not1_b32 s27, vcc_lo, exec_lo
.LBB1341_101:
	s_or_b32 exec_lo, exec_lo, s35
.LBB1341_102:
	v_mul_lo_u32 v39, v30, s14
	v_mul_lo_u32 v40, v29, s15
	v_mad_u64_u32 v[35:36], null, v29, s14, 0
	s_and_not1_b32 vcc_lo, exec_lo, s13
	s_mov_b32 s0, 0
	s_delay_alu instid0(VALU_DEP_1) | instskip(NEXT) | instid1(VALU_DEP_1)
	v_add3_u32 v36, v36, v40, v39
	v_lshlrev_b64 v[35:36], 1, v[35:36]
	s_cbranch_vccnz .LBB1341_111
; %bb.103:
	s_delay_alu instid0(VALU_DEP_1) | instskip(NEXT) | instid1(VALU_DEP_2)
	v_add_co_u32 v39, vcc_lo, s20, v35
	v_add_co_ci_u32_e32 v40, vcc_lo, s21, v36, vcc_lo
	v_add_co_u32 v37, vcc_lo, s20, v37
	v_add_co_ci_u32_e32 v38, vcc_lo, s21, v38, vcc_lo
	s_mov_b32 s0, -1
	s_clause 0x1
	global_load_u16 v41, v[39:40], off
	global_load_u16 v42, v[37:38], off
	s_mov_b32 s35, exec_lo
	s_waitcnt vmcnt(0)
	v_cmpx_eq_f16_e32 v41, v42
	s_cbranch_execz .LBB1341_110
; %bb.104:
	v_add_co_u32 v37, vcc_lo, v37, 2
	v_add_co_ci_u32_e32 v38, vcc_lo, 0, v38, vcc_lo
	v_add_co_u32 v39, vcc_lo, v39, 2
	v_add_co_ci_u32_e32 v40, vcc_lo, 0, v40, vcc_lo
	s_add_u32 s4, s14, -1
	s_addc_u32 s5, s15, -1
	s_mov_b64 s[6:7], 0
	s_mov_b32 s36, 0
                                        ; implicit-def: $sgpr37
	s_set_inst_prefetch_distance 0x1
	s_branch .LBB1341_107
	.p2align	6
.LBB1341_105:                           ;   in Loop: Header=BB1341_107 Depth=1
	global_load_u16 v41, v[39:40], off
	global_load_u16 v42, v[37:38], off
	v_add_co_u32 v37, vcc_lo, v37, 2
	v_add_co_ci_u32_e32 v38, vcc_lo, 0, v38, vcc_lo
	v_add_co_u32 v39, s0, v39, 2
	s_delay_alu instid0(VALU_DEP_1)
	v_add_co_ci_u32_e64 v40, s0, 0, v40, s0
	s_add_u32 s6, s6, 1
	s_addc_u32 s7, s7, 0
	s_and_not1_b32 s0, s37, exec_lo
	s_waitcnt vmcnt(0)
	v_cmp_neq_f16_e32 vcc_lo, v41, v42
	s_and_b32 s37, vcc_lo, exec_lo
	s_delay_alu instid0(SALU_CYCLE_1)
	s_or_b32 s37, s0, s37
.LBB1341_106:                           ;   in Loop: Header=BB1341_107 Depth=1
	v_dual_mov_b32 v42, s7 :: v_dual_mov_b32 v41, s6
	s_and_b32 s0, exec_lo, s37
	s_delay_alu instid0(SALU_CYCLE_1) | instskip(NEXT) | instid1(SALU_CYCLE_1)
	s_or_b32 s36, s0, s36
	s_and_not1_b32 exec_lo, exec_lo, s36
	s_cbranch_execz .LBB1341_109
.LBB1341_107:                           ; =>This Inner Loop Header: Depth=1
	s_or_b32 s37, s37, exec_lo
	s_cmp_eq_u64 s[4:5], s[6:7]
	s_cbranch_scc0 .LBB1341_105
; %bb.108:                              ;   in Loop: Header=BB1341_107 Depth=1
	s_mov_b64 s[6:7], s[14:15]
                                        ; implicit-def: $vgpr37_vgpr38
                                        ; implicit-def: $vgpr39_vgpr40
	s_branch .LBB1341_106
.LBB1341_109:
	s_set_inst_prefetch_distance 0x2
	s_or_b32 exec_lo, exec_lo, s36
	v_cmp_gt_i64_e32 vcc_lo, s[14:15], v[41:42]
	s_or_not1_b32 s0, vcc_lo, exec_lo
.LBB1341_110:
	s_or_b32 exec_lo, exec_lo, s35
.LBB1341_111:
	s_waitcnt vmcnt(0)
	v_dual_mov_b32 v38, v34 :: v_dual_mov_b32 v37, v33
	s_waitcnt lgkmcnt(0)
	s_barrier
	buffer_gl0_inv
	s_and_saveexec_b32 s4, s3
	s_cbranch_execz .LBB1341_113
; %bb.112:
	v_add_nc_u32_e32 v37, -8, v55
	ds_load_b64 v[37:38], v37
.LBB1341_113:
	s_or_b32 exec_lo, exec_lo, s4
	v_cndmask_b32_e64 v40, 0, 1, s34
	v_cndmask_b32_e64 v42, 0, 1, s26
	;; [unrolled: 1-line block ×7, first 2 shown]
	v_lshlrev_b16 v40, 8, v40
	v_lshlrev_b16 v42, 8, v42
	;; [unrolled: 1-line block ×4, first 2 shown]
	s_mov_b32 s1, 0
	v_or_b32_e32 v39, v39, v40
	v_or_b32_e32 v40, v41, v42
	;; [unrolled: 1-line block ×3, first 2 shown]
	v_and_b32_e32 v41, 0xffff, v45
	s_and_not1_b32 vcc_lo, exec_lo, s13
	v_lshlrev_b32_e32 v42, 16, v39
	v_and_b32_e32 v44, 0xffff, v40
	v_lshlrev_b32_e32 v45, 16, v46
	s_mov_b32 s0, 0
	s_cbranch_vccnz .LBB1341_122
; %bb.114:
	s_waitcnt lgkmcnt(0)
	v_mul_lo_u32 v40, v38, s14
	v_mul_lo_u32 v46, v37, s15
	v_mad_u64_u32 v[38:39], null, v37, s14, 0
	s_mov_b32 s0, -1
	s_mov_b32 s24, exec_lo
	s_delay_alu instid0(VALU_DEP_1) | instskip(NEXT) | instid1(VALU_DEP_1)
	v_add3_u32 v39, v39, v46, v40
	v_lshlrev_b64 v[37:38], 1, v[38:39]
	s_delay_alu instid0(VALU_DEP_1) | instskip(NEXT) | instid1(VALU_DEP_2)
	v_add_co_u32 v37, vcc_lo, s20, v37
	v_add_co_ci_u32_e32 v38, vcc_lo, s21, v38, vcc_lo
	v_add_co_u32 v35, vcc_lo, s20, v35
	v_add_co_ci_u32_e32 v36, vcc_lo, s21, v36, vcc_lo
	s_clause 0x1
	global_load_u16 v39, v[37:38], off
	global_load_u16 v40, v[35:36], off
	s_waitcnt vmcnt(0)
	v_cmpx_eq_f16_e32 v39, v40
	s_cbranch_execz .LBB1341_121
; %bb.115:
	v_add_co_u32 v35, vcc_lo, v35, 2
	v_add_co_ci_u32_e32 v36, vcc_lo, 0, v36, vcc_lo
	v_add_co_u32 v37, vcc_lo, v37, 2
	v_add_co_ci_u32_e32 v38, vcc_lo, 0, v38, vcc_lo
	s_add_u32 s4, s14, -1
	s_addc_u32 s5, s15, -1
	s_mov_b64 s[6:7], 0
	s_mov_b32 s25, 0
                                        ; implicit-def: $sgpr26
	s_set_inst_prefetch_distance 0x1
	s_branch .LBB1341_118
	.p2align	6
.LBB1341_116:                           ;   in Loop: Header=BB1341_118 Depth=1
	global_load_u16 v39, v[37:38], off
	global_load_u16 v40, v[35:36], off
	v_add_co_u32 v35, vcc_lo, v35, 2
	v_add_co_ci_u32_e32 v36, vcc_lo, 0, v36, vcc_lo
	v_add_co_u32 v37, s0, v37, 2
	s_delay_alu instid0(VALU_DEP_1)
	v_add_co_ci_u32_e64 v38, s0, 0, v38, s0
	s_add_u32 s6, s6, 1
	s_addc_u32 s7, s7, 0
	s_and_not1_b32 s0, s26, exec_lo
	s_waitcnt vmcnt(0)
	v_cmp_neq_f16_e32 vcc_lo, v39, v40
	s_and_b32 s26, vcc_lo, exec_lo
	s_delay_alu instid0(SALU_CYCLE_1)
	s_or_b32 s26, s0, s26
.LBB1341_117:                           ;   in Loop: Header=BB1341_118 Depth=1
	v_dual_mov_b32 v40, s7 :: v_dual_mov_b32 v39, s6
	s_and_b32 s0, exec_lo, s26
	s_delay_alu instid0(SALU_CYCLE_1) | instskip(NEXT) | instid1(SALU_CYCLE_1)
	s_or_b32 s25, s0, s25
	s_and_not1_b32 exec_lo, exec_lo, s25
	s_cbranch_execz .LBB1341_120
.LBB1341_118:                           ; =>This Inner Loop Header: Depth=1
	s_or_b32 s26, s26, exec_lo
	s_cmp_eq_u64 s[4:5], s[6:7]
	s_cbranch_scc0 .LBB1341_116
; %bb.119:                              ;   in Loop: Header=BB1341_118 Depth=1
	s_mov_b64 s[6:7], s[14:15]
                                        ; implicit-def: $vgpr35_vgpr36
                                        ; implicit-def: $vgpr37_vgpr38
	s_branch .LBB1341_117
.LBB1341_120:
	s_set_inst_prefetch_distance 0x2
	s_or_b32 exec_lo, exec_lo, s25
	v_cmp_gt_i64_e32 vcc_lo, s[14:15], v[39:40]
	s_or_not1_b32 s0, vcc_lo, exec_lo
.LBB1341_121:
	s_or_b32 exec_lo, exec_lo, s24
.LBB1341_122:
	v_or_b32_e32 v35, v41, v42
	s_delay_alu instid0(VALU_DEP_2)
	v_or_b32_e32 v36, v44, v45
	s_and_b32 vcc_lo, exec_lo, s1
	s_cbranch_vccz .LBB1341_214
.LBB1341_123:
	v_or_b32_e32 v35, 7, v55
	s_mov_b32 s1, 0
	s_mov_b32 s24, 0
	s_mov_b32 s25, exec_lo
	s_delay_alu instid0(VALU_DEP_1)
	v_cmpx_gt_u32_e64 s31, v35
	s_cbranch_execz .LBB1341_134
; %bb.124:
	s_and_not1_b32 vcc_lo, exec_lo, s13
	s_mov_b32 s0, 0
	s_cbranch_vccnz .LBB1341_133
; %bb.125:
	v_mul_lo_u32 v39, v18, s14
	v_mul_lo_u32 v40, v17, s15
	v_mad_u64_u32 v[35:36], null, v17, s14, 0
	v_mul_lo_u32 v41, v20, s14
	v_mul_lo_u32 v42, v19, s15
	s_waitcnt lgkmcnt(0)
	v_mad_u64_u32 v[37:38], null, v19, s14, 0
	s_mov_b32 s0, -1
	s_mov_b32 s13, exec_lo
	s_delay_alu instid0(VALU_DEP_4) | instskip(NEXT) | instid1(VALU_DEP_2)
	v_add3_u32 v36, v36, v40, v39
	v_add3_u32 v38, v38, v42, v41
	s_delay_alu instid0(VALU_DEP_2) | instskip(NEXT) | instid1(VALU_DEP_2)
	v_lshlrev_b64 v[35:36], 1, v[35:36]
	v_lshlrev_b64 v[39:40], 1, v[37:38]
	s_delay_alu instid0(VALU_DEP_2) | instskip(NEXT) | instid1(VALU_DEP_3)
	v_add_co_u32 v37, vcc_lo, s20, v35
	v_add_co_ci_u32_e32 v38, vcc_lo, s21, v36, vcc_lo
	s_delay_alu instid0(VALU_DEP_3) | instskip(NEXT) | instid1(VALU_DEP_4)
	v_add_co_u32 v35, vcc_lo, s20, v39
	v_add_co_ci_u32_e32 v36, vcc_lo, s21, v40, vcc_lo
	s_clause 0x1
	global_load_u16 v39, v[37:38], off
	global_load_u16 v40, v[35:36], off
	s_waitcnt vmcnt(0)
	v_cmpx_eq_f16_e32 v39, v40
	s_cbranch_execz .LBB1341_132
; %bb.126:
	v_add_co_u32 v35, vcc_lo, v35, 2
	v_add_co_ci_u32_e32 v36, vcc_lo, 0, v36, vcc_lo
	v_add_co_u32 v37, vcc_lo, v37, 2
	v_add_co_ci_u32_e32 v38, vcc_lo, 0, v38, vcc_lo
	s_add_u32 s4, s14, -1
	s_addc_u32 s5, s15, -1
	s_mov_b64 s[6:7], 0
                                        ; implicit-def: $sgpr26
	s_set_inst_prefetch_distance 0x1
	s_branch .LBB1341_129
	.p2align	6
.LBB1341_127:                           ;   in Loop: Header=BB1341_129 Depth=1
	global_load_u16 v39, v[37:38], off
	global_load_u16 v40, v[35:36], off
	v_add_co_u32 v35, vcc_lo, v35, 2
	v_add_co_ci_u32_e32 v36, vcc_lo, 0, v36, vcc_lo
	v_add_co_u32 v37, s0, v37, 2
	s_delay_alu instid0(VALU_DEP_1)
	v_add_co_ci_u32_e64 v38, s0, 0, v38, s0
	s_add_u32 s6, s6, 1
	s_addc_u32 s7, s7, 0
	s_and_not1_b32 s0, s26, exec_lo
	s_waitcnt vmcnt(0)
	v_cmp_neq_f16_e32 vcc_lo, v39, v40
	s_and_b32 s26, vcc_lo, exec_lo
	s_delay_alu instid0(SALU_CYCLE_1)
	s_or_b32 s26, s0, s26
.LBB1341_128:                           ;   in Loop: Header=BB1341_129 Depth=1
	v_dual_mov_b32 v40, s7 :: v_dual_mov_b32 v39, s6
	s_and_b32 s0, exec_lo, s26
	s_delay_alu instid0(SALU_CYCLE_1) | instskip(NEXT) | instid1(SALU_CYCLE_1)
	s_or_b32 s24, s0, s24
	s_and_not1_b32 exec_lo, exec_lo, s24
	s_cbranch_execz .LBB1341_131
.LBB1341_129:                           ; =>This Inner Loop Header: Depth=1
	s_or_b32 s26, s26, exec_lo
	s_cmp_eq_u64 s[4:5], s[6:7]
	s_cbranch_scc0 .LBB1341_127
; %bb.130:                              ;   in Loop: Header=BB1341_129 Depth=1
	s_mov_b64 s[6:7], s[14:15]
                                        ; implicit-def: $vgpr35_vgpr36
                                        ; implicit-def: $vgpr37_vgpr38
	s_branch .LBB1341_128
.LBB1341_131:
	s_set_inst_prefetch_distance 0x2
	s_or_b32 exec_lo, exec_lo, s24
	v_cmp_gt_i64_e32 vcc_lo, s[14:15], v[39:40]
	s_or_not1_b32 s0, vcc_lo, exec_lo
.LBB1341_132:
	s_or_b32 exec_lo, exec_lo, s13
.LBB1341_133:
	s_delay_alu instid0(SALU_CYCLE_1)
	s_and_b32 s24, s0, exec_lo
.LBB1341_134:
	s_or_b32 exec_lo, exec_lo, s25
	v_or_b32_e32 v35, 6, v55
	s_mov_b32 s13, exec_lo
	s_delay_alu instid0(VALU_DEP_1)
	v_cmpx_gt_u32_e64 s31, v35
	s_cbranch_execz .LBB1341_145
; %bb.135:
	v_cmp_ne_u32_e32 vcc_lo, 1, v43
	s_mov_b32 s0, 0
	s_cbranch_vccnz .LBB1341_144
; %bb.136:
	v_mul_lo_u32 v39, v24, s14
	v_mul_lo_u32 v40, v23, s15
	v_mad_u64_u32 v[35:36], null, v23, s14, 0
	v_mul_lo_u32 v41, v18, s14
	v_mul_lo_u32 v42, v17, s15
	s_waitcnt lgkmcnt(0)
	v_mad_u64_u32 v[37:38], null, v17, s14, 0
	s_mov_b32 s0, -1
	s_mov_b32 s1, exec_lo
	s_delay_alu instid0(VALU_DEP_4) | instskip(NEXT) | instid1(VALU_DEP_2)
	v_add3_u32 v36, v36, v40, v39
	v_add3_u32 v38, v38, v42, v41
	s_delay_alu instid0(VALU_DEP_2) | instskip(NEXT) | instid1(VALU_DEP_2)
	v_lshlrev_b64 v[35:36], 1, v[35:36]
	v_lshlrev_b64 v[39:40], 1, v[37:38]
	s_delay_alu instid0(VALU_DEP_2) | instskip(NEXT) | instid1(VALU_DEP_3)
	v_add_co_u32 v37, vcc_lo, s20, v35
	v_add_co_ci_u32_e32 v38, vcc_lo, s21, v36, vcc_lo
	s_delay_alu instid0(VALU_DEP_3) | instskip(NEXT) | instid1(VALU_DEP_4)
	v_add_co_u32 v35, vcc_lo, s20, v39
	v_add_co_ci_u32_e32 v36, vcc_lo, s21, v40, vcc_lo
	s_clause 0x1
	global_load_u16 v39, v[37:38], off
	global_load_u16 v40, v[35:36], off
	s_waitcnt vmcnt(0)
	v_cmpx_eq_f16_e32 v39, v40
	s_cbranch_execz .LBB1341_143
; %bb.137:
	v_add_co_u32 v35, vcc_lo, v35, 2
	v_add_co_ci_u32_e32 v36, vcc_lo, 0, v36, vcc_lo
	v_add_co_u32 v37, vcc_lo, v37, 2
	v_add_co_ci_u32_e32 v38, vcc_lo, 0, v38, vcc_lo
	s_add_u32 s4, s14, -1
	s_addc_u32 s5, s15, -1
	s_mov_b64 s[6:7], 0
	s_mov_b32 s25, 0
                                        ; implicit-def: $sgpr26
	s_set_inst_prefetch_distance 0x1
	s_branch .LBB1341_140
	.p2align	6
.LBB1341_138:                           ;   in Loop: Header=BB1341_140 Depth=1
	global_load_u16 v39, v[37:38], off
	global_load_u16 v40, v[35:36], off
	v_add_co_u32 v35, vcc_lo, v35, 2
	v_add_co_ci_u32_e32 v36, vcc_lo, 0, v36, vcc_lo
	v_add_co_u32 v37, s0, v37, 2
	s_delay_alu instid0(VALU_DEP_1)
	v_add_co_ci_u32_e64 v38, s0, 0, v38, s0
	s_add_u32 s6, s6, 1
	s_addc_u32 s7, s7, 0
	s_and_not1_b32 s0, s26, exec_lo
	s_waitcnt vmcnt(0)
	v_cmp_neq_f16_e32 vcc_lo, v39, v40
	s_and_b32 s26, vcc_lo, exec_lo
	s_delay_alu instid0(SALU_CYCLE_1)
	s_or_b32 s26, s0, s26
.LBB1341_139:                           ;   in Loop: Header=BB1341_140 Depth=1
	v_dual_mov_b32 v40, s7 :: v_dual_mov_b32 v39, s6
	s_and_b32 s0, exec_lo, s26
	s_delay_alu instid0(SALU_CYCLE_1) | instskip(NEXT) | instid1(SALU_CYCLE_1)
	s_or_b32 s25, s0, s25
	s_and_not1_b32 exec_lo, exec_lo, s25
	s_cbranch_execz .LBB1341_142
.LBB1341_140:                           ; =>This Inner Loop Header: Depth=1
	s_or_b32 s26, s26, exec_lo
	s_cmp_eq_u64 s[4:5], s[6:7]
	s_cbranch_scc0 .LBB1341_138
; %bb.141:                              ;   in Loop: Header=BB1341_140 Depth=1
	s_mov_b64 s[6:7], s[14:15]
                                        ; implicit-def: $vgpr35_vgpr36
                                        ; implicit-def: $vgpr37_vgpr38
	s_branch .LBB1341_139
.LBB1341_142:
	s_set_inst_prefetch_distance 0x2
	s_or_b32 exec_lo, exec_lo, s25
	v_cmp_gt_i64_e32 vcc_lo, s[14:15], v[39:40]
	s_or_not1_b32 s0, vcc_lo, exec_lo
.LBB1341_143:
	s_or_b32 exec_lo, exec_lo, s1
.LBB1341_144:
	s_delay_alu instid0(SALU_CYCLE_1)
	s_and_b32 s1, s0, exec_lo
.LBB1341_145:
	s_or_b32 exec_lo, exec_lo, s13
	v_or_b32_e32 v35, 5, v55
	s_mov_b32 s25, 0
	s_mov_b32 s13, 0
	s_mov_b32 s26, exec_lo
	s_delay_alu instid0(VALU_DEP_1)
	v_cmpx_gt_u32_e64 s31, v35
	s_cbranch_execz .LBB1341_156
; %bb.146:
	v_cmp_ne_u32_e32 vcc_lo, 1, v43
	s_mov_b32 s0, 0
	s_cbranch_vccnz .LBB1341_155
; %bb.147:
	v_mul_lo_u32 v39, v22, s14
	v_mul_lo_u32 v40, v21, s15
	v_mad_u64_u32 v[35:36], null, v21, s14, 0
	v_mul_lo_u32 v41, v24, s14
	v_mul_lo_u32 v42, v23, s15
	s_waitcnt lgkmcnt(0)
	v_mad_u64_u32 v[37:38], null, v23, s14, 0
	s_mov_b32 s0, -1
	s_mov_b32 s13, exec_lo
	s_delay_alu instid0(VALU_DEP_4) | instskip(NEXT) | instid1(VALU_DEP_2)
	v_add3_u32 v36, v36, v40, v39
	v_add3_u32 v38, v38, v42, v41
	s_delay_alu instid0(VALU_DEP_2) | instskip(NEXT) | instid1(VALU_DEP_2)
	v_lshlrev_b64 v[35:36], 1, v[35:36]
	v_lshlrev_b64 v[39:40], 1, v[37:38]
	s_delay_alu instid0(VALU_DEP_2) | instskip(NEXT) | instid1(VALU_DEP_3)
	v_add_co_u32 v37, vcc_lo, s20, v35
	v_add_co_ci_u32_e32 v38, vcc_lo, s21, v36, vcc_lo
	s_delay_alu instid0(VALU_DEP_3) | instskip(NEXT) | instid1(VALU_DEP_4)
	v_add_co_u32 v35, vcc_lo, s20, v39
	v_add_co_ci_u32_e32 v36, vcc_lo, s21, v40, vcc_lo
	s_clause 0x1
	global_load_u16 v39, v[37:38], off
	global_load_u16 v40, v[35:36], off
	s_waitcnt vmcnt(0)
	v_cmpx_eq_f16_e32 v39, v40
	s_cbranch_execz .LBB1341_154
; %bb.148:
	v_add_co_u32 v35, vcc_lo, v35, 2
	v_add_co_ci_u32_e32 v36, vcc_lo, 0, v36, vcc_lo
	v_add_co_u32 v37, vcc_lo, v37, 2
	v_add_co_ci_u32_e32 v38, vcc_lo, 0, v38, vcc_lo
	s_add_u32 s4, s14, -1
	s_addc_u32 s5, s15, -1
	s_mov_b64 s[6:7], 0
	s_mov_b32 s27, 0
                                        ; implicit-def: $sgpr34
	s_set_inst_prefetch_distance 0x1
	s_branch .LBB1341_151
	.p2align	6
.LBB1341_149:                           ;   in Loop: Header=BB1341_151 Depth=1
	global_load_u16 v39, v[37:38], off
	global_load_u16 v40, v[35:36], off
	v_add_co_u32 v35, vcc_lo, v35, 2
	v_add_co_ci_u32_e32 v36, vcc_lo, 0, v36, vcc_lo
	v_add_co_u32 v37, s0, v37, 2
	s_delay_alu instid0(VALU_DEP_1)
	v_add_co_ci_u32_e64 v38, s0, 0, v38, s0
	s_add_u32 s6, s6, 1
	s_addc_u32 s7, s7, 0
	s_and_not1_b32 s0, s34, exec_lo
	s_waitcnt vmcnt(0)
	v_cmp_neq_f16_e32 vcc_lo, v39, v40
	s_and_b32 s34, vcc_lo, exec_lo
	s_delay_alu instid0(SALU_CYCLE_1)
	s_or_b32 s34, s0, s34
.LBB1341_150:                           ;   in Loop: Header=BB1341_151 Depth=1
	v_dual_mov_b32 v40, s7 :: v_dual_mov_b32 v39, s6
	s_and_b32 s0, exec_lo, s34
	s_delay_alu instid0(SALU_CYCLE_1) | instskip(NEXT) | instid1(SALU_CYCLE_1)
	s_or_b32 s27, s0, s27
	s_and_not1_b32 exec_lo, exec_lo, s27
	s_cbranch_execz .LBB1341_153
.LBB1341_151:                           ; =>This Inner Loop Header: Depth=1
	s_or_b32 s34, s34, exec_lo
	s_cmp_eq_u64 s[4:5], s[6:7]
	s_cbranch_scc0 .LBB1341_149
; %bb.152:                              ;   in Loop: Header=BB1341_151 Depth=1
	s_mov_b64 s[6:7], s[14:15]
                                        ; implicit-def: $vgpr35_vgpr36
                                        ; implicit-def: $vgpr37_vgpr38
	s_branch .LBB1341_150
.LBB1341_153:
	s_set_inst_prefetch_distance 0x2
	s_or_b32 exec_lo, exec_lo, s27
	v_cmp_gt_i64_e32 vcc_lo, s[14:15], v[39:40]
	s_or_not1_b32 s0, vcc_lo, exec_lo
.LBB1341_154:
	s_or_b32 exec_lo, exec_lo, s13
.LBB1341_155:
	s_delay_alu instid0(SALU_CYCLE_1)
	s_and_b32 s13, s0, exec_lo
.LBB1341_156:
	s_or_b32 exec_lo, exec_lo, s26
	v_or_b32_e32 v35, 4, v55
	s_mov_b32 s26, exec_lo
	s_delay_alu instid0(VALU_DEP_1)
	v_cmpx_gt_u32_e64 s31, v35
	s_cbranch_execz .LBB1341_167
; %bb.157:
	v_cmp_ne_u32_e32 vcc_lo, 1, v43
	s_mov_b32 s0, 0
	s_cbranch_vccnz .LBB1341_166
; %bb.158:
	v_mul_lo_u32 v39, v28, s14
	v_mul_lo_u32 v40, v27, s15
	v_mad_u64_u32 v[35:36], null, v27, s14, 0
	v_mul_lo_u32 v41, v22, s14
	v_mul_lo_u32 v42, v21, s15
	s_waitcnt lgkmcnt(0)
	v_mad_u64_u32 v[37:38], null, v21, s14, 0
	s_mov_b32 s0, -1
	s_mov_b32 s25, exec_lo
	s_delay_alu instid0(VALU_DEP_4) | instskip(NEXT) | instid1(VALU_DEP_2)
	v_add3_u32 v36, v36, v40, v39
	v_add3_u32 v38, v38, v42, v41
	s_delay_alu instid0(VALU_DEP_2) | instskip(NEXT) | instid1(VALU_DEP_2)
	v_lshlrev_b64 v[35:36], 1, v[35:36]
	v_lshlrev_b64 v[39:40], 1, v[37:38]
	s_delay_alu instid0(VALU_DEP_2) | instskip(NEXT) | instid1(VALU_DEP_3)
	v_add_co_u32 v37, vcc_lo, s20, v35
	v_add_co_ci_u32_e32 v38, vcc_lo, s21, v36, vcc_lo
	s_delay_alu instid0(VALU_DEP_3) | instskip(NEXT) | instid1(VALU_DEP_4)
	v_add_co_u32 v35, vcc_lo, s20, v39
	v_add_co_ci_u32_e32 v36, vcc_lo, s21, v40, vcc_lo
	s_clause 0x1
	global_load_u16 v39, v[37:38], off
	global_load_u16 v40, v[35:36], off
	s_waitcnt vmcnt(0)
	v_cmpx_eq_f16_e32 v39, v40
	s_cbranch_execz .LBB1341_165
; %bb.159:
	v_add_co_u32 v35, vcc_lo, v35, 2
	v_add_co_ci_u32_e32 v36, vcc_lo, 0, v36, vcc_lo
	v_add_co_u32 v37, vcc_lo, v37, 2
	v_add_co_ci_u32_e32 v38, vcc_lo, 0, v38, vcc_lo
	s_add_u32 s4, s14, -1
	s_addc_u32 s5, s15, -1
	s_mov_b64 s[6:7], 0
	s_mov_b32 s27, 0
                                        ; implicit-def: $sgpr34
	s_set_inst_prefetch_distance 0x1
	s_branch .LBB1341_162
	.p2align	6
.LBB1341_160:                           ;   in Loop: Header=BB1341_162 Depth=1
	global_load_u16 v39, v[37:38], off
	global_load_u16 v40, v[35:36], off
	v_add_co_u32 v35, vcc_lo, v35, 2
	v_add_co_ci_u32_e32 v36, vcc_lo, 0, v36, vcc_lo
	v_add_co_u32 v37, s0, v37, 2
	s_delay_alu instid0(VALU_DEP_1)
	v_add_co_ci_u32_e64 v38, s0, 0, v38, s0
	s_add_u32 s6, s6, 1
	s_addc_u32 s7, s7, 0
	s_and_not1_b32 s0, s34, exec_lo
	s_waitcnt vmcnt(0)
	v_cmp_neq_f16_e32 vcc_lo, v39, v40
	s_and_b32 s34, vcc_lo, exec_lo
	s_delay_alu instid0(SALU_CYCLE_1)
	s_or_b32 s34, s0, s34
.LBB1341_161:                           ;   in Loop: Header=BB1341_162 Depth=1
	v_dual_mov_b32 v40, s7 :: v_dual_mov_b32 v39, s6
	s_and_b32 s0, exec_lo, s34
	s_delay_alu instid0(SALU_CYCLE_1) | instskip(NEXT) | instid1(SALU_CYCLE_1)
	s_or_b32 s27, s0, s27
	s_and_not1_b32 exec_lo, exec_lo, s27
	s_cbranch_execz .LBB1341_164
.LBB1341_162:                           ; =>This Inner Loop Header: Depth=1
	s_or_b32 s34, s34, exec_lo
	s_cmp_eq_u64 s[4:5], s[6:7]
	s_cbranch_scc0 .LBB1341_160
; %bb.163:                              ;   in Loop: Header=BB1341_162 Depth=1
	s_mov_b64 s[6:7], s[14:15]
                                        ; implicit-def: $vgpr35_vgpr36
                                        ; implicit-def: $vgpr37_vgpr38
	s_branch .LBB1341_161
.LBB1341_164:
	s_set_inst_prefetch_distance 0x2
	s_or_b32 exec_lo, exec_lo, s27
	v_cmp_gt_i64_e32 vcc_lo, s[14:15], v[39:40]
	s_or_not1_b32 s0, vcc_lo, exec_lo
.LBB1341_165:
	s_or_b32 exec_lo, exec_lo, s25
.LBB1341_166:
	s_delay_alu instid0(SALU_CYCLE_1)
	s_and_b32 s25, s0, exec_lo
.LBB1341_167:
	s_or_b32 exec_lo, exec_lo, s26
	v_or_b32_e32 v35, 3, v55
	s_mov_b32 s27, 0
	s_mov_b32 s26, 0
	s_mov_b32 s34, exec_lo
	s_delay_alu instid0(VALU_DEP_1)
	v_cmpx_gt_u32_e64 s31, v35
	s_cbranch_execz .LBB1341_178
; %bb.168:
	v_cmp_ne_u32_e32 vcc_lo, 1, v43
	s_mov_b32 s0, 0
	s_cbranch_vccnz .LBB1341_177
; %bb.169:
	v_mul_lo_u32 v39, v26, s14
	v_mul_lo_u32 v40, v25, s15
	v_mad_u64_u32 v[35:36], null, v25, s14, 0
	v_mul_lo_u32 v41, v28, s14
	v_mul_lo_u32 v42, v27, s15
	s_waitcnt lgkmcnt(0)
	v_mad_u64_u32 v[37:38], null, v27, s14, 0
	s_mov_b32 s0, -1
	s_mov_b32 s26, exec_lo
	s_delay_alu instid0(VALU_DEP_4) | instskip(NEXT) | instid1(VALU_DEP_2)
	v_add3_u32 v36, v36, v40, v39
	v_add3_u32 v38, v38, v42, v41
	s_delay_alu instid0(VALU_DEP_2) | instskip(NEXT) | instid1(VALU_DEP_2)
	v_lshlrev_b64 v[35:36], 1, v[35:36]
	v_lshlrev_b64 v[39:40], 1, v[37:38]
	s_delay_alu instid0(VALU_DEP_2) | instskip(NEXT) | instid1(VALU_DEP_3)
	v_add_co_u32 v37, vcc_lo, s20, v35
	v_add_co_ci_u32_e32 v38, vcc_lo, s21, v36, vcc_lo
	s_delay_alu instid0(VALU_DEP_3) | instskip(NEXT) | instid1(VALU_DEP_4)
	v_add_co_u32 v35, vcc_lo, s20, v39
	v_add_co_ci_u32_e32 v36, vcc_lo, s21, v40, vcc_lo
	s_clause 0x1
	global_load_u16 v39, v[37:38], off
	global_load_u16 v40, v[35:36], off
	s_waitcnt vmcnt(0)
	v_cmpx_eq_f16_e32 v39, v40
	s_cbranch_execz .LBB1341_176
; %bb.170:
	v_add_co_u32 v35, vcc_lo, v35, 2
	v_add_co_ci_u32_e32 v36, vcc_lo, 0, v36, vcc_lo
	v_add_co_u32 v37, vcc_lo, v37, 2
	v_add_co_ci_u32_e32 v38, vcc_lo, 0, v38, vcc_lo
	s_add_u32 s4, s14, -1
	s_addc_u32 s5, s15, -1
	s_mov_b64 s[6:7], 0
	s_mov_b32 s35, 0
                                        ; implicit-def: $sgpr36
	s_set_inst_prefetch_distance 0x1
	s_branch .LBB1341_173
	.p2align	6
.LBB1341_171:                           ;   in Loop: Header=BB1341_173 Depth=1
	global_load_u16 v39, v[37:38], off
	global_load_u16 v40, v[35:36], off
	v_add_co_u32 v35, vcc_lo, v35, 2
	v_add_co_ci_u32_e32 v36, vcc_lo, 0, v36, vcc_lo
	v_add_co_u32 v37, s0, v37, 2
	s_delay_alu instid0(VALU_DEP_1)
	v_add_co_ci_u32_e64 v38, s0, 0, v38, s0
	s_add_u32 s6, s6, 1
	s_addc_u32 s7, s7, 0
	s_and_not1_b32 s0, s36, exec_lo
	s_waitcnt vmcnt(0)
	v_cmp_neq_f16_e32 vcc_lo, v39, v40
	s_and_b32 s36, vcc_lo, exec_lo
	s_delay_alu instid0(SALU_CYCLE_1)
	s_or_b32 s36, s0, s36
.LBB1341_172:                           ;   in Loop: Header=BB1341_173 Depth=1
	v_dual_mov_b32 v40, s7 :: v_dual_mov_b32 v39, s6
	s_and_b32 s0, exec_lo, s36
	s_delay_alu instid0(SALU_CYCLE_1) | instskip(NEXT) | instid1(SALU_CYCLE_1)
	s_or_b32 s35, s0, s35
	s_and_not1_b32 exec_lo, exec_lo, s35
	s_cbranch_execz .LBB1341_175
.LBB1341_173:                           ; =>This Inner Loop Header: Depth=1
	s_or_b32 s36, s36, exec_lo
	s_cmp_eq_u64 s[4:5], s[6:7]
	s_cbranch_scc0 .LBB1341_171
; %bb.174:                              ;   in Loop: Header=BB1341_173 Depth=1
	s_mov_b64 s[6:7], s[14:15]
                                        ; implicit-def: $vgpr35_vgpr36
                                        ; implicit-def: $vgpr37_vgpr38
	s_branch .LBB1341_172
.LBB1341_175:
	s_set_inst_prefetch_distance 0x2
	s_or_b32 exec_lo, exec_lo, s35
	v_cmp_gt_i64_e32 vcc_lo, s[14:15], v[39:40]
	s_or_not1_b32 s0, vcc_lo, exec_lo
.LBB1341_176:
	s_or_b32 exec_lo, exec_lo, s26
.LBB1341_177:
	s_delay_alu instid0(SALU_CYCLE_1)
	s_and_b32 s26, s0, exec_lo
.LBB1341_178:
	s_or_b32 exec_lo, exec_lo, s34
	v_or_b32_e32 v35, 2, v55
	s_mov_b32 s34, exec_lo
	s_delay_alu instid0(VALU_DEP_1)
	v_cmpx_gt_u32_e64 s31, v35
	s_cbranch_execz .LBB1341_189
; %bb.179:
	v_cmp_ne_u32_e32 vcc_lo, 1, v43
	s_mov_b32 s0, 0
	s_cbranch_vccnz .LBB1341_188
; %bb.180:
	v_mul_lo_u32 v39, v32, s14
	v_mul_lo_u32 v40, v31, s15
	v_mad_u64_u32 v[35:36], null, v31, s14, 0
	v_mul_lo_u32 v41, v26, s14
	v_mul_lo_u32 v42, v25, s15
	s_waitcnt lgkmcnt(0)
	v_mad_u64_u32 v[37:38], null, v25, s14, 0
	s_mov_b32 s0, -1
	s_mov_b32 s27, exec_lo
	s_delay_alu instid0(VALU_DEP_4) | instskip(NEXT) | instid1(VALU_DEP_2)
	v_add3_u32 v36, v36, v40, v39
	v_add3_u32 v38, v38, v42, v41
	s_delay_alu instid0(VALU_DEP_2) | instskip(NEXT) | instid1(VALU_DEP_2)
	v_lshlrev_b64 v[35:36], 1, v[35:36]
	v_lshlrev_b64 v[39:40], 1, v[37:38]
	s_delay_alu instid0(VALU_DEP_2) | instskip(NEXT) | instid1(VALU_DEP_3)
	v_add_co_u32 v37, vcc_lo, s20, v35
	v_add_co_ci_u32_e32 v38, vcc_lo, s21, v36, vcc_lo
	s_delay_alu instid0(VALU_DEP_3) | instskip(NEXT) | instid1(VALU_DEP_4)
	v_add_co_u32 v35, vcc_lo, s20, v39
	v_add_co_ci_u32_e32 v36, vcc_lo, s21, v40, vcc_lo
	s_clause 0x1
	global_load_u16 v39, v[37:38], off
	global_load_u16 v40, v[35:36], off
	s_waitcnt vmcnt(0)
	v_cmpx_eq_f16_e32 v39, v40
	s_cbranch_execz .LBB1341_187
; %bb.181:
	v_add_co_u32 v35, vcc_lo, v35, 2
	v_add_co_ci_u32_e32 v36, vcc_lo, 0, v36, vcc_lo
	v_add_co_u32 v37, vcc_lo, v37, 2
	v_add_co_ci_u32_e32 v38, vcc_lo, 0, v38, vcc_lo
	s_add_u32 s4, s14, -1
	s_addc_u32 s5, s15, -1
	s_mov_b64 s[6:7], 0
	s_mov_b32 s35, 0
                                        ; implicit-def: $sgpr36
	s_set_inst_prefetch_distance 0x1
	s_branch .LBB1341_184
	.p2align	6
.LBB1341_182:                           ;   in Loop: Header=BB1341_184 Depth=1
	global_load_u16 v39, v[37:38], off
	global_load_u16 v40, v[35:36], off
	v_add_co_u32 v35, vcc_lo, v35, 2
	v_add_co_ci_u32_e32 v36, vcc_lo, 0, v36, vcc_lo
	v_add_co_u32 v37, s0, v37, 2
	s_delay_alu instid0(VALU_DEP_1)
	v_add_co_ci_u32_e64 v38, s0, 0, v38, s0
	s_add_u32 s6, s6, 1
	s_addc_u32 s7, s7, 0
	s_and_not1_b32 s0, s36, exec_lo
	s_waitcnt vmcnt(0)
	v_cmp_neq_f16_e32 vcc_lo, v39, v40
	s_and_b32 s36, vcc_lo, exec_lo
	s_delay_alu instid0(SALU_CYCLE_1)
	s_or_b32 s36, s0, s36
.LBB1341_183:                           ;   in Loop: Header=BB1341_184 Depth=1
	v_dual_mov_b32 v40, s7 :: v_dual_mov_b32 v39, s6
	s_and_b32 s0, exec_lo, s36
	s_delay_alu instid0(SALU_CYCLE_1) | instskip(NEXT) | instid1(SALU_CYCLE_1)
	s_or_b32 s35, s0, s35
	s_and_not1_b32 exec_lo, exec_lo, s35
	s_cbranch_execz .LBB1341_186
.LBB1341_184:                           ; =>This Inner Loop Header: Depth=1
	s_or_b32 s36, s36, exec_lo
	s_cmp_eq_u64 s[4:5], s[6:7]
	s_cbranch_scc0 .LBB1341_182
; %bb.185:                              ;   in Loop: Header=BB1341_184 Depth=1
	s_mov_b64 s[6:7], s[14:15]
                                        ; implicit-def: $vgpr35_vgpr36
                                        ; implicit-def: $vgpr37_vgpr38
	s_branch .LBB1341_183
.LBB1341_186:
	s_set_inst_prefetch_distance 0x2
	s_or_b32 exec_lo, exec_lo, s35
	v_cmp_gt_i64_e32 vcc_lo, s[14:15], v[39:40]
	s_or_not1_b32 s0, vcc_lo, exec_lo
.LBB1341_187:
	s_or_b32 exec_lo, exec_lo, s27
.LBB1341_188:
	s_delay_alu instid0(SALU_CYCLE_1)
	s_and_b32 s27, s0, exec_lo
.LBB1341_189:
	s_or_b32 exec_lo, exec_lo, s34
	v_or_b32_e32 v35, 1, v55
	s_mov_b32 s0, 0
	s_mov_b32 s34, exec_lo
	s_delay_alu instid0(VALU_DEP_1)
	v_cmpx_gt_u32_e64 s31, v35
	s_cbranch_execz .LBB1341_200
; %bb.190:
	v_cmp_ne_u32_e32 vcc_lo, 1, v43
	s_cbranch_vccnz .LBB1341_199
; %bb.191:
	v_mul_lo_u32 v39, v30, s14
	v_mul_lo_u32 v40, v29, s15
	v_mad_u64_u32 v[35:36], null, v29, s14, 0
	v_mul_lo_u32 v41, v32, s14
	v_mul_lo_u32 v42, v31, s15
	s_waitcnt lgkmcnt(0)
	v_mad_u64_u32 v[37:38], null, v31, s14, 0
	s_mov_b32 s0, -1
	s_mov_b32 s35, exec_lo
	s_delay_alu instid0(VALU_DEP_4) | instskip(NEXT) | instid1(VALU_DEP_2)
	v_add3_u32 v36, v36, v40, v39
	v_add3_u32 v38, v38, v42, v41
	s_delay_alu instid0(VALU_DEP_2) | instskip(NEXT) | instid1(VALU_DEP_2)
	v_lshlrev_b64 v[35:36], 1, v[35:36]
	v_lshlrev_b64 v[39:40], 1, v[37:38]
	s_delay_alu instid0(VALU_DEP_2) | instskip(NEXT) | instid1(VALU_DEP_3)
	v_add_co_u32 v37, vcc_lo, s20, v35
	v_add_co_ci_u32_e32 v38, vcc_lo, s21, v36, vcc_lo
	s_delay_alu instid0(VALU_DEP_3) | instskip(NEXT) | instid1(VALU_DEP_4)
	v_add_co_u32 v35, vcc_lo, s20, v39
	v_add_co_ci_u32_e32 v36, vcc_lo, s21, v40, vcc_lo
	s_clause 0x1
	global_load_u16 v39, v[37:38], off
	global_load_u16 v40, v[35:36], off
	s_waitcnt vmcnt(0)
	v_cmpx_eq_f16_e32 v39, v40
	s_cbranch_execz .LBB1341_198
; %bb.192:
	v_add_co_u32 v35, vcc_lo, v35, 2
	v_add_co_ci_u32_e32 v36, vcc_lo, 0, v36, vcc_lo
	v_add_co_u32 v37, vcc_lo, v37, 2
	v_add_co_ci_u32_e32 v38, vcc_lo, 0, v38, vcc_lo
	s_add_u32 s4, s14, -1
	s_addc_u32 s5, s15, -1
	s_mov_b64 s[6:7], 0
	s_mov_b32 s36, 0
                                        ; implicit-def: $sgpr37
	s_set_inst_prefetch_distance 0x1
	s_branch .LBB1341_195
	.p2align	6
.LBB1341_193:                           ;   in Loop: Header=BB1341_195 Depth=1
	global_load_u16 v39, v[37:38], off
	global_load_u16 v40, v[35:36], off
	v_add_co_u32 v35, vcc_lo, v35, 2
	v_add_co_ci_u32_e32 v36, vcc_lo, 0, v36, vcc_lo
	v_add_co_u32 v37, s0, v37, 2
	s_delay_alu instid0(VALU_DEP_1)
	v_add_co_ci_u32_e64 v38, s0, 0, v38, s0
	s_add_u32 s6, s6, 1
	s_addc_u32 s7, s7, 0
	s_and_not1_b32 s0, s37, exec_lo
	s_waitcnt vmcnt(0)
	v_cmp_neq_f16_e32 vcc_lo, v39, v40
	s_and_b32 s37, vcc_lo, exec_lo
	s_delay_alu instid0(SALU_CYCLE_1)
	s_or_b32 s37, s0, s37
.LBB1341_194:                           ;   in Loop: Header=BB1341_195 Depth=1
	v_dual_mov_b32 v40, s7 :: v_dual_mov_b32 v39, s6
	s_and_b32 s0, exec_lo, s37
	s_delay_alu instid0(SALU_CYCLE_1) | instskip(NEXT) | instid1(SALU_CYCLE_1)
	s_or_b32 s36, s0, s36
	s_and_not1_b32 exec_lo, exec_lo, s36
	s_cbranch_execz .LBB1341_197
.LBB1341_195:                           ; =>This Inner Loop Header: Depth=1
	s_or_b32 s37, s37, exec_lo
	s_cmp_eq_u64 s[4:5], s[6:7]
	s_cbranch_scc0 .LBB1341_193
; %bb.196:                              ;   in Loop: Header=BB1341_195 Depth=1
	s_mov_b64 s[6:7], s[14:15]
                                        ; implicit-def: $vgpr35_vgpr36
                                        ; implicit-def: $vgpr37_vgpr38
	s_branch .LBB1341_194
.LBB1341_197:
	s_set_inst_prefetch_distance 0x2
	s_or_b32 exec_lo, exec_lo, s36
	v_cmp_gt_i64_e32 vcc_lo, s[14:15], v[39:40]
	s_or_not1_b32 s0, vcc_lo, exec_lo
.LBB1341_198:
	s_or_b32 exec_lo, exec_lo, s35
.LBB1341_199:
	s_delay_alu instid0(SALU_CYCLE_1)
	s_and_b32 s0, s0, exec_lo
.LBB1341_200:
	s_or_b32 exec_lo, exec_lo, s34
	s_waitcnt vmcnt(0) lgkmcnt(0)
	s_barrier
	buffer_gl0_inv
	s_and_saveexec_b32 s4, s3
	s_cbranch_execz .LBB1341_202
; %bb.201:
	v_add_nc_u32_e32 v33, -8, v55
	ds_load_b64 v[33:34], v33
.LBB1341_202:
	s_or_b32 exec_lo, exec_lo, s4
	v_cndmask_b32_e64 v36, 0, 1, s26
	v_cndmask_b32_e64 v38, 0, 1, s13
	;; [unrolled: 1-line block ×7, first 2 shown]
	v_lshlrev_b16 v36, 8, v36
	v_lshlrev_b16 v38, 8, v38
	;; [unrolled: 1-line block ×3, first 2 shown]
	s_mov_b32 s0, 0
	v_lshlrev_b16 v41, 8, v41
	v_or_b32_e32 v35, v35, v36
	v_or_b32_e32 v36, v37, v38
	;; [unrolled: 1-line block ×3, first 2 shown]
	s_mov_b32 s1, exec_lo
	v_and_b32_e32 v39, 0xffff, v41
	v_lshlrev_b32_e32 v40, 16, v35
	v_and_b32_e32 v41, 0xffff, v36
	v_lshlrev_b32_e32 v42, 16, v37
	v_cmpx_gt_u32_e64 s31, v55
	s_cbranch_execz .LBB1341_213
; %bb.203:
	v_cmp_ne_u32_e32 vcc_lo, 1, v43
	s_cbranch_vccnz .LBB1341_212
; %bb.204:
	s_waitcnt lgkmcnt(0)
	v_mul_lo_u32 v38, v34, s14
	v_mul_lo_u32 v43, v33, s15
	v_mad_u64_u32 v[34:35], null, v33, s14, 0
	v_mul_lo_u32 v33, v30, s14
	v_mul_lo_u32 v44, v29, s15
	v_mad_u64_u32 v[36:37], null, v29, s14, 0
	s_mov_b32 s0, -1
	s_mov_b32 s13, exec_lo
	s_delay_alu instid0(VALU_DEP_4) | instskip(NEXT) | instid1(VALU_DEP_2)
	v_add3_u32 v35, v35, v43, v38
	v_add3_u32 v37, v37, v44, v33
	s_delay_alu instid0(VALU_DEP_2) | instskip(NEXT) | instid1(VALU_DEP_2)
	v_lshlrev_b64 v[33:34], 1, v[34:35]
	v_lshlrev_b64 v[37:38], 1, v[36:37]
	s_delay_alu instid0(VALU_DEP_2) | instskip(NEXT) | instid1(VALU_DEP_3)
	v_add_co_u32 v35, vcc_lo, s20, v33
	v_add_co_ci_u32_e32 v36, vcc_lo, s21, v34, vcc_lo
	s_delay_alu instid0(VALU_DEP_3) | instskip(NEXT) | instid1(VALU_DEP_4)
	v_add_co_u32 v33, vcc_lo, s20, v37
	v_add_co_ci_u32_e32 v34, vcc_lo, s21, v38, vcc_lo
	s_clause 0x1
	global_load_u16 v37, v[35:36], off
	global_load_u16 v38, v[33:34], off
	s_waitcnt vmcnt(0)
	v_cmpx_eq_f16_e32 v37, v38
	s_cbranch_execz .LBB1341_211
; %bb.205:
	v_add_co_u32 v33, vcc_lo, v33, 2
	v_add_co_ci_u32_e32 v34, vcc_lo, 0, v34, vcc_lo
	v_add_co_u32 v35, vcc_lo, v35, 2
	v_add_co_ci_u32_e32 v36, vcc_lo, 0, v36, vcc_lo
	s_add_u32 s4, s14, -1
	s_addc_u32 s5, s15, -1
	s_mov_b64 s[6:7], 0
	s_mov_b32 s24, 0
                                        ; implicit-def: $sgpr25
	s_set_inst_prefetch_distance 0x1
	s_branch .LBB1341_208
	.p2align	6
.LBB1341_206:                           ;   in Loop: Header=BB1341_208 Depth=1
	global_load_u16 v37, v[35:36], off
	global_load_u16 v38, v[33:34], off
	v_add_co_u32 v33, vcc_lo, v33, 2
	v_add_co_ci_u32_e32 v34, vcc_lo, 0, v34, vcc_lo
	v_add_co_u32 v35, s0, v35, 2
	s_delay_alu instid0(VALU_DEP_1)
	v_add_co_ci_u32_e64 v36, s0, 0, v36, s0
	s_add_u32 s6, s6, 1
	s_addc_u32 s7, s7, 0
	s_and_not1_b32 s0, s25, exec_lo
	s_waitcnt vmcnt(0)
	v_cmp_neq_f16_e32 vcc_lo, v37, v38
	s_and_b32 s25, vcc_lo, exec_lo
	s_delay_alu instid0(SALU_CYCLE_1)
	s_or_b32 s25, s0, s25
.LBB1341_207:                           ;   in Loop: Header=BB1341_208 Depth=1
	v_dual_mov_b32 v38, s7 :: v_dual_mov_b32 v37, s6
	s_and_b32 s0, exec_lo, s25
	s_delay_alu instid0(SALU_CYCLE_1) | instskip(NEXT) | instid1(SALU_CYCLE_1)
	s_or_b32 s24, s0, s24
	s_and_not1_b32 exec_lo, exec_lo, s24
	s_cbranch_execz .LBB1341_210
.LBB1341_208:                           ; =>This Inner Loop Header: Depth=1
	s_or_b32 s25, s25, exec_lo
	s_cmp_eq_u64 s[4:5], s[6:7]
	s_cbranch_scc0 .LBB1341_206
; %bb.209:                              ;   in Loop: Header=BB1341_208 Depth=1
	s_mov_b64 s[6:7], s[14:15]
                                        ; implicit-def: $vgpr33_vgpr34
                                        ; implicit-def: $vgpr35_vgpr36
	s_branch .LBB1341_207
.LBB1341_210:
	s_set_inst_prefetch_distance 0x2
	s_or_b32 exec_lo, exec_lo, s24
	v_cmp_gt_i64_e32 vcc_lo, s[14:15], v[37:38]
	s_or_not1_b32 s0, vcc_lo, exec_lo
.LBB1341_211:
	s_or_b32 exec_lo, exec_lo, s13
.LBB1341_212:
	s_delay_alu instid0(SALU_CYCLE_1)
	s_and_b32 s0, s0, exec_lo
.LBB1341_213:
	s_or_b32 exec_lo, exec_lo, s1
	v_or_b32_e32 v35, v39, v40
	v_or_b32_e32 v36, v41, v42
.LBB1341_214:
	s_mov_b32 s1, -1
	s_cbranch_execnz .LBB1341_383
.LBB1341_215:
	v_cmp_gt_i64_e64 s13, s[14:15], 0
	s_and_b32 vcc_lo, exec_lo, s29
	ds_store_b64 v55, v[19:20]
	s_cbranch_vccz .LBB1341_223
; %bb.216:
	v_mul_lo_u32 v35, v18, s14
	v_mul_lo_u32 v36, v17, s15
	s_waitcnt vmcnt(0) lgkmcnt(1)
	v_mad_u64_u32 v[33:34], null, v17, s14, 0
	s_mov_b32 s24, 0
	s_and_not1_b32 vcc_lo, exec_lo, s13
	s_mov_b32 s25, 0
	s_delay_alu instid0(VALU_DEP_1) | instskip(NEXT) | instid1(VALU_DEP_1)
	v_add3_u32 v34, v34, v36, v35
	v_lshlrev_b64 v[33:34], 1, v[33:34]
	s_cbranch_vccnz .LBB1341_226
; %bb.217:
	v_mul_lo_u32 v37, v20, s14
	v_mul_lo_u32 v38, v19, s15
	v_mad_u64_u32 v[35:36], null, v19, s14, 0
	s_mov_b32 s25, -1
	s_mov_b32 s26, exec_lo
	s_delay_alu instid0(VALU_DEP_1) | instskip(SKIP_2) | instid1(VALU_DEP_3)
	v_add3_u32 v36, v36, v38, v37
	v_add_co_u32 v37, vcc_lo, s20, v33
	v_add_co_ci_u32_e32 v38, vcc_lo, s21, v34, vcc_lo
	v_lshlrev_b64 v[35:36], 1, v[35:36]
	s_delay_alu instid0(VALU_DEP_1) | instskip(NEXT) | instid1(VALU_DEP_2)
	v_add_co_u32 v35, vcc_lo, s20, v35
	v_add_co_ci_u32_e32 v36, vcc_lo, s21, v36, vcc_lo
	s_clause 0x1
	global_load_u16 v39, v[37:38], off
	global_load_u16 v40, v[35:36], off
	s_waitcnt vmcnt(0)
	v_cmpx_eq_f16_e32 v39, v40
	s_cbranch_execz .LBB1341_225
; %bb.218:
	v_add_co_u32 v35, vcc_lo, v35, 2
	v_add_co_ci_u32_e32 v36, vcc_lo, 0, v36, vcc_lo
	v_add_co_u32 v37, vcc_lo, v37, 2
	v_add_co_ci_u32_e32 v38, vcc_lo, 0, v38, vcc_lo
	s_add_u32 s4, s14, -1
	s_addc_u32 s5, s15, -1
	s_mov_b64 s[6:7], 0
	s_mov_b32 s25, 0
                                        ; implicit-def: $sgpr27
	s_set_inst_prefetch_distance 0x1
	s_branch .LBB1341_221
	.p2align	6
.LBB1341_219:                           ;   in Loop: Header=BB1341_221 Depth=1
	global_load_u16 v39, v[37:38], off
	global_load_u16 v40, v[35:36], off
	v_add_co_u32 v35, vcc_lo, v35, 2
	v_add_co_ci_u32_e32 v36, vcc_lo, 0, v36, vcc_lo
	v_add_co_u32 v37, s0, v37, 2
	s_delay_alu instid0(VALU_DEP_1)
	v_add_co_ci_u32_e64 v38, s0, 0, v38, s0
	s_add_u32 s6, s6, 1
	s_addc_u32 s7, s7, 0
	s_and_not1_b32 s0, s27, exec_lo
	s_waitcnt vmcnt(0)
	v_cmp_neq_f16_e32 vcc_lo, v39, v40
	s_and_b32 s27, vcc_lo, exec_lo
	s_delay_alu instid0(SALU_CYCLE_1)
	s_or_b32 s27, s0, s27
.LBB1341_220:                           ;   in Loop: Header=BB1341_221 Depth=1
	v_dual_mov_b32 v40, s7 :: v_dual_mov_b32 v39, s6
	s_and_b32 s0, exec_lo, s27
	s_delay_alu instid0(SALU_CYCLE_1) | instskip(NEXT) | instid1(SALU_CYCLE_1)
	s_or_b32 s25, s0, s25
	s_and_not1_b32 exec_lo, exec_lo, s25
	s_cbranch_execz .LBB1341_224
.LBB1341_221:                           ; =>This Inner Loop Header: Depth=1
	s_or_b32 s27, s27, exec_lo
	s_cmp_eq_u64 s[4:5], s[6:7]
	s_cbranch_scc0 .LBB1341_219
; %bb.222:                              ;   in Loop: Header=BB1341_221 Depth=1
	s_mov_b64 s[6:7], s[14:15]
                                        ; implicit-def: $vgpr35_vgpr36
                                        ; implicit-def: $vgpr37_vgpr38
	s_branch .LBB1341_220
.LBB1341_223:
                                        ; implicit-def: $sgpr0
                                        ; implicit-def: $vgpr36
	s_cbranch_execnz .LBB1341_292
	s_branch .LBB1341_383
.LBB1341_224:
	s_set_inst_prefetch_distance 0x2
	s_or_b32 exec_lo, exec_lo, s25
	v_cmp_gt_i64_e32 vcc_lo, s[14:15], v[39:40]
	s_or_not1_b32 s25, vcc_lo, exec_lo
.LBB1341_225:
	s_or_b32 exec_lo, exec_lo, s26
.LBB1341_226:
	v_mul_lo_u32 v37, v24, s14
	v_mul_lo_u32 v38, v23, s15
	v_mad_u64_u32 v[35:36], null, v23, s14, 0
	s_and_not1_b32 vcc_lo, exec_lo, s13
	s_delay_alu instid0(VALU_DEP_1) | instskip(NEXT) | instid1(VALU_DEP_1)
	v_add3_u32 v36, v36, v38, v37
	v_lshlrev_b64 v[35:36], 1, v[35:36]
	s_cbranch_vccnz .LBB1341_235
; %bb.227:
	s_delay_alu instid0(VALU_DEP_1) | instskip(NEXT) | instid1(VALU_DEP_2)
	v_add_co_u32 v37, vcc_lo, s20, v35
	v_add_co_ci_u32_e32 v38, vcc_lo, s21, v36, vcc_lo
	v_add_co_u32 v33, vcc_lo, s20, v33
	v_add_co_ci_u32_e32 v34, vcc_lo, s21, v34, vcc_lo
	s_mov_b32 s24, -1
	s_clause 0x1
	global_load_u16 v39, v[37:38], off
	global_load_u16 v40, v[33:34], off
	s_mov_b32 s26, exec_lo
	s_waitcnt vmcnt(0)
	v_cmpx_eq_f16_e32 v39, v40
	s_cbranch_execz .LBB1341_234
; %bb.228:
	v_add_co_u32 v33, vcc_lo, v33, 2
	v_add_co_ci_u32_e32 v34, vcc_lo, 0, v34, vcc_lo
	v_add_co_u32 v37, vcc_lo, v37, 2
	v_add_co_ci_u32_e32 v38, vcc_lo, 0, v38, vcc_lo
	s_add_u32 s4, s14, -1
	s_addc_u32 s5, s15, -1
	s_mov_b64 s[6:7], 0
	s_mov_b32 s24, 0
                                        ; implicit-def: $sgpr27
	s_set_inst_prefetch_distance 0x1
	s_branch .LBB1341_231
	.p2align	6
.LBB1341_229:                           ;   in Loop: Header=BB1341_231 Depth=1
	global_load_u16 v39, v[37:38], off
	global_load_u16 v40, v[33:34], off
	v_add_co_u32 v33, vcc_lo, v33, 2
	v_add_co_ci_u32_e32 v34, vcc_lo, 0, v34, vcc_lo
	v_add_co_u32 v37, s0, v37, 2
	s_delay_alu instid0(VALU_DEP_1)
	v_add_co_ci_u32_e64 v38, s0, 0, v38, s0
	s_add_u32 s6, s6, 1
	s_addc_u32 s7, s7, 0
	s_and_not1_b32 s0, s27, exec_lo
	s_waitcnt vmcnt(0)
	v_cmp_neq_f16_e32 vcc_lo, v39, v40
	s_and_b32 s27, vcc_lo, exec_lo
	s_delay_alu instid0(SALU_CYCLE_1)
	s_or_b32 s27, s0, s27
.LBB1341_230:                           ;   in Loop: Header=BB1341_231 Depth=1
	v_dual_mov_b32 v40, s7 :: v_dual_mov_b32 v39, s6
	s_and_b32 s0, exec_lo, s27
	s_delay_alu instid0(SALU_CYCLE_1) | instskip(NEXT) | instid1(SALU_CYCLE_1)
	s_or_b32 s24, s0, s24
	s_and_not1_b32 exec_lo, exec_lo, s24
	s_cbranch_execz .LBB1341_233
.LBB1341_231:                           ; =>This Inner Loop Header: Depth=1
	s_or_b32 s27, s27, exec_lo
	s_cmp_eq_u64 s[4:5], s[6:7]
	s_cbranch_scc0 .LBB1341_229
; %bb.232:                              ;   in Loop: Header=BB1341_231 Depth=1
	s_mov_b64 s[6:7], s[14:15]
                                        ; implicit-def: $vgpr33_vgpr34
                                        ; implicit-def: $vgpr37_vgpr38
	s_branch .LBB1341_230
.LBB1341_233:
	s_set_inst_prefetch_distance 0x2
	s_or_b32 exec_lo, exec_lo, s24
	v_cmp_gt_i64_e32 vcc_lo, s[14:15], v[39:40]
	s_or_not1_b32 s24, vcc_lo, exec_lo
.LBB1341_234:
	s_or_b32 exec_lo, exec_lo, s26
.LBB1341_235:
	v_mul_lo_u32 v37, v22, s14
	v_mul_lo_u32 v38, v21, s15
	v_mad_u64_u32 v[33:34], null, v21, s14, 0
	s_mov_b32 s26, 0
	s_and_not1_b32 vcc_lo, exec_lo, s13
	s_mov_b32 s27, 0
	s_delay_alu instid0(VALU_DEP_1) | instskip(NEXT) | instid1(VALU_DEP_1)
	v_add3_u32 v34, v34, v38, v37
	v_lshlrev_b64 v[37:38], 1, v[33:34]
	s_cbranch_vccnz .LBB1341_244
; %bb.236:
	s_delay_alu instid0(VALU_DEP_1) | instskip(NEXT) | instid1(VALU_DEP_2)
	v_add_co_u32 v39, vcc_lo, s20, v37
	v_add_co_ci_u32_e32 v40, vcc_lo, s21, v38, vcc_lo
	v_add_co_u32 v33, vcc_lo, s20, v35
	v_add_co_ci_u32_e32 v34, vcc_lo, s21, v36, vcc_lo
	s_mov_b32 s27, -1
	s_clause 0x1
	global_load_u16 v35, v[39:40], off
	global_load_u16 v36, v[33:34], off
	s_mov_b32 s34, exec_lo
	s_waitcnt vmcnt(0)
	v_cmpx_eq_f16_e32 v35, v36
	s_cbranch_execz .LBB1341_243
; %bb.237:
	v_add_co_u32 v33, vcc_lo, v33, 2
	v_add_co_ci_u32_e32 v34, vcc_lo, 0, v34, vcc_lo
	v_add_co_u32 v35, vcc_lo, v39, 2
	v_add_co_ci_u32_e32 v36, vcc_lo, 0, v40, vcc_lo
	s_add_u32 s4, s14, -1
	s_addc_u32 s5, s15, -1
	s_mov_b64 s[6:7], 0
	s_mov_b32 s27, 0
                                        ; implicit-def: $sgpr35
	s_set_inst_prefetch_distance 0x1
	s_branch .LBB1341_240
	.p2align	6
.LBB1341_238:                           ;   in Loop: Header=BB1341_240 Depth=1
	global_load_u16 v39, v[35:36], off
	global_load_u16 v40, v[33:34], off
	v_add_co_u32 v33, vcc_lo, v33, 2
	v_add_co_ci_u32_e32 v34, vcc_lo, 0, v34, vcc_lo
	v_add_co_u32 v35, s0, v35, 2
	s_delay_alu instid0(VALU_DEP_1)
	v_add_co_ci_u32_e64 v36, s0, 0, v36, s0
	s_add_u32 s6, s6, 1
	s_addc_u32 s7, s7, 0
	s_and_not1_b32 s0, s35, exec_lo
	s_waitcnt vmcnt(0)
	v_cmp_neq_f16_e32 vcc_lo, v39, v40
	s_and_b32 s35, vcc_lo, exec_lo
	s_delay_alu instid0(SALU_CYCLE_1)
	s_or_b32 s35, s0, s35
.LBB1341_239:                           ;   in Loop: Header=BB1341_240 Depth=1
	v_dual_mov_b32 v40, s7 :: v_dual_mov_b32 v39, s6
	s_and_b32 s0, exec_lo, s35
	s_delay_alu instid0(SALU_CYCLE_1) | instskip(NEXT) | instid1(SALU_CYCLE_1)
	s_or_b32 s27, s0, s27
	s_and_not1_b32 exec_lo, exec_lo, s27
	s_cbranch_execz .LBB1341_242
.LBB1341_240:                           ; =>This Inner Loop Header: Depth=1
	s_or_b32 s35, s35, exec_lo
	s_cmp_eq_u64 s[4:5], s[6:7]
	s_cbranch_scc0 .LBB1341_238
; %bb.241:                              ;   in Loop: Header=BB1341_240 Depth=1
	s_mov_b64 s[6:7], s[14:15]
                                        ; implicit-def: $vgpr33_vgpr34
                                        ; implicit-def: $vgpr35_vgpr36
	s_branch .LBB1341_239
.LBB1341_242:
	s_set_inst_prefetch_distance 0x2
	s_or_b32 exec_lo, exec_lo, s27
	v_cmp_gt_i64_e32 vcc_lo, s[14:15], v[39:40]
	s_or_not1_b32 s27, vcc_lo, exec_lo
.LBB1341_243:
	s_or_b32 exec_lo, exec_lo, s34
.LBB1341_244:
	v_mul_lo_u32 v35, v28, s14
	v_mul_lo_u32 v36, v27, s15
	v_mad_u64_u32 v[33:34], null, v27, s14, 0
	s_and_not1_b32 vcc_lo, exec_lo, s13
	s_delay_alu instid0(VALU_DEP_1) | instskip(NEXT) | instid1(VALU_DEP_1)
	v_add3_u32 v34, v34, v36, v35
	v_lshlrev_b64 v[33:34], 1, v[33:34]
	s_cbranch_vccnz .LBB1341_253
; %bb.245:
	s_delay_alu instid0(VALU_DEP_1) | instskip(NEXT) | instid1(VALU_DEP_2)
	v_add_co_u32 v39, vcc_lo, s20, v33
	v_add_co_ci_u32_e32 v40, vcc_lo, s21, v34, vcc_lo
	v_add_co_u32 v35, vcc_lo, s20, v37
	v_add_co_ci_u32_e32 v36, vcc_lo, s21, v38, vcc_lo
	s_mov_b32 s26, -1
	s_clause 0x1
	global_load_u16 v37, v[39:40], off
	global_load_u16 v38, v[35:36], off
	s_mov_b32 s34, exec_lo
	s_waitcnt vmcnt(0)
	v_cmpx_eq_f16_e32 v37, v38
	s_cbranch_execz .LBB1341_252
; %bb.246:
	v_add_co_u32 v35, vcc_lo, v35, 2
	v_add_co_ci_u32_e32 v36, vcc_lo, 0, v36, vcc_lo
	v_add_co_u32 v37, vcc_lo, v39, 2
	v_add_co_ci_u32_e32 v38, vcc_lo, 0, v40, vcc_lo
	s_add_u32 s4, s14, -1
	s_addc_u32 s5, s15, -1
	s_mov_b64 s[6:7], 0
	s_mov_b32 s26, 0
                                        ; implicit-def: $sgpr35
	s_set_inst_prefetch_distance 0x1
	s_branch .LBB1341_249
	.p2align	6
.LBB1341_247:                           ;   in Loop: Header=BB1341_249 Depth=1
	global_load_u16 v39, v[37:38], off
	global_load_u16 v40, v[35:36], off
	v_add_co_u32 v35, vcc_lo, v35, 2
	v_add_co_ci_u32_e32 v36, vcc_lo, 0, v36, vcc_lo
	v_add_co_u32 v37, s0, v37, 2
	s_delay_alu instid0(VALU_DEP_1)
	v_add_co_ci_u32_e64 v38, s0, 0, v38, s0
	s_add_u32 s6, s6, 1
	s_addc_u32 s7, s7, 0
	s_and_not1_b32 s0, s35, exec_lo
	s_waitcnt vmcnt(0)
	v_cmp_neq_f16_e32 vcc_lo, v39, v40
	s_and_b32 s35, vcc_lo, exec_lo
	s_delay_alu instid0(SALU_CYCLE_1)
	s_or_b32 s35, s0, s35
.LBB1341_248:                           ;   in Loop: Header=BB1341_249 Depth=1
	v_dual_mov_b32 v40, s7 :: v_dual_mov_b32 v39, s6
	s_and_b32 s0, exec_lo, s35
	s_delay_alu instid0(SALU_CYCLE_1) | instskip(NEXT) | instid1(SALU_CYCLE_1)
	s_or_b32 s26, s0, s26
	s_and_not1_b32 exec_lo, exec_lo, s26
	s_cbranch_execz .LBB1341_251
.LBB1341_249:                           ; =>This Inner Loop Header: Depth=1
	s_or_b32 s35, s35, exec_lo
	s_cmp_eq_u64 s[4:5], s[6:7]
	s_cbranch_scc0 .LBB1341_247
; %bb.250:                              ;   in Loop: Header=BB1341_249 Depth=1
	s_mov_b64 s[6:7], s[14:15]
                                        ; implicit-def: $vgpr35_vgpr36
                                        ; implicit-def: $vgpr37_vgpr38
	s_branch .LBB1341_248
.LBB1341_251:
	s_set_inst_prefetch_distance 0x2
	s_or_b32 exec_lo, exec_lo, s26
	v_cmp_gt_i64_e32 vcc_lo, s[14:15], v[39:40]
	s_or_not1_b32 s26, vcc_lo, exec_lo
.LBB1341_252:
	s_or_b32 exec_lo, exec_lo, s34
.LBB1341_253:
	v_mul_lo_u32 v37, v26, s14
	v_mul_lo_u32 v38, v25, s15
	v_mad_u64_u32 v[35:36], null, v25, s14, 0
	s_mov_b32 s34, 0
	s_and_not1_b32 vcc_lo, exec_lo, s13
	s_mov_b32 s35, 0
	s_delay_alu instid0(VALU_DEP_1) | instskip(NEXT) | instid1(VALU_DEP_1)
	v_add3_u32 v36, v36, v38, v37
	v_lshlrev_b64 v[37:38], 1, v[35:36]
	s_cbranch_vccnz .LBB1341_262
; %bb.254:
	s_delay_alu instid0(VALU_DEP_1) | instskip(NEXT) | instid1(VALU_DEP_2)
	v_add_co_u32 v35, vcc_lo, s20, v37
	v_add_co_ci_u32_e32 v36, vcc_lo, s21, v38, vcc_lo
	v_add_co_u32 v33, vcc_lo, s20, v33
	v_add_co_ci_u32_e32 v34, vcc_lo, s21, v34, vcc_lo
	s_mov_b32 s35, -1
	s_clause 0x1
	global_load_u16 v39, v[35:36], off
	global_load_u16 v40, v[33:34], off
	s_mov_b32 s36, exec_lo
	s_waitcnt vmcnt(0)
	v_cmpx_eq_f16_e32 v39, v40
	s_cbranch_execz .LBB1341_261
; %bb.255:
	v_add_co_u32 v33, vcc_lo, v33, 2
	v_add_co_ci_u32_e32 v34, vcc_lo, 0, v34, vcc_lo
	v_add_co_u32 v35, vcc_lo, v35, 2
	v_add_co_ci_u32_e32 v36, vcc_lo, 0, v36, vcc_lo
	s_add_u32 s4, s14, -1
	s_addc_u32 s5, s15, -1
	s_mov_b64 s[6:7], 0
	s_mov_b32 s35, 0
                                        ; implicit-def: $sgpr37
	s_set_inst_prefetch_distance 0x1
	s_branch .LBB1341_258
	.p2align	6
.LBB1341_256:                           ;   in Loop: Header=BB1341_258 Depth=1
	global_load_u16 v39, v[35:36], off
	global_load_u16 v40, v[33:34], off
	v_add_co_u32 v33, vcc_lo, v33, 2
	v_add_co_ci_u32_e32 v34, vcc_lo, 0, v34, vcc_lo
	v_add_co_u32 v35, s0, v35, 2
	s_delay_alu instid0(VALU_DEP_1)
	v_add_co_ci_u32_e64 v36, s0, 0, v36, s0
	s_add_u32 s6, s6, 1
	s_addc_u32 s7, s7, 0
	s_and_not1_b32 s0, s37, exec_lo
	s_waitcnt vmcnt(0)
	v_cmp_neq_f16_e32 vcc_lo, v39, v40
	s_and_b32 s37, vcc_lo, exec_lo
	s_delay_alu instid0(SALU_CYCLE_1)
	s_or_b32 s37, s0, s37
.LBB1341_257:                           ;   in Loop: Header=BB1341_258 Depth=1
	v_dual_mov_b32 v40, s7 :: v_dual_mov_b32 v39, s6
	s_and_b32 s0, exec_lo, s37
	s_delay_alu instid0(SALU_CYCLE_1) | instskip(NEXT) | instid1(SALU_CYCLE_1)
	s_or_b32 s35, s0, s35
	s_and_not1_b32 exec_lo, exec_lo, s35
	s_cbranch_execz .LBB1341_260
.LBB1341_258:                           ; =>This Inner Loop Header: Depth=1
	s_or_b32 s37, s37, exec_lo
	s_cmp_eq_u64 s[4:5], s[6:7]
	s_cbranch_scc0 .LBB1341_256
; %bb.259:                              ;   in Loop: Header=BB1341_258 Depth=1
	s_mov_b64 s[6:7], s[14:15]
                                        ; implicit-def: $vgpr33_vgpr34
                                        ; implicit-def: $vgpr35_vgpr36
	s_branch .LBB1341_257
.LBB1341_260:
	s_set_inst_prefetch_distance 0x2
	s_or_b32 exec_lo, exec_lo, s35
	v_cmp_gt_i64_e32 vcc_lo, s[14:15], v[39:40]
	s_or_not1_b32 s35, vcc_lo, exec_lo
.LBB1341_261:
	s_or_b32 exec_lo, exec_lo, s36
.LBB1341_262:
	v_mul_lo_u32 v35, v32, s14
	v_mul_lo_u32 v36, v31, s15
	v_mad_u64_u32 v[33:34], null, v31, s14, 0
	s_and_not1_b32 vcc_lo, exec_lo, s13
	s_delay_alu instid0(VALU_DEP_1) | instskip(NEXT) | instid1(VALU_DEP_1)
	v_add3_u32 v34, v34, v36, v35
	v_lshlrev_b64 v[35:36], 1, v[33:34]
	s_cbranch_vccnz .LBB1341_271
; %bb.263:
	s_delay_alu instid0(VALU_DEP_1) | instskip(NEXT) | instid1(VALU_DEP_2)
	v_add_co_u32 v39, vcc_lo, s20, v35
	v_add_co_ci_u32_e32 v40, vcc_lo, s21, v36, vcc_lo
	v_add_co_u32 v33, vcc_lo, s20, v37
	v_add_co_ci_u32_e32 v34, vcc_lo, s21, v38, vcc_lo
	s_mov_b32 s34, -1
	s_clause 0x1
	global_load_u16 v37, v[39:40], off
	global_load_u16 v38, v[33:34], off
	s_mov_b32 s36, exec_lo
	s_waitcnt vmcnt(0)
	v_cmpx_eq_f16_e32 v37, v38
	s_cbranch_execz .LBB1341_270
; %bb.264:
	v_add_co_u32 v33, vcc_lo, v33, 2
	v_add_co_ci_u32_e32 v34, vcc_lo, 0, v34, vcc_lo
	v_add_co_u32 v37, vcc_lo, v39, 2
	v_add_co_ci_u32_e32 v38, vcc_lo, 0, v40, vcc_lo
	s_add_u32 s4, s14, -1
	s_addc_u32 s5, s15, -1
	s_mov_b64 s[6:7], 0
	s_mov_b32 s34, 0
                                        ; implicit-def: $sgpr37
	s_set_inst_prefetch_distance 0x1
	s_branch .LBB1341_267
	.p2align	6
.LBB1341_265:                           ;   in Loop: Header=BB1341_267 Depth=1
	global_load_u16 v39, v[37:38], off
	global_load_u16 v40, v[33:34], off
	v_add_co_u32 v33, vcc_lo, v33, 2
	v_add_co_ci_u32_e32 v34, vcc_lo, 0, v34, vcc_lo
	v_add_co_u32 v37, s0, v37, 2
	s_delay_alu instid0(VALU_DEP_1)
	v_add_co_ci_u32_e64 v38, s0, 0, v38, s0
	s_add_u32 s6, s6, 1
	s_addc_u32 s7, s7, 0
	s_and_not1_b32 s0, s37, exec_lo
	s_waitcnt vmcnt(0)
	v_cmp_neq_f16_e32 vcc_lo, v39, v40
	s_and_b32 s37, vcc_lo, exec_lo
	s_delay_alu instid0(SALU_CYCLE_1)
	s_or_b32 s37, s0, s37
.LBB1341_266:                           ;   in Loop: Header=BB1341_267 Depth=1
	v_dual_mov_b32 v40, s7 :: v_dual_mov_b32 v39, s6
	s_and_b32 s0, exec_lo, s37
	s_delay_alu instid0(SALU_CYCLE_1) | instskip(NEXT) | instid1(SALU_CYCLE_1)
	s_or_b32 s34, s0, s34
	s_and_not1_b32 exec_lo, exec_lo, s34
	s_cbranch_execz .LBB1341_269
.LBB1341_267:                           ; =>This Inner Loop Header: Depth=1
	s_or_b32 s37, s37, exec_lo
	s_cmp_eq_u64 s[4:5], s[6:7]
	s_cbranch_scc0 .LBB1341_265
; %bb.268:                              ;   in Loop: Header=BB1341_267 Depth=1
	s_mov_b64 s[6:7], s[14:15]
                                        ; implicit-def: $vgpr33_vgpr34
                                        ; implicit-def: $vgpr37_vgpr38
	s_branch .LBB1341_266
.LBB1341_269:
	s_set_inst_prefetch_distance 0x2
	s_or_b32 exec_lo, exec_lo, s34
	v_cmp_gt_i64_e32 vcc_lo, s[14:15], v[39:40]
	s_or_not1_b32 s34, vcc_lo, exec_lo
.LBB1341_270:
	s_or_b32 exec_lo, exec_lo, s36
.LBB1341_271:
	v_mul_lo_u32 v37, v30, s14
	v_mul_lo_u32 v38, v29, s15
	v_mad_u64_u32 v[33:34], null, v29, s14, 0
	s_and_not1_b32 vcc_lo, exec_lo, s13
	s_mov_b32 s0, 0
	s_delay_alu instid0(VALU_DEP_1)
	v_add3_u32 v34, v34, v38, v37
	s_cbranch_vccnz .LBB1341_280
; %bb.272:
	s_delay_alu instid0(VALU_DEP_1) | instskip(SKIP_2) | instid1(VALU_DEP_1)
	v_lshlrev_b64 v[37:38], 1, v[33:34]
	s_mov_b32 s0, -1
	s_mov_b32 s36, exec_lo
	v_add_co_u32 v37, vcc_lo, s20, v37
	s_delay_alu instid0(VALU_DEP_2)
	v_add_co_ci_u32_e32 v38, vcc_lo, s21, v38, vcc_lo
	v_add_co_u32 v35, vcc_lo, s20, v35
	v_add_co_ci_u32_e32 v36, vcc_lo, s21, v36, vcc_lo
	s_clause 0x1
	global_load_u16 v39, v[37:38], off
	global_load_u16 v40, v[35:36], off
	s_waitcnt vmcnt(0)
	v_cmpx_eq_f16_e32 v39, v40
	s_cbranch_execz .LBB1341_279
; %bb.273:
	v_add_co_u32 v35, vcc_lo, v35, 2
	v_add_co_ci_u32_e32 v36, vcc_lo, 0, v36, vcc_lo
	v_add_co_u32 v37, vcc_lo, v37, 2
	v_add_co_ci_u32_e32 v38, vcc_lo, 0, v38, vcc_lo
	s_add_u32 s4, s14, -1
	s_addc_u32 s5, s15, -1
	s_mov_b64 s[6:7], 0
	s_mov_b32 s37, 0
                                        ; implicit-def: $sgpr38
	s_set_inst_prefetch_distance 0x1
	s_branch .LBB1341_276
	.p2align	6
.LBB1341_274:                           ;   in Loop: Header=BB1341_276 Depth=1
	global_load_u16 v39, v[37:38], off
	global_load_u16 v40, v[35:36], off
	v_add_co_u32 v35, vcc_lo, v35, 2
	v_add_co_ci_u32_e32 v36, vcc_lo, 0, v36, vcc_lo
	v_add_co_u32 v37, s0, v37, 2
	s_delay_alu instid0(VALU_DEP_1)
	v_add_co_ci_u32_e64 v38, s0, 0, v38, s0
	s_add_u32 s6, s6, 1
	s_addc_u32 s7, s7, 0
	s_and_not1_b32 s0, s38, exec_lo
	s_waitcnt vmcnt(0)
	v_cmp_neq_f16_e32 vcc_lo, v39, v40
	s_and_b32 s38, vcc_lo, exec_lo
	s_delay_alu instid0(SALU_CYCLE_1)
	s_or_b32 s38, s0, s38
.LBB1341_275:                           ;   in Loop: Header=BB1341_276 Depth=1
	v_dual_mov_b32 v40, s7 :: v_dual_mov_b32 v39, s6
	s_and_b32 s0, exec_lo, s38
	s_delay_alu instid0(SALU_CYCLE_1) | instskip(NEXT) | instid1(SALU_CYCLE_1)
	s_or_b32 s37, s0, s37
	s_and_not1_b32 exec_lo, exec_lo, s37
	s_cbranch_execz .LBB1341_278
.LBB1341_276:                           ; =>This Inner Loop Header: Depth=1
	s_or_b32 s38, s38, exec_lo
	s_cmp_eq_u64 s[4:5], s[6:7]
	s_cbranch_scc0 .LBB1341_274
; %bb.277:                              ;   in Loop: Header=BB1341_276 Depth=1
	s_mov_b64 s[6:7], s[14:15]
                                        ; implicit-def: $vgpr35_vgpr36
                                        ; implicit-def: $vgpr37_vgpr38
	s_branch .LBB1341_275
.LBB1341_278:
	s_set_inst_prefetch_distance 0x2
	s_or_b32 exec_lo, exec_lo, s37
	v_cmp_gt_i64_e32 vcc_lo, s[14:15], v[39:40]
	s_or_not1_b32 s0, vcc_lo, exec_lo
.LBB1341_279:
	s_or_b32 exec_lo, exec_lo, s36
.LBB1341_280:
	v_cndmask_b32_e64 v36, 0, 1, s35
	v_cndmask_b32_e64 v37, 0, 1, s27
	;; [unrolled: 1-line block ×7, first 2 shown]
	v_lshlrev_b16 v37, 8, v37
	v_lshlrev_b16 v38, 8, v38
	;; [unrolled: 1-line block ×4, first 2 shown]
	s_waitcnt lgkmcnt(0)
	v_or_b32_e32 v37, v40, v37
	v_or_b32_e32 v38, v41, v38
	;; [unrolled: 1-line block ×4, first 2 shown]
	s_barrier
	v_and_b32_e32 v36, 0xffff, v37
	v_lshlrev_b32_e32 v37, 16, v38
	v_and_b32_e32 v38, 0xffff, v39
	v_lshlrev_b32_e32 v35, 16, v35
	buffer_gl0_inv
                                        ; implicit-def: $sgpr0
	v_or_b32_e32 v36, v36, v37
	v_or_b32_e32 v35, v38, v35
	s_and_saveexec_b32 s4, s3
	s_delay_alu instid0(SALU_CYCLE_1)
	s_xor_b32 s24, exec_lo, s4
	s_cbranch_execz .LBB1341_291
; %bb.281:
	s_and_not1_b32 vcc_lo, exec_lo, s13
	s_mov_b32 s0, 0
	s_cbranch_vccnz .LBB1341_290
; %bb.282:
	v_add_nc_u32_e32 v37, -8, v55
	v_lshlrev_b64 v[33:34], 1, v[33:34]
	s_mov_b32 s0, -1
	s_mov_b32 s25, exec_lo
	ds_load_b64 v[37:38], v37
	s_waitcnt lgkmcnt(0)
	v_mul_lo_u32 v40, v38, s14
	v_mul_lo_u32 v41, v37, s15
	v_mad_u64_u32 v[38:39], null, v37, s14, 0
	s_delay_alu instid0(VALU_DEP_1) | instskip(NEXT) | instid1(VALU_DEP_1)
	v_add3_u32 v39, v39, v41, v40
	v_lshlrev_b64 v[37:38], 1, v[38:39]
	s_delay_alu instid0(VALU_DEP_1) | instskip(NEXT) | instid1(VALU_DEP_2)
	v_add_co_u32 v37, vcc_lo, s20, v37
	v_add_co_ci_u32_e32 v38, vcc_lo, s21, v38, vcc_lo
	v_add_co_u32 v33, vcc_lo, s20, v33
	v_add_co_ci_u32_e32 v34, vcc_lo, s21, v34, vcc_lo
	s_clause 0x1
	global_load_u16 v39, v[37:38], off
	global_load_u16 v40, v[33:34], off
	s_waitcnt vmcnt(0)
	v_cmpx_eq_f16_e32 v39, v40
	s_cbranch_execz .LBB1341_289
; %bb.283:
	v_add_co_u32 v33, vcc_lo, v33, 2
	v_add_co_ci_u32_e32 v34, vcc_lo, 0, v34, vcc_lo
	v_add_co_u32 v37, vcc_lo, v37, 2
	v_add_co_ci_u32_e32 v38, vcc_lo, 0, v38, vcc_lo
	s_add_u32 s4, s14, -1
	s_addc_u32 s5, s15, -1
	s_mov_b64 s[6:7], 0
	s_mov_b32 s26, 0
                                        ; implicit-def: $sgpr27
	s_set_inst_prefetch_distance 0x1
	s_branch .LBB1341_286
	.p2align	6
.LBB1341_284:                           ;   in Loop: Header=BB1341_286 Depth=1
	global_load_u16 v39, v[37:38], off
	global_load_u16 v40, v[33:34], off
	v_add_co_u32 v33, vcc_lo, v33, 2
	v_add_co_ci_u32_e32 v34, vcc_lo, 0, v34, vcc_lo
	v_add_co_u32 v37, s0, v37, 2
	s_delay_alu instid0(VALU_DEP_1)
	v_add_co_ci_u32_e64 v38, s0, 0, v38, s0
	s_add_u32 s6, s6, 1
	s_addc_u32 s7, s7, 0
	s_and_not1_b32 s0, s27, exec_lo
	s_waitcnt vmcnt(0)
	v_cmp_neq_f16_e32 vcc_lo, v39, v40
	s_and_b32 s27, vcc_lo, exec_lo
	s_delay_alu instid0(SALU_CYCLE_1)
	s_or_b32 s27, s0, s27
.LBB1341_285:                           ;   in Loop: Header=BB1341_286 Depth=1
	v_dual_mov_b32 v40, s7 :: v_dual_mov_b32 v39, s6
	s_and_b32 s0, exec_lo, s27
	s_delay_alu instid0(SALU_CYCLE_1) | instskip(NEXT) | instid1(SALU_CYCLE_1)
	s_or_b32 s26, s0, s26
	s_and_not1_b32 exec_lo, exec_lo, s26
	s_cbranch_execz .LBB1341_288
.LBB1341_286:                           ; =>This Inner Loop Header: Depth=1
	s_or_b32 s27, s27, exec_lo
	s_cmp_eq_u64 s[4:5], s[6:7]
	s_cbranch_scc0 .LBB1341_284
; %bb.287:                              ;   in Loop: Header=BB1341_286 Depth=1
	s_mov_b64 s[6:7], s[14:15]
                                        ; implicit-def: $vgpr33_vgpr34
                                        ; implicit-def: $vgpr37_vgpr38
	s_branch .LBB1341_285
.LBB1341_288:
	s_set_inst_prefetch_distance 0x2
	s_or_b32 exec_lo, exec_lo, s26
	v_cmp_gt_i64_e32 vcc_lo, s[14:15], v[39:40]
	s_or_not1_b32 s0, vcc_lo, exec_lo
.LBB1341_289:
	s_or_b32 exec_lo, exec_lo, s25
.LBB1341_290:
	s_delay_alu instid0(SALU_CYCLE_1)
	s_and_b32 s0, s0, exec_lo
	s_or_b32 s1, s1, exec_lo
.LBB1341_291:
	s_or_b32 exec_lo, exec_lo, s24
	s_branch .LBB1341_383
.LBB1341_292:
	s_waitcnt vmcnt(0) lgkmcnt(1)
	v_or_b32_e32 v33, 7, v55
	s_mov_b32 s24, 0
	s_mov_b32 s25, 0
	s_mov_b32 s26, exec_lo
	s_delay_alu instid0(VALU_DEP_1)
	v_cmpx_gt_u32_e64 s31, v33
	s_cbranch_execz .LBB1341_303
; %bb.293:
	s_and_not1_b32 vcc_lo, exec_lo, s13
	s_mov_b32 s0, 0
	s_cbranch_vccnz .LBB1341_302
; %bb.294:
	v_mul_lo_u32 v37, v18, s14
	v_mul_lo_u32 v38, v17, s15
	v_mad_u64_u32 v[33:34], null, v17, s14, 0
	v_mul_lo_u32 v39, v20, s14
	v_mul_lo_u32 v40, v19, s15
	v_mad_u64_u32 v[35:36], null, v19, s14, 0
	s_mov_b32 s0, -1
	s_mov_b32 s25, exec_lo
	s_delay_alu instid0(VALU_DEP_4) | instskip(NEXT) | instid1(VALU_DEP_2)
	v_add3_u32 v34, v34, v38, v37
	v_add3_u32 v36, v36, v40, v39
	s_delay_alu instid0(VALU_DEP_2) | instskip(NEXT) | instid1(VALU_DEP_2)
	v_lshlrev_b64 v[33:34], 1, v[33:34]
	v_lshlrev_b64 v[37:38], 1, v[35:36]
	s_delay_alu instid0(VALU_DEP_2) | instskip(NEXT) | instid1(VALU_DEP_3)
	v_add_co_u32 v35, vcc_lo, s20, v33
	v_add_co_ci_u32_e32 v36, vcc_lo, s21, v34, vcc_lo
	s_delay_alu instid0(VALU_DEP_3) | instskip(NEXT) | instid1(VALU_DEP_4)
	v_add_co_u32 v33, vcc_lo, s20, v37
	v_add_co_ci_u32_e32 v34, vcc_lo, s21, v38, vcc_lo
	s_clause 0x1
	global_load_u16 v37, v[35:36], off
	global_load_u16 v38, v[33:34], off
	s_waitcnt vmcnt(0)
	v_cmpx_eq_f16_e32 v37, v38
	s_cbranch_execz .LBB1341_301
; %bb.295:
	v_add_co_u32 v33, vcc_lo, v33, 2
	v_add_co_ci_u32_e32 v34, vcc_lo, 0, v34, vcc_lo
	v_add_co_u32 v35, vcc_lo, v35, 2
	v_add_co_ci_u32_e32 v36, vcc_lo, 0, v36, vcc_lo
	s_add_u32 s4, s14, -1
	s_addc_u32 s5, s15, -1
	s_mov_b64 s[6:7], 0
	s_mov_b32 s27, 0
                                        ; implicit-def: $sgpr34
	s_set_inst_prefetch_distance 0x1
	s_branch .LBB1341_298
	.p2align	6
.LBB1341_296:                           ;   in Loop: Header=BB1341_298 Depth=1
	global_load_u16 v37, v[35:36], off
	global_load_u16 v38, v[33:34], off
	v_add_co_u32 v33, vcc_lo, v33, 2
	v_add_co_ci_u32_e32 v34, vcc_lo, 0, v34, vcc_lo
	v_add_co_u32 v35, s0, v35, 2
	s_delay_alu instid0(VALU_DEP_1)
	v_add_co_ci_u32_e64 v36, s0, 0, v36, s0
	s_add_u32 s6, s6, 1
	s_addc_u32 s7, s7, 0
	s_and_not1_b32 s0, s34, exec_lo
	s_waitcnt vmcnt(0)
	v_cmp_neq_f16_e32 vcc_lo, v37, v38
	s_and_b32 s34, vcc_lo, exec_lo
	s_delay_alu instid0(SALU_CYCLE_1)
	s_or_b32 s34, s0, s34
.LBB1341_297:                           ;   in Loop: Header=BB1341_298 Depth=1
	v_dual_mov_b32 v38, s7 :: v_dual_mov_b32 v37, s6
	s_and_b32 s0, exec_lo, s34
	s_delay_alu instid0(SALU_CYCLE_1) | instskip(NEXT) | instid1(SALU_CYCLE_1)
	s_or_b32 s27, s0, s27
	s_and_not1_b32 exec_lo, exec_lo, s27
	s_cbranch_execz .LBB1341_300
.LBB1341_298:                           ; =>This Inner Loop Header: Depth=1
	s_or_b32 s34, s34, exec_lo
	s_cmp_eq_u64 s[4:5], s[6:7]
	s_cbranch_scc0 .LBB1341_296
; %bb.299:                              ;   in Loop: Header=BB1341_298 Depth=1
	s_mov_b64 s[6:7], s[14:15]
                                        ; implicit-def: $vgpr33_vgpr34
                                        ; implicit-def: $vgpr35_vgpr36
	s_branch .LBB1341_297
.LBB1341_300:
	s_set_inst_prefetch_distance 0x2
	s_or_b32 exec_lo, exec_lo, s27
	v_cmp_gt_i64_e32 vcc_lo, s[14:15], v[37:38]
	s_or_not1_b32 s0, vcc_lo, exec_lo
.LBB1341_301:
	s_or_b32 exec_lo, exec_lo, s25
.LBB1341_302:
	s_delay_alu instid0(SALU_CYCLE_1)
	s_and_b32 s25, s0, exec_lo
.LBB1341_303:
	s_or_b32 exec_lo, exec_lo, s26
	v_or_b32_e32 v33, 6, v55
	s_mov_b32 s26, exec_lo
	s_delay_alu instid0(VALU_DEP_1)
	v_cmpx_gt_u32_e64 s31, v33
	s_cbranch_execz .LBB1341_314
; %bb.304:
	s_and_not1_b32 vcc_lo, exec_lo, s13
	s_mov_b32 s0, 0
	s_cbranch_vccnz .LBB1341_313
; %bb.305:
	v_mul_lo_u32 v37, v24, s14
	v_mul_lo_u32 v38, v23, s15
	v_mad_u64_u32 v[33:34], null, v23, s14, 0
	v_mul_lo_u32 v39, v18, s14
	v_mul_lo_u32 v40, v17, s15
	v_mad_u64_u32 v[35:36], null, v17, s14, 0
	s_mov_b32 s0, -1
	s_mov_b32 s24, exec_lo
	s_delay_alu instid0(VALU_DEP_4) | instskip(NEXT) | instid1(VALU_DEP_2)
	v_add3_u32 v34, v34, v38, v37
	v_add3_u32 v36, v36, v40, v39
	s_delay_alu instid0(VALU_DEP_2) | instskip(NEXT) | instid1(VALU_DEP_2)
	v_lshlrev_b64 v[33:34], 1, v[33:34]
	v_lshlrev_b64 v[37:38], 1, v[35:36]
	s_delay_alu instid0(VALU_DEP_2) | instskip(NEXT) | instid1(VALU_DEP_3)
	v_add_co_u32 v35, vcc_lo, s20, v33
	v_add_co_ci_u32_e32 v36, vcc_lo, s21, v34, vcc_lo
	s_delay_alu instid0(VALU_DEP_3) | instskip(NEXT) | instid1(VALU_DEP_4)
	v_add_co_u32 v33, vcc_lo, s20, v37
	v_add_co_ci_u32_e32 v34, vcc_lo, s21, v38, vcc_lo
	s_clause 0x1
	global_load_u16 v37, v[35:36], off
	global_load_u16 v38, v[33:34], off
	s_waitcnt vmcnt(0)
	v_cmpx_eq_f16_e32 v37, v38
	s_cbranch_execz .LBB1341_312
; %bb.306:
	v_add_co_u32 v33, vcc_lo, v33, 2
	v_add_co_ci_u32_e32 v34, vcc_lo, 0, v34, vcc_lo
	v_add_co_u32 v35, vcc_lo, v35, 2
	v_add_co_ci_u32_e32 v36, vcc_lo, 0, v36, vcc_lo
	s_add_u32 s4, s14, -1
	s_addc_u32 s5, s15, -1
	s_mov_b64 s[6:7], 0
	s_mov_b32 s27, 0
                                        ; implicit-def: $sgpr34
	s_set_inst_prefetch_distance 0x1
	s_branch .LBB1341_309
	.p2align	6
.LBB1341_307:                           ;   in Loop: Header=BB1341_309 Depth=1
	global_load_u16 v37, v[35:36], off
	global_load_u16 v38, v[33:34], off
	v_add_co_u32 v33, vcc_lo, v33, 2
	v_add_co_ci_u32_e32 v34, vcc_lo, 0, v34, vcc_lo
	v_add_co_u32 v35, s0, v35, 2
	s_delay_alu instid0(VALU_DEP_1)
	v_add_co_ci_u32_e64 v36, s0, 0, v36, s0
	s_add_u32 s6, s6, 1
	s_addc_u32 s7, s7, 0
	s_and_not1_b32 s0, s34, exec_lo
	s_waitcnt vmcnt(0)
	v_cmp_neq_f16_e32 vcc_lo, v37, v38
	s_and_b32 s34, vcc_lo, exec_lo
	s_delay_alu instid0(SALU_CYCLE_1)
	s_or_b32 s34, s0, s34
.LBB1341_308:                           ;   in Loop: Header=BB1341_309 Depth=1
	v_dual_mov_b32 v38, s7 :: v_dual_mov_b32 v37, s6
	s_and_b32 s0, exec_lo, s34
	s_delay_alu instid0(SALU_CYCLE_1) | instskip(NEXT) | instid1(SALU_CYCLE_1)
	s_or_b32 s27, s0, s27
	s_and_not1_b32 exec_lo, exec_lo, s27
	s_cbranch_execz .LBB1341_311
.LBB1341_309:                           ; =>This Inner Loop Header: Depth=1
	s_or_b32 s34, s34, exec_lo
	s_cmp_eq_u64 s[4:5], s[6:7]
	s_cbranch_scc0 .LBB1341_307
; %bb.310:                              ;   in Loop: Header=BB1341_309 Depth=1
	s_mov_b64 s[6:7], s[14:15]
                                        ; implicit-def: $vgpr33_vgpr34
                                        ; implicit-def: $vgpr35_vgpr36
	s_branch .LBB1341_308
.LBB1341_311:
	s_set_inst_prefetch_distance 0x2
	s_or_b32 exec_lo, exec_lo, s27
	v_cmp_gt_i64_e32 vcc_lo, s[14:15], v[37:38]
	s_or_not1_b32 s0, vcc_lo, exec_lo
.LBB1341_312:
	s_or_b32 exec_lo, exec_lo, s24
.LBB1341_313:
	s_delay_alu instid0(SALU_CYCLE_1)
	s_and_b32 s24, s0, exec_lo
.LBB1341_314:
	s_or_b32 exec_lo, exec_lo, s26
	v_or_b32_e32 v33, 5, v55
	s_mov_b32 s26, 0
	s_mov_b32 s27, 0
	s_mov_b32 s34, exec_lo
	s_delay_alu instid0(VALU_DEP_1)
	v_cmpx_gt_u32_e64 s31, v33
	s_cbranch_execz .LBB1341_325
; %bb.315:
	s_and_not1_b32 vcc_lo, exec_lo, s13
	s_mov_b32 s0, 0
	s_cbranch_vccnz .LBB1341_324
; %bb.316:
	v_mul_lo_u32 v37, v22, s14
	v_mul_lo_u32 v38, v21, s15
	v_mad_u64_u32 v[33:34], null, v21, s14, 0
	v_mul_lo_u32 v39, v24, s14
	v_mul_lo_u32 v40, v23, s15
	v_mad_u64_u32 v[35:36], null, v23, s14, 0
	s_mov_b32 s0, -1
	s_mov_b32 s27, exec_lo
	s_delay_alu instid0(VALU_DEP_4) | instskip(NEXT) | instid1(VALU_DEP_2)
	v_add3_u32 v34, v34, v38, v37
	v_add3_u32 v36, v36, v40, v39
	s_delay_alu instid0(VALU_DEP_2) | instskip(NEXT) | instid1(VALU_DEP_2)
	v_lshlrev_b64 v[33:34], 1, v[33:34]
	v_lshlrev_b64 v[37:38], 1, v[35:36]
	s_delay_alu instid0(VALU_DEP_2) | instskip(NEXT) | instid1(VALU_DEP_3)
	v_add_co_u32 v35, vcc_lo, s20, v33
	v_add_co_ci_u32_e32 v36, vcc_lo, s21, v34, vcc_lo
	s_delay_alu instid0(VALU_DEP_3) | instskip(NEXT) | instid1(VALU_DEP_4)
	v_add_co_u32 v33, vcc_lo, s20, v37
	v_add_co_ci_u32_e32 v34, vcc_lo, s21, v38, vcc_lo
	s_clause 0x1
	global_load_u16 v37, v[35:36], off
	global_load_u16 v38, v[33:34], off
	s_waitcnt vmcnt(0)
	v_cmpx_eq_f16_e32 v37, v38
	s_cbranch_execz .LBB1341_323
; %bb.317:
	v_add_co_u32 v33, vcc_lo, v33, 2
	v_add_co_ci_u32_e32 v34, vcc_lo, 0, v34, vcc_lo
	v_add_co_u32 v35, vcc_lo, v35, 2
	v_add_co_ci_u32_e32 v36, vcc_lo, 0, v36, vcc_lo
	s_add_u32 s4, s14, -1
	s_addc_u32 s5, s15, -1
	s_mov_b64 s[6:7], 0
	s_mov_b32 s35, 0
                                        ; implicit-def: $sgpr36
	s_set_inst_prefetch_distance 0x1
	s_branch .LBB1341_320
	.p2align	6
.LBB1341_318:                           ;   in Loop: Header=BB1341_320 Depth=1
	global_load_u16 v37, v[35:36], off
	global_load_u16 v38, v[33:34], off
	v_add_co_u32 v33, vcc_lo, v33, 2
	v_add_co_ci_u32_e32 v34, vcc_lo, 0, v34, vcc_lo
	v_add_co_u32 v35, s0, v35, 2
	s_delay_alu instid0(VALU_DEP_1)
	v_add_co_ci_u32_e64 v36, s0, 0, v36, s0
	s_add_u32 s6, s6, 1
	s_addc_u32 s7, s7, 0
	s_and_not1_b32 s0, s36, exec_lo
	s_waitcnt vmcnt(0)
	v_cmp_neq_f16_e32 vcc_lo, v37, v38
	s_and_b32 s36, vcc_lo, exec_lo
	s_delay_alu instid0(SALU_CYCLE_1)
	s_or_b32 s36, s0, s36
.LBB1341_319:                           ;   in Loop: Header=BB1341_320 Depth=1
	v_dual_mov_b32 v38, s7 :: v_dual_mov_b32 v37, s6
	s_and_b32 s0, exec_lo, s36
	s_delay_alu instid0(SALU_CYCLE_1) | instskip(NEXT) | instid1(SALU_CYCLE_1)
	s_or_b32 s35, s0, s35
	s_and_not1_b32 exec_lo, exec_lo, s35
	s_cbranch_execz .LBB1341_322
.LBB1341_320:                           ; =>This Inner Loop Header: Depth=1
	s_or_b32 s36, s36, exec_lo
	s_cmp_eq_u64 s[4:5], s[6:7]
	s_cbranch_scc0 .LBB1341_318
; %bb.321:                              ;   in Loop: Header=BB1341_320 Depth=1
	s_mov_b64 s[6:7], s[14:15]
                                        ; implicit-def: $vgpr33_vgpr34
                                        ; implicit-def: $vgpr35_vgpr36
	s_branch .LBB1341_319
.LBB1341_322:
	s_set_inst_prefetch_distance 0x2
	s_or_b32 exec_lo, exec_lo, s35
	v_cmp_gt_i64_e32 vcc_lo, s[14:15], v[37:38]
	s_or_not1_b32 s0, vcc_lo, exec_lo
.LBB1341_323:
	s_or_b32 exec_lo, exec_lo, s27
.LBB1341_324:
	s_delay_alu instid0(SALU_CYCLE_1)
	s_and_b32 s27, s0, exec_lo
.LBB1341_325:
	s_or_b32 exec_lo, exec_lo, s34
	v_or_b32_e32 v33, 4, v55
	s_mov_b32 s34, exec_lo
	s_delay_alu instid0(VALU_DEP_1)
	v_cmpx_gt_u32_e64 s31, v33
	s_cbranch_execz .LBB1341_336
; %bb.326:
	s_and_not1_b32 vcc_lo, exec_lo, s13
	s_mov_b32 s0, 0
	s_cbranch_vccnz .LBB1341_335
; %bb.327:
	v_mul_lo_u32 v37, v28, s14
	v_mul_lo_u32 v38, v27, s15
	v_mad_u64_u32 v[33:34], null, v27, s14, 0
	v_mul_lo_u32 v39, v22, s14
	v_mul_lo_u32 v40, v21, s15
	v_mad_u64_u32 v[35:36], null, v21, s14, 0
	s_mov_b32 s0, -1
	s_mov_b32 s26, exec_lo
	s_delay_alu instid0(VALU_DEP_4) | instskip(NEXT) | instid1(VALU_DEP_2)
	v_add3_u32 v34, v34, v38, v37
	v_add3_u32 v36, v36, v40, v39
	s_delay_alu instid0(VALU_DEP_2) | instskip(NEXT) | instid1(VALU_DEP_2)
	v_lshlrev_b64 v[33:34], 1, v[33:34]
	v_lshlrev_b64 v[37:38], 1, v[35:36]
	s_delay_alu instid0(VALU_DEP_2) | instskip(NEXT) | instid1(VALU_DEP_3)
	v_add_co_u32 v35, vcc_lo, s20, v33
	v_add_co_ci_u32_e32 v36, vcc_lo, s21, v34, vcc_lo
	s_delay_alu instid0(VALU_DEP_3) | instskip(NEXT) | instid1(VALU_DEP_4)
	v_add_co_u32 v33, vcc_lo, s20, v37
	v_add_co_ci_u32_e32 v34, vcc_lo, s21, v38, vcc_lo
	s_clause 0x1
	global_load_u16 v37, v[35:36], off
	global_load_u16 v38, v[33:34], off
	s_waitcnt vmcnt(0)
	v_cmpx_eq_f16_e32 v37, v38
	s_cbranch_execz .LBB1341_334
; %bb.328:
	v_add_co_u32 v33, vcc_lo, v33, 2
	v_add_co_ci_u32_e32 v34, vcc_lo, 0, v34, vcc_lo
	v_add_co_u32 v35, vcc_lo, v35, 2
	v_add_co_ci_u32_e32 v36, vcc_lo, 0, v36, vcc_lo
	s_add_u32 s4, s14, -1
	s_addc_u32 s5, s15, -1
	s_mov_b64 s[6:7], 0
	s_mov_b32 s35, 0
                                        ; implicit-def: $sgpr36
	s_set_inst_prefetch_distance 0x1
	s_branch .LBB1341_331
	.p2align	6
.LBB1341_329:                           ;   in Loop: Header=BB1341_331 Depth=1
	global_load_u16 v37, v[35:36], off
	global_load_u16 v38, v[33:34], off
	v_add_co_u32 v33, vcc_lo, v33, 2
	v_add_co_ci_u32_e32 v34, vcc_lo, 0, v34, vcc_lo
	v_add_co_u32 v35, s0, v35, 2
	s_delay_alu instid0(VALU_DEP_1)
	v_add_co_ci_u32_e64 v36, s0, 0, v36, s0
	s_add_u32 s6, s6, 1
	s_addc_u32 s7, s7, 0
	s_and_not1_b32 s0, s36, exec_lo
	s_waitcnt vmcnt(0)
	v_cmp_neq_f16_e32 vcc_lo, v37, v38
	s_and_b32 s36, vcc_lo, exec_lo
	s_delay_alu instid0(SALU_CYCLE_1)
	s_or_b32 s36, s0, s36
.LBB1341_330:                           ;   in Loop: Header=BB1341_331 Depth=1
	v_dual_mov_b32 v38, s7 :: v_dual_mov_b32 v37, s6
	s_and_b32 s0, exec_lo, s36
	s_delay_alu instid0(SALU_CYCLE_1) | instskip(NEXT) | instid1(SALU_CYCLE_1)
	s_or_b32 s35, s0, s35
	s_and_not1_b32 exec_lo, exec_lo, s35
	s_cbranch_execz .LBB1341_333
.LBB1341_331:                           ; =>This Inner Loop Header: Depth=1
	s_or_b32 s36, s36, exec_lo
	s_cmp_eq_u64 s[4:5], s[6:7]
	s_cbranch_scc0 .LBB1341_329
; %bb.332:                              ;   in Loop: Header=BB1341_331 Depth=1
	s_mov_b64 s[6:7], s[14:15]
                                        ; implicit-def: $vgpr33_vgpr34
                                        ; implicit-def: $vgpr35_vgpr36
	s_branch .LBB1341_330
.LBB1341_333:
	s_set_inst_prefetch_distance 0x2
	s_or_b32 exec_lo, exec_lo, s35
	v_cmp_gt_i64_e32 vcc_lo, s[14:15], v[37:38]
	s_or_not1_b32 s0, vcc_lo, exec_lo
.LBB1341_334:
	s_or_b32 exec_lo, exec_lo, s26
.LBB1341_335:
	s_delay_alu instid0(SALU_CYCLE_1)
	s_and_b32 s26, s0, exec_lo
.LBB1341_336:
	s_or_b32 exec_lo, exec_lo, s34
	v_or_b32_e32 v33, 3, v55
	s_mov_b32 s35, 0
	s_mov_b32 s34, 0
	s_mov_b32 s36, exec_lo
	s_delay_alu instid0(VALU_DEP_1)
	v_cmpx_gt_u32_e64 s31, v33
	s_cbranch_execz .LBB1341_347
; %bb.337:
	s_and_not1_b32 vcc_lo, exec_lo, s13
	s_mov_b32 s0, 0
	s_cbranch_vccnz .LBB1341_346
; %bb.338:
	v_mul_lo_u32 v37, v26, s14
	v_mul_lo_u32 v38, v25, s15
	v_mad_u64_u32 v[33:34], null, v25, s14, 0
	v_mul_lo_u32 v39, v28, s14
	v_mul_lo_u32 v40, v27, s15
	v_mad_u64_u32 v[35:36], null, v27, s14, 0
	s_mov_b32 s0, -1
	s_mov_b32 s34, exec_lo
	s_delay_alu instid0(VALU_DEP_4) | instskip(NEXT) | instid1(VALU_DEP_2)
	v_add3_u32 v34, v34, v38, v37
	v_add3_u32 v36, v36, v40, v39
	s_delay_alu instid0(VALU_DEP_2) | instskip(NEXT) | instid1(VALU_DEP_2)
	v_lshlrev_b64 v[33:34], 1, v[33:34]
	v_lshlrev_b64 v[37:38], 1, v[35:36]
	s_delay_alu instid0(VALU_DEP_2) | instskip(NEXT) | instid1(VALU_DEP_3)
	v_add_co_u32 v35, vcc_lo, s20, v33
	v_add_co_ci_u32_e32 v36, vcc_lo, s21, v34, vcc_lo
	s_delay_alu instid0(VALU_DEP_3) | instskip(NEXT) | instid1(VALU_DEP_4)
	v_add_co_u32 v33, vcc_lo, s20, v37
	v_add_co_ci_u32_e32 v34, vcc_lo, s21, v38, vcc_lo
	s_clause 0x1
	global_load_u16 v37, v[35:36], off
	global_load_u16 v38, v[33:34], off
	s_waitcnt vmcnt(0)
	v_cmpx_eq_f16_e32 v37, v38
	s_cbranch_execz .LBB1341_345
; %bb.339:
	v_add_co_u32 v33, vcc_lo, v33, 2
	v_add_co_ci_u32_e32 v34, vcc_lo, 0, v34, vcc_lo
	v_add_co_u32 v35, vcc_lo, v35, 2
	v_add_co_ci_u32_e32 v36, vcc_lo, 0, v36, vcc_lo
	s_add_u32 s4, s14, -1
	s_addc_u32 s5, s15, -1
	s_mov_b64 s[6:7], 0
	s_mov_b32 s37, 0
                                        ; implicit-def: $sgpr38
	s_set_inst_prefetch_distance 0x1
	s_branch .LBB1341_342
	.p2align	6
.LBB1341_340:                           ;   in Loop: Header=BB1341_342 Depth=1
	global_load_u16 v37, v[35:36], off
	global_load_u16 v38, v[33:34], off
	v_add_co_u32 v33, vcc_lo, v33, 2
	v_add_co_ci_u32_e32 v34, vcc_lo, 0, v34, vcc_lo
	v_add_co_u32 v35, s0, v35, 2
	s_delay_alu instid0(VALU_DEP_1)
	v_add_co_ci_u32_e64 v36, s0, 0, v36, s0
	s_add_u32 s6, s6, 1
	s_addc_u32 s7, s7, 0
	s_and_not1_b32 s0, s38, exec_lo
	s_waitcnt vmcnt(0)
	v_cmp_neq_f16_e32 vcc_lo, v37, v38
	s_and_b32 s38, vcc_lo, exec_lo
	s_delay_alu instid0(SALU_CYCLE_1)
	s_or_b32 s38, s0, s38
.LBB1341_341:                           ;   in Loop: Header=BB1341_342 Depth=1
	v_dual_mov_b32 v38, s7 :: v_dual_mov_b32 v37, s6
	s_and_b32 s0, exec_lo, s38
	s_delay_alu instid0(SALU_CYCLE_1) | instskip(NEXT) | instid1(SALU_CYCLE_1)
	s_or_b32 s37, s0, s37
	s_and_not1_b32 exec_lo, exec_lo, s37
	s_cbranch_execz .LBB1341_344
.LBB1341_342:                           ; =>This Inner Loop Header: Depth=1
	s_or_b32 s38, s38, exec_lo
	s_cmp_eq_u64 s[4:5], s[6:7]
	s_cbranch_scc0 .LBB1341_340
; %bb.343:                              ;   in Loop: Header=BB1341_342 Depth=1
	s_mov_b64 s[6:7], s[14:15]
                                        ; implicit-def: $vgpr33_vgpr34
                                        ; implicit-def: $vgpr35_vgpr36
	s_branch .LBB1341_341
.LBB1341_344:
	s_set_inst_prefetch_distance 0x2
	s_or_b32 exec_lo, exec_lo, s37
	v_cmp_gt_i64_e32 vcc_lo, s[14:15], v[37:38]
	s_or_not1_b32 s0, vcc_lo, exec_lo
.LBB1341_345:
	s_or_b32 exec_lo, exec_lo, s34
.LBB1341_346:
	s_delay_alu instid0(SALU_CYCLE_1)
	s_and_b32 s34, s0, exec_lo
.LBB1341_347:
	s_or_b32 exec_lo, exec_lo, s36
	v_or_b32_e32 v33, 2, v55
	s_mov_b32 s36, exec_lo
	s_delay_alu instid0(VALU_DEP_1)
	v_cmpx_gt_u32_e64 s31, v33
	s_cbranch_execz .LBB1341_358
; %bb.348:
	s_and_not1_b32 vcc_lo, exec_lo, s13
	s_mov_b32 s0, 0
	s_cbranch_vccnz .LBB1341_357
; %bb.349:
	v_mul_lo_u32 v37, v32, s14
	v_mul_lo_u32 v38, v31, s15
	v_mad_u64_u32 v[33:34], null, v31, s14, 0
	v_mul_lo_u32 v39, v26, s14
	v_mul_lo_u32 v40, v25, s15
	v_mad_u64_u32 v[35:36], null, v25, s14, 0
	s_mov_b32 s0, -1
	s_mov_b32 s35, exec_lo
	s_delay_alu instid0(VALU_DEP_4) | instskip(NEXT) | instid1(VALU_DEP_2)
	v_add3_u32 v34, v34, v38, v37
	v_add3_u32 v36, v36, v40, v39
	s_delay_alu instid0(VALU_DEP_2) | instskip(NEXT) | instid1(VALU_DEP_2)
	v_lshlrev_b64 v[33:34], 1, v[33:34]
	v_lshlrev_b64 v[37:38], 1, v[35:36]
	s_delay_alu instid0(VALU_DEP_2) | instskip(NEXT) | instid1(VALU_DEP_3)
	v_add_co_u32 v35, vcc_lo, s20, v33
	v_add_co_ci_u32_e32 v36, vcc_lo, s21, v34, vcc_lo
	s_delay_alu instid0(VALU_DEP_3) | instskip(NEXT) | instid1(VALU_DEP_4)
	v_add_co_u32 v33, vcc_lo, s20, v37
	v_add_co_ci_u32_e32 v34, vcc_lo, s21, v38, vcc_lo
	s_clause 0x1
	global_load_u16 v37, v[35:36], off
	global_load_u16 v38, v[33:34], off
	s_waitcnt vmcnt(0)
	v_cmpx_eq_f16_e32 v37, v38
	s_cbranch_execz .LBB1341_356
; %bb.350:
	v_add_co_u32 v33, vcc_lo, v33, 2
	v_add_co_ci_u32_e32 v34, vcc_lo, 0, v34, vcc_lo
	v_add_co_u32 v35, vcc_lo, v35, 2
	v_add_co_ci_u32_e32 v36, vcc_lo, 0, v36, vcc_lo
	s_add_u32 s4, s14, -1
	s_addc_u32 s5, s15, -1
	s_mov_b64 s[6:7], 0
	s_mov_b32 s37, 0
                                        ; implicit-def: $sgpr38
	s_set_inst_prefetch_distance 0x1
	s_branch .LBB1341_353
	.p2align	6
.LBB1341_351:                           ;   in Loop: Header=BB1341_353 Depth=1
	global_load_u16 v37, v[35:36], off
	global_load_u16 v38, v[33:34], off
	v_add_co_u32 v33, vcc_lo, v33, 2
	v_add_co_ci_u32_e32 v34, vcc_lo, 0, v34, vcc_lo
	v_add_co_u32 v35, s0, v35, 2
	s_delay_alu instid0(VALU_DEP_1)
	v_add_co_ci_u32_e64 v36, s0, 0, v36, s0
	s_add_u32 s6, s6, 1
	s_addc_u32 s7, s7, 0
	s_and_not1_b32 s0, s38, exec_lo
	s_waitcnt vmcnt(0)
	v_cmp_neq_f16_e32 vcc_lo, v37, v38
	s_and_b32 s38, vcc_lo, exec_lo
	s_delay_alu instid0(SALU_CYCLE_1)
	s_or_b32 s38, s0, s38
.LBB1341_352:                           ;   in Loop: Header=BB1341_353 Depth=1
	v_dual_mov_b32 v38, s7 :: v_dual_mov_b32 v37, s6
	s_and_b32 s0, exec_lo, s38
	s_delay_alu instid0(SALU_CYCLE_1) | instskip(NEXT) | instid1(SALU_CYCLE_1)
	s_or_b32 s37, s0, s37
	s_and_not1_b32 exec_lo, exec_lo, s37
	s_cbranch_execz .LBB1341_355
.LBB1341_353:                           ; =>This Inner Loop Header: Depth=1
	s_or_b32 s38, s38, exec_lo
	s_cmp_eq_u64 s[4:5], s[6:7]
	s_cbranch_scc0 .LBB1341_351
; %bb.354:                              ;   in Loop: Header=BB1341_353 Depth=1
	s_mov_b64 s[6:7], s[14:15]
                                        ; implicit-def: $vgpr33_vgpr34
                                        ; implicit-def: $vgpr35_vgpr36
	s_branch .LBB1341_352
.LBB1341_355:
	s_set_inst_prefetch_distance 0x2
	s_or_b32 exec_lo, exec_lo, s37
	v_cmp_gt_i64_e32 vcc_lo, s[14:15], v[37:38]
	s_or_not1_b32 s0, vcc_lo, exec_lo
.LBB1341_356:
	s_or_b32 exec_lo, exec_lo, s35
.LBB1341_357:
	s_delay_alu instid0(SALU_CYCLE_1)
	s_and_b32 s35, s0, exec_lo
.LBB1341_358:
	s_or_b32 exec_lo, exec_lo, s36
	v_or_b32_e32 v33, 1, v55
	s_mov_b32 s0, 0
	s_mov_b32 s36, exec_lo
	s_delay_alu instid0(VALU_DEP_1)
	v_cmpx_gt_u32_e64 s31, v33
	s_cbranch_execz .LBB1341_369
; %bb.359:
	s_and_not1_b32 vcc_lo, exec_lo, s13
	s_cbranch_vccnz .LBB1341_368
; %bb.360:
	v_mul_lo_u32 v37, v30, s14
	v_mul_lo_u32 v38, v29, s15
	v_mad_u64_u32 v[33:34], null, v29, s14, 0
	v_mul_lo_u32 v39, v32, s14
	v_mul_lo_u32 v40, v31, s15
	v_mad_u64_u32 v[35:36], null, v31, s14, 0
	s_mov_b32 s0, -1
	s_mov_b32 s37, exec_lo
	s_delay_alu instid0(VALU_DEP_4) | instskip(NEXT) | instid1(VALU_DEP_2)
	v_add3_u32 v34, v34, v38, v37
	v_add3_u32 v36, v36, v40, v39
	s_delay_alu instid0(VALU_DEP_2) | instskip(NEXT) | instid1(VALU_DEP_2)
	v_lshlrev_b64 v[33:34], 1, v[33:34]
	v_lshlrev_b64 v[37:38], 1, v[35:36]
	s_delay_alu instid0(VALU_DEP_2) | instskip(NEXT) | instid1(VALU_DEP_3)
	v_add_co_u32 v35, vcc_lo, s20, v33
	v_add_co_ci_u32_e32 v36, vcc_lo, s21, v34, vcc_lo
	s_delay_alu instid0(VALU_DEP_3) | instskip(NEXT) | instid1(VALU_DEP_4)
	v_add_co_u32 v33, vcc_lo, s20, v37
	v_add_co_ci_u32_e32 v34, vcc_lo, s21, v38, vcc_lo
	s_clause 0x1
	global_load_u16 v37, v[35:36], off
	global_load_u16 v38, v[33:34], off
	s_waitcnt vmcnt(0)
	v_cmpx_eq_f16_e32 v37, v38
	s_cbranch_execz .LBB1341_367
; %bb.361:
	v_add_co_u32 v33, vcc_lo, v33, 2
	v_add_co_ci_u32_e32 v34, vcc_lo, 0, v34, vcc_lo
	v_add_co_u32 v35, vcc_lo, v35, 2
	v_add_co_ci_u32_e32 v36, vcc_lo, 0, v36, vcc_lo
	s_add_u32 s4, s14, -1
	s_addc_u32 s5, s15, -1
	s_mov_b64 s[6:7], 0
	s_mov_b32 s38, 0
                                        ; implicit-def: $sgpr39
	s_set_inst_prefetch_distance 0x1
	s_branch .LBB1341_364
	.p2align	6
.LBB1341_362:                           ;   in Loop: Header=BB1341_364 Depth=1
	global_load_u16 v37, v[35:36], off
	global_load_u16 v38, v[33:34], off
	v_add_co_u32 v33, vcc_lo, v33, 2
	v_add_co_ci_u32_e32 v34, vcc_lo, 0, v34, vcc_lo
	v_add_co_u32 v35, s0, v35, 2
	s_delay_alu instid0(VALU_DEP_1)
	v_add_co_ci_u32_e64 v36, s0, 0, v36, s0
	s_add_u32 s6, s6, 1
	s_addc_u32 s7, s7, 0
	s_and_not1_b32 s0, s39, exec_lo
	s_waitcnt vmcnt(0)
	v_cmp_neq_f16_e32 vcc_lo, v37, v38
	s_and_b32 s39, vcc_lo, exec_lo
	s_delay_alu instid0(SALU_CYCLE_1)
	s_or_b32 s39, s0, s39
.LBB1341_363:                           ;   in Loop: Header=BB1341_364 Depth=1
	v_dual_mov_b32 v38, s7 :: v_dual_mov_b32 v37, s6
	s_and_b32 s0, exec_lo, s39
	s_delay_alu instid0(SALU_CYCLE_1) | instskip(NEXT) | instid1(SALU_CYCLE_1)
	s_or_b32 s38, s0, s38
	s_and_not1_b32 exec_lo, exec_lo, s38
	s_cbranch_execz .LBB1341_366
.LBB1341_364:                           ; =>This Inner Loop Header: Depth=1
	s_or_b32 s39, s39, exec_lo
	s_cmp_eq_u64 s[4:5], s[6:7]
	s_cbranch_scc0 .LBB1341_362
; %bb.365:                              ;   in Loop: Header=BB1341_364 Depth=1
	s_mov_b64 s[6:7], s[14:15]
                                        ; implicit-def: $vgpr33_vgpr34
                                        ; implicit-def: $vgpr35_vgpr36
	s_branch .LBB1341_363
.LBB1341_366:
	s_set_inst_prefetch_distance 0x2
	s_or_b32 exec_lo, exec_lo, s38
	v_cmp_gt_i64_e32 vcc_lo, s[14:15], v[37:38]
	s_or_not1_b32 s0, vcc_lo, exec_lo
.LBB1341_367:
	s_or_b32 exec_lo, exec_lo, s37
.LBB1341_368:
	s_delay_alu instid0(SALU_CYCLE_1)
	s_and_b32 s0, s0, exec_lo
.LBB1341_369:
	s_or_b32 exec_lo, exec_lo, s36
	v_cndmask_b32_e64 v34, 0, 1, s34
	v_cndmask_b32_e64 v35, 0, 1, s27
	;; [unrolled: 1-line block ×7, first 2 shown]
	v_lshlrev_b16 v35, 8, v35
	v_lshlrev_b16 v36, 8, v36
	;; [unrolled: 1-line block ×4, first 2 shown]
	s_waitcnt lgkmcnt(0)
	v_or_b32_e32 v35, v38, v35
	v_or_b32_e32 v36, v39, v36
	;; [unrolled: 1-line block ×4, first 2 shown]
	s_barrier
	v_and_b32_e32 v34, 0xffff, v35
	v_lshlrev_b32_e32 v35, 16, v36
	v_and_b32_e32 v37, 0xffff, v37
	v_lshlrev_b32_e32 v33, 16, v33
	buffer_gl0_inv
                                        ; implicit-def: $sgpr0
	v_or_b32_e32 v36, v34, v35
	v_or_b32_e32 v35, v37, v33
	s_and_saveexec_b32 s24, s3
	s_cbranch_execz .LBB1341_382
; %bb.370:
	s_mov_b32 s0, 0
	s_mov_b32 s3, exec_lo
	v_cmpx_gt_u32_e64 s31, v55
	s_cbranch_execz .LBB1341_381
; %bb.371:
	s_and_not1_b32 vcc_lo, exec_lo, s13
	s_cbranch_vccnz .LBB1341_380
; %bb.372:
	v_add_nc_u32_e32 v33, -8, v55
	v_mul_lo_u32 v41, v30, s14
	v_mul_lo_u32 v42, v29, s15
	s_mov_b32 s0, -1
	s_mov_b32 s13, exec_lo
	ds_load_b64 v[33:34], v33
	s_waitcnt lgkmcnt(0)
	v_mul_lo_u32 v39, v34, s14
	v_mul_lo_u32 v40, v33, s15
	v_mad_u64_u32 v[37:38], null, v33, s14, 0
	v_mad_u64_u32 v[33:34], null, v29, s14, 0
	s_delay_alu instid0(VALU_DEP_2) | instskip(NEXT) | instid1(VALU_DEP_2)
	v_add3_u32 v38, v38, v40, v39
	v_add3_u32 v34, v34, v42, v41
	s_delay_alu instid0(VALU_DEP_2) | instskip(NEXT) | instid1(VALU_DEP_2)
	v_lshlrev_b64 v[37:38], 1, v[37:38]
	v_lshlrev_b64 v[33:34], 1, v[33:34]
	s_delay_alu instid0(VALU_DEP_2) | instskip(NEXT) | instid1(VALU_DEP_3)
	v_add_co_u32 v37, vcc_lo, s20, v37
	v_add_co_ci_u32_e32 v38, vcc_lo, s21, v38, vcc_lo
	s_delay_alu instid0(VALU_DEP_3) | instskip(NEXT) | instid1(VALU_DEP_4)
	v_add_co_u32 v33, vcc_lo, s20, v33
	v_add_co_ci_u32_e32 v34, vcc_lo, s21, v34, vcc_lo
	s_clause 0x1
	global_load_u16 v39, v[37:38], off
	global_load_u16 v40, v[33:34], off
	s_waitcnt vmcnt(0)
	v_cmpx_eq_f16_e32 v39, v40
	s_cbranch_execz .LBB1341_379
; %bb.373:
	v_add_co_u32 v33, vcc_lo, v33, 2
	v_add_co_ci_u32_e32 v34, vcc_lo, 0, v34, vcc_lo
	v_add_co_u32 v37, vcc_lo, v37, 2
	v_add_co_ci_u32_e32 v38, vcc_lo, 0, v38, vcc_lo
	s_add_u32 s4, s14, -1
	s_addc_u32 s5, s15, -1
	s_mov_b64 s[6:7], 0
	s_mov_b32 s20, 0
                                        ; implicit-def: $sgpr21
	s_set_inst_prefetch_distance 0x1
	s_branch .LBB1341_376
	.p2align	6
.LBB1341_374:                           ;   in Loop: Header=BB1341_376 Depth=1
	global_load_u16 v39, v[37:38], off
	global_load_u16 v40, v[33:34], off
	v_add_co_u32 v33, vcc_lo, v33, 2
	v_add_co_ci_u32_e32 v34, vcc_lo, 0, v34, vcc_lo
	v_add_co_u32 v37, s0, v37, 2
	s_delay_alu instid0(VALU_DEP_1)
	v_add_co_ci_u32_e64 v38, s0, 0, v38, s0
	s_add_u32 s6, s6, 1
	s_addc_u32 s7, s7, 0
	s_and_not1_b32 s0, s21, exec_lo
	s_waitcnt vmcnt(0)
	v_cmp_neq_f16_e32 vcc_lo, v39, v40
	s_and_b32 s21, vcc_lo, exec_lo
	s_delay_alu instid0(SALU_CYCLE_1)
	s_or_b32 s21, s0, s21
.LBB1341_375:                           ;   in Loop: Header=BB1341_376 Depth=1
	v_dual_mov_b32 v40, s7 :: v_dual_mov_b32 v39, s6
	s_and_b32 s0, exec_lo, s21
	s_delay_alu instid0(SALU_CYCLE_1) | instskip(NEXT) | instid1(SALU_CYCLE_1)
	s_or_b32 s20, s0, s20
	s_and_not1_b32 exec_lo, exec_lo, s20
	s_cbranch_execz .LBB1341_378
.LBB1341_376:                           ; =>This Inner Loop Header: Depth=1
	s_or_b32 s21, s21, exec_lo
	s_cmp_eq_u64 s[4:5], s[6:7]
	s_cbranch_scc0 .LBB1341_374
; %bb.377:                              ;   in Loop: Header=BB1341_376 Depth=1
	s_mov_b64 s[6:7], s[14:15]
                                        ; implicit-def: $vgpr33_vgpr34
                                        ; implicit-def: $vgpr37_vgpr38
	s_branch .LBB1341_375
.LBB1341_378:
	s_set_inst_prefetch_distance 0x2
	s_or_b32 exec_lo, exec_lo, s20
	v_cmp_gt_i64_e32 vcc_lo, s[14:15], v[39:40]
	s_or_not1_b32 s0, vcc_lo, exec_lo
.LBB1341_379:
	s_or_b32 exec_lo, exec_lo, s13
.LBB1341_380:
	s_delay_alu instid0(SALU_CYCLE_1)
	s_and_b32 s0, s0, exec_lo
.LBB1341_381:
	s_or_b32 exec_lo, exec_lo, s3
	s_delay_alu instid0(SALU_CYCLE_1)
	s_and_b32 s0, s0, exec_lo
	s_or_b32 s1, s1, exec_lo
.LBB1341_382:
	s_or_b32 exec_lo, exec_lo, s24
.LBB1341_383:
	s_and_saveexec_b32 s3, s1
	s_cbranch_execz .LBB1341_385
; %bb.384:
	s_waitcnt vmcnt(0) lgkmcnt(0)
	v_and_b32_e32 v33, 0xffffff00, v35
	v_cndmask_b32_e64 v34, 0, 1, s0
	s_delay_alu instid0(VALU_DEP_1) | instskip(NEXT) | instid1(VALU_DEP_1)
	v_or_b32_e32 v33, v34, v33
	v_and_b32_e32 v33, 0xffff, v33
	s_delay_alu instid0(VALU_DEP_1)
	v_and_or_b32 v35, 0xffff0000, v35, v33
.LBB1341_385:
	s_or_b32 exec_lo, exec_lo, s3
	s_delay_alu instid0(SALU_CYCLE_1)
	s_and_not1_b32 vcc_lo, exec_lo, s33
	s_cbranch_vccnz .LBB1341_387
; %bb.386:
	v_cmp_gt_u32_e32 vcc_lo, s31, v55
	s_waitcnt vmcnt(0) lgkmcnt(0)
	v_or_b32_e32 v34, 1, v55
	v_and_b32_e32 v37, 0xffffff00, v36
	v_or_b32_e32 v38, 2, v55
	v_cndmask_b32_e32 v33, 0, v35, vcc_lo
	s_delay_alu instid0(VALU_DEP_4) | instskip(SKIP_1) | instid1(VALU_DEP_4)
	v_cmp_gt_u32_e32 vcc_lo, s31, v34
	v_or_b32_e32 v34, 4, v55
	v_cmp_gt_u32_e64 s0, s31, v38
	v_or_b32_e32 v38, 3, v55
	v_and_b32_e32 v33, 0xff, v33
	s_delay_alu instid0(VALU_DEP_2) | instskip(NEXT) | instid1(VALU_DEP_2)
	v_cmp_gt_u32_e64 s1, s31, v38
	v_cndmask_b32_e32 v33, v33, v35, vcc_lo
	v_cmp_gt_u32_e32 vcc_lo, s31, v34
	v_cndmask_b32_e32 v34, v37, v36, vcc_lo
	v_or_b32_e32 v37, 5, v55
	s_delay_alu instid0(VALU_DEP_2) | instskip(SKIP_1) | instid1(VALU_DEP_1)
	v_and_b32_e32 v34, 0xffff00ff, v34
	v_and_b32_e32 v33, 0xffff, v33
	v_cndmask_b32_e64 v33, v33, v35, s0
	s_delay_alu instid0(VALU_DEP_4) | instskip(SKIP_1) | instid1(VALU_DEP_3)
	v_cmp_gt_u32_e64 s0, s31, v37
	v_or_b32_e32 v37, 6, v55
	v_and_b32_e32 v33, 0xffffff, v33
	s_delay_alu instid0(VALU_DEP_3) | instskip(NEXT) | instid1(VALU_DEP_2)
	v_cndmask_b32_e64 v34, v34, v36, s0
	v_cndmask_b32_e64 v33, v33, v35, s1
	s_delay_alu instid0(VALU_DEP_1) | instskip(SKIP_2) | instid1(VALU_DEP_3)
	v_dual_cndmask_b32 v33, v33, v35 :: v_dual_and_b32 v34, 0xff00ffff, v34
	v_cmp_gt_u32_e32 vcc_lo, s31, v37
	v_or_b32_e32 v37, 7, v55
	v_cndmask_b32_e64 v33, v33, v35, s0
	s_delay_alu instid0(VALU_DEP_1) | instskip(NEXT) | instid1(VALU_DEP_1)
	v_dual_cndmask_b32 v34, v34, v36 :: v_dual_cndmask_b32 v33, v33, v35
	v_and_b32_e32 v34, 0xffffff, v34
	s_delay_alu instid0(VALU_DEP_4) | instskip(NEXT) | instid1(VALU_DEP_2)
	v_cmp_gt_u32_e32 vcc_lo, s31, v37
	v_dual_cndmask_b32 v36, v34, v36 :: v_dual_cndmask_b32 v35, v33, v35
.LBB1341_387:
	s_delay_alu instid0(VALU_DEP_1) | instskip(SKIP_1) | instid1(VALU_DEP_2)
	v_and_b32_e32 v44, 0xff, v35
	s_waitcnt vmcnt(0) lgkmcnt(0)
	v_alignbit_b32 v33, v36, v35, 24
	v_bfe_u32 v46, v35, 8, 8
	v_bfe_u32 v48, v35, 16, 8
	v_and_b32_e32 v52, 0xff, v36
	v_bfe_u32 v54, v36, 8, 8
	v_and_b32_e32 v50, 0xff, v33
	v_add_nc_u32_e32 v33, v46, v44
	v_mbcnt_lo_u32_b32 v58, -1, 0
	v_bfe_u32 v57, v36, 16, 8
	v_lshrrev_b32_e32 v56, 24, v36
	v_lshrrev_b32_e32 v59, 5, v0
	v_add3_u32 v33, v33, v48, v50
	v_and_b32_e32 v34, 15, v58
	v_and_b32_e32 v37, 16, v58
	s_and_b32 vcc_lo, exec_lo, s12
	s_mov_b32 s7, -1
	v_add3_u32 v33, v33, v52, v54
	v_cmp_eq_u32_e64 s3, 0, v34
	v_cmp_lt_u32_e64 s0, 1, v34
	v_cmp_lt_u32_e64 s4, 3, v34
	;; [unrolled: 1-line block ×3, first 2 shown]
	v_add3_u32 v60, v33, v57, v56
	v_or_b32_e32 v33, 31, v0
	v_cmp_eq_u32_e64 s6, 0, v37
	s_barrier
	buffer_gl0_inv
	v_cmp_eq_u32_e64 s5, v33, v0
	s_cbranch_vccz .LBB1341_418
; %bb.388:
	v_mov_b32_dpp v33, v60 row_shr:1 row_mask:0xf bank_mask:0xf
	s_delay_alu instid0(VALU_DEP_1) | instskip(NEXT) | instid1(VALU_DEP_1)
	v_cndmask_b32_e64 v33, v33, 0, s3
	v_add_nc_u32_e32 v33, v33, v60
	s_delay_alu instid0(VALU_DEP_1) | instskip(NEXT) | instid1(VALU_DEP_1)
	v_mov_b32_dpp v34, v33 row_shr:2 row_mask:0xf bank_mask:0xf
	v_cndmask_b32_e64 v34, 0, v34, s0
	s_delay_alu instid0(VALU_DEP_1) | instskip(NEXT) | instid1(VALU_DEP_1)
	v_add_nc_u32_e32 v33, v33, v34
	v_mov_b32_dpp v34, v33 row_shr:4 row_mask:0xf bank_mask:0xf
	s_delay_alu instid0(VALU_DEP_1) | instskip(NEXT) | instid1(VALU_DEP_1)
	v_cndmask_b32_e64 v34, 0, v34, s4
	v_add_nc_u32_e32 v33, v33, v34
	s_delay_alu instid0(VALU_DEP_1) | instskip(NEXT) | instid1(VALU_DEP_1)
	v_mov_b32_dpp v34, v33 row_shr:8 row_mask:0xf bank_mask:0xf
	v_cndmask_b32_e64 v34, 0, v34, s1
	s_delay_alu instid0(VALU_DEP_1) | instskip(SKIP_3) | instid1(VALU_DEP_1)
	v_add_nc_u32_e32 v33, v33, v34
	ds_swizzle_b32 v34, v33 offset:swizzle(BROADCAST,32,15)
	s_waitcnt lgkmcnt(0)
	v_cndmask_b32_e64 v34, v34, 0, s6
	v_add_nc_u32_e32 v33, v33, v34
	s_and_saveexec_b32 s7, s5
	s_cbranch_execz .LBB1341_390
; %bb.389:
	v_lshlrev_b32_e32 v34, 2, v59
	ds_store_b32 v34, v33
.LBB1341_390:
	s_or_b32 exec_lo, exec_lo, s7
	s_delay_alu instid0(SALU_CYCLE_1)
	s_mov_b32 s7, exec_lo
	s_waitcnt lgkmcnt(0)
	s_barrier
	buffer_gl0_inv
	v_cmpx_gt_u32_e32 16, v0
	s_cbranch_execz .LBB1341_392
; %bb.391:
	v_lshlrev_b32_e32 v34, 2, v0
	ds_load_b32 v37, v34
	s_waitcnt lgkmcnt(0)
	v_mov_b32_dpp v38, v37 row_shr:1 row_mask:0xf bank_mask:0xf
	s_delay_alu instid0(VALU_DEP_1) | instskip(NEXT) | instid1(VALU_DEP_1)
	v_cndmask_b32_e64 v38, v38, 0, s3
	v_add_nc_u32_e32 v37, v38, v37
	s_delay_alu instid0(VALU_DEP_1) | instskip(NEXT) | instid1(VALU_DEP_1)
	v_mov_b32_dpp v38, v37 row_shr:2 row_mask:0xf bank_mask:0xf
	v_cndmask_b32_e64 v38, 0, v38, s0
	s_delay_alu instid0(VALU_DEP_1) | instskip(NEXT) | instid1(VALU_DEP_1)
	v_add_nc_u32_e32 v37, v37, v38
	v_mov_b32_dpp v38, v37 row_shr:4 row_mask:0xf bank_mask:0xf
	s_delay_alu instid0(VALU_DEP_1) | instskip(NEXT) | instid1(VALU_DEP_1)
	v_cndmask_b32_e64 v38, 0, v38, s4
	v_add_nc_u32_e32 v37, v37, v38
	s_delay_alu instid0(VALU_DEP_1) | instskip(NEXT) | instid1(VALU_DEP_1)
	v_mov_b32_dpp v38, v37 row_shr:8 row_mask:0xf bank_mask:0xf
	v_cndmask_b32_e64 v38, 0, v38, s1
	s_delay_alu instid0(VALU_DEP_1)
	v_add_nc_u32_e32 v37, v37, v38
	ds_store_b32 v34, v37
.LBB1341_392:
	s_or_b32 exec_lo, exec_lo, s7
	v_cmp_gt_u32_e32 vcc_lo, 32, v0
	s_mov_b32 s12, exec_lo
	s_waitcnt lgkmcnt(0)
	s_barrier
	buffer_gl0_inv
                                        ; implicit-def: $vgpr43
	v_cmpx_lt_u32_e32 31, v0
	s_cbranch_execz .LBB1341_394
; %bb.393:
	v_lshl_add_u32 v34, v59, 2, -4
	ds_load_b32 v43, v34
	s_waitcnt lgkmcnt(0)
	v_add_nc_u32_e32 v33, v43, v33
.LBB1341_394:
	s_or_b32 exec_lo, exec_lo, s12
	v_add_nc_u32_e32 v34, -1, v58
	s_delay_alu instid0(VALU_DEP_1) | instskip(NEXT) | instid1(VALU_DEP_1)
	v_cmp_gt_i32_e64 s7, 0, v34
	v_cndmask_b32_e64 v34, v34, v58, s7
	v_cmp_eq_u32_e64 s7, 0, v58
	s_delay_alu instid0(VALU_DEP_2)
	v_lshlrev_b32_e32 v34, 2, v34
	ds_bpermute_b32 v45, v34, v33
	s_and_saveexec_b32 s12, vcc_lo
	s_cbranch_execz .LBB1341_417
; %bb.395:
	v_mov_b32_e32 v39, 0
	ds_load_b32 v33, v39 offset:60
	s_and_saveexec_b32 s13, s7
	s_cbranch_execz .LBB1341_397
; %bb.396:
	s_add_i32 s14, s30, 32
	s_mov_b32 s15, 0
	v_mov_b32_e32 v34, 1
	s_lshl_b64 s[14:15], s[14:15], 3
	s_delay_alu instid0(SALU_CYCLE_1)
	s_add_u32 s14, s22, s14
	s_addc_u32 s15, s23, s15
	s_waitcnt lgkmcnt(0)
	global_store_b64 v39, v[33:34], s[14:15]
.LBB1341_397:
	s_or_b32 exec_lo, exec_lo, s13
	v_xad_u32 v37, v58, -1, s30
	s_mov_b32 s14, 0
	s_mov_b32 s13, exec_lo
	s_delay_alu instid0(VALU_DEP_1) | instskip(NEXT) | instid1(VALU_DEP_1)
	v_add_nc_u32_e32 v38, 32, v37
	v_lshlrev_b64 v[38:39], 3, v[38:39]
	s_delay_alu instid0(VALU_DEP_1) | instskip(NEXT) | instid1(VALU_DEP_2)
	v_add_co_u32 v41, vcc_lo, s22, v38
	v_add_co_ci_u32_e32 v42, vcc_lo, s23, v39, vcc_lo
	global_load_b64 v[39:40], v[41:42], off glc
	s_waitcnt vmcnt(0)
	v_and_b32_e32 v34, 0xff, v40
	s_delay_alu instid0(VALU_DEP_1)
	v_cmpx_eq_u16_e32 0, v34
	s_cbranch_execz .LBB1341_403
; %bb.398:
	s_mov_b32 s15, 1
	.p2align	6
.LBB1341_399:                           ; =>This Loop Header: Depth=1
                                        ;     Child Loop BB1341_400 Depth 2
	s_delay_alu instid0(SALU_CYCLE_1)
	s_max_u32 s20, s15, 1
.LBB1341_400:                           ;   Parent Loop BB1341_399 Depth=1
                                        ; =>  This Inner Loop Header: Depth=2
	s_delay_alu instid0(SALU_CYCLE_1)
	s_add_i32 s20, s20, -1
	s_sleep 1
	s_cmp_eq_u32 s20, 0
	s_cbranch_scc0 .LBB1341_400
; %bb.401:                              ;   in Loop: Header=BB1341_399 Depth=1
	global_load_b64 v[39:40], v[41:42], off glc
	s_cmp_lt_u32 s15, 32
	s_cselect_b32 s20, -1, 0
	s_delay_alu instid0(SALU_CYCLE_1) | instskip(SKIP_3) | instid1(VALU_DEP_1)
	s_cmp_lg_u32 s20, 0
	s_addc_u32 s15, s15, 0
	s_waitcnt vmcnt(0)
	v_and_b32_e32 v34, 0xff, v40
	v_cmp_ne_u16_e32 vcc_lo, 0, v34
	s_or_b32 s14, vcc_lo, s14
	s_delay_alu instid0(SALU_CYCLE_1)
	s_and_not1_b32 exec_lo, exec_lo, s14
	s_cbranch_execnz .LBB1341_399
; %bb.402:
	s_or_b32 exec_lo, exec_lo, s14
.LBB1341_403:
	s_delay_alu instid0(SALU_CYCLE_1)
	s_or_b32 exec_lo, exec_lo, s13
	v_cmp_ne_u32_e32 vcc_lo, 31, v58
	v_and_b32_e32 v38, 0xff, v40
	v_lshlrev_b32_e64 v47, v58, -1
	v_add_nc_u32_e32 v51, 2, v58
	v_add_nc_u32_e32 v61, 4, v58
	v_add_co_ci_u32_e32 v34, vcc_lo, 0, v58, vcc_lo
	v_cmp_eq_u16_e32 vcc_lo, 2, v38
	v_add_nc_u32_e32 v64, 8, v58
	v_add_nc_u32_e32 v66, 16, v58
	v_and_or_b32 v38, vcc_lo, v47, 0x80000000
	v_cmp_gt_u32_e32 vcc_lo, 30, v58
	s_delay_alu instid0(VALU_DEP_2) | instskip(SKIP_1) | instid1(VALU_DEP_2)
	v_ctz_i32_b32_e32 v38, v38
	v_cndmask_b32_e64 v42, 0, 1, vcc_lo
	v_cmp_lt_u32_e32 vcc_lo, v58, v38
	v_lshlrev_b32_e32 v34, 2, v34
	s_delay_alu instid0(VALU_DEP_3)
	v_lshlrev_b32_e32 v42, 1, v42
	ds_bpermute_b32 v41, v34, v39
	v_add_lshl_u32 v49, v42, v58, 2
	s_waitcnt lgkmcnt(0)
	v_cndmask_b32_e32 v41, 0, v41, vcc_lo
	v_cmp_gt_u32_e32 vcc_lo, 28, v58
	s_delay_alu instid0(VALU_DEP_2) | instskip(SKIP_4) | instid1(VALU_DEP_1)
	v_add_nc_u32_e32 v39, v41, v39
	v_cndmask_b32_e64 v42, 0, 1, vcc_lo
	v_cmp_le_u32_e32 vcc_lo, v51, v38
	ds_bpermute_b32 v41, v49, v39
	v_lshlrev_b32_e32 v42, 2, v42
	v_add_lshl_u32 v53, v42, v58, 2
	s_waitcnt lgkmcnt(0)
	v_cndmask_b32_e32 v41, 0, v41, vcc_lo
	v_cmp_gt_u32_e32 vcc_lo, 24, v58
	s_delay_alu instid0(VALU_DEP_2) | instskip(SKIP_4) | instid1(VALU_DEP_1)
	v_add_nc_u32_e32 v39, v39, v41
	v_cndmask_b32_e64 v42, 0, 1, vcc_lo
	v_cmp_le_u32_e32 vcc_lo, v61, v38
	ds_bpermute_b32 v41, v53, v39
	v_lshlrev_b32_e32 v42, 3, v42
	;; [unrolled: 10-line block ×3, first 2 shown]
	v_add_lshl_u32 v65, v42, v58, 2
	s_waitcnt lgkmcnt(0)
	v_cndmask_b32_e32 v41, 0, v41, vcc_lo
	v_cmp_le_u32_e32 vcc_lo, v66, v38
	s_delay_alu instid0(VALU_DEP_2) | instskip(SKIP_3) | instid1(VALU_DEP_1)
	v_add_nc_u32_e32 v39, v39, v41
	ds_bpermute_b32 v41, v65, v39
	s_waitcnt lgkmcnt(0)
	v_cndmask_b32_e32 v38, 0, v41, vcc_lo
	v_dual_mov_b32 v38, 0 :: v_dual_add_nc_u32 v39, v39, v38
	s_branch .LBB1341_405
.LBB1341_404:                           ;   in Loop: Header=BB1341_405 Depth=1
	s_or_b32 exec_lo, exec_lo, s13
	ds_bpermute_b32 v42, v34, v39
	v_and_b32_e32 v41, 0xff, v40
	v_subrev_nc_u32_e32 v37, 32, v37
	s_delay_alu instid0(VALU_DEP_2) | instskip(SKIP_1) | instid1(VALU_DEP_1)
	v_cmp_eq_u16_e32 vcc_lo, 2, v41
	v_and_or_b32 v41, vcc_lo, v47, 0x80000000
	v_ctz_i32_b32_e32 v41, v41
	s_delay_alu instid0(VALU_DEP_1) | instskip(SKIP_3) | instid1(VALU_DEP_2)
	v_cmp_lt_u32_e32 vcc_lo, v58, v41
	s_waitcnt lgkmcnt(0)
	v_cndmask_b32_e32 v42, 0, v42, vcc_lo
	v_cmp_le_u32_e32 vcc_lo, v51, v41
	v_add_nc_u32_e32 v39, v42, v39
	ds_bpermute_b32 v42, v49, v39
	s_waitcnt lgkmcnt(0)
	v_cndmask_b32_e32 v42, 0, v42, vcc_lo
	v_cmp_le_u32_e32 vcc_lo, v61, v41
	s_delay_alu instid0(VALU_DEP_2) | instskip(SKIP_4) | instid1(VALU_DEP_2)
	v_add_nc_u32_e32 v39, v39, v42
	ds_bpermute_b32 v42, v53, v39
	s_waitcnt lgkmcnt(0)
	v_cndmask_b32_e32 v42, 0, v42, vcc_lo
	v_cmp_le_u32_e32 vcc_lo, v64, v41
	v_add_nc_u32_e32 v39, v39, v42
	ds_bpermute_b32 v42, v63, v39
	s_waitcnt lgkmcnt(0)
	v_cndmask_b32_e32 v42, 0, v42, vcc_lo
	v_cmp_le_u32_e32 vcc_lo, v66, v41
	s_delay_alu instid0(VALU_DEP_2) | instskip(SKIP_3) | instid1(VALU_DEP_1)
	v_add_nc_u32_e32 v39, v39, v42
	ds_bpermute_b32 v42, v65, v39
	s_waitcnt lgkmcnt(0)
	v_cndmask_b32_e32 v41, 0, v42, vcc_lo
	v_add3_u32 v39, v41, v62, v39
.LBB1341_405:                           ; =>This Loop Header: Depth=1
                                        ;     Child Loop BB1341_408 Depth 2
                                        ;       Child Loop BB1341_409 Depth 3
	v_and_b32_e32 v40, 0xff, v40
	s_delay_alu instid0(VALU_DEP_2) | instskip(NEXT) | instid1(VALU_DEP_2)
	v_mov_b32_e32 v62, v39
	v_cmp_ne_u16_e32 vcc_lo, 2, v40
	v_cndmask_b32_e64 v40, 0, 1, vcc_lo
	;;#ASMSTART
	;;#ASMEND
	s_delay_alu instid0(VALU_DEP_1)
	v_cmp_ne_u32_e32 vcc_lo, 0, v40
	s_cmp_lg_u32 vcc_lo, exec_lo
	s_cbranch_scc1 .LBB1341_412
; %bb.406:                              ;   in Loop: Header=BB1341_405 Depth=1
	v_lshlrev_b64 v[39:40], 3, v[37:38]
	s_mov_b32 s13, exec_lo
	s_delay_alu instid0(VALU_DEP_1) | instskip(NEXT) | instid1(VALU_DEP_2)
	v_add_co_u32 v41, vcc_lo, s22, v39
	v_add_co_ci_u32_e32 v42, vcc_lo, s23, v40, vcc_lo
	global_load_b64 v[39:40], v[41:42], off glc
	s_waitcnt vmcnt(0)
	v_and_b32_e32 v67, 0xff, v40
	s_delay_alu instid0(VALU_DEP_1)
	v_cmpx_eq_u16_e32 0, v67
	s_cbranch_execz .LBB1341_404
; %bb.407:                              ;   in Loop: Header=BB1341_405 Depth=1
	s_mov_b32 s15, 1
	s_mov_b32 s14, 0
	.p2align	6
.LBB1341_408:                           ;   Parent Loop BB1341_405 Depth=1
                                        ; =>  This Loop Header: Depth=2
                                        ;       Child Loop BB1341_409 Depth 3
	s_max_u32 s20, s15, 1
.LBB1341_409:                           ;   Parent Loop BB1341_405 Depth=1
                                        ;     Parent Loop BB1341_408 Depth=2
                                        ; =>    This Inner Loop Header: Depth=3
	s_delay_alu instid0(SALU_CYCLE_1)
	s_add_i32 s20, s20, -1
	s_sleep 1
	s_cmp_eq_u32 s20, 0
	s_cbranch_scc0 .LBB1341_409
; %bb.410:                              ;   in Loop: Header=BB1341_408 Depth=2
	global_load_b64 v[39:40], v[41:42], off glc
	s_cmp_lt_u32 s15, 32
	s_cselect_b32 s20, -1, 0
	s_delay_alu instid0(SALU_CYCLE_1) | instskip(SKIP_3) | instid1(VALU_DEP_1)
	s_cmp_lg_u32 s20, 0
	s_addc_u32 s15, s15, 0
	s_waitcnt vmcnt(0)
	v_and_b32_e32 v67, 0xff, v40
	v_cmp_ne_u16_e32 vcc_lo, 0, v67
	s_or_b32 s14, vcc_lo, s14
	s_delay_alu instid0(SALU_CYCLE_1)
	s_and_not1_b32 exec_lo, exec_lo, s14
	s_cbranch_execnz .LBB1341_408
; %bb.411:                              ;   in Loop: Header=BB1341_405 Depth=1
	s_or_b32 exec_lo, exec_lo, s14
	s_branch .LBB1341_404
.LBB1341_412:                           ;   in Loop: Header=BB1341_405 Depth=1
                                        ; implicit-def: $vgpr39
                                        ; implicit-def: $vgpr40
	s_cbranch_execz .LBB1341_405
; %bb.413:
	s_and_saveexec_b32 s13, s7
	s_cbranch_execz .LBB1341_415
; %bb.414:
	s_add_i32 s14, s30, 32
	s_mov_b32 s15, 0
	v_dual_mov_b32 v38, 2 :: v_dual_add_nc_u32 v37, v62, v33
	s_lshl_b64 s[14:15], s[14:15], 3
	v_mov_b32_e32 v34, 0
	v_add_nc_u32_e64 v39, 0x8400, 0
	s_add_u32 s14, s22, s14
	s_addc_u32 s15, s23, s15
	global_store_b64 v34, v[37:38], s[14:15]
	ds_store_2addr_b32 v39, v33, v62 offset1:2
.LBB1341_415:
	s_or_b32 exec_lo, exec_lo, s13
	s_delay_alu instid0(SALU_CYCLE_1)
	s_and_b32 exec_lo, exec_lo, s2
	s_cbranch_execz .LBB1341_417
; %bb.416:
	v_mov_b32_e32 v33, 0
	ds_store_b32 v33, v62 offset:60
.LBB1341_417:
	s_or_b32 exec_lo, exec_lo, s12
	v_mov_b32_e32 v33, 0
	s_waitcnt lgkmcnt(0)
	s_waitcnt_vscnt null, 0x0
	s_barrier
	buffer_gl0_inv
	v_cndmask_b32_e64 v34, v45, v43, s7
	ds_load_b32 v33, v33 offset:60
	s_waitcnt lgkmcnt(0)
	s_barrier
	buffer_gl0_inv
	v_cndmask_b32_e64 v34, v34, 0, s2
	s_delay_alu instid0(VALU_DEP_1) | instskip(SKIP_1) | instid1(VALU_DEP_2)
	v_add_nc_u32_e32 v53, v33, v34
	v_add_nc_u32_e64 v33, 0x8400, 0
	v_add_nc_u32_e32 v51, v53, v44
	ds_load_2addr_b32 v[33:34], v33 offset1:2
	v_add_nc_u32_e32 v49, v51, v46
	s_delay_alu instid0(VALU_DEP_1) | instskip(NEXT) | instid1(VALU_DEP_1)
	v_add_nc_u32_e32 v47, v49, v48
	v_add_nc_u32_e32 v45, v47, v50
	s_delay_alu instid0(VALU_DEP_1) | instskip(SKIP_2) | instid1(VALU_DEP_2)
	v_add_nc_u32_e32 v43, v45, v52
	s_waitcnt lgkmcnt(0)
	v_readfirstlane_b32 s12, v34
	v_add_nc_u32_e32 v41, v43, v54
	s_delay_alu instid0(VALU_DEP_1)
	v_add_nc_u32_e32 v39, v41, v57
	v_lshrrev_b64 v[37:38], 24, v[35:36]
	s_branch .LBB1341_428
.LBB1341_418:
                                        ; implicit-def: $vgpr39
                                        ; implicit-def: $vgpr41
                                        ; implicit-def: $vgpr43
                                        ; implicit-def: $vgpr45
                                        ; implicit-def: $vgpr47
                                        ; implicit-def: $vgpr49
                                        ; implicit-def: $vgpr51
                                        ; implicit-def: $vgpr53
                                        ; implicit-def: $sgpr12
                                        ; implicit-def: $vgpr33
	v_lshrrev_b64 v[37:38], 24, v[35:36]
	s_and_b32 vcc_lo, exec_lo, s7
	s_cbranch_vccz .LBB1341_428
; %bb.419:
	v_mov_b32_dpp v33, v60 row_shr:1 row_mask:0xf bank_mask:0xf
	s_delay_alu instid0(VALU_DEP_1) | instskip(NEXT) | instid1(VALU_DEP_1)
	v_cndmask_b32_e64 v33, v33, 0, s3
	v_add_nc_u32_e32 v33, v33, v60
	s_delay_alu instid0(VALU_DEP_1) | instskip(NEXT) | instid1(VALU_DEP_1)
	v_mov_b32_dpp v34, v33 row_shr:2 row_mask:0xf bank_mask:0xf
	v_cndmask_b32_e64 v34, 0, v34, s0
	s_delay_alu instid0(VALU_DEP_1) | instskip(NEXT) | instid1(VALU_DEP_1)
	v_add_nc_u32_e32 v33, v33, v34
	v_mov_b32_dpp v34, v33 row_shr:4 row_mask:0xf bank_mask:0xf
	s_delay_alu instid0(VALU_DEP_1) | instskip(NEXT) | instid1(VALU_DEP_1)
	v_cndmask_b32_e64 v34, 0, v34, s4
	v_add_nc_u32_e32 v33, v33, v34
	s_delay_alu instid0(VALU_DEP_1) | instskip(NEXT) | instid1(VALU_DEP_1)
	v_mov_b32_dpp v34, v33 row_shr:8 row_mask:0xf bank_mask:0xf
	v_cndmask_b32_e64 v34, 0, v34, s1
	s_delay_alu instid0(VALU_DEP_1) | instskip(SKIP_3) | instid1(VALU_DEP_1)
	v_add_nc_u32_e32 v33, v33, v34
	ds_swizzle_b32 v34, v33 offset:swizzle(BROADCAST,32,15)
	s_waitcnt lgkmcnt(0)
	v_cndmask_b32_e64 v34, v34, 0, s6
	v_add_nc_u32_e32 v33, v33, v34
	s_and_saveexec_b32 s6, s5
	s_cbranch_execz .LBB1341_421
; %bb.420:
	v_lshlrev_b32_e32 v34, 2, v59
	ds_store_b32 v34, v33
.LBB1341_421:
	s_or_b32 exec_lo, exec_lo, s6
	s_delay_alu instid0(SALU_CYCLE_1)
	s_mov_b32 s5, exec_lo
	s_waitcnt lgkmcnt(0)
	s_barrier
	buffer_gl0_inv
	v_cmpx_gt_u32_e32 16, v0
	s_cbranch_execz .LBB1341_423
; %bb.422:
	v_lshlrev_b32_e32 v34, 2, v0
	ds_load_b32 v38, v34
	s_waitcnt lgkmcnt(0)
	v_mov_b32_dpp v39, v38 row_shr:1 row_mask:0xf bank_mask:0xf
	s_delay_alu instid0(VALU_DEP_1) | instskip(NEXT) | instid1(VALU_DEP_1)
	v_cndmask_b32_e64 v39, v39, 0, s3
	v_add_nc_u32_e32 v38, v39, v38
	s_delay_alu instid0(VALU_DEP_1) | instskip(NEXT) | instid1(VALU_DEP_1)
	v_mov_b32_dpp v39, v38 row_shr:2 row_mask:0xf bank_mask:0xf
	v_cndmask_b32_e64 v39, 0, v39, s0
	s_delay_alu instid0(VALU_DEP_1) | instskip(NEXT) | instid1(VALU_DEP_1)
	v_add_nc_u32_e32 v38, v38, v39
	v_mov_b32_dpp v39, v38 row_shr:4 row_mask:0xf bank_mask:0xf
	s_delay_alu instid0(VALU_DEP_1) | instskip(NEXT) | instid1(VALU_DEP_1)
	v_cndmask_b32_e64 v39, 0, v39, s4
	v_add_nc_u32_e32 v38, v38, v39
	s_delay_alu instid0(VALU_DEP_1) | instskip(NEXT) | instid1(VALU_DEP_1)
	v_mov_b32_dpp v39, v38 row_shr:8 row_mask:0xf bank_mask:0xf
	v_cndmask_b32_e64 v39, 0, v39, s1
	s_delay_alu instid0(VALU_DEP_1)
	v_add_nc_u32_e32 v38, v38, v39
	ds_store_b32 v34, v38
.LBB1341_423:
	s_or_b32 exec_lo, exec_lo, s5
	v_mov_b32_e32 v34, 0
	v_mov_b32_e32 v38, 0
	s_mov_b32 s0, exec_lo
	s_waitcnt lgkmcnt(0)
	s_barrier
	buffer_gl0_inv
	v_cmpx_lt_u32_e32 31, v0
	s_cbranch_execz .LBB1341_425
; %bb.424:
	v_lshl_add_u32 v38, v59, 2, -4
	ds_load_b32 v38, v38
.LBB1341_425:
	s_or_b32 exec_lo, exec_lo, s0
	v_add_nc_u32_e32 v39, -1, v58
	s_waitcnt lgkmcnt(0)
	v_add_nc_u32_e32 v33, v38, v33
	s_mov_b32 s12, 0
	s_delay_alu instid0(VALU_DEP_2) | instskip(SKIP_1) | instid1(VALU_DEP_1)
	v_cmp_gt_i32_e32 vcc_lo, 0, v39
	v_cndmask_b32_e32 v39, v39, v58, vcc_lo
	v_lshlrev_b32_e32 v39, 2, v39
	ds_bpermute_b32 v39, v39, v33
	ds_load_b32 v33, v34 offset:60
	s_and_saveexec_b32 s0, s2
	s_cbranch_execz .LBB1341_427
; %bb.426:
	v_mov_b32_e32 v40, 0
	v_mov_b32_e32 v34, 2
	s_waitcnt lgkmcnt(0)
	global_store_b64 v40, v[33:34], s[22:23] offset:256
.LBB1341_427:
	s_or_b32 exec_lo, exec_lo, s0
	v_cmp_eq_u32_e32 vcc_lo, 0, v58
	s_waitcnt lgkmcnt(0)
	s_waitcnt_vscnt null, 0x0
	s_barrier
	buffer_gl0_inv
	v_cndmask_b32_e32 v34, v39, v38, vcc_lo
	s_delay_alu instid0(VALU_DEP_1) | instskip(NEXT) | instid1(VALU_DEP_1)
	v_cndmask_b32_e64 v53, v34, 0, s2
	v_add_nc_u32_e32 v51, v53, v44
	s_delay_alu instid0(VALU_DEP_1) | instskip(NEXT) | instid1(VALU_DEP_1)
	v_add_nc_u32_e32 v49, v51, v46
	v_add_nc_u32_e32 v47, v49, v48
	s_delay_alu instid0(VALU_DEP_1) | instskip(NEXT) | instid1(VALU_DEP_1)
	v_add_nc_u32_e32 v45, v47, v50
	;; [unrolled: 3-line block ×3, first 2 shown]
	v_add_nc_u32_e32 v39, v41, v57
.LBB1341_428:
	v_add_nc_u32_e32 v59, s12, v33
	v_cmp_gt_u32_e64 s0, 0x201, v33
	v_lshrrev_b32_e32 v58, 8, v35
	v_lshrrev_b32_e32 v57, 16, v35
	;; [unrolled: 1-line block ×4, first 2 shown]
	v_cmp_lt_u32_e64 s1, v53, v59
	s_and_b32 vcc_lo, exec_lo, s0
	s_mov_b32 s3, -1
	s_cbranch_vccz .LBB1341_454
; %bb.429:
	s_delay_alu instid0(VALU_DEP_1) | instskip(NEXT) | instid1(SALU_CYCLE_1)
	s_or_b32 s3, s29, s1
	s_and_saveexec_b32 s1, s3
	s_cbranch_execz .LBB1341_432
; %bb.430:
	v_and_b32_e32 v40, 1, v35
	s_delay_alu instid0(VALU_DEP_1)
	v_cmp_eq_u32_e32 vcc_lo, 1, v40
	s_and_b32 exec_lo, exec_lo, vcc_lo
	s_cbranch_execz .LBB1341_432
; %bb.431:
	v_mov_b32_e32 v54, 0
	s_lshl_b64 s[4:5], s[10:11], 3
	s_delay_alu instid0(SALU_CYCLE_1) | instskip(SKIP_1) | instid1(VALU_DEP_1)
	s_add_u32 s3, s16, s4
	s_addc_u32 s4, s17, s5
	v_lshlrev_b64 v[60:61], 3, v[53:54]
	s_delay_alu instid0(VALU_DEP_1) | instskip(NEXT) | instid1(VALU_DEP_2)
	v_add_co_u32 v60, vcc_lo, s3, v60
	v_add_co_ci_u32_e32 v61, vcc_lo, s4, v61, vcc_lo
	global_store_b64 v[60:61], v[29:30], off
.LBB1341_432:
	s_or_b32 exec_lo, exec_lo, s1
	v_cmp_lt_u32_e32 vcc_lo, v51, v59
	s_or_b32 s3, s29, vcc_lo
	s_delay_alu instid0(SALU_CYCLE_1)
	s_and_saveexec_b32 s1, s3
	s_cbranch_execz .LBB1341_435
; %bb.433:
	v_and_b32_e32 v40, 1, v58
	s_delay_alu instid0(VALU_DEP_1)
	v_cmp_eq_u32_e32 vcc_lo, 1, v40
	s_and_b32 exec_lo, exec_lo, vcc_lo
	s_cbranch_execz .LBB1341_435
; %bb.434:
	v_mov_b32_e32 v52, 0
	s_lshl_b64 s[4:5], s[10:11], 3
	s_delay_alu instid0(SALU_CYCLE_1) | instskip(SKIP_1) | instid1(VALU_DEP_1)
	s_add_u32 s3, s16, s4
	s_addc_u32 s4, s17, s5
	v_lshlrev_b64 v[60:61], 3, v[51:52]
	s_delay_alu instid0(VALU_DEP_1) | instskip(NEXT) | instid1(VALU_DEP_2)
	v_add_co_u32 v60, vcc_lo, s3, v60
	v_add_co_ci_u32_e32 v61, vcc_lo, s4, v61, vcc_lo
	global_store_b64 v[60:61], v[31:32], off
.LBB1341_435:
	s_or_b32 exec_lo, exec_lo, s1
	v_cmp_lt_u32_e32 vcc_lo, v49, v59
	s_or_b32 s3, s29, vcc_lo
	s_delay_alu instid0(SALU_CYCLE_1)
	s_and_saveexec_b32 s1, s3
	s_cbranch_execz .LBB1341_438
; %bb.436:
	v_and_b32_e32 v40, 1, v57
	s_delay_alu instid0(VALU_DEP_1)
	v_cmp_eq_u32_e32 vcc_lo, 1, v40
	s_and_b32 exec_lo, exec_lo, vcc_lo
	s_cbranch_execz .LBB1341_438
; %bb.437:
	v_mov_b32_e32 v50, 0
	s_lshl_b64 s[4:5], s[10:11], 3
	s_delay_alu instid0(SALU_CYCLE_1) | instskip(SKIP_1) | instid1(VALU_DEP_1)
	s_add_u32 s3, s16, s4
	s_addc_u32 s4, s17, s5
	v_lshlrev_b64 v[60:61], 3, v[49:50]
	s_delay_alu instid0(VALU_DEP_1) | instskip(NEXT) | instid1(VALU_DEP_2)
	v_add_co_u32 v60, vcc_lo, s3, v60
	v_add_co_ci_u32_e32 v61, vcc_lo, s4, v61, vcc_lo
	global_store_b64 v[60:61], v[25:26], off
.LBB1341_438:
	s_or_b32 exec_lo, exec_lo, s1
	v_cmp_lt_u32_e32 vcc_lo, v47, v59
	s_or_b32 s3, s29, vcc_lo
	s_delay_alu instid0(SALU_CYCLE_1)
	s_and_saveexec_b32 s1, s3
	s_cbranch_execz .LBB1341_441
; %bb.439:
	v_and_b32_e32 v40, 1, v37
	s_delay_alu instid0(VALU_DEP_1)
	v_cmp_eq_u32_e32 vcc_lo, 1, v40
	s_and_b32 exec_lo, exec_lo, vcc_lo
	s_cbranch_execz .LBB1341_441
; %bb.440:
	v_mov_b32_e32 v48, 0
	s_lshl_b64 s[4:5], s[10:11], 3
	s_delay_alu instid0(SALU_CYCLE_1) | instskip(SKIP_1) | instid1(VALU_DEP_1)
	s_add_u32 s3, s16, s4
	s_addc_u32 s4, s17, s5
	v_lshlrev_b64 v[60:61], 3, v[47:48]
	s_delay_alu instid0(VALU_DEP_1) | instskip(NEXT) | instid1(VALU_DEP_2)
	v_add_co_u32 v60, vcc_lo, s3, v60
	v_add_co_ci_u32_e32 v61, vcc_lo, s4, v61, vcc_lo
	global_store_b64 v[60:61], v[27:28], off
.LBB1341_441:
	s_or_b32 exec_lo, exec_lo, s1
	v_cmp_lt_u32_e32 vcc_lo, v45, v59
	s_or_b32 s3, s29, vcc_lo
	s_delay_alu instid0(SALU_CYCLE_1)
	s_and_saveexec_b32 s1, s3
	s_cbranch_execz .LBB1341_444
; %bb.442:
	v_and_b32_e32 v40, 1, v36
	s_delay_alu instid0(VALU_DEP_1)
	v_cmp_eq_u32_e32 vcc_lo, 1, v40
	s_and_b32 exec_lo, exec_lo, vcc_lo
	s_cbranch_execz .LBB1341_444
; %bb.443:
	v_mov_b32_e32 v46, 0
	s_lshl_b64 s[4:5], s[10:11], 3
	s_delay_alu instid0(SALU_CYCLE_1) | instskip(SKIP_1) | instid1(VALU_DEP_1)
	s_add_u32 s3, s16, s4
	s_addc_u32 s4, s17, s5
	v_lshlrev_b64 v[60:61], 3, v[45:46]
	s_delay_alu instid0(VALU_DEP_1) | instskip(NEXT) | instid1(VALU_DEP_2)
	v_add_co_u32 v60, vcc_lo, s3, v60
	v_add_co_ci_u32_e32 v61, vcc_lo, s4, v61, vcc_lo
	global_store_b64 v[60:61], v[21:22], off
.LBB1341_444:
	s_or_b32 exec_lo, exec_lo, s1
	v_cmp_lt_u32_e32 vcc_lo, v43, v59
	s_or_b32 s3, s29, vcc_lo
	s_delay_alu instid0(SALU_CYCLE_1)
	s_and_saveexec_b32 s1, s3
	s_cbranch_execz .LBB1341_447
; %bb.445:
	v_and_b32_e32 v40, 1, v38
	s_delay_alu instid0(VALU_DEP_1)
	v_cmp_eq_u32_e32 vcc_lo, 1, v40
	s_and_b32 exec_lo, exec_lo, vcc_lo
	s_cbranch_execz .LBB1341_447
; %bb.446:
	v_mov_b32_e32 v44, 0
	s_lshl_b64 s[4:5], s[10:11], 3
	s_delay_alu instid0(SALU_CYCLE_1) | instskip(SKIP_1) | instid1(VALU_DEP_1)
	s_add_u32 s3, s16, s4
	s_addc_u32 s4, s17, s5
	v_lshlrev_b64 v[60:61], 3, v[43:44]
	s_delay_alu instid0(VALU_DEP_1) | instskip(NEXT) | instid1(VALU_DEP_2)
	v_add_co_u32 v60, vcc_lo, s3, v60
	v_add_co_ci_u32_e32 v61, vcc_lo, s4, v61, vcc_lo
	global_store_b64 v[60:61], v[23:24], off
.LBB1341_447:
	s_or_b32 exec_lo, exec_lo, s1
	v_cmp_lt_u32_e32 vcc_lo, v41, v59
	s_or_b32 s3, s29, vcc_lo
	s_delay_alu instid0(SALU_CYCLE_1)
	s_and_saveexec_b32 s1, s3
	s_cbranch_execz .LBB1341_450
; %bb.448:
	v_and_b32_e32 v40, 1, v34
	s_delay_alu instid0(VALU_DEP_1)
	v_cmp_eq_u32_e32 vcc_lo, 1, v40
	s_and_b32 exec_lo, exec_lo, vcc_lo
	s_cbranch_execz .LBB1341_450
; %bb.449:
	v_mov_b32_e32 v42, 0
	s_lshl_b64 s[4:5], s[10:11], 3
	s_delay_alu instid0(SALU_CYCLE_1) | instskip(SKIP_1) | instid1(VALU_DEP_1)
	s_add_u32 s3, s16, s4
	s_addc_u32 s4, s17, s5
	v_lshlrev_b64 v[60:61], 3, v[41:42]
	s_delay_alu instid0(VALU_DEP_1) | instskip(NEXT) | instid1(VALU_DEP_2)
	v_add_co_u32 v60, vcc_lo, s3, v60
	v_add_co_ci_u32_e32 v61, vcc_lo, s4, v61, vcc_lo
	global_store_b64 v[60:61], v[17:18], off
.LBB1341_450:
	s_or_b32 exec_lo, exec_lo, s1
	v_cmp_lt_u32_e32 vcc_lo, v39, v59
	s_or_b32 s3, s29, vcc_lo
	s_delay_alu instid0(SALU_CYCLE_1)
	s_and_saveexec_b32 s1, s3
	s_cbranch_execz .LBB1341_453
; %bb.451:
	v_and_b32_e32 v40, 1, v56
	s_delay_alu instid0(VALU_DEP_1)
	v_cmp_eq_u32_e32 vcc_lo, 1, v40
	s_and_b32 exec_lo, exec_lo, vcc_lo
	s_cbranch_execz .LBB1341_453
; %bb.452:
	v_mov_b32_e32 v40, 0
	s_lshl_b64 s[4:5], s[10:11], 3
	s_delay_alu instid0(SALU_CYCLE_1) | instskip(SKIP_1) | instid1(VALU_DEP_1)
	s_add_u32 s3, s16, s4
	s_addc_u32 s4, s17, s5
	v_lshlrev_b64 v[60:61], 3, v[39:40]
	s_delay_alu instid0(VALU_DEP_1) | instskip(NEXT) | instid1(VALU_DEP_2)
	v_add_co_u32 v60, vcc_lo, s3, v60
	v_add_co_ci_u32_e32 v61, vcc_lo, s4, v61, vcc_lo
	global_store_b64 v[60:61], v[19:20], off
.LBB1341_453:
	s_or_b32 exec_lo, exec_lo, s1
	s_mov_b32 s3, 0
.LBB1341_454:
	v_and_b32_e32 v35, 1, v35
	s_and_b32 vcc_lo, exec_lo, s3
	s_delay_alu instid0(VALU_DEP_1)
	v_cmp_eq_u32_e64 s1, 1, v35
	s_cbranch_vccz .LBB1341_475
; %bb.455:
	s_delay_alu instid0(VALU_DEP_1)
	s_and_saveexec_b32 s3, s1
	s_cbranch_execz .LBB1341_457
; %bb.456:
	v_subrev_nc_u32_e32 v40, s12, v53
	s_delay_alu instid0(VALU_DEP_1)
	v_lshlrev_b32_e32 v40, 3, v40
	ds_store_b64 v40, v[29:30]
.LBB1341_457:
	s_or_b32 exec_lo, exec_lo, s3
	v_and_b32_e32 v29, 1, v58
	s_mov_b32 s1, exec_lo
	s_delay_alu instid0(VALU_DEP_1)
	v_cmpx_eq_u32_e32 1, v29
	s_cbranch_execz .LBB1341_459
; %bb.458:
	v_subrev_nc_u32_e32 v29, s12, v51
	s_delay_alu instid0(VALU_DEP_1)
	v_lshlrev_b32_e32 v29, 3, v29
	ds_store_b64 v29, v[31:32]
.LBB1341_459:
	s_or_b32 exec_lo, exec_lo, s1
	v_and_b32_e32 v29, 1, v57
	s_mov_b32 s1, exec_lo
	s_delay_alu instid0(VALU_DEP_1)
	v_cmpx_eq_u32_e32 1, v29
	;; [unrolled: 12-line block ×7, first 2 shown]
	s_cbranch_execz .LBB1341_471
; %bb.470:
	v_subrev_nc_u32_e32 v17, s12, v39
	s_delay_alu instid0(VALU_DEP_1)
	v_lshlrev_b32_e32 v17, 3, v17
	ds_store_b64 v17, v[19:20]
.LBB1341_471:
	s_or_b32 exec_lo, exec_lo, s1
	s_delay_alu instid0(SALU_CYCLE_1)
	s_mov_b32 s3, exec_lo
	s_waitcnt lgkmcnt(0)
	s_waitcnt_vscnt null, 0x0
	s_barrier
	buffer_gl0_inv
	v_cmpx_lt_u32_e64 v0, v33
	s_cbranch_execz .LBB1341_474
; %bb.472:
	s_mov_b32 s13, 0
	s_lshl_b64 s[4:5], s[10:11], 3
	s_lshl_b64 s[6:7], s[12:13], 3
	v_dual_mov_b32 v19, v55 :: v_dual_mov_b32 v20, v0
	s_add_u32 s1, s4, s6
	s_addc_u32 s4, s5, s7
	s_add_u32 s1, s16, s1
	s_addc_u32 s4, s17, s4
	v_add_co_u32 v17, s1, s1, v55
	s_delay_alu instid0(VALU_DEP_1)
	v_add_co_ci_u32_e64 v18, null, s4, 0, s1
	.p2align	6
.LBB1341_473:                           ; =>This Inner Loop Header: Depth=1
	ds_load_b64 v[21:22], v19
	v_add_nc_u32_e32 v20, 0x200, v20
	v_add_nc_u32_e32 v19, 0x1000, v19
	s_delay_alu instid0(VALU_DEP_2) | instskip(SKIP_4) | instid1(VALU_DEP_1)
	v_cmp_ge_u32_e32 vcc_lo, v20, v33
	s_or_b32 s13, vcc_lo, s13
	s_waitcnt lgkmcnt(0)
	global_store_b64 v[17:18], v[21:22], off
	v_add_co_u32 v17, s1, 0x1000, v17
	v_add_co_ci_u32_e64 v18, s1, 0, v18, s1
	s_and_not1_b32 exec_lo, exec_lo, s13
	s_cbranch_execnz .LBB1341_473
.LBB1341_474:
	s_or_b32 exec_lo, exec_lo, s3
.LBB1341_475:
	s_delay_alu instid0(SALU_CYCLE_1)
	s_and_b32 vcc_lo, exec_lo, s0
	s_mov_b32 s0, -1
	s_waitcnt_vscnt null, 0x0
	s_barrier
	buffer_gl0_inv
	s_cbranch_vccz .LBB1341_503
; %bb.476:
	v_cmp_lt_u32_e32 vcc_lo, v53, v59
	s_or_b32 s1, s29, vcc_lo
	s_delay_alu instid0(SALU_CYCLE_1)
	s_and_saveexec_b32 s0, s1
	s_cbranch_execz .LBB1341_479
; %bb.477:
	v_cmp_eq_u32_e32 vcc_lo, 1, v35
	s_and_b32 exec_lo, exec_lo, vcc_lo
	s_cbranch_execz .LBB1341_479
; %bb.478:
	v_mov_b32_e32 v54, 0
	s_lshl_b64 s[4:5], s[10:11], 3
	s_delay_alu instid0(SALU_CYCLE_1) | instskip(SKIP_1) | instid1(VALU_DEP_1)
	s_add_u32 s1, s18, s4
	s_addc_u32 s3, s19, s5
	v_lshlrev_b64 v[17:18], 3, v[53:54]
	s_delay_alu instid0(VALU_DEP_1) | instskip(NEXT) | instid1(VALU_DEP_2)
	v_add_co_u32 v17, vcc_lo, s1, v17
	v_add_co_ci_u32_e32 v18, vcc_lo, s3, v18, vcc_lo
	global_store_b64 v[17:18], v[13:14], off
.LBB1341_479:
	s_or_b32 exec_lo, exec_lo, s0
	v_cmp_lt_u32_e32 vcc_lo, v51, v59
	s_or_b32 s1, s29, vcc_lo
	s_delay_alu instid0(SALU_CYCLE_1)
	s_and_saveexec_b32 s0, s1
	s_cbranch_execz .LBB1341_482
; %bb.480:
	v_and_b32_e32 v17, 1, v58
	s_delay_alu instid0(VALU_DEP_1)
	v_cmp_eq_u32_e32 vcc_lo, 1, v17
	s_and_b32 exec_lo, exec_lo, vcc_lo
	s_cbranch_execz .LBB1341_482
; %bb.481:
	v_mov_b32_e32 v52, 0
	s_lshl_b64 s[4:5], s[10:11], 3
	s_delay_alu instid0(SALU_CYCLE_1) | instskip(SKIP_1) | instid1(VALU_DEP_1)
	s_add_u32 s1, s18, s4
	s_addc_u32 s3, s19, s5
	v_lshlrev_b64 v[17:18], 3, v[51:52]
	s_delay_alu instid0(VALU_DEP_1) | instskip(NEXT) | instid1(VALU_DEP_2)
	v_add_co_u32 v17, vcc_lo, s1, v17
	v_add_co_ci_u32_e32 v18, vcc_lo, s3, v18, vcc_lo
	global_store_b64 v[17:18], v[15:16], off
.LBB1341_482:
	s_or_b32 exec_lo, exec_lo, s0
	v_cmp_lt_u32_e32 vcc_lo, v49, v59
	s_or_b32 s1, s29, vcc_lo
	s_delay_alu instid0(SALU_CYCLE_1)
	s_and_saveexec_b32 s0, s1
	s_cbranch_execz .LBB1341_485
; %bb.483:
	v_and_b32_e32 v17, 1, v57
	s_delay_alu instid0(VALU_DEP_1)
	v_cmp_eq_u32_e32 vcc_lo, 1, v17
	s_and_b32 exec_lo, exec_lo, vcc_lo
	s_cbranch_execz .LBB1341_485
; %bb.484:
	v_mov_b32_e32 v50, 0
	s_lshl_b64 s[4:5], s[10:11], 3
	s_delay_alu instid0(SALU_CYCLE_1) | instskip(SKIP_1) | instid1(VALU_DEP_1)
	s_add_u32 s1, s18, s4
	s_addc_u32 s3, s19, s5
	v_lshlrev_b64 v[17:18], 3, v[49:50]
	s_delay_alu instid0(VALU_DEP_1) | instskip(NEXT) | instid1(VALU_DEP_2)
	v_add_co_u32 v17, vcc_lo, s1, v17
	v_add_co_ci_u32_e32 v18, vcc_lo, s3, v18, vcc_lo
	global_store_b64 v[17:18], v[9:10], off
.LBB1341_485:
	;; [unrolled: 24-line block ×7, first 2 shown]
	s_or_b32 exec_lo, exec_lo, s0
.LBB1341_501:
	s_and_b32 s0, s2, s28
	s_delay_alu instid0(SALU_CYCLE_1)
	s_and_saveexec_b32 s1, s0
	s_cbranch_execz .LBB1341_524
.LBB1341_502:
	v_add_co_u32 v0, s0, s10, v33
	s_delay_alu instid0(VALU_DEP_1) | instskip(SKIP_1) | instid1(VALU_DEP_3)
	v_add_co_ci_u32_e64 v1, null, s11, 0, s0
	v_mov_b32_e32 v2, 0
	v_add_co_u32 v0, vcc_lo, v0, s12
	s_delay_alu instid0(VALU_DEP_3)
	v_add_co_ci_u32_e32 v1, vcc_lo, 0, v1, vcc_lo
	global_store_b64 v2, v[0:1], s[8:9]
	s_nop 0
	s_sendmsg sendmsg(MSG_DEALLOC_VGPRS)
	s_endpgm
.LBB1341_503:
	s_and_b32 vcc_lo, exec_lo, s0
	s_cbranch_vccz .LBB1341_501
; %bb.504:
	s_mov_b32 s0, exec_lo
	v_cmpx_eq_u32_e32 1, v35
	s_cbranch_execz .LBB1341_506
; %bb.505:
	v_subrev_nc_u32_e32 v17, s12, v53
	s_delay_alu instid0(VALU_DEP_1)
	v_lshlrev_b32_e32 v17, 3, v17
	ds_store_b64 v17, v[13:14]
.LBB1341_506:
	s_or_b32 exec_lo, exec_lo, s0
	v_and_b32_e32 v13, 1, v58
	s_mov_b32 s0, exec_lo
	s_delay_alu instid0(VALU_DEP_1)
	v_cmpx_eq_u32_e32 1, v13
	s_cbranch_execz .LBB1341_508
; %bb.507:
	v_subrev_nc_u32_e32 v13, s12, v51
	s_delay_alu instid0(VALU_DEP_1)
	v_lshlrev_b32_e32 v13, 3, v13
	ds_store_b64 v13, v[15:16]
.LBB1341_508:
	s_or_b32 exec_lo, exec_lo, s0
	v_and_b32_e32 v13, 1, v57
	s_mov_b32 s0, exec_lo
	s_delay_alu instid0(VALU_DEP_1)
	;; [unrolled: 12-line block ×7, first 2 shown]
	v_cmpx_eq_u32_e32 1, v1
	s_cbranch_execz .LBB1341_520
; %bb.519:
	v_subrev_nc_u32_e32 v1, s12, v39
	s_delay_alu instid0(VALU_DEP_1)
	v_lshlrev_b32_e32 v1, 3, v1
	ds_store_b64 v1, v[3:4]
.LBB1341_520:
	s_or_b32 exec_lo, exec_lo, s0
	s_delay_alu instid0(SALU_CYCLE_1)
	s_mov_b32 s1, exec_lo
	s_waitcnt lgkmcnt(0)
	s_waitcnt_vscnt null, 0x0
	s_barrier
	buffer_gl0_inv
	v_cmpx_lt_u32_e64 v0, v33
	s_cbranch_execz .LBB1341_523
; %bb.521:
	s_mov_b32 s13, 0
	s_lshl_b64 s[4:5], s[10:11], 3
	s_lshl_b64 s[6:7], s[12:13], 3
	s_delay_alu instid0(SALU_CYCLE_1) | instskip(SKIP_4) | instid1(VALU_DEP_1)
	s_add_u32 s0, s4, s6
	s_addc_u32 s3, s5, s7
	s_add_u32 s0, s18, s0
	s_addc_u32 s3, s19, s3
	v_add_co_u32 v1, s0, s0, v55
	v_add_co_ci_u32_e64 v2, null, s3, 0, s0
	.p2align	6
.LBB1341_522:                           ; =>This Inner Loop Header: Depth=1
	ds_load_b64 v[3:4], v55
	v_add_nc_u32_e32 v0, 0x200, v0
	v_add_nc_u32_e32 v55, 0x1000, v55
	s_delay_alu instid0(VALU_DEP_2) | instskip(SKIP_4) | instid1(VALU_DEP_1)
	v_cmp_ge_u32_e32 vcc_lo, v0, v33
	s_or_b32 s13, vcc_lo, s13
	s_waitcnt lgkmcnt(0)
	global_store_b64 v[1:2], v[3:4], off
	v_add_co_u32 v1, s0, 0x1000, v1
	v_add_co_ci_u32_e64 v2, s0, 0, v2, s0
	s_and_not1_b32 exec_lo, exec_lo, s13
	s_cbranch_execnz .LBB1341_522
.LBB1341_523:
	s_or_b32 exec_lo, exec_lo, s1
	s_and_b32 s0, s2, s28
	s_delay_alu instid0(SALU_CYCLE_1)
	s_and_saveexec_b32 s1, s0
	s_cbranch_execnz .LBB1341_502
.LBB1341_524:
	s_nop 0
	s_sendmsg sendmsg(MSG_DEALLOC_VGPRS)
	s_endpgm
	.section	.rodata,"a",@progbits
	.p2align	6, 0x0
	.amdhsa_kernel _ZN7rocprim17ROCPRIM_400000_NS6detail17trampoline_kernelINS0_14default_configENS1_25partition_config_selectorILNS1_17partition_subalgoE9EllbEEZZNS1_14partition_implILS5_9ELb0ES3_jPlS8_PNS0_10empty_typeENS0_5tupleIJS8_S9_EEENSB_IJS8_SA_EEENS0_18inequality_wrapperIZN2at6native12_GLOBAL__N_124unique_dim_cuda_templateIN3c104HalfEEESt5tupleIJNSF_6TensorESM_SM_EERKSM_lbbbEUlllE0_EEPmJS9_EEE10hipError_tPvRmT3_T4_T5_T6_T7_T9_mT8_P12ihipStream_tbDpT10_ENKUlT_T0_E_clISt17integral_constantIbLb1EES1C_EEDaS17_S18_EUlS17_E_NS1_11comp_targetILNS1_3genE9ELNS1_11target_archE1100ELNS1_3gpuE3ELNS1_3repE0EEENS1_30default_config_static_selectorELNS0_4arch9wavefront6targetE0EEEvT1_
		.amdhsa_group_segment_fixed_size 33804
		.amdhsa_private_segment_fixed_size 0
		.amdhsa_kernarg_size 136
		.amdhsa_user_sgpr_count 15
		.amdhsa_user_sgpr_dispatch_ptr 0
		.amdhsa_user_sgpr_queue_ptr 0
		.amdhsa_user_sgpr_kernarg_segment_ptr 1
		.amdhsa_user_sgpr_dispatch_id 0
		.amdhsa_user_sgpr_private_segment_size 0
		.amdhsa_wavefront_size32 1
		.amdhsa_uses_dynamic_stack 0
		.amdhsa_enable_private_segment 0
		.amdhsa_system_sgpr_workgroup_id_x 1
		.amdhsa_system_sgpr_workgroup_id_y 0
		.amdhsa_system_sgpr_workgroup_id_z 0
		.amdhsa_system_sgpr_workgroup_info 0
		.amdhsa_system_vgpr_workitem_id 0
		.amdhsa_next_free_vgpr 68
		.amdhsa_next_free_sgpr 40
		.amdhsa_reserve_vcc 1
		.amdhsa_float_round_mode_32 0
		.amdhsa_float_round_mode_16_64 0
		.amdhsa_float_denorm_mode_32 3
		.amdhsa_float_denorm_mode_16_64 3
		.amdhsa_dx10_clamp 1
		.amdhsa_ieee_mode 1
		.amdhsa_fp16_overflow 0
		.amdhsa_workgroup_processor_mode 1
		.amdhsa_memory_ordered 1
		.amdhsa_forward_progress 0
		.amdhsa_shared_vgpr_count 0
		.amdhsa_exception_fp_ieee_invalid_op 0
		.amdhsa_exception_fp_denorm_src 0
		.amdhsa_exception_fp_ieee_div_zero 0
		.amdhsa_exception_fp_ieee_overflow 0
		.amdhsa_exception_fp_ieee_underflow 0
		.amdhsa_exception_fp_ieee_inexact 0
		.amdhsa_exception_int_div_zero 0
	.end_amdhsa_kernel
	.section	.text._ZN7rocprim17ROCPRIM_400000_NS6detail17trampoline_kernelINS0_14default_configENS1_25partition_config_selectorILNS1_17partition_subalgoE9EllbEEZZNS1_14partition_implILS5_9ELb0ES3_jPlS8_PNS0_10empty_typeENS0_5tupleIJS8_S9_EEENSB_IJS8_SA_EEENS0_18inequality_wrapperIZN2at6native12_GLOBAL__N_124unique_dim_cuda_templateIN3c104HalfEEESt5tupleIJNSF_6TensorESM_SM_EERKSM_lbbbEUlllE0_EEPmJS9_EEE10hipError_tPvRmT3_T4_T5_T6_T7_T9_mT8_P12ihipStream_tbDpT10_ENKUlT_T0_E_clISt17integral_constantIbLb1EES1C_EEDaS17_S18_EUlS17_E_NS1_11comp_targetILNS1_3genE9ELNS1_11target_archE1100ELNS1_3gpuE3ELNS1_3repE0EEENS1_30default_config_static_selectorELNS0_4arch9wavefront6targetE0EEEvT1_,"axG",@progbits,_ZN7rocprim17ROCPRIM_400000_NS6detail17trampoline_kernelINS0_14default_configENS1_25partition_config_selectorILNS1_17partition_subalgoE9EllbEEZZNS1_14partition_implILS5_9ELb0ES3_jPlS8_PNS0_10empty_typeENS0_5tupleIJS8_S9_EEENSB_IJS8_SA_EEENS0_18inequality_wrapperIZN2at6native12_GLOBAL__N_124unique_dim_cuda_templateIN3c104HalfEEESt5tupleIJNSF_6TensorESM_SM_EERKSM_lbbbEUlllE0_EEPmJS9_EEE10hipError_tPvRmT3_T4_T5_T6_T7_T9_mT8_P12ihipStream_tbDpT10_ENKUlT_T0_E_clISt17integral_constantIbLb1EES1C_EEDaS17_S18_EUlS17_E_NS1_11comp_targetILNS1_3genE9ELNS1_11target_archE1100ELNS1_3gpuE3ELNS1_3repE0EEENS1_30default_config_static_selectorELNS0_4arch9wavefront6targetE0EEEvT1_,comdat
.Lfunc_end1341:
	.size	_ZN7rocprim17ROCPRIM_400000_NS6detail17trampoline_kernelINS0_14default_configENS1_25partition_config_selectorILNS1_17partition_subalgoE9EllbEEZZNS1_14partition_implILS5_9ELb0ES3_jPlS8_PNS0_10empty_typeENS0_5tupleIJS8_S9_EEENSB_IJS8_SA_EEENS0_18inequality_wrapperIZN2at6native12_GLOBAL__N_124unique_dim_cuda_templateIN3c104HalfEEESt5tupleIJNSF_6TensorESM_SM_EERKSM_lbbbEUlllE0_EEPmJS9_EEE10hipError_tPvRmT3_T4_T5_T6_T7_T9_mT8_P12ihipStream_tbDpT10_ENKUlT_T0_E_clISt17integral_constantIbLb1EES1C_EEDaS17_S18_EUlS17_E_NS1_11comp_targetILNS1_3genE9ELNS1_11target_archE1100ELNS1_3gpuE3ELNS1_3repE0EEENS1_30default_config_static_selectorELNS0_4arch9wavefront6targetE0EEEvT1_, .Lfunc_end1341-_ZN7rocprim17ROCPRIM_400000_NS6detail17trampoline_kernelINS0_14default_configENS1_25partition_config_selectorILNS1_17partition_subalgoE9EllbEEZZNS1_14partition_implILS5_9ELb0ES3_jPlS8_PNS0_10empty_typeENS0_5tupleIJS8_S9_EEENSB_IJS8_SA_EEENS0_18inequality_wrapperIZN2at6native12_GLOBAL__N_124unique_dim_cuda_templateIN3c104HalfEEESt5tupleIJNSF_6TensorESM_SM_EERKSM_lbbbEUlllE0_EEPmJS9_EEE10hipError_tPvRmT3_T4_T5_T6_T7_T9_mT8_P12ihipStream_tbDpT10_ENKUlT_T0_E_clISt17integral_constantIbLb1EES1C_EEDaS17_S18_EUlS17_E_NS1_11comp_targetILNS1_3genE9ELNS1_11target_archE1100ELNS1_3gpuE3ELNS1_3repE0EEENS1_30default_config_static_selectorELNS0_4arch9wavefront6targetE0EEEvT1_
                                        ; -- End function
	.section	.AMDGPU.csdata,"",@progbits
; Kernel info:
; codeLenInByte = 20604
; NumSgprs: 42
; NumVgprs: 68
; ScratchSize: 0
; MemoryBound: 0
; FloatMode: 240
; IeeeMode: 1
; LDSByteSize: 33804 bytes/workgroup (compile time only)
; SGPRBlocks: 5
; VGPRBlocks: 8
; NumSGPRsForWavesPerEU: 42
; NumVGPRsForWavesPerEU: 68
; Occupancy: 12
; WaveLimiterHint : 1
; COMPUTE_PGM_RSRC2:SCRATCH_EN: 0
; COMPUTE_PGM_RSRC2:USER_SGPR: 15
; COMPUTE_PGM_RSRC2:TRAP_HANDLER: 0
; COMPUTE_PGM_RSRC2:TGID_X_EN: 1
; COMPUTE_PGM_RSRC2:TGID_Y_EN: 0
; COMPUTE_PGM_RSRC2:TGID_Z_EN: 0
; COMPUTE_PGM_RSRC2:TIDIG_COMP_CNT: 0
	.section	.text._ZN7rocprim17ROCPRIM_400000_NS6detail17trampoline_kernelINS0_14default_configENS1_25partition_config_selectorILNS1_17partition_subalgoE9EllbEEZZNS1_14partition_implILS5_9ELb0ES3_jPlS8_PNS0_10empty_typeENS0_5tupleIJS8_S9_EEENSB_IJS8_SA_EEENS0_18inequality_wrapperIZN2at6native12_GLOBAL__N_124unique_dim_cuda_templateIN3c104HalfEEESt5tupleIJNSF_6TensorESM_SM_EERKSM_lbbbEUlllE0_EEPmJS9_EEE10hipError_tPvRmT3_T4_T5_T6_T7_T9_mT8_P12ihipStream_tbDpT10_ENKUlT_T0_E_clISt17integral_constantIbLb1EES1C_EEDaS17_S18_EUlS17_E_NS1_11comp_targetILNS1_3genE8ELNS1_11target_archE1030ELNS1_3gpuE2ELNS1_3repE0EEENS1_30default_config_static_selectorELNS0_4arch9wavefront6targetE0EEEvT1_,"axG",@progbits,_ZN7rocprim17ROCPRIM_400000_NS6detail17trampoline_kernelINS0_14default_configENS1_25partition_config_selectorILNS1_17partition_subalgoE9EllbEEZZNS1_14partition_implILS5_9ELb0ES3_jPlS8_PNS0_10empty_typeENS0_5tupleIJS8_S9_EEENSB_IJS8_SA_EEENS0_18inequality_wrapperIZN2at6native12_GLOBAL__N_124unique_dim_cuda_templateIN3c104HalfEEESt5tupleIJNSF_6TensorESM_SM_EERKSM_lbbbEUlllE0_EEPmJS9_EEE10hipError_tPvRmT3_T4_T5_T6_T7_T9_mT8_P12ihipStream_tbDpT10_ENKUlT_T0_E_clISt17integral_constantIbLb1EES1C_EEDaS17_S18_EUlS17_E_NS1_11comp_targetILNS1_3genE8ELNS1_11target_archE1030ELNS1_3gpuE2ELNS1_3repE0EEENS1_30default_config_static_selectorELNS0_4arch9wavefront6targetE0EEEvT1_,comdat
	.globl	_ZN7rocprim17ROCPRIM_400000_NS6detail17trampoline_kernelINS0_14default_configENS1_25partition_config_selectorILNS1_17partition_subalgoE9EllbEEZZNS1_14partition_implILS5_9ELb0ES3_jPlS8_PNS0_10empty_typeENS0_5tupleIJS8_S9_EEENSB_IJS8_SA_EEENS0_18inequality_wrapperIZN2at6native12_GLOBAL__N_124unique_dim_cuda_templateIN3c104HalfEEESt5tupleIJNSF_6TensorESM_SM_EERKSM_lbbbEUlllE0_EEPmJS9_EEE10hipError_tPvRmT3_T4_T5_T6_T7_T9_mT8_P12ihipStream_tbDpT10_ENKUlT_T0_E_clISt17integral_constantIbLb1EES1C_EEDaS17_S18_EUlS17_E_NS1_11comp_targetILNS1_3genE8ELNS1_11target_archE1030ELNS1_3gpuE2ELNS1_3repE0EEENS1_30default_config_static_selectorELNS0_4arch9wavefront6targetE0EEEvT1_ ; -- Begin function _ZN7rocprim17ROCPRIM_400000_NS6detail17trampoline_kernelINS0_14default_configENS1_25partition_config_selectorILNS1_17partition_subalgoE9EllbEEZZNS1_14partition_implILS5_9ELb0ES3_jPlS8_PNS0_10empty_typeENS0_5tupleIJS8_S9_EEENSB_IJS8_SA_EEENS0_18inequality_wrapperIZN2at6native12_GLOBAL__N_124unique_dim_cuda_templateIN3c104HalfEEESt5tupleIJNSF_6TensorESM_SM_EERKSM_lbbbEUlllE0_EEPmJS9_EEE10hipError_tPvRmT3_T4_T5_T6_T7_T9_mT8_P12ihipStream_tbDpT10_ENKUlT_T0_E_clISt17integral_constantIbLb1EES1C_EEDaS17_S18_EUlS17_E_NS1_11comp_targetILNS1_3genE8ELNS1_11target_archE1030ELNS1_3gpuE2ELNS1_3repE0EEENS1_30default_config_static_selectorELNS0_4arch9wavefront6targetE0EEEvT1_
	.p2align	8
	.type	_ZN7rocprim17ROCPRIM_400000_NS6detail17trampoline_kernelINS0_14default_configENS1_25partition_config_selectorILNS1_17partition_subalgoE9EllbEEZZNS1_14partition_implILS5_9ELb0ES3_jPlS8_PNS0_10empty_typeENS0_5tupleIJS8_S9_EEENSB_IJS8_SA_EEENS0_18inequality_wrapperIZN2at6native12_GLOBAL__N_124unique_dim_cuda_templateIN3c104HalfEEESt5tupleIJNSF_6TensorESM_SM_EERKSM_lbbbEUlllE0_EEPmJS9_EEE10hipError_tPvRmT3_T4_T5_T6_T7_T9_mT8_P12ihipStream_tbDpT10_ENKUlT_T0_E_clISt17integral_constantIbLb1EES1C_EEDaS17_S18_EUlS17_E_NS1_11comp_targetILNS1_3genE8ELNS1_11target_archE1030ELNS1_3gpuE2ELNS1_3repE0EEENS1_30default_config_static_selectorELNS0_4arch9wavefront6targetE0EEEvT1_,@function
_ZN7rocprim17ROCPRIM_400000_NS6detail17trampoline_kernelINS0_14default_configENS1_25partition_config_selectorILNS1_17partition_subalgoE9EllbEEZZNS1_14partition_implILS5_9ELb0ES3_jPlS8_PNS0_10empty_typeENS0_5tupleIJS8_S9_EEENSB_IJS8_SA_EEENS0_18inequality_wrapperIZN2at6native12_GLOBAL__N_124unique_dim_cuda_templateIN3c104HalfEEESt5tupleIJNSF_6TensorESM_SM_EERKSM_lbbbEUlllE0_EEPmJS9_EEE10hipError_tPvRmT3_T4_T5_T6_T7_T9_mT8_P12ihipStream_tbDpT10_ENKUlT_T0_E_clISt17integral_constantIbLb1EES1C_EEDaS17_S18_EUlS17_E_NS1_11comp_targetILNS1_3genE8ELNS1_11target_archE1030ELNS1_3gpuE2ELNS1_3repE0EEENS1_30default_config_static_selectorELNS0_4arch9wavefront6targetE0EEEvT1_: ; @_ZN7rocprim17ROCPRIM_400000_NS6detail17trampoline_kernelINS0_14default_configENS1_25partition_config_selectorILNS1_17partition_subalgoE9EllbEEZZNS1_14partition_implILS5_9ELb0ES3_jPlS8_PNS0_10empty_typeENS0_5tupleIJS8_S9_EEENSB_IJS8_SA_EEENS0_18inequality_wrapperIZN2at6native12_GLOBAL__N_124unique_dim_cuda_templateIN3c104HalfEEESt5tupleIJNSF_6TensorESM_SM_EERKSM_lbbbEUlllE0_EEPmJS9_EEE10hipError_tPvRmT3_T4_T5_T6_T7_T9_mT8_P12ihipStream_tbDpT10_ENKUlT_T0_E_clISt17integral_constantIbLb1EES1C_EEDaS17_S18_EUlS17_E_NS1_11comp_targetILNS1_3genE8ELNS1_11target_archE1030ELNS1_3gpuE2ELNS1_3repE0EEENS1_30default_config_static_selectorELNS0_4arch9wavefront6targetE0EEEvT1_
; %bb.0:
	.section	.rodata,"a",@progbits
	.p2align	6, 0x0
	.amdhsa_kernel _ZN7rocprim17ROCPRIM_400000_NS6detail17trampoline_kernelINS0_14default_configENS1_25partition_config_selectorILNS1_17partition_subalgoE9EllbEEZZNS1_14partition_implILS5_9ELb0ES3_jPlS8_PNS0_10empty_typeENS0_5tupleIJS8_S9_EEENSB_IJS8_SA_EEENS0_18inequality_wrapperIZN2at6native12_GLOBAL__N_124unique_dim_cuda_templateIN3c104HalfEEESt5tupleIJNSF_6TensorESM_SM_EERKSM_lbbbEUlllE0_EEPmJS9_EEE10hipError_tPvRmT3_T4_T5_T6_T7_T9_mT8_P12ihipStream_tbDpT10_ENKUlT_T0_E_clISt17integral_constantIbLb1EES1C_EEDaS17_S18_EUlS17_E_NS1_11comp_targetILNS1_3genE8ELNS1_11target_archE1030ELNS1_3gpuE2ELNS1_3repE0EEENS1_30default_config_static_selectorELNS0_4arch9wavefront6targetE0EEEvT1_
		.amdhsa_group_segment_fixed_size 0
		.amdhsa_private_segment_fixed_size 0
		.amdhsa_kernarg_size 136
		.amdhsa_user_sgpr_count 15
		.amdhsa_user_sgpr_dispatch_ptr 0
		.amdhsa_user_sgpr_queue_ptr 0
		.amdhsa_user_sgpr_kernarg_segment_ptr 1
		.amdhsa_user_sgpr_dispatch_id 0
		.amdhsa_user_sgpr_private_segment_size 0
		.amdhsa_wavefront_size32 1
		.amdhsa_uses_dynamic_stack 0
		.amdhsa_enable_private_segment 0
		.amdhsa_system_sgpr_workgroup_id_x 1
		.amdhsa_system_sgpr_workgroup_id_y 0
		.amdhsa_system_sgpr_workgroup_id_z 0
		.amdhsa_system_sgpr_workgroup_info 0
		.amdhsa_system_vgpr_workitem_id 0
		.amdhsa_next_free_vgpr 1
		.amdhsa_next_free_sgpr 1
		.amdhsa_reserve_vcc 0
		.amdhsa_float_round_mode_32 0
		.amdhsa_float_round_mode_16_64 0
		.amdhsa_float_denorm_mode_32 3
		.amdhsa_float_denorm_mode_16_64 3
		.amdhsa_dx10_clamp 1
		.amdhsa_ieee_mode 1
		.amdhsa_fp16_overflow 0
		.amdhsa_workgroup_processor_mode 1
		.amdhsa_memory_ordered 1
		.amdhsa_forward_progress 0
		.amdhsa_shared_vgpr_count 0
		.amdhsa_exception_fp_ieee_invalid_op 0
		.amdhsa_exception_fp_denorm_src 0
		.amdhsa_exception_fp_ieee_div_zero 0
		.amdhsa_exception_fp_ieee_overflow 0
		.amdhsa_exception_fp_ieee_underflow 0
		.amdhsa_exception_fp_ieee_inexact 0
		.amdhsa_exception_int_div_zero 0
	.end_amdhsa_kernel
	.section	.text._ZN7rocprim17ROCPRIM_400000_NS6detail17trampoline_kernelINS0_14default_configENS1_25partition_config_selectorILNS1_17partition_subalgoE9EllbEEZZNS1_14partition_implILS5_9ELb0ES3_jPlS8_PNS0_10empty_typeENS0_5tupleIJS8_S9_EEENSB_IJS8_SA_EEENS0_18inequality_wrapperIZN2at6native12_GLOBAL__N_124unique_dim_cuda_templateIN3c104HalfEEESt5tupleIJNSF_6TensorESM_SM_EERKSM_lbbbEUlllE0_EEPmJS9_EEE10hipError_tPvRmT3_T4_T5_T6_T7_T9_mT8_P12ihipStream_tbDpT10_ENKUlT_T0_E_clISt17integral_constantIbLb1EES1C_EEDaS17_S18_EUlS17_E_NS1_11comp_targetILNS1_3genE8ELNS1_11target_archE1030ELNS1_3gpuE2ELNS1_3repE0EEENS1_30default_config_static_selectorELNS0_4arch9wavefront6targetE0EEEvT1_,"axG",@progbits,_ZN7rocprim17ROCPRIM_400000_NS6detail17trampoline_kernelINS0_14default_configENS1_25partition_config_selectorILNS1_17partition_subalgoE9EllbEEZZNS1_14partition_implILS5_9ELb0ES3_jPlS8_PNS0_10empty_typeENS0_5tupleIJS8_S9_EEENSB_IJS8_SA_EEENS0_18inequality_wrapperIZN2at6native12_GLOBAL__N_124unique_dim_cuda_templateIN3c104HalfEEESt5tupleIJNSF_6TensorESM_SM_EERKSM_lbbbEUlllE0_EEPmJS9_EEE10hipError_tPvRmT3_T4_T5_T6_T7_T9_mT8_P12ihipStream_tbDpT10_ENKUlT_T0_E_clISt17integral_constantIbLb1EES1C_EEDaS17_S18_EUlS17_E_NS1_11comp_targetILNS1_3genE8ELNS1_11target_archE1030ELNS1_3gpuE2ELNS1_3repE0EEENS1_30default_config_static_selectorELNS0_4arch9wavefront6targetE0EEEvT1_,comdat
.Lfunc_end1342:
	.size	_ZN7rocprim17ROCPRIM_400000_NS6detail17trampoline_kernelINS0_14default_configENS1_25partition_config_selectorILNS1_17partition_subalgoE9EllbEEZZNS1_14partition_implILS5_9ELb0ES3_jPlS8_PNS0_10empty_typeENS0_5tupleIJS8_S9_EEENSB_IJS8_SA_EEENS0_18inequality_wrapperIZN2at6native12_GLOBAL__N_124unique_dim_cuda_templateIN3c104HalfEEESt5tupleIJNSF_6TensorESM_SM_EERKSM_lbbbEUlllE0_EEPmJS9_EEE10hipError_tPvRmT3_T4_T5_T6_T7_T9_mT8_P12ihipStream_tbDpT10_ENKUlT_T0_E_clISt17integral_constantIbLb1EES1C_EEDaS17_S18_EUlS17_E_NS1_11comp_targetILNS1_3genE8ELNS1_11target_archE1030ELNS1_3gpuE2ELNS1_3repE0EEENS1_30default_config_static_selectorELNS0_4arch9wavefront6targetE0EEEvT1_, .Lfunc_end1342-_ZN7rocprim17ROCPRIM_400000_NS6detail17trampoline_kernelINS0_14default_configENS1_25partition_config_selectorILNS1_17partition_subalgoE9EllbEEZZNS1_14partition_implILS5_9ELb0ES3_jPlS8_PNS0_10empty_typeENS0_5tupleIJS8_S9_EEENSB_IJS8_SA_EEENS0_18inequality_wrapperIZN2at6native12_GLOBAL__N_124unique_dim_cuda_templateIN3c104HalfEEESt5tupleIJNSF_6TensorESM_SM_EERKSM_lbbbEUlllE0_EEPmJS9_EEE10hipError_tPvRmT3_T4_T5_T6_T7_T9_mT8_P12ihipStream_tbDpT10_ENKUlT_T0_E_clISt17integral_constantIbLb1EES1C_EEDaS17_S18_EUlS17_E_NS1_11comp_targetILNS1_3genE8ELNS1_11target_archE1030ELNS1_3gpuE2ELNS1_3repE0EEENS1_30default_config_static_selectorELNS0_4arch9wavefront6targetE0EEEvT1_
                                        ; -- End function
	.section	.AMDGPU.csdata,"",@progbits
; Kernel info:
; codeLenInByte = 0
; NumSgprs: 0
; NumVgprs: 0
; ScratchSize: 0
; MemoryBound: 0
; FloatMode: 240
; IeeeMode: 1
; LDSByteSize: 0 bytes/workgroup (compile time only)
; SGPRBlocks: 0
; VGPRBlocks: 0
; NumSGPRsForWavesPerEU: 1
; NumVGPRsForWavesPerEU: 1
; Occupancy: 16
; WaveLimiterHint : 0
; COMPUTE_PGM_RSRC2:SCRATCH_EN: 0
; COMPUTE_PGM_RSRC2:USER_SGPR: 15
; COMPUTE_PGM_RSRC2:TRAP_HANDLER: 0
; COMPUTE_PGM_RSRC2:TGID_X_EN: 1
; COMPUTE_PGM_RSRC2:TGID_Y_EN: 0
; COMPUTE_PGM_RSRC2:TGID_Z_EN: 0
; COMPUTE_PGM_RSRC2:TIDIG_COMP_CNT: 0
	.section	.text._ZN7rocprim17ROCPRIM_400000_NS6detail17trampoline_kernelINS0_14default_configENS1_25partition_config_selectorILNS1_17partition_subalgoE9EllbEEZZNS1_14partition_implILS5_9ELb0ES3_jPlS8_PNS0_10empty_typeENS0_5tupleIJS8_S9_EEENSB_IJS8_SA_EEENS0_18inequality_wrapperIZN2at6native12_GLOBAL__N_124unique_dim_cuda_templateIN3c104HalfEEESt5tupleIJNSF_6TensorESM_SM_EERKSM_lbbbEUlllE0_EEPmJS9_EEE10hipError_tPvRmT3_T4_T5_T6_T7_T9_mT8_P12ihipStream_tbDpT10_ENKUlT_T0_E_clISt17integral_constantIbLb1EES1B_IbLb0EEEEDaS17_S18_EUlS17_E_NS1_11comp_targetILNS1_3genE0ELNS1_11target_archE4294967295ELNS1_3gpuE0ELNS1_3repE0EEENS1_30default_config_static_selectorELNS0_4arch9wavefront6targetE0EEEvT1_,"axG",@progbits,_ZN7rocprim17ROCPRIM_400000_NS6detail17trampoline_kernelINS0_14default_configENS1_25partition_config_selectorILNS1_17partition_subalgoE9EllbEEZZNS1_14partition_implILS5_9ELb0ES3_jPlS8_PNS0_10empty_typeENS0_5tupleIJS8_S9_EEENSB_IJS8_SA_EEENS0_18inequality_wrapperIZN2at6native12_GLOBAL__N_124unique_dim_cuda_templateIN3c104HalfEEESt5tupleIJNSF_6TensorESM_SM_EERKSM_lbbbEUlllE0_EEPmJS9_EEE10hipError_tPvRmT3_T4_T5_T6_T7_T9_mT8_P12ihipStream_tbDpT10_ENKUlT_T0_E_clISt17integral_constantIbLb1EES1B_IbLb0EEEEDaS17_S18_EUlS17_E_NS1_11comp_targetILNS1_3genE0ELNS1_11target_archE4294967295ELNS1_3gpuE0ELNS1_3repE0EEENS1_30default_config_static_selectorELNS0_4arch9wavefront6targetE0EEEvT1_,comdat
	.globl	_ZN7rocprim17ROCPRIM_400000_NS6detail17trampoline_kernelINS0_14default_configENS1_25partition_config_selectorILNS1_17partition_subalgoE9EllbEEZZNS1_14partition_implILS5_9ELb0ES3_jPlS8_PNS0_10empty_typeENS0_5tupleIJS8_S9_EEENSB_IJS8_SA_EEENS0_18inequality_wrapperIZN2at6native12_GLOBAL__N_124unique_dim_cuda_templateIN3c104HalfEEESt5tupleIJNSF_6TensorESM_SM_EERKSM_lbbbEUlllE0_EEPmJS9_EEE10hipError_tPvRmT3_T4_T5_T6_T7_T9_mT8_P12ihipStream_tbDpT10_ENKUlT_T0_E_clISt17integral_constantIbLb1EES1B_IbLb0EEEEDaS17_S18_EUlS17_E_NS1_11comp_targetILNS1_3genE0ELNS1_11target_archE4294967295ELNS1_3gpuE0ELNS1_3repE0EEENS1_30default_config_static_selectorELNS0_4arch9wavefront6targetE0EEEvT1_ ; -- Begin function _ZN7rocprim17ROCPRIM_400000_NS6detail17trampoline_kernelINS0_14default_configENS1_25partition_config_selectorILNS1_17partition_subalgoE9EllbEEZZNS1_14partition_implILS5_9ELb0ES3_jPlS8_PNS0_10empty_typeENS0_5tupleIJS8_S9_EEENSB_IJS8_SA_EEENS0_18inequality_wrapperIZN2at6native12_GLOBAL__N_124unique_dim_cuda_templateIN3c104HalfEEESt5tupleIJNSF_6TensorESM_SM_EERKSM_lbbbEUlllE0_EEPmJS9_EEE10hipError_tPvRmT3_T4_T5_T6_T7_T9_mT8_P12ihipStream_tbDpT10_ENKUlT_T0_E_clISt17integral_constantIbLb1EES1B_IbLb0EEEEDaS17_S18_EUlS17_E_NS1_11comp_targetILNS1_3genE0ELNS1_11target_archE4294967295ELNS1_3gpuE0ELNS1_3repE0EEENS1_30default_config_static_selectorELNS0_4arch9wavefront6targetE0EEEvT1_
	.p2align	8
	.type	_ZN7rocprim17ROCPRIM_400000_NS6detail17trampoline_kernelINS0_14default_configENS1_25partition_config_selectorILNS1_17partition_subalgoE9EllbEEZZNS1_14partition_implILS5_9ELb0ES3_jPlS8_PNS0_10empty_typeENS0_5tupleIJS8_S9_EEENSB_IJS8_SA_EEENS0_18inequality_wrapperIZN2at6native12_GLOBAL__N_124unique_dim_cuda_templateIN3c104HalfEEESt5tupleIJNSF_6TensorESM_SM_EERKSM_lbbbEUlllE0_EEPmJS9_EEE10hipError_tPvRmT3_T4_T5_T6_T7_T9_mT8_P12ihipStream_tbDpT10_ENKUlT_T0_E_clISt17integral_constantIbLb1EES1B_IbLb0EEEEDaS17_S18_EUlS17_E_NS1_11comp_targetILNS1_3genE0ELNS1_11target_archE4294967295ELNS1_3gpuE0ELNS1_3repE0EEENS1_30default_config_static_selectorELNS0_4arch9wavefront6targetE0EEEvT1_,@function
_ZN7rocprim17ROCPRIM_400000_NS6detail17trampoline_kernelINS0_14default_configENS1_25partition_config_selectorILNS1_17partition_subalgoE9EllbEEZZNS1_14partition_implILS5_9ELb0ES3_jPlS8_PNS0_10empty_typeENS0_5tupleIJS8_S9_EEENSB_IJS8_SA_EEENS0_18inequality_wrapperIZN2at6native12_GLOBAL__N_124unique_dim_cuda_templateIN3c104HalfEEESt5tupleIJNSF_6TensorESM_SM_EERKSM_lbbbEUlllE0_EEPmJS9_EEE10hipError_tPvRmT3_T4_T5_T6_T7_T9_mT8_P12ihipStream_tbDpT10_ENKUlT_T0_E_clISt17integral_constantIbLb1EES1B_IbLb0EEEEDaS17_S18_EUlS17_E_NS1_11comp_targetILNS1_3genE0ELNS1_11target_archE4294967295ELNS1_3gpuE0ELNS1_3repE0EEENS1_30default_config_static_selectorELNS0_4arch9wavefront6targetE0EEEvT1_: ; @_ZN7rocprim17ROCPRIM_400000_NS6detail17trampoline_kernelINS0_14default_configENS1_25partition_config_selectorILNS1_17partition_subalgoE9EllbEEZZNS1_14partition_implILS5_9ELb0ES3_jPlS8_PNS0_10empty_typeENS0_5tupleIJS8_S9_EEENSB_IJS8_SA_EEENS0_18inequality_wrapperIZN2at6native12_GLOBAL__N_124unique_dim_cuda_templateIN3c104HalfEEESt5tupleIJNSF_6TensorESM_SM_EERKSM_lbbbEUlllE0_EEPmJS9_EEE10hipError_tPvRmT3_T4_T5_T6_T7_T9_mT8_P12ihipStream_tbDpT10_ENKUlT_T0_E_clISt17integral_constantIbLb1EES1B_IbLb0EEEEDaS17_S18_EUlS17_E_NS1_11comp_targetILNS1_3genE0ELNS1_11target_archE4294967295ELNS1_3gpuE0ELNS1_3repE0EEENS1_30default_config_static_selectorELNS0_4arch9wavefront6targetE0EEEvT1_
; %bb.0:
	.section	.rodata,"a",@progbits
	.p2align	6, 0x0
	.amdhsa_kernel _ZN7rocprim17ROCPRIM_400000_NS6detail17trampoline_kernelINS0_14default_configENS1_25partition_config_selectorILNS1_17partition_subalgoE9EllbEEZZNS1_14partition_implILS5_9ELb0ES3_jPlS8_PNS0_10empty_typeENS0_5tupleIJS8_S9_EEENSB_IJS8_SA_EEENS0_18inequality_wrapperIZN2at6native12_GLOBAL__N_124unique_dim_cuda_templateIN3c104HalfEEESt5tupleIJNSF_6TensorESM_SM_EERKSM_lbbbEUlllE0_EEPmJS9_EEE10hipError_tPvRmT3_T4_T5_T6_T7_T9_mT8_P12ihipStream_tbDpT10_ENKUlT_T0_E_clISt17integral_constantIbLb1EES1B_IbLb0EEEEDaS17_S18_EUlS17_E_NS1_11comp_targetILNS1_3genE0ELNS1_11target_archE4294967295ELNS1_3gpuE0ELNS1_3repE0EEENS1_30default_config_static_selectorELNS0_4arch9wavefront6targetE0EEEvT1_
		.amdhsa_group_segment_fixed_size 0
		.amdhsa_private_segment_fixed_size 0
		.amdhsa_kernarg_size 120
		.amdhsa_user_sgpr_count 15
		.amdhsa_user_sgpr_dispatch_ptr 0
		.amdhsa_user_sgpr_queue_ptr 0
		.amdhsa_user_sgpr_kernarg_segment_ptr 1
		.amdhsa_user_sgpr_dispatch_id 0
		.amdhsa_user_sgpr_private_segment_size 0
		.amdhsa_wavefront_size32 1
		.amdhsa_uses_dynamic_stack 0
		.amdhsa_enable_private_segment 0
		.amdhsa_system_sgpr_workgroup_id_x 1
		.amdhsa_system_sgpr_workgroup_id_y 0
		.amdhsa_system_sgpr_workgroup_id_z 0
		.amdhsa_system_sgpr_workgroup_info 0
		.amdhsa_system_vgpr_workitem_id 0
		.amdhsa_next_free_vgpr 1
		.amdhsa_next_free_sgpr 1
		.amdhsa_reserve_vcc 0
		.amdhsa_float_round_mode_32 0
		.amdhsa_float_round_mode_16_64 0
		.amdhsa_float_denorm_mode_32 3
		.amdhsa_float_denorm_mode_16_64 3
		.amdhsa_dx10_clamp 1
		.amdhsa_ieee_mode 1
		.amdhsa_fp16_overflow 0
		.amdhsa_workgroup_processor_mode 1
		.amdhsa_memory_ordered 1
		.amdhsa_forward_progress 0
		.amdhsa_shared_vgpr_count 0
		.amdhsa_exception_fp_ieee_invalid_op 0
		.amdhsa_exception_fp_denorm_src 0
		.amdhsa_exception_fp_ieee_div_zero 0
		.amdhsa_exception_fp_ieee_overflow 0
		.amdhsa_exception_fp_ieee_underflow 0
		.amdhsa_exception_fp_ieee_inexact 0
		.amdhsa_exception_int_div_zero 0
	.end_amdhsa_kernel
	.section	.text._ZN7rocprim17ROCPRIM_400000_NS6detail17trampoline_kernelINS0_14default_configENS1_25partition_config_selectorILNS1_17partition_subalgoE9EllbEEZZNS1_14partition_implILS5_9ELb0ES3_jPlS8_PNS0_10empty_typeENS0_5tupleIJS8_S9_EEENSB_IJS8_SA_EEENS0_18inequality_wrapperIZN2at6native12_GLOBAL__N_124unique_dim_cuda_templateIN3c104HalfEEESt5tupleIJNSF_6TensorESM_SM_EERKSM_lbbbEUlllE0_EEPmJS9_EEE10hipError_tPvRmT3_T4_T5_T6_T7_T9_mT8_P12ihipStream_tbDpT10_ENKUlT_T0_E_clISt17integral_constantIbLb1EES1B_IbLb0EEEEDaS17_S18_EUlS17_E_NS1_11comp_targetILNS1_3genE0ELNS1_11target_archE4294967295ELNS1_3gpuE0ELNS1_3repE0EEENS1_30default_config_static_selectorELNS0_4arch9wavefront6targetE0EEEvT1_,"axG",@progbits,_ZN7rocprim17ROCPRIM_400000_NS6detail17trampoline_kernelINS0_14default_configENS1_25partition_config_selectorILNS1_17partition_subalgoE9EllbEEZZNS1_14partition_implILS5_9ELb0ES3_jPlS8_PNS0_10empty_typeENS0_5tupleIJS8_S9_EEENSB_IJS8_SA_EEENS0_18inequality_wrapperIZN2at6native12_GLOBAL__N_124unique_dim_cuda_templateIN3c104HalfEEESt5tupleIJNSF_6TensorESM_SM_EERKSM_lbbbEUlllE0_EEPmJS9_EEE10hipError_tPvRmT3_T4_T5_T6_T7_T9_mT8_P12ihipStream_tbDpT10_ENKUlT_T0_E_clISt17integral_constantIbLb1EES1B_IbLb0EEEEDaS17_S18_EUlS17_E_NS1_11comp_targetILNS1_3genE0ELNS1_11target_archE4294967295ELNS1_3gpuE0ELNS1_3repE0EEENS1_30default_config_static_selectorELNS0_4arch9wavefront6targetE0EEEvT1_,comdat
.Lfunc_end1343:
	.size	_ZN7rocprim17ROCPRIM_400000_NS6detail17trampoline_kernelINS0_14default_configENS1_25partition_config_selectorILNS1_17partition_subalgoE9EllbEEZZNS1_14partition_implILS5_9ELb0ES3_jPlS8_PNS0_10empty_typeENS0_5tupleIJS8_S9_EEENSB_IJS8_SA_EEENS0_18inequality_wrapperIZN2at6native12_GLOBAL__N_124unique_dim_cuda_templateIN3c104HalfEEESt5tupleIJNSF_6TensorESM_SM_EERKSM_lbbbEUlllE0_EEPmJS9_EEE10hipError_tPvRmT3_T4_T5_T6_T7_T9_mT8_P12ihipStream_tbDpT10_ENKUlT_T0_E_clISt17integral_constantIbLb1EES1B_IbLb0EEEEDaS17_S18_EUlS17_E_NS1_11comp_targetILNS1_3genE0ELNS1_11target_archE4294967295ELNS1_3gpuE0ELNS1_3repE0EEENS1_30default_config_static_selectorELNS0_4arch9wavefront6targetE0EEEvT1_, .Lfunc_end1343-_ZN7rocprim17ROCPRIM_400000_NS6detail17trampoline_kernelINS0_14default_configENS1_25partition_config_selectorILNS1_17partition_subalgoE9EllbEEZZNS1_14partition_implILS5_9ELb0ES3_jPlS8_PNS0_10empty_typeENS0_5tupleIJS8_S9_EEENSB_IJS8_SA_EEENS0_18inequality_wrapperIZN2at6native12_GLOBAL__N_124unique_dim_cuda_templateIN3c104HalfEEESt5tupleIJNSF_6TensorESM_SM_EERKSM_lbbbEUlllE0_EEPmJS9_EEE10hipError_tPvRmT3_T4_T5_T6_T7_T9_mT8_P12ihipStream_tbDpT10_ENKUlT_T0_E_clISt17integral_constantIbLb1EES1B_IbLb0EEEEDaS17_S18_EUlS17_E_NS1_11comp_targetILNS1_3genE0ELNS1_11target_archE4294967295ELNS1_3gpuE0ELNS1_3repE0EEENS1_30default_config_static_selectorELNS0_4arch9wavefront6targetE0EEEvT1_
                                        ; -- End function
	.section	.AMDGPU.csdata,"",@progbits
; Kernel info:
; codeLenInByte = 0
; NumSgprs: 0
; NumVgprs: 0
; ScratchSize: 0
; MemoryBound: 0
; FloatMode: 240
; IeeeMode: 1
; LDSByteSize: 0 bytes/workgroup (compile time only)
; SGPRBlocks: 0
; VGPRBlocks: 0
; NumSGPRsForWavesPerEU: 1
; NumVGPRsForWavesPerEU: 1
; Occupancy: 16
; WaveLimiterHint : 0
; COMPUTE_PGM_RSRC2:SCRATCH_EN: 0
; COMPUTE_PGM_RSRC2:USER_SGPR: 15
; COMPUTE_PGM_RSRC2:TRAP_HANDLER: 0
; COMPUTE_PGM_RSRC2:TGID_X_EN: 1
; COMPUTE_PGM_RSRC2:TGID_Y_EN: 0
; COMPUTE_PGM_RSRC2:TGID_Z_EN: 0
; COMPUTE_PGM_RSRC2:TIDIG_COMP_CNT: 0
	.section	.text._ZN7rocprim17ROCPRIM_400000_NS6detail17trampoline_kernelINS0_14default_configENS1_25partition_config_selectorILNS1_17partition_subalgoE9EllbEEZZNS1_14partition_implILS5_9ELb0ES3_jPlS8_PNS0_10empty_typeENS0_5tupleIJS8_S9_EEENSB_IJS8_SA_EEENS0_18inequality_wrapperIZN2at6native12_GLOBAL__N_124unique_dim_cuda_templateIN3c104HalfEEESt5tupleIJNSF_6TensorESM_SM_EERKSM_lbbbEUlllE0_EEPmJS9_EEE10hipError_tPvRmT3_T4_T5_T6_T7_T9_mT8_P12ihipStream_tbDpT10_ENKUlT_T0_E_clISt17integral_constantIbLb1EES1B_IbLb0EEEEDaS17_S18_EUlS17_E_NS1_11comp_targetILNS1_3genE5ELNS1_11target_archE942ELNS1_3gpuE9ELNS1_3repE0EEENS1_30default_config_static_selectorELNS0_4arch9wavefront6targetE0EEEvT1_,"axG",@progbits,_ZN7rocprim17ROCPRIM_400000_NS6detail17trampoline_kernelINS0_14default_configENS1_25partition_config_selectorILNS1_17partition_subalgoE9EllbEEZZNS1_14partition_implILS5_9ELb0ES3_jPlS8_PNS0_10empty_typeENS0_5tupleIJS8_S9_EEENSB_IJS8_SA_EEENS0_18inequality_wrapperIZN2at6native12_GLOBAL__N_124unique_dim_cuda_templateIN3c104HalfEEESt5tupleIJNSF_6TensorESM_SM_EERKSM_lbbbEUlllE0_EEPmJS9_EEE10hipError_tPvRmT3_T4_T5_T6_T7_T9_mT8_P12ihipStream_tbDpT10_ENKUlT_T0_E_clISt17integral_constantIbLb1EES1B_IbLb0EEEEDaS17_S18_EUlS17_E_NS1_11comp_targetILNS1_3genE5ELNS1_11target_archE942ELNS1_3gpuE9ELNS1_3repE0EEENS1_30default_config_static_selectorELNS0_4arch9wavefront6targetE0EEEvT1_,comdat
	.globl	_ZN7rocprim17ROCPRIM_400000_NS6detail17trampoline_kernelINS0_14default_configENS1_25partition_config_selectorILNS1_17partition_subalgoE9EllbEEZZNS1_14partition_implILS5_9ELb0ES3_jPlS8_PNS0_10empty_typeENS0_5tupleIJS8_S9_EEENSB_IJS8_SA_EEENS0_18inequality_wrapperIZN2at6native12_GLOBAL__N_124unique_dim_cuda_templateIN3c104HalfEEESt5tupleIJNSF_6TensorESM_SM_EERKSM_lbbbEUlllE0_EEPmJS9_EEE10hipError_tPvRmT3_T4_T5_T6_T7_T9_mT8_P12ihipStream_tbDpT10_ENKUlT_T0_E_clISt17integral_constantIbLb1EES1B_IbLb0EEEEDaS17_S18_EUlS17_E_NS1_11comp_targetILNS1_3genE5ELNS1_11target_archE942ELNS1_3gpuE9ELNS1_3repE0EEENS1_30default_config_static_selectorELNS0_4arch9wavefront6targetE0EEEvT1_ ; -- Begin function _ZN7rocprim17ROCPRIM_400000_NS6detail17trampoline_kernelINS0_14default_configENS1_25partition_config_selectorILNS1_17partition_subalgoE9EllbEEZZNS1_14partition_implILS5_9ELb0ES3_jPlS8_PNS0_10empty_typeENS0_5tupleIJS8_S9_EEENSB_IJS8_SA_EEENS0_18inequality_wrapperIZN2at6native12_GLOBAL__N_124unique_dim_cuda_templateIN3c104HalfEEESt5tupleIJNSF_6TensorESM_SM_EERKSM_lbbbEUlllE0_EEPmJS9_EEE10hipError_tPvRmT3_T4_T5_T6_T7_T9_mT8_P12ihipStream_tbDpT10_ENKUlT_T0_E_clISt17integral_constantIbLb1EES1B_IbLb0EEEEDaS17_S18_EUlS17_E_NS1_11comp_targetILNS1_3genE5ELNS1_11target_archE942ELNS1_3gpuE9ELNS1_3repE0EEENS1_30default_config_static_selectorELNS0_4arch9wavefront6targetE0EEEvT1_
	.p2align	8
	.type	_ZN7rocprim17ROCPRIM_400000_NS6detail17trampoline_kernelINS0_14default_configENS1_25partition_config_selectorILNS1_17partition_subalgoE9EllbEEZZNS1_14partition_implILS5_9ELb0ES3_jPlS8_PNS0_10empty_typeENS0_5tupleIJS8_S9_EEENSB_IJS8_SA_EEENS0_18inequality_wrapperIZN2at6native12_GLOBAL__N_124unique_dim_cuda_templateIN3c104HalfEEESt5tupleIJNSF_6TensorESM_SM_EERKSM_lbbbEUlllE0_EEPmJS9_EEE10hipError_tPvRmT3_T4_T5_T6_T7_T9_mT8_P12ihipStream_tbDpT10_ENKUlT_T0_E_clISt17integral_constantIbLb1EES1B_IbLb0EEEEDaS17_S18_EUlS17_E_NS1_11comp_targetILNS1_3genE5ELNS1_11target_archE942ELNS1_3gpuE9ELNS1_3repE0EEENS1_30default_config_static_selectorELNS0_4arch9wavefront6targetE0EEEvT1_,@function
_ZN7rocprim17ROCPRIM_400000_NS6detail17trampoline_kernelINS0_14default_configENS1_25partition_config_selectorILNS1_17partition_subalgoE9EllbEEZZNS1_14partition_implILS5_9ELb0ES3_jPlS8_PNS0_10empty_typeENS0_5tupleIJS8_S9_EEENSB_IJS8_SA_EEENS0_18inequality_wrapperIZN2at6native12_GLOBAL__N_124unique_dim_cuda_templateIN3c104HalfEEESt5tupleIJNSF_6TensorESM_SM_EERKSM_lbbbEUlllE0_EEPmJS9_EEE10hipError_tPvRmT3_T4_T5_T6_T7_T9_mT8_P12ihipStream_tbDpT10_ENKUlT_T0_E_clISt17integral_constantIbLb1EES1B_IbLb0EEEEDaS17_S18_EUlS17_E_NS1_11comp_targetILNS1_3genE5ELNS1_11target_archE942ELNS1_3gpuE9ELNS1_3repE0EEENS1_30default_config_static_selectorELNS0_4arch9wavefront6targetE0EEEvT1_: ; @_ZN7rocprim17ROCPRIM_400000_NS6detail17trampoline_kernelINS0_14default_configENS1_25partition_config_selectorILNS1_17partition_subalgoE9EllbEEZZNS1_14partition_implILS5_9ELb0ES3_jPlS8_PNS0_10empty_typeENS0_5tupleIJS8_S9_EEENSB_IJS8_SA_EEENS0_18inequality_wrapperIZN2at6native12_GLOBAL__N_124unique_dim_cuda_templateIN3c104HalfEEESt5tupleIJNSF_6TensorESM_SM_EERKSM_lbbbEUlllE0_EEPmJS9_EEE10hipError_tPvRmT3_T4_T5_T6_T7_T9_mT8_P12ihipStream_tbDpT10_ENKUlT_T0_E_clISt17integral_constantIbLb1EES1B_IbLb0EEEEDaS17_S18_EUlS17_E_NS1_11comp_targetILNS1_3genE5ELNS1_11target_archE942ELNS1_3gpuE9ELNS1_3repE0EEENS1_30default_config_static_selectorELNS0_4arch9wavefront6targetE0EEEvT1_
; %bb.0:
	.section	.rodata,"a",@progbits
	.p2align	6, 0x0
	.amdhsa_kernel _ZN7rocprim17ROCPRIM_400000_NS6detail17trampoline_kernelINS0_14default_configENS1_25partition_config_selectorILNS1_17partition_subalgoE9EllbEEZZNS1_14partition_implILS5_9ELb0ES3_jPlS8_PNS0_10empty_typeENS0_5tupleIJS8_S9_EEENSB_IJS8_SA_EEENS0_18inequality_wrapperIZN2at6native12_GLOBAL__N_124unique_dim_cuda_templateIN3c104HalfEEESt5tupleIJNSF_6TensorESM_SM_EERKSM_lbbbEUlllE0_EEPmJS9_EEE10hipError_tPvRmT3_T4_T5_T6_T7_T9_mT8_P12ihipStream_tbDpT10_ENKUlT_T0_E_clISt17integral_constantIbLb1EES1B_IbLb0EEEEDaS17_S18_EUlS17_E_NS1_11comp_targetILNS1_3genE5ELNS1_11target_archE942ELNS1_3gpuE9ELNS1_3repE0EEENS1_30default_config_static_selectorELNS0_4arch9wavefront6targetE0EEEvT1_
		.amdhsa_group_segment_fixed_size 0
		.amdhsa_private_segment_fixed_size 0
		.amdhsa_kernarg_size 120
		.amdhsa_user_sgpr_count 15
		.amdhsa_user_sgpr_dispatch_ptr 0
		.amdhsa_user_sgpr_queue_ptr 0
		.amdhsa_user_sgpr_kernarg_segment_ptr 1
		.amdhsa_user_sgpr_dispatch_id 0
		.amdhsa_user_sgpr_private_segment_size 0
		.amdhsa_wavefront_size32 1
		.amdhsa_uses_dynamic_stack 0
		.amdhsa_enable_private_segment 0
		.amdhsa_system_sgpr_workgroup_id_x 1
		.amdhsa_system_sgpr_workgroup_id_y 0
		.amdhsa_system_sgpr_workgroup_id_z 0
		.amdhsa_system_sgpr_workgroup_info 0
		.amdhsa_system_vgpr_workitem_id 0
		.amdhsa_next_free_vgpr 1
		.amdhsa_next_free_sgpr 1
		.amdhsa_reserve_vcc 0
		.amdhsa_float_round_mode_32 0
		.amdhsa_float_round_mode_16_64 0
		.amdhsa_float_denorm_mode_32 3
		.amdhsa_float_denorm_mode_16_64 3
		.amdhsa_dx10_clamp 1
		.amdhsa_ieee_mode 1
		.amdhsa_fp16_overflow 0
		.amdhsa_workgroup_processor_mode 1
		.amdhsa_memory_ordered 1
		.amdhsa_forward_progress 0
		.amdhsa_shared_vgpr_count 0
		.amdhsa_exception_fp_ieee_invalid_op 0
		.amdhsa_exception_fp_denorm_src 0
		.amdhsa_exception_fp_ieee_div_zero 0
		.amdhsa_exception_fp_ieee_overflow 0
		.amdhsa_exception_fp_ieee_underflow 0
		.amdhsa_exception_fp_ieee_inexact 0
		.amdhsa_exception_int_div_zero 0
	.end_amdhsa_kernel
	.section	.text._ZN7rocprim17ROCPRIM_400000_NS6detail17trampoline_kernelINS0_14default_configENS1_25partition_config_selectorILNS1_17partition_subalgoE9EllbEEZZNS1_14partition_implILS5_9ELb0ES3_jPlS8_PNS0_10empty_typeENS0_5tupleIJS8_S9_EEENSB_IJS8_SA_EEENS0_18inequality_wrapperIZN2at6native12_GLOBAL__N_124unique_dim_cuda_templateIN3c104HalfEEESt5tupleIJNSF_6TensorESM_SM_EERKSM_lbbbEUlllE0_EEPmJS9_EEE10hipError_tPvRmT3_T4_T5_T6_T7_T9_mT8_P12ihipStream_tbDpT10_ENKUlT_T0_E_clISt17integral_constantIbLb1EES1B_IbLb0EEEEDaS17_S18_EUlS17_E_NS1_11comp_targetILNS1_3genE5ELNS1_11target_archE942ELNS1_3gpuE9ELNS1_3repE0EEENS1_30default_config_static_selectorELNS0_4arch9wavefront6targetE0EEEvT1_,"axG",@progbits,_ZN7rocprim17ROCPRIM_400000_NS6detail17trampoline_kernelINS0_14default_configENS1_25partition_config_selectorILNS1_17partition_subalgoE9EllbEEZZNS1_14partition_implILS5_9ELb0ES3_jPlS8_PNS0_10empty_typeENS0_5tupleIJS8_S9_EEENSB_IJS8_SA_EEENS0_18inequality_wrapperIZN2at6native12_GLOBAL__N_124unique_dim_cuda_templateIN3c104HalfEEESt5tupleIJNSF_6TensorESM_SM_EERKSM_lbbbEUlllE0_EEPmJS9_EEE10hipError_tPvRmT3_T4_T5_T6_T7_T9_mT8_P12ihipStream_tbDpT10_ENKUlT_T0_E_clISt17integral_constantIbLb1EES1B_IbLb0EEEEDaS17_S18_EUlS17_E_NS1_11comp_targetILNS1_3genE5ELNS1_11target_archE942ELNS1_3gpuE9ELNS1_3repE0EEENS1_30default_config_static_selectorELNS0_4arch9wavefront6targetE0EEEvT1_,comdat
.Lfunc_end1344:
	.size	_ZN7rocprim17ROCPRIM_400000_NS6detail17trampoline_kernelINS0_14default_configENS1_25partition_config_selectorILNS1_17partition_subalgoE9EllbEEZZNS1_14partition_implILS5_9ELb0ES3_jPlS8_PNS0_10empty_typeENS0_5tupleIJS8_S9_EEENSB_IJS8_SA_EEENS0_18inequality_wrapperIZN2at6native12_GLOBAL__N_124unique_dim_cuda_templateIN3c104HalfEEESt5tupleIJNSF_6TensorESM_SM_EERKSM_lbbbEUlllE0_EEPmJS9_EEE10hipError_tPvRmT3_T4_T5_T6_T7_T9_mT8_P12ihipStream_tbDpT10_ENKUlT_T0_E_clISt17integral_constantIbLb1EES1B_IbLb0EEEEDaS17_S18_EUlS17_E_NS1_11comp_targetILNS1_3genE5ELNS1_11target_archE942ELNS1_3gpuE9ELNS1_3repE0EEENS1_30default_config_static_selectorELNS0_4arch9wavefront6targetE0EEEvT1_, .Lfunc_end1344-_ZN7rocprim17ROCPRIM_400000_NS6detail17trampoline_kernelINS0_14default_configENS1_25partition_config_selectorILNS1_17partition_subalgoE9EllbEEZZNS1_14partition_implILS5_9ELb0ES3_jPlS8_PNS0_10empty_typeENS0_5tupleIJS8_S9_EEENSB_IJS8_SA_EEENS0_18inequality_wrapperIZN2at6native12_GLOBAL__N_124unique_dim_cuda_templateIN3c104HalfEEESt5tupleIJNSF_6TensorESM_SM_EERKSM_lbbbEUlllE0_EEPmJS9_EEE10hipError_tPvRmT3_T4_T5_T6_T7_T9_mT8_P12ihipStream_tbDpT10_ENKUlT_T0_E_clISt17integral_constantIbLb1EES1B_IbLb0EEEEDaS17_S18_EUlS17_E_NS1_11comp_targetILNS1_3genE5ELNS1_11target_archE942ELNS1_3gpuE9ELNS1_3repE0EEENS1_30default_config_static_selectorELNS0_4arch9wavefront6targetE0EEEvT1_
                                        ; -- End function
	.section	.AMDGPU.csdata,"",@progbits
; Kernel info:
; codeLenInByte = 0
; NumSgprs: 0
; NumVgprs: 0
; ScratchSize: 0
; MemoryBound: 0
; FloatMode: 240
; IeeeMode: 1
; LDSByteSize: 0 bytes/workgroup (compile time only)
; SGPRBlocks: 0
; VGPRBlocks: 0
; NumSGPRsForWavesPerEU: 1
; NumVGPRsForWavesPerEU: 1
; Occupancy: 16
; WaveLimiterHint : 0
; COMPUTE_PGM_RSRC2:SCRATCH_EN: 0
; COMPUTE_PGM_RSRC2:USER_SGPR: 15
; COMPUTE_PGM_RSRC2:TRAP_HANDLER: 0
; COMPUTE_PGM_RSRC2:TGID_X_EN: 1
; COMPUTE_PGM_RSRC2:TGID_Y_EN: 0
; COMPUTE_PGM_RSRC2:TGID_Z_EN: 0
; COMPUTE_PGM_RSRC2:TIDIG_COMP_CNT: 0
	.section	.text._ZN7rocprim17ROCPRIM_400000_NS6detail17trampoline_kernelINS0_14default_configENS1_25partition_config_selectorILNS1_17partition_subalgoE9EllbEEZZNS1_14partition_implILS5_9ELb0ES3_jPlS8_PNS0_10empty_typeENS0_5tupleIJS8_S9_EEENSB_IJS8_SA_EEENS0_18inequality_wrapperIZN2at6native12_GLOBAL__N_124unique_dim_cuda_templateIN3c104HalfEEESt5tupleIJNSF_6TensorESM_SM_EERKSM_lbbbEUlllE0_EEPmJS9_EEE10hipError_tPvRmT3_T4_T5_T6_T7_T9_mT8_P12ihipStream_tbDpT10_ENKUlT_T0_E_clISt17integral_constantIbLb1EES1B_IbLb0EEEEDaS17_S18_EUlS17_E_NS1_11comp_targetILNS1_3genE4ELNS1_11target_archE910ELNS1_3gpuE8ELNS1_3repE0EEENS1_30default_config_static_selectorELNS0_4arch9wavefront6targetE0EEEvT1_,"axG",@progbits,_ZN7rocprim17ROCPRIM_400000_NS6detail17trampoline_kernelINS0_14default_configENS1_25partition_config_selectorILNS1_17partition_subalgoE9EllbEEZZNS1_14partition_implILS5_9ELb0ES3_jPlS8_PNS0_10empty_typeENS0_5tupleIJS8_S9_EEENSB_IJS8_SA_EEENS0_18inequality_wrapperIZN2at6native12_GLOBAL__N_124unique_dim_cuda_templateIN3c104HalfEEESt5tupleIJNSF_6TensorESM_SM_EERKSM_lbbbEUlllE0_EEPmJS9_EEE10hipError_tPvRmT3_T4_T5_T6_T7_T9_mT8_P12ihipStream_tbDpT10_ENKUlT_T0_E_clISt17integral_constantIbLb1EES1B_IbLb0EEEEDaS17_S18_EUlS17_E_NS1_11comp_targetILNS1_3genE4ELNS1_11target_archE910ELNS1_3gpuE8ELNS1_3repE0EEENS1_30default_config_static_selectorELNS0_4arch9wavefront6targetE0EEEvT1_,comdat
	.globl	_ZN7rocprim17ROCPRIM_400000_NS6detail17trampoline_kernelINS0_14default_configENS1_25partition_config_selectorILNS1_17partition_subalgoE9EllbEEZZNS1_14partition_implILS5_9ELb0ES3_jPlS8_PNS0_10empty_typeENS0_5tupleIJS8_S9_EEENSB_IJS8_SA_EEENS0_18inequality_wrapperIZN2at6native12_GLOBAL__N_124unique_dim_cuda_templateIN3c104HalfEEESt5tupleIJNSF_6TensorESM_SM_EERKSM_lbbbEUlllE0_EEPmJS9_EEE10hipError_tPvRmT3_T4_T5_T6_T7_T9_mT8_P12ihipStream_tbDpT10_ENKUlT_T0_E_clISt17integral_constantIbLb1EES1B_IbLb0EEEEDaS17_S18_EUlS17_E_NS1_11comp_targetILNS1_3genE4ELNS1_11target_archE910ELNS1_3gpuE8ELNS1_3repE0EEENS1_30default_config_static_selectorELNS0_4arch9wavefront6targetE0EEEvT1_ ; -- Begin function _ZN7rocprim17ROCPRIM_400000_NS6detail17trampoline_kernelINS0_14default_configENS1_25partition_config_selectorILNS1_17partition_subalgoE9EllbEEZZNS1_14partition_implILS5_9ELb0ES3_jPlS8_PNS0_10empty_typeENS0_5tupleIJS8_S9_EEENSB_IJS8_SA_EEENS0_18inequality_wrapperIZN2at6native12_GLOBAL__N_124unique_dim_cuda_templateIN3c104HalfEEESt5tupleIJNSF_6TensorESM_SM_EERKSM_lbbbEUlllE0_EEPmJS9_EEE10hipError_tPvRmT3_T4_T5_T6_T7_T9_mT8_P12ihipStream_tbDpT10_ENKUlT_T0_E_clISt17integral_constantIbLb1EES1B_IbLb0EEEEDaS17_S18_EUlS17_E_NS1_11comp_targetILNS1_3genE4ELNS1_11target_archE910ELNS1_3gpuE8ELNS1_3repE0EEENS1_30default_config_static_selectorELNS0_4arch9wavefront6targetE0EEEvT1_
	.p2align	8
	.type	_ZN7rocprim17ROCPRIM_400000_NS6detail17trampoline_kernelINS0_14default_configENS1_25partition_config_selectorILNS1_17partition_subalgoE9EllbEEZZNS1_14partition_implILS5_9ELb0ES3_jPlS8_PNS0_10empty_typeENS0_5tupleIJS8_S9_EEENSB_IJS8_SA_EEENS0_18inequality_wrapperIZN2at6native12_GLOBAL__N_124unique_dim_cuda_templateIN3c104HalfEEESt5tupleIJNSF_6TensorESM_SM_EERKSM_lbbbEUlllE0_EEPmJS9_EEE10hipError_tPvRmT3_T4_T5_T6_T7_T9_mT8_P12ihipStream_tbDpT10_ENKUlT_T0_E_clISt17integral_constantIbLb1EES1B_IbLb0EEEEDaS17_S18_EUlS17_E_NS1_11comp_targetILNS1_3genE4ELNS1_11target_archE910ELNS1_3gpuE8ELNS1_3repE0EEENS1_30default_config_static_selectorELNS0_4arch9wavefront6targetE0EEEvT1_,@function
_ZN7rocprim17ROCPRIM_400000_NS6detail17trampoline_kernelINS0_14default_configENS1_25partition_config_selectorILNS1_17partition_subalgoE9EllbEEZZNS1_14partition_implILS5_9ELb0ES3_jPlS8_PNS0_10empty_typeENS0_5tupleIJS8_S9_EEENSB_IJS8_SA_EEENS0_18inequality_wrapperIZN2at6native12_GLOBAL__N_124unique_dim_cuda_templateIN3c104HalfEEESt5tupleIJNSF_6TensorESM_SM_EERKSM_lbbbEUlllE0_EEPmJS9_EEE10hipError_tPvRmT3_T4_T5_T6_T7_T9_mT8_P12ihipStream_tbDpT10_ENKUlT_T0_E_clISt17integral_constantIbLb1EES1B_IbLb0EEEEDaS17_S18_EUlS17_E_NS1_11comp_targetILNS1_3genE4ELNS1_11target_archE910ELNS1_3gpuE8ELNS1_3repE0EEENS1_30default_config_static_selectorELNS0_4arch9wavefront6targetE0EEEvT1_: ; @_ZN7rocprim17ROCPRIM_400000_NS6detail17trampoline_kernelINS0_14default_configENS1_25partition_config_selectorILNS1_17partition_subalgoE9EllbEEZZNS1_14partition_implILS5_9ELb0ES3_jPlS8_PNS0_10empty_typeENS0_5tupleIJS8_S9_EEENSB_IJS8_SA_EEENS0_18inequality_wrapperIZN2at6native12_GLOBAL__N_124unique_dim_cuda_templateIN3c104HalfEEESt5tupleIJNSF_6TensorESM_SM_EERKSM_lbbbEUlllE0_EEPmJS9_EEE10hipError_tPvRmT3_T4_T5_T6_T7_T9_mT8_P12ihipStream_tbDpT10_ENKUlT_T0_E_clISt17integral_constantIbLb1EES1B_IbLb0EEEEDaS17_S18_EUlS17_E_NS1_11comp_targetILNS1_3genE4ELNS1_11target_archE910ELNS1_3gpuE8ELNS1_3repE0EEENS1_30default_config_static_selectorELNS0_4arch9wavefront6targetE0EEEvT1_
; %bb.0:
	.section	.rodata,"a",@progbits
	.p2align	6, 0x0
	.amdhsa_kernel _ZN7rocprim17ROCPRIM_400000_NS6detail17trampoline_kernelINS0_14default_configENS1_25partition_config_selectorILNS1_17partition_subalgoE9EllbEEZZNS1_14partition_implILS5_9ELb0ES3_jPlS8_PNS0_10empty_typeENS0_5tupleIJS8_S9_EEENSB_IJS8_SA_EEENS0_18inequality_wrapperIZN2at6native12_GLOBAL__N_124unique_dim_cuda_templateIN3c104HalfEEESt5tupleIJNSF_6TensorESM_SM_EERKSM_lbbbEUlllE0_EEPmJS9_EEE10hipError_tPvRmT3_T4_T5_T6_T7_T9_mT8_P12ihipStream_tbDpT10_ENKUlT_T0_E_clISt17integral_constantIbLb1EES1B_IbLb0EEEEDaS17_S18_EUlS17_E_NS1_11comp_targetILNS1_3genE4ELNS1_11target_archE910ELNS1_3gpuE8ELNS1_3repE0EEENS1_30default_config_static_selectorELNS0_4arch9wavefront6targetE0EEEvT1_
		.amdhsa_group_segment_fixed_size 0
		.amdhsa_private_segment_fixed_size 0
		.amdhsa_kernarg_size 120
		.amdhsa_user_sgpr_count 15
		.amdhsa_user_sgpr_dispatch_ptr 0
		.amdhsa_user_sgpr_queue_ptr 0
		.amdhsa_user_sgpr_kernarg_segment_ptr 1
		.amdhsa_user_sgpr_dispatch_id 0
		.amdhsa_user_sgpr_private_segment_size 0
		.amdhsa_wavefront_size32 1
		.amdhsa_uses_dynamic_stack 0
		.amdhsa_enable_private_segment 0
		.amdhsa_system_sgpr_workgroup_id_x 1
		.amdhsa_system_sgpr_workgroup_id_y 0
		.amdhsa_system_sgpr_workgroup_id_z 0
		.amdhsa_system_sgpr_workgroup_info 0
		.amdhsa_system_vgpr_workitem_id 0
		.amdhsa_next_free_vgpr 1
		.amdhsa_next_free_sgpr 1
		.amdhsa_reserve_vcc 0
		.amdhsa_float_round_mode_32 0
		.amdhsa_float_round_mode_16_64 0
		.amdhsa_float_denorm_mode_32 3
		.amdhsa_float_denorm_mode_16_64 3
		.amdhsa_dx10_clamp 1
		.amdhsa_ieee_mode 1
		.amdhsa_fp16_overflow 0
		.amdhsa_workgroup_processor_mode 1
		.amdhsa_memory_ordered 1
		.amdhsa_forward_progress 0
		.amdhsa_shared_vgpr_count 0
		.amdhsa_exception_fp_ieee_invalid_op 0
		.amdhsa_exception_fp_denorm_src 0
		.amdhsa_exception_fp_ieee_div_zero 0
		.amdhsa_exception_fp_ieee_overflow 0
		.amdhsa_exception_fp_ieee_underflow 0
		.amdhsa_exception_fp_ieee_inexact 0
		.amdhsa_exception_int_div_zero 0
	.end_amdhsa_kernel
	.section	.text._ZN7rocprim17ROCPRIM_400000_NS6detail17trampoline_kernelINS0_14default_configENS1_25partition_config_selectorILNS1_17partition_subalgoE9EllbEEZZNS1_14partition_implILS5_9ELb0ES3_jPlS8_PNS0_10empty_typeENS0_5tupleIJS8_S9_EEENSB_IJS8_SA_EEENS0_18inequality_wrapperIZN2at6native12_GLOBAL__N_124unique_dim_cuda_templateIN3c104HalfEEESt5tupleIJNSF_6TensorESM_SM_EERKSM_lbbbEUlllE0_EEPmJS9_EEE10hipError_tPvRmT3_T4_T5_T6_T7_T9_mT8_P12ihipStream_tbDpT10_ENKUlT_T0_E_clISt17integral_constantIbLb1EES1B_IbLb0EEEEDaS17_S18_EUlS17_E_NS1_11comp_targetILNS1_3genE4ELNS1_11target_archE910ELNS1_3gpuE8ELNS1_3repE0EEENS1_30default_config_static_selectorELNS0_4arch9wavefront6targetE0EEEvT1_,"axG",@progbits,_ZN7rocprim17ROCPRIM_400000_NS6detail17trampoline_kernelINS0_14default_configENS1_25partition_config_selectorILNS1_17partition_subalgoE9EllbEEZZNS1_14partition_implILS5_9ELb0ES3_jPlS8_PNS0_10empty_typeENS0_5tupleIJS8_S9_EEENSB_IJS8_SA_EEENS0_18inequality_wrapperIZN2at6native12_GLOBAL__N_124unique_dim_cuda_templateIN3c104HalfEEESt5tupleIJNSF_6TensorESM_SM_EERKSM_lbbbEUlllE0_EEPmJS9_EEE10hipError_tPvRmT3_T4_T5_T6_T7_T9_mT8_P12ihipStream_tbDpT10_ENKUlT_T0_E_clISt17integral_constantIbLb1EES1B_IbLb0EEEEDaS17_S18_EUlS17_E_NS1_11comp_targetILNS1_3genE4ELNS1_11target_archE910ELNS1_3gpuE8ELNS1_3repE0EEENS1_30default_config_static_selectorELNS0_4arch9wavefront6targetE0EEEvT1_,comdat
.Lfunc_end1345:
	.size	_ZN7rocprim17ROCPRIM_400000_NS6detail17trampoline_kernelINS0_14default_configENS1_25partition_config_selectorILNS1_17partition_subalgoE9EllbEEZZNS1_14partition_implILS5_9ELb0ES3_jPlS8_PNS0_10empty_typeENS0_5tupleIJS8_S9_EEENSB_IJS8_SA_EEENS0_18inequality_wrapperIZN2at6native12_GLOBAL__N_124unique_dim_cuda_templateIN3c104HalfEEESt5tupleIJNSF_6TensorESM_SM_EERKSM_lbbbEUlllE0_EEPmJS9_EEE10hipError_tPvRmT3_T4_T5_T6_T7_T9_mT8_P12ihipStream_tbDpT10_ENKUlT_T0_E_clISt17integral_constantIbLb1EES1B_IbLb0EEEEDaS17_S18_EUlS17_E_NS1_11comp_targetILNS1_3genE4ELNS1_11target_archE910ELNS1_3gpuE8ELNS1_3repE0EEENS1_30default_config_static_selectorELNS0_4arch9wavefront6targetE0EEEvT1_, .Lfunc_end1345-_ZN7rocprim17ROCPRIM_400000_NS6detail17trampoline_kernelINS0_14default_configENS1_25partition_config_selectorILNS1_17partition_subalgoE9EllbEEZZNS1_14partition_implILS5_9ELb0ES3_jPlS8_PNS0_10empty_typeENS0_5tupleIJS8_S9_EEENSB_IJS8_SA_EEENS0_18inequality_wrapperIZN2at6native12_GLOBAL__N_124unique_dim_cuda_templateIN3c104HalfEEESt5tupleIJNSF_6TensorESM_SM_EERKSM_lbbbEUlllE0_EEPmJS9_EEE10hipError_tPvRmT3_T4_T5_T6_T7_T9_mT8_P12ihipStream_tbDpT10_ENKUlT_T0_E_clISt17integral_constantIbLb1EES1B_IbLb0EEEEDaS17_S18_EUlS17_E_NS1_11comp_targetILNS1_3genE4ELNS1_11target_archE910ELNS1_3gpuE8ELNS1_3repE0EEENS1_30default_config_static_selectorELNS0_4arch9wavefront6targetE0EEEvT1_
                                        ; -- End function
	.section	.AMDGPU.csdata,"",@progbits
; Kernel info:
; codeLenInByte = 0
; NumSgprs: 0
; NumVgprs: 0
; ScratchSize: 0
; MemoryBound: 0
; FloatMode: 240
; IeeeMode: 1
; LDSByteSize: 0 bytes/workgroup (compile time only)
; SGPRBlocks: 0
; VGPRBlocks: 0
; NumSGPRsForWavesPerEU: 1
; NumVGPRsForWavesPerEU: 1
; Occupancy: 16
; WaveLimiterHint : 0
; COMPUTE_PGM_RSRC2:SCRATCH_EN: 0
; COMPUTE_PGM_RSRC2:USER_SGPR: 15
; COMPUTE_PGM_RSRC2:TRAP_HANDLER: 0
; COMPUTE_PGM_RSRC2:TGID_X_EN: 1
; COMPUTE_PGM_RSRC2:TGID_Y_EN: 0
; COMPUTE_PGM_RSRC2:TGID_Z_EN: 0
; COMPUTE_PGM_RSRC2:TIDIG_COMP_CNT: 0
	.section	.text._ZN7rocprim17ROCPRIM_400000_NS6detail17trampoline_kernelINS0_14default_configENS1_25partition_config_selectorILNS1_17partition_subalgoE9EllbEEZZNS1_14partition_implILS5_9ELb0ES3_jPlS8_PNS0_10empty_typeENS0_5tupleIJS8_S9_EEENSB_IJS8_SA_EEENS0_18inequality_wrapperIZN2at6native12_GLOBAL__N_124unique_dim_cuda_templateIN3c104HalfEEESt5tupleIJNSF_6TensorESM_SM_EERKSM_lbbbEUlllE0_EEPmJS9_EEE10hipError_tPvRmT3_T4_T5_T6_T7_T9_mT8_P12ihipStream_tbDpT10_ENKUlT_T0_E_clISt17integral_constantIbLb1EES1B_IbLb0EEEEDaS17_S18_EUlS17_E_NS1_11comp_targetILNS1_3genE3ELNS1_11target_archE908ELNS1_3gpuE7ELNS1_3repE0EEENS1_30default_config_static_selectorELNS0_4arch9wavefront6targetE0EEEvT1_,"axG",@progbits,_ZN7rocprim17ROCPRIM_400000_NS6detail17trampoline_kernelINS0_14default_configENS1_25partition_config_selectorILNS1_17partition_subalgoE9EllbEEZZNS1_14partition_implILS5_9ELb0ES3_jPlS8_PNS0_10empty_typeENS0_5tupleIJS8_S9_EEENSB_IJS8_SA_EEENS0_18inequality_wrapperIZN2at6native12_GLOBAL__N_124unique_dim_cuda_templateIN3c104HalfEEESt5tupleIJNSF_6TensorESM_SM_EERKSM_lbbbEUlllE0_EEPmJS9_EEE10hipError_tPvRmT3_T4_T5_T6_T7_T9_mT8_P12ihipStream_tbDpT10_ENKUlT_T0_E_clISt17integral_constantIbLb1EES1B_IbLb0EEEEDaS17_S18_EUlS17_E_NS1_11comp_targetILNS1_3genE3ELNS1_11target_archE908ELNS1_3gpuE7ELNS1_3repE0EEENS1_30default_config_static_selectorELNS0_4arch9wavefront6targetE0EEEvT1_,comdat
	.globl	_ZN7rocprim17ROCPRIM_400000_NS6detail17trampoline_kernelINS0_14default_configENS1_25partition_config_selectorILNS1_17partition_subalgoE9EllbEEZZNS1_14partition_implILS5_9ELb0ES3_jPlS8_PNS0_10empty_typeENS0_5tupleIJS8_S9_EEENSB_IJS8_SA_EEENS0_18inequality_wrapperIZN2at6native12_GLOBAL__N_124unique_dim_cuda_templateIN3c104HalfEEESt5tupleIJNSF_6TensorESM_SM_EERKSM_lbbbEUlllE0_EEPmJS9_EEE10hipError_tPvRmT3_T4_T5_T6_T7_T9_mT8_P12ihipStream_tbDpT10_ENKUlT_T0_E_clISt17integral_constantIbLb1EES1B_IbLb0EEEEDaS17_S18_EUlS17_E_NS1_11comp_targetILNS1_3genE3ELNS1_11target_archE908ELNS1_3gpuE7ELNS1_3repE0EEENS1_30default_config_static_selectorELNS0_4arch9wavefront6targetE0EEEvT1_ ; -- Begin function _ZN7rocprim17ROCPRIM_400000_NS6detail17trampoline_kernelINS0_14default_configENS1_25partition_config_selectorILNS1_17partition_subalgoE9EllbEEZZNS1_14partition_implILS5_9ELb0ES3_jPlS8_PNS0_10empty_typeENS0_5tupleIJS8_S9_EEENSB_IJS8_SA_EEENS0_18inequality_wrapperIZN2at6native12_GLOBAL__N_124unique_dim_cuda_templateIN3c104HalfEEESt5tupleIJNSF_6TensorESM_SM_EERKSM_lbbbEUlllE0_EEPmJS9_EEE10hipError_tPvRmT3_T4_T5_T6_T7_T9_mT8_P12ihipStream_tbDpT10_ENKUlT_T0_E_clISt17integral_constantIbLb1EES1B_IbLb0EEEEDaS17_S18_EUlS17_E_NS1_11comp_targetILNS1_3genE3ELNS1_11target_archE908ELNS1_3gpuE7ELNS1_3repE0EEENS1_30default_config_static_selectorELNS0_4arch9wavefront6targetE0EEEvT1_
	.p2align	8
	.type	_ZN7rocprim17ROCPRIM_400000_NS6detail17trampoline_kernelINS0_14default_configENS1_25partition_config_selectorILNS1_17partition_subalgoE9EllbEEZZNS1_14partition_implILS5_9ELb0ES3_jPlS8_PNS0_10empty_typeENS0_5tupleIJS8_S9_EEENSB_IJS8_SA_EEENS0_18inequality_wrapperIZN2at6native12_GLOBAL__N_124unique_dim_cuda_templateIN3c104HalfEEESt5tupleIJNSF_6TensorESM_SM_EERKSM_lbbbEUlllE0_EEPmJS9_EEE10hipError_tPvRmT3_T4_T5_T6_T7_T9_mT8_P12ihipStream_tbDpT10_ENKUlT_T0_E_clISt17integral_constantIbLb1EES1B_IbLb0EEEEDaS17_S18_EUlS17_E_NS1_11comp_targetILNS1_3genE3ELNS1_11target_archE908ELNS1_3gpuE7ELNS1_3repE0EEENS1_30default_config_static_selectorELNS0_4arch9wavefront6targetE0EEEvT1_,@function
_ZN7rocprim17ROCPRIM_400000_NS6detail17trampoline_kernelINS0_14default_configENS1_25partition_config_selectorILNS1_17partition_subalgoE9EllbEEZZNS1_14partition_implILS5_9ELb0ES3_jPlS8_PNS0_10empty_typeENS0_5tupleIJS8_S9_EEENSB_IJS8_SA_EEENS0_18inequality_wrapperIZN2at6native12_GLOBAL__N_124unique_dim_cuda_templateIN3c104HalfEEESt5tupleIJNSF_6TensorESM_SM_EERKSM_lbbbEUlllE0_EEPmJS9_EEE10hipError_tPvRmT3_T4_T5_T6_T7_T9_mT8_P12ihipStream_tbDpT10_ENKUlT_T0_E_clISt17integral_constantIbLb1EES1B_IbLb0EEEEDaS17_S18_EUlS17_E_NS1_11comp_targetILNS1_3genE3ELNS1_11target_archE908ELNS1_3gpuE7ELNS1_3repE0EEENS1_30default_config_static_selectorELNS0_4arch9wavefront6targetE0EEEvT1_: ; @_ZN7rocprim17ROCPRIM_400000_NS6detail17trampoline_kernelINS0_14default_configENS1_25partition_config_selectorILNS1_17partition_subalgoE9EllbEEZZNS1_14partition_implILS5_9ELb0ES3_jPlS8_PNS0_10empty_typeENS0_5tupleIJS8_S9_EEENSB_IJS8_SA_EEENS0_18inequality_wrapperIZN2at6native12_GLOBAL__N_124unique_dim_cuda_templateIN3c104HalfEEESt5tupleIJNSF_6TensorESM_SM_EERKSM_lbbbEUlllE0_EEPmJS9_EEE10hipError_tPvRmT3_T4_T5_T6_T7_T9_mT8_P12ihipStream_tbDpT10_ENKUlT_T0_E_clISt17integral_constantIbLb1EES1B_IbLb0EEEEDaS17_S18_EUlS17_E_NS1_11comp_targetILNS1_3genE3ELNS1_11target_archE908ELNS1_3gpuE7ELNS1_3repE0EEENS1_30default_config_static_selectorELNS0_4arch9wavefront6targetE0EEEvT1_
; %bb.0:
	.section	.rodata,"a",@progbits
	.p2align	6, 0x0
	.amdhsa_kernel _ZN7rocprim17ROCPRIM_400000_NS6detail17trampoline_kernelINS0_14default_configENS1_25partition_config_selectorILNS1_17partition_subalgoE9EllbEEZZNS1_14partition_implILS5_9ELb0ES3_jPlS8_PNS0_10empty_typeENS0_5tupleIJS8_S9_EEENSB_IJS8_SA_EEENS0_18inequality_wrapperIZN2at6native12_GLOBAL__N_124unique_dim_cuda_templateIN3c104HalfEEESt5tupleIJNSF_6TensorESM_SM_EERKSM_lbbbEUlllE0_EEPmJS9_EEE10hipError_tPvRmT3_T4_T5_T6_T7_T9_mT8_P12ihipStream_tbDpT10_ENKUlT_T0_E_clISt17integral_constantIbLb1EES1B_IbLb0EEEEDaS17_S18_EUlS17_E_NS1_11comp_targetILNS1_3genE3ELNS1_11target_archE908ELNS1_3gpuE7ELNS1_3repE0EEENS1_30default_config_static_selectorELNS0_4arch9wavefront6targetE0EEEvT1_
		.amdhsa_group_segment_fixed_size 0
		.amdhsa_private_segment_fixed_size 0
		.amdhsa_kernarg_size 120
		.amdhsa_user_sgpr_count 15
		.amdhsa_user_sgpr_dispatch_ptr 0
		.amdhsa_user_sgpr_queue_ptr 0
		.amdhsa_user_sgpr_kernarg_segment_ptr 1
		.amdhsa_user_sgpr_dispatch_id 0
		.amdhsa_user_sgpr_private_segment_size 0
		.amdhsa_wavefront_size32 1
		.amdhsa_uses_dynamic_stack 0
		.amdhsa_enable_private_segment 0
		.amdhsa_system_sgpr_workgroup_id_x 1
		.amdhsa_system_sgpr_workgroup_id_y 0
		.amdhsa_system_sgpr_workgroup_id_z 0
		.amdhsa_system_sgpr_workgroup_info 0
		.amdhsa_system_vgpr_workitem_id 0
		.amdhsa_next_free_vgpr 1
		.amdhsa_next_free_sgpr 1
		.amdhsa_reserve_vcc 0
		.amdhsa_float_round_mode_32 0
		.amdhsa_float_round_mode_16_64 0
		.amdhsa_float_denorm_mode_32 3
		.amdhsa_float_denorm_mode_16_64 3
		.amdhsa_dx10_clamp 1
		.amdhsa_ieee_mode 1
		.amdhsa_fp16_overflow 0
		.amdhsa_workgroup_processor_mode 1
		.amdhsa_memory_ordered 1
		.amdhsa_forward_progress 0
		.amdhsa_shared_vgpr_count 0
		.amdhsa_exception_fp_ieee_invalid_op 0
		.amdhsa_exception_fp_denorm_src 0
		.amdhsa_exception_fp_ieee_div_zero 0
		.amdhsa_exception_fp_ieee_overflow 0
		.amdhsa_exception_fp_ieee_underflow 0
		.amdhsa_exception_fp_ieee_inexact 0
		.amdhsa_exception_int_div_zero 0
	.end_amdhsa_kernel
	.section	.text._ZN7rocprim17ROCPRIM_400000_NS6detail17trampoline_kernelINS0_14default_configENS1_25partition_config_selectorILNS1_17partition_subalgoE9EllbEEZZNS1_14partition_implILS5_9ELb0ES3_jPlS8_PNS0_10empty_typeENS0_5tupleIJS8_S9_EEENSB_IJS8_SA_EEENS0_18inequality_wrapperIZN2at6native12_GLOBAL__N_124unique_dim_cuda_templateIN3c104HalfEEESt5tupleIJNSF_6TensorESM_SM_EERKSM_lbbbEUlllE0_EEPmJS9_EEE10hipError_tPvRmT3_T4_T5_T6_T7_T9_mT8_P12ihipStream_tbDpT10_ENKUlT_T0_E_clISt17integral_constantIbLb1EES1B_IbLb0EEEEDaS17_S18_EUlS17_E_NS1_11comp_targetILNS1_3genE3ELNS1_11target_archE908ELNS1_3gpuE7ELNS1_3repE0EEENS1_30default_config_static_selectorELNS0_4arch9wavefront6targetE0EEEvT1_,"axG",@progbits,_ZN7rocprim17ROCPRIM_400000_NS6detail17trampoline_kernelINS0_14default_configENS1_25partition_config_selectorILNS1_17partition_subalgoE9EllbEEZZNS1_14partition_implILS5_9ELb0ES3_jPlS8_PNS0_10empty_typeENS0_5tupleIJS8_S9_EEENSB_IJS8_SA_EEENS0_18inequality_wrapperIZN2at6native12_GLOBAL__N_124unique_dim_cuda_templateIN3c104HalfEEESt5tupleIJNSF_6TensorESM_SM_EERKSM_lbbbEUlllE0_EEPmJS9_EEE10hipError_tPvRmT3_T4_T5_T6_T7_T9_mT8_P12ihipStream_tbDpT10_ENKUlT_T0_E_clISt17integral_constantIbLb1EES1B_IbLb0EEEEDaS17_S18_EUlS17_E_NS1_11comp_targetILNS1_3genE3ELNS1_11target_archE908ELNS1_3gpuE7ELNS1_3repE0EEENS1_30default_config_static_selectorELNS0_4arch9wavefront6targetE0EEEvT1_,comdat
.Lfunc_end1346:
	.size	_ZN7rocprim17ROCPRIM_400000_NS6detail17trampoline_kernelINS0_14default_configENS1_25partition_config_selectorILNS1_17partition_subalgoE9EllbEEZZNS1_14partition_implILS5_9ELb0ES3_jPlS8_PNS0_10empty_typeENS0_5tupleIJS8_S9_EEENSB_IJS8_SA_EEENS0_18inequality_wrapperIZN2at6native12_GLOBAL__N_124unique_dim_cuda_templateIN3c104HalfEEESt5tupleIJNSF_6TensorESM_SM_EERKSM_lbbbEUlllE0_EEPmJS9_EEE10hipError_tPvRmT3_T4_T5_T6_T7_T9_mT8_P12ihipStream_tbDpT10_ENKUlT_T0_E_clISt17integral_constantIbLb1EES1B_IbLb0EEEEDaS17_S18_EUlS17_E_NS1_11comp_targetILNS1_3genE3ELNS1_11target_archE908ELNS1_3gpuE7ELNS1_3repE0EEENS1_30default_config_static_selectorELNS0_4arch9wavefront6targetE0EEEvT1_, .Lfunc_end1346-_ZN7rocprim17ROCPRIM_400000_NS6detail17trampoline_kernelINS0_14default_configENS1_25partition_config_selectorILNS1_17partition_subalgoE9EllbEEZZNS1_14partition_implILS5_9ELb0ES3_jPlS8_PNS0_10empty_typeENS0_5tupleIJS8_S9_EEENSB_IJS8_SA_EEENS0_18inequality_wrapperIZN2at6native12_GLOBAL__N_124unique_dim_cuda_templateIN3c104HalfEEESt5tupleIJNSF_6TensorESM_SM_EERKSM_lbbbEUlllE0_EEPmJS9_EEE10hipError_tPvRmT3_T4_T5_T6_T7_T9_mT8_P12ihipStream_tbDpT10_ENKUlT_T0_E_clISt17integral_constantIbLb1EES1B_IbLb0EEEEDaS17_S18_EUlS17_E_NS1_11comp_targetILNS1_3genE3ELNS1_11target_archE908ELNS1_3gpuE7ELNS1_3repE0EEENS1_30default_config_static_selectorELNS0_4arch9wavefront6targetE0EEEvT1_
                                        ; -- End function
	.section	.AMDGPU.csdata,"",@progbits
; Kernel info:
; codeLenInByte = 0
; NumSgprs: 0
; NumVgprs: 0
; ScratchSize: 0
; MemoryBound: 0
; FloatMode: 240
; IeeeMode: 1
; LDSByteSize: 0 bytes/workgroup (compile time only)
; SGPRBlocks: 0
; VGPRBlocks: 0
; NumSGPRsForWavesPerEU: 1
; NumVGPRsForWavesPerEU: 1
; Occupancy: 16
; WaveLimiterHint : 0
; COMPUTE_PGM_RSRC2:SCRATCH_EN: 0
; COMPUTE_PGM_RSRC2:USER_SGPR: 15
; COMPUTE_PGM_RSRC2:TRAP_HANDLER: 0
; COMPUTE_PGM_RSRC2:TGID_X_EN: 1
; COMPUTE_PGM_RSRC2:TGID_Y_EN: 0
; COMPUTE_PGM_RSRC2:TGID_Z_EN: 0
; COMPUTE_PGM_RSRC2:TIDIG_COMP_CNT: 0
	.section	.text._ZN7rocprim17ROCPRIM_400000_NS6detail17trampoline_kernelINS0_14default_configENS1_25partition_config_selectorILNS1_17partition_subalgoE9EllbEEZZNS1_14partition_implILS5_9ELb0ES3_jPlS8_PNS0_10empty_typeENS0_5tupleIJS8_S9_EEENSB_IJS8_SA_EEENS0_18inequality_wrapperIZN2at6native12_GLOBAL__N_124unique_dim_cuda_templateIN3c104HalfEEESt5tupleIJNSF_6TensorESM_SM_EERKSM_lbbbEUlllE0_EEPmJS9_EEE10hipError_tPvRmT3_T4_T5_T6_T7_T9_mT8_P12ihipStream_tbDpT10_ENKUlT_T0_E_clISt17integral_constantIbLb1EES1B_IbLb0EEEEDaS17_S18_EUlS17_E_NS1_11comp_targetILNS1_3genE2ELNS1_11target_archE906ELNS1_3gpuE6ELNS1_3repE0EEENS1_30default_config_static_selectorELNS0_4arch9wavefront6targetE0EEEvT1_,"axG",@progbits,_ZN7rocprim17ROCPRIM_400000_NS6detail17trampoline_kernelINS0_14default_configENS1_25partition_config_selectorILNS1_17partition_subalgoE9EllbEEZZNS1_14partition_implILS5_9ELb0ES3_jPlS8_PNS0_10empty_typeENS0_5tupleIJS8_S9_EEENSB_IJS8_SA_EEENS0_18inequality_wrapperIZN2at6native12_GLOBAL__N_124unique_dim_cuda_templateIN3c104HalfEEESt5tupleIJNSF_6TensorESM_SM_EERKSM_lbbbEUlllE0_EEPmJS9_EEE10hipError_tPvRmT3_T4_T5_T6_T7_T9_mT8_P12ihipStream_tbDpT10_ENKUlT_T0_E_clISt17integral_constantIbLb1EES1B_IbLb0EEEEDaS17_S18_EUlS17_E_NS1_11comp_targetILNS1_3genE2ELNS1_11target_archE906ELNS1_3gpuE6ELNS1_3repE0EEENS1_30default_config_static_selectorELNS0_4arch9wavefront6targetE0EEEvT1_,comdat
	.globl	_ZN7rocprim17ROCPRIM_400000_NS6detail17trampoline_kernelINS0_14default_configENS1_25partition_config_selectorILNS1_17partition_subalgoE9EllbEEZZNS1_14partition_implILS5_9ELb0ES3_jPlS8_PNS0_10empty_typeENS0_5tupleIJS8_S9_EEENSB_IJS8_SA_EEENS0_18inequality_wrapperIZN2at6native12_GLOBAL__N_124unique_dim_cuda_templateIN3c104HalfEEESt5tupleIJNSF_6TensorESM_SM_EERKSM_lbbbEUlllE0_EEPmJS9_EEE10hipError_tPvRmT3_T4_T5_T6_T7_T9_mT8_P12ihipStream_tbDpT10_ENKUlT_T0_E_clISt17integral_constantIbLb1EES1B_IbLb0EEEEDaS17_S18_EUlS17_E_NS1_11comp_targetILNS1_3genE2ELNS1_11target_archE906ELNS1_3gpuE6ELNS1_3repE0EEENS1_30default_config_static_selectorELNS0_4arch9wavefront6targetE0EEEvT1_ ; -- Begin function _ZN7rocprim17ROCPRIM_400000_NS6detail17trampoline_kernelINS0_14default_configENS1_25partition_config_selectorILNS1_17partition_subalgoE9EllbEEZZNS1_14partition_implILS5_9ELb0ES3_jPlS8_PNS0_10empty_typeENS0_5tupleIJS8_S9_EEENSB_IJS8_SA_EEENS0_18inequality_wrapperIZN2at6native12_GLOBAL__N_124unique_dim_cuda_templateIN3c104HalfEEESt5tupleIJNSF_6TensorESM_SM_EERKSM_lbbbEUlllE0_EEPmJS9_EEE10hipError_tPvRmT3_T4_T5_T6_T7_T9_mT8_P12ihipStream_tbDpT10_ENKUlT_T0_E_clISt17integral_constantIbLb1EES1B_IbLb0EEEEDaS17_S18_EUlS17_E_NS1_11comp_targetILNS1_3genE2ELNS1_11target_archE906ELNS1_3gpuE6ELNS1_3repE0EEENS1_30default_config_static_selectorELNS0_4arch9wavefront6targetE0EEEvT1_
	.p2align	8
	.type	_ZN7rocprim17ROCPRIM_400000_NS6detail17trampoline_kernelINS0_14default_configENS1_25partition_config_selectorILNS1_17partition_subalgoE9EllbEEZZNS1_14partition_implILS5_9ELb0ES3_jPlS8_PNS0_10empty_typeENS0_5tupleIJS8_S9_EEENSB_IJS8_SA_EEENS0_18inequality_wrapperIZN2at6native12_GLOBAL__N_124unique_dim_cuda_templateIN3c104HalfEEESt5tupleIJNSF_6TensorESM_SM_EERKSM_lbbbEUlllE0_EEPmJS9_EEE10hipError_tPvRmT3_T4_T5_T6_T7_T9_mT8_P12ihipStream_tbDpT10_ENKUlT_T0_E_clISt17integral_constantIbLb1EES1B_IbLb0EEEEDaS17_S18_EUlS17_E_NS1_11comp_targetILNS1_3genE2ELNS1_11target_archE906ELNS1_3gpuE6ELNS1_3repE0EEENS1_30default_config_static_selectorELNS0_4arch9wavefront6targetE0EEEvT1_,@function
_ZN7rocprim17ROCPRIM_400000_NS6detail17trampoline_kernelINS0_14default_configENS1_25partition_config_selectorILNS1_17partition_subalgoE9EllbEEZZNS1_14partition_implILS5_9ELb0ES3_jPlS8_PNS0_10empty_typeENS0_5tupleIJS8_S9_EEENSB_IJS8_SA_EEENS0_18inequality_wrapperIZN2at6native12_GLOBAL__N_124unique_dim_cuda_templateIN3c104HalfEEESt5tupleIJNSF_6TensorESM_SM_EERKSM_lbbbEUlllE0_EEPmJS9_EEE10hipError_tPvRmT3_T4_T5_T6_T7_T9_mT8_P12ihipStream_tbDpT10_ENKUlT_T0_E_clISt17integral_constantIbLb1EES1B_IbLb0EEEEDaS17_S18_EUlS17_E_NS1_11comp_targetILNS1_3genE2ELNS1_11target_archE906ELNS1_3gpuE6ELNS1_3repE0EEENS1_30default_config_static_selectorELNS0_4arch9wavefront6targetE0EEEvT1_: ; @_ZN7rocprim17ROCPRIM_400000_NS6detail17trampoline_kernelINS0_14default_configENS1_25partition_config_selectorILNS1_17partition_subalgoE9EllbEEZZNS1_14partition_implILS5_9ELb0ES3_jPlS8_PNS0_10empty_typeENS0_5tupleIJS8_S9_EEENSB_IJS8_SA_EEENS0_18inequality_wrapperIZN2at6native12_GLOBAL__N_124unique_dim_cuda_templateIN3c104HalfEEESt5tupleIJNSF_6TensorESM_SM_EERKSM_lbbbEUlllE0_EEPmJS9_EEE10hipError_tPvRmT3_T4_T5_T6_T7_T9_mT8_P12ihipStream_tbDpT10_ENKUlT_T0_E_clISt17integral_constantIbLb1EES1B_IbLb0EEEEDaS17_S18_EUlS17_E_NS1_11comp_targetILNS1_3genE2ELNS1_11target_archE906ELNS1_3gpuE6ELNS1_3repE0EEENS1_30default_config_static_selectorELNS0_4arch9wavefront6targetE0EEEvT1_
; %bb.0:
	.section	.rodata,"a",@progbits
	.p2align	6, 0x0
	.amdhsa_kernel _ZN7rocprim17ROCPRIM_400000_NS6detail17trampoline_kernelINS0_14default_configENS1_25partition_config_selectorILNS1_17partition_subalgoE9EllbEEZZNS1_14partition_implILS5_9ELb0ES3_jPlS8_PNS0_10empty_typeENS0_5tupleIJS8_S9_EEENSB_IJS8_SA_EEENS0_18inequality_wrapperIZN2at6native12_GLOBAL__N_124unique_dim_cuda_templateIN3c104HalfEEESt5tupleIJNSF_6TensorESM_SM_EERKSM_lbbbEUlllE0_EEPmJS9_EEE10hipError_tPvRmT3_T4_T5_T6_T7_T9_mT8_P12ihipStream_tbDpT10_ENKUlT_T0_E_clISt17integral_constantIbLb1EES1B_IbLb0EEEEDaS17_S18_EUlS17_E_NS1_11comp_targetILNS1_3genE2ELNS1_11target_archE906ELNS1_3gpuE6ELNS1_3repE0EEENS1_30default_config_static_selectorELNS0_4arch9wavefront6targetE0EEEvT1_
		.amdhsa_group_segment_fixed_size 0
		.amdhsa_private_segment_fixed_size 0
		.amdhsa_kernarg_size 120
		.amdhsa_user_sgpr_count 15
		.amdhsa_user_sgpr_dispatch_ptr 0
		.amdhsa_user_sgpr_queue_ptr 0
		.amdhsa_user_sgpr_kernarg_segment_ptr 1
		.amdhsa_user_sgpr_dispatch_id 0
		.amdhsa_user_sgpr_private_segment_size 0
		.amdhsa_wavefront_size32 1
		.amdhsa_uses_dynamic_stack 0
		.amdhsa_enable_private_segment 0
		.amdhsa_system_sgpr_workgroup_id_x 1
		.amdhsa_system_sgpr_workgroup_id_y 0
		.amdhsa_system_sgpr_workgroup_id_z 0
		.amdhsa_system_sgpr_workgroup_info 0
		.amdhsa_system_vgpr_workitem_id 0
		.amdhsa_next_free_vgpr 1
		.amdhsa_next_free_sgpr 1
		.amdhsa_reserve_vcc 0
		.amdhsa_float_round_mode_32 0
		.amdhsa_float_round_mode_16_64 0
		.amdhsa_float_denorm_mode_32 3
		.amdhsa_float_denorm_mode_16_64 3
		.amdhsa_dx10_clamp 1
		.amdhsa_ieee_mode 1
		.amdhsa_fp16_overflow 0
		.amdhsa_workgroup_processor_mode 1
		.amdhsa_memory_ordered 1
		.amdhsa_forward_progress 0
		.amdhsa_shared_vgpr_count 0
		.amdhsa_exception_fp_ieee_invalid_op 0
		.amdhsa_exception_fp_denorm_src 0
		.amdhsa_exception_fp_ieee_div_zero 0
		.amdhsa_exception_fp_ieee_overflow 0
		.amdhsa_exception_fp_ieee_underflow 0
		.amdhsa_exception_fp_ieee_inexact 0
		.amdhsa_exception_int_div_zero 0
	.end_amdhsa_kernel
	.section	.text._ZN7rocprim17ROCPRIM_400000_NS6detail17trampoline_kernelINS0_14default_configENS1_25partition_config_selectorILNS1_17partition_subalgoE9EllbEEZZNS1_14partition_implILS5_9ELb0ES3_jPlS8_PNS0_10empty_typeENS0_5tupleIJS8_S9_EEENSB_IJS8_SA_EEENS0_18inequality_wrapperIZN2at6native12_GLOBAL__N_124unique_dim_cuda_templateIN3c104HalfEEESt5tupleIJNSF_6TensorESM_SM_EERKSM_lbbbEUlllE0_EEPmJS9_EEE10hipError_tPvRmT3_T4_T5_T6_T7_T9_mT8_P12ihipStream_tbDpT10_ENKUlT_T0_E_clISt17integral_constantIbLb1EES1B_IbLb0EEEEDaS17_S18_EUlS17_E_NS1_11comp_targetILNS1_3genE2ELNS1_11target_archE906ELNS1_3gpuE6ELNS1_3repE0EEENS1_30default_config_static_selectorELNS0_4arch9wavefront6targetE0EEEvT1_,"axG",@progbits,_ZN7rocprim17ROCPRIM_400000_NS6detail17trampoline_kernelINS0_14default_configENS1_25partition_config_selectorILNS1_17partition_subalgoE9EllbEEZZNS1_14partition_implILS5_9ELb0ES3_jPlS8_PNS0_10empty_typeENS0_5tupleIJS8_S9_EEENSB_IJS8_SA_EEENS0_18inequality_wrapperIZN2at6native12_GLOBAL__N_124unique_dim_cuda_templateIN3c104HalfEEESt5tupleIJNSF_6TensorESM_SM_EERKSM_lbbbEUlllE0_EEPmJS9_EEE10hipError_tPvRmT3_T4_T5_T6_T7_T9_mT8_P12ihipStream_tbDpT10_ENKUlT_T0_E_clISt17integral_constantIbLb1EES1B_IbLb0EEEEDaS17_S18_EUlS17_E_NS1_11comp_targetILNS1_3genE2ELNS1_11target_archE906ELNS1_3gpuE6ELNS1_3repE0EEENS1_30default_config_static_selectorELNS0_4arch9wavefront6targetE0EEEvT1_,comdat
.Lfunc_end1347:
	.size	_ZN7rocprim17ROCPRIM_400000_NS6detail17trampoline_kernelINS0_14default_configENS1_25partition_config_selectorILNS1_17partition_subalgoE9EllbEEZZNS1_14partition_implILS5_9ELb0ES3_jPlS8_PNS0_10empty_typeENS0_5tupleIJS8_S9_EEENSB_IJS8_SA_EEENS0_18inequality_wrapperIZN2at6native12_GLOBAL__N_124unique_dim_cuda_templateIN3c104HalfEEESt5tupleIJNSF_6TensorESM_SM_EERKSM_lbbbEUlllE0_EEPmJS9_EEE10hipError_tPvRmT3_T4_T5_T6_T7_T9_mT8_P12ihipStream_tbDpT10_ENKUlT_T0_E_clISt17integral_constantIbLb1EES1B_IbLb0EEEEDaS17_S18_EUlS17_E_NS1_11comp_targetILNS1_3genE2ELNS1_11target_archE906ELNS1_3gpuE6ELNS1_3repE0EEENS1_30default_config_static_selectorELNS0_4arch9wavefront6targetE0EEEvT1_, .Lfunc_end1347-_ZN7rocprim17ROCPRIM_400000_NS6detail17trampoline_kernelINS0_14default_configENS1_25partition_config_selectorILNS1_17partition_subalgoE9EllbEEZZNS1_14partition_implILS5_9ELb0ES3_jPlS8_PNS0_10empty_typeENS0_5tupleIJS8_S9_EEENSB_IJS8_SA_EEENS0_18inequality_wrapperIZN2at6native12_GLOBAL__N_124unique_dim_cuda_templateIN3c104HalfEEESt5tupleIJNSF_6TensorESM_SM_EERKSM_lbbbEUlllE0_EEPmJS9_EEE10hipError_tPvRmT3_T4_T5_T6_T7_T9_mT8_P12ihipStream_tbDpT10_ENKUlT_T0_E_clISt17integral_constantIbLb1EES1B_IbLb0EEEEDaS17_S18_EUlS17_E_NS1_11comp_targetILNS1_3genE2ELNS1_11target_archE906ELNS1_3gpuE6ELNS1_3repE0EEENS1_30default_config_static_selectorELNS0_4arch9wavefront6targetE0EEEvT1_
                                        ; -- End function
	.section	.AMDGPU.csdata,"",@progbits
; Kernel info:
; codeLenInByte = 0
; NumSgprs: 0
; NumVgprs: 0
; ScratchSize: 0
; MemoryBound: 0
; FloatMode: 240
; IeeeMode: 1
; LDSByteSize: 0 bytes/workgroup (compile time only)
; SGPRBlocks: 0
; VGPRBlocks: 0
; NumSGPRsForWavesPerEU: 1
; NumVGPRsForWavesPerEU: 1
; Occupancy: 15
; WaveLimiterHint : 0
; COMPUTE_PGM_RSRC2:SCRATCH_EN: 0
; COMPUTE_PGM_RSRC2:USER_SGPR: 15
; COMPUTE_PGM_RSRC2:TRAP_HANDLER: 0
; COMPUTE_PGM_RSRC2:TGID_X_EN: 1
; COMPUTE_PGM_RSRC2:TGID_Y_EN: 0
; COMPUTE_PGM_RSRC2:TGID_Z_EN: 0
; COMPUTE_PGM_RSRC2:TIDIG_COMP_CNT: 0
	.section	.text._ZN7rocprim17ROCPRIM_400000_NS6detail17trampoline_kernelINS0_14default_configENS1_25partition_config_selectorILNS1_17partition_subalgoE9EllbEEZZNS1_14partition_implILS5_9ELb0ES3_jPlS8_PNS0_10empty_typeENS0_5tupleIJS8_S9_EEENSB_IJS8_SA_EEENS0_18inequality_wrapperIZN2at6native12_GLOBAL__N_124unique_dim_cuda_templateIN3c104HalfEEESt5tupleIJNSF_6TensorESM_SM_EERKSM_lbbbEUlllE0_EEPmJS9_EEE10hipError_tPvRmT3_T4_T5_T6_T7_T9_mT8_P12ihipStream_tbDpT10_ENKUlT_T0_E_clISt17integral_constantIbLb1EES1B_IbLb0EEEEDaS17_S18_EUlS17_E_NS1_11comp_targetILNS1_3genE10ELNS1_11target_archE1200ELNS1_3gpuE4ELNS1_3repE0EEENS1_30default_config_static_selectorELNS0_4arch9wavefront6targetE0EEEvT1_,"axG",@progbits,_ZN7rocprim17ROCPRIM_400000_NS6detail17trampoline_kernelINS0_14default_configENS1_25partition_config_selectorILNS1_17partition_subalgoE9EllbEEZZNS1_14partition_implILS5_9ELb0ES3_jPlS8_PNS0_10empty_typeENS0_5tupleIJS8_S9_EEENSB_IJS8_SA_EEENS0_18inequality_wrapperIZN2at6native12_GLOBAL__N_124unique_dim_cuda_templateIN3c104HalfEEESt5tupleIJNSF_6TensorESM_SM_EERKSM_lbbbEUlllE0_EEPmJS9_EEE10hipError_tPvRmT3_T4_T5_T6_T7_T9_mT8_P12ihipStream_tbDpT10_ENKUlT_T0_E_clISt17integral_constantIbLb1EES1B_IbLb0EEEEDaS17_S18_EUlS17_E_NS1_11comp_targetILNS1_3genE10ELNS1_11target_archE1200ELNS1_3gpuE4ELNS1_3repE0EEENS1_30default_config_static_selectorELNS0_4arch9wavefront6targetE0EEEvT1_,comdat
	.globl	_ZN7rocprim17ROCPRIM_400000_NS6detail17trampoline_kernelINS0_14default_configENS1_25partition_config_selectorILNS1_17partition_subalgoE9EllbEEZZNS1_14partition_implILS5_9ELb0ES3_jPlS8_PNS0_10empty_typeENS0_5tupleIJS8_S9_EEENSB_IJS8_SA_EEENS0_18inequality_wrapperIZN2at6native12_GLOBAL__N_124unique_dim_cuda_templateIN3c104HalfEEESt5tupleIJNSF_6TensorESM_SM_EERKSM_lbbbEUlllE0_EEPmJS9_EEE10hipError_tPvRmT3_T4_T5_T6_T7_T9_mT8_P12ihipStream_tbDpT10_ENKUlT_T0_E_clISt17integral_constantIbLb1EES1B_IbLb0EEEEDaS17_S18_EUlS17_E_NS1_11comp_targetILNS1_3genE10ELNS1_11target_archE1200ELNS1_3gpuE4ELNS1_3repE0EEENS1_30default_config_static_selectorELNS0_4arch9wavefront6targetE0EEEvT1_ ; -- Begin function _ZN7rocprim17ROCPRIM_400000_NS6detail17trampoline_kernelINS0_14default_configENS1_25partition_config_selectorILNS1_17partition_subalgoE9EllbEEZZNS1_14partition_implILS5_9ELb0ES3_jPlS8_PNS0_10empty_typeENS0_5tupleIJS8_S9_EEENSB_IJS8_SA_EEENS0_18inequality_wrapperIZN2at6native12_GLOBAL__N_124unique_dim_cuda_templateIN3c104HalfEEESt5tupleIJNSF_6TensorESM_SM_EERKSM_lbbbEUlllE0_EEPmJS9_EEE10hipError_tPvRmT3_T4_T5_T6_T7_T9_mT8_P12ihipStream_tbDpT10_ENKUlT_T0_E_clISt17integral_constantIbLb1EES1B_IbLb0EEEEDaS17_S18_EUlS17_E_NS1_11comp_targetILNS1_3genE10ELNS1_11target_archE1200ELNS1_3gpuE4ELNS1_3repE0EEENS1_30default_config_static_selectorELNS0_4arch9wavefront6targetE0EEEvT1_
	.p2align	8
	.type	_ZN7rocprim17ROCPRIM_400000_NS6detail17trampoline_kernelINS0_14default_configENS1_25partition_config_selectorILNS1_17partition_subalgoE9EllbEEZZNS1_14partition_implILS5_9ELb0ES3_jPlS8_PNS0_10empty_typeENS0_5tupleIJS8_S9_EEENSB_IJS8_SA_EEENS0_18inequality_wrapperIZN2at6native12_GLOBAL__N_124unique_dim_cuda_templateIN3c104HalfEEESt5tupleIJNSF_6TensorESM_SM_EERKSM_lbbbEUlllE0_EEPmJS9_EEE10hipError_tPvRmT3_T4_T5_T6_T7_T9_mT8_P12ihipStream_tbDpT10_ENKUlT_T0_E_clISt17integral_constantIbLb1EES1B_IbLb0EEEEDaS17_S18_EUlS17_E_NS1_11comp_targetILNS1_3genE10ELNS1_11target_archE1200ELNS1_3gpuE4ELNS1_3repE0EEENS1_30default_config_static_selectorELNS0_4arch9wavefront6targetE0EEEvT1_,@function
_ZN7rocprim17ROCPRIM_400000_NS6detail17trampoline_kernelINS0_14default_configENS1_25partition_config_selectorILNS1_17partition_subalgoE9EllbEEZZNS1_14partition_implILS5_9ELb0ES3_jPlS8_PNS0_10empty_typeENS0_5tupleIJS8_S9_EEENSB_IJS8_SA_EEENS0_18inequality_wrapperIZN2at6native12_GLOBAL__N_124unique_dim_cuda_templateIN3c104HalfEEESt5tupleIJNSF_6TensorESM_SM_EERKSM_lbbbEUlllE0_EEPmJS9_EEE10hipError_tPvRmT3_T4_T5_T6_T7_T9_mT8_P12ihipStream_tbDpT10_ENKUlT_T0_E_clISt17integral_constantIbLb1EES1B_IbLb0EEEEDaS17_S18_EUlS17_E_NS1_11comp_targetILNS1_3genE10ELNS1_11target_archE1200ELNS1_3gpuE4ELNS1_3repE0EEENS1_30default_config_static_selectorELNS0_4arch9wavefront6targetE0EEEvT1_: ; @_ZN7rocprim17ROCPRIM_400000_NS6detail17trampoline_kernelINS0_14default_configENS1_25partition_config_selectorILNS1_17partition_subalgoE9EllbEEZZNS1_14partition_implILS5_9ELb0ES3_jPlS8_PNS0_10empty_typeENS0_5tupleIJS8_S9_EEENSB_IJS8_SA_EEENS0_18inequality_wrapperIZN2at6native12_GLOBAL__N_124unique_dim_cuda_templateIN3c104HalfEEESt5tupleIJNSF_6TensorESM_SM_EERKSM_lbbbEUlllE0_EEPmJS9_EEE10hipError_tPvRmT3_T4_T5_T6_T7_T9_mT8_P12ihipStream_tbDpT10_ENKUlT_T0_E_clISt17integral_constantIbLb1EES1B_IbLb0EEEEDaS17_S18_EUlS17_E_NS1_11comp_targetILNS1_3genE10ELNS1_11target_archE1200ELNS1_3gpuE4ELNS1_3repE0EEENS1_30default_config_static_selectorELNS0_4arch9wavefront6targetE0EEEvT1_
; %bb.0:
	.section	.rodata,"a",@progbits
	.p2align	6, 0x0
	.amdhsa_kernel _ZN7rocprim17ROCPRIM_400000_NS6detail17trampoline_kernelINS0_14default_configENS1_25partition_config_selectorILNS1_17partition_subalgoE9EllbEEZZNS1_14partition_implILS5_9ELb0ES3_jPlS8_PNS0_10empty_typeENS0_5tupleIJS8_S9_EEENSB_IJS8_SA_EEENS0_18inequality_wrapperIZN2at6native12_GLOBAL__N_124unique_dim_cuda_templateIN3c104HalfEEESt5tupleIJNSF_6TensorESM_SM_EERKSM_lbbbEUlllE0_EEPmJS9_EEE10hipError_tPvRmT3_T4_T5_T6_T7_T9_mT8_P12ihipStream_tbDpT10_ENKUlT_T0_E_clISt17integral_constantIbLb1EES1B_IbLb0EEEEDaS17_S18_EUlS17_E_NS1_11comp_targetILNS1_3genE10ELNS1_11target_archE1200ELNS1_3gpuE4ELNS1_3repE0EEENS1_30default_config_static_selectorELNS0_4arch9wavefront6targetE0EEEvT1_
		.amdhsa_group_segment_fixed_size 0
		.amdhsa_private_segment_fixed_size 0
		.amdhsa_kernarg_size 120
		.amdhsa_user_sgpr_count 15
		.amdhsa_user_sgpr_dispatch_ptr 0
		.amdhsa_user_sgpr_queue_ptr 0
		.amdhsa_user_sgpr_kernarg_segment_ptr 1
		.amdhsa_user_sgpr_dispatch_id 0
		.amdhsa_user_sgpr_private_segment_size 0
		.amdhsa_wavefront_size32 1
		.amdhsa_uses_dynamic_stack 0
		.amdhsa_enable_private_segment 0
		.amdhsa_system_sgpr_workgroup_id_x 1
		.amdhsa_system_sgpr_workgroup_id_y 0
		.amdhsa_system_sgpr_workgroup_id_z 0
		.amdhsa_system_sgpr_workgroup_info 0
		.amdhsa_system_vgpr_workitem_id 0
		.amdhsa_next_free_vgpr 1
		.amdhsa_next_free_sgpr 1
		.amdhsa_reserve_vcc 0
		.amdhsa_float_round_mode_32 0
		.amdhsa_float_round_mode_16_64 0
		.amdhsa_float_denorm_mode_32 3
		.amdhsa_float_denorm_mode_16_64 3
		.amdhsa_dx10_clamp 1
		.amdhsa_ieee_mode 1
		.amdhsa_fp16_overflow 0
		.amdhsa_workgroup_processor_mode 1
		.amdhsa_memory_ordered 1
		.amdhsa_forward_progress 0
		.amdhsa_shared_vgpr_count 0
		.amdhsa_exception_fp_ieee_invalid_op 0
		.amdhsa_exception_fp_denorm_src 0
		.amdhsa_exception_fp_ieee_div_zero 0
		.amdhsa_exception_fp_ieee_overflow 0
		.amdhsa_exception_fp_ieee_underflow 0
		.amdhsa_exception_fp_ieee_inexact 0
		.amdhsa_exception_int_div_zero 0
	.end_amdhsa_kernel
	.section	.text._ZN7rocprim17ROCPRIM_400000_NS6detail17trampoline_kernelINS0_14default_configENS1_25partition_config_selectorILNS1_17partition_subalgoE9EllbEEZZNS1_14partition_implILS5_9ELb0ES3_jPlS8_PNS0_10empty_typeENS0_5tupleIJS8_S9_EEENSB_IJS8_SA_EEENS0_18inequality_wrapperIZN2at6native12_GLOBAL__N_124unique_dim_cuda_templateIN3c104HalfEEESt5tupleIJNSF_6TensorESM_SM_EERKSM_lbbbEUlllE0_EEPmJS9_EEE10hipError_tPvRmT3_T4_T5_T6_T7_T9_mT8_P12ihipStream_tbDpT10_ENKUlT_T0_E_clISt17integral_constantIbLb1EES1B_IbLb0EEEEDaS17_S18_EUlS17_E_NS1_11comp_targetILNS1_3genE10ELNS1_11target_archE1200ELNS1_3gpuE4ELNS1_3repE0EEENS1_30default_config_static_selectorELNS0_4arch9wavefront6targetE0EEEvT1_,"axG",@progbits,_ZN7rocprim17ROCPRIM_400000_NS6detail17trampoline_kernelINS0_14default_configENS1_25partition_config_selectorILNS1_17partition_subalgoE9EllbEEZZNS1_14partition_implILS5_9ELb0ES3_jPlS8_PNS0_10empty_typeENS0_5tupleIJS8_S9_EEENSB_IJS8_SA_EEENS0_18inequality_wrapperIZN2at6native12_GLOBAL__N_124unique_dim_cuda_templateIN3c104HalfEEESt5tupleIJNSF_6TensorESM_SM_EERKSM_lbbbEUlllE0_EEPmJS9_EEE10hipError_tPvRmT3_T4_T5_T6_T7_T9_mT8_P12ihipStream_tbDpT10_ENKUlT_T0_E_clISt17integral_constantIbLb1EES1B_IbLb0EEEEDaS17_S18_EUlS17_E_NS1_11comp_targetILNS1_3genE10ELNS1_11target_archE1200ELNS1_3gpuE4ELNS1_3repE0EEENS1_30default_config_static_selectorELNS0_4arch9wavefront6targetE0EEEvT1_,comdat
.Lfunc_end1348:
	.size	_ZN7rocprim17ROCPRIM_400000_NS6detail17trampoline_kernelINS0_14default_configENS1_25partition_config_selectorILNS1_17partition_subalgoE9EllbEEZZNS1_14partition_implILS5_9ELb0ES3_jPlS8_PNS0_10empty_typeENS0_5tupleIJS8_S9_EEENSB_IJS8_SA_EEENS0_18inequality_wrapperIZN2at6native12_GLOBAL__N_124unique_dim_cuda_templateIN3c104HalfEEESt5tupleIJNSF_6TensorESM_SM_EERKSM_lbbbEUlllE0_EEPmJS9_EEE10hipError_tPvRmT3_T4_T5_T6_T7_T9_mT8_P12ihipStream_tbDpT10_ENKUlT_T0_E_clISt17integral_constantIbLb1EES1B_IbLb0EEEEDaS17_S18_EUlS17_E_NS1_11comp_targetILNS1_3genE10ELNS1_11target_archE1200ELNS1_3gpuE4ELNS1_3repE0EEENS1_30default_config_static_selectorELNS0_4arch9wavefront6targetE0EEEvT1_, .Lfunc_end1348-_ZN7rocprim17ROCPRIM_400000_NS6detail17trampoline_kernelINS0_14default_configENS1_25partition_config_selectorILNS1_17partition_subalgoE9EllbEEZZNS1_14partition_implILS5_9ELb0ES3_jPlS8_PNS0_10empty_typeENS0_5tupleIJS8_S9_EEENSB_IJS8_SA_EEENS0_18inequality_wrapperIZN2at6native12_GLOBAL__N_124unique_dim_cuda_templateIN3c104HalfEEESt5tupleIJNSF_6TensorESM_SM_EERKSM_lbbbEUlllE0_EEPmJS9_EEE10hipError_tPvRmT3_T4_T5_T6_T7_T9_mT8_P12ihipStream_tbDpT10_ENKUlT_T0_E_clISt17integral_constantIbLb1EES1B_IbLb0EEEEDaS17_S18_EUlS17_E_NS1_11comp_targetILNS1_3genE10ELNS1_11target_archE1200ELNS1_3gpuE4ELNS1_3repE0EEENS1_30default_config_static_selectorELNS0_4arch9wavefront6targetE0EEEvT1_
                                        ; -- End function
	.section	.AMDGPU.csdata,"",@progbits
; Kernel info:
; codeLenInByte = 0
; NumSgprs: 0
; NumVgprs: 0
; ScratchSize: 0
; MemoryBound: 0
; FloatMode: 240
; IeeeMode: 1
; LDSByteSize: 0 bytes/workgroup (compile time only)
; SGPRBlocks: 0
; VGPRBlocks: 0
; NumSGPRsForWavesPerEU: 1
; NumVGPRsForWavesPerEU: 1
; Occupancy: 15
; WaveLimiterHint : 0
; COMPUTE_PGM_RSRC2:SCRATCH_EN: 0
; COMPUTE_PGM_RSRC2:USER_SGPR: 15
; COMPUTE_PGM_RSRC2:TRAP_HANDLER: 0
; COMPUTE_PGM_RSRC2:TGID_X_EN: 1
; COMPUTE_PGM_RSRC2:TGID_Y_EN: 0
; COMPUTE_PGM_RSRC2:TGID_Z_EN: 0
; COMPUTE_PGM_RSRC2:TIDIG_COMP_CNT: 0
	.section	.text._ZN7rocprim17ROCPRIM_400000_NS6detail17trampoline_kernelINS0_14default_configENS1_25partition_config_selectorILNS1_17partition_subalgoE9EllbEEZZNS1_14partition_implILS5_9ELb0ES3_jPlS8_PNS0_10empty_typeENS0_5tupleIJS8_S9_EEENSB_IJS8_SA_EEENS0_18inequality_wrapperIZN2at6native12_GLOBAL__N_124unique_dim_cuda_templateIN3c104HalfEEESt5tupleIJNSF_6TensorESM_SM_EERKSM_lbbbEUlllE0_EEPmJS9_EEE10hipError_tPvRmT3_T4_T5_T6_T7_T9_mT8_P12ihipStream_tbDpT10_ENKUlT_T0_E_clISt17integral_constantIbLb1EES1B_IbLb0EEEEDaS17_S18_EUlS17_E_NS1_11comp_targetILNS1_3genE9ELNS1_11target_archE1100ELNS1_3gpuE3ELNS1_3repE0EEENS1_30default_config_static_selectorELNS0_4arch9wavefront6targetE0EEEvT1_,"axG",@progbits,_ZN7rocprim17ROCPRIM_400000_NS6detail17trampoline_kernelINS0_14default_configENS1_25partition_config_selectorILNS1_17partition_subalgoE9EllbEEZZNS1_14partition_implILS5_9ELb0ES3_jPlS8_PNS0_10empty_typeENS0_5tupleIJS8_S9_EEENSB_IJS8_SA_EEENS0_18inequality_wrapperIZN2at6native12_GLOBAL__N_124unique_dim_cuda_templateIN3c104HalfEEESt5tupleIJNSF_6TensorESM_SM_EERKSM_lbbbEUlllE0_EEPmJS9_EEE10hipError_tPvRmT3_T4_T5_T6_T7_T9_mT8_P12ihipStream_tbDpT10_ENKUlT_T0_E_clISt17integral_constantIbLb1EES1B_IbLb0EEEEDaS17_S18_EUlS17_E_NS1_11comp_targetILNS1_3genE9ELNS1_11target_archE1100ELNS1_3gpuE3ELNS1_3repE0EEENS1_30default_config_static_selectorELNS0_4arch9wavefront6targetE0EEEvT1_,comdat
	.globl	_ZN7rocprim17ROCPRIM_400000_NS6detail17trampoline_kernelINS0_14default_configENS1_25partition_config_selectorILNS1_17partition_subalgoE9EllbEEZZNS1_14partition_implILS5_9ELb0ES3_jPlS8_PNS0_10empty_typeENS0_5tupleIJS8_S9_EEENSB_IJS8_SA_EEENS0_18inequality_wrapperIZN2at6native12_GLOBAL__N_124unique_dim_cuda_templateIN3c104HalfEEESt5tupleIJNSF_6TensorESM_SM_EERKSM_lbbbEUlllE0_EEPmJS9_EEE10hipError_tPvRmT3_T4_T5_T6_T7_T9_mT8_P12ihipStream_tbDpT10_ENKUlT_T0_E_clISt17integral_constantIbLb1EES1B_IbLb0EEEEDaS17_S18_EUlS17_E_NS1_11comp_targetILNS1_3genE9ELNS1_11target_archE1100ELNS1_3gpuE3ELNS1_3repE0EEENS1_30default_config_static_selectorELNS0_4arch9wavefront6targetE0EEEvT1_ ; -- Begin function _ZN7rocprim17ROCPRIM_400000_NS6detail17trampoline_kernelINS0_14default_configENS1_25partition_config_selectorILNS1_17partition_subalgoE9EllbEEZZNS1_14partition_implILS5_9ELb0ES3_jPlS8_PNS0_10empty_typeENS0_5tupleIJS8_S9_EEENSB_IJS8_SA_EEENS0_18inequality_wrapperIZN2at6native12_GLOBAL__N_124unique_dim_cuda_templateIN3c104HalfEEESt5tupleIJNSF_6TensorESM_SM_EERKSM_lbbbEUlllE0_EEPmJS9_EEE10hipError_tPvRmT3_T4_T5_T6_T7_T9_mT8_P12ihipStream_tbDpT10_ENKUlT_T0_E_clISt17integral_constantIbLb1EES1B_IbLb0EEEEDaS17_S18_EUlS17_E_NS1_11comp_targetILNS1_3genE9ELNS1_11target_archE1100ELNS1_3gpuE3ELNS1_3repE0EEENS1_30default_config_static_selectorELNS0_4arch9wavefront6targetE0EEEvT1_
	.p2align	8
	.type	_ZN7rocprim17ROCPRIM_400000_NS6detail17trampoline_kernelINS0_14default_configENS1_25partition_config_selectorILNS1_17partition_subalgoE9EllbEEZZNS1_14partition_implILS5_9ELb0ES3_jPlS8_PNS0_10empty_typeENS0_5tupleIJS8_S9_EEENSB_IJS8_SA_EEENS0_18inequality_wrapperIZN2at6native12_GLOBAL__N_124unique_dim_cuda_templateIN3c104HalfEEESt5tupleIJNSF_6TensorESM_SM_EERKSM_lbbbEUlllE0_EEPmJS9_EEE10hipError_tPvRmT3_T4_T5_T6_T7_T9_mT8_P12ihipStream_tbDpT10_ENKUlT_T0_E_clISt17integral_constantIbLb1EES1B_IbLb0EEEEDaS17_S18_EUlS17_E_NS1_11comp_targetILNS1_3genE9ELNS1_11target_archE1100ELNS1_3gpuE3ELNS1_3repE0EEENS1_30default_config_static_selectorELNS0_4arch9wavefront6targetE0EEEvT1_,@function
_ZN7rocprim17ROCPRIM_400000_NS6detail17trampoline_kernelINS0_14default_configENS1_25partition_config_selectorILNS1_17partition_subalgoE9EllbEEZZNS1_14partition_implILS5_9ELb0ES3_jPlS8_PNS0_10empty_typeENS0_5tupleIJS8_S9_EEENSB_IJS8_SA_EEENS0_18inequality_wrapperIZN2at6native12_GLOBAL__N_124unique_dim_cuda_templateIN3c104HalfEEESt5tupleIJNSF_6TensorESM_SM_EERKSM_lbbbEUlllE0_EEPmJS9_EEE10hipError_tPvRmT3_T4_T5_T6_T7_T9_mT8_P12ihipStream_tbDpT10_ENKUlT_T0_E_clISt17integral_constantIbLb1EES1B_IbLb0EEEEDaS17_S18_EUlS17_E_NS1_11comp_targetILNS1_3genE9ELNS1_11target_archE1100ELNS1_3gpuE3ELNS1_3repE0EEENS1_30default_config_static_selectorELNS0_4arch9wavefront6targetE0EEEvT1_: ; @_ZN7rocprim17ROCPRIM_400000_NS6detail17trampoline_kernelINS0_14default_configENS1_25partition_config_selectorILNS1_17partition_subalgoE9EllbEEZZNS1_14partition_implILS5_9ELb0ES3_jPlS8_PNS0_10empty_typeENS0_5tupleIJS8_S9_EEENSB_IJS8_SA_EEENS0_18inequality_wrapperIZN2at6native12_GLOBAL__N_124unique_dim_cuda_templateIN3c104HalfEEESt5tupleIJNSF_6TensorESM_SM_EERKSM_lbbbEUlllE0_EEPmJS9_EEE10hipError_tPvRmT3_T4_T5_T6_T7_T9_mT8_P12ihipStream_tbDpT10_ENKUlT_T0_E_clISt17integral_constantIbLb1EES1B_IbLb0EEEEDaS17_S18_EUlS17_E_NS1_11comp_targetILNS1_3genE9ELNS1_11target_archE1100ELNS1_3gpuE3ELNS1_3repE0EEENS1_30default_config_static_selectorELNS0_4arch9wavefront6targetE0EEEvT1_
; %bb.0:
	s_clause 0x3
	s_load_b128 s[4:7], s[0:1], 0x8
	s_load_b32 s8, s[0:1], 0x70
	s_load_b256 s[16:23], s[0:1], 0x40
	s_load_b64 s[24:25], s[0:1], 0x18
	s_mov_b32 s3, 0
	v_lshlrev_b32_e32 v55, 3, v0
	v_lshrrev_b32_e32 v33, 2, v0
	v_or_b32_e32 v38, 0x200, v0
	v_or_b32_e32 v36, 0x400, v0
	;; [unrolled: 1-line block ×7, first 2 shown]
	s_waitcnt lgkmcnt(0)
	s_lshl_b64 s[26:27], s[6:7], 3
	s_delay_alu instid0(SALU_CYCLE_1)
	s_add_u32 s9, s4, s26
	s_addc_u32 s10, s5, s27
	s_add_i32 s11, s8, -1
	s_load_b64 s[12:13], s[18:19], 0x0
	s_lshl_b32 s4, s11, 12
	s_lshl_b32 s5, s8, 12
	s_add_i32 s4, s6, s4
	s_lshl_b32 s2, s15, 12
	s_sub_i32 s28, s20, s4
	s_add_u32 s4, s6, s5
	s_addc_u32 s5, s7, 0
	s_cmp_eq_u32 s15, s11
	v_cmp_ge_u64_e64 s4, s[4:5], s[20:21]
	s_cselect_b32 s14, -1, 0
	s_lshl_b64 s[18:19], s[2:3], 3
	s_mov_b32 s3, -1
	s_delay_alu instid0(VALU_DEP_1) | instskip(NEXT) | instid1(SALU_CYCLE_1)
	s_and_b32 s21, s14, s4
	s_xor_b32 s20, s21, -1
	s_add_u32 s4, s9, s18
	s_addc_u32 s5, s10, s19
	s_and_b32 vcc_lo, exec_lo, s20
	s_cbranch_vccz .LBB1349_2
; %bb.1:
	v_add_co_u32 v9, s2, s4, v55
	s_delay_alu instid0(VALU_DEP_1)
	v_add_co_ci_u32_e64 v10, null, s5, 0, s2
	global_load_b64 v[1:2], v55, s[4:5]
	v_add_co_u32 v3, vcc_lo, v9, 0x2000
	v_add_co_ci_u32_e32 v4, vcc_lo, 0, v10, vcc_lo
	v_add_co_u32 v5, vcc_lo, v9, 0x4000
	v_add_co_ci_u32_e32 v6, vcc_lo, 0, v10, vcc_lo
	v_add_co_u32 v7, vcc_lo, v9, 0x6000
	v_add_co_ci_u32_e32 v8, vcc_lo, 0, v10, vcc_lo
	v_add_co_u32 v9, vcc_lo, 0x7000, v9
	v_add_co_ci_u32_e32 v10, vcc_lo, 0, v10, vcc_lo
	s_clause 0x6
	global_load_b64 v[11:12], v[3:4], off offset:-4096
	global_load_b64 v[3:4], v[3:4], off
	global_load_b64 v[13:14], v[5:6], off offset:-4096
	global_load_b64 v[5:6], v[5:6], off
	;; [unrolled: 2-line block ×3, first 2 shown]
	global_load_b64 v[9:10], v[9:10], off
	v_lshrrev_b32_e32 v18, 2, v38
	v_lshrrev_b32_e32 v19, 2, v36
	;; [unrolled: 1-line block ×4, first 2 shown]
	v_and_b32_e32 v17, 0x78, v33
	v_lshrrev_b32_e32 v22, 2, v37
	v_lshrrev_b32_e32 v23, 2, v34
	;; [unrolled: 1-line block ×3, first 2 shown]
	v_and_b32_e32 v18, 0xf8, v18
	v_and_b32_e32 v19, 0x178, v19
	;; [unrolled: 1-line block ×4, first 2 shown]
	v_add_nc_u32_e32 v17, v17, v55
	v_and_b32_e32 v22, 0x2f8, v22
	v_and_b32_e32 v23, 0x378, v23
	;; [unrolled: 1-line block ×3, first 2 shown]
	v_add_nc_u32_e32 v18, v18, v55
	v_add_nc_u32_e32 v19, v19, v55
	;; [unrolled: 1-line block ×4, first 2 shown]
	s_mov_b32 s3, 0
	v_add_nc_u32_e32 v22, v22, v55
	v_add_nc_u32_e32 v23, v23, v55
	;; [unrolled: 1-line block ×3, first 2 shown]
	s_waitcnt vmcnt(7)
	ds_store_b64 v17, v[1:2]
	s_waitcnt vmcnt(6)
	ds_store_b64 v18, v[11:12] offset:4096
	s_waitcnt vmcnt(5)
	ds_store_b64 v19, v[3:4] offset:8192
	;; [unrolled: 2-line block ×7, first 2 shown]
	s_waitcnt lgkmcnt(0)
	s_barrier
.LBB1349_2:
	s_load_b128 s[8:11], s[0:1], 0x60
	v_cmp_gt_u32_e64 s2, s28, v0
	s_and_not1_b32 vcc_lo, exec_lo, s3
	s_cbranch_vccnz .LBB1349_20
; %bb.3:
                                        ; implicit-def: $vgpr1_vgpr2_vgpr3_vgpr4_vgpr5_vgpr6_vgpr7_vgpr8_vgpr9_vgpr10_vgpr11_vgpr12_vgpr13_vgpr14_vgpr15_vgpr16
	s_delay_alu instid0(VALU_DEP_1)
	s_and_saveexec_b32 s3, s2
	s_cbranch_execz .LBB1349_11
; %bb.4:
	global_load_b64 v[1:2], v55, s[4:5]
	s_or_b32 exec_lo, exec_lo, s3
	s_delay_alu instid0(SALU_CYCLE_1)
	s_mov_b32 s2, exec_lo
	v_cmpx_gt_u32_e64 s28, v38
	s_cbranch_execnz .LBB1349_12
.LBB1349_5:
	s_or_b32 exec_lo, exec_lo, s2
	s_delay_alu instid0(SALU_CYCLE_1)
	s_mov_b32 s2, exec_lo
	v_cmpx_gt_u32_e64 s28, v36
	s_cbranch_execz .LBB1349_13
.LBB1349_6:
	v_lshlrev_b32_e32 v5, 3, v36
	global_load_b64 v[5:6], v5, s[4:5]
	s_or_b32 exec_lo, exec_lo, s2
	s_delay_alu instid0(SALU_CYCLE_1)
	s_mov_b32 s2, exec_lo
	v_cmpx_gt_u32_e64 s28, v40
	s_cbranch_execnz .LBB1349_14
.LBB1349_7:
	s_or_b32 exec_lo, exec_lo, s2
	s_delay_alu instid0(SALU_CYCLE_1)
	s_mov_b32 s2, exec_lo
	v_cmpx_gt_u32_e64 s28, v39
	s_cbranch_execz .LBB1349_15
.LBB1349_8:
	v_lshlrev_b32_e32 v9, 3, v39
	global_load_b64 v[9:10], v9, s[4:5]
	s_or_b32 exec_lo, exec_lo, s2
	s_delay_alu instid0(SALU_CYCLE_1)
	s_mov_b32 s2, exec_lo
	v_cmpx_gt_u32_e64 s28, v37
	s_cbranch_execnz .LBB1349_16
.LBB1349_9:
	s_or_b32 exec_lo, exec_lo, s2
	s_delay_alu instid0(SALU_CYCLE_1)
	s_mov_b32 s2, exec_lo
	v_cmpx_gt_u32_e64 s28, v34
	s_cbranch_execz .LBB1349_17
.LBB1349_10:
	v_lshlrev_b32_e32 v13, 3, v34
	global_load_b64 v[13:14], v13, s[4:5]
	s_or_b32 exec_lo, exec_lo, s2
	s_delay_alu instid0(SALU_CYCLE_1)
	s_mov_b32 s2, exec_lo
	v_cmpx_gt_u32_e64 s28, v35
	s_cbranch_execnz .LBB1349_18
	s_branch .LBB1349_19
.LBB1349_11:
	s_or_b32 exec_lo, exec_lo, s3
	s_delay_alu instid0(SALU_CYCLE_1)
	s_mov_b32 s2, exec_lo
	v_cmpx_gt_u32_e64 s28, v38
	s_cbranch_execz .LBB1349_5
.LBB1349_12:
	v_lshlrev_b32_e32 v3, 3, v38
	global_load_b64 v[3:4], v3, s[4:5]
	s_or_b32 exec_lo, exec_lo, s2
	s_delay_alu instid0(SALU_CYCLE_1)
	s_mov_b32 s2, exec_lo
	v_cmpx_gt_u32_e64 s28, v36
	s_cbranch_execnz .LBB1349_6
.LBB1349_13:
	s_or_b32 exec_lo, exec_lo, s2
	s_delay_alu instid0(SALU_CYCLE_1)
	s_mov_b32 s2, exec_lo
	v_cmpx_gt_u32_e64 s28, v40
	s_cbranch_execz .LBB1349_7
.LBB1349_14:
	v_lshlrev_b32_e32 v7, 3, v40
	global_load_b64 v[7:8], v7, s[4:5]
	s_or_b32 exec_lo, exec_lo, s2
	s_delay_alu instid0(SALU_CYCLE_1)
	s_mov_b32 s2, exec_lo
	v_cmpx_gt_u32_e64 s28, v39
	s_cbranch_execnz .LBB1349_8
.LBB1349_15:
	s_or_b32 exec_lo, exec_lo, s2
	s_delay_alu instid0(SALU_CYCLE_1)
	s_mov_b32 s2, exec_lo
	v_cmpx_gt_u32_e64 s28, v37
	s_cbranch_execz .LBB1349_9
.LBB1349_16:
	v_lshlrev_b32_e32 v11, 3, v37
	global_load_b64 v[11:12], v11, s[4:5]
	s_or_b32 exec_lo, exec_lo, s2
	s_delay_alu instid0(SALU_CYCLE_1)
	s_mov_b32 s2, exec_lo
	v_cmpx_gt_u32_e64 s28, v34
	s_cbranch_execnz .LBB1349_10
.LBB1349_17:
	s_or_b32 exec_lo, exec_lo, s2
	s_delay_alu instid0(SALU_CYCLE_1)
	s_mov_b32 s2, exec_lo
	v_cmpx_gt_u32_e64 s28, v35
	s_cbranch_execz .LBB1349_19
.LBB1349_18:
	v_lshlrev_b32_e32 v15, 3, v35
	global_load_b64 v[15:16], v15, s[4:5]
.LBB1349_19:
	s_or_b32 exec_lo, exec_lo, s2
	v_lshrrev_b32_e32 v17, 2, v38
	v_lshrrev_b32_e32 v18, 2, v36
	;; [unrolled: 1-line block ×4, first 2 shown]
	v_and_b32_e32 v19, 0x78, v33
	v_lshrrev_b32_e32 v22, 2, v37
	v_lshrrev_b32_e32 v23, 2, v34
	;; [unrolled: 1-line block ×3, first 2 shown]
	v_and_b32_e32 v17, 0xf8, v17
	v_and_b32_e32 v18, 0x1f8, v18
	;; [unrolled: 1-line block ×4, first 2 shown]
	v_add_nc_u32_e32 v19, v19, v55
	v_and_b32_e32 v22, 0x3f8, v22
	v_and_b32_e32 v23, 0x3f8, v23
	v_and_b32_e32 v24, 0x3f8, v24
	v_add_nc_u32_e32 v17, v17, v55
	v_add_nc_u32_e32 v18, v18, v55
	v_add_nc_u32_e32 v20, v20, v55
	v_add_nc_u32_e32 v21, v21, v55
	v_add_nc_u32_e32 v22, v22, v55
	v_add_nc_u32_e32 v23, v23, v55
	v_add_nc_u32_e32 v24, v24, v55
	s_waitcnt vmcnt(0)
	ds_store_b64 v19, v[1:2]
	ds_store_b64 v17, v[3:4] offset:4096
	ds_store_b64 v18, v[5:6] offset:8192
	;; [unrolled: 1-line block ×7, first 2 shown]
	s_waitcnt lgkmcnt(0)
	s_barrier
.LBB1349_20:
	v_add_lshl_u32 v41, v33, v55, 3
	s_waitcnt lgkmcnt(0)
	buffer_gl0_inv
	s_add_u32 s2, s24, s26
	s_addc_u32 s3, s25, s27
	s_add_u32 s2, s2, s18
	ds_load_2addr_b64 v[29:32], v41 offset1:1
	ds_load_2addr_b64 v[25:28], v41 offset0:2 offset1:3
	ds_load_2addr_b64 v[21:24], v41 offset0:4 offset1:5
	;; [unrolled: 1-line block ×3, first 2 shown]
	s_addc_u32 s3, s3, s19
	s_and_b32 vcc_lo, exec_lo, s20
	s_mov_b32 s18, -1
	s_waitcnt lgkmcnt(0)
	s_barrier
	buffer_gl0_inv
	s_cbranch_vccz .LBB1349_22
; %bb.21:
	v_add_co_u32 v9, s18, s2, v55
	s_delay_alu instid0(VALU_DEP_1)
	v_add_co_ci_u32_e64 v10, null, s3, 0, s18
	global_load_b64 v[1:2], v55, s[2:3]
	v_add_co_u32 v3, vcc_lo, v9, 0x2000
	v_add_co_ci_u32_e32 v4, vcc_lo, 0, v10, vcc_lo
	v_add_co_u32 v5, vcc_lo, v9, 0x4000
	v_add_co_ci_u32_e32 v6, vcc_lo, 0, v10, vcc_lo
	;; [unrolled: 2-line block ×4, first 2 shown]
	s_clause 0x6
	global_load_b64 v[11:12], v[3:4], off offset:-4096
	global_load_b64 v[3:4], v[3:4], off
	global_load_b64 v[13:14], v[5:6], off offset:-4096
	global_load_b64 v[5:6], v[5:6], off
	;; [unrolled: 2-line block ×3, first 2 shown]
	global_load_b64 v[9:10], v[9:10], off
	v_lshrrev_b32_e32 v43, 2, v38
	v_lshrrev_b32_e32 v44, 2, v36
	;; [unrolled: 1-line block ×4, first 2 shown]
	v_and_b32_e32 v42, 0x78, v33
	v_lshrrev_b32_e32 v47, 2, v37
	v_lshrrev_b32_e32 v48, 2, v34
	;; [unrolled: 1-line block ×3, first 2 shown]
	v_and_b32_e32 v43, 0xf8, v43
	v_and_b32_e32 v44, 0x178, v44
	;; [unrolled: 1-line block ×4, first 2 shown]
	v_add_nc_u32_e32 v42, v42, v55
	v_and_b32_e32 v47, 0x2f8, v47
	v_and_b32_e32 v48, 0x378, v48
	;; [unrolled: 1-line block ×3, first 2 shown]
	v_add_nc_u32_e32 v43, v43, v55
	v_add_nc_u32_e32 v44, v44, v55
	;; [unrolled: 1-line block ×4, first 2 shown]
	s_mov_b32 s18, 0
	v_add_nc_u32_e32 v47, v47, v55
	v_add_nc_u32_e32 v48, v48, v55
	;; [unrolled: 1-line block ×3, first 2 shown]
	s_waitcnt vmcnt(7)
	ds_store_b64 v42, v[1:2]
	s_waitcnt vmcnt(6)
	ds_store_b64 v43, v[11:12] offset:4096
	s_waitcnt vmcnt(5)
	ds_store_b64 v44, v[3:4] offset:8192
	;; [unrolled: 2-line block ×7, first 2 shown]
	s_waitcnt lgkmcnt(0)
	s_barrier
.LBB1349_22:
	s_and_not1_b32 vcc_lo, exec_lo, s18
	s_cbranch_vccnz .LBB1349_40
; %bb.23:
	s_mov_b32 s18, exec_lo
                                        ; implicit-def: $vgpr1_vgpr2
	v_cmpx_gt_u32_e64 s28, v0
	s_cbranch_execz .LBB1349_25
; %bb.24:
	global_load_b64 v[1:2], v55, s[2:3]
.LBB1349_25:
	s_or_b32 exec_lo, exec_lo, s18
	s_delay_alu instid0(SALU_CYCLE_1)
	s_mov_b32 s18, exec_lo
                                        ; implicit-def: $vgpr3_vgpr4
	v_cmpx_gt_u32_e64 s28, v38
	s_cbranch_execz .LBB1349_27
; %bb.26:
	v_lshlrev_b32_e32 v3, 3, v38
	global_load_b64 v[3:4], v3, s[2:3]
.LBB1349_27:
	s_or_b32 exec_lo, exec_lo, s18
	s_delay_alu instid0(SALU_CYCLE_1)
	s_mov_b32 s18, exec_lo
                                        ; implicit-def: $vgpr5_vgpr6
	v_cmpx_gt_u32_e64 s28, v36
	s_cbranch_execz .LBB1349_29
; %bb.28:
	v_lshlrev_b32_e32 v5, 3, v36
	global_load_b64 v[5:6], v5, s[2:3]
.LBB1349_29:
	s_or_b32 exec_lo, exec_lo, s18
	s_delay_alu instid0(SALU_CYCLE_1)
	s_mov_b32 s18, exec_lo
                                        ; implicit-def: $vgpr7_vgpr8
	v_cmpx_gt_u32_e64 s28, v40
	s_cbranch_execz .LBB1349_31
; %bb.30:
	v_lshlrev_b32_e32 v7, 3, v40
	global_load_b64 v[7:8], v7, s[2:3]
.LBB1349_31:
	s_or_b32 exec_lo, exec_lo, s18
	s_delay_alu instid0(SALU_CYCLE_1)
	s_mov_b32 s18, exec_lo
                                        ; implicit-def: $vgpr9_vgpr10
	v_cmpx_gt_u32_e64 s28, v39
	s_cbranch_execz .LBB1349_33
; %bb.32:
	v_lshlrev_b32_e32 v9, 3, v39
	global_load_b64 v[9:10], v9, s[2:3]
.LBB1349_33:
	s_or_b32 exec_lo, exec_lo, s18
	s_delay_alu instid0(SALU_CYCLE_1)
	s_mov_b32 s18, exec_lo
                                        ; implicit-def: $vgpr11_vgpr12
	v_cmpx_gt_u32_e64 s28, v37
	s_cbranch_execz .LBB1349_35
; %bb.34:
	v_lshlrev_b32_e32 v11, 3, v37
	global_load_b64 v[11:12], v11, s[2:3]
.LBB1349_35:
	s_or_b32 exec_lo, exec_lo, s18
	s_delay_alu instid0(SALU_CYCLE_1)
	s_mov_b32 s18, exec_lo
                                        ; implicit-def: $vgpr13_vgpr14
	v_cmpx_gt_u32_e64 s28, v34
	s_cbranch_execz .LBB1349_37
; %bb.36:
	v_lshlrev_b32_e32 v13, 3, v34
	global_load_b64 v[13:14], v13, s[2:3]
.LBB1349_37:
	s_or_b32 exec_lo, exec_lo, s18
	s_delay_alu instid0(SALU_CYCLE_1)
	s_mov_b32 s18, exec_lo
                                        ; implicit-def: $vgpr15_vgpr16
	v_cmpx_gt_u32_e64 s28, v35
	s_cbranch_execz .LBB1349_39
; %bb.38:
	v_lshlrev_b32_e32 v15, 3, v35
	global_load_b64 v[15:16], v15, s[2:3]
.LBB1349_39:
	s_or_b32 exec_lo, exec_lo, s18
	v_lshrrev_b32_e32 v38, 2, v38
	v_lshrrev_b32_e32 v36, 2, v36
	;; [unrolled: 1-line block ×4, first 2 shown]
	v_and_b32_e32 v33, 0x78, v33
	v_lshrrev_b32_e32 v37, 2, v37
	v_lshrrev_b32_e32 v34, 2, v34
	;; [unrolled: 1-line block ×3, first 2 shown]
	v_and_b32_e32 v38, 0xf8, v38
	v_and_b32_e32 v36, 0x1f8, v36
	;; [unrolled: 1-line block ×4, first 2 shown]
	v_add_nc_u32_e32 v33, v33, v55
	v_and_b32_e32 v37, 0x3f8, v37
	v_and_b32_e32 v34, 0x3f8, v34
	v_and_b32_e32 v35, 0x3f8, v35
	v_add_nc_u32_e32 v38, v38, v55
	v_add_nc_u32_e32 v36, v36, v55
	;; [unrolled: 1-line block ×7, first 2 shown]
	s_waitcnt vmcnt(0)
	ds_store_b64 v33, v[1:2]
	ds_store_b64 v38, v[3:4] offset:4096
	ds_store_b64 v36, v[5:6] offset:8192
	;; [unrolled: 1-line block ×7, first 2 shown]
	s_waitcnt lgkmcnt(0)
	s_barrier
.LBB1349_40:
	buffer_gl0_inv
	ds_load_2addr_b64 v[13:16], v41 offset1:1
	ds_load_2addr_b64 v[9:12], v41 offset0:2 offset1:3
	ds_load_2addr_b64 v[5:8], v41 offset0:4 offset1:5
	;; [unrolled: 1-line block ×3, first 2 shown]
	s_cmp_lg_u32 s15, 0
	v_cmp_gt_i64_e64 s25, s[22:23], 0
	s_cselect_b32 s24, -1, 0
	s_cmp_lg_u64 s[6:7], 0
	s_mov_b32 s3, 0
	s_cselect_b32 s2, -1, 0
	s_waitcnt lgkmcnt(0)
	s_or_b32 s2, s24, s2
	s_barrier
	s_and_b32 vcc_lo, exec_lo, s2
	buffer_gl0_inv
	s_cbranch_vccz .LBB1349_49
; %bb.41:
	s_add_u32 s2, s4, -8
	s_addc_u32 s3, s5, -1
	v_cndmask_b32_e64 v41, 0, 1, s25
	s_load_b64 s[4:5], s[2:3], 0x0
	s_and_b32 vcc_lo, exec_lo, s20
	ds_store_b64 v55, v[19:20]
	v_cmp_ne_u32_e64 s2, 1, v41
	s_cbranch_vccz .LBB1349_50
; %bb.42:
	v_mul_lo_u32 v35, v18, s22
	v_mul_lo_u32 v36, v17, s23
	v_mad_u64_u32 v[33:34], null, v17, s22, 0
	s_mov_b32 s3, 0
	s_and_b32 vcc_lo, exec_lo, s2
	s_mov_b32 s26, 0
	s_delay_alu instid0(VALU_DEP_1) | instskip(NEXT) | instid1(VALU_DEP_1)
	v_add3_u32 v34, v34, v36, v35
	v_lshlrev_b64 v[33:34], 1, v[33:34]
	s_cbranch_vccnz .LBB1349_53
; %bb.43:
	v_mul_lo_u32 v37, v20, s22
	v_mul_lo_u32 v38, v19, s23
	v_mad_u64_u32 v[35:36], null, v19, s22, 0
	s_mov_b32 s26, -1
	s_mov_b32 s27, exec_lo
	s_delay_alu instid0(VALU_DEP_1) | instskip(SKIP_2) | instid1(VALU_DEP_3)
	v_add3_u32 v36, v36, v38, v37
	v_add_co_u32 v37, vcc_lo, s8, v33
	v_add_co_ci_u32_e32 v38, vcc_lo, s9, v34, vcc_lo
	v_lshlrev_b64 v[35:36], 1, v[35:36]
	s_delay_alu instid0(VALU_DEP_1) | instskip(NEXT) | instid1(VALU_DEP_2)
	v_add_co_u32 v35, vcc_lo, s8, v35
	v_add_co_ci_u32_e32 v36, vcc_lo, s9, v36, vcc_lo
	s_clause 0x1
	global_load_u16 v39, v[37:38], off
	global_load_u16 v40, v[35:36], off
	s_waitcnt vmcnt(0)
	v_cmpx_eq_f16_e32 v39, v40
	s_cbranch_execz .LBB1349_52
; %bb.44:
	v_add_co_u32 v35, vcc_lo, v35, 2
	v_add_co_ci_u32_e32 v36, vcc_lo, 0, v36, vcc_lo
	v_add_co_u32 v37, vcc_lo, v37, 2
	v_add_co_ci_u32_e32 v38, vcc_lo, 0, v38, vcc_lo
	s_add_u32 s6, s22, -1
	s_addc_u32 s7, s23, -1
	s_mov_b64 s[18:19], 0
	s_mov_b32 s26, 0
                                        ; implicit-def: $sgpr29
	s_set_inst_prefetch_distance 0x1
	s_branch .LBB1349_47
	.p2align	6
.LBB1349_45:                            ;   in Loop: Header=BB1349_47 Depth=1
	global_load_u16 v39, v[37:38], off
	global_load_u16 v40, v[35:36], off
	v_add_co_u32 v35, vcc_lo, v35, 2
	v_add_co_ci_u32_e32 v36, vcc_lo, 0, v36, vcc_lo
	v_add_co_u32 v37, s2, v37, 2
	s_delay_alu instid0(VALU_DEP_1)
	v_add_co_ci_u32_e64 v38, s2, 0, v38, s2
	s_add_u32 s18, s18, 1
	s_addc_u32 s19, s19, 0
	s_and_not1_b32 s2, s29, exec_lo
	s_waitcnt vmcnt(0)
	v_cmp_neq_f16_e32 vcc_lo, v39, v40
	s_and_b32 s29, vcc_lo, exec_lo
	s_delay_alu instid0(SALU_CYCLE_1)
	s_or_b32 s29, s2, s29
.LBB1349_46:                            ;   in Loop: Header=BB1349_47 Depth=1
	v_dual_mov_b32 v40, s19 :: v_dual_mov_b32 v39, s18
	s_and_b32 s2, exec_lo, s29
	s_delay_alu instid0(SALU_CYCLE_1) | instskip(NEXT) | instid1(SALU_CYCLE_1)
	s_or_b32 s26, s2, s26
	s_and_not1_b32 exec_lo, exec_lo, s26
	s_cbranch_execz .LBB1349_51
.LBB1349_47:                            ; =>This Inner Loop Header: Depth=1
	s_or_b32 s29, s29, exec_lo
	s_cmp_eq_u64 s[6:7], s[18:19]
	s_cbranch_scc0 .LBB1349_45
; %bb.48:                               ;   in Loop: Header=BB1349_47 Depth=1
	s_mov_b64 s[18:19], s[22:23]
                                        ; implicit-def: $vgpr35_vgpr36
                                        ; implicit-def: $vgpr37_vgpr38
	s_branch .LBB1349_46
.LBB1349_49:
                                        ; implicit-def: $sgpr2
                                        ; implicit-def: $vgpr34
	s_branch .LBB1349_211
.LBB1349_50:
                                        ; implicit-def: $sgpr2
                                        ; implicit-def: $vgpr34
	s_cbranch_execnz .LBB1349_119
	s_branch .LBB1349_210
.LBB1349_51:
	s_set_inst_prefetch_distance 0x2
	s_or_b32 exec_lo, exec_lo, s26
	v_cmp_gt_i64_e32 vcc_lo, s[22:23], v[39:40]
	s_or_not1_b32 s26, vcc_lo, exec_lo
.LBB1349_52:
	s_or_b32 exec_lo, exec_lo, s27
.LBB1349_53:
	v_mul_lo_u32 v37, v24, s22
	v_mul_lo_u32 v38, v23, s23
	v_mad_u64_u32 v[35:36], null, v23, s22, 0
	s_and_not1_b32 vcc_lo, exec_lo, s25
	s_delay_alu instid0(VALU_DEP_1) | instskip(NEXT) | instid1(VALU_DEP_1)
	v_add3_u32 v36, v36, v38, v37
	v_lshlrev_b64 v[35:36], 1, v[35:36]
	s_cbranch_vccnz .LBB1349_62
; %bb.54:
	s_delay_alu instid0(VALU_DEP_1) | instskip(NEXT) | instid1(VALU_DEP_2)
	v_add_co_u32 v37, vcc_lo, s8, v35
	v_add_co_ci_u32_e32 v38, vcc_lo, s9, v36, vcc_lo
	v_add_co_u32 v33, vcc_lo, s8, v33
	v_add_co_ci_u32_e32 v34, vcc_lo, s9, v34, vcc_lo
	s_mov_b32 s3, -1
	s_clause 0x1
	global_load_u16 v39, v[37:38], off
	global_load_u16 v40, v[33:34], off
	s_mov_b32 s27, exec_lo
	s_waitcnt vmcnt(0)
	v_cmpx_eq_f16_e32 v39, v40
	s_cbranch_execz .LBB1349_61
; %bb.55:
	v_add_co_u32 v33, vcc_lo, v33, 2
	v_add_co_ci_u32_e32 v34, vcc_lo, 0, v34, vcc_lo
	v_add_co_u32 v37, vcc_lo, v37, 2
	v_add_co_ci_u32_e32 v38, vcc_lo, 0, v38, vcc_lo
	s_add_u32 s6, s22, -1
	s_addc_u32 s7, s23, -1
	s_mov_b64 s[18:19], 0
	s_mov_b32 s3, 0
                                        ; implicit-def: $sgpr29
	s_set_inst_prefetch_distance 0x1
	s_branch .LBB1349_58
	.p2align	6
.LBB1349_56:                            ;   in Loop: Header=BB1349_58 Depth=1
	global_load_u16 v39, v[37:38], off
	global_load_u16 v40, v[33:34], off
	v_add_co_u32 v33, vcc_lo, v33, 2
	v_add_co_ci_u32_e32 v34, vcc_lo, 0, v34, vcc_lo
	v_add_co_u32 v37, s2, v37, 2
	s_delay_alu instid0(VALU_DEP_1)
	v_add_co_ci_u32_e64 v38, s2, 0, v38, s2
	s_add_u32 s18, s18, 1
	s_addc_u32 s19, s19, 0
	s_and_not1_b32 s2, s29, exec_lo
	s_waitcnt vmcnt(0)
	v_cmp_neq_f16_e32 vcc_lo, v39, v40
	s_and_b32 s29, vcc_lo, exec_lo
	s_delay_alu instid0(SALU_CYCLE_1)
	s_or_b32 s29, s2, s29
.LBB1349_57:                            ;   in Loop: Header=BB1349_58 Depth=1
	v_dual_mov_b32 v40, s19 :: v_dual_mov_b32 v39, s18
	s_and_b32 s2, exec_lo, s29
	s_delay_alu instid0(SALU_CYCLE_1) | instskip(NEXT) | instid1(SALU_CYCLE_1)
	s_or_b32 s3, s2, s3
	s_and_not1_b32 exec_lo, exec_lo, s3
	s_cbranch_execz .LBB1349_60
.LBB1349_58:                            ; =>This Inner Loop Header: Depth=1
	s_or_b32 s29, s29, exec_lo
	s_cmp_eq_u64 s[6:7], s[18:19]
	s_cbranch_scc0 .LBB1349_56
; %bb.59:                               ;   in Loop: Header=BB1349_58 Depth=1
	s_mov_b64 s[18:19], s[22:23]
                                        ; implicit-def: $vgpr33_vgpr34
                                        ; implicit-def: $vgpr37_vgpr38
	s_branch .LBB1349_57
.LBB1349_60:
	s_set_inst_prefetch_distance 0x2
	s_or_b32 exec_lo, exec_lo, s3
	v_cmp_gt_i64_e32 vcc_lo, s[22:23], v[39:40]
	s_or_not1_b32 s3, vcc_lo, exec_lo
.LBB1349_61:
	s_or_b32 exec_lo, exec_lo, s27
.LBB1349_62:
	v_mul_lo_u32 v37, v22, s22
	v_mul_lo_u32 v38, v21, s23
	v_mad_u64_u32 v[33:34], null, v21, s22, 0
	s_mov_b32 s27, 0
	s_and_not1_b32 vcc_lo, exec_lo, s25
	s_mov_b32 s29, 0
	s_delay_alu instid0(VALU_DEP_1) | instskip(NEXT) | instid1(VALU_DEP_1)
	v_add3_u32 v34, v34, v38, v37
	v_lshlrev_b64 v[37:38], 1, v[33:34]
	s_cbranch_vccnz .LBB1349_71
; %bb.63:
	s_delay_alu instid0(VALU_DEP_1) | instskip(NEXT) | instid1(VALU_DEP_2)
	v_add_co_u32 v39, vcc_lo, s8, v37
	v_add_co_ci_u32_e32 v40, vcc_lo, s9, v38, vcc_lo
	v_add_co_u32 v33, vcc_lo, s8, v35
	v_add_co_ci_u32_e32 v34, vcc_lo, s9, v36, vcc_lo
	s_mov_b32 s29, -1
	s_clause 0x1
	global_load_u16 v35, v[39:40], off
	global_load_u16 v36, v[33:34], off
	s_mov_b32 s30, exec_lo
	s_waitcnt vmcnt(0)
	v_cmpx_eq_f16_e32 v35, v36
	s_cbranch_execz .LBB1349_70
; %bb.64:
	v_add_co_u32 v33, vcc_lo, v33, 2
	v_add_co_ci_u32_e32 v34, vcc_lo, 0, v34, vcc_lo
	v_add_co_u32 v35, vcc_lo, v39, 2
	v_add_co_ci_u32_e32 v36, vcc_lo, 0, v40, vcc_lo
	s_add_u32 s6, s22, -1
	s_addc_u32 s7, s23, -1
	s_mov_b64 s[18:19], 0
	s_mov_b32 s29, 0
                                        ; implicit-def: $sgpr31
	s_set_inst_prefetch_distance 0x1
	s_branch .LBB1349_67
	.p2align	6
.LBB1349_65:                            ;   in Loop: Header=BB1349_67 Depth=1
	global_load_u16 v39, v[35:36], off
	global_load_u16 v40, v[33:34], off
	v_add_co_u32 v33, vcc_lo, v33, 2
	v_add_co_ci_u32_e32 v34, vcc_lo, 0, v34, vcc_lo
	v_add_co_u32 v35, s2, v35, 2
	s_delay_alu instid0(VALU_DEP_1)
	v_add_co_ci_u32_e64 v36, s2, 0, v36, s2
	s_add_u32 s18, s18, 1
	s_addc_u32 s19, s19, 0
	s_and_not1_b32 s2, s31, exec_lo
	s_waitcnt vmcnt(0)
	v_cmp_neq_f16_e32 vcc_lo, v39, v40
	s_and_b32 s31, vcc_lo, exec_lo
	s_delay_alu instid0(SALU_CYCLE_1)
	s_or_b32 s31, s2, s31
.LBB1349_66:                            ;   in Loop: Header=BB1349_67 Depth=1
	v_dual_mov_b32 v40, s19 :: v_dual_mov_b32 v39, s18
	s_and_b32 s2, exec_lo, s31
	s_delay_alu instid0(SALU_CYCLE_1) | instskip(NEXT) | instid1(SALU_CYCLE_1)
	s_or_b32 s29, s2, s29
	s_and_not1_b32 exec_lo, exec_lo, s29
	s_cbranch_execz .LBB1349_69
.LBB1349_67:                            ; =>This Inner Loop Header: Depth=1
	s_or_b32 s31, s31, exec_lo
	s_cmp_eq_u64 s[6:7], s[18:19]
	s_cbranch_scc0 .LBB1349_65
; %bb.68:                               ;   in Loop: Header=BB1349_67 Depth=1
	s_mov_b64 s[18:19], s[22:23]
                                        ; implicit-def: $vgpr33_vgpr34
                                        ; implicit-def: $vgpr35_vgpr36
	s_branch .LBB1349_66
.LBB1349_69:
	s_set_inst_prefetch_distance 0x2
	s_or_b32 exec_lo, exec_lo, s29
	v_cmp_gt_i64_e32 vcc_lo, s[22:23], v[39:40]
	s_or_not1_b32 s29, vcc_lo, exec_lo
.LBB1349_70:
	s_or_b32 exec_lo, exec_lo, s30
.LBB1349_71:
	v_mul_lo_u32 v35, v28, s22
	v_mul_lo_u32 v36, v27, s23
	v_mad_u64_u32 v[33:34], null, v27, s22, 0
	s_and_not1_b32 vcc_lo, exec_lo, s25
	s_delay_alu instid0(VALU_DEP_1) | instskip(NEXT) | instid1(VALU_DEP_1)
	v_add3_u32 v34, v34, v36, v35
	v_lshlrev_b64 v[33:34], 1, v[33:34]
	s_cbranch_vccnz .LBB1349_80
; %bb.72:
	s_delay_alu instid0(VALU_DEP_1) | instskip(NEXT) | instid1(VALU_DEP_2)
	v_add_co_u32 v39, vcc_lo, s8, v33
	v_add_co_ci_u32_e32 v40, vcc_lo, s9, v34, vcc_lo
	v_add_co_u32 v35, vcc_lo, s8, v37
	v_add_co_ci_u32_e32 v36, vcc_lo, s9, v38, vcc_lo
	s_mov_b32 s27, -1
	s_clause 0x1
	global_load_u16 v37, v[39:40], off
	global_load_u16 v38, v[35:36], off
	s_mov_b32 s30, exec_lo
	s_waitcnt vmcnt(0)
	v_cmpx_eq_f16_e32 v37, v38
	s_cbranch_execz .LBB1349_79
; %bb.73:
	v_add_co_u32 v35, vcc_lo, v35, 2
	v_add_co_ci_u32_e32 v36, vcc_lo, 0, v36, vcc_lo
	v_add_co_u32 v37, vcc_lo, v39, 2
	v_add_co_ci_u32_e32 v38, vcc_lo, 0, v40, vcc_lo
	s_add_u32 s6, s22, -1
	s_addc_u32 s7, s23, -1
	s_mov_b64 s[18:19], 0
	s_mov_b32 s27, 0
                                        ; implicit-def: $sgpr31
	s_set_inst_prefetch_distance 0x1
	s_branch .LBB1349_76
	.p2align	6
.LBB1349_74:                            ;   in Loop: Header=BB1349_76 Depth=1
	global_load_u16 v39, v[37:38], off
	global_load_u16 v40, v[35:36], off
	v_add_co_u32 v35, vcc_lo, v35, 2
	v_add_co_ci_u32_e32 v36, vcc_lo, 0, v36, vcc_lo
	v_add_co_u32 v37, s2, v37, 2
	s_delay_alu instid0(VALU_DEP_1)
	v_add_co_ci_u32_e64 v38, s2, 0, v38, s2
	s_add_u32 s18, s18, 1
	s_addc_u32 s19, s19, 0
	s_and_not1_b32 s2, s31, exec_lo
	s_waitcnt vmcnt(0)
	v_cmp_neq_f16_e32 vcc_lo, v39, v40
	s_and_b32 s31, vcc_lo, exec_lo
	s_delay_alu instid0(SALU_CYCLE_1)
	s_or_b32 s31, s2, s31
.LBB1349_75:                            ;   in Loop: Header=BB1349_76 Depth=1
	v_dual_mov_b32 v40, s19 :: v_dual_mov_b32 v39, s18
	s_and_b32 s2, exec_lo, s31
	s_delay_alu instid0(SALU_CYCLE_1) | instskip(NEXT) | instid1(SALU_CYCLE_1)
	s_or_b32 s27, s2, s27
	s_and_not1_b32 exec_lo, exec_lo, s27
	s_cbranch_execz .LBB1349_78
.LBB1349_76:                            ; =>This Inner Loop Header: Depth=1
	s_or_b32 s31, s31, exec_lo
	s_cmp_eq_u64 s[6:7], s[18:19]
	s_cbranch_scc0 .LBB1349_74
; %bb.77:                               ;   in Loop: Header=BB1349_76 Depth=1
	s_mov_b64 s[18:19], s[22:23]
                                        ; implicit-def: $vgpr35_vgpr36
                                        ; implicit-def: $vgpr37_vgpr38
	s_branch .LBB1349_75
.LBB1349_78:
	s_set_inst_prefetch_distance 0x2
	s_or_b32 exec_lo, exec_lo, s27
	v_cmp_gt_i64_e32 vcc_lo, s[22:23], v[39:40]
	s_or_not1_b32 s27, vcc_lo, exec_lo
.LBB1349_79:
	s_or_b32 exec_lo, exec_lo, s30
.LBB1349_80:
	v_mul_lo_u32 v37, v26, s22
	v_mul_lo_u32 v38, v25, s23
	v_mad_u64_u32 v[35:36], null, v25, s22, 0
	s_mov_b32 s30, 0
	s_and_not1_b32 vcc_lo, exec_lo, s25
	s_mov_b32 s31, 0
	s_delay_alu instid0(VALU_DEP_1) | instskip(NEXT) | instid1(VALU_DEP_1)
	v_add3_u32 v36, v36, v38, v37
	v_lshlrev_b64 v[37:38], 1, v[35:36]
	s_cbranch_vccnz .LBB1349_89
; %bb.81:
	s_delay_alu instid0(VALU_DEP_1) | instskip(NEXT) | instid1(VALU_DEP_2)
	v_add_co_u32 v35, vcc_lo, s8, v37
	v_add_co_ci_u32_e32 v36, vcc_lo, s9, v38, vcc_lo
	v_add_co_u32 v33, vcc_lo, s8, v33
	v_add_co_ci_u32_e32 v34, vcc_lo, s9, v34, vcc_lo
	s_mov_b32 s31, -1
	s_clause 0x1
	global_load_u16 v39, v[35:36], off
	global_load_u16 v40, v[33:34], off
	s_mov_b32 s33, exec_lo
	s_waitcnt vmcnt(0)
	v_cmpx_eq_f16_e32 v39, v40
	s_cbranch_execz .LBB1349_88
; %bb.82:
	v_add_co_u32 v33, vcc_lo, v33, 2
	v_add_co_ci_u32_e32 v34, vcc_lo, 0, v34, vcc_lo
	v_add_co_u32 v35, vcc_lo, v35, 2
	v_add_co_ci_u32_e32 v36, vcc_lo, 0, v36, vcc_lo
	s_add_u32 s6, s22, -1
	s_addc_u32 s7, s23, -1
	s_mov_b64 s[18:19], 0
	s_mov_b32 s31, 0
                                        ; implicit-def: $sgpr34
	s_set_inst_prefetch_distance 0x1
	s_branch .LBB1349_85
	.p2align	6
.LBB1349_83:                            ;   in Loop: Header=BB1349_85 Depth=1
	global_load_u16 v39, v[35:36], off
	global_load_u16 v40, v[33:34], off
	v_add_co_u32 v33, vcc_lo, v33, 2
	v_add_co_ci_u32_e32 v34, vcc_lo, 0, v34, vcc_lo
	v_add_co_u32 v35, s2, v35, 2
	s_delay_alu instid0(VALU_DEP_1)
	v_add_co_ci_u32_e64 v36, s2, 0, v36, s2
	s_add_u32 s18, s18, 1
	s_addc_u32 s19, s19, 0
	s_and_not1_b32 s2, s34, exec_lo
	s_waitcnt vmcnt(0)
	v_cmp_neq_f16_e32 vcc_lo, v39, v40
	s_and_b32 s34, vcc_lo, exec_lo
	s_delay_alu instid0(SALU_CYCLE_1)
	s_or_b32 s34, s2, s34
.LBB1349_84:                            ;   in Loop: Header=BB1349_85 Depth=1
	v_dual_mov_b32 v40, s19 :: v_dual_mov_b32 v39, s18
	s_and_b32 s2, exec_lo, s34
	s_delay_alu instid0(SALU_CYCLE_1) | instskip(NEXT) | instid1(SALU_CYCLE_1)
	s_or_b32 s31, s2, s31
	s_and_not1_b32 exec_lo, exec_lo, s31
	s_cbranch_execz .LBB1349_87
.LBB1349_85:                            ; =>This Inner Loop Header: Depth=1
	s_or_b32 s34, s34, exec_lo
	s_cmp_eq_u64 s[6:7], s[18:19]
	s_cbranch_scc0 .LBB1349_83
; %bb.86:                               ;   in Loop: Header=BB1349_85 Depth=1
	s_mov_b64 s[18:19], s[22:23]
                                        ; implicit-def: $vgpr33_vgpr34
                                        ; implicit-def: $vgpr35_vgpr36
	s_branch .LBB1349_84
.LBB1349_87:
	s_set_inst_prefetch_distance 0x2
	s_or_b32 exec_lo, exec_lo, s31
	v_cmp_gt_i64_e32 vcc_lo, s[22:23], v[39:40]
	s_or_not1_b32 s31, vcc_lo, exec_lo
.LBB1349_88:
	s_or_b32 exec_lo, exec_lo, s33
.LBB1349_89:
	v_mul_lo_u32 v35, v32, s22
	v_mul_lo_u32 v36, v31, s23
	v_mad_u64_u32 v[33:34], null, v31, s22, 0
	s_and_not1_b32 vcc_lo, exec_lo, s25
	s_delay_alu instid0(VALU_DEP_1) | instskip(NEXT) | instid1(VALU_DEP_1)
	v_add3_u32 v34, v34, v36, v35
	v_lshlrev_b64 v[35:36], 1, v[33:34]
	s_cbranch_vccnz .LBB1349_98
; %bb.90:
	s_delay_alu instid0(VALU_DEP_1) | instskip(NEXT) | instid1(VALU_DEP_2)
	v_add_co_u32 v39, vcc_lo, s8, v35
	v_add_co_ci_u32_e32 v40, vcc_lo, s9, v36, vcc_lo
	v_add_co_u32 v33, vcc_lo, s8, v37
	v_add_co_ci_u32_e32 v34, vcc_lo, s9, v38, vcc_lo
	s_mov_b32 s30, -1
	s_clause 0x1
	global_load_u16 v37, v[39:40], off
	global_load_u16 v38, v[33:34], off
	s_mov_b32 s33, exec_lo
	s_waitcnt vmcnt(0)
	v_cmpx_eq_f16_e32 v37, v38
	s_cbranch_execz .LBB1349_97
; %bb.91:
	v_add_co_u32 v33, vcc_lo, v33, 2
	v_add_co_ci_u32_e32 v34, vcc_lo, 0, v34, vcc_lo
	v_add_co_u32 v37, vcc_lo, v39, 2
	v_add_co_ci_u32_e32 v38, vcc_lo, 0, v40, vcc_lo
	s_add_u32 s6, s22, -1
	s_addc_u32 s7, s23, -1
	s_mov_b64 s[18:19], 0
	s_mov_b32 s30, 0
                                        ; implicit-def: $sgpr34
	s_set_inst_prefetch_distance 0x1
	s_branch .LBB1349_94
	.p2align	6
.LBB1349_92:                            ;   in Loop: Header=BB1349_94 Depth=1
	global_load_u16 v39, v[37:38], off
	global_load_u16 v40, v[33:34], off
	v_add_co_u32 v33, vcc_lo, v33, 2
	v_add_co_ci_u32_e32 v34, vcc_lo, 0, v34, vcc_lo
	v_add_co_u32 v37, s2, v37, 2
	s_delay_alu instid0(VALU_DEP_1)
	v_add_co_ci_u32_e64 v38, s2, 0, v38, s2
	s_add_u32 s18, s18, 1
	s_addc_u32 s19, s19, 0
	s_and_not1_b32 s2, s34, exec_lo
	s_waitcnt vmcnt(0)
	v_cmp_neq_f16_e32 vcc_lo, v39, v40
	s_and_b32 s34, vcc_lo, exec_lo
	s_delay_alu instid0(SALU_CYCLE_1)
	s_or_b32 s34, s2, s34
.LBB1349_93:                            ;   in Loop: Header=BB1349_94 Depth=1
	v_dual_mov_b32 v40, s19 :: v_dual_mov_b32 v39, s18
	s_and_b32 s2, exec_lo, s34
	s_delay_alu instid0(SALU_CYCLE_1) | instskip(NEXT) | instid1(SALU_CYCLE_1)
	s_or_b32 s30, s2, s30
	s_and_not1_b32 exec_lo, exec_lo, s30
	s_cbranch_execz .LBB1349_96
.LBB1349_94:                            ; =>This Inner Loop Header: Depth=1
	s_or_b32 s34, s34, exec_lo
	s_cmp_eq_u64 s[6:7], s[18:19]
	s_cbranch_scc0 .LBB1349_92
; %bb.95:                               ;   in Loop: Header=BB1349_94 Depth=1
	s_mov_b64 s[18:19], s[22:23]
                                        ; implicit-def: $vgpr33_vgpr34
                                        ; implicit-def: $vgpr37_vgpr38
	s_branch .LBB1349_93
.LBB1349_96:
	s_set_inst_prefetch_distance 0x2
	s_or_b32 exec_lo, exec_lo, s30
	v_cmp_gt_i64_e32 vcc_lo, s[22:23], v[39:40]
	s_or_not1_b32 s30, vcc_lo, exec_lo
.LBB1349_97:
	s_or_b32 exec_lo, exec_lo, s33
.LBB1349_98:
	v_mul_lo_u32 v37, v30, s22
	v_mul_lo_u32 v38, v29, s23
	v_mad_u64_u32 v[33:34], null, v29, s22, 0
	s_and_not1_b32 vcc_lo, exec_lo, s25
	s_mov_b32 s2, 0
	s_delay_alu instid0(VALU_DEP_1) | instskip(NEXT) | instid1(VALU_DEP_1)
	v_add3_u32 v34, v34, v38, v37
	v_lshlrev_b64 v[33:34], 1, v[33:34]
	s_cbranch_vccnz .LBB1349_107
; %bb.99:
	s_delay_alu instid0(VALU_DEP_1) | instskip(NEXT) | instid1(VALU_DEP_2)
	v_add_co_u32 v37, vcc_lo, s8, v33
	v_add_co_ci_u32_e32 v38, vcc_lo, s9, v34, vcc_lo
	v_add_co_u32 v35, vcc_lo, s8, v35
	v_add_co_ci_u32_e32 v36, vcc_lo, s9, v36, vcc_lo
	s_mov_b32 s2, -1
	s_clause 0x1
	global_load_u16 v39, v[37:38], off
	global_load_u16 v40, v[35:36], off
	s_mov_b32 s33, exec_lo
	s_waitcnt vmcnt(0)
	v_cmpx_eq_f16_e32 v39, v40
	s_cbranch_execz .LBB1349_106
; %bb.100:
	v_add_co_u32 v35, vcc_lo, v35, 2
	v_add_co_ci_u32_e32 v36, vcc_lo, 0, v36, vcc_lo
	v_add_co_u32 v37, vcc_lo, v37, 2
	v_add_co_ci_u32_e32 v38, vcc_lo, 0, v38, vcc_lo
	s_add_u32 s6, s22, -1
	s_addc_u32 s7, s23, -1
	s_mov_b64 s[18:19], 0
	s_mov_b32 s34, 0
                                        ; implicit-def: $sgpr35
	s_set_inst_prefetch_distance 0x1
	s_branch .LBB1349_103
	.p2align	6
.LBB1349_101:                           ;   in Loop: Header=BB1349_103 Depth=1
	global_load_u16 v39, v[37:38], off
	global_load_u16 v40, v[35:36], off
	v_add_co_u32 v35, vcc_lo, v35, 2
	v_add_co_ci_u32_e32 v36, vcc_lo, 0, v36, vcc_lo
	v_add_co_u32 v37, s2, v37, 2
	s_delay_alu instid0(VALU_DEP_1)
	v_add_co_ci_u32_e64 v38, s2, 0, v38, s2
	s_add_u32 s18, s18, 1
	s_addc_u32 s19, s19, 0
	s_and_not1_b32 s2, s35, exec_lo
	s_waitcnt vmcnt(0)
	v_cmp_neq_f16_e32 vcc_lo, v39, v40
	s_and_b32 s35, vcc_lo, exec_lo
	s_delay_alu instid0(SALU_CYCLE_1)
	s_or_b32 s35, s2, s35
.LBB1349_102:                           ;   in Loop: Header=BB1349_103 Depth=1
	v_dual_mov_b32 v40, s19 :: v_dual_mov_b32 v39, s18
	s_and_b32 s2, exec_lo, s35
	s_delay_alu instid0(SALU_CYCLE_1) | instskip(NEXT) | instid1(SALU_CYCLE_1)
	s_or_b32 s34, s2, s34
	s_and_not1_b32 exec_lo, exec_lo, s34
	s_cbranch_execz .LBB1349_105
.LBB1349_103:                           ; =>This Inner Loop Header: Depth=1
	s_or_b32 s35, s35, exec_lo
	s_cmp_eq_u64 s[6:7], s[18:19]
	s_cbranch_scc0 .LBB1349_101
; %bb.104:                              ;   in Loop: Header=BB1349_103 Depth=1
	s_mov_b64 s[18:19], s[22:23]
                                        ; implicit-def: $vgpr35_vgpr36
                                        ; implicit-def: $vgpr37_vgpr38
	s_branch .LBB1349_102
.LBB1349_105:
	s_set_inst_prefetch_distance 0x2
	s_or_b32 exec_lo, exec_lo, s34
	v_cmp_gt_i64_e32 vcc_lo, s[22:23], v[39:40]
	s_or_not1_b32 s2, vcc_lo, exec_lo
.LBB1349_106:
	s_or_b32 exec_lo, exec_lo, s33
.LBB1349_107:
	s_waitcnt lgkmcnt(0)
	v_dual_mov_b32 v36, s5 :: v_dual_mov_b32 v35, s4
	s_mov_b32 s6, exec_lo
	s_barrier
	buffer_gl0_inv
	v_cmpx_ne_u32_e32 0, v0
	s_cbranch_execz .LBB1349_109
; %bb.108:
	v_add_nc_u32_e32 v35, -8, v55
	ds_load_b64 v[35:36], v35
.LBB1349_109:
	s_or_b32 exec_lo, exec_lo, s6
	v_cndmask_b32_e64 v38, 0, 1, s31
	v_cndmask_b32_e64 v40, 0, 1, s29
	;; [unrolled: 1-line block ×7, first 2 shown]
	v_lshlrev_b16 v38, 8, v38
	v_lshlrev_b16 v40, 8, v40
	;; [unrolled: 1-line block ×4, first 2 shown]
	s_mov_b32 s3, 0
	v_or_b32_e32 v37, v37, v38
	v_or_b32_e32 v38, v39, v40
	;; [unrolled: 1-line block ×3, first 2 shown]
	v_and_b32_e32 v39, 0xffff, v43
	s_and_not1_b32 vcc_lo, exec_lo, s25
	v_lshlrev_b32_e32 v40, 16, v37
	v_and_b32_e32 v42, 0xffff, v38
	v_lshlrev_b32_e32 v43, 16, v44
	s_mov_b32 s2, 0
	s_cbranch_vccnz .LBB1349_118
; %bb.110:
	s_waitcnt lgkmcnt(0)
	v_mul_lo_u32 v38, v36, s22
	v_mul_lo_u32 v44, v35, s23
	v_mad_u64_u32 v[36:37], null, v35, s22, 0
	s_mov_b32 s2, -1
	s_mov_b32 s26, exec_lo
	s_delay_alu instid0(VALU_DEP_1) | instskip(NEXT) | instid1(VALU_DEP_1)
	v_add3_u32 v37, v37, v44, v38
	v_lshlrev_b64 v[35:36], 1, v[36:37]
	s_delay_alu instid0(VALU_DEP_1) | instskip(NEXT) | instid1(VALU_DEP_2)
	v_add_co_u32 v35, vcc_lo, s8, v35
	v_add_co_ci_u32_e32 v36, vcc_lo, s9, v36, vcc_lo
	v_add_co_u32 v33, vcc_lo, s8, v33
	v_add_co_ci_u32_e32 v34, vcc_lo, s9, v34, vcc_lo
	s_clause 0x1
	global_load_u16 v37, v[35:36], off
	global_load_u16 v38, v[33:34], off
	s_waitcnt vmcnt(0)
	v_cmpx_eq_f16_e32 v37, v38
	s_cbranch_execz .LBB1349_117
; %bb.111:
	v_add_co_u32 v33, vcc_lo, v33, 2
	v_add_co_ci_u32_e32 v34, vcc_lo, 0, v34, vcc_lo
	v_add_co_u32 v35, vcc_lo, v35, 2
	v_add_co_ci_u32_e32 v36, vcc_lo, 0, v36, vcc_lo
	s_add_u32 s6, s22, -1
	s_addc_u32 s7, s23, -1
	s_mov_b64 s[18:19], 0
	s_mov_b32 s27, 0
                                        ; implicit-def: $sgpr29
	s_set_inst_prefetch_distance 0x1
	s_branch .LBB1349_114
	.p2align	6
.LBB1349_112:                           ;   in Loop: Header=BB1349_114 Depth=1
	global_load_u16 v37, v[35:36], off
	global_load_u16 v38, v[33:34], off
	v_add_co_u32 v33, vcc_lo, v33, 2
	v_add_co_ci_u32_e32 v34, vcc_lo, 0, v34, vcc_lo
	v_add_co_u32 v35, s2, v35, 2
	s_delay_alu instid0(VALU_DEP_1)
	v_add_co_ci_u32_e64 v36, s2, 0, v36, s2
	s_add_u32 s18, s18, 1
	s_addc_u32 s19, s19, 0
	s_and_not1_b32 s2, s29, exec_lo
	s_waitcnt vmcnt(0)
	v_cmp_neq_f16_e32 vcc_lo, v37, v38
	s_and_b32 s29, vcc_lo, exec_lo
	s_delay_alu instid0(SALU_CYCLE_1)
	s_or_b32 s29, s2, s29
.LBB1349_113:                           ;   in Loop: Header=BB1349_114 Depth=1
	v_dual_mov_b32 v38, s19 :: v_dual_mov_b32 v37, s18
	s_and_b32 s2, exec_lo, s29
	s_delay_alu instid0(SALU_CYCLE_1) | instskip(NEXT) | instid1(SALU_CYCLE_1)
	s_or_b32 s27, s2, s27
	s_and_not1_b32 exec_lo, exec_lo, s27
	s_cbranch_execz .LBB1349_116
.LBB1349_114:                           ; =>This Inner Loop Header: Depth=1
	s_or_b32 s29, s29, exec_lo
	s_cmp_eq_u64 s[6:7], s[18:19]
	s_cbranch_scc0 .LBB1349_112
; %bb.115:                              ;   in Loop: Header=BB1349_114 Depth=1
	s_mov_b64 s[18:19], s[22:23]
                                        ; implicit-def: $vgpr33_vgpr34
                                        ; implicit-def: $vgpr35_vgpr36
	s_branch .LBB1349_113
.LBB1349_116:
	s_set_inst_prefetch_distance 0x2
	s_or_b32 exec_lo, exec_lo, s27
	v_cmp_gt_i64_e32 vcc_lo, s[22:23], v[37:38]
	s_or_not1_b32 s2, vcc_lo, exec_lo
.LBB1349_117:
	s_or_b32 exec_lo, exec_lo, s26
.LBB1349_118:
	v_or_b32_e32 v33, v39, v40
	s_delay_alu instid0(VALU_DEP_2)
	v_or_b32_e32 v34, v42, v43
	s_and_b32 vcc_lo, exec_lo, s3
	s_cbranch_vccz .LBB1349_210
.LBB1349_119:
	v_or_b32_e32 v33, 7, v55
	s_mov_b32 s3, 0
	s_mov_b32 s26, 0
	s_mov_b32 s27, exec_lo
	s_delay_alu instid0(VALU_DEP_1)
	v_cmpx_gt_u32_e64 s28, v33
	s_cbranch_execz .LBB1349_130
; %bb.120:
	s_and_not1_b32 vcc_lo, exec_lo, s25
	s_mov_b32 s2, 0
	s_cbranch_vccnz .LBB1349_129
; %bb.121:
	v_mul_lo_u32 v37, v18, s22
	v_mul_lo_u32 v38, v17, s23
	v_mad_u64_u32 v[33:34], null, v17, s22, 0
	v_mul_lo_u32 v39, v20, s22
	v_mul_lo_u32 v40, v19, s23
	s_waitcnt lgkmcnt(0)
	v_mad_u64_u32 v[35:36], null, v19, s22, 0
	s_mov_b32 s2, -1
	s_mov_b32 s25, exec_lo
	s_delay_alu instid0(VALU_DEP_4) | instskip(NEXT) | instid1(VALU_DEP_2)
	v_add3_u32 v34, v34, v38, v37
	v_add3_u32 v36, v36, v40, v39
	s_delay_alu instid0(VALU_DEP_2) | instskip(NEXT) | instid1(VALU_DEP_2)
	v_lshlrev_b64 v[33:34], 1, v[33:34]
	v_lshlrev_b64 v[37:38], 1, v[35:36]
	s_delay_alu instid0(VALU_DEP_2) | instskip(NEXT) | instid1(VALU_DEP_3)
	v_add_co_u32 v35, vcc_lo, s8, v33
	v_add_co_ci_u32_e32 v36, vcc_lo, s9, v34, vcc_lo
	s_delay_alu instid0(VALU_DEP_3) | instskip(NEXT) | instid1(VALU_DEP_4)
	v_add_co_u32 v33, vcc_lo, s8, v37
	v_add_co_ci_u32_e32 v34, vcc_lo, s9, v38, vcc_lo
	s_clause 0x1
	global_load_u16 v37, v[35:36], off
	global_load_u16 v38, v[33:34], off
	s_waitcnt vmcnt(0)
	v_cmpx_eq_f16_e32 v37, v38
	s_cbranch_execz .LBB1349_128
; %bb.122:
	v_add_co_u32 v33, vcc_lo, v33, 2
	v_add_co_ci_u32_e32 v34, vcc_lo, 0, v34, vcc_lo
	v_add_co_u32 v35, vcc_lo, v35, 2
	v_add_co_ci_u32_e32 v36, vcc_lo, 0, v36, vcc_lo
	s_add_u32 s6, s22, -1
	s_addc_u32 s7, s23, -1
	s_mov_b64 s[18:19], 0
                                        ; implicit-def: $sgpr29
	s_set_inst_prefetch_distance 0x1
	s_branch .LBB1349_125
	.p2align	6
.LBB1349_123:                           ;   in Loop: Header=BB1349_125 Depth=1
	global_load_u16 v37, v[35:36], off
	global_load_u16 v38, v[33:34], off
	v_add_co_u32 v33, vcc_lo, v33, 2
	v_add_co_ci_u32_e32 v34, vcc_lo, 0, v34, vcc_lo
	v_add_co_u32 v35, s2, v35, 2
	s_delay_alu instid0(VALU_DEP_1)
	v_add_co_ci_u32_e64 v36, s2, 0, v36, s2
	s_add_u32 s18, s18, 1
	s_addc_u32 s19, s19, 0
	s_and_not1_b32 s2, s29, exec_lo
	s_waitcnt vmcnt(0)
	v_cmp_neq_f16_e32 vcc_lo, v37, v38
	s_and_b32 s29, vcc_lo, exec_lo
	s_delay_alu instid0(SALU_CYCLE_1)
	s_or_b32 s29, s2, s29
.LBB1349_124:                           ;   in Loop: Header=BB1349_125 Depth=1
	v_dual_mov_b32 v38, s19 :: v_dual_mov_b32 v37, s18
	s_and_b32 s2, exec_lo, s29
	s_delay_alu instid0(SALU_CYCLE_1) | instskip(NEXT) | instid1(SALU_CYCLE_1)
	s_or_b32 s26, s2, s26
	s_and_not1_b32 exec_lo, exec_lo, s26
	s_cbranch_execz .LBB1349_127
.LBB1349_125:                           ; =>This Inner Loop Header: Depth=1
	s_or_b32 s29, s29, exec_lo
	s_cmp_eq_u64 s[6:7], s[18:19]
	s_cbranch_scc0 .LBB1349_123
; %bb.126:                              ;   in Loop: Header=BB1349_125 Depth=1
	s_mov_b64 s[18:19], s[22:23]
                                        ; implicit-def: $vgpr33_vgpr34
                                        ; implicit-def: $vgpr35_vgpr36
	s_branch .LBB1349_124
.LBB1349_127:
	s_set_inst_prefetch_distance 0x2
	s_or_b32 exec_lo, exec_lo, s26
	v_cmp_gt_i64_e32 vcc_lo, s[22:23], v[37:38]
	s_or_not1_b32 s2, vcc_lo, exec_lo
.LBB1349_128:
	s_or_b32 exec_lo, exec_lo, s25
.LBB1349_129:
	s_delay_alu instid0(SALU_CYCLE_1)
	s_and_b32 s26, s2, exec_lo
.LBB1349_130:
	s_or_b32 exec_lo, exec_lo, s27
	v_or_b32_e32 v33, 6, v55
	s_mov_b32 s25, exec_lo
	s_delay_alu instid0(VALU_DEP_1)
	v_cmpx_gt_u32_e64 s28, v33
	s_cbranch_execz .LBB1349_141
; %bb.131:
	v_cmp_ne_u32_e32 vcc_lo, 1, v41
	s_mov_b32 s2, 0
	s_cbranch_vccnz .LBB1349_140
; %bb.132:
	v_mul_lo_u32 v37, v24, s22
	v_mul_lo_u32 v38, v23, s23
	v_mad_u64_u32 v[33:34], null, v23, s22, 0
	v_mul_lo_u32 v39, v18, s22
	v_mul_lo_u32 v40, v17, s23
	s_waitcnt lgkmcnt(0)
	v_mad_u64_u32 v[35:36], null, v17, s22, 0
	s_mov_b32 s2, -1
	s_mov_b32 s3, exec_lo
	s_delay_alu instid0(VALU_DEP_4) | instskip(NEXT) | instid1(VALU_DEP_2)
	v_add3_u32 v34, v34, v38, v37
	v_add3_u32 v36, v36, v40, v39
	s_delay_alu instid0(VALU_DEP_2) | instskip(NEXT) | instid1(VALU_DEP_2)
	v_lshlrev_b64 v[33:34], 1, v[33:34]
	v_lshlrev_b64 v[37:38], 1, v[35:36]
	s_delay_alu instid0(VALU_DEP_2) | instskip(NEXT) | instid1(VALU_DEP_3)
	v_add_co_u32 v35, vcc_lo, s8, v33
	v_add_co_ci_u32_e32 v36, vcc_lo, s9, v34, vcc_lo
	s_delay_alu instid0(VALU_DEP_3) | instskip(NEXT) | instid1(VALU_DEP_4)
	v_add_co_u32 v33, vcc_lo, s8, v37
	v_add_co_ci_u32_e32 v34, vcc_lo, s9, v38, vcc_lo
	s_clause 0x1
	global_load_u16 v37, v[35:36], off
	global_load_u16 v38, v[33:34], off
	s_waitcnt vmcnt(0)
	v_cmpx_eq_f16_e32 v37, v38
	s_cbranch_execz .LBB1349_139
; %bb.133:
	v_add_co_u32 v33, vcc_lo, v33, 2
	v_add_co_ci_u32_e32 v34, vcc_lo, 0, v34, vcc_lo
	v_add_co_u32 v35, vcc_lo, v35, 2
	v_add_co_ci_u32_e32 v36, vcc_lo, 0, v36, vcc_lo
	s_add_u32 s6, s22, -1
	s_addc_u32 s7, s23, -1
	s_mov_b64 s[18:19], 0
	s_mov_b32 s27, 0
                                        ; implicit-def: $sgpr29
	s_set_inst_prefetch_distance 0x1
	s_branch .LBB1349_136
	.p2align	6
.LBB1349_134:                           ;   in Loop: Header=BB1349_136 Depth=1
	global_load_u16 v37, v[35:36], off
	global_load_u16 v38, v[33:34], off
	v_add_co_u32 v33, vcc_lo, v33, 2
	v_add_co_ci_u32_e32 v34, vcc_lo, 0, v34, vcc_lo
	v_add_co_u32 v35, s2, v35, 2
	s_delay_alu instid0(VALU_DEP_1)
	v_add_co_ci_u32_e64 v36, s2, 0, v36, s2
	s_add_u32 s18, s18, 1
	s_addc_u32 s19, s19, 0
	s_and_not1_b32 s2, s29, exec_lo
	s_waitcnt vmcnt(0)
	v_cmp_neq_f16_e32 vcc_lo, v37, v38
	s_and_b32 s29, vcc_lo, exec_lo
	s_delay_alu instid0(SALU_CYCLE_1)
	s_or_b32 s29, s2, s29
.LBB1349_135:                           ;   in Loop: Header=BB1349_136 Depth=1
	v_dual_mov_b32 v38, s19 :: v_dual_mov_b32 v37, s18
	s_and_b32 s2, exec_lo, s29
	s_delay_alu instid0(SALU_CYCLE_1) | instskip(NEXT) | instid1(SALU_CYCLE_1)
	s_or_b32 s27, s2, s27
	s_and_not1_b32 exec_lo, exec_lo, s27
	s_cbranch_execz .LBB1349_138
.LBB1349_136:                           ; =>This Inner Loop Header: Depth=1
	s_or_b32 s29, s29, exec_lo
	s_cmp_eq_u64 s[6:7], s[18:19]
	s_cbranch_scc0 .LBB1349_134
; %bb.137:                              ;   in Loop: Header=BB1349_136 Depth=1
	s_mov_b64 s[18:19], s[22:23]
                                        ; implicit-def: $vgpr33_vgpr34
                                        ; implicit-def: $vgpr35_vgpr36
	s_branch .LBB1349_135
.LBB1349_138:
	s_set_inst_prefetch_distance 0x2
	s_or_b32 exec_lo, exec_lo, s27
	v_cmp_gt_i64_e32 vcc_lo, s[22:23], v[37:38]
	s_or_not1_b32 s2, vcc_lo, exec_lo
.LBB1349_139:
	s_or_b32 exec_lo, exec_lo, s3
.LBB1349_140:
	s_delay_alu instid0(SALU_CYCLE_1)
	s_and_b32 s3, s2, exec_lo
.LBB1349_141:
	s_or_b32 exec_lo, exec_lo, s25
	v_or_b32_e32 v33, 5, v55
	s_mov_b32 s27, 0
	s_mov_b32 s25, 0
	s_mov_b32 s29, exec_lo
	s_delay_alu instid0(VALU_DEP_1)
	v_cmpx_gt_u32_e64 s28, v33
	s_cbranch_execz .LBB1349_152
; %bb.142:
	v_cmp_ne_u32_e32 vcc_lo, 1, v41
	s_mov_b32 s2, 0
	s_cbranch_vccnz .LBB1349_151
; %bb.143:
	v_mul_lo_u32 v37, v22, s22
	v_mul_lo_u32 v38, v21, s23
	v_mad_u64_u32 v[33:34], null, v21, s22, 0
	v_mul_lo_u32 v39, v24, s22
	v_mul_lo_u32 v40, v23, s23
	s_waitcnt lgkmcnt(0)
	v_mad_u64_u32 v[35:36], null, v23, s22, 0
	s_mov_b32 s2, -1
	s_mov_b32 s25, exec_lo
	s_delay_alu instid0(VALU_DEP_4) | instskip(NEXT) | instid1(VALU_DEP_2)
	v_add3_u32 v34, v34, v38, v37
	v_add3_u32 v36, v36, v40, v39
	s_delay_alu instid0(VALU_DEP_2) | instskip(NEXT) | instid1(VALU_DEP_2)
	v_lshlrev_b64 v[33:34], 1, v[33:34]
	v_lshlrev_b64 v[37:38], 1, v[35:36]
	s_delay_alu instid0(VALU_DEP_2) | instskip(NEXT) | instid1(VALU_DEP_3)
	v_add_co_u32 v35, vcc_lo, s8, v33
	v_add_co_ci_u32_e32 v36, vcc_lo, s9, v34, vcc_lo
	s_delay_alu instid0(VALU_DEP_3) | instskip(NEXT) | instid1(VALU_DEP_4)
	v_add_co_u32 v33, vcc_lo, s8, v37
	v_add_co_ci_u32_e32 v34, vcc_lo, s9, v38, vcc_lo
	s_clause 0x1
	global_load_u16 v37, v[35:36], off
	global_load_u16 v38, v[33:34], off
	s_waitcnt vmcnt(0)
	v_cmpx_eq_f16_e32 v37, v38
	s_cbranch_execz .LBB1349_150
; %bb.144:
	v_add_co_u32 v33, vcc_lo, v33, 2
	v_add_co_ci_u32_e32 v34, vcc_lo, 0, v34, vcc_lo
	v_add_co_u32 v35, vcc_lo, v35, 2
	v_add_co_ci_u32_e32 v36, vcc_lo, 0, v36, vcc_lo
	s_add_u32 s6, s22, -1
	s_addc_u32 s7, s23, -1
	s_mov_b64 s[18:19], 0
	s_mov_b32 s30, 0
                                        ; implicit-def: $sgpr31
	s_set_inst_prefetch_distance 0x1
	s_branch .LBB1349_147
	.p2align	6
.LBB1349_145:                           ;   in Loop: Header=BB1349_147 Depth=1
	global_load_u16 v37, v[35:36], off
	global_load_u16 v38, v[33:34], off
	v_add_co_u32 v33, vcc_lo, v33, 2
	v_add_co_ci_u32_e32 v34, vcc_lo, 0, v34, vcc_lo
	v_add_co_u32 v35, s2, v35, 2
	s_delay_alu instid0(VALU_DEP_1)
	v_add_co_ci_u32_e64 v36, s2, 0, v36, s2
	s_add_u32 s18, s18, 1
	s_addc_u32 s19, s19, 0
	s_and_not1_b32 s2, s31, exec_lo
	s_waitcnt vmcnt(0)
	v_cmp_neq_f16_e32 vcc_lo, v37, v38
	s_and_b32 s31, vcc_lo, exec_lo
	s_delay_alu instid0(SALU_CYCLE_1)
	s_or_b32 s31, s2, s31
.LBB1349_146:                           ;   in Loop: Header=BB1349_147 Depth=1
	v_dual_mov_b32 v38, s19 :: v_dual_mov_b32 v37, s18
	s_and_b32 s2, exec_lo, s31
	s_delay_alu instid0(SALU_CYCLE_1) | instskip(NEXT) | instid1(SALU_CYCLE_1)
	s_or_b32 s30, s2, s30
	s_and_not1_b32 exec_lo, exec_lo, s30
	s_cbranch_execz .LBB1349_149
.LBB1349_147:                           ; =>This Inner Loop Header: Depth=1
	s_or_b32 s31, s31, exec_lo
	s_cmp_eq_u64 s[6:7], s[18:19]
	s_cbranch_scc0 .LBB1349_145
; %bb.148:                              ;   in Loop: Header=BB1349_147 Depth=1
	s_mov_b64 s[18:19], s[22:23]
                                        ; implicit-def: $vgpr33_vgpr34
                                        ; implicit-def: $vgpr35_vgpr36
	s_branch .LBB1349_146
.LBB1349_149:
	s_set_inst_prefetch_distance 0x2
	s_or_b32 exec_lo, exec_lo, s30
	v_cmp_gt_i64_e32 vcc_lo, s[22:23], v[37:38]
	s_or_not1_b32 s2, vcc_lo, exec_lo
.LBB1349_150:
	s_or_b32 exec_lo, exec_lo, s25
.LBB1349_151:
	s_delay_alu instid0(SALU_CYCLE_1)
	s_and_b32 s25, s2, exec_lo
.LBB1349_152:
	s_or_b32 exec_lo, exec_lo, s29
	v_or_b32_e32 v33, 4, v55
	s_mov_b32 s29, exec_lo
	s_delay_alu instid0(VALU_DEP_1)
	v_cmpx_gt_u32_e64 s28, v33
	s_cbranch_execz .LBB1349_163
; %bb.153:
	v_cmp_ne_u32_e32 vcc_lo, 1, v41
	s_mov_b32 s2, 0
	s_cbranch_vccnz .LBB1349_162
; %bb.154:
	v_mul_lo_u32 v37, v28, s22
	v_mul_lo_u32 v38, v27, s23
	v_mad_u64_u32 v[33:34], null, v27, s22, 0
	v_mul_lo_u32 v39, v22, s22
	v_mul_lo_u32 v40, v21, s23
	s_waitcnt lgkmcnt(0)
	v_mad_u64_u32 v[35:36], null, v21, s22, 0
	s_mov_b32 s2, -1
	s_mov_b32 s27, exec_lo
	s_delay_alu instid0(VALU_DEP_4) | instskip(NEXT) | instid1(VALU_DEP_2)
	v_add3_u32 v34, v34, v38, v37
	v_add3_u32 v36, v36, v40, v39
	s_delay_alu instid0(VALU_DEP_2) | instskip(NEXT) | instid1(VALU_DEP_2)
	v_lshlrev_b64 v[33:34], 1, v[33:34]
	v_lshlrev_b64 v[37:38], 1, v[35:36]
	s_delay_alu instid0(VALU_DEP_2) | instskip(NEXT) | instid1(VALU_DEP_3)
	v_add_co_u32 v35, vcc_lo, s8, v33
	v_add_co_ci_u32_e32 v36, vcc_lo, s9, v34, vcc_lo
	s_delay_alu instid0(VALU_DEP_3) | instskip(NEXT) | instid1(VALU_DEP_4)
	v_add_co_u32 v33, vcc_lo, s8, v37
	v_add_co_ci_u32_e32 v34, vcc_lo, s9, v38, vcc_lo
	s_clause 0x1
	global_load_u16 v37, v[35:36], off
	global_load_u16 v38, v[33:34], off
	s_waitcnt vmcnt(0)
	v_cmpx_eq_f16_e32 v37, v38
	s_cbranch_execz .LBB1349_161
; %bb.155:
	v_add_co_u32 v33, vcc_lo, v33, 2
	v_add_co_ci_u32_e32 v34, vcc_lo, 0, v34, vcc_lo
	v_add_co_u32 v35, vcc_lo, v35, 2
	v_add_co_ci_u32_e32 v36, vcc_lo, 0, v36, vcc_lo
	s_add_u32 s6, s22, -1
	s_addc_u32 s7, s23, -1
	s_mov_b64 s[18:19], 0
	s_mov_b32 s30, 0
                                        ; implicit-def: $sgpr31
	s_set_inst_prefetch_distance 0x1
	s_branch .LBB1349_158
	.p2align	6
.LBB1349_156:                           ;   in Loop: Header=BB1349_158 Depth=1
	global_load_u16 v37, v[35:36], off
	global_load_u16 v38, v[33:34], off
	v_add_co_u32 v33, vcc_lo, v33, 2
	v_add_co_ci_u32_e32 v34, vcc_lo, 0, v34, vcc_lo
	v_add_co_u32 v35, s2, v35, 2
	s_delay_alu instid0(VALU_DEP_1)
	v_add_co_ci_u32_e64 v36, s2, 0, v36, s2
	s_add_u32 s18, s18, 1
	s_addc_u32 s19, s19, 0
	s_and_not1_b32 s2, s31, exec_lo
	s_waitcnt vmcnt(0)
	v_cmp_neq_f16_e32 vcc_lo, v37, v38
	s_and_b32 s31, vcc_lo, exec_lo
	s_delay_alu instid0(SALU_CYCLE_1)
	s_or_b32 s31, s2, s31
.LBB1349_157:                           ;   in Loop: Header=BB1349_158 Depth=1
	v_dual_mov_b32 v38, s19 :: v_dual_mov_b32 v37, s18
	s_and_b32 s2, exec_lo, s31
	s_delay_alu instid0(SALU_CYCLE_1) | instskip(NEXT) | instid1(SALU_CYCLE_1)
	s_or_b32 s30, s2, s30
	s_and_not1_b32 exec_lo, exec_lo, s30
	s_cbranch_execz .LBB1349_160
.LBB1349_158:                           ; =>This Inner Loop Header: Depth=1
	s_or_b32 s31, s31, exec_lo
	s_cmp_eq_u64 s[6:7], s[18:19]
	s_cbranch_scc0 .LBB1349_156
; %bb.159:                              ;   in Loop: Header=BB1349_158 Depth=1
	s_mov_b64 s[18:19], s[22:23]
                                        ; implicit-def: $vgpr33_vgpr34
                                        ; implicit-def: $vgpr35_vgpr36
	s_branch .LBB1349_157
.LBB1349_160:
	s_set_inst_prefetch_distance 0x2
	s_or_b32 exec_lo, exec_lo, s30
	v_cmp_gt_i64_e32 vcc_lo, s[22:23], v[37:38]
	s_or_not1_b32 s2, vcc_lo, exec_lo
.LBB1349_161:
	s_or_b32 exec_lo, exec_lo, s27
.LBB1349_162:
	s_delay_alu instid0(SALU_CYCLE_1)
	s_and_b32 s27, s2, exec_lo
.LBB1349_163:
	s_or_b32 exec_lo, exec_lo, s29
	v_or_b32_e32 v33, 3, v55
	s_mov_b32 s30, 0
	s_mov_b32 s29, 0
	s_mov_b32 s31, exec_lo
	s_delay_alu instid0(VALU_DEP_1)
	v_cmpx_gt_u32_e64 s28, v33
	s_cbranch_execz .LBB1349_174
; %bb.164:
	v_cmp_ne_u32_e32 vcc_lo, 1, v41
	s_mov_b32 s2, 0
	s_cbranch_vccnz .LBB1349_173
; %bb.165:
	v_mul_lo_u32 v37, v26, s22
	v_mul_lo_u32 v38, v25, s23
	v_mad_u64_u32 v[33:34], null, v25, s22, 0
	v_mul_lo_u32 v39, v28, s22
	v_mul_lo_u32 v40, v27, s23
	s_waitcnt lgkmcnt(0)
	v_mad_u64_u32 v[35:36], null, v27, s22, 0
	s_mov_b32 s2, -1
	s_mov_b32 s29, exec_lo
	s_delay_alu instid0(VALU_DEP_4) | instskip(NEXT) | instid1(VALU_DEP_2)
	v_add3_u32 v34, v34, v38, v37
	v_add3_u32 v36, v36, v40, v39
	s_delay_alu instid0(VALU_DEP_2) | instskip(NEXT) | instid1(VALU_DEP_2)
	v_lshlrev_b64 v[33:34], 1, v[33:34]
	v_lshlrev_b64 v[37:38], 1, v[35:36]
	s_delay_alu instid0(VALU_DEP_2) | instskip(NEXT) | instid1(VALU_DEP_3)
	v_add_co_u32 v35, vcc_lo, s8, v33
	v_add_co_ci_u32_e32 v36, vcc_lo, s9, v34, vcc_lo
	s_delay_alu instid0(VALU_DEP_3) | instskip(NEXT) | instid1(VALU_DEP_4)
	v_add_co_u32 v33, vcc_lo, s8, v37
	v_add_co_ci_u32_e32 v34, vcc_lo, s9, v38, vcc_lo
	s_clause 0x1
	global_load_u16 v37, v[35:36], off
	global_load_u16 v38, v[33:34], off
	s_waitcnt vmcnt(0)
	v_cmpx_eq_f16_e32 v37, v38
	s_cbranch_execz .LBB1349_172
; %bb.166:
	v_add_co_u32 v33, vcc_lo, v33, 2
	v_add_co_ci_u32_e32 v34, vcc_lo, 0, v34, vcc_lo
	v_add_co_u32 v35, vcc_lo, v35, 2
	v_add_co_ci_u32_e32 v36, vcc_lo, 0, v36, vcc_lo
	s_add_u32 s6, s22, -1
	s_addc_u32 s7, s23, -1
	s_mov_b64 s[18:19], 0
	s_mov_b32 s33, 0
                                        ; implicit-def: $sgpr34
	s_set_inst_prefetch_distance 0x1
	s_branch .LBB1349_169
	.p2align	6
.LBB1349_167:                           ;   in Loop: Header=BB1349_169 Depth=1
	global_load_u16 v37, v[35:36], off
	global_load_u16 v38, v[33:34], off
	v_add_co_u32 v33, vcc_lo, v33, 2
	v_add_co_ci_u32_e32 v34, vcc_lo, 0, v34, vcc_lo
	v_add_co_u32 v35, s2, v35, 2
	s_delay_alu instid0(VALU_DEP_1)
	v_add_co_ci_u32_e64 v36, s2, 0, v36, s2
	s_add_u32 s18, s18, 1
	s_addc_u32 s19, s19, 0
	s_and_not1_b32 s2, s34, exec_lo
	s_waitcnt vmcnt(0)
	v_cmp_neq_f16_e32 vcc_lo, v37, v38
	s_and_b32 s34, vcc_lo, exec_lo
	s_delay_alu instid0(SALU_CYCLE_1)
	s_or_b32 s34, s2, s34
.LBB1349_168:                           ;   in Loop: Header=BB1349_169 Depth=1
	v_dual_mov_b32 v38, s19 :: v_dual_mov_b32 v37, s18
	s_and_b32 s2, exec_lo, s34
	s_delay_alu instid0(SALU_CYCLE_1) | instskip(NEXT) | instid1(SALU_CYCLE_1)
	s_or_b32 s33, s2, s33
	s_and_not1_b32 exec_lo, exec_lo, s33
	s_cbranch_execz .LBB1349_171
.LBB1349_169:                           ; =>This Inner Loop Header: Depth=1
	s_or_b32 s34, s34, exec_lo
	s_cmp_eq_u64 s[6:7], s[18:19]
	s_cbranch_scc0 .LBB1349_167
; %bb.170:                              ;   in Loop: Header=BB1349_169 Depth=1
	s_mov_b64 s[18:19], s[22:23]
                                        ; implicit-def: $vgpr33_vgpr34
                                        ; implicit-def: $vgpr35_vgpr36
	s_branch .LBB1349_168
.LBB1349_171:
	s_set_inst_prefetch_distance 0x2
	s_or_b32 exec_lo, exec_lo, s33
	v_cmp_gt_i64_e32 vcc_lo, s[22:23], v[37:38]
	s_or_not1_b32 s2, vcc_lo, exec_lo
.LBB1349_172:
	s_or_b32 exec_lo, exec_lo, s29
.LBB1349_173:
	s_delay_alu instid0(SALU_CYCLE_1)
	s_and_b32 s29, s2, exec_lo
.LBB1349_174:
	s_or_b32 exec_lo, exec_lo, s31
	v_or_b32_e32 v33, 2, v55
	s_mov_b32 s31, exec_lo
	s_delay_alu instid0(VALU_DEP_1)
	v_cmpx_gt_u32_e64 s28, v33
	s_cbranch_execz .LBB1349_185
; %bb.175:
	v_cmp_ne_u32_e32 vcc_lo, 1, v41
	s_mov_b32 s2, 0
	s_cbranch_vccnz .LBB1349_184
; %bb.176:
	v_mul_lo_u32 v37, v32, s22
	v_mul_lo_u32 v38, v31, s23
	v_mad_u64_u32 v[33:34], null, v31, s22, 0
	v_mul_lo_u32 v39, v26, s22
	v_mul_lo_u32 v40, v25, s23
	s_waitcnt lgkmcnt(0)
	v_mad_u64_u32 v[35:36], null, v25, s22, 0
	s_mov_b32 s2, -1
	s_mov_b32 s30, exec_lo
	s_delay_alu instid0(VALU_DEP_4) | instskip(NEXT) | instid1(VALU_DEP_2)
	v_add3_u32 v34, v34, v38, v37
	v_add3_u32 v36, v36, v40, v39
	s_delay_alu instid0(VALU_DEP_2) | instskip(NEXT) | instid1(VALU_DEP_2)
	v_lshlrev_b64 v[33:34], 1, v[33:34]
	v_lshlrev_b64 v[37:38], 1, v[35:36]
	s_delay_alu instid0(VALU_DEP_2) | instskip(NEXT) | instid1(VALU_DEP_3)
	v_add_co_u32 v35, vcc_lo, s8, v33
	v_add_co_ci_u32_e32 v36, vcc_lo, s9, v34, vcc_lo
	s_delay_alu instid0(VALU_DEP_3) | instskip(NEXT) | instid1(VALU_DEP_4)
	v_add_co_u32 v33, vcc_lo, s8, v37
	v_add_co_ci_u32_e32 v34, vcc_lo, s9, v38, vcc_lo
	s_clause 0x1
	global_load_u16 v37, v[35:36], off
	global_load_u16 v38, v[33:34], off
	s_waitcnt vmcnt(0)
	v_cmpx_eq_f16_e32 v37, v38
	s_cbranch_execz .LBB1349_183
; %bb.177:
	v_add_co_u32 v33, vcc_lo, v33, 2
	v_add_co_ci_u32_e32 v34, vcc_lo, 0, v34, vcc_lo
	v_add_co_u32 v35, vcc_lo, v35, 2
	v_add_co_ci_u32_e32 v36, vcc_lo, 0, v36, vcc_lo
	s_add_u32 s6, s22, -1
	s_addc_u32 s7, s23, -1
	s_mov_b64 s[18:19], 0
	s_mov_b32 s33, 0
                                        ; implicit-def: $sgpr34
	s_set_inst_prefetch_distance 0x1
	s_branch .LBB1349_180
	.p2align	6
.LBB1349_178:                           ;   in Loop: Header=BB1349_180 Depth=1
	global_load_u16 v37, v[35:36], off
	global_load_u16 v38, v[33:34], off
	v_add_co_u32 v33, vcc_lo, v33, 2
	v_add_co_ci_u32_e32 v34, vcc_lo, 0, v34, vcc_lo
	v_add_co_u32 v35, s2, v35, 2
	s_delay_alu instid0(VALU_DEP_1)
	v_add_co_ci_u32_e64 v36, s2, 0, v36, s2
	s_add_u32 s18, s18, 1
	s_addc_u32 s19, s19, 0
	s_and_not1_b32 s2, s34, exec_lo
	s_waitcnt vmcnt(0)
	v_cmp_neq_f16_e32 vcc_lo, v37, v38
	s_and_b32 s34, vcc_lo, exec_lo
	s_delay_alu instid0(SALU_CYCLE_1)
	s_or_b32 s34, s2, s34
.LBB1349_179:                           ;   in Loop: Header=BB1349_180 Depth=1
	v_dual_mov_b32 v38, s19 :: v_dual_mov_b32 v37, s18
	s_and_b32 s2, exec_lo, s34
	s_delay_alu instid0(SALU_CYCLE_1) | instskip(NEXT) | instid1(SALU_CYCLE_1)
	s_or_b32 s33, s2, s33
	s_and_not1_b32 exec_lo, exec_lo, s33
	s_cbranch_execz .LBB1349_182
.LBB1349_180:                           ; =>This Inner Loop Header: Depth=1
	s_or_b32 s34, s34, exec_lo
	s_cmp_eq_u64 s[6:7], s[18:19]
	s_cbranch_scc0 .LBB1349_178
; %bb.181:                              ;   in Loop: Header=BB1349_180 Depth=1
	s_mov_b64 s[18:19], s[22:23]
                                        ; implicit-def: $vgpr33_vgpr34
                                        ; implicit-def: $vgpr35_vgpr36
	s_branch .LBB1349_179
.LBB1349_182:
	s_set_inst_prefetch_distance 0x2
	s_or_b32 exec_lo, exec_lo, s33
	v_cmp_gt_i64_e32 vcc_lo, s[22:23], v[37:38]
	s_or_not1_b32 s2, vcc_lo, exec_lo
.LBB1349_183:
	s_or_b32 exec_lo, exec_lo, s30
.LBB1349_184:
	s_delay_alu instid0(SALU_CYCLE_1)
	s_and_b32 s30, s2, exec_lo
.LBB1349_185:
	s_or_b32 exec_lo, exec_lo, s31
	v_or_b32_e32 v33, 1, v55
	s_mov_b32 s2, 0
	s_mov_b32 s31, exec_lo
	s_delay_alu instid0(VALU_DEP_1)
	v_cmpx_gt_u32_e64 s28, v33
	s_cbranch_execz .LBB1349_196
; %bb.186:
	v_cmp_ne_u32_e32 vcc_lo, 1, v41
	s_cbranch_vccnz .LBB1349_195
; %bb.187:
	v_mul_lo_u32 v37, v30, s22
	v_mul_lo_u32 v38, v29, s23
	v_mad_u64_u32 v[33:34], null, v29, s22, 0
	v_mul_lo_u32 v39, v32, s22
	v_mul_lo_u32 v40, v31, s23
	s_waitcnt lgkmcnt(0)
	v_mad_u64_u32 v[35:36], null, v31, s22, 0
	s_mov_b32 s2, -1
	s_mov_b32 s33, exec_lo
	s_delay_alu instid0(VALU_DEP_4) | instskip(NEXT) | instid1(VALU_DEP_2)
	v_add3_u32 v34, v34, v38, v37
	v_add3_u32 v36, v36, v40, v39
	s_delay_alu instid0(VALU_DEP_2) | instskip(NEXT) | instid1(VALU_DEP_2)
	v_lshlrev_b64 v[33:34], 1, v[33:34]
	v_lshlrev_b64 v[37:38], 1, v[35:36]
	s_delay_alu instid0(VALU_DEP_2) | instskip(NEXT) | instid1(VALU_DEP_3)
	v_add_co_u32 v35, vcc_lo, s8, v33
	v_add_co_ci_u32_e32 v36, vcc_lo, s9, v34, vcc_lo
	s_delay_alu instid0(VALU_DEP_3) | instskip(NEXT) | instid1(VALU_DEP_4)
	v_add_co_u32 v33, vcc_lo, s8, v37
	v_add_co_ci_u32_e32 v34, vcc_lo, s9, v38, vcc_lo
	s_clause 0x1
	global_load_u16 v37, v[35:36], off
	global_load_u16 v38, v[33:34], off
	s_waitcnt vmcnt(0)
	v_cmpx_eq_f16_e32 v37, v38
	s_cbranch_execz .LBB1349_194
; %bb.188:
	v_add_co_u32 v33, vcc_lo, v33, 2
	v_add_co_ci_u32_e32 v34, vcc_lo, 0, v34, vcc_lo
	v_add_co_u32 v35, vcc_lo, v35, 2
	v_add_co_ci_u32_e32 v36, vcc_lo, 0, v36, vcc_lo
	s_add_u32 s6, s22, -1
	s_addc_u32 s7, s23, -1
	s_mov_b64 s[18:19], 0
	s_mov_b32 s34, 0
                                        ; implicit-def: $sgpr35
	s_set_inst_prefetch_distance 0x1
	s_branch .LBB1349_191
	.p2align	6
.LBB1349_189:                           ;   in Loop: Header=BB1349_191 Depth=1
	global_load_u16 v37, v[35:36], off
	global_load_u16 v38, v[33:34], off
	v_add_co_u32 v33, vcc_lo, v33, 2
	v_add_co_ci_u32_e32 v34, vcc_lo, 0, v34, vcc_lo
	v_add_co_u32 v35, s2, v35, 2
	s_delay_alu instid0(VALU_DEP_1)
	v_add_co_ci_u32_e64 v36, s2, 0, v36, s2
	s_add_u32 s18, s18, 1
	s_addc_u32 s19, s19, 0
	s_and_not1_b32 s2, s35, exec_lo
	s_waitcnt vmcnt(0)
	v_cmp_neq_f16_e32 vcc_lo, v37, v38
	s_and_b32 s35, vcc_lo, exec_lo
	s_delay_alu instid0(SALU_CYCLE_1)
	s_or_b32 s35, s2, s35
.LBB1349_190:                           ;   in Loop: Header=BB1349_191 Depth=1
	v_dual_mov_b32 v38, s19 :: v_dual_mov_b32 v37, s18
	s_and_b32 s2, exec_lo, s35
	s_delay_alu instid0(SALU_CYCLE_1) | instskip(NEXT) | instid1(SALU_CYCLE_1)
	s_or_b32 s34, s2, s34
	s_and_not1_b32 exec_lo, exec_lo, s34
	s_cbranch_execz .LBB1349_193
.LBB1349_191:                           ; =>This Inner Loop Header: Depth=1
	s_or_b32 s35, s35, exec_lo
	s_cmp_eq_u64 s[6:7], s[18:19]
	s_cbranch_scc0 .LBB1349_189
; %bb.192:                              ;   in Loop: Header=BB1349_191 Depth=1
	s_mov_b64 s[18:19], s[22:23]
                                        ; implicit-def: $vgpr33_vgpr34
                                        ; implicit-def: $vgpr35_vgpr36
	s_branch .LBB1349_190
.LBB1349_193:
	s_set_inst_prefetch_distance 0x2
	s_or_b32 exec_lo, exec_lo, s34
	v_cmp_gt_i64_e32 vcc_lo, s[22:23], v[37:38]
	s_or_not1_b32 s2, vcc_lo, exec_lo
.LBB1349_194:
	s_or_b32 exec_lo, exec_lo, s33
.LBB1349_195:
	s_delay_alu instid0(SALU_CYCLE_1)
	s_and_b32 s2, s2, exec_lo
.LBB1349_196:
	s_or_b32 exec_lo, exec_lo, s31
	s_waitcnt lgkmcnt(0)
	v_dual_mov_b32 v34, s5 :: v_dual_mov_b32 v33, s4
	s_mov_b32 s4, exec_lo
	s_barrier
	buffer_gl0_inv
	v_cmpx_ne_u32_e32 0, v0
	s_cbranch_execz .LBB1349_198
; %bb.197:
	v_add_nc_u32_e32 v33, -8, v55
	ds_load_b64 v[33:34], v33
.LBB1349_198:
	s_or_b32 exec_lo, exec_lo, s4
	v_cndmask_b32_e64 v36, 0, 1, s29
	v_cndmask_b32_e64 v38, 0, 1, s25
	;; [unrolled: 1-line block ×7, first 2 shown]
	v_lshlrev_b16 v36, 8, v36
	v_lshlrev_b16 v38, 8, v38
	;; [unrolled: 1-line block ×3, first 2 shown]
	s_mov_b32 s2, 0
	v_lshlrev_b16 v42, 8, v42
	v_or_b32_e32 v35, v35, v36
	v_or_b32_e32 v36, v37, v38
	;; [unrolled: 1-line block ×3, first 2 shown]
	s_mov_b32 s3, exec_lo
	v_and_b32_e32 v39, 0xffff, v42
	v_lshlrev_b32_e32 v40, 16, v35
	v_and_b32_e32 v42, 0xffff, v36
	v_lshlrev_b32_e32 v43, 16, v37
	v_cmpx_gt_u32_e64 s28, v55
	s_cbranch_execz .LBB1349_209
; %bb.199:
	v_cmp_ne_u32_e32 vcc_lo, 1, v41
	s_cbranch_vccnz .LBB1349_208
; %bb.200:
	s_waitcnt lgkmcnt(0)
	v_mul_lo_u32 v38, v34, s22
	v_mul_lo_u32 v41, v33, s23
	v_mad_u64_u32 v[34:35], null, v33, s22, 0
	v_mul_lo_u32 v33, v30, s22
	v_mul_lo_u32 v44, v29, s23
	v_mad_u64_u32 v[36:37], null, v29, s22, 0
	s_mov_b32 s2, -1
	s_mov_b32 s18, exec_lo
	s_delay_alu instid0(VALU_DEP_4) | instskip(NEXT) | instid1(VALU_DEP_2)
	v_add3_u32 v35, v35, v41, v38
	v_add3_u32 v37, v37, v44, v33
	s_delay_alu instid0(VALU_DEP_2) | instskip(NEXT) | instid1(VALU_DEP_2)
	v_lshlrev_b64 v[33:34], 1, v[34:35]
	v_lshlrev_b64 v[37:38], 1, v[36:37]
	s_delay_alu instid0(VALU_DEP_2) | instskip(NEXT) | instid1(VALU_DEP_3)
	v_add_co_u32 v35, vcc_lo, s8, v33
	v_add_co_ci_u32_e32 v36, vcc_lo, s9, v34, vcc_lo
	s_delay_alu instid0(VALU_DEP_3) | instskip(NEXT) | instid1(VALU_DEP_4)
	v_add_co_u32 v33, vcc_lo, s8, v37
	v_add_co_ci_u32_e32 v34, vcc_lo, s9, v38, vcc_lo
	s_clause 0x1
	global_load_u16 v37, v[35:36], off
	global_load_u16 v38, v[33:34], off
	s_waitcnt vmcnt(0)
	v_cmpx_eq_f16_e32 v37, v38
	s_cbranch_execz .LBB1349_207
; %bb.201:
	v_add_co_u32 v33, vcc_lo, v33, 2
	v_add_co_ci_u32_e32 v34, vcc_lo, 0, v34, vcc_lo
	v_add_co_u32 v35, vcc_lo, v35, 2
	v_add_co_ci_u32_e32 v36, vcc_lo, 0, v36, vcc_lo
	s_add_u32 s4, s22, -1
	s_addc_u32 s5, s23, -1
	s_mov_b64 s[6:7], 0
	s_mov_b32 s19, 0
                                        ; implicit-def: $sgpr25
	s_set_inst_prefetch_distance 0x1
	s_branch .LBB1349_204
	.p2align	6
.LBB1349_202:                           ;   in Loop: Header=BB1349_204 Depth=1
	global_load_u16 v37, v[35:36], off
	global_load_u16 v38, v[33:34], off
	v_add_co_u32 v33, vcc_lo, v33, 2
	v_add_co_ci_u32_e32 v34, vcc_lo, 0, v34, vcc_lo
	v_add_co_u32 v35, s2, v35, 2
	s_delay_alu instid0(VALU_DEP_1)
	v_add_co_ci_u32_e64 v36, s2, 0, v36, s2
	s_add_u32 s6, s6, 1
	s_addc_u32 s7, s7, 0
	s_and_not1_b32 s2, s25, exec_lo
	s_waitcnt vmcnt(0)
	v_cmp_neq_f16_e32 vcc_lo, v37, v38
	s_and_b32 s25, vcc_lo, exec_lo
	s_delay_alu instid0(SALU_CYCLE_1)
	s_or_b32 s25, s2, s25
.LBB1349_203:                           ;   in Loop: Header=BB1349_204 Depth=1
	v_dual_mov_b32 v38, s7 :: v_dual_mov_b32 v37, s6
	s_and_b32 s2, exec_lo, s25
	s_delay_alu instid0(SALU_CYCLE_1) | instskip(NEXT) | instid1(SALU_CYCLE_1)
	s_or_b32 s19, s2, s19
	s_and_not1_b32 exec_lo, exec_lo, s19
	s_cbranch_execz .LBB1349_206
.LBB1349_204:                           ; =>This Inner Loop Header: Depth=1
	s_or_b32 s25, s25, exec_lo
	s_cmp_eq_u64 s[4:5], s[6:7]
	s_cbranch_scc0 .LBB1349_202
; %bb.205:                              ;   in Loop: Header=BB1349_204 Depth=1
	s_mov_b64 s[6:7], s[22:23]
                                        ; implicit-def: $vgpr33_vgpr34
                                        ; implicit-def: $vgpr35_vgpr36
	s_branch .LBB1349_203
.LBB1349_206:
	s_set_inst_prefetch_distance 0x2
	s_or_b32 exec_lo, exec_lo, s19
	v_cmp_gt_i64_e32 vcc_lo, s[22:23], v[37:38]
	s_or_not1_b32 s2, vcc_lo, exec_lo
.LBB1349_207:
	s_or_b32 exec_lo, exec_lo, s18
.LBB1349_208:
	s_delay_alu instid0(SALU_CYCLE_1)
	s_and_b32 s2, s2, exec_lo
.LBB1349_209:
	s_or_b32 exec_lo, exec_lo, s3
	s_waitcnt lgkmcnt(0)
	v_or_b32_e32 v33, v39, v40
	v_or_b32_e32 v34, v42, v43
.LBB1349_210:
	s_waitcnt lgkmcnt(0)
	s_mov_b32 s3, -1
	s_cbranch_execnz .LBB1349_379
.LBB1349_211:
	v_cmp_gt_i64_e64 s18, s[22:23], 0
	s_and_b32 vcc_lo, exec_lo, s20
	ds_store_b64 v55, v[19:20]
	s_cbranch_vccz .LBB1349_219
; %bb.212:
	v_mul_lo_u32 v35, v18, s22
	v_mul_lo_u32 v36, v17, s23
	v_mad_u64_u32 v[33:34], null, v17, s22, 0
	s_mov_b32 s19, 0
	s_and_not1_b32 vcc_lo, exec_lo, s18
	s_mov_b32 s25, 0
	s_delay_alu instid0(VALU_DEP_1) | instskip(NEXT) | instid1(VALU_DEP_1)
	v_add3_u32 v34, v34, v36, v35
	v_lshlrev_b64 v[33:34], 1, v[33:34]
	s_cbranch_vccnz .LBB1349_222
; %bb.213:
	v_mul_lo_u32 v37, v20, s22
	v_mul_lo_u32 v38, v19, s23
	v_mad_u64_u32 v[35:36], null, v19, s22, 0
	s_mov_b32 s25, -1
	s_mov_b32 s26, exec_lo
	s_delay_alu instid0(VALU_DEP_1) | instskip(SKIP_2) | instid1(VALU_DEP_3)
	v_add3_u32 v36, v36, v38, v37
	v_add_co_u32 v37, vcc_lo, s8, v33
	v_add_co_ci_u32_e32 v38, vcc_lo, s9, v34, vcc_lo
	v_lshlrev_b64 v[35:36], 1, v[35:36]
	s_delay_alu instid0(VALU_DEP_1) | instskip(NEXT) | instid1(VALU_DEP_2)
	v_add_co_u32 v35, vcc_lo, s8, v35
	v_add_co_ci_u32_e32 v36, vcc_lo, s9, v36, vcc_lo
	s_clause 0x1
	global_load_u16 v39, v[37:38], off
	global_load_u16 v40, v[35:36], off
	s_waitcnt vmcnt(0)
	v_cmpx_eq_f16_e32 v39, v40
	s_cbranch_execz .LBB1349_221
; %bb.214:
	v_add_co_u32 v35, vcc_lo, v35, 2
	v_add_co_ci_u32_e32 v36, vcc_lo, 0, v36, vcc_lo
	v_add_co_u32 v37, vcc_lo, v37, 2
	v_add_co_ci_u32_e32 v38, vcc_lo, 0, v38, vcc_lo
	s_add_u32 s4, s22, -1
	s_addc_u32 s5, s23, -1
	s_mov_b64 s[6:7], 0
	s_mov_b32 s25, 0
                                        ; implicit-def: $sgpr27
	s_set_inst_prefetch_distance 0x1
	s_branch .LBB1349_217
	.p2align	6
.LBB1349_215:                           ;   in Loop: Header=BB1349_217 Depth=1
	global_load_u16 v39, v[37:38], off
	global_load_u16 v40, v[35:36], off
	v_add_co_u32 v35, vcc_lo, v35, 2
	v_add_co_ci_u32_e32 v36, vcc_lo, 0, v36, vcc_lo
	v_add_co_u32 v37, s2, v37, 2
	s_delay_alu instid0(VALU_DEP_1)
	v_add_co_ci_u32_e64 v38, s2, 0, v38, s2
	s_add_u32 s6, s6, 1
	s_addc_u32 s7, s7, 0
	s_and_not1_b32 s2, s27, exec_lo
	s_waitcnt vmcnt(0)
	v_cmp_neq_f16_e32 vcc_lo, v39, v40
	s_and_b32 s27, vcc_lo, exec_lo
	s_delay_alu instid0(SALU_CYCLE_1)
	s_or_b32 s27, s2, s27
.LBB1349_216:                           ;   in Loop: Header=BB1349_217 Depth=1
	v_dual_mov_b32 v40, s7 :: v_dual_mov_b32 v39, s6
	s_and_b32 s2, exec_lo, s27
	s_delay_alu instid0(SALU_CYCLE_1) | instskip(NEXT) | instid1(SALU_CYCLE_1)
	s_or_b32 s25, s2, s25
	s_and_not1_b32 exec_lo, exec_lo, s25
	s_cbranch_execz .LBB1349_220
.LBB1349_217:                           ; =>This Inner Loop Header: Depth=1
	s_or_b32 s27, s27, exec_lo
	s_cmp_eq_u64 s[4:5], s[6:7]
	s_cbranch_scc0 .LBB1349_215
; %bb.218:                              ;   in Loop: Header=BB1349_217 Depth=1
	s_mov_b64 s[6:7], s[22:23]
                                        ; implicit-def: $vgpr35_vgpr36
                                        ; implicit-def: $vgpr37_vgpr38
	s_branch .LBB1349_216
.LBB1349_219:
                                        ; implicit-def: $sgpr2
                                        ; implicit-def: $vgpr34
	s_cbranch_execnz .LBB1349_288
	s_branch .LBB1349_379
.LBB1349_220:
	s_set_inst_prefetch_distance 0x2
	s_or_b32 exec_lo, exec_lo, s25
	v_cmp_gt_i64_e32 vcc_lo, s[22:23], v[39:40]
	s_or_not1_b32 s25, vcc_lo, exec_lo
.LBB1349_221:
	s_or_b32 exec_lo, exec_lo, s26
.LBB1349_222:
	v_mul_lo_u32 v37, v24, s22
	v_mul_lo_u32 v38, v23, s23
	v_mad_u64_u32 v[35:36], null, v23, s22, 0
	s_and_not1_b32 vcc_lo, exec_lo, s18
	s_delay_alu instid0(VALU_DEP_1) | instskip(NEXT) | instid1(VALU_DEP_1)
	v_add3_u32 v36, v36, v38, v37
	v_lshlrev_b64 v[35:36], 1, v[35:36]
	s_cbranch_vccnz .LBB1349_231
; %bb.223:
	s_delay_alu instid0(VALU_DEP_1) | instskip(NEXT) | instid1(VALU_DEP_2)
	v_add_co_u32 v37, vcc_lo, s8, v35
	v_add_co_ci_u32_e32 v38, vcc_lo, s9, v36, vcc_lo
	v_add_co_u32 v33, vcc_lo, s8, v33
	v_add_co_ci_u32_e32 v34, vcc_lo, s9, v34, vcc_lo
	s_mov_b32 s19, -1
	s_clause 0x1
	global_load_u16 v39, v[37:38], off
	global_load_u16 v40, v[33:34], off
	s_mov_b32 s26, exec_lo
	s_waitcnt vmcnt(0)
	v_cmpx_eq_f16_e32 v39, v40
	s_cbranch_execz .LBB1349_230
; %bb.224:
	v_add_co_u32 v33, vcc_lo, v33, 2
	v_add_co_ci_u32_e32 v34, vcc_lo, 0, v34, vcc_lo
	v_add_co_u32 v37, vcc_lo, v37, 2
	v_add_co_ci_u32_e32 v38, vcc_lo, 0, v38, vcc_lo
	s_add_u32 s4, s22, -1
	s_addc_u32 s5, s23, -1
	s_mov_b64 s[6:7], 0
	s_mov_b32 s19, 0
                                        ; implicit-def: $sgpr27
	s_set_inst_prefetch_distance 0x1
	s_branch .LBB1349_227
	.p2align	6
.LBB1349_225:                           ;   in Loop: Header=BB1349_227 Depth=1
	global_load_u16 v39, v[37:38], off
	global_load_u16 v40, v[33:34], off
	v_add_co_u32 v33, vcc_lo, v33, 2
	v_add_co_ci_u32_e32 v34, vcc_lo, 0, v34, vcc_lo
	v_add_co_u32 v37, s2, v37, 2
	s_delay_alu instid0(VALU_DEP_1)
	v_add_co_ci_u32_e64 v38, s2, 0, v38, s2
	s_add_u32 s6, s6, 1
	s_addc_u32 s7, s7, 0
	s_and_not1_b32 s2, s27, exec_lo
	s_waitcnt vmcnt(0)
	v_cmp_neq_f16_e32 vcc_lo, v39, v40
	s_and_b32 s27, vcc_lo, exec_lo
	s_delay_alu instid0(SALU_CYCLE_1)
	s_or_b32 s27, s2, s27
.LBB1349_226:                           ;   in Loop: Header=BB1349_227 Depth=1
	v_dual_mov_b32 v40, s7 :: v_dual_mov_b32 v39, s6
	s_and_b32 s2, exec_lo, s27
	s_delay_alu instid0(SALU_CYCLE_1) | instskip(NEXT) | instid1(SALU_CYCLE_1)
	s_or_b32 s19, s2, s19
	s_and_not1_b32 exec_lo, exec_lo, s19
	s_cbranch_execz .LBB1349_229
.LBB1349_227:                           ; =>This Inner Loop Header: Depth=1
	s_or_b32 s27, s27, exec_lo
	s_cmp_eq_u64 s[4:5], s[6:7]
	s_cbranch_scc0 .LBB1349_225
; %bb.228:                              ;   in Loop: Header=BB1349_227 Depth=1
	s_mov_b64 s[6:7], s[22:23]
                                        ; implicit-def: $vgpr33_vgpr34
                                        ; implicit-def: $vgpr37_vgpr38
	s_branch .LBB1349_226
.LBB1349_229:
	s_set_inst_prefetch_distance 0x2
	s_or_b32 exec_lo, exec_lo, s19
	v_cmp_gt_i64_e32 vcc_lo, s[22:23], v[39:40]
	s_or_not1_b32 s19, vcc_lo, exec_lo
.LBB1349_230:
	s_or_b32 exec_lo, exec_lo, s26
.LBB1349_231:
	v_mul_lo_u32 v37, v22, s22
	v_mul_lo_u32 v38, v21, s23
	v_mad_u64_u32 v[33:34], null, v21, s22, 0
	s_mov_b32 s26, 0
	s_and_not1_b32 vcc_lo, exec_lo, s18
	s_mov_b32 s27, 0
	s_delay_alu instid0(VALU_DEP_1) | instskip(NEXT) | instid1(VALU_DEP_1)
	v_add3_u32 v34, v34, v38, v37
	v_lshlrev_b64 v[37:38], 1, v[33:34]
	s_cbranch_vccnz .LBB1349_240
; %bb.232:
	s_delay_alu instid0(VALU_DEP_1) | instskip(NEXT) | instid1(VALU_DEP_2)
	v_add_co_u32 v39, vcc_lo, s8, v37
	v_add_co_ci_u32_e32 v40, vcc_lo, s9, v38, vcc_lo
	v_add_co_u32 v33, vcc_lo, s8, v35
	v_add_co_ci_u32_e32 v34, vcc_lo, s9, v36, vcc_lo
	s_mov_b32 s27, -1
	s_clause 0x1
	global_load_u16 v35, v[39:40], off
	global_load_u16 v36, v[33:34], off
	s_mov_b32 s29, exec_lo
	s_waitcnt vmcnt(0)
	v_cmpx_eq_f16_e32 v35, v36
	s_cbranch_execz .LBB1349_239
; %bb.233:
	v_add_co_u32 v33, vcc_lo, v33, 2
	v_add_co_ci_u32_e32 v34, vcc_lo, 0, v34, vcc_lo
	v_add_co_u32 v35, vcc_lo, v39, 2
	v_add_co_ci_u32_e32 v36, vcc_lo, 0, v40, vcc_lo
	s_add_u32 s4, s22, -1
	s_addc_u32 s5, s23, -1
	s_mov_b64 s[6:7], 0
	s_mov_b32 s27, 0
                                        ; implicit-def: $sgpr30
	s_set_inst_prefetch_distance 0x1
	s_branch .LBB1349_236
	.p2align	6
.LBB1349_234:                           ;   in Loop: Header=BB1349_236 Depth=1
	global_load_u16 v39, v[35:36], off
	global_load_u16 v40, v[33:34], off
	v_add_co_u32 v33, vcc_lo, v33, 2
	v_add_co_ci_u32_e32 v34, vcc_lo, 0, v34, vcc_lo
	v_add_co_u32 v35, s2, v35, 2
	s_delay_alu instid0(VALU_DEP_1)
	v_add_co_ci_u32_e64 v36, s2, 0, v36, s2
	s_add_u32 s6, s6, 1
	s_addc_u32 s7, s7, 0
	s_and_not1_b32 s2, s30, exec_lo
	s_waitcnt vmcnt(0)
	v_cmp_neq_f16_e32 vcc_lo, v39, v40
	s_and_b32 s30, vcc_lo, exec_lo
	s_delay_alu instid0(SALU_CYCLE_1)
	s_or_b32 s30, s2, s30
.LBB1349_235:                           ;   in Loop: Header=BB1349_236 Depth=1
	v_dual_mov_b32 v40, s7 :: v_dual_mov_b32 v39, s6
	s_and_b32 s2, exec_lo, s30
	s_delay_alu instid0(SALU_CYCLE_1) | instskip(NEXT) | instid1(SALU_CYCLE_1)
	s_or_b32 s27, s2, s27
	s_and_not1_b32 exec_lo, exec_lo, s27
	s_cbranch_execz .LBB1349_238
.LBB1349_236:                           ; =>This Inner Loop Header: Depth=1
	s_or_b32 s30, s30, exec_lo
	s_cmp_eq_u64 s[4:5], s[6:7]
	s_cbranch_scc0 .LBB1349_234
; %bb.237:                              ;   in Loop: Header=BB1349_236 Depth=1
	s_mov_b64 s[6:7], s[22:23]
                                        ; implicit-def: $vgpr33_vgpr34
                                        ; implicit-def: $vgpr35_vgpr36
	s_branch .LBB1349_235
.LBB1349_238:
	s_set_inst_prefetch_distance 0x2
	s_or_b32 exec_lo, exec_lo, s27
	v_cmp_gt_i64_e32 vcc_lo, s[22:23], v[39:40]
	s_or_not1_b32 s27, vcc_lo, exec_lo
.LBB1349_239:
	s_or_b32 exec_lo, exec_lo, s29
.LBB1349_240:
	v_mul_lo_u32 v35, v28, s22
	v_mul_lo_u32 v36, v27, s23
	v_mad_u64_u32 v[33:34], null, v27, s22, 0
	s_and_not1_b32 vcc_lo, exec_lo, s18
	s_delay_alu instid0(VALU_DEP_1) | instskip(NEXT) | instid1(VALU_DEP_1)
	v_add3_u32 v34, v34, v36, v35
	v_lshlrev_b64 v[33:34], 1, v[33:34]
	s_cbranch_vccnz .LBB1349_249
; %bb.241:
	s_delay_alu instid0(VALU_DEP_1) | instskip(NEXT) | instid1(VALU_DEP_2)
	v_add_co_u32 v39, vcc_lo, s8, v33
	v_add_co_ci_u32_e32 v40, vcc_lo, s9, v34, vcc_lo
	v_add_co_u32 v35, vcc_lo, s8, v37
	v_add_co_ci_u32_e32 v36, vcc_lo, s9, v38, vcc_lo
	s_mov_b32 s26, -1
	s_clause 0x1
	global_load_u16 v37, v[39:40], off
	global_load_u16 v38, v[35:36], off
	s_mov_b32 s29, exec_lo
	s_waitcnt vmcnt(0)
	v_cmpx_eq_f16_e32 v37, v38
	s_cbranch_execz .LBB1349_248
; %bb.242:
	v_add_co_u32 v35, vcc_lo, v35, 2
	v_add_co_ci_u32_e32 v36, vcc_lo, 0, v36, vcc_lo
	v_add_co_u32 v37, vcc_lo, v39, 2
	v_add_co_ci_u32_e32 v38, vcc_lo, 0, v40, vcc_lo
	s_add_u32 s4, s22, -1
	s_addc_u32 s5, s23, -1
	s_mov_b64 s[6:7], 0
	s_mov_b32 s26, 0
                                        ; implicit-def: $sgpr30
	s_set_inst_prefetch_distance 0x1
	s_branch .LBB1349_245
	.p2align	6
.LBB1349_243:                           ;   in Loop: Header=BB1349_245 Depth=1
	global_load_u16 v39, v[37:38], off
	global_load_u16 v40, v[35:36], off
	v_add_co_u32 v35, vcc_lo, v35, 2
	v_add_co_ci_u32_e32 v36, vcc_lo, 0, v36, vcc_lo
	v_add_co_u32 v37, s2, v37, 2
	s_delay_alu instid0(VALU_DEP_1)
	v_add_co_ci_u32_e64 v38, s2, 0, v38, s2
	s_add_u32 s6, s6, 1
	s_addc_u32 s7, s7, 0
	s_and_not1_b32 s2, s30, exec_lo
	s_waitcnt vmcnt(0)
	v_cmp_neq_f16_e32 vcc_lo, v39, v40
	s_and_b32 s30, vcc_lo, exec_lo
	s_delay_alu instid0(SALU_CYCLE_1)
	s_or_b32 s30, s2, s30
.LBB1349_244:                           ;   in Loop: Header=BB1349_245 Depth=1
	v_dual_mov_b32 v40, s7 :: v_dual_mov_b32 v39, s6
	s_and_b32 s2, exec_lo, s30
	s_delay_alu instid0(SALU_CYCLE_1) | instskip(NEXT) | instid1(SALU_CYCLE_1)
	s_or_b32 s26, s2, s26
	s_and_not1_b32 exec_lo, exec_lo, s26
	s_cbranch_execz .LBB1349_247
.LBB1349_245:                           ; =>This Inner Loop Header: Depth=1
	s_or_b32 s30, s30, exec_lo
	s_cmp_eq_u64 s[4:5], s[6:7]
	s_cbranch_scc0 .LBB1349_243
; %bb.246:                              ;   in Loop: Header=BB1349_245 Depth=1
	s_mov_b64 s[6:7], s[22:23]
                                        ; implicit-def: $vgpr35_vgpr36
                                        ; implicit-def: $vgpr37_vgpr38
	s_branch .LBB1349_244
.LBB1349_247:
	s_set_inst_prefetch_distance 0x2
	s_or_b32 exec_lo, exec_lo, s26
	v_cmp_gt_i64_e32 vcc_lo, s[22:23], v[39:40]
	s_or_not1_b32 s26, vcc_lo, exec_lo
.LBB1349_248:
	s_or_b32 exec_lo, exec_lo, s29
.LBB1349_249:
	v_mul_lo_u32 v37, v26, s22
	v_mul_lo_u32 v38, v25, s23
	v_mad_u64_u32 v[35:36], null, v25, s22, 0
	s_mov_b32 s29, 0
	s_and_not1_b32 vcc_lo, exec_lo, s18
	s_mov_b32 s30, 0
	s_delay_alu instid0(VALU_DEP_1) | instskip(NEXT) | instid1(VALU_DEP_1)
	v_add3_u32 v36, v36, v38, v37
	v_lshlrev_b64 v[35:36], 1, v[35:36]
	s_cbranch_vccnz .LBB1349_258
; %bb.250:
	s_delay_alu instid0(VALU_DEP_1) | instskip(NEXT) | instid1(VALU_DEP_2)
	v_add_co_u32 v37, vcc_lo, s8, v35
	v_add_co_ci_u32_e32 v38, vcc_lo, s9, v36, vcc_lo
	v_add_co_u32 v33, vcc_lo, s8, v33
	v_add_co_ci_u32_e32 v34, vcc_lo, s9, v34, vcc_lo
	s_mov_b32 s30, -1
	s_clause 0x1
	global_load_u16 v39, v[37:38], off
	global_load_u16 v40, v[33:34], off
	s_mov_b32 s31, exec_lo
	s_waitcnt vmcnt(0)
	v_cmpx_eq_f16_e32 v39, v40
	s_cbranch_execz .LBB1349_257
; %bb.251:
	v_add_co_u32 v33, vcc_lo, v33, 2
	v_add_co_ci_u32_e32 v34, vcc_lo, 0, v34, vcc_lo
	v_add_co_u32 v37, vcc_lo, v37, 2
	v_add_co_ci_u32_e32 v38, vcc_lo, 0, v38, vcc_lo
	s_add_u32 s4, s22, -1
	s_addc_u32 s5, s23, -1
	s_mov_b64 s[6:7], 0
	s_mov_b32 s30, 0
                                        ; implicit-def: $sgpr33
	s_set_inst_prefetch_distance 0x1
	s_branch .LBB1349_254
	.p2align	6
.LBB1349_252:                           ;   in Loop: Header=BB1349_254 Depth=1
	global_load_u16 v39, v[37:38], off
	global_load_u16 v40, v[33:34], off
	v_add_co_u32 v33, vcc_lo, v33, 2
	v_add_co_ci_u32_e32 v34, vcc_lo, 0, v34, vcc_lo
	v_add_co_u32 v37, s2, v37, 2
	s_delay_alu instid0(VALU_DEP_1)
	v_add_co_ci_u32_e64 v38, s2, 0, v38, s2
	s_add_u32 s6, s6, 1
	s_addc_u32 s7, s7, 0
	s_and_not1_b32 s2, s33, exec_lo
	s_waitcnt vmcnt(0)
	v_cmp_neq_f16_e32 vcc_lo, v39, v40
	s_and_b32 s33, vcc_lo, exec_lo
	s_delay_alu instid0(SALU_CYCLE_1)
	s_or_b32 s33, s2, s33
.LBB1349_253:                           ;   in Loop: Header=BB1349_254 Depth=1
	v_dual_mov_b32 v40, s7 :: v_dual_mov_b32 v39, s6
	s_and_b32 s2, exec_lo, s33
	s_delay_alu instid0(SALU_CYCLE_1) | instskip(NEXT) | instid1(SALU_CYCLE_1)
	s_or_b32 s30, s2, s30
	s_and_not1_b32 exec_lo, exec_lo, s30
	s_cbranch_execz .LBB1349_256
.LBB1349_254:                           ; =>This Inner Loop Header: Depth=1
	s_or_b32 s33, s33, exec_lo
	s_cmp_eq_u64 s[4:5], s[6:7]
	s_cbranch_scc0 .LBB1349_252
; %bb.255:                              ;   in Loop: Header=BB1349_254 Depth=1
	s_mov_b64 s[6:7], s[22:23]
                                        ; implicit-def: $vgpr33_vgpr34
                                        ; implicit-def: $vgpr37_vgpr38
	s_branch .LBB1349_253
.LBB1349_256:
	s_set_inst_prefetch_distance 0x2
	s_or_b32 exec_lo, exec_lo, s30
	v_cmp_gt_i64_e32 vcc_lo, s[22:23], v[39:40]
	s_or_not1_b32 s30, vcc_lo, exec_lo
.LBB1349_257:
	s_or_b32 exec_lo, exec_lo, s31
.LBB1349_258:
	v_mul_lo_u32 v37, v32, s22
	v_mul_lo_u32 v38, v31, s23
	v_mad_u64_u32 v[33:34], null, v31, s22, 0
	s_and_not1_b32 vcc_lo, exec_lo, s18
	s_delay_alu instid0(VALU_DEP_1) | instskip(NEXT) | instid1(VALU_DEP_1)
	v_add3_u32 v34, v34, v38, v37
	v_lshlrev_b64 v[33:34], 1, v[33:34]
	s_cbranch_vccnz .LBB1349_267
; %bb.259:
	s_delay_alu instid0(VALU_DEP_1) | instskip(NEXT) | instid1(VALU_DEP_2)
	v_add_co_u32 v37, vcc_lo, s8, v33
	v_add_co_ci_u32_e32 v38, vcc_lo, s9, v34, vcc_lo
	v_add_co_u32 v35, vcc_lo, s8, v35
	v_add_co_ci_u32_e32 v36, vcc_lo, s9, v36, vcc_lo
	s_mov_b32 s29, -1
	s_clause 0x1
	global_load_u16 v39, v[37:38], off
	global_load_u16 v40, v[35:36], off
	s_mov_b32 s31, exec_lo
	s_waitcnt vmcnt(0)
	v_cmpx_eq_f16_e32 v39, v40
	s_cbranch_execz .LBB1349_266
; %bb.260:
	v_add_co_u32 v35, vcc_lo, v35, 2
	v_add_co_ci_u32_e32 v36, vcc_lo, 0, v36, vcc_lo
	v_add_co_u32 v37, vcc_lo, v37, 2
	v_add_co_ci_u32_e32 v38, vcc_lo, 0, v38, vcc_lo
	s_add_u32 s4, s22, -1
	s_addc_u32 s5, s23, -1
	s_mov_b64 s[6:7], 0
	s_mov_b32 s29, 0
                                        ; implicit-def: $sgpr33
	s_set_inst_prefetch_distance 0x1
	s_branch .LBB1349_263
	.p2align	6
.LBB1349_261:                           ;   in Loop: Header=BB1349_263 Depth=1
	global_load_u16 v39, v[37:38], off
	global_load_u16 v40, v[35:36], off
	v_add_co_u32 v35, vcc_lo, v35, 2
	v_add_co_ci_u32_e32 v36, vcc_lo, 0, v36, vcc_lo
	v_add_co_u32 v37, s2, v37, 2
	s_delay_alu instid0(VALU_DEP_1)
	v_add_co_ci_u32_e64 v38, s2, 0, v38, s2
	s_add_u32 s6, s6, 1
	s_addc_u32 s7, s7, 0
	s_and_not1_b32 s2, s33, exec_lo
	s_waitcnt vmcnt(0)
	v_cmp_neq_f16_e32 vcc_lo, v39, v40
	s_and_b32 s33, vcc_lo, exec_lo
	s_delay_alu instid0(SALU_CYCLE_1)
	s_or_b32 s33, s2, s33
.LBB1349_262:                           ;   in Loop: Header=BB1349_263 Depth=1
	v_dual_mov_b32 v40, s7 :: v_dual_mov_b32 v39, s6
	s_and_b32 s2, exec_lo, s33
	s_delay_alu instid0(SALU_CYCLE_1) | instskip(NEXT) | instid1(SALU_CYCLE_1)
	s_or_b32 s29, s2, s29
	s_and_not1_b32 exec_lo, exec_lo, s29
	s_cbranch_execz .LBB1349_265
.LBB1349_263:                           ; =>This Inner Loop Header: Depth=1
	s_or_b32 s33, s33, exec_lo
	s_cmp_eq_u64 s[4:5], s[6:7]
	s_cbranch_scc0 .LBB1349_261
; %bb.264:                              ;   in Loop: Header=BB1349_263 Depth=1
	s_mov_b64 s[6:7], s[22:23]
                                        ; implicit-def: $vgpr35_vgpr36
                                        ; implicit-def: $vgpr37_vgpr38
	s_branch .LBB1349_262
.LBB1349_265:
	s_set_inst_prefetch_distance 0x2
	s_or_b32 exec_lo, exec_lo, s29
	v_cmp_gt_i64_e32 vcc_lo, s[22:23], v[39:40]
	s_or_not1_b32 s29, vcc_lo, exec_lo
.LBB1349_266:
	s_or_b32 exec_lo, exec_lo, s31
.LBB1349_267:
	v_mul_lo_u32 v37, v30, s22
	v_mul_lo_u32 v38, v29, s23
	v_mad_u64_u32 v[35:36], null, v29, s22, 0
	s_and_not1_b32 vcc_lo, exec_lo, s18
	s_mov_b32 s2, 0
	s_delay_alu instid0(VALU_DEP_1)
	v_add3_u32 v36, v36, v38, v37
	s_cbranch_vccnz .LBB1349_276
; %bb.268:
	s_delay_alu instid0(VALU_DEP_1) | instskip(SKIP_2) | instid1(VALU_DEP_1)
	v_lshlrev_b64 v[37:38], 1, v[35:36]
	s_mov_b32 s2, -1
	s_mov_b32 s31, exec_lo
	v_add_co_u32 v37, vcc_lo, s8, v37
	s_delay_alu instid0(VALU_DEP_2)
	v_add_co_ci_u32_e32 v38, vcc_lo, s9, v38, vcc_lo
	v_add_co_u32 v33, vcc_lo, s8, v33
	v_add_co_ci_u32_e32 v34, vcc_lo, s9, v34, vcc_lo
	s_clause 0x1
	global_load_u16 v39, v[37:38], off
	global_load_u16 v40, v[33:34], off
	s_waitcnt vmcnt(0)
	v_cmpx_eq_f16_e32 v39, v40
	s_cbranch_execz .LBB1349_275
; %bb.269:
	v_add_co_u32 v33, vcc_lo, v33, 2
	v_add_co_ci_u32_e32 v34, vcc_lo, 0, v34, vcc_lo
	v_add_co_u32 v37, vcc_lo, v37, 2
	v_add_co_ci_u32_e32 v38, vcc_lo, 0, v38, vcc_lo
	s_add_u32 s4, s22, -1
	s_addc_u32 s5, s23, -1
	s_mov_b64 s[6:7], 0
	s_mov_b32 s33, 0
                                        ; implicit-def: $sgpr34
	s_set_inst_prefetch_distance 0x1
	s_branch .LBB1349_272
	.p2align	6
.LBB1349_270:                           ;   in Loop: Header=BB1349_272 Depth=1
	global_load_u16 v39, v[37:38], off
	global_load_u16 v40, v[33:34], off
	v_add_co_u32 v33, vcc_lo, v33, 2
	v_add_co_ci_u32_e32 v34, vcc_lo, 0, v34, vcc_lo
	v_add_co_u32 v37, s2, v37, 2
	s_delay_alu instid0(VALU_DEP_1)
	v_add_co_ci_u32_e64 v38, s2, 0, v38, s2
	s_add_u32 s6, s6, 1
	s_addc_u32 s7, s7, 0
	s_and_not1_b32 s2, s34, exec_lo
	s_waitcnt vmcnt(0)
	v_cmp_neq_f16_e32 vcc_lo, v39, v40
	s_and_b32 s34, vcc_lo, exec_lo
	s_delay_alu instid0(SALU_CYCLE_1)
	s_or_b32 s34, s2, s34
.LBB1349_271:                           ;   in Loop: Header=BB1349_272 Depth=1
	v_dual_mov_b32 v40, s7 :: v_dual_mov_b32 v39, s6
	s_and_b32 s2, exec_lo, s34
	s_delay_alu instid0(SALU_CYCLE_1) | instskip(NEXT) | instid1(SALU_CYCLE_1)
	s_or_b32 s33, s2, s33
	s_and_not1_b32 exec_lo, exec_lo, s33
	s_cbranch_execz .LBB1349_274
.LBB1349_272:                           ; =>This Inner Loop Header: Depth=1
	s_or_b32 s34, s34, exec_lo
	s_cmp_eq_u64 s[4:5], s[6:7]
	s_cbranch_scc0 .LBB1349_270
; %bb.273:                              ;   in Loop: Header=BB1349_272 Depth=1
	s_mov_b64 s[6:7], s[22:23]
                                        ; implicit-def: $vgpr33_vgpr34
                                        ; implicit-def: $vgpr37_vgpr38
	s_branch .LBB1349_271
.LBB1349_274:
	s_set_inst_prefetch_distance 0x2
	s_or_b32 exec_lo, exec_lo, s33
	v_cmp_gt_i64_e32 vcc_lo, s[22:23], v[39:40]
	s_or_not1_b32 s2, vcc_lo, exec_lo
.LBB1349_275:
	s_or_b32 exec_lo, exec_lo, s31
.LBB1349_276:
	v_cndmask_b32_e64 v34, 0, 1, s30
	v_cndmask_b32_e64 v37, 0, 1, s27
	;; [unrolled: 1-line block ×7, first 2 shown]
	v_lshlrev_b16 v37, 8, v37
	v_lshlrev_b16 v38, 8, v38
	;; [unrolled: 1-line block ×4, first 2 shown]
	s_waitcnt lgkmcnt(0)
	v_or_b32_e32 v37, v40, v37
	v_or_b32_e32 v38, v41, v38
	;; [unrolled: 1-line block ×4, first 2 shown]
	s_barrier
	v_and_b32_e32 v34, 0xffff, v37
	v_lshlrev_b32_e32 v37, 16, v38
	v_and_b32_e32 v38, 0xffff, v39
	v_lshlrev_b32_e32 v33, 16, v33
	buffer_gl0_inv
                                        ; implicit-def: $sgpr2
	s_mov_b32 s4, exec_lo
	v_or_b32_e32 v34, v34, v37
	v_or_b32_e32 v33, v38, v33
	v_cmpx_ne_u32_e32 0, v0
	s_xor_b32 s19, exec_lo, s4
	s_cbranch_execz .LBB1349_287
; %bb.277:
	s_and_not1_b32 vcc_lo, exec_lo, s18
	s_mov_b32 s2, 0
	s_cbranch_vccnz .LBB1349_286
; %bb.278:
	v_add_nc_u32_e32 v37, -8, v55
	v_lshlrev_b64 v[35:36], 1, v[35:36]
	s_mov_b32 s2, -1
	s_mov_b32 s25, exec_lo
	ds_load_b64 v[37:38], v37
	s_waitcnt lgkmcnt(0)
	v_mul_lo_u32 v40, v38, s22
	v_mul_lo_u32 v41, v37, s23
	v_mad_u64_u32 v[38:39], null, v37, s22, 0
	s_delay_alu instid0(VALU_DEP_1) | instskip(NEXT) | instid1(VALU_DEP_1)
	v_add3_u32 v39, v39, v41, v40
	v_lshlrev_b64 v[37:38], 1, v[38:39]
	s_delay_alu instid0(VALU_DEP_1) | instskip(NEXT) | instid1(VALU_DEP_2)
	v_add_co_u32 v37, vcc_lo, s8, v37
	v_add_co_ci_u32_e32 v38, vcc_lo, s9, v38, vcc_lo
	v_add_co_u32 v35, vcc_lo, s8, v35
	v_add_co_ci_u32_e32 v36, vcc_lo, s9, v36, vcc_lo
	s_clause 0x1
	global_load_u16 v39, v[37:38], off
	global_load_u16 v40, v[35:36], off
	s_waitcnt vmcnt(0)
	v_cmpx_eq_f16_e32 v39, v40
	s_cbranch_execz .LBB1349_285
; %bb.279:
	v_add_co_u32 v35, vcc_lo, v35, 2
	v_add_co_ci_u32_e32 v36, vcc_lo, 0, v36, vcc_lo
	v_add_co_u32 v37, vcc_lo, v37, 2
	v_add_co_ci_u32_e32 v38, vcc_lo, 0, v38, vcc_lo
	s_add_u32 s4, s22, -1
	s_addc_u32 s5, s23, -1
	s_mov_b64 s[6:7], 0
	s_mov_b32 s26, 0
                                        ; implicit-def: $sgpr27
	s_set_inst_prefetch_distance 0x1
	s_branch .LBB1349_282
	.p2align	6
.LBB1349_280:                           ;   in Loop: Header=BB1349_282 Depth=1
	global_load_u16 v39, v[37:38], off
	global_load_u16 v40, v[35:36], off
	v_add_co_u32 v35, vcc_lo, v35, 2
	v_add_co_ci_u32_e32 v36, vcc_lo, 0, v36, vcc_lo
	v_add_co_u32 v37, s2, v37, 2
	s_delay_alu instid0(VALU_DEP_1)
	v_add_co_ci_u32_e64 v38, s2, 0, v38, s2
	s_add_u32 s6, s6, 1
	s_addc_u32 s7, s7, 0
	s_and_not1_b32 s2, s27, exec_lo
	s_waitcnt vmcnt(0)
	v_cmp_neq_f16_e32 vcc_lo, v39, v40
	s_and_b32 s27, vcc_lo, exec_lo
	s_delay_alu instid0(SALU_CYCLE_1)
	s_or_b32 s27, s2, s27
.LBB1349_281:                           ;   in Loop: Header=BB1349_282 Depth=1
	v_dual_mov_b32 v40, s7 :: v_dual_mov_b32 v39, s6
	s_and_b32 s2, exec_lo, s27
	s_delay_alu instid0(SALU_CYCLE_1) | instskip(NEXT) | instid1(SALU_CYCLE_1)
	s_or_b32 s26, s2, s26
	s_and_not1_b32 exec_lo, exec_lo, s26
	s_cbranch_execz .LBB1349_284
.LBB1349_282:                           ; =>This Inner Loop Header: Depth=1
	s_or_b32 s27, s27, exec_lo
	s_cmp_eq_u64 s[4:5], s[6:7]
	s_cbranch_scc0 .LBB1349_280
; %bb.283:                              ;   in Loop: Header=BB1349_282 Depth=1
	s_mov_b64 s[6:7], s[22:23]
                                        ; implicit-def: $vgpr35_vgpr36
                                        ; implicit-def: $vgpr37_vgpr38
	s_branch .LBB1349_281
.LBB1349_284:
	s_set_inst_prefetch_distance 0x2
	s_or_b32 exec_lo, exec_lo, s26
	v_cmp_gt_i64_e32 vcc_lo, s[22:23], v[39:40]
	s_or_not1_b32 s2, vcc_lo, exec_lo
.LBB1349_285:
	s_or_b32 exec_lo, exec_lo, s25
.LBB1349_286:
	s_delay_alu instid0(SALU_CYCLE_1)
	s_and_b32 s2, s2, exec_lo
	s_or_b32 s3, s3, exec_lo
.LBB1349_287:
	s_or_b32 exec_lo, exec_lo, s19
	s_branch .LBB1349_379
.LBB1349_288:
	v_or_b32_e32 v33, 7, v55
	s_mov_b32 s19, 0
	s_mov_b32 s25, 0
	s_mov_b32 s26, exec_lo
	s_delay_alu instid0(VALU_DEP_1)
	v_cmpx_gt_u32_e64 s28, v33
	s_cbranch_execz .LBB1349_299
; %bb.289:
	s_and_not1_b32 vcc_lo, exec_lo, s18
	s_mov_b32 s2, 0
	s_cbranch_vccnz .LBB1349_298
; %bb.290:
	v_mul_lo_u32 v37, v18, s22
	v_mul_lo_u32 v38, v17, s23
	v_mad_u64_u32 v[33:34], null, v17, s22, 0
	v_mul_lo_u32 v39, v20, s22
	v_mul_lo_u32 v40, v19, s23
	v_mad_u64_u32 v[35:36], null, v19, s22, 0
	s_mov_b32 s2, -1
	s_mov_b32 s25, exec_lo
	s_delay_alu instid0(VALU_DEP_4) | instskip(NEXT) | instid1(VALU_DEP_2)
	v_add3_u32 v34, v34, v38, v37
	v_add3_u32 v36, v36, v40, v39
	s_delay_alu instid0(VALU_DEP_2) | instskip(NEXT) | instid1(VALU_DEP_2)
	v_lshlrev_b64 v[33:34], 1, v[33:34]
	v_lshlrev_b64 v[37:38], 1, v[35:36]
	s_delay_alu instid0(VALU_DEP_2) | instskip(NEXT) | instid1(VALU_DEP_3)
	v_add_co_u32 v35, vcc_lo, s8, v33
	v_add_co_ci_u32_e32 v36, vcc_lo, s9, v34, vcc_lo
	s_delay_alu instid0(VALU_DEP_3) | instskip(NEXT) | instid1(VALU_DEP_4)
	v_add_co_u32 v33, vcc_lo, s8, v37
	v_add_co_ci_u32_e32 v34, vcc_lo, s9, v38, vcc_lo
	s_clause 0x1
	global_load_u16 v37, v[35:36], off
	global_load_u16 v38, v[33:34], off
	s_waitcnt vmcnt(0)
	v_cmpx_eq_f16_e32 v37, v38
	s_cbranch_execz .LBB1349_297
; %bb.291:
	v_add_co_u32 v33, vcc_lo, v33, 2
	v_add_co_ci_u32_e32 v34, vcc_lo, 0, v34, vcc_lo
	v_add_co_u32 v35, vcc_lo, v35, 2
	v_add_co_ci_u32_e32 v36, vcc_lo, 0, v36, vcc_lo
	s_add_u32 s4, s22, -1
	s_addc_u32 s5, s23, -1
	s_mov_b64 s[6:7], 0
	s_mov_b32 s27, 0
                                        ; implicit-def: $sgpr29
	s_set_inst_prefetch_distance 0x1
	s_branch .LBB1349_294
	.p2align	6
.LBB1349_292:                           ;   in Loop: Header=BB1349_294 Depth=1
	global_load_u16 v37, v[35:36], off
	global_load_u16 v38, v[33:34], off
	v_add_co_u32 v33, vcc_lo, v33, 2
	v_add_co_ci_u32_e32 v34, vcc_lo, 0, v34, vcc_lo
	v_add_co_u32 v35, s2, v35, 2
	s_delay_alu instid0(VALU_DEP_1)
	v_add_co_ci_u32_e64 v36, s2, 0, v36, s2
	s_add_u32 s6, s6, 1
	s_addc_u32 s7, s7, 0
	s_and_not1_b32 s2, s29, exec_lo
	s_waitcnt vmcnt(0)
	v_cmp_neq_f16_e32 vcc_lo, v37, v38
	s_and_b32 s29, vcc_lo, exec_lo
	s_delay_alu instid0(SALU_CYCLE_1)
	s_or_b32 s29, s2, s29
.LBB1349_293:                           ;   in Loop: Header=BB1349_294 Depth=1
	v_dual_mov_b32 v38, s7 :: v_dual_mov_b32 v37, s6
	s_and_b32 s2, exec_lo, s29
	s_delay_alu instid0(SALU_CYCLE_1) | instskip(NEXT) | instid1(SALU_CYCLE_1)
	s_or_b32 s27, s2, s27
	s_and_not1_b32 exec_lo, exec_lo, s27
	s_cbranch_execz .LBB1349_296
.LBB1349_294:                           ; =>This Inner Loop Header: Depth=1
	s_or_b32 s29, s29, exec_lo
	s_cmp_eq_u64 s[4:5], s[6:7]
	s_cbranch_scc0 .LBB1349_292
; %bb.295:                              ;   in Loop: Header=BB1349_294 Depth=1
	s_mov_b64 s[6:7], s[22:23]
                                        ; implicit-def: $vgpr33_vgpr34
                                        ; implicit-def: $vgpr35_vgpr36
	s_branch .LBB1349_293
.LBB1349_296:
	s_set_inst_prefetch_distance 0x2
	s_or_b32 exec_lo, exec_lo, s27
	v_cmp_gt_i64_e32 vcc_lo, s[22:23], v[37:38]
	s_or_not1_b32 s2, vcc_lo, exec_lo
.LBB1349_297:
	s_or_b32 exec_lo, exec_lo, s25
.LBB1349_298:
	s_delay_alu instid0(SALU_CYCLE_1)
	s_and_b32 s25, s2, exec_lo
.LBB1349_299:
	s_or_b32 exec_lo, exec_lo, s26
	v_or_b32_e32 v33, 6, v55
	s_mov_b32 s26, exec_lo
	s_delay_alu instid0(VALU_DEP_1)
	v_cmpx_gt_u32_e64 s28, v33
	s_cbranch_execz .LBB1349_310
; %bb.300:
	s_and_not1_b32 vcc_lo, exec_lo, s18
	s_mov_b32 s2, 0
	s_cbranch_vccnz .LBB1349_309
; %bb.301:
	v_mul_lo_u32 v37, v24, s22
	v_mul_lo_u32 v38, v23, s23
	v_mad_u64_u32 v[33:34], null, v23, s22, 0
	v_mul_lo_u32 v39, v18, s22
	v_mul_lo_u32 v40, v17, s23
	v_mad_u64_u32 v[35:36], null, v17, s22, 0
	s_mov_b32 s2, -1
	s_mov_b32 s19, exec_lo
	s_delay_alu instid0(VALU_DEP_4) | instskip(NEXT) | instid1(VALU_DEP_2)
	v_add3_u32 v34, v34, v38, v37
	v_add3_u32 v36, v36, v40, v39
	s_delay_alu instid0(VALU_DEP_2) | instskip(NEXT) | instid1(VALU_DEP_2)
	v_lshlrev_b64 v[33:34], 1, v[33:34]
	v_lshlrev_b64 v[37:38], 1, v[35:36]
	s_delay_alu instid0(VALU_DEP_2) | instskip(NEXT) | instid1(VALU_DEP_3)
	v_add_co_u32 v35, vcc_lo, s8, v33
	v_add_co_ci_u32_e32 v36, vcc_lo, s9, v34, vcc_lo
	s_delay_alu instid0(VALU_DEP_3) | instskip(NEXT) | instid1(VALU_DEP_4)
	v_add_co_u32 v33, vcc_lo, s8, v37
	v_add_co_ci_u32_e32 v34, vcc_lo, s9, v38, vcc_lo
	s_clause 0x1
	global_load_u16 v37, v[35:36], off
	global_load_u16 v38, v[33:34], off
	s_waitcnt vmcnt(0)
	v_cmpx_eq_f16_e32 v37, v38
	s_cbranch_execz .LBB1349_308
; %bb.302:
	v_add_co_u32 v33, vcc_lo, v33, 2
	v_add_co_ci_u32_e32 v34, vcc_lo, 0, v34, vcc_lo
	v_add_co_u32 v35, vcc_lo, v35, 2
	v_add_co_ci_u32_e32 v36, vcc_lo, 0, v36, vcc_lo
	s_add_u32 s4, s22, -1
	s_addc_u32 s5, s23, -1
	s_mov_b64 s[6:7], 0
	s_mov_b32 s27, 0
                                        ; implicit-def: $sgpr29
	s_set_inst_prefetch_distance 0x1
	s_branch .LBB1349_305
	.p2align	6
.LBB1349_303:                           ;   in Loop: Header=BB1349_305 Depth=1
	global_load_u16 v37, v[35:36], off
	global_load_u16 v38, v[33:34], off
	v_add_co_u32 v33, vcc_lo, v33, 2
	v_add_co_ci_u32_e32 v34, vcc_lo, 0, v34, vcc_lo
	v_add_co_u32 v35, s2, v35, 2
	s_delay_alu instid0(VALU_DEP_1)
	v_add_co_ci_u32_e64 v36, s2, 0, v36, s2
	s_add_u32 s6, s6, 1
	s_addc_u32 s7, s7, 0
	s_and_not1_b32 s2, s29, exec_lo
	s_waitcnt vmcnt(0)
	v_cmp_neq_f16_e32 vcc_lo, v37, v38
	s_and_b32 s29, vcc_lo, exec_lo
	s_delay_alu instid0(SALU_CYCLE_1)
	s_or_b32 s29, s2, s29
.LBB1349_304:                           ;   in Loop: Header=BB1349_305 Depth=1
	v_dual_mov_b32 v38, s7 :: v_dual_mov_b32 v37, s6
	s_and_b32 s2, exec_lo, s29
	s_delay_alu instid0(SALU_CYCLE_1) | instskip(NEXT) | instid1(SALU_CYCLE_1)
	s_or_b32 s27, s2, s27
	s_and_not1_b32 exec_lo, exec_lo, s27
	s_cbranch_execz .LBB1349_307
.LBB1349_305:                           ; =>This Inner Loop Header: Depth=1
	s_or_b32 s29, s29, exec_lo
	s_cmp_eq_u64 s[4:5], s[6:7]
	s_cbranch_scc0 .LBB1349_303
; %bb.306:                              ;   in Loop: Header=BB1349_305 Depth=1
	s_mov_b64 s[6:7], s[22:23]
                                        ; implicit-def: $vgpr33_vgpr34
                                        ; implicit-def: $vgpr35_vgpr36
	s_branch .LBB1349_304
.LBB1349_307:
	s_set_inst_prefetch_distance 0x2
	s_or_b32 exec_lo, exec_lo, s27
	v_cmp_gt_i64_e32 vcc_lo, s[22:23], v[37:38]
	s_or_not1_b32 s2, vcc_lo, exec_lo
.LBB1349_308:
	s_or_b32 exec_lo, exec_lo, s19
.LBB1349_309:
	s_delay_alu instid0(SALU_CYCLE_1)
	s_and_b32 s19, s2, exec_lo
.LBB1349_310:
	s_or_b32 exec_lo, exec_lo, s26
	v_or_b32_e32 v33, 5, v55
	s_mov_b32 s26, 0
	s_mov_b32 s27, 0
	s_mov_b32 s29, exec_lo
	s_delay_alu instid0(VALU_DEP_1)
	v_cmpx_gt_u32_e64 s28, v33
	s_cbranch_execz .LBB1349_321
; %bb.311:
	s_and_not1_b32 vcc_lo, exec_lo, s18
	s_mov_b32 s2, 0
	s_cbranch_vccnz .LBB1349_320
; %bb.312:
	v_mul_lo_u32 v37, v22, s22
	v_mul_lo_u32 v38, v21, s23
	v_mad_u64_u32 v[33:34], null, v21, s22, 0
	v_mul_lo_u32 v39, v24, s22
	v_mul_lo_u32 v40, v23, s23
	v_mad_u64_u32 v[35:36], null, v23, s22, 0
	s_mov_b32 s2, -1
	s_mov_b32 s27, exec_lo
	s_delay_alu instid0(VALU_DEP_4) | instskip(NEXT) | instid1(VALU_DEP_2)
	v_add3_u32 v34, v34, v38, v37
	v_add3_u32 v36, v36, v40, v39
	s_delay_alu instid0(VALU_DEP_2) | instskip(NEXT) | instid1(VALU_DEP_2)
	v_lshlrev_b64 v[33:34], 1, v[33:34]
	v_lshlrev_b64 v[37:38], 1, v[35:36]
	s_delay_alu instid0(VALU_DEP_2) | instskip(NEXT) | instid1(VALU_DEP_3)
	v_add_co_u32 v35, vcc_lo, s8, v33
	v_add_co_ci_u32_e32 v36, vcc_lo, s9, v34, vcc_lo
	s_delay_alu instid0(VALU_DEP_3) | instskip(NEXT) | instid1(VALU_DEP_4)
	v_add_co_u32 v33, vcc_lo, s8, v37
	v_add_co_ci_u32_e32 v34, vcc_lo, s9, v38, vcc_lo
	s_clause 0x1
	global_load_u16 v37, v[35:36], off
	global_load_u16 v38, v[33:34], off
	s_waitcnt vmcnt(0)
	v_cmpx_eq_f16_e32 v37, v38
	s_cbranch_execz .LBB1349_319
; %bb.313:
	v_add_co_u32 v33, vcc_lo, v33, 2
	v_add_co_ci_u32_e32 v34, vcc_lo, 0, v34, vcc_lo
	v_add_co_u32 v35, vcc_lo, v35, 2
	v_add_co_ci_u32_e32 v36, vcc_lo, 0, v36, vcc_lo
	s_add_u32 s4, s22, -1
	s_addc_u32 s5, s23, -1
	s_mov_b64 s[6:7], 0
	s_mov_b32 s30, 0
                                        ; implicit-def: $sgpr31
	s_set_inst_prefetch_distance 0x1
	s_branch .LBB1349_316
	.p2align	6
.LBB1349_314:                           ;   in Loop: Header=BB1349_316 Depth=1
	global_load_u16 v37, v[35:36], off
	global_load_u16 v38, v[33:34], off
	v_add_co_u32 v33, vcc_lo, v33, 2
	v_add_co_ci_u32_e32 v34, vcc_lo, 0, v34, vcc_lo
	v_add_co_u32 v35, s2, v35, 2
	s_delay_alu instid0(VALU_DEP_1)
	v_add_co_ci_u32_e64 v36, s2, 0, v36, s2
	s_add_u32 s6, s6, 1
	s_addc_u32 s7, s7, 0
	s_and_not1_b32 s2, s31, exec_lo
	s_waitcnt vmcnt(0)
	v_cmp_neq_f16_e32 vcc_lo, v37, v38
	s_and_b32 s31, vcc_lo, exec_lo
	s_delay_alu instid0(SALU_CYCLE_1)
	s_or_b32 s31, s2, s31
.LBB1349_315:                           ;   in Loop: Header=BB1349_316 Depth=1
	v_dual_mov_b32 v38, s7 :: v_dual_mov_b32 v37, s6
	s_and_b32 s2, exec_lo, s31
	s_delay_alu instid0(SALU_CYCLE_1) | instskip(NEXT) | instid1(SALU_CYCLE_1)
	s_or_b32 s30, s2, s30
	s_and_not1_b32 exec_lo, exec_lo, s30
	s_cbranch_execz .LBB1349_318
.LBB1349_316:                           ; =>This Inner Loop Header: Depth=1
	s_or_b32 s31, s31, exec_lo
	s_cmp_eq_u64 s[4:5], s[6:7]
	s_cbranch_scc0 .LBB1349_314
; %bb.317:                              ;   in Loop: Header=BB1349_316 Depth=1
	s_mov_b64 s[6:7], s[22:23]
                                        ; implicit-def: $vgpr33_vgpr34
                                        ; implicit-def: $vgpr35_vgpr36
	s_branch .LBB1349_315
.LBB1349_318:
	s_set_inst_prefetch_distance 0x2
	s_or_b32 exec_lo, exec_lo, s30
	v_cmp_gt_i64_e32 vcc_lo, s[22:23], v[37:38]
	s_or_not1_b32 s2, vcc_lo, exec_lo
.LBB1349_319:
	s_or_b32 exec_lo, exec_lo, s27
.LBB1349_320:
	s_delay_alu instid0(SALU_CYCLE_1)
	s_and_b32 s27, s2, exec_lo
.LBB1349_321:
	s_or_b32 exec_lo, exec_lo, s29
	v_or_b32_e32 v33, 4, v55
	s_mov_b32 s29, exec_lo
	s_delay_alu instid0(VALU_DEP_1)
	v_cmpx_gt_u32_e64 s28, v33
	s_cbranch_execz .LBB1349_332
; %bb.322:
	s_and_not1_b32 vcc_lo, exec_lo, s18
	s_mov_b32 s2, 0
	s_cbranch_vccnz .LBB1349_331
; %bb.323:
	v_mul_lo_u32 v37, v28, s22
	v_mul_lo_u32 v38, v27, s23
	v_mad_u64_u32 v[33:34], null, v27, s22, 0
	v_mul_lo_u32 v39, v22, s22
	v_mul_lo_u32 v40, v21, s23
	v_mad_u64_u32 v[35:36], null, v21, s22, 0
	s_mov_b32 s2, -1
	s_mov_b32 s26, exec_lo
	s_delay_alu instid0(VALU_DEP_4) | instskip(NEXT) | instid1(VALU_DEP_2)
	v_add3_u32 v34, v34, v38, v37
	v_add3_u32 v36, v36, v40, v39
	s_delay_alu instid0(VALU_DEP_2) | instskip(NEXT) | instid1(VALU_DEP_2)
	v_lshlrev_b64 v[33:34], 1, v[33:34]
	v_lshlrev_b64 v[37:38], 1, v[35:36]
	s_delay_alu instid0(VALU_DEP_2) | instskip(NEXT) | instid1(VALU_DEP_3)
	v_add_co_u32 v35, vcc_lo, s8, v33
	v_add_co_ci_u32_e32 v36, vcc_lo, s9, v34, vcc_lo
	s_delay_alu instid0(VALU_DEP_3) | instskip(NEXT) | instid1(VALU_DEP_4)
	v_add_co_u32 v33, vcc_lo, s8, v37
	v_add_co_ci_u32_e32 v34, vcc_lo, s9, v38, vcc_lo
	s_clause 0x1
	global_load_u16 v37, v[35:36], off
	global_load_u16 v38, v[33:34], off
	s_waitcnt vmcnt(0)
	v_cmpx_eq_f16_e32 v37, v38
	s_cbranch_execz .LBB1349_330
; %bb.324:
	v_add_co_u32 v33, vcc_lo, v33, 2
	v_add_co_ci_u32_e32 v34, vcc_lo, 0, v34, vcc_lo
	v_add_co_u32 v35, vcc_lo, v35, 2
	v_add_co_ci_u32_e32 v36, vcc_lo, 0, v36, vcc_lo
	s_add_u32 s4, s22, -1
	s_addc_u32 s5, s23, -1
	s_mov_b64 s[6:7], 0
	s_mov_b32 s30, 0
                                        ; implicit-def: $sgpr31
	s_set_inst_prefetch_distance 0x1
	s_branch .LBB1349_327
	.p2align	6
.LBB1349_325:                           ;   in Loop: Header=BB1349_327 Depth=1
	global_load_u16 v37, v[35:36], off
	global_load_u16 v38, v[33:34], off
	v_add_co_u32 v33, vcc_lo, v33, 2
	v_add_co_ci_u32_e32 v34, vcc_lo, 0, v34, vcc_lo
	v_add_co_u32 v35, s2, v35, 2
	s_delay_alu instid0(VALU_DEP_1)
	v_add_co_ci_u32_e64 v36, s2, 0, v36, s2
	s_add_u32 s6, s6, 1
	s_addc_u32 s7, s7, 0
	s_and_not1_b32 s2, s31, exec_lo
	s_waitcnt vmcnt(0)
	v_cmp_neq_f16_e32 vcc_lo, v37, v38
	s_and_b32 s31, vcc_lo, exec_lo
	s_delay_alu instid0(SALU_CYCLE_1)
	s_or_b32 s31, s2, s31
.LBB1349_326:                           ;   in Loop: Header=BB1349_327 Depth=1
	v_dual_mov_b32 v38, s7 :: v_dual_mov_b32 v37, s6
	s_and_b32 s2, exec_lo, s31
	s_delay_alu instid0(SALU_CYCLE_1) | instskip(NEXT) | instid1(SALU_CYCLE_1)
	s_or_b32 s30, s2, s30
	s_and_not1_b32 exec_lo, exec_lo, s30
	s_cbranch_execz .LBB1349_329
.LBB1349_327:                           ; =>This Inner Loop Header: Depth=1
	s_or_b32 s31, s31, exec_lo
	s_cmp_eq_u64 s[4:5], s[6:7]
	s_cbranch_scc0 .LBB1349_325
; %bb.328:                              ;   in Loop: Header=BB1349_327 Depth=1
	s_mov_b64 s[6:7], s[22:23]
                                        ; implicit-def: $vgpr33_vgpr34
                                        ; implicit-def: $vgpr35_vgpr36
	s_branch .LBB1349_326
.LBB1349_329:
	s_set_inst_prefetch_distance 0x2
	s_or_b32 exec_lo, exec_lo, s30
	v_cmp_gt_i64_e32 vcc_lo, s[22:23], v[37:38]
	s_or_not1_b32 s2, vcc_lo, exec_lo
.LBB1349_330:
	s_or_b32 exec_lo, exec_lo, s26
.LBB1349_331:
	s_delay_alu instid0(SALU_CYCLE_1)
	s_and_b32 s26, s2, exec_lo
.LBB1349_332:
	s_or_b32 exec_lo, exec_lo, s29
	v_or_b32_e32 v33, 3, v55
	s_mov_b32 s30, 0
	s_mov_b32 s29, 0
	s_mov_b32 s31, exec_lo
	s_delay_alu instid0(VALU_DEP_1)
	v_cmpx_gt_u32_e64 s28, v33
	s_cbranch_execz .LBB1349_343
; %bb.333:
	s_and_not1_b32 vcc_lo, exec_lo, s18
	s_mov_b32 s2, 0
	s_cbranch_vccnz .LBB1349_342
; %bb.334:
	v_mul_lo_u32 v37, v26, s22
	v_mul_lo_u32 v38, v25, s23
	v_mad_u64_u32 v[33:34], null, v25, s22, 0
	v_mul_lo_u32 v39, v28, s22
	v_mul_lo_u32 v40, v27, s23
	v_mad_u64_u32 v[35:36], null, v27, s22, 0
	s_mov_b32 s2, -1
	s_mov_b32 s29, exec_lo
	s_delay_alu instid0(VALU_DEP_4) | instskip(NEXT) | instid1(VALU_DEP_2)
	v_add3_u32 v34, v34, v38, v37
	v_add3_u32 v36, v36, v40, v39
	s_delay_alu instid0(VALU_DEP_2) | instskip(NEXT) | instid1(VALU_DEP_2)
	v_lshlrev_b64 v[33:34], 1, v[33:34]
	v_lshlrev_b64 v[37:38], 1, v[35:36]
	s_delay_alu instid0(VALU_DEP_2) | instskip(NEXT) | instid1(VALU_DEP_3)
	v_add_co_u32 v35, vcc_lo, s8, v33
	v_add_co_ci_u32_e32 v36, vcc_lo, s9, v34, vcc_lo
	s_delay_alu instid0(VALU_DEP_3) | instskip(NEXT) | instid1(VALU_DEP_4)
	v_add_co_u32 v33, vcc_lo, s8, v37
	v_add_co_ci_u32_e32 v34, vcc_lo, s9, v38, vcc_lo
	s_clause 0x1
	global_load_u16 v37, v[35:36], off
	global_load_u16 v38, v[33:34], off
	s_waitcnt vmcnt(0)
	v_cmpx_eq_f16_e32 v37, v38
	s_cbranch_execz .LBB1349_341
; %bb.335:
	v_add_co_u32 v33, vcc_lo, v33, 2
	v_add_co_ci_u32_e32 v34, vcc_lo, 0, v34, vcc_lo
	v_add_co_u32 v35, vcc_lo, v35, 2
	v_add_co_ci_u32_e32 v36, vcc_lo, 0, v36, vcc_lo
	s_add_u32 s4, s22, -1
	s_addc_u32 s5, s23, -1
	s_mov_b64 s[6:7], 0
	s_mov_b32 s33, 0
                                        ; implicit-def: $sgpr34
	s_set_inst_prefetch_distance 0x1
	s_branch .LBB1349_338
	.p2align	6
.LBB1349_336:                           ;   in Loop: Header=BB1349_338 Depth=1
	global_load_u16 v37, v[35:36], off
	global_load_u16 v38, v[33:34], off
	v_add_co_u32 v33, vcc_lo, v33, 2
	v_add_co_ci_u32_e32 v34, vcc_lo, 0, v34, vcc_lo
	v_add_co_u32 v35, s2, v35, 2
	s_delay_alu instid0(VALU_DEP_1)
	v_add_co_ci_u32_e64 v36, s2, 0, v36, s2
	s_add_u32 s6, s6, 1
	s_addc_u32 s7, s7, 0
	s_and_not1_b32 s2, s34, exec_lo
	s_waitcnt vmcnt(0)
	v_cmp_neq_f16_e32 vcc_lo, v37, v38
	s_and_b32 s34, vcc_lo, exec_lo
	s_delay_alu instid0(SALU_CYCLE_1)
	s_or_b32 s34, s2, s34
.LBB1349_337:                           ;   in Loop: Header=BB1349_338 Depth=1
	v_dual_mov_b32 v38, s7 :: v_dual_mov_b32 v37, s6
	s_and_b32 s2, exec_lo, s34
	s_delay_alu instid0(SALU_CYCLE_1) | instskip(NEXT) | instid1(SALU_CYCLE_1)
	s_or_b32 s33, s2, s33
	s_and_not1_b32 exec_lo, exec_lo, s33
	s_cbranch_execz .LBB1349_340
.LBB1349_338:                           ; =>This Inner Loop Header: Depth=1
	s_or_b32 s34, s34, exec_lo
	s_cmp_eq_u64 s[4:5], s[6:7]
	s_cbranch_scc0 .LBB1349_336
; %bb.339:                              ;   in Loop: Header=BB1349_338 Depth=1
	s_mov_b64 s[6:7], s[22:23]
                                        ; implicit-def: $vgpr33_vgpr34
                                        ; implicit-def: $vgpr35_vgpr36
	s_branch .LBB1349_337
.LBB1349_340:
	s_set_inst_prefetch_distance 0x2
	s_or_b32 exec_lo, exec_lo, s33
	v_cmp_gt_i64_e32 vcc_lo, s[22:23], v[37:38]
	s_or_not1_b32 s2, vcc_lo, exec_lo
.LBB1349_341:
	s_or_b32 exec_lo, exec_lo, s29
.LBB1349_342:
	s_delay_alu instid0(SALU_CYCLE_1)
	s_and_b32 s29, s2, exec_lo
.LBB1349_343:
	s_or_b32 exec_lo, exec_lo, s31
	v_or_b32_e32 v33, 2, v55
	s_mov_b32 s31, exec_lo
	s_delay_alu instid0(VALU_DEP_1)
	v_cmpx_gt_u32_e64 s28, v33
	s_cbranch_execz .LBB1349_354
; %bb.344:
	s_and_not1_b32 vcc_lo, exec_lo, s18
	s_mov_b32 s2, 0
	s_cbranch_vccnz .LBB1349_353
; %bb.345:
	v_mul_lo_u32 v37, v32, s22
	v_mul_lo_u32 v38, v31, s23
	v_mad_u64_u32 v[33:34], null, v31, s22, 0
	v_mul_lo_u32 v39, v26, s22
	v_mul_lo_u32 v40, v25, s23
	v_mad_u64_u32 v[35:36], null, v25, s22, 0
	s_mov_b32 s2, -1
	s_mov_b32 s30, exec_lo
	s_delay_alu instid0(VALU_DEP_4) | instskip(NEXT) | instid1(VALU_DEP_2)
	v_add3_u32 v34, v34, v38, v37
	v_add3_u32 v36, v36, v40, v39
	s_delay_alu instid0(VALU_DEP_2) | instskip(NEXT) | instid1(VALU_DEP_2)
	v_lshlrev_b64 v[33:34], 1, v[33:34]
	v_lshlrev_b64 v[37:38], 1, v[35:36]
	s_delay_alu instid0(VALU_DEP_2) | instskip(NEXT) | instid1(VALU_DEP_3)
	v_add_co_u32 v35, vcc_lo, s8, v33
	v_add_co_ci_u32_e32 v36, vcc_lo, s9, v34, vcc_lo
	s_delay_alu instid0(VALU_DEP_3) | instskip(NEXT) | instid1(VALU_DEP_4)
	v_add_co_u32 v33, vcc_lo, s8, v37
	v_add_co_ci_u32_e32 v34, vcc_lo, s9, v38, vcc_lo
	s_clause 0x1
	global_load_u16 v37, v[35:36], off
	global_load_u16 v38, v[33:34], off
	s_waitcnt vmcnt(0)
	v_cmpx_eq_f16_e32 v37, v38
	s_cbranch_execz .LBB1349_352
; %bb.346:
	v_add_co_u32 v33, vcc_lo, v33, 2
	v_add_co_ci_u32_e32 v34, vcc_lo, 0, v34, vcc_lo
	v_add_co_u32 v35, vcc_lo, v35, 2
	v_add_co_ci_u32_e32 v36, vcc_lo, 0, v36, vcc_lo
	s_add_u32 s4, s22, -1
	s_addc_u32 s5, s23, -1
	s_mov_b64 s[6:7], 0
	s_mov_b32 s33, 0
                                        ; implicit-def: $sgpr34
	s_set_inst_prefetch_distance 0x1
	s_branch .LBB1349_349
	.p2align	6
.LBB1349_347:                           ;   in Loop: Header=BB1349_349 Depth=1
	global_load_u16 v37, v[35:36], off
	global_load_u16 v38, v[33:34], off
	v_add_co_u32 v33, vcc_lo, v33, 2
	v_add_co_ci_u32_e32 v34, vcc_lo, 0, v34, vcc_lo
	v_add_co_u32 v35, s2, v35, 2
	s_delay_alu instid0(VALU_DEP_1)
	v_add_co_ci_u32_e64 v36, s2, 0, v36, s2
	s_add_u32 s6, s6, 1
	s_addc_u32 s7, s7, 0
	s_and_not1_b32 s2, s34, exec_lo
	s_waitcnt vmcnt(0)
	v_cmp_neq_f16_e32 vcc_lo, v37, v38
	s_and_b32 s34, vcc_lo, exec_lo
	s_delay_alu instid0(SALU_CYCLE_1)
	s_or_b32 s34, s2, s34
.LBB1349_348:                           ;   in Loop: Header=BB1349_349 Depth=1
	v_dual_mov_b32 v38, s7 :: v_dual_mov_b32 v37, s6
	s_and_b32 s2, exec_lo, s34
	s_delay_alu instid0(SALU_CYCLE_1) | instskip(NEXT) | instid1(SALU_CYCLE_1)
	s_or_b32 s33, s2, s33
	s_and_not1_b32 exec_lo, exec_lo, s33
	s_cbranch_execz .LBB1349_351
.LBB1349_349:                           ; =>This Inner Loop Header: Depth=1
	s_or_b32 s34, s34, exec_lo
	s_cmp_eq_u64 s[4:5], s[6:7]
	s_cbranch_scc0 .LBB1349_347
; %bb.350:                              ;   in Loop: Header=BB1349_349 Depth=1
	s_mov_b64 s[6:7], s[22:23]
                                        ; implicit-def: $vgpr33_vgpr34
                                        ; implicit-def: $vgpr35_vgpr36
	s_branch .LBB1349_348
.LBB1349_351:
	s_set_inst_prefetch_distance 0x2
	s_or_b32 exec_lo, exec_lo, s33
	v_cmp_gt_i64_e32 vcc_lo, s[22:23], v[37:38]
	s_or_not1_b32 s2, vcc_lo, exec_lo
.LBB1349_352:
	s_or_b32 exec_lo, exec_lo, s30
.LBB1349_353:
	s_delay_alu instid0(SALU_CYCLE_1)
	s_and_b32 s30, s2, exec_lo
.LBB1349_354:
	s_or_b32 exec_lo, exec_lo, s31
	v_or_b32_e32 v33, 1, v55
	s_mov_b32 s2, 0
	s_mov_b32 s31, exec_lo
	s_delay_alu instid0(VALU_DEP_1)
	v_cmpx_gt_u32_e64 s28, v33
	s_cbranch_execz .LBB1349_365
; %bb.355:
	s_and_not1_b32 vcc_lo, exec_lo, s18
	s_cbranch_vccnz .LBB1349_364
; %bb.356:
	v_mul_lo_u32 v37, v30, s22
	v_mul_lo_u32 v38, v29, s23
	v_mad_u64_u32 v[33:34], null, v29, s22, 0
	v_mul_lo_u32 v39, v32, s22
	v_mul_lo_u32 v40, v31, s23
	v_mad_u64_u32 v[35:36], null, v31, s22, 0
	s_mov_b32 s2, -1
	s_mov_b32 s33, exec_lo
	s_delay_alu instid0(VALU_DEP_4) | instskip(NEXT) | instid1(VALU_DEP_2)
	v_add3_u32 v34, v34, v38, v37
	v_add3_u32 v36, v36, v40, v39
	s_delay_alu instid0(VALU_DEP_2) | instskip(NEXT) | instid1(VALU_DEP_2)
	v_lshlrev_b64 v[33:34], 1, v[33:34]
	v_lshlrev_b64 v[37:38], 1, v[35:36]
	s_delay_alu instid0(VALU_DEP_2) | instskip(NEXT) | instid1(VALU_DEP_3)
	v_add_co_u32 v35, vcc_lo, s8, v33
	v_add_co_ci_u32_e32 v36, vcc_lo, s9, v34, vcc_lo
	s_delay_alu instid0(VALU_DEP_3) | instskip(NEXT) | instid1(VALU_DEP_4)
	v_add_co_u32 v33, vcc_lo, s8, v37
	v_add_co_ci_u32_e32 v34, vcc_lo, s9, v38, vcc_lo
	s_clause 0x1
	global_load_u16 v37, v[35:36], off
	global_load_u16 v38, v[33:34], off
	s_waitcnt vmcnt(0)
	v_cmpx_eq_f16_e32 v37, v38
	s_cbranch_execz .LBB1349_363
; %bb.357:
	v_add_co_u32 v33, vcc_lo, v33, 2
	v_add_co_ci_u32_e32 v34, vcc_lo, 0, v34, vcc_lo
	v_add_co_u32 v35, vcc_lo, v35, 2
	v_add_co_ci_u32_e32 v36, vcc_lo, 0, v36, vcc_lo
	s_add_u32 s4, s22, -1
	s_addc_u32 s5, s23, -1
	s_mov_b64 s[6:7], 0
	s_mov_b32 s34, 0
                                        ; implicit-def: $sgpr35
	s_set_inst_prefetch_distance 0x1
	s_branch .LBB1349_360
	.p2align	6
.LBB1349_358:                           ;   in Loop: Header=BB1349_360 Depth=1
	global_load_u16 v37, v[35:36], off
	global_load_u16 v38, v[33:34], off
	v_add_co_u32 v33, vcc_lo, v33, 2
	v_add_co_ci_u32_e32 v34, vcc_lo, 0, v34, vcc_lo
	v_add_co_u32 v35, s2, v35, 2
	s_delay_alu instid0(VALU_DEP_1)
	v_add_co_ci_u32_e64 v36, s2, 0, v36, s2
	s_add_u32 s6, s6, 1
	s_addc_u32 s7, s7, 0
	s_and_not1_b32 s2, s35, exec_lo
	s_waitcnt vmcnt(0)
	v_cmp_neq_f16_e32 vcc_lo, v37, v38
	s_and_b32 s35, vcc_lo, exec_lo
	s_delay_alu instid0(SALU_CYCLE_1)
	s_or_b32 s35, s2, s35
.LBB1349_359:                           ;   in Loop: Header=BB1349_360 Depth=1
	v_dual_mov_b32 v38, s7 :: v_dual_mov_b32 v37, s6
	s_and_b32 s2, exec_lo, s35
	s_delay_alu instid0(SALU_CYCLE_1) | instskip(NEXT) | instid1(SALU_CYCLE_1)
	s_or_b32 s34, s2, s34
	s_and_not1_b32 exec_lo, exec_lo, s34
	s_cbranch_execz .LBB1349_362
.LBB1349_360:                           ; =>This Inner Loop Header: Depth=1
	s_or_b32 s35, s35, exec_lo
	s_cmp_eq_u64 s[4:5], s[6:7]
	s_cbranch_scc0 .LBB1349_358
; %bb.361:                              ;   in Loop: Header=BB1349_360 Depth=1
	s_mov_b64 s[6:7], s[22:23]
                                        ; implicit-def: $vgpr33_vgpr34
                                        ; implicit-def: $vgpr35_vgpr36
	s_branch .LBB1349_359
.LBB1349_362:
	s_set_inst_prefetch_distance 0x2
	s_or_b32 exec_lo, exec_lo, s34
	v_cmp_gt_i64_e32 vcc_lo, s[22:23], v[37:38]
	s_or_not1_b32 s2, vcc_lo, exec_lo
.LBB1349_363:
	s_or_b32 exec_lo, exec_lo, s33
.LBB1349_364:
	s_delay_alu instid0(SALU_CYCLE_1)
	s_and_b32 s2, s2, exec_lo
.LBB1349_365:
	s_or_b32 exec_lo, exec_lo, s31
	v_cndmask_b32_e64 v34, 0, 1, s29
	v_cndmask_b32_e64 v35, 0, 1, s27
	;; [unrolled: 1-line block ×7, first 2 shown]
	v_lshlrev_b16 v35, 8, v35
	v_lshlrev_b16 v36, 8, v36
	;; [unrolled: 1-line block ×4, first 2 shown]
	s_mov_b32 s19, exec_lo
	v_or_b32_e32 v35, v38, v35
	v_or_b32_e32 v36, v39, v36
	;; [unrolled: 1-line block ×4, first 2 shown]
	s_waitcnt lgkmcnt(0)
	v_and_b32_e32 v34, 0xffff, v35
	v_lshlrev_b32_e32 v35, 16, v36
	v_and_b32_e32 v36, 0xffff, v37
	v_lshlrev_b32_e32 v33, 16, v33
	s_barrier
	buffer_gl0_inv
	v_or_b32_e32 v34, v34, v35
                                        ; implicit-def: $sgpr2
	v_or_b32_e32 v33, v36, v33
	v_cmpx_ne_u32_e32 0, v0
	s_cbranch_execz .LBB1349_378
; %bb.366:
	s_mov_b32 s2, 0
	s_mov_b32 s25, exec_lo
	v_cmpx_gt_u32_e64 s28, v55
	s_cbranch_execz .LBB1349_377
; %bb.367:
	s_and_not1_b32 vcc_lo, exec_lo, s18
	s_cbranch_vccnz .LBB1349_376
; %bb.368:
	v_add_nc_u32_e32 v35, -8, v55
	v_mul_lo_u32 v42, v29, s23
	v_mad_u64_u32 v[38:39], null, v29, s22, 0
	s_mov_b32 s2, -1
	ds_load_b64 v[35:36], v35
	s_waitcnt lgkmcnt(0)
	v_mul_lo_u32 v40, v36, s22
	v_mul_lo_u32 v41, v35, s23
	v_mad_u64_u32 v[36:37], null, v35, s22, 0
	v_mul_lo_u32 v35, v30, s22
	s_delay_alu instid0(VALU_DEP_2) | instskip(NEXT) | instid1(VALU_DEP_2)
	v_add3_u32 v37, v37, v41, v40
	v_add3_u32 v39, v39, v42, v35
	s_delay_alu instid0(VALU_DEP_2) | instskip(NEXT) | instid1(VALU_DEP_2)
	v_lshlrev_b64 v[35:36], 1, v[36:37]
	v_lshlrev_b64 v[39:40], 1, v[38:39]
	s_delay_alu instid0(VALU_DEP_2) | instskip(NEXT) | instid1(VALU_DEP_3)
	v_add_co_u32 v37, vcc_lo, s8, v35
	v_add_co_ci_u32_e32 v38, vcc_lo, s9, v36, vcc_lo
	s_delay_alu instid0(VALU_DEP_3) | instskip(NEXT) | instid1(VALU_DEP_4)
	v_add_co_u32 v35, vcc_lo, s8, v39
	v_add_co_ci_u32_e32 v36, vcc_lo, s9, v40, vcc_lo
	s_clause 0x1
	global_load_u16 v39, v[37:38], off
	global_load_u16 v40, v[35:36], off
	s_mov_b32 s8, exec_lo
	s_waitcnt vmcnt(0)
	v_cmpx_eq_f16_e32 v39, v40
	s_cbranch_execz .LBB1349_375
; %bb.369:
	v_add_co_u32 v35, vcc_lo, v35, 2
	v_add_co_ci_u32_e32 v36, vcc_lo, 0, v36, vcc_lo
	v_add_co_u32 v37, vcc_lo, v37, 2
	v_add_co_ci_u32_e32 v38, vcc_lo, 0, v38, vcc_lo
	s_add_u32 s4, s22, -1
	s_addc_u32 s5, s23, -1
	s_mov_b64 s[6:7], 0
	s_mov_b32 s9, 0
                                        ; implicit-def: $sgpr18
	s_set_inst_prefetch_distance 0x1
	s_branch .LBB1349_372
	.p2align	6
.LBB1349_370:                           ;   in Loop: Header=BB1349_372 Depth=1
	global_load_u16 v39, v[37:38], off
	global_load_u16 v40, v[35:36], off
	v_add_co_u32 v35, vcc_lo, v35, 2
	v_add_co_ci_u32_e32 v36, vcc_lo, 0, v36, vcc_lo
	v_add_co_u32 v37, s2, v37, 2
	s_delay_alu instid0(VALU_DEP_1)
	v_add_co_ci_u32_e64 v38, s2, 0, v38, s2
	s_add_u32 s6, s6, 1
	s_addc_u32 s7, s7, 0
	s_and_not1_b32 s2, s18, exec_lo
	s_waitcnt vmcnt(0)
	v_cmp_neq_f16_e32 vcc_lo, v39, v40
	s_and_b32 s18, vcc_lo, exec_lo
	s_delay_alu instid0(SALU_CYCLE_1)
	s_or_b32 s18, s2, s18
.LBB1349_371:                           ;   in Loop: Header=BB1349_372 Depth=1
	v_dual_mov_b32 v40, s7 :: v_dual_mov_b32 v39, s6
	s_and_b32 s2, exec_lo, s18
	s_delay_alu instid0(SALU_CYCLE_1) | instskip(NEXT) | instid1(SALU_CYCLE_1)
	s_or_b32 s9, s2, s9
	s_and_not1_b32 exec_lo, exec_lo, s9
	s_cbranch_execz .LBB1349_374
.LBB1349_372:                           ; =>This Inner Loop Header: Depth=1
	s_or_b32 s18, s18, exec_lo
	s_cmp_eq_u64 s[4:5], s[6:7]
	s_cbranch_scc0 .LBB1349_370
; %bb.373:                              ;   in Loop: Header=BB1349_372 Depth=1
	s_mov_b64 s[6:7], s[22:23]
                                        ; implicit-def: $vgpr35_vgpr36
                                        ; implicit-def: $vgpr37_vgpr38
	s_branch .LBB1349_371
.LBB1349_374:
	s_set_inst_prefetch_distance 0x2
	s_or_b32 exec_lo, exec_lo, s9
	v_cmp_gt_i64_e32 vcc_lo, s[22:23], v[39:40]
	s_or_not1_b32 s2, vcc_lo, exec_lo
.LBB1349_375:
	s_or_b32 exec_lo, exec_lo, s8
.LBB1349_376:
	s_delay_alu instid0(SALU_CYCLE_1)
	s_and_b32 s2, s2, exec_lo
.LBB1349_377:
	s_or_b32 exec_lo, exec_lo, s25
	s_delay_alu instid0(SALU_CYCLE_1)
	s_and_b32 s2, s2, exec_lo
	s_or_b32 s3, s3, exec_lo
.LBB1349_378:
	s_or_b32 exec_lo, exec_lo, s19
.LBB1349_379:
	s_and_saveexec_b32 s4, s3
; %bb.380:
	v_and_b32_e32 v35, 0xffffff00, v33
	v_cndmask_b32_e64 v36, 0, 1, s2
	s_delay_alu instid0(VALU_DEP_1) | instskip(NEXT) | instid1(VALU_DEP_1)
	v_or_b32_e32 v35, v36, v35
	v_and_b32_e32 v35, 0xffff, v35
	s_delay_alu instid0(VALU_DEP_1)
	v_and_or_b32 v33, 0xffff0000, v33, v35
; %bb.381:
	s_or_b32 exec_lo, exec_lo, s4
	s_delay_alu instid0(SALU_CYCLE_1)
	s_and_not1_b32 vcc_lo, exec_lo, s21
	s_cbranch_vccnz .LBB1349_383
; %bb.382:
	v_cmp_gt_u32_e32 vcc_lo, s28, v55
	v_or_b32_e32 v36, 1, v55
	v_and_b32_e32 v37, 0xffffff00, v34
	v_or_b32_e32 v38, 2, v55
	v_cndmask_b32_e32 v35, 0, v33, vcc_lo
	s_delay_alu instid0(VALU_DEP_4) | instskip(SKIP_1) | instid1(VALU_DEP_4)
	v_cmp_gt_u32_e32 vcc_lo, s28, v36
	v_or_b32_e32 v36, 4, v55
	v_cmp_gt_u32_e64 s2, s28, v38
	v_or_b32_e32 v38, 3, v55
	v_and_b32_e32 v35, 0xff, v35
	s_delay_alu instid0(VALU_DEP_2) | instskip(NEXT) | instid1(VALU_DEP_2)
	v_cmp_gt_u32_e64 s3, s28, v38
	v_cndmask_b32_e32 v35, v35, v33, vcc_lo
	v_cmp_gt_u32_e32 vcc_lo, s28, v36
	v_cndmask_b32_e32 v36, v37, v34, vcc_lo
	v_or_b32_e32 v37, 5, v55
	s_delay_alu instid0(VALU_DEP_2) | instskip(SKIP_1) | instid1(VALU_DEP_1)
	v_and_b32_e32 v36, 0xffff00ff, v36
	v_and_b32_e32 v35, 0xffff, v35
	v_cndmask_b32_e64 v35, v35, v33, s2
	s_delay_alu instid0(VALU_DEP_4) | instskip(SKIP_1) | instid1(VALU_DEP_3)
	v_cmp_gt_u32_e64 s2, s28, v37
	v_or_b32_e32 v37, 6, v55
	v_and_b32_e32 v35, 0xffffff, v35
	s_delay_alu instid0(VALU_DEP_3) | instskip(NEXT) | instid1(VALU_DEP_2)
	v_cndmask_b32_e64 v36, v36, v34, s2
	v_cndmask_b32_e64 v35, v35, v33, s3
	s_delay_alu instid0(VALU_DEP_1) | instskip(SKIP_2) | instid1(VALU_DEP_3)
	v_dual_cndmask_b32 v35, v35, v33 :: v_dual_and_b32 v36, 0xff00ffff, v36
	v_cmp_gt_u32_e32 vcc_lo, s28, v37
	v_or_b32_e32 v37, 7, v55
	v_cndmask_b32_e64 v35, v35, v33, s2
	s_delay_alu instid0(VALU_DEP_1) | instskip(NEXT) | instid1(VALU_DEP_1)
	v_dual_cndmask_b32 v36, v36, v34 :: v_dual_cndmask_b32 v35, v35, v33
	v_and_b32_e32 v36, 0xffffff, v36
	s_delay_alu instid0(VALU_DEP_4) | instskip(NEXT) | instid1(VALU_DEP_2)
	v_cmp_gt_u32_e32 vcc_lo, s28, v37
	v_dual_cndmask_b32 v34, v36, v34 :: v_dual_cndmask_b32 v33, v35, v33
.LBB1349_383:
	s_delay_alu instid0(VALU_DEP_1) | instskip(NEXT) | instid1(VALU_DEP_2)
	v_and_b32_e32 v42, 0xff, v33
	v_alignbit_b32 v35, v34, v33, 24
	v_bfe_u32 v44, v33, 8, 8
	v_bfe_u32 v46, v33, 16, 8
	v_and_b32_e32 v50, 0xff, v34
	v_bfe_u32 v52, v34, 8, 8
	v_and_b32_e32 v48, 0xff, v35
	v_add_nc_u32_e32 v35, v44, v42
	v_mbcnt_lo_u32_b32 v57, -1, 0
	v_bfe_u32 v54, v34, 16, 8
	v_lshrrev_b32_e32 v56, 24, v34
	v_lshrrev_b32_e32 v58, 5, v0
	v_add3_u32 v35, v35, v46, v48
	v_and_b32_e32 v36, 15, v57
	v_and_b32_e32 v37, 16, v57
	s_and_b32 vcc_lo, exec_lo, s24
	s_mov_b32 s9, -1
	v_add3_u32 v35, v35, v50, v52
	v_cmp_eq_u32_e64 s4, 0, v36
	v_cmp_lt_u32_e64 s2, 1, v36
	v_cmp_lt_u32_e64 s5, 3, v36
	;; [unrolled: 1-line block ×3, first 2 shown]
	v_add3_u32 v59, v35, v54, v56
	v_or_b32_e32 v35, 31, v0
	v_cmp_eq_u32_e64 s7, 0, v37
	s_waitcnt lgkmcnt(0)
	s_barrier
	buffer_gl0_inv
	v_cmp_eq_u32_e64 s6, v35, v0
	s_cbranch_vccz .LBB1349_414
; %bb.384:
	v_mov_b32_dpp v35, v59 row_shr:1 row_mask:0xf bank_mask:0xf
	s_delay_alu instid0(VALU_DEP_1) | instskip(NEXT) | instid1(VALU_DEP_1)
	v_cndmask_b32_e64 v35, v35, 0, s4
	v_add_nc_u32_e32 v35, v35, v59
	s_delay_alu instid0(VALU_DEP_1) | instskip(NEXT) | instid1(VALU_DEP_1)
	v_mov_b32_dpp v36, v35 row_shr:2 row_mask:0xf bank_mask:0xf
	v_cndmask_b32_e64 v36, 0, v36, s2
	s_delay_alu instid0(VALU_DEP_1) | instskip(NEXT) | instid1(VALU_DEP_1)
	v_add_nc_u32_e32 v35, v35, v36
	v_mov_b32_dpp v36, v35 row_shr:4 row_mask:0xf bank_mask:0xf
	s_delay_alu instid0(VALU_DEP_1) | instskip(NEXT) | instid1(VALU_DEP_1)
	v_cndmask_b32_e64 v36, 0, v36, s5
	v_add_nc_u32_e32 v35, v35, v36
	s_delay_alu instid0(VALU_DEP_1) | instskip(NEXT) | instid1(VALU_DEP_1)
	v_mov_b32_dpp v36, v35 row_shr:8 row_mask:0xf bank_mask:0xf
	v_cndmask_b32_e64 v36, 0, v36, s3
	s_delay_alu instid0(VALU_DEP_1) | instskip(SKIP_3) | instid1(VALU_DEP_1)
	v_add_nc_u32_e32 v35, v35, v36
	ds_swizzle_b32 v36, v35 offset:swizzle(BROADCAST,32,15)
	s_waitcnt lgkmcnt(0)
	v_cndmask_b32_e64 v36, v36, 0, s7
	v_add_nc_u32_e32 v35, v35, v36
	s_and_saveexec_b32 s8, s6
	s_cbranch_execz .LBB1349_386
; %bb.385:
	v_lshlrev_b32_e32 v36, 2, v58
	ds_store_b32 v36, v35
.LBB1349_386:
	s_or_b32 exec_lo, exec_lo, s8
	s_delay_alu instid0(SALU_CYCLE_1)
	s_mov_b32 s8, exec_lo
	s_waitcnt lgkmcnt(0)
	s_barrier
	buffer_gl0_inv
	v_cmpx_gt_u32_e32 16, v0
	s_cbranch_execz .LBB1349_388
; %bb.387:
	v_lshlrev_b32_e32 v36, 2, v0
	ds_load_b32 v37, v36
	s_waitcnt lgkmcnt(0)
	v_mov_b32_dpp v38, v37 row_shr:1 row_mask:0xf bank_mask:0xf
	s_delay_alu instid0(VALU_DEP_1) | instskip(NEXT) | instid1(VALU_DEP_1)
	v_cndmask_b32_e64 v38, v38, 0, s4
	v_add_nc_u32_e32 v37, v38, v37
	s_delay_alu instid0(VALU_DEP_1) | instskip(NEXT) | instid1(VALU_DEP_1)
	v_mov_b32_dpp v38, v37 row_shr:2 row_mask:0xf bank_mask:0xf
	v_cndmask_b32_e64 v38, 0, v38, s2
	s_delay_alu instid0(VALU_DEP_1) | instskip(NEXT) | instid1(VALU_DEP_1)
	v_add_nc_u32_e32 v37, v37, v38
	v_mov_b32_dpp v38, v37 row_shr:4 row_mask:0xf bank_mask:0xf
	s_delay_alu instid0(VALU_DEP_1) | instskip(NEXT) | instid1(VALU_DEP_1)
	v_cndmask_b32_e64 v38, 0, v38, s5
	v_add_nc_u32_e32 v37, v37, v38
	s_delay_alu instid0(VALU_DEP_1) | instskip(NEXT) | instid1(VALU_DEP_1)
	v_mov_b32_dpp v38, v37 row_shr:8 row_mask:0xf bank_mask:0xf
	v_cndmask_b32_e64 v38, 0, v38, s3
	s_delay_alu instid0(VALU_DEP_1)
	v_add_nc_u32_e32 v37, v37, v38
	ds_store_b32 v36, v37
.LBB1349_388:
	s_or_b32 exec_lo, exec_lo, s8
	v_cmp_gt_u32_e32 vcc_lo, 32, v0
	s_mov_b32 s9, exec_lo
	s_waitcnt lgkmcnt(0)
	s_barrier
	buffer_gl0_inv
                                        ; implicit-def: $vgpr43
	v_cmpx_lt_u32_e32 31, v0
	s_cbranch_execz .LBB1349_390
; %bb.389:
	v_lshl_add_u32 v36, v58, 2, -4
	ds_load_b32 v43, v36
	s_waitcnt lgkmcnt(0)
	v_add_nc_u32_e32 v35, v43, v35
.LBB1349_390:
	s_or_b32 exec_lo, exec_lo, s9
	v_add_nc_u32_e32 v36, -1, v57
	s_delay_alu instid0(VALU_DEP_1) | instskip(NEXT) | instid1(VALU_DEP_1)
	v_cmp_gt_i32_e64 s8, 0, v36
	v_cndmask_b32_e64 v36, v36, v57, s8
	v_cmp_eq_u32_e64 s8, 0, v57
	s_delay_alu instid0(VALU_DEP_2)
	v_lshlrev_b32_e32 v36, 2, v36
	ds_bpermute_b32 v45, v36, v35
	s_and_saveexec_b32 s9, vcc_lo
	s_cbranch_execz .LBB1349_413
; %bb.391:
	v_mov_b32_e32 v38, 0
	ds_load_b32 v35, v38 offset:60
	s_and_saveexec_b32 s18, s8
	s_cbranch_execz .LBB1349_393
; %bb.392:
	s_add_i32 s22, s15, 32
	s_mov_b32 s23, 0
	v_mov_b32_e32 v36, 1
	s_lshl_b64 s[22:23], s[22:23], 3
	s_delay_alu instid0(SALU_CYCLE_1)
	s_add_u32 s22, s10, s22
	s_addc_u32 s23, s11, s23
	s_waitcnt lgkmcnt(0)
	global_store_b64 v38, v[35:36], s[22:23]
.LBB1349_393:
	s_or_b32 exec_lo, exec_lo, s18
	v_xad_u32 v36, v57, -1, s15
	s_mov_b32 s19, 0
	s_mov_b32 s18, exec_lo
	s_delay_alu instid0(VALU_DEP_1) | instskip(NEXT) | instid1(VALU_DEP_1)
	v_add_nc_u32_e32 v37, 32, v36
	v_lshlrev_b64 v[37:38], 3, v[37:38]
	s_delay_alu instid0(VALU_DEP_1) | instskip(NEXT) | instid1(VALU_DEP_2)
	v_add_co_u32 v40, vcc_lo, s10, v37
	v_add_co_ci_u32_e32 v41, vcc_lo, s11, v38, vcc_lo
	global_load_b64 v[38:39], v[40:41], off glc
	s_waitcnt vmcnt(0)
	v_and_b32_e32 v37, 0xff, v39
	s_delay_alu instid0(VALU_DEP_1)
	v_cmpx_eq_u16_e32 0, v37
	s_cbranch_execz .LBB1349_399
; %bb.394:
	s_mov_b32 s21, 1
	.p2align	6
.LBB1349_395:                           ; =>This Loop Header: Depth=1
                                        ;     Child Loop BB1349_396 Depth 2
	s_delay_alu instid0(SALU_CYCLE_1)
	s_max_u32 s22, s21, 1
.LBB1349_396:                           ;   Parent Loop BB1349_395 Depth=1
                                        ; =>  This Inner Loop Header: Depth=2
	s_delay_alu instid0(SALU_CYCLE_1)
	s_add_i32 s22, s22, -1
	s_sleep 1
	s_cmp_eq_u32 s22, 0
	s_cbranch_scc0 .LBB1349_396
; %bb.397:                              ;   in Loop: Header=BB1349_395 Depth=1
	global_load_b64 v[38:39], v[40:41], off glc
	s_cmp_lt_u32 s21, 32
	s_cselect_b32 s22, -1, 0
	s_delay_alu instid0(SALU_CYCLE_1) | instskip(SKIP_3) | instid1(VALU_DEP_1)
	s_cmp_lg_u32 s22, 0
	s_addc_u32 s21, s21, 0
	s_waitcnt vmcnt(0)
	v_and_b32_e32 v37, 0xff, v39
	v_cmp_ne_u16_e32 vcc_lo, 0, v37
	s_or_b32 s19, vcc_lo, s19
	s_delay_alu instid0(SALU_CYCLE_1)
	s_and_not1_b32 exec_lo, exec_lo, s19
	s_cbranch_execnz .LBB1349_395
; %bb.398:
	s_or_b32 exec_lo, exec_lo, s19
.LBB1349_399:
	s_delay_alu instid0(SALU_CYCLE_1)
	s_or_b32 exec_lo, exec_lo, s18
	v_cmp_ne_u32_e32 vcc_lo, 31, v57
	v_lshlrev_b32_e64 v49, v57, -1
	v_add_nc_u32_e32 v53, 2, v57
	v_add_nc_u32_e32 v62, 4, v57
	;; [unrolled: 1-line block ×3, first 2 shown]
	v_add_co_ci_u32_e32 v37, vcc_lo, 0, v57, vcc_lo
	v_add_nc_u32_e32 v66, 16, v57
	s_delay_alu instid0(VALU_DEP_2)
	v_lshlrev_b32_e32 v47, 2, v37
	v_and_b32_e32 v37, 0xff, v39
	ds_bpermute_b32 v40, v47, v38
	v_cmp_eq_u16_e32 vcc_lo, 2, v37
	v_and_or_b32 v37, vcc_lo, v49, 0x80000000
	v_cmp_gt_u32_e32 vcc_lo, 30, v57
	s_delay_alu instid0(VALU_DEP_2) | instskip(SKIP_1) | instid1(VALU_DEP_2)
	v_ctz_i32_b32_e32 v37, v37
	v_cndmask_b32_e64 v41, 0, 1, vcc_lo
	v_cmp_lt_u32_e32 vcc_lo, v57, v37
	s_waitcnt lgkmcnt(0)
	s_delay_alu instid0(VALU_DEP_2) | instskip(NEXT) | instid1(VALU_DEP_1)
	v_dual_cndmask_b32 v40, 0, v40 :: v_dual_lshlrev_b32 v41, 1, v41
	v_add_lshl_u32 v51, v41, v57, 2
	v_cmp_gt_u32_e32 vcc_lo, 28, v57
	s_delay_alu instid0(VALU_DEP_3) | instskip(SKIP_4) | instid1(VALU_DEP_1)
	v_add_nc_u32_e32 v38, v40, v38
	v_cndmask_b32_e64 v41, 0, 1, vcc_lo
	v_cmp_le_u32_e32 vcc_lo, v53, v37
	ds_bpermute_b32 v40, v51, v38
	v_lshlrev_b32_e32 v41, 2, v41
	v_add_lshl_u32 v60, v41, v57, 2
	s_waitcnt lgkmcnt(0)
	v_cndmask_b32_e32 v40, 0, v40, vcc_lo
	v_cmp_gt_u32_e32 vcc_lo, 24, v57
	s_delay_alu instid0(VALU_DEP_2) | instskip(SKIP_4) | instid1(VALU_DEP_1)
	v_add_nc_u32_e32 v38, v38, v40
	v_cndmask_b32_e64 v41, 0, 1, vcc_lo
	v_cmp_le_u32_e32 vcc_lo, v62, v37
	ds_bpermute_b32 v40, v60, v38
	v_lshlrev_b32_e32 v41, 3, v41
	v_add_lshl_u32 v63, v41, v57, 2
	s_waitcnt lgkmcnt(0)
	v_cndmask_b32_e32 v40, 0, v40, vcc_lo
	v_cmp_gt_u32_e32 vcc_lo, 16, v57
	s_delay_alu instid0(VALU_DEP_2) | instskip(SKIP_4) | instid1(VALU_DEP_1)
	v_add_nc_u32_e32 v38, v38, v40
	v_cndmask_b32_e64 v41, 0, 1, vcc_lo
	v_cmp_le_u32_e32 vcc_lo, v64, v37
	ds_bpermute_b32 v40, v63, v38
	v_lshlrev_b32_e32 v41, 4, v41
	v_add_lshl_u32 v65, v41, v57, 2
	s_waitcnt lgkmcnt(0)
	v_cndmask_b32_e32 v40, 0, v40, vcc_lo
	v_cmp_le_u32_e32 vcc_lo, v66, v37
	s_delay_alu instid0(VALU_DEP_2) | instskip(SKIP_3) | instid1(VALU_DEP_1)
	v_add_nc_u32_e32 v38, v38, v40
	ds_bpermute_b32 v40, v65, v38
	s_waitcnt lgkmcnt(0)
	v_cndmask_b32_e32 v37, 0, v40, vcc_lo
	v_dual_mov_b32 v37, 0 :: v_dual_add_nc_u32 v38, v38, v37
	s_branch .LBB1349_401
.LBB1349_400:                           ;   in Loop: Header=BB1349_401 Depth=1
	s_or_b32 exec_lo, exec_lo, s18
	ds_bpermute_b32 v41, v47, v38
	v_and_b32_e32 v40, 0xff, v39
	v_subrev_nc_u32_e32 v36, 32, v36
	s_delay_alu instid0(VALU_DEP_2) | instskip(SKIP_1) | instid1(VALU_DEP_1)
	v_cmp_eq_u16_e32 vcc_lo, 2, v40
	v_and_or_b32 v40, vcc_lo, v49, 0x80000000
	v_ctz_i32_b32_e32 v40, v40
	s_delay_alu instid0(VALU_DEP_1) | instskip(SKIP_3) | instid1(VALU_DEP_2)
	v_cmp_lt_u32_e32 vcc_lo, v57, v40
	s_waitcnt lgkmcnt(0)
	v_cndmask_b32_e32 v41, 0, v41, vcc_lo
	v_cmp_le_u32_e32 vcc_lo, v53, v40
	v_add_nc_u32_e32 v38, v41, v38
	ds_bpermute_b32 v41, v51, v38
	s_waitcnt lgkmcnt(0)
	v_cndmask_b32_e32 v41, 0, v41, vcc_lo
	v_cmp_le_u32_e32 vcc_lo, v62, v40
	s_delay_alu instid0(VALU_DEP_2) | instskip(SKIP_4) | instid1(VALU_DEP_2)
	v_add_nc_u32_e32 v38, v38, v41
	ds_bpermute_b32 v41, v60, v38
	s_waitcnt lgkmcnt(0)
	v_cndmask_b32_e32 v41, 0, v41, vcc_lo
	v_cmp_le_u32_e32 vcc_lo, v64, v40
	v_add_nc_u32_e32 v38, v38, v41
	ds_bpermute_b32 v41, v63, v38
	s_waitcnt lgkmcnt(0)
	v_cndmask_b32_e32 v41, 0, v41, vcc_lo
	v_cmp_le_u32_e32 vcc_lo, v66, v40
	s_delay_alu instid0(VALU_DEP_2) | instskip(SKIP_3) | instid1(VALU_DEP_1)
	v_add_nc_u32_e32 v38, v38, v41
	ds_bpermute_b32 v41, v65, v38
	s_waitcnt lgkmcnt(0)
	v_cndmask_b32_e32 v40, 0, v41, vcc_lo
	v_add3_u32 v38, v40, v61, v38
.LBB1349_401:                           ; =>This Loop Header: Depth=1
                                        ;     Child Loop BB1349_404 Depth 2
                                        ;       Child Loop BB1349_405 Depth 3
	v_and_b32_e32 v39, 0xff, v39
	s_delay_alu instid0(VALU_DEP_2) | instskip(NEXT) | instid1(VALU_DEP_2)
	v_mov_b32_e32 v61, v38
	v_cmp_ne_u16_e32 vcc_lo, 2, v39
	v_cndmask_b32_e64 v39, 0, 1, vcc_lo
	;;#ASMSTART
	;;#ASMEND
	s_delay_alu instid0(VALU_DEP_1)
	v_cmp_ne_u32_e32 vcc_lo, 0, v39
	s_cmp_lg_u32 vcc_lo, exec_lo
	s_cbranch_scc1 .LBB1349_408
; %bb.402:                              ;   in Loop: Header=BB1349_401 Depth=1
	v_lshlrev_b64 v[38:39], 3, v[36:37]
	s_mov_b32 s18, exec_lo
	s_delay_alu instid0(VALU_DEP_1) | instskip(NEXT) | instid1(VALU_DEP_2)
	v_add_co_u32 v40, vcc_lo, s10, v38
	v_add_co_ci_u32_e32 v41, vcc_lo, s11, v39, vcc_lo
	global_load_b64 v[38:39], v[40:41], off glc
	s_waitcnt vmcnt(0)
	v_and_b32_e32 v67, 0xff, v39
	s_delay_alu instid0(VALU_DEP_1)
	v_cmpx_eq_u16_e32 0, v67
	s_cbranch_execz .LBB1349_400
; %bb.403:                              ;   in Loop: Header=BB1349_401 Depth=1
	s_mov_b32 s21, 1
	s_mov_b32 s19, 0
	.p2align	6
.LBB1349_404:                           ;   Parent Loop BB1349_401 Depth=1
                                        ; =>  This Loop Header: Depth=2
                                        ;       Child Loop BB1349_405 Depth 3
	s_max_u32 s22, s21, 1
.LBB1349_405:                           ;   Parent Loop BB1349_401 Depth=1
                                        ;     Parent Loop BB1349_404 Depth=2
                                        ; =>    This Inner Loop Header: Depth=3
	s_delay_alu instid0(SALU_CYCLE_1)
	s_add_i32 s22, s22, -1
	s_sleep 1
	s_cmp_eq_u32 s22, 0
	s_cbranch_scc0 .LBB1349_405
; %bb.406:                              ;   in Loop: Header=BB1349_404 Depth=2
	global_load_b64 v[38:39], v[40:41], off glc
	s_cmp_lt_u32 s21, 32
	s_cselect_b32 s22, -1, 0
	s_delay_alu instid0(SALU_CYCLE_1) | instskip(SKIP_3) | instid1(VALU_DEP_1)
	s_cmp_lg_u32 s22, 0
	s_addc_u32 s21, s21, 0
	s_waitcnt vmcnt(0)
	v_and_b32_e32 v67, 0xff, v39
	v_cmp_ne_u16_e32 vcc_lo, 0, v67
	s_or_b32 s19, vcc_lo, s19
	s_delay_alu instid0(SALU_CYCLE_1)
	s_and_not1_b32 exec_lo, exec_lo, s19
	s_cbranch_execnz .LBB1349_404
; %bb.407:                              ;   in Loop: Header=BB1349_401 Depth=1
	s_or_b32 exec_lo, exec_lo, s19
	s_branch .LBB1349_400
.LBB1349_408:                           ;   in Loop: Header=BB1349_401 Depth=1
                                        ; implicit-def: $vgpr38
                                        ; implicit-def: $vgpr39
	s_cbranch_execz .LBB1349_401
; %bb.409:
	s_and_saveexec_b32 s18, s8
	s_cbranch_execz .LBB1349_411
; %bb.410:
	s_add_i32 s22, s15, 32
	s_mov_b32 s23, 0
	v_dual_mov_b32 v37, 2 :: v_dual_add_nc_u32 v36, v61, v35
	s_lshl_b64 s[22:23], s[22:23], 3
	v_mov_b32_e32 v38, 0
	v_add_nc_u32_e64 v39, 0x8400, 0
	s_add_u32 s22, s10, s22
	s_addc_u32 s23, s11, s23
	global_store_b64 v38, v[36:37], s[22:23]
	ds_store_2addr_b32 v39, v35, v61 offset1:2
.LBB1349_411:
	s_or_b32 exec_lo, exec_lo, s18
	v_cmp_eq_u32_e32 vcc_lo, 0, v0
	s_and_b32 exec_lo, exec_lo, vcc_lo
	s_cbranch_execz .LBB1349_413
; %bb.412:
	v_mov_b32_e32 v35, 0
	ds_store_b32 v35, v61 offset:60
.LBB1349_413:
	s_or_b32 exec_lo, exec_lo, s9
	s_waitcnt lgkmcnt(0)
	v_cndmask_b32_e64 v36, v45, v43, s8
	v_cmp_ne_u32_e32 vcc_lo, 0, v0
	v_mov_b32_e32 v35, 0
	s_waitcnt_vscnt null, 0x0
	s_barrier
	buffer_gl0_inv
	v_cndmask_b32_e32 v36, 0, v36, vcc_lo
	ds_load_b32 v35, v35 offset:60
	s_waitcnt lgkmcnt(0)
	s_barrier
	buffer_gl0_inv
	v_add_nc_u32_e32 v53, v35, v36
	v_add_nc_u32_e64 v35, 0x8400, 0
	s_delay_alu instid0(VALU_DEP_2) | instskip(SKIP_2) | instid1(VALU_DEP_1)
	v_add_nc_u32_e32 v51, v53, v42
	ds_load_2addr_b32 v[35:36], v35 offset1:2
	v_add_nc_u32_e32 v49, v51, v44
	v_add_nc_u32_e32 v47, v49, v46
	s_delay_alu instid0(VALU_DEP_1) | instskip(NEXT) | instid1(VALU_DEP_1)
	v_add_nc_u32_e32 v45, v47, v48
	v_add_nc_u32_e32 v43, v45, v50
	s_waitcnt lgkmcnt(0)
	v_readfirstlane_b32 s8, v36
	s_delay_alu instid0(VALU_DEP_2) | instskip(NEXT) | instid1(VALU_DEP_1)
	v_add_nc_u32_e32 v41, v43, v52
	v_add_nc_u32_e32 v39, v41, v54
	v_lshrrev_b64 v[37:38], 24, v[33:34]
	s_branch .LBB1349_424
.LBB1349_414:
                                        ; implicit-def: $vgpr39
                                        ; implicit-def: $vgpr41
                                        ; implicit-def: $vgpr43
                                        ; implicit-def: $vgpr45
                                        ; implicit-def: $vgpr47
                                        ; implicit-def: $vgpr49
                                        ; implicit-def: $vgpr51
                                        ; implicit-def: $vgpr53
                                        ; implicit-def: $sgpr8
                                        ; implicit-def: $vgpr35
	v_lshrrev_b64 v[37:38], 24, v[33:34]
	s_and_b32 vcc_lo, exec_lo, s9
	s_cbranch_vccz .LBB1349_424
; %bb.415:
	v_mov_b32_dpp v35, v59 row_shr:1 row_mask:0xf bank_mask:0xf
	s_delay_alu instid0(VALU_DEP_1) | instskip(NEXT) | instid1(VALU_DEP_1)
	v_cndmask_b32_e64 v35, v35, 0, s4
	v_add_nc_u32_e32 v35, v35, v59
	s_delay_alu instid0(VALU_DEP_1) | instskip(NEXT) | instid1(VALU_DEP_1)
	v_mov_b32_dpp v36, v35 row_shr:2 row_mask:0xf bank_mask:0xf
	v_cndmask_b32_e64 v36, 0, v36, s2
	s_delay_alu instid0(VALU_DEP_1) | instskip(NEXT) | instid1(VALU_DEP_1)
	v_add_nc_u32_e32 v35, v35, v36
	v_mov_b32_dpp v36, v35 row_shr:4 row_mask:0xf bank_mask:0xf
	s_delay_alu instid0(VALU_DEP_1) | instskip(NEXT) | instid1(VALU_DEP_1)
	v_cndmask_b32_e64 v36, 0, v36, s5
	v_add_nc_u32_e32 v35, v35, v36
	s_delay_alu instid0(VALU_DEP_1) | instskip(NEXT) | instid1(VALU_DEP_1)
	v_mov_b32_dpp v36, v35 row_shr:8 row_mask:0xf bank_mask:0xf
	v_cndmask_b32_e64 v36, 0, v36, s3
	s_delay_alu instid0(VALU_DEP_1) | instskip(SKIP_3) | instid1(VALU_DEP_1)
	v_add_nc_u32_e32 v35, v35, v36
	ds_swizzle_b32 v36, v35 offset:swizzle(BROADCAST,32,15)
	s_waitcnt lgkmcnt(0)
	v_cndmask_b32_e64 v36, v36, 0, s7
	v_add_nc_u32_e32 v35, v35, v36
	s_and_saveexec_b32 s7, s6
	s_cbranch_execz .LBB1349_417
; %bb.416:
	v_lshlrev_b32_e32 v36, 2, v58
	ds_store_b32 v36, v35
.LBB1349_417:
	s_or_b32 exec_lo, exec_lo, s7
	s_delay_alu instid0(SALU_CYCLE_1)
	s_mov_b32 s6, exec_lo
	s_waitcnt lgkmcnt(0)
	s_barrier
	buffer_gl0_inv
	v_cmpx_gt_u32_e32 16, v0
	s_cbranch_execz .LBB1349_419
; %bb.418:
	v_lshlrev_b32_e32 v36, 2, v0
	ds_load_b32 v38, v36
	s_waitcnt lgkmcnt(0)
	v_mov_b32_dpp v39, v38 row_shr:1 row_mask:0xf bank_mask:0xf
	s_delay_alu instid0(VALU_DEP_1) | instskip(NEXT) | instid1(VALU_DEP_1)
	v_cndmask_b32_e64 v39, v39, 0, s4
	v_add_nc_u32_e32 v38, v39, v38
	s_delay_alu instid0(VALU_DEP_1) | instskip(NEXT) | instid1(VALU_DEP_1)
	v_mov_b32_dpp v39, v38 row_shr:2 row_mask:0xf bank_mask:0xf
	v_cndmask_b32_e64 v39, 0, v39, s2
	s_delay_alu instid0(VALU_DEP_1) | instskip(NEXT) | instid1(VALU_DEP_1)
	v_add_nc_u32_e32 v38, v38, v39
	v_mov_b32_dpp v39, v38 row_shr:4 row_mask:0xf bank_mask:0xf
	s_delay_alu instid0(VALU_DEP_1) | instskip(NEXT) | instid1(VALU_DEP_1)
	v_cndmask_b32_e64 v39, 0, v39, s5
	v_add_nc_u32_e32 v38, v38, v39
	s_delay_alu instid0(VALU_DEP_1) | instskip(NEXT) | instid1(VALU_DEP_1)
	v_mov_b32_dpp v39, v38 row_shr:8 row_mask:0xf bank_mask:0xf
	v_cndmask_b32_e64 v39, 0, v39, s3
	s_delay_alu instid0(VALU_DEP_1)
	v_add_nc_u32_e32 v38, v38, v39
	ds_store_b32 v36, v38
.LBB1349_419:
	s_or_b32 exec_lo, exec_lo, s6
	v_mov_b32_e32 v36, 0
	v_mov_b32_e32 v38, 0
	s_mov_b32 s2, exec_lo
	s_waitcnt lgkmcnt(0)
	s_barrier
	buffer_gl0_inv
	v_cmpx_lt_u32_e32 31, v0
	s_cbranch_execz .LBB1349_421
; %bb.420:
	v_lshl_add_u32 v38, v58, 2, -4
	ds_load_b32 v38, v38
.LBB1349_421:
	s_or_b32 exec_lo, exec_lo, s2
	v_add_nc_u32_e32 v39, -1, v57
	s_waitcnt lgkmcnt(0)
	v_add_nc_u32_e32 v35, v38, v35
	s_mov_b32 s8, 0
	s_delay_alu instid0(VALU_DEP_2) | instskip(SKIP_2) | instid1(VALU_DEP_2)
	v_cmp_gt_i32_e32 vcc_lo, 0, v39
	v_cndmask_b32_e32 v39, v39, v57, vcc_lo
	v_cmp_eq_u32_e32 vcc_lo, 0, v0
	v_lshlrev_b32_e32 v39, 2, v39
	ds_bpermute_b32 v39, v39, v35
	ds_load_b32 v35, v36 offset:60
	s_and_saveexec_b32 s2, vcc_lo
	s_cbranch_execz .LBB1349_423
; %bb.422:
	v_mov_b32_e32 v40, 0
	v_mov_b32_e32 v36, 2
	s_waitcnt lgkmcnt(0)
	global_store_b64 v40, v[35:36], s[10:11] offset:256
.LBB1349_423:
	s_or_b32 exec_lo, exec_lo, s2
	v_cmp_eq_u32_e64 s2, 0, v57
	s_waitcnt lgkmcnt(0)
	s_waitcnt_vscnt null, 0x0
	s_barrier
	buffer_gl0_inv
	v_cndmask_b32_e64 v36, v39, v38, s2
	s_delay_alu instid0(VALU_DEP_1) | instskip(NEXT) | instid1(VALU_DEP_1)
	v_cndmask_b32_e64 v53, v36, 0, vcc_lo
	v_add_nc_u32_e32 v51, v53, v42
	s_delay_alu instid0(VALU_DEP_1) | instskip(NEXT) | instid1(VALU_DEP_1)
	v_add_nc_u32_e32 v49, v51, v44
	v_add_nc_u32_e32 v47, v49, v46
	s_delay_alu instid0(VALU_DEP_1) | instskip(NEXT) | instid1(VALU_DEP_1)
	v_add_nc_u32_e32 v45, v47, v48
	;; [unrolled: 3-line block ×3, first 2 shown]
	v_add_nc_u32_e32 v39, v41, v54
.LBB1349_424:
	s_load_b128 s[4:7], s[0:1], 0x28
	v_add_nc_u32_e32 v59, s8, v35
	v_cmp_gt_u32_e64 s0, 0x201, v35
	v_lshrrev_b32_e32 v58, 8, v33
	v_lshrrev_b32_e32 v57, 16, v33
	;; [unrolled: 1-line block ×4, first 2 shown]
	v_cmp_lt_u32_e64 s1, v53, v59
	s_and_b32 vcc_lo, exec_lo, s0
	s_mov_b32 s2, -1
	s_cbranch_vccz .LBB1349_450
; %bb.425:
	s_delay_alu instid0(VALU_DEP_1) | instskip(NEXT) | instid1(SALU_CYCLE_1)
	s_or_b32 s2, s20, s1
	s_and_saveexec_b32 s1, s2
	s_cbranch_execz .LBB1349_428
; %bb.426:
	v_and_b32_e32 v40, 1, v33
	s_delay_alu instid0(VALU_DEP_1)
	v_cmp_eq_u32_e32 vcc_lo, 1, v40
	s_and_b32 exec_lo, exec_lo, vcc_lo
	s_cbranch_execz .LBB1349_428
; %bb.427:
	v_mov_b32_e32 v54, 0
	s_lshl_b64 s[2:3], s[12:13], 3
	s_waitcnt lgkmcnt(0)
	s_add_u32 s2, s4, s2
	s_addc_u32 s3, s5, s3
	v_lshlrev_b64 v[60:61], 3, v[53:54]
	s_delay_alu instid0(VALU_DEP_1) | instskip(NEXT) | instid1(VALU_DEP_2)
	v_add_co_u32 v60, vcc_lo, s2, v60
	v_add_co_ci_u32_e32 v61, vcc_lo, s3, v61, vcc_lo
	global_store_b64 v[60:61], v[29:30], off
.LBB1349_428:
	s_or_b32 exec_lo, exec_lo, s1
	v_cmp_lt_u32_e32 vcc_lo, v51, v59
	s_or_b32 s2, s20, vcc_lo
	s_delay_alu instid0(SALU_CYCLE_1)
	s_and_saveexec_b32 s1, s2
	s_cbranch_execz .LBB1349_431
; %bb.429:
	v_and_b32_e32 v40, 1, v58
	s_delay_alu instid0(VALU_DEP_1)
	v_cmp_eq_u32_e32 vcc_lo, 1, v40
	s_and_b32 exec_lo, exec_lo, vcc_lo
	s_cbranch_execz .LBB1349_431
; %bb.430:
	v_mov_b32_e32 v52, 0
	s_lshl_b64 s[2:3], s[12:13], 3
	s_waitcnt lgkmcnt(0)
	s_add_u32 s2, s4, s2
	s_addc_u32 s3, s5, s3
	v_lshlrev_b64 v[60:61], 3, v[51:52]
	s_delay_alu instid0(VALU_DEP_1) | instskip(NEXT) | instid1(VALU_DEP_2)
	v_add_co_u32 v60, vcc_lo, s2, v60
	v_add_co_ci_u32_e32 v61, vcc_lo, s3, v61, vcc_lo
	global_store_b64 v[60:61], v[31:32], off
.LBB1349_431:
	s_or_b32 exec_lo, exec_lo, s1
	v_cmp_lt_u32_e32 vcc_lo, v49, v59
	s_or_b32 s2, s20, vcc_lo
	s_delay_alu instid0(SALU_CYCLE_1)
	;; [unrolled: 24-line block ×7, first 2 shown]
	s_and_saveexec_b32 s1, s2
	s_cbranch_execz .LBB1349_449
; %bb.447:
	v_and_b32_e32 v40, 1, v56
	s_delay_alu instid0(VALU_DEP_1)
	v_cmp_eq_u32_e32 vcc_lo, 1, v40
	s_and_b32 exec_lo, exec_lo, vcc_lo
	s_cbranch_execz .LBB1349_449
; %bb.448:
	v_mov_b32_e32 v40, 0
	s_lshl_b64 s[2:3], s[12:13], 3
	s_waitcnt lgkmcnt(0)
	s_add_u32 s2, s4, s2
	s_addc_u32 s3, s5, s3
	v_lshlrev_b64 v[60:61], 3, v[39:40]
	s_delay_alu instid0(VALU_DEP_1) | instskip(NEXT) | instid1(VALU_DEP_2)
	v_add_co_u32 v60, vcc_lo, s2, v60
	v_add_co_ci_u32_e32 v61, vcc_lo, s3, v61, vcc_lo
	global_store_b64 v[60:61], v[19:20], off
.LBB1349_449:
	s_or_b32 exec_lo, exec_lo, s1
	s_mov_b32 s2, 0
.LBB1349_450:
	v_and_b32_e32 v33, 1, v33
	s_and_b32 vcc_lo, exec_lo, s2
	s_delay_alu instid0(VALU_DEP_1)
	v_cmp_eq_u32_e64 s1, 1, v33
	s_cbranch_vccz .LBB1349_471
; %bb.451:
	s_delay_alu instid0(VALU_DEP_1)
	s_and_saveexec_b32 s2, s1
	s_cbranch_execz .LBB1349_453
; %bb.452:
	v_subrev_nc_u32_e32 v40, s8, v53
	s_delay_alu instid0(VALU_DEP_1)
	v_lshlrev_b32_e32 v40, 3, v40
	ds_store_b64 v40, v[29:30]
.LBB1349_453:
	s_or_b32 exec_lo, exec_lo, s2
	v_and_b32_e32 v29, 1, v58
	s_mov_b32 s1, exec_lo
	s_delay_alu instid0(VALU_DEP_1)
	v_cmpx_eq_u32_e32 1, v29
	s_cbranch_execz .LBB1349_455
; %bb.454:
	v_subrev_nc_u32_e32 v29, s8, v51
	s_delay_alu instid0(VALU_DEP_1)
	v_lshlrev_b32_e32 v29, 3, v29
	ds_store_b64 v29, v[31:32]
.LBB1349_455:
	s_or_b32 exec_lo, exec_lo, s1
	v_and_b32_e32 v29, 1, v57
	s_mov_b32 s1, exec_lo
	s_delay_alu instid0(VALU_DEP_1)
	v_cmpx_eq_u32_e32 1, v29
	;; [unrolled: 12-line block ×7, first 2 shown]
	s_cbranch_execz .LBB1349_467
; %bb.466:
	v_subrev_nc_u32_e32 v17, s8, v39
	s_delay_alu instid0(VALU_DEP_1)
	v_lshlrev_b32_e32 v17, 3, v17
	ds_store_b64 v17, v[19:20]
.LBB1349_467:
	s_or_b32 exec_lo, exec_lo, s1
	s_delay_alu instid0(SALU_CYCLE_1)
	s_mov_b32 s2, exec_lo
	s_waitcnt lgkmcnt(0)
	s_waitcnt_vscnt null, 0x0
	s_barrier
	buffer_gl0_inv
	v_cmpx_lt_u32_e64 v0, v35
	s_cbranch_execz .LBB1349_470
; %bb.468:
	s_mov_b32 s9, 0
	s_lshl_b64 s[10:11], s[12:13], 3
	s_lshl_b64 s[18:19], s[8:9], 3
	v_dual_mov_b32 v19, v55 :: v_dual_mov_b32 v20, v0
	s_add_u32 s1, s10, s18
	s_addc_u32 s3, s11, s19
	s_add_u32 s1, s4, s1
	s_addc_u32 s3, s5, s3
	v_add_co_u32 v17, s1, s1, v55
	s_delay_alu instid0(VALU_DEP_1)
	v_add_co_ci_u32_e64 v18, null, s3, 0, s1
	.p2align	6
.LBB1349_469:                           ; =>This Inner Loop Header: Depth=1
	ds_load_b64 v[21:22], v19
	v_add_nc_u32_e32 v20, 0x200, v20
	v_add_nc_u32_e32 v19, 0x1000, v19
	s_delay_alu instid0(VALU_DEP_2) | instskip(SKIP_4) | instid1(VALU_DEP_1)
	v_cmp_ge_u32_e32 vcc_lo, v20, v35
	s_or_b32 s9, vcc_lo, s9
	s_waitcnt lgkmcnt(0)
	global_store_b64 v[17:18], v[21:22], off
	v_add_co_u32 v17, s1, 0x1000, v17
	v_add_co_ci_u32_e64 v18, s1, 0, v18, s1
	s_and_not1_b32 exec_lo, exec_lo, s9
	s_cbranch_execnz .LBB1349_469
.LBB1349_470:
	s_or_b32 exec_lo, exec_lo, s2
.LBB1349_471:
	s_delay_alu instid0(SALU_CYCLE_1)
	s_and_b32 vcc_lo, exec_lo, s0
	s_mov_b32 s0, -1
	s_waitcnt lgkmcnt(0)
	s_waitcnt_vscnt null, 0x0
	s_barrier
	buffer_gl0_inv
	s_cbranch_vccz .LBB1349_499
; %bb.472:
	v_cmp_lt_u32_e32 vcc_lo, v53, v59
	s_or_b32 s1, s20, vcc_lo
	s_delay_alu instid0(SALU_CYCLE_1)
	s_and_saveexec_b32 s0, s1
	s_cbranch_execz .LBB1349_475
; %bb.473:
	v_cmp_eq_u32_e32 vcc_lo, 1, v33
	s_and_b32 exec_lo, exec_lo, vcc_lo
	s_cbranch_execz .LBB1349_475
; %bb.474:
	v_mov_b32_e32 v54, 0
	s_lshl_b64 s[2:3], s[12:13], 3
	s_delay_alu instid0(SALU_CYCLE_1) | instskip(SKIP_1) | instid1(VALU_DEP_1)
	s_add_u32 s1, s6, s2
	s_addc_u32 s2, s7, s3
	v_lshlrev_b64 v[17:18], 3, v[53:54]
	s_delay_alu instid0(VALU_DEP_1) | instskip(NEXT) | instid1(VALU_DEP_2)
	v_add_co_u32 v17, vcc_lo, s1, v17
	v_add_co_ci_u32_e32 v18, vcc_lo, s2, v18, vcc_lo
	global_store_b64 v[17:18], v[13:14], off
.LBB1349_475:
	s_or_b32 exec_lo, exec_lo, s0
	v_cmp_lt_u32_e32 vcc_lo, v51, v59
	s_or_b32 s1, s20, vcc_lo
	s_delay_alu instid0(SALU_CYCLE_1)
	s_and_saveexec_b32 s0, s1
	s_cbranch_execz .LBB1349_478
; %bb.476:
	v_and_b32_e32 v17, 1, v58
	s_delay_alu instid0(VALU_DEP_1)
	v_cmp_eq_u32_e32 vcc_lo, 1, v17
	s_and_b32 exec_lo, exec_lo, vcc_lo
	s_cbranch_execz .LBB1349_478
; %bb.477:
	v_mov_b32_e32 v52, 0
	s_lshl_b64 s[2:3], s[12:13], 3
	s_delay_alu instid0(SALU_CYCLE_1) | instskip(SKIP_1) | instid1(VALU_DEP_1)
	s_add_u32 s1, s6, s2
	s_addc_u32 s2, s7, s3
	v_lshlrev_b64 v[17:18], 3, v[51:52]
	s_delay_alu instid0(VALU_DEP_1) | instskip(NEXT) | instid1(VALU_DEP_2)
	v_add_co_u32 v17, vcc_lo, s1, v17
	v_add_co_ci_u32_e32 v18, vcc_lo, s2, v18, vcc_lo
	global_store_b64 v[17:18], v[15:16], off
.LBB1349_478:
	s_or_b32 exec_lo, exec_lo, s0
	v_cmp_lt_u32_e32 vcc_lo, v49, v59
	s_or_b32 s1, s20, vcc_lo
	s_delay_alu instid0(SALU_CYCLE_1)
	s_and_saveexec_b32 s0, s1
	s_cbranch_execz .LBB1349_481
; %bb.479:
	v_and_b32_e32 v17, 1, v57
	s_delay_alu instid0(VALU_DEP_1)
	v_cmp_eq_u32_e32 vcc_lo, 1, v17
	s_and_b32 exec_lo, exec_lo, vcc_lo
	s_cbranch_execz .LBB1349_481
; %bb.480:
	v_mov_b32_e32 v50, 0
	s_lshl_b64 s[2:3], s[12:13], 3
	s_delay_alu instid0(SALU_CYCLE_1) | instskip(SKIP_1) | instid1(VALU_DEP_1)
	s_add_u32 s1, s6, s2
	s_addc_u32 s2, s7, s3
	v_lshlrev_b64 v[17:18], 3, v[49:50]
	s_delay_alu instid0(VALU_DEP_1) | instskip(NEXT) | instid1(VALU_DEP_2)
	v_add_co_u32 v17, vcc_lo, s1, v17
	v_add_co_ci_u32_e32 v18, vcc_lo, s2, v18, vcc_lo
	global_store_b64 v[17:18], v[9:10], off
.LBB1349_481:
	;; [unrolled: 24-line block ×7, first 2 shown]
	s_or_b32 exec_lo, exec_lo, s0
.LBB1349_497:
	v_cmp_eq_u32_e32 vcc_lo, 0, v0
	s_and_b32 s0, vcc_lo, s14
	s_delay_alu instid0(SALU_CYCLE_1)
	s_and_saveexec_b32 s1, s0
	s_cbranch_execz .LBB1349_520
.LBB1349_498:
	v_add_co_u32 v0, s0, s12, v35
	s_delay_alu instid0(VALU_DEP_1) | instskip(SKIP_1) | instid1(VALU_DEP_3)
	v_add_co_ci_u32_e64 v1, null, s13, 0, s0
	v_mov_b32_e32 v2, 0
	v_add_co_u32 v0, vcc_lo, v0, s8
	s_delay_alu instid0(VALU_DEP_3)
	v_add_co_ci_u32_e32 v1, vcc_lo, 0, v1, vcc_lo
	global_store_b64 v2, v[0:1], s[16:17]
	s_nop 0
	s_sendmsg sendmsg(MSG_DEALLOC_VGPRS)
	s_endpgm
.LBB1349_499:
	s_and_b32 vcc_lo, exec_lo, s0
	s_cbranch_vccz .LBB1349_497
; %bb.500:
	s_mov_b32 s0, exec_lo
	v_cmpx_eq_u32_e32 1, v33
	s_cbranch_execz .LBB1349_502
; %bb.501:
	v_subrev_nc_u32_e32 v17, s8, v53
	s_delay_alu instid0(VALU_DEP_1)
	v_lshlrev_b32_e32 v17, 3, v17
	ds_store_b64 v17, v[13:14]
.LBB1349_502:
	s_or_b32 exec_lo, exec_lo, s0
	v_and_b32_e32 v13, 1, v58
	s_mov_b32 s0, exec_lo
	s_delay_alu instid0(VALU_DEP_1)
	v_cmpx_eq_u32_e32 1, v13
	s_cbranch_execz .LBB1349_504
; %bb.503:
	v_subrev_nc_u32_e32 v13, s8, v51
	s_delay_alu instid0(VALU_DEP_1)
	v_lshlrev_b32_e32 v13, 3, v13
	ds_store_b64 v13, v[15:16]
.LBB1349_504:
	s_or_b32 exec_lo, exec_lo, s0
	v_and_b32_e32 v13, 1, v57
	s_mov_b32 s0, exec_lo
	s_delay_alu instid0(VALU_DEP_1)
	;; [unrolled: 12-line block ×7, first 2 shown]
	v_cmpx_eq_u32_e32 1, v1
	s_cbranch_execz .LBB1349_516
; %bb.515:
	v_subrev_nc_u32_e32 v1, s8, v39
	s_delay_alu instid0(VALU_DEP_1)
	v_lshlrev_b32_e32 v1, 3, v1
	ds_store_b64 v1, v[3:4]
.LBB1349_516:
	s_or_b32 exec_lo, exec_lo, s0
	s_delay_alu instid0(SALU_CYCLE_1)
	s_mov_b32 s1, exec_lo
	s_waitcnt lgkmcnt(0)
	s_waitcnt_vscnt null, 0x0
	s_barrier
	buffer_gl0_inv
	v_cmpx_lt_u32_e64 v0, v35
	s_cbranch_execz .LBB1349_519
; %bb.517:
	s_mov_b32 s9, 0
	s_lshl_b64 s[2:3], s[12:13], 3
	s_lshl_b64 s[4:5], s[8:9], 3
	v_mov_b32_e32 v3, v0
	s_add_u32 s0, s2, s4
	s_addc_u32 s2, s3, s5
	s_add_u32 s0, s6, s0
	s_addc_u32 s2, s7, s2
	v_add_co_u32 v1, s0, s0, v55
	s_delay_alu instid0(VALU_DEP_1)
	v_add_co_ci_u32_e64 v2, null, s2, 0, s0
	.p2align	6
.LBB1349_518:                           ; =>This Inner Loop Header: Depth=1
	ds_load_b64 v[4:5], v55
	v_add_nc_u32_e32 v3, 0x200, v3
	v_add_nc_u32_e32 v55, 0x1000, v55
	s_delay_alu instid0(VALU_DEP_2) | instskip(SKIP_4) | instid1(VALU_DEP_1)
	v_cmp_ge_u32_e32 vcc_lo, v3, v35
	s_or_b32 s9, vcc_lo, s9
	s_waitcnt lgkmcnt(0)
	global_store_b64 v[1:2], v[4:5], off
	v_add_co_u32 v1, s0, 0x1000, v1
	v_add_co_ci_u32_e64 v2, s0, 0, v2, s0
	s_and_not1_b32 exec_lo, exec_lo, s9
	s_cbranch_execnz .LBB1349_518
.LBB1349_519:
	s_or_b32 exec_lo, exec_lo, s1
	v_cmp_eq_u32_e32 vcc_lo, 0, v0
	s_and_b32 s0, vcc_lo, s14
	s_delay_alu instid0(SALU_CYCLE_1)
	s_and_saveexec_b32 s1, s0
	s_cbranch_execnz .LBB1349_498
.LBB1349_520:
	s_nop 0
	s_sendmsg sendmsg(MSG_DEALLOC_VGPRS)
	s_endpgm
	.section	.rodata,"a",@progbits
	.p2align	6, 0x0
	.amdhsa_kernel _ZN7rocprim17ROCPRIM_400000_NS6detail17trampoline_kernelINS0_14default_configENS1_25partition_config_selectorILNS1_17partition_subalgoE9EllbEEZZNS1_14partition_implILS5_9ELb0ES3_jPlS8_PNS0_10empty_typeENS0_5tupleIJS8_S9_EEENSB_IJS8_SA_EEENS0_18inequality_wrapperIZN2at6native12_GLOBAL__N_124unique_dim_cuda_templateIN3c104HalfEEESt5tupleIJNSF_6TensorESM_SM_EERKSM_lbbbEUlllE0_EEPmJS9_EEE10hipError_tPvRmT3_T4_T5_T6_T7_T9_mT8_P12ihipStream_tbDpT10_ENKUlT_T0_E_clISt17integral_constantIbLb1EES1B_IbLb0EEEEDaS17_S18_EUlS17_E_NS1_11comp_targetILNS1_3genE9ELNS1_11target_archE1100ELNS1_3gpuE3ELNS1_3repE0EEENS1_30default_config_static_selectorELNS0_4arch9wavefront6targetE0EEEvT1_
		.amdhsa_group_segment_fixed_size 33804
		.amdhsa_private_segment_fixed_size 0
		.amdhsa_kernarg_size 120
		.amdhsa_user_sgpr_count 15
		.amdhsa_user_sgpr_dispatch_ptr 0
		.amdhsa_user_sgpr_queue_ptr 0
		.amdhsa_user_sgpr_kernarg_segment_ptr 1
		.amdhsa_user_sgpr_dispatch_id 0
		.amdhsa_user_sgpr_private_segment_size 0
		.amdhsa_wavefront_size32 1
		.amdhsa_uses_dynamic_stack 0
		.amdhsa_enable_private_segment 0
		.amdhsa_system_sgpr_workgroup_id_x 1
		.amdhsa_system_sgpr_workgroup_id_y 0
		.amdhsa_system_sgpr_workgroup_id_z 0
		.amdhsa_system_sgpr_workgroup_info 0
		.amdhsa_system_vgpr_workitem_id 0
		.amdhsa_next_free_vgpr 68
		.amdhsa_next_free_sgpr 36
		.amdhsa_reserve_vcc 1
		.amdhsa_float_round_mode_32 0
		.amdhsa_float_round_mode_16_64 0
		.amdhsa_float_denorm_mode_32 3
		.amdhsa_float_denorm_mode_16_64 3
		.amdhsa_dx10_clamp 1
		.amdhsa_ieee_mode 1
		.amdhsa_fp16_overflow 0
		.amdhsa_workgroup_processor_mode 1
		.amdhsa_memory_ordered 1
		.amdhsa_forward_progress 0
		.amdhsa_shared_vgpr_count 0
		.amdhsa_exception_fp_ieee_invalid_op 0
		.amdhsa_exception_fp_denorm_src 0
		.amdhsa_exception_fp_ieee_div_zero 0
		.amdhsa_exception_fp_ieee_overflow 0
		.amdhsa_exception_fp_ieee_underflow 0
		.amdhsa_exception_fp_ieee_inexact 0
		.amdhsa_exception_int_div_zero 0
	.end_amdhsa_kernel
	.section	.text._ZN7rocprim17ROCPRIM_400000_NS6detail17trampoline_kernelINS0_14default_configENS1_25partition_config_selectorILNS1_17partition_subalgoE9EllbEEZZNS1_14partition_implILS5_9ELb0ES3_jPlS8_PNS0_10empty_typeENS0_5tupleIJS8_S9_EEENSB_IJS8_SA_EEENS0_18inequality_wrapperIZN2at6native12_GLOBAL__N_124unique_dim_cuda_templateIN3c104HalfEEESt5tupleIJNSF_6TensorESM_SM_EERKSM_lbbbEUlllE0_EEPmJS9_EEE10hipError_tPvRmT3_T4_T5_T6_T7_T9_mT8_P12ihipStream_tbDpT10_ENKUlT_T0_E_clISt17integral_constantIbLb1EES1B_IbLb0EEEEDaS17_S18_EUlS17_E_NS1_11comp_targetILNS1_3genE9ELNS1_11target_archE1100ELNS1_3gpuE3ELNS1_3repE0EEENS1_30default_config_static_selectorELNS0_4arch9wavefront6targetE0EEEvT1_,"axG",@progbits,_ZN7rocprim17ROCPRIM_400000_NS6detail17trampoline_kernelINS0_14default_configENS1_25partition_config_selectorILNS1_17partition_subalgoE9EllbEEZZNS1_14partition_implILS5_9ELb0ES3_jPlS8_PNS0_10empty_typeENS0_5tupleIJS8_S9_EEENSB_IJS8_SA_EEENS0_18inequality_wrapperIZN2at6native12_GLOBAL__N_124unique_dim_cuda_templateIN3c104HalfEEESt5tupleIJNSF_6TensorESM_SM_EERKSM_lbbbEUlllE0_EEPmJS9_EEE10hipError_tPvRmT3_T4_T5_T6_T7_T9_mT8_P12ihipStream_tbDpT10_ENKUlT_T0_E_clISt17integral_constantIbLb1EES1B_IbLb0EEEEDaS17_S18_EUlS17_E_NS1_11comp_targetILNS1_3genE9ELNS1_11target_archE1100ELNS1_3gpuE3ELNS1_3repE0EEENS1_30default_config_static_selectorELNS0_4arch9wavefront6targetE0EEEvT1_,comdat
.Lfunc_end1349:
	.size	_ZN7rocprim17ROCPRIM_400000_NS6detail17trampoline_kernelINS0_14default_configENS1_25partition_config_selectorILNS1_17partition_subalgoE9EllbEEZZNS1_14partition_implILS5_9ELb0ES3_jPlS8_PNS0_10empty_typeENS0_5tupleIJS8_S9_EEENSB_IJS8_SA_EEENS0_18inequality_wrapperIZN2at6native12_GLOBAL__N_124unique_dim_cuda_templateIN3c104HalfEEESt5tupleIJNSF_6TensorESM_SM_EERKSM_lbbbEUlllE0_EEPmJS9_EEE10hipError_tPvRmT3_T4_T5_T6_T7_T9_mT8_P12ihipStream_tbDpT10_ENKUlT_T0_E_clISt17integral_constantIbLb1EES1B_IbLb0EEEEDaS17_S18_EUlS17_E_NS1_11comp_targetILNS1_3genE9ELNS1_11target_archE1100ELNS1_3gpuE3ELNS1_3repE0EEENS1_30default_config_static_selectorELNS0_4arch9wavefront6targetE0EEEvT1_, .Lfunc_end1349-_ZN7rocprim17ROCPRIM_400000_NS6detail17trampoline_kernelINS0_14default_configENS1_25partition_config_selectorILNS1_17partition_subalgoE9EllbEEZZNS1_14partition_implILS5_9ELb0ES3_jPlS8_PNS0_10empty_typeENS0_5tupleIJS8_S9_EEENSB_IJS8_SA_EEENS0_18inequality_wrapperIZN2at6native12_GLOBAL__N_124unique_dim_cuda_templateIN3c104HalfEEESt5tupleIJNSF_6TensorESM_SM_EERKSM_lbbbEUlllE0_EEPmJS9_EEE10hipError_tPvRmT3_T4_T5_T6_T7_T9_mT8_P12ihipStream_tbDpT10_ENKUlT_T0_E_clISt17integral_constantIbLb1EES1B_IbLb0EEEEDaS17_S18_EUlS17_E_NS1_11comp_targetILNS1_3genE9ELNS1_11target_archE1100ELNS1_3gpuE3ELNS1_3repE0EEENS1_30default_config_static_selectorELNS0_4arch9wavefront6targetE0EEEvT1_
                                        ; -- End function
	.section	.AMDGPU.csdata,"",@progbits
; Kernel info:
; codeLenInByte = 20460
; NumSgprs: 38
; NumVgprs: 68
; ScratchSize: 0
; MemoryBound: 0
; FloatMode: 240
; IeeeMode: 1
; LDSByteSize: 33804 bytes/workgroup (compile time only)
; SGPRBlocks: 4
; VGPRBlocks: 8
; NumSGPRsForWavesPerEU: 38
; NumVGPRsForWavesPerEU: 68
; Occupancy: 12
; WaveLimiterHint : 1
; COMPUTE_PGM_RSRC2:SCRATCH_EN: 0
; COMPUTE_PGM_RSRC2:USER_SGPR: 15
; COMPUTE_PGM_RSRC2:TRAP_HANDLER: 0
; COMPUTE_PGM_RSRC2:TGID_X_EN: 1
; COMPUTE_PGM_RSRC2:TGID_Y_EN: 0
; COMPUTE_PGM_RSRC2:TGID_Z_EN: 0
; COMPUTE_PGM_RSRC2:TIDIG_COMP_CNT: 0
	.section	.text._ZN7rocprim17ROCPRIM_400000_NS6detail17trampoline_kernelINS0_14default_configENS1_25partition_config_selectorILNS1_17partition_subalgoE9EllbEEZZNS1_14partition_implILS5_9ELb0ES3_jPlS8_PNS0_10empty_typeENS0_5tupleIJS8_S9_EEENSB_IJS8_SA_EEENS0_18inequality_wrapperIZN2at6native12_GLOBAL__N_124unique_dim_cuda_templateIN3c104HalfEEESt5tupleIJNSF_6TensorESM_SM_EERKSM_lbbbEUlllE0_EEPmJS9_EEE10hipError_tPvRmT3_T4_T5_T6_T7_T9_mT8_P12ihipStream_tbDpT10_ENKUlT_T0_E_clISt17integral_constantIbLb1EES1B_IbLb0EEEEDaS17_S18_EUlS17_E_NS1_11comp_targetILNS1_3genE8ELNS1_11target_archE1030ELNS1_3gpuE2ELNS1_3repE0EEENS1_30default_config_static_selectorELNS0_4arch9wavefront6targetE0EEEvT1_,"axG",@progbits,_ZN7rocprim17ROCPRIM_400000_NS6detail17trampoline_kernelINS0_14default_configENS1_25partition_config_selectorILNS1_17partition_subalgoE9EllbEEZZNS1_14partition_implILS5_9ELb0ES3_jPlS8_PNS0_10empty_typeENS0_5tupleIJS8_S9_EEENSB_IJS8_SA_EEENS0_18inequality_wrapperIZN2at6native12_GLOBAL__N_124unique_dim_cuda_templateIN3c104HalfEEESt5tupleIJNSF_6TensorESM_SM_EERKSM_lbbbEUlllE0_EEPmJS9_EEE10hipError_tPvRmT3_T4_T5_T6_T7_T9_mT8_P12ihipStream_tbDpT10_ENKUlT_T0_E_clISt17integral_constantIbLb1EES1B_IbLb0EEEEDaS17_S18_EUlS17_E_NS1_11comp_targetILNS1_3genE8ELNS1_11target_archE1030ELNS1_3gpuE2ELNS1_3repE0EEENS1_30default_config_static_selectorELNS0_4arch9wavefront6targetE0EEEvT1_,comdat
	.globl	_ZN7rocprim17ROCPRIM_400000_NS6detail17trampoline_kernelINS0_14default_configENS1_25partition_config_selectorILNS1_17partition_subalgoE9EllbEEZZNS1_14partition_implILS5_9ELb0ES3_jPlS8_PNS0_10empty_typeENS0_5tupleIJS8_S9_EEENSB_IJS8_SA_EEENS0_18inequality_wrapperIZN2at6native12_GLOBAL__N_124unique_dim_cuda_templateIN3c104HalfEEESt5tupleIJNSF_6TensorESM_SM_EERKSM_lbbbEUlllE0_EEPmJS9_EEE10hipError_tPvRmT3_T4_T5_T6_T7_T9_mT8_P12ihipStream_tbDpT10_ENKUlT_T0_E_clISt17integral_constantIbLb1EES1B_IbLb0EEEEDaS17_S18_EUlS17_E_NS1_11comp_targetILNS1_3genE8ELNS1_11target_archE1030ELNS1_3gpuE2ELNS1_3repE0EEENS1_30default_config_static_selectorELNS0_4arch9wavefront6targetE0EEEvT1_ ; -- Begin function _ZN7rocprim17ROCPRIM_400000_NS6detail17trampoline_kernelINS0_14default_configENS1_25partition_config_selectorILNS1_17partition_subalgoE9EllbEEZZNS1_14partition_implILS5_9ELb0ES3_jPlS8_PNS0_10empty_typeENS0_5tupleIJS8_S9_EEENSB_IJS8_SA_EEENS0_18inequality_wrapperIZN2at6native12_GLOBAL__N_124unique_dim_cuda_templateIN3c104HalfEEESt5tupleIJNSF_6TensorESM_SM_EERKSM_lbbbEUlllE0_EEPmJS9_EEE10hipError_tPvRmT3_T4_T5_T6_T7_T9_mT8_P12ihipStream_tbDpT10_ENKUlT_T0_E_clISt17integral_constantIbLb1EES1B_IbLb0EEEEDaS17_S18_EUlS17_E_NS1_11comp_targetILNS1_3genE8ELNS1_11target_archE1030ELNS1_3gpuE2ELNS1_3repE0EEENS1_30default_config_static_selectorELNS0_4arch9wavefront6targetE0EEEvT1_
	.p2align	8
	.type	_ZN7rocprim17ROCPRIM_400000_NS6detail17trampoline_kernelINS0_14default_configENS1_25partition_config_selectorILNS1_17partition_subalgoE9EllbEEZZNS1_14partition_implILS5_9ELb0ES3_jPlS8_PNS0_10empty_typeENS0_5tupleIJS8_S9_EEENSB_IJS8_SA_EEENS0_18inequality_wrapperIZN2at6native12_GLOBAL__N_124unique_dim_cuda_templateIN3c104HalfEEESt5tupleIJNSF_6TensorESM_SM_EERKSM_lbbbEUlllE0_EEPmJS9_EEE10hipError_tPvRmT3_T4_T5_T6_T7_T9_mT8_P12ihipStream_tbDpT10_ENKUlT_T0_E_clISt17integral_constantIbLb1EES1B_IbLb0EEEEDaS17_S18_EUlS17_E_NS1_11comp_targetILNS1_3genE8ELNS1_11target_archE1030ELNS1_3gpuE2ELNS1_3repE0EEENS1_30default_config_static_selectorELNS0_4arch9wavefront6targetE0EEEvT1_,@function
_ZN7rocprim17ROCPRIM_400000_NS6detail17trampoline_kernelINS0_14default_configENS1_25partition_config_selectorILNS1_17partition_subalgoE9EllbEEZZNS1_14partition_implILS5_9ELb0ES3_jPlS8_PNS0_10empty_typeENS0_5tupleIJS8_S9_EEENSB_IJS8_SA_EEENS0_18inequality_wrapperIZN2at6native12_GLOBAL__N_124unique_dim_cuda_templateIN3c104HalfEEESt5tupleIJNSF_6TensorESM_SM_EERKSM_lbbbEUlllE0_EEPmJS9_EEE10hipError_tPvRmT3_T4_T5_T6_T7_T9_mT8_P12ihipStream_tbDpT10_ENKUlT_T0_E_clISt17integral_constantIbLb1EES1B_IbLb0EEEEDaS17_S18_EUlS17_E_NS1_11comp_targetILNS1_3genE8ELNS1_11target_archE1030ELNS1_3gpuE2ELNS1_3repE0EEENS1_30default_config_static_selectorELNS0_4arch9wavefront6targetE0EEEvT1_: ; @_ZN7rocprim17ROCPRIM_400000_NS6detail17trampoline_kernelINS0_14default_configENS1_25partition_config_selectorILNS1_17partition_subalgoE9EllbEEZZNS1_14partition_implILS5_9ELb0ES3_jPlS8_PNS0_10empty_typeENS0_5tupleIJS8_S9_EEENSB_IJS8_SA_EEENS0_18inequality_wrapperIZN2at6native12_GLOBAL__N_124unique_dim_cuda_templateIN3c104HalfEEESt5tupleIJNSF_6TensorESM_SM_EERKSM_lbbbEUlllE0_EEPmJS9_EEE10hipError_tPvRmT3_T4_T5_T6_T7_T9_mT8_P12ihipStream_tbDpT10_ENKUlT_T0_E_clISt17integral_constantIbLb1EES1B_IbLb0EEEEDaS17_S18_EUlS17_E_NS1_11comp_targetILNS1_3genE8ELNS1_11target_archE1030ELNS1_3gpuE2ELNS1_3repE0EEENS1_30default_config_static_selectorELNS0_4arch9wavefront6targetE0EEEvT1_
; %bb.0:
	.section	.rodata,"a",@progbits
	.p2align	6, 0x0
	.amdhsa_kernel _ZN7rocprim17ROCPRIM_400000_NS6detail17trampoline_kernelINS0_14default_configENS1_25partition_config_selectorILNS1_17partition_subalgoE9EllbEEZZNS1_14partition_implILS5_9ELb0ES3_jPlS8_PNS0_10empty_typeENS0_5tupleIJS8_S9_EEENSB_IJS8_SA_EEENS0_18inequality_wrapperIZN2at6native12_GLOBAL__N_124unique_dim_cuda_templateIN3c104HalfEEESt5tupleIJNSF_6TensorESM_SM_EERKSM_lbbbEUlllE0_EEPmJS9_EEE10hipError_tPvRmT3_T4_T5_T6_T7_T9_mT8_P12ihipStream_tbDpT10_ENKUlT_T0_E_clISt17integral_constantIbLb1EES1B_IbLb0EEEEDaS17_S18_EUlS17_E_NS1_11comp_targetILNS1_3genE8ELNS1_11target_archE1030ELNS1_3gpuE2ELNS1_3repE0EEENS1_30default_config_static_selectorELNS0_4arch9wavefront6targetE0EEEvT1_
		.amdhsa_group_segment_fixed_size 0
		.amdhsa_private_segment_fixed_size 0
		.amdhsa_kernarg_size 120
		.amdhsa_user_sgpr_count 15
		.amdhsa_user_sgpr_dispatch_ptr 0
		.amdhsa_user_sgpr_queue_ptr 0
		.amdhsa_user_sgpr_kernarg_segment_ptr 1
		.amdhsa_user_sgpr_dispatch_id 0
		.amdhsa_user_sgpr_private_segment_size 0
		.amdhsa_wavefront_size32 1
		.amdhsa_uses_dynamic_stack 0
		.amdhsa_enable_private_segment 0
		.amdhsa_system_sgpr_workgroup_id_x 1
		.amdhsa_system_sgpr_workgroup_id_y 0
		.amdhsa_system_sgpr_workgroup_id_z 0
		.amdhsa_system_sgpr_workgroup_info 0
		.amdhsa_system_vgpr_workitem_id 0
		.amdhsa_next_free_vgpr 1
		.amdhsa_next_free_sgpr 1
		.amdhsa_reserve_vcc 0
		.amdhsa_float_round_mode_32 0
		.amdhsa_float_round_mode_16_64 0
		.amdhsa_float_denorm_mode_32 3
		.amdhsa_float_denorm_mode_16_64 3
		.amdhsa_dx10_clamp 1
		.amdhsa_ieee_mode 1
		.amdhsa_fp16_overflow 0
		.amdhsa_workgroup_processor_mode 1
		.amdhsa_memory_ordered 1
		.amdhsa_forward_progress 0
		.amdhsa_shared_vgpr_count 0
		.amdhsa_exception_fp_ieee_invalid_op 0
		.amdhsa_exception_fp_denorm_src 0
		.amdhsa_exception_fp_ieee_div_zero 0
		.amdhsa_exception_fp_ieee_overflow 0
		.amdhsa_exception_fp_ieee_underflow 0
		.amdhsa_exception_fp_ieee_inexact 0
		.amdhsa_exception_int_div_zero 0
	.end_amdhsa_kernel
	.section	.text._ZN7rocprim17ROCPRIM_400000_NS6detail17trampoline_kernelINS0_14default_configENS1_25partition_config_selectorILNS1_17partition_subalgoE9EllbEEZZNS1_14partition_implILS5_9ELb0ES3_jPlS8_PNS0_10empty_typeENS0_5tupleIJS8_S9_EEENSB_IJS8_SA_EEENS0_18inequality_wrapperIZN2at6native12_GLOBAL__N_124unique_dim_cuda_templateIN3c104HalfEEESt5tupleIJNSF_6TensorESM_SM_EERKSM_lbbbEUlllE0_EEPmJS9_EEE10hipError_tPvRmT3_T4_T5_T6_T7_T9_mT8_P12ihipStream_tbDpT10_ENKUlT_T0_E_clISt17integral_constantIbLb1EES1B_IbLb0EEEEDaS17_S18_EUlS17_E_NS1_11comp_targetILNS1_3genE8ELNS1_11target_archE1030ELNS1_3gpuE2ELNS1_3repE0EEENS1_30default_config_static_selectorELNS0_4arch9wavefront6targetE0EEEvT1_,"axG",@progbits,_ZN7rocprim17ROCPRIM_400000_NS6detail17trampoline_kernelINS0_14default_configENS1_25partition_config_selectorILNS1_17partition_subalgoE9EllbEEZZNS1_14partition_implILS5_9ELb0ES3_jPlS8_PNS0_10empty_typeENS0_5tupleIJS8_S9_EEENSB_IJS8_SA_EEENS0_18inequality_wrapperIZN2at6native12_GLOBAL__N_124unique_dim_cuda_templateIN3c104HalfEEESt5tupleIJNSF_6TensorESM_SM_EERKSM_lbbbEUlllE0_EEPmJS9_EEE10hipError_tPvRmT3_T4_T5_T6_T7_T9_mT8_P12ihipStream_tbDpT10_ENKUlT_T0_E_clISt17integral_constantIbLb1EES1B_IbLb0EEEEDaS17_S18_EUlS17_E_NS1_11comp_targetILNS1_3genE8ELNS1_11target_archE1030ELNS1_3gpuE2ELNS1_3repE0EEENS1_30default_config_static_selectorELNS0_4arch9wavefront6targetE0EEEvT1_,comdat
.Lfunc_end1350:
	.size	_ZN7rocprim17ROCPRIM_400000_NS6detail17trampoline_kernelINS0_14default_configENS1_25partition_config_selectorILNS1_17partition_subalgoE9EllbEEZZNS1_14partition_implILS5_9ELb0ES3_jPlS8_PNS0_10empty_typeENS0_5tupleIJS8_S9_EEENSB_IJS8_SA_EEENS0_18inequality_wrapperIZN2at6native12_GLOBAL__N_124unique_dim_cuda_templateIN3c104HalfEEESt5tupleIJNSF_6TensorESM_SM_EERKSM_lbbbEUlllE0_EEPmJS9_EEE10hipError_tPvRmT3_T4_T5_T6_T7_T9_mT8_P12ihipStream_tbDpT10_ENKUlT_T0_E_clISt17integral_constantIbLb1EES1B_IbLb0EEEEDaS17_S18_EUlS17_E_NS1_11comp_targetILNS1_3genE8ELNS1_11target_archE1030ELNS1_3gpuE2ELNS1_3repE0EEENS1_30default_config_static_selectorELNS0_4arch9wavefront6targetE0EEEvT1_, .Lfunc_end1350-_ZN7rocprim17ROCPRIM_400000_NS6detail17trampoline_kernelINS0_14default_configENS1_25partition_config_selectorILNS1_17partition_subalgoE9EllbEEZZNS1_14partition_implILS5_9ELb0ES3_jPlS8_PNS0_10empty_typeENS0_5tupleIJS8_S9_EEENSB_IJS8_SA_EEENS0_18inequality_wrapperIZN2at6native12_GLOBAL__N_124unique_dim_cuda_templateIN3c104HalfEEESt5tupleIJNSF_6TensorESM_SM_EERKSM_lbbbEUlllE0_EEPmJS9_EEE10hipError_tPvRmT3_T4_T5_T6_T7_T9_mT8_P12ihipStream_tbDpT10_ENKUlT_T0_E_clISt17integral_constantIbLb1EES1B_IbLb0EEEEDaS17_S18_EUlS17_E_NS1_11comp_targetILNS1_3genE8ELNS1_11target_archE1030ELNS1_3gpuE2ELNS1_3repE0EEENS1_30default_config_static_selectorELNS0_4arch9wavefront6targetE0EEEvT1_
                                        ; -- End function
	.section	.AMDGPU.csdata,"",@progbits
; Kernel info:
; codeLenInByte = 0
; NumSgprs: 0
; NumVgprs: 0
; ScratchSize: 0
; MemoryBound: 0
; FloatMode: 240
; IeeeMode: 1
; LDSByteSize: 0 bytes/workgroup (compile time only)
; SGPRBlocks: 0
; VGPRBlocks: 0
; NumSGPRsForWavesPerEU: 1
; NumVGPRsForWavesPerEU: 1
; Occupancy: 16
; WaveLimiterHint : 0
; COMPUTE_PGM_RSRC2:SCRATCH_EN: 0
; COMPUTE_PGM_RSRC2:USER_SGPR: 15
; COMPUTE_PGM_RSRC2:TRAP_HANDLER: 0
; COMPUTE_PGM_RSRC2:TGID_X_EN: 1
; COMPUTE_PGM_RSRC2:TGID_Y_EN: 0
; COMPUTE_PGM_RSRC2:TGID_Z_EN: 0
; COMPUTE_PGM_RSRC2:TIDIG_COMP_CNT: 0
	.section	.text._ZN7rocprim17ROCPRIM_400000_NS6detail17trampoline_kernelINS0_14default_configENS1_25partition_config_selectorILNS1_17partition_subalgoE9EllbEEZZNS1_14partition_implILS5_9ELb0ES3_jPlS8_PNS0_10empty_typeENS0_5tupleIJS8_S9_EEENSB_IJS8_SA_EEENS0_18inequality_wrapperIZN2at6native12_GLOBAL__N_124unique_dim_cuda_templateIN3c104HalfEEESt5tupleIJNSF_6TensorESM_SM_EERKSM_lbbbEUlllE0_EEPmJS9_EEE10hipError_tPvRmT3_T4_T5_T6_T7_T9_mT8_P12ihipStream_tbDpT10_ENKUlT_T0_E_clISt17integral_constantIbLb0EES1B_IbLb1EEEEDaS17_S18_EUlS17_E_NS1_11comp_targetILNS1_3genE0ELNS1_11target_archE4294967295ELNS1_3gpuE0ELNS1_3repE0EEENS1_30default_config_static_selectorELNS0_4arch9wavefront6targetE0EEEvT1_,"axG",@progbits,_ZN7rocprim17ROCPRIM_400000_NS6detail17trampoline_kernelINS0_14default_configENS1_25partition_config_selectorILNS1_17partition_subalgoE9EllbEEZZNS1_14partition_implILS5_9ELb0ES3_jPlS8_PNS0_10empty_typeENS0_5tupleIJS8_S9_EEENSB_IJS8_SA_EEENS0_18inequality_wrapperIZN2at6native12_GLOBAL__N_124unique_dim_cuda_templateIN3c104HalfEEESt5tupleIJNSF_6TensorESM_SM_EERKSM_lbbbEUlllE0_EEPmJS9_EEE10hipError_tPvRmT3_T4_T5_T6_T7_T9_mT8_P12ihipStream_tbDpT10_ENKUlT_T0_E_clISt17integral_constantIbLb0EES1B_IbLb1EEEEDaS17_S18_EUlS17_E_NS1_11comp_targetILNS1_3genE0ELNS1_11target_archE4294967295ELNS1_3gpuE0ELNS1_3repE0EEENS1_30default_config_static_selectorELNS0_4arch9wavefront6targetE0EEEvT1_,comdat
	.globl	_ZN7rocprim17ROCPRIM_400000_NS6detail17trampoline_kernelINS0_14default_configENS1_25partition_config_selectorILNS1_17partition_subalgoE9EllbEEZZNS1_14partition_implILS5_9ELb0ES3_jPlS8_PNS0_10empty_typeENS0_5tupleIJS8_S9_EEENSB_IJS8_SA_EEENS0_18inequality_wrapperIZN2at6native12_GLOBAL__N_124unique_dim_cuda_templateIN3c104HalfEEESt5tupleIJNSF_6TensorESM_SM_EERKSM_lbbbEUlllE0_EEPmJS9_EEE10hipError_tPvRmT3_T4_T5_T6_T7_T9_mT8_P12ihipStream_tbDpT10_ENKUlT_T0_E_clISt17integral_constantIbLb0EES1B_IbLb1EEEEDaS17_S18_EUlS17_E_NS1_11comp_targetILNS1_3genE0ELNS1_11target_archE4294967295ELNS1_3gpuE0ELNS1_3repE0EEENS1_30default_config_static_selectorELNS0_4arch9wavefront6targetE0EEEvT1_ ; -- Begin function _ZN7rocprim17ROCPRIM_400000_NS6detail17trampoline_kernelINS0_14default_configENS1_25partition_config_selectorILNS1_17partition_subalgoE9EllbEEZZNS1_14partition_implILS5_9ELb0ES3_jPlS8_PNS0_10empty_typeENS0_5tupleIJS8_S9_EEENSB_IJS8_SA_EEENS0_18inequality_wrapperIZN2at6native12_GLOBAL__N_124unique_dim_cuda_templateIN3c104HalfEEESt5tupleIJNSF_6TensorESM_SM_EERKSM_lbbbEUlllE0_EEPmJS9_EEE10hipError_tPvRmT3_T4_T5_T6_T7_T9_mT8_P12ihipStream_tbDpT10_ENKUlT_T0_E_clISt17integral_constantIbLb0EES1B_IbLb1EEEEDaS17_S18_EUlS17_E_NS1_11comp_targetILNS1_3genE0ELNS1_11target_archE4294967295ELNS1_3gpuE0ELNS1_3repE0EEENS1_30default_config_static_selectorELNS0_4arch9wavefront6targetE0EEEvT1_
	.p2align	8
	.type	_ZN7rocprim17ROCPRIM_400000_NS6detail17trampoline_kernelINS0_14default_configENS1_25partition_config_selectorILNS1_17partition_subalgoE9EllbEEZZNS1_14partition_implILS5_9ELb0ES3_jPlS8_PNS0_10empty_typeENS0_5tupleIJS8_S9_EEENSB_IJS8_SA_EEENS0_18inequality_wrapperIZN2at6native12_GLOBAL__N_124unique_dim_cuda_templateIN3c104HalfEEESt5tupleIJNSF_6TensorESM_SM_EERKSM_lbbbEUlllE0_EEPmJS9_EEE10hipError_tPvRmT3_T4_T5_T6_T7_T9_mT8_P12ihipStream_tbDpT10_ENKUlT_T0_E_clISt17integral_constantIbLb0EES1B_IbLb1EEEEDaS17_S18_EUlS17_E_NS1_11comp_targetILNS1_3genE0ELNS1_11target_archE4294967295ELNS1_3gpuE0ELNS1_3repE0EEENS1_30default_config_static_selectorELNS0_4arch9wavefront6targetE0EEEvT1_,@function
_ZN7rocprim17ROCPRIM_400000_NS6detail17trampoline_kernelINS0_14default_configENS1_25partition_config_selectorILNS1_17partition_subalgoE9EllbEEZZNS1_14partition_implILS5_9ELb0ES3_jPlS8_PNS0_10empty_typeENS0_5tupleIJS8_S9_EEENSB_IJS8_SA_EEENS0_18inequality_wrapperIZN2at6native12_GLOBAL__N_124unique_dim_cuda_templateIN3c104HalfEEESt5tupleIJNSF_6TensorESM_SM_EERKSM_lbbbEUlllE0_EEPmJS9_EEE10hipError_tPvRmT3_T4_T5_T6_T7_T9_mT8_P12ihipStream_tbDpT10_ENKUlT_T0_E_clISt17integral_constantIbLb0EES1B_IbLb1EEEEDaS17_S18_EUlS17_E_NS1_11comp_targetILNS1_3genE0ELNS1_11target_archE4294967295ELNS1_3gpuE0ELNS1_3repE0EEENS1_30default_config_static_selectorELNS0_4arch9wavefront6targetE0EEEvT1_: ; @_ZN7rocprim17ROCPRIM_400000_NS6detail17trampoline_kernelINS0_14default_configENS1_25partition_config_selectorILNS1_17partition_subalgoE9EllbEEZZNS1_14partition_implILS5_9ELb0ES3_jPlS8_PNS0_10empty_typeENS0_5tupleIJS8_S9_EEENSB_IJS8_SA_EEENS0_18inequality_wrapperIZN2at6native12_GLOBAL__N_124unique_dim_cuda_templateIN3c104HalfEEESt5tupleIJNSF_6TensorESM_SM_EERKSM_lbbbEUlllE0_EEPmJS9_EEE10hipError_tPvRmT3_T4_T5_T6_T7_T9_mT8_P12ihipStream_tbDpT10_ENKUlT_T0_E_clISt17integral_constantIbLb0EES1B_IbLb1EEEEDaS17_S18_EUlS17_E_NS1_11comp_targetILNS1_3genE0ELNS1_11target_archE4294967295ELNS1_3gpuE0ELNS1_3repE0EEENS1_30default_config_static_selectorELNS0_4arch9wavefront6targetE0EEEvT1_
; %bb.0:
	.section	.rodata,"a",@progbits
	.p2align	6, 0x0
	.amdhsa_kernel _ZN7rocprim17ROCPRIM_400000_NS6detail17trampoline_kernelINS0_14default_configENS1_25partition_config_selectorILNS1_17partition_subalgoE9EllbEEZZNS1_14partition_implILS5_9ELb0ES3_jPlS8_PNS0_10empty_typeENS0_5tupleIJS8_S9_EEENSB_IJS8_SA_EEENS0_18inequality_wrapperIZN2at6native12_GLOBAL__N_124unique_dim_cuda_templateIN3c104HalfEEESt5tupleIJNSF_6TensorESM_SM_EERKSM_lbbbEUlllE0_EEPmJS9_EEE10hipError_tPvRmT3_T4_T5_T6_T7_T9_mT8_P12ihipStream_tbDpT10_ENKUlT_T0_E_clISt17integral_constantIbLb0EES1B_IbLb1EEEEDaS17_S18_EUlS17_E_NS1_11comp_targetILNS1_3genE0ELNS1_11target_archE4294967295ELNS1_3gpuE0ELNS1_3repE0EEENS1_30default_config_static_selectorELNS0_4arch9wavefront6targetE0EEEvT1_
		.amdhsa_group_segment_fixed_size 0
		.amdhsa_private_segment_fixed_size 0
		.amdhsa_kernarg_size 136
		.amdhsa_user_sgpr_count 15
		.amdhsa_user_sgpr_dispatch_ptr 0
		.amdhsa_user_sgpr_queue_ptr 0
		.amdhsa_user_sgpr_kernarg_segment_ptr 1
		.amdhsa_user_sgpr_dispatch_id 0
		.amdhsa_user_sgpr_private_segment_size 0
		.amdhsa_wavefront_size32 1
		.amdhsa_uses_dynamic_stack 0
		.amdhsa_enable_private_segment 0
		.amdhsa_system_sgpr_workgroup_id_x 1
		.amdhsa_system_sgpr_workgroup_id_y 0
		.amdhsa_system_sgpr_workgroup_id_z 0
		.amdhsa_system_sgpr_workgroup_info 0
		.amdhsa_system_vgpr_workitem_id 0
		.amdhsa_next_free_vgpr 1
		.amdhsa_next_free_sgpr 1
		.amdhsa_reserve_vcc 0
		.amdhsa_float_round_mode_32 0
		.amdhsa_float_round_mode_16_64 0
		.amdhsa_float_denorm_mode_32 3
		.amdhsa_float_denorm_mode_16_64 3
		.amdhsa_dx10_clamp 1
		.amdhsa_ieee_mode 1
		.amdhsa_fp16_overflow 0
		.amdhsa_workgroup_processor_mode 1
		.amdhsa_memory_ordered 1
		.amdhsa_forward_progress 0
		.amdhsa_shared_vgpr_count 0
		.amdhsa_exception_fp_ieee_invalid_op 0
		.amdhsa_exception_fp_denorm_src 0
		.amdhsa_exception_fp_ieee_div_zero 0
		.amdhsa_exception_fp_ieee_overflow 0
		.amdhsa_exception_fp_ieee_underflow 0
		.amdhsa_exception_fp_ieee_inexact 0
		.amdhsa_exception_int_div_zero 0
	.end_amdhsa_kernel
	.section	.text._ZN7rocprim17ROCPRIM_400000_NS6detail17trampoline_kernelINS0_14default_configENS1_25partition_config_selectorILNS1_17partition_subalgoE9EllbEEZZNS1_14partition_implILS5_9ELb0ES3_jPlS8_PNS0_10empty_typeENS0_5tupleIJS8_S9_EEENSB_IJS8_SA_EEENS0_18inequality_wrapperIZN2at6native12_GLOBAL__N_124unique_dim_cuda_templateIN3c104HalfEEESt5tupleIJNSF_6TensorESM_SM_EERKSM_lbbbEUlllE0_EEPmJS9_EEE10hipError_tPvRmT3_T4_T5_T6_T7_T9_mT8_P12ihipStream_tbDpT10_ENKUlT_T0_E_clISt17integral_constantIbLb0EES1B_IbLb1EEEEDaS17_S18_EUlS17_E_NS1_11comp_targetILNS1_3genE0ELNS1_11target_archE4294967295ELNS1_3gpuE0ELNS1_3repE0EEENS1_30default_config_static_selectorELNS0_4arch9wavefront6targetE0EEEvT1_,"axG",@progbits,_ZN7rocprim17ROCPRIM_400000_NS6detail17trampoline_kernelINS0_14default_configENS1_25partition_config_selectorILNS1_17partition_subalgoE9EllbEEZZNS1_14partition_implILS5_9ELb0ES3_jPlS8_PNS0_10empty_typeENS0_5tupleIJS8_S9_EEENSB_IJS8_SA_EEENS0_18inequality_wrapperIZN2at6native12_GLOBAL__N_124unique_dim_cuda_templateIN3c104HalfEEESt5tupleIJNSF_6TensorESM_SM_EERKSM_lbbbEUlllE0_EEPmJS9_EEE10hipError_tPvRmT3_T4_T5_T6_T7_T9_mT8_P12ihipStream_tbDpT10_ENKUlT_T0_E_clISt17integral_constantIbLb0EES1B_IbLb1EEEEDaS17_S18_EUlS17_E_NS1_11comp_targetILNS1_3genE0ELNS1_11target_archE4294967295ELNS1_3gpuE0ELNS1_3repE0EEENS1_30default_config_static_selectorELNS0_4arch9wavefront6targetE0EEEvT1_,comdat
.Lfunc_end1351:
	.size	_ZN7rocprim17ROCPRIM_400000_NS6detail17trampoline_kernelINS0_14default_configENS1_25partition_config_selectorILNS1_17partition_subalgoE9EllbEEZZNS1_14partition_implILS5_9ELb0ES3_jPlS8_PNS0_10empty_typeENS0_5tupleIJS8_S9_EEENSB_IJS8_SA_EEENS0_18inequality_wrapperIZN2at6native12_GLOBAL__N_124unique_dim_cuda_templateIN3c104HalfEEESt5tupleIJNSF_6TensorESM_SM_EERKSM_lbbbEUlllE0_EEPmJS9_EEE10hipError_tPvRmT3_T4_T5_T6_T7_T9_mT8_P12ihipStream_tbDpT10_ENKUlT_T0_E_clISt17integral_constantIbLb0EES1B_IbLb1EEEEDaS17_S18_EUlS17_E_NS1_11comp_targetILNS1_3genE0ELNS1_11target_archE4294967295ELNS1_3gpuE0ELNS1_3repE0EEENS1_30default_config_static_selectorELNS0_4arch9wavefront6targetE0EEEvT1_, .Lfunc_end1351-_ZN7rocprim17ROCPRIM_400000_NS6detail17trampoline_kernelINS0_14default_configENS1_25partition_config_selectorILNS1_17partition_subalgoE9EllbEEZZNS1_14partition_implILS5_9ELb0ES3_jPlS8_PNS0_10empty_typeENS0_5tupleIJS8_S9_EEENSB_IJS8_SA_EEENS0_18inequality_wrapperIZN2at6native12_GLOBAL__N_124unique_dim_cuda_templateIN3c104HalfEEESt5tupleIJNSF_6TensorESM_SM_EERKSM_lbbbEUlllE0_EEPmJS9_EEE10hipError_tPvRmT3_T4_T5_T6_T7_T9_mT8_P12ihipStream_tbDpT10_ENKUlT_T0_E_clISt17integral_constantIbLb0EES1B_IbLb1EEEEDaS17_S18_EUlS17_E_NS1_11comp_targetILNS1_3genE0ELNS1_11target_archE4294967295ELNS1_3gpuE0ELNS1_3repE0EEENS1_30default_config_static_selectorELNS0_4arch9wavefront6targetE0EEEvT1_
                                        ; -- End function
	.section	.AMDGPU.csdata,"",@progbits
; Kernel info:
; codeLenInByte = 0
; NumSgprs: 0
; NumVgprs: 0
; ScratchSize: 0
; MemoryBound: 0
; FloatMode: 240
; IeeeMode: 1
; LDSByteSize: 0 bytes/workgroup (compile time only)
; SGPRBlocks: 0
; VGPRBlocks: 0
; NumSGPRsForWavesPerEU: 1
; NumVGPRsForWavesPerEU: 1
; Occupancy: 16
; WaveLimiterHint : 0
; COMPUTE_PGM_RSRC2:SCRATCH_EN: 0
; COMPUTE_PGM_RSRC2:USER_SGPR: 15
; COMPUTE_PGM_RSRC2:TRAP_HANDLER: 0
; COMPUTE_PGM_RSRC2:TGID_X_EN: 1
; COMPUTE_PGM_RSRC2:TGID_Y_EN: 0
; COMPUTE_PGM_RSRC2:TGID_Z_EN: 0
; COMPUTE_PGM_RSRC2:TIDIG_COMP_CNT: 0
	.section	.text._ZN7rocprim17ROCPRIM_400000_NS6detail17trampoline_kernelINS0_14default_configENS1_25partition_config_selectorILNS1_17partition_subalgoE9EllbEEZZNS1_14partition_implILS5_9ELb0ES3_jPlS8_PNS0_10empty_typeENS0_5tupleIJS8_S9_EEENSB_IJS8_SA_EEENS0_18inequality_wrapperIZN2at6native12_GLOBAL__N_124unique_dim_cuda_templateIN3c104HalfEEESt5tupleIJNSF_6TensorESM_SM_EERKSM_lbbbEUlllE0_EEPmJS9_EEE10hipError_tPvRmT3_T4_T5_T6_T7_T9_mT8_P12ihipStream_tbDpT10_ENKUlT_T0_E_clISt17integral_constantIbLb0EES1B_IbLb1EEEEDaS17_S18_EUlS17_E_NS1_11comp_targetILNS1_3genE5ELNS1_11target_archE942ELNS1_3gpuE9ELNS1_3repE0EEENS1_30default_config_static_selectorELNS0_4arch9wavefront6targetE0EEEvT1_,"axG",@progbits,_ZN7rocprim17ROCPRIM_400000_NS6detail17trampoline_kernelINS0_14default_configENS1_25partition_config_selectorILNS1_17partition_subalgoE9EllbEEZZNS1_14partition_implILS5_9ELb0ES3_jPlS8_PNS0_10empty_typeENS0_5tupleIJS8_S9_EEENSB_IJS8_SA_EEENS0_18inequality_wrapperIZN2at6native12_GLOBAL__N_124unique_dim_cuda_templateIN3c104HalfEEESt5tupleIJNSF_6TensorESM_SM_EERKSM_lbbbEUlllE0_EEPmJS9_EEE10hipError_tPvRmT3_T4_T5_T6_T7_T9_mT8_P12ihipStream_tbDpT10_ENKUlT_T0_E_clISt17integral_constantIbLb0EES1B_IbLb1EEEEDaS17_S18_EUlS17_E_NS1_11comp_targetILNS1_3genE5ELNS1_11target_archE942ELNS1_3gpuE9ELNS1_3repE0EEENS1_30default_config_static_selectorELNS0_4arch9wavefront6targetE0EEEvT1_,comdat
	.globl	_ZN7rocprim17ROCPRIM_400000_NS6detail17trampoline_kernelINS0_14default_configENS1_25partition_config_selectorILNS1_17partition_subalgoE9EllbEEZZNS1_14partition_implILS5_9ELb0ES3_jPlS8_PNS0_10empty_typeENS0_5tupleIJS8_S9_EEENSB_IJS8_SA_EEENS0_18inequality_wrapperIZN2at6native12_GLOBAL__N_124unique_dim_cuda_templateIN3c104HalfEEESt5tupleIJNSF_6TensorESM_SM_EERKSM_lbbbEUlllE0_EEPmJS9_EEE10hipError_tPvRmT3_T4_T5_T6_T7_T9_mT8_P12ihipStream_tbDpT10_ENKUlT_T0_E_clISt17integral_constantIbLb0EES1B_IbLb1EEEEDaS17_S18_EUlS17_E_NS1_11comp_targetILNS1_3genE5ELNS1_11target_archE942ELNS1_3gpuE9ELNS1_3repE0EEENS1_30default_config_static_selectorELNS0_4arch9wavefront6targetE0EEEvT1_ ; -- Begin function _ZN7rocprim17ROCPRIM_400000_NS6detail17trampoline_kernelINS0_14default_configENS1_25partition_config_selectorILNS1_17partition_subalgoE9EllbEEZZNS1_14partition_implILS5_9ELb0ES3_jPlS8_PNS0_10empty_typeENS0_5tupleIJS8_S9_EEENSB_IJS8_SA_EEENS0_18inequality_wrapperIZN2at6native12_GLOBAL__N_124unique_dim_cuda_templateIN3c104HalfEEESt5tupleIJNSF_6TensorESM_SM_EERKSM_lbbbEUlllE0_EEPmJS9_EEE10hipError_tPvRmT3_T4_T5_T6_T7_T9_mT8_P12ihipStream_tbDpT10_ENKUlT_T0_E_clISt17integral_constantIbLb0EES1B_IbLb1EEEEDaS17_S18_EUlS17_E_NS1_11comp_targetILNS1_3genE5ELNS1_11target_archE942ELNS1_3gpuE9ELNS1_3repE0EEENS1_30default_config_static_selectorELNS0_4arch9wavefront6targetE0EEEvT1_
	.p2align	8
	.type	_ZN7rocprim17ROCPRIM_400000_NS6detail17trampoline_kernelINS0_14default_configENS1_25partition_config_selectorILNS1_17partition_subalgoE9EllbEEZZNS1_14partition_implILS5_9ELb0ES3_jPlS8_PNS0_10empty_typeENS0_5tupleIJS8_S9_EEENSB_IJS8_SA_EEENS0_18inequality_wrapperIZN2at6native12_GLOBAL__N_124unique_dim_cuda_templateIN3c104HalfEEESt5tupleIJNSF_6TensorESM_SM_EERKSM_lbbbEUlllE0_EEPmJS9_EEE10hipError_tPvRmT3_T4_T5_T6_T7_T9_mT8_P12ihipStream_tbDpT10_ENKUlT_T0_E_clISt17integral_constantIbLb0EES1B_IbLb1EEEEDaS17_S18_EUlS17_E_NS1_11comp_targetILNS1_3genE5ELNS1_11target_archE942ELNS1_3gpuE9ELNS1_3repE0EEENS1_30default_config_static_selectorELNS0_4arch9wavefront6targetE0EEEvT1_,@function
_ZN7rocprim17ROCPRIM_400000_NS6detail17trampoline_kernelINS0_14default_configENS1_25partition_config_selectorILNS1_17partition_subalgoE9EllbEEZZNS1_14partition_implILS5_9ELb0ES3_jPlS8_PNS0_10empty_typeENS0_5tupleIJS8_S9_EEENSB_IJS8_SA_EEENS0_18inequality_wrapperIZN2at6native12_GLOBAL__N_124unique_dim_cuda_templateIN3c104HalfEEESt5tupleIJNSF_6TensorESM_SM_EERKSM_lbbbEUlllE0_EEPmJS9_EEE10hipError_tPvRmT3_T4_T5_T6_T7_T9_mT8_P12ihipStream_tbDpT10_ENKUlT_T0_E_clISt17integral_constantIbLb0EES1B_IbLb1EEEEDaS17_S18_EUlS17_E_NS1_11comp_targetILNS1_3genE5ELNS1_11target_archE942ELNS1_3gpuE9ELNS1_3repE0EEENS1_30default_config_static_selectorELNS0_4arch9wavefront6targetE0EEEvT1_: ; @_ZN7rocprim17ROCPRIM_400000_NS6detail17trampoline_kernelINS0_14default_configENS1_25partition_config_selectorILNS1_17partition_subalgoE9EllbEEZZNS1_14partition_implILS5_9ELb0ES3_jPlS8_PNS0_10empty_typeENS0_5tupleIJS8_S9_EEENSB_IJS8_SA_EEENS0_18inequality_wrapperIZN2at6native12_GLOBAL__N_124unique_dim_cuda_templateIN3c104HalfEEESt5tupleIJNSF_6TensorESM_SM_EERKSM_lbbbEUlllE0_EEPmJS9_EEE10hipError_tPvRmT3_T4_T5_T6_T7_T9_mT8_P12ihipStream_tbDpT10_ENKUlT_T0_E_clISt17integral_constantIbLb0EES1B_IbLb1EEEEDaS17_S18_EUlS17_E_NS1_11comp_targetILNS1_3genE5ELNS1_11target_archE942ELNS1_3gpuE9ELNS1_3repE0EEENS1_30default_config_static_selectorELNS0_4arch9wavefront6targetE0EEEvT1_
; %bb.0:
	.section	.rodata,"a",@progbits
	.p2align	6, 0x0
	.amdhsa_kernel _ZN7rocprim17ROCPRIM_400000_NS6detail17trampoline_kernelINS0_14default_configENS1_25partition_config_selectorILNS1_17partition_subalgoE9EllbEEZZNS1_14partition_implILS5_9ELb0ES3_jPlS8_PNS0_10empty_typeENS0_5tupleIJS8_S9_EEENSB_IJS8_SA_EEENS0_18inequality_wrapperIZN2at6native12_GLOBAL__N_124unique_dim_cuda_templateIN3c104HalfEEESt5tupleIJNSF_6TensorESM_SM_EERKSM_lbbbEUlllE0_EEPmJS9_EEE10hipError_tPvRmT3_T4_T5_T6_T7_T9_mT8_P12ihipStream_tbDpT10_ENKUlT_T0_E_clISt17integral_constantIbLb0EES1B_IbLb1EEEEDaS17_S18_EUlS17_E_NS1_11comp_targetILNS1_3genE5ELNS1_11target_archE942ELNS1_3gpuE9ELNS1_3repE0EEENS1_30default_config_static_selectorELNS0_4arch9wavefront6targetE0EEEvT1_
		.amdhsa_group_segment_fixed_size 0
		.amdhsa_private_segment_fixed_size 0
		.amdhsa_kernarg_size 136
		.amdhsa_user_sgpr_count 15
		.amdhsa_user_sgpr_dispatch_ptr 0
		.amdhsa_user_sgpr_queue_ptr 0
		.amdhsa_user_sgpr_kernarg_segment_ptr 1
		.amdhsa_user_sgpr_dispatch_id 0
		.amdhsa_user_sgpr_private_segment_size 0
		.amdhsa_wavefront_size32 1
		.amdhsa_uses_dynamic_stack 0
		.amdhsa_enable_private_segment 0
		.amdhsa_system_sgpr_workgroup_id_x 1
		.amdhsa_system_sgpr_workgroup_id_y 0
		.amdhsa_system_sgpr_workgroup_id_z 0
		.amdhsa_system_sgpr_workgroup_info 0
		.amdhsa_system_vgpr_workitem_id 0
		.amdhsa_next_free_vgpr 1
		.amdhsa_next_free_sgpr 1
		.amdhsa_reserve_vcc 0
		.amdhsa_float_round_mode_32 0
		.amdhsa_float_round_mode_16_64 0
		.amdhsa_float_denorm_mode_32 3
		.amdhsa_float_denorm_mode_16_64 3
		.amdhsa_dx10_clamp 1
		.amdhsa_ieee_mode 1
		.amdhsa_fp16_overflow 0
		.amdhsa_workgroup_processor_mode 1
		.amdhsa_memory_ordered 1
		.amdhsa_forward_progress 0
		.amdhsa_shared_vgpr_count 0
		.amdhsa_exception_fp_ieee_invalid_op 0
		.amdhsa_exception_fp_denorm_src 0
		.amdhsa_exception_fp_ieee_div_zero 0
		.amdhsa_exception_fp_ieee_overflow 0
		.amdhsa_exception_fp_ieee_underflow 0
		.amdhsa_exception_fp_ieee_inexact 0
		.amdhsa_exception_int_div_zero 0
	.end_amdhsa_kernel
	.section	.text._ZN7rocprim17ROCPRIM_400000_NS6detail17trampoline_kernelINS0_14default_configENS1_25partition_config_selectorILNS1_17partition_subalgoE9EllbEEZZNS1_14partition_implILS5_9ELb0ES3_jPlS8_PNS0_10empty_typeENS0_5tupleIJS8_S9_EEENSB_IJS8_SA_EEENS0_18inequality_wrapperIZN2at6native12_GLOBAL__N_124unique_dim_cuda_templateIN3c104HalfEEESt5tupleIJNSF_6TensorESM_SM_EERKSM_lbbbEUlllE0_EEPmJS9_EEE10hipError_tPvRmT3_T4_T5_T6_T7_T9_mT8_P12ihipStream_tbDpT10_ENKUlT_T0_E_clISt17integral_constantIbLb0EES1B_IbLb1EEEEDaS17_S18_EUlS17_E_NS1_11comp_targetILNS1_3genE5ELNS1_11target_archE942ELNS1_3gpuE9ELNS1_3repE0EEENS1_30default_config_static_selectorELNS0_4arch9wavefront6targetE0EEEvT1_,"axG",@progbits,_ZN7rocprim17ROCPRIM_400000_NS6detail17trampoline_kernelINS0_14default_configENS1_25partition_config_selectorILNS1_17partition_subalgoE9EllbEEZZNS1_14partition_implILS5_9ELb0ES3_jPlS8_PNS0_10empty_typeENS0_5tupleIJS8_S9_EEENSB_IJS8_SA_EEENS0_18inequality_wrapperIZN2at6native12_GLOBAL__N_124unique_dim_cuda_templateIN3c104HalfEEESt5tupleIJNSF_6TensorESM_SM_EERKSM_lbbbEUlllE0_EEPmJS9_EEE10hipError_tPvRmT3_T4_T5_T6_T7_T9_mT8_P12ihipStream_tbDpT10_ENKUlT_T0_E_clISt17integral_constantIbLb0EES1B_IbLb1EEEEDaS17_S18_EUlS17_E_NS1_11comp_targetILNS1_3genE5ELNS1_11target_archE942ELNS1_3gpuE9ELNS1_3repE0EEENS1_30default_config_static_selectorELNS0_4arch9wavefront6targetE0EEEvT1_,comdat
.Lfunc_end1352:
	.size	_ZN7rocprim17ROCPRIM_400000_NS6detail17trampoline_kernelINS0_14default_configENS1_25partition_config_selectorILNS1_17partition_subalgoE9EllbEEZZNS1_14partition_implILS5_9ELb0ES3_jPlS8_PNS0_10empty_typeENS0_5tupleIJS8_S9_EEENSB_IJS8_SA_EEENS0_18inequality_wrapperIZN2at6native12_GLOBAL__N_124unique_dim_cuda_templateIN3c104HalfEEESt5tupleIJNSF_6TensorESM_SM_EERKSM_lbbbEUlllE0_EEPmJS9_EEE10hipError_tPvRmT3_T4_T5_T6_T7_T9_mT8_P12ihipStream_tbDpT10_ENKUlT_T0_E_clISt17integral_constantIbLb0EES1B_IbLb1EEEEDaS17_S18_EUlS17_E_NS1_11comp_targetILNS1_3genE5ELNS1_11target_archE942ELNS1_3gpuE9ELNS1_3repE0EEENS1_30default_config_static_selectorELNS0_4arch9wavefront6targetE0EEEvT1_, .Lfunc_end1352-_ZN7rocprim17ROCPRIM_400000_NS6detail17trampoline_kernelINS0_14default_configENS1_25partition_config_selectorILNS1_17partition_subalgoE9EllbEEZZNS1_14partition_implILS5_9ELb0ES3_jPlS8_PNS0_10empty_typeENS0_5tupleIJS8_S9_EEENSB_IJS8_SA_EEENS0_18inequality_wrapperIZN2at6native12_GLOBAL__N_124unique_dim_cuda_templateIN3c104HalfEEESt5tupleIJNSF_6TensorESM_SM_EERKSM_lbbbEUlllE0_EEPmJS9_EEE10hipError_tPvRmT3_T4_T5_T6_T7_T9_mT8_P12ihipStream_tbDpT10_ENKUlT_T0_E_clISt17integral_constantIbLb0EES1B_IbLb1EEEEDaS17_S18_EUlS17_E_NS1_11comp_targetILNS1_3genE5ELNS1_11target_archE942ELNS1_3gpuE9ELNS1_3repE0EEENS1_30default_config_static_selectorELNS0_4arch9wavefront6targetE0EEEvT1_
                                        ; -- End function
	.section	.AMDGPU.csdata,"",@progbits
; Kernel info:
; codeLenInByte = 0
; NumSgprs: 0
; NumVgprs: 0
; ScratchSize: 0
; MemoryBound: 0
; FloatMode: 240
; IeeeMode: 1
; LDSByteSize: 0 bytes/workgroup (compile time only)
; SGPRBlocks: 0
; VGPRBlocks: 0
; NumSGPRsForWavesPerEU: 1
; NumVGPRsForWavesPerEU: 1
; Occupancy: 16
; WaveLimiterHint : 0
; COMPUTE_PGM_RSRC2:SCRATCH_EN: 0
; COMPUTE_PGM_RSRC2:USER_SGPR: 15
; COMPUTE_PGM_RSRC2:TRAP_HANDLER: 0
; COMPUTE_PGM_RSRC2:TGID_X_EN: 1
; COMPUTE_PGM_RSRC2:TGID_Y_EN: 0
; COMPUTE_PGM_RSRC2:TGID_Z_EN: 0
; COMPUTE_PGM_RSRC2:TIDIG_COMP_CNT: 0
	.section	.text._ZN7rocprim17ROCPRIM_400000_NS6detail17trampoline_kernelINS0_14default_configENS1_25partition_config_selectorILNS1_17partition_subalgoE9EllbEEZZNS1_14partition_implILS5_9ELb0ES3_jPlS8_PNS0_10empty_typeENS0_5tupleIJS8_S9_EEENSB_IJS8_SA_EEENS0_18inequality_wrapperIZN2at6native12_GLOBAL__N_124unique_dim_cuda_templateIN3c104HalfEEESt5tupleIJNSF_6TensorESM_SM_EERKSM_lbbbEUlllE0_EEPmJS9_EEE10hipError_tPvRmT3_T4_T5_T6_T7_T9_mT8_P12ihipStream_tbDpT10_ENKUlT_T0_E_clISt17integral_constantIbLb0EES1B_IbLb1EEEEDaS17_S18_EUlS17_E_NS1_11comp_targetILNS1_3genE4ELNS1_11target_archE910ELNS1_3gpuE8ELNS1_3repE0EEENS1_30default_config_static_selectorELNS0_4arch9wavefront6targetE0EEEvT1_,"axG",@progbits,_ZN7rocprim17ROCPRIM_400000_NS6detail17trampoline_kernelINS0_14default_configENS1_25partition_config_selectorILNS1_17partition_subalgoE9EllbEEZZNS1_14partition_implILS5_9ELb0ES3_jPlS8_PNS0_10empty_typeENS0_5tupleIJS8_S9_EEENSB_IJS8_SA_EEENS0_18inequality_wrapperIZN2at6native12_GLOBAL__N_124unique_dim_cuda_templateIN3c104HalfEEESt5tupleIJNSF_6TensorESM_SM_EERKSM_lbbbEUlllE0_EEPmJS9_EEE10hipError_tPvRmT3_T4_T5_T6_T7_T9_mT8_P12ihipStream_tbDpT10_ENKUlT_T0_E_clISt17integral_constantIbLb0EES1B_IbLb1EEEEDaS17_S18_EUlS17_E_NS1_11comp_targetILNS1_3genE4ELNS1_11target_archE910ELNS1_3gpuE8ELNS1_3repE0EEENS1_30default_config_static_selectorELNS0_4arch9wavefront6targetE0EEEvT1_,comdat
	.globl	_ZN7rocprim17ROCPRIM_400000_NS6detail17trampoline_kernelINS0_14default_configENS1_25partition_config_selectorILNS1_17partition_subalgoE9EllbEEZZNS1_14partition_implILS5_9ELb0ES3_jPlS8_PNS0_10empty_typeENS0_5tupleIJS8_S9_EEENSB_IJS8_SA_EEENS0_18inequality_wrapperIZN2at6native12_GLOBAL__N_124unique_dim_cuda_templateIN3c104HalfEEESt5tupleIJNSF_6TensorESM_SM_EERKSM_lbbbEUlllE0_EEPmJS9_EEE10hipError_tPvRmT3_T4_T5_T6_T7_T9_mT8_P12ihipStream_tbDpT10_ENKUlT_T0_E_clISt17integral_constantIbLb0EES1B_IbLb1EEEEDaS17_S18_EUlS17_E_NS1_11comp_targetILNS1_3genE4ELNS1_11target_archE910ELNS1_3gpuE8ELNS1_3repE0EEENS1_30default_config_static_selectorELNS0_4arch9wavefront6targetE0EEEvT1_ ; -- Begin function _ZN7rocprim17ROCPRIM_400000_NS6detail17trampoline_kernelINS0_14default_configENS1_25partition_config_selectorILNS1_17partition_subalgoE9EllbEEZZNS1_14partition_implILS5_9ELb0ES3_jPlS8_PNS0_10empty_typeENS0_5tupleIJS8_S9_EEENSB_IJS8_SA_EEENS0_18inequality_wrapperIZN2at6native12_GLOBAL__N_124unique_dim_cuda_templateIN3c104HalfEEESt5tupleIJNSF_6TensorESM_SM_EERKSM_lbbbEUlllE0_EEPmJS9_EEE10hipError_tPvRmT3_T4_T5_T6_T7_T9_mT8_P12ihipStream_tbDpT10_ENKUlT_T0_E_clISt17integral_constantIbLb0EES1B_IbLb1EEEEDaS17_S18_EUlS17_E_NS1_11comp_targetILNS1_3genE4ELNS1_11target_archE910ELNS1_3gpuE8ELNS1_3repE0EEENS1_30default_config_static_selectorELNS0_4arch9wavefront6targetE0EEEvT1_
	.p2align	8
	.type	_ZN7rocprim17ROCPRIM_400000_NS6detail17trampoline_kernelINS0_14default_configENS1_25partition_config_selectorILNS1_17partition_subalgoE9EllbEEZZNS1_14partition_implILS5_9ELb0ES3_jPlS8_PNS0_10empty_typeENS0_5tupleIJS8_S9_EEENSB_IJS8_SA_EEENS0_18inequality_wrapperIZN2at6native12_GLOBAL__N_124unique_dim_cuda_templateIN3c104HalfEEESt5tupleIJNSF_6TensorESM_SM_EERKSM_lbbbEUlllE0_EEPmJS9_EEE10hipError_tPvRmT3_T4_T5_T6_T7_T9_mT8_P12ihipStream_tbDpT10_ENKUlT_T0_E_clISt17integral_constantIbLb0EES1B_IbLb1EEEEDaS17_S18_EUlS17_E_NS1_11comp_targetILNS1_3genE4ELNS1_11target_archE910ELNS1_3gpuE8ELNS1_3repE0EEENS1_30default_config_static_selectorELNS0_4arch9wavefront6targetE0EEEvT1_,@function
_ZN7rocprim17ROCPRIM_400000_NS6detail17trampoline_kernelINS0_14default_configENS1_25partition_config_selectorILNS1_17partition_subalgoE9EllbEEZZNS1_14partition_implILS5_9ELb0ES3_jPlS8_PNS0_10empty_typeENS0_5tupleIJS8_S9_EEENSB_IJS8_SA_EEENS0_18inequality_wrapperIZN2at6native12_GLOBAL__N_124unique_dim_cuda_templateIN3c104HalfEEESt5tupleIJNSF_6TensorESM_SM_EERKSM_lbbbEUlllE0_EEPmJS9_EEE10hipError_tPvRmT3_T4_T5_T6_T7_T9_mT8_P12ihipStream_tbDpT10_ENKUlT_T0_E_clISt17integral_constantIbLb0EES1B_IbLb1EEEEDaS17_S18_EUlS17_E_NS1_11comp_targetILNS1_3genE4ELNS1_11target_archE910ELNS1_3gpuE8ELNS1_3repE0EEENS1_30default_config_static_selectorELNS0_4arch9wavefront6targetE0EEEvT1_: ; @_ZN7rocprim17ROCPRIM_400000_NS6detail17trampoline_kernelINS0_14default_configENS1_25partition_config_selectorILNS1_17partition_subalgoE9EllbEEZZNS1_14partition_implILS5_9ELb0ES3_jPlS8_PNS0_10empty_typeENS0_5tupleIJS8_S9_EEENSB_IJS8_SA_EEENS0_18inequality_wrapperIZN2at6native12_GLOBAL__N_124unique_dim_cuda_templateIN3c104HalfEEESt5tupleIJNSF_6TensorESM_SM_EERKSM_lbbbEUlllE0_EEPmJS9_EEE10hipError_tPvRmT3_T4_T5_T6_T7_T9_mT8_P12ihipStream_tbDpT10_ENKUlT_T0_E_clISt17integral_constantIbLb0EES1B_IbLb1EEEEDaS17_S18_EUlS17_E_NS1_11comp_targetILNS1_3genE4ELNS1_11target_archE910ELNS1_3gpuE8ELNS1_3repE0EEENS1_30default_config_static_selectorELNS0_4arch9wavefront6targetE0EEEvT1_
; %bb.0:
	.section	.rodata,"a",@progbits
	.p2align	6, 0x0
	.amdhsa_kernel _ZN7rocprim17ROCPRIM_400000_NS6detail17trampoline_kernelINS0_14default_configENS1_25partition_config_selectorILNS1_17partition_subalgoE9EllbEEZZNS1_14partition_implILS5_9ELb0ES3_jPlS8_PNS0_10empty_typeENS0_5tupleIJS8_S9_EEENSB_IJS8_SA_EEENS0_18inequality_wrapperIZN2at6native12_GLOBAL__N_124unique_dim_cuda_templateIN3c104HalfEEESt5tupleIJNSF_6TensorESM_SM_EERKSM_lbbbEUlllE0_EEPmJS9_EEE10hipError_tPvRmT3_T4_T5_T6_T7_T9_mT8_P12ihipStream_tbDpT10_ENKUlT_T0_E_clISt17integral_constantIbLb0EES1B_IbLb1EEEEDaS17_S18_EUlS17_E_NS1_11comp_targetILNS1_3genE4ELNS1_11target_archE910ELNS1_3gpuE8ELNS1_3repE0EEENS1_30default_config_static_selectorELNS0_4arch9wavefront6targetE0EEEvT1_
		.amdhsa_group_segment_fixed_size 0
		.amdhsa_private_segment_fixed_size 0
		.amdhsa_kernarg_size 136
		.amdhsa_user_sgpr_count 15
		.amdhsa_user_sgpr_dispatch_ptr 0
		.amdhsa_user_sgpr_queue_ptr 0
		.amdhsa_user_sgpr_kernarg_segment_ptr 1
		.amdhsa_user_sgpr_dispatch_id 0
		.amdhsa_user_sgpr_private_segment_size 0
		.amdhsa_wavefront_size32 1
		.amdhsa_uses_dynamic_stack 0
		.amdhsa_enable_private_segment 0
		.amdhsa_system_sgpr_workgroup_id_x 1
		.amdhsa_system_sgpr_workgroup_id_y 0
		.amdhsa_system_sgpr_workgroup_id_z 0
		.amdhsa_system_sgpr_workgroup_info 0
		.amdhsa_system_vgpr_workitem_id 0
		.amdhsa_next_free_vgpr 1
		.amdhsa_next_free_sgpr 1
		.amdhsa_reserve_vcc 0
		.amdhsa_float_round_mode_32 0
		.amdhsa_float_round_mode_16_64 0
		.amdhsa_float_denorm_mode_32 3
		.amdhsa_float_denorm_mode_16_64 3
		.amdhsa_dx10_clamp 1
		.amdhsa_ieee_mode 1
		.amdhsa_fp16_overflow 0
		.amdhsa_workgroup_processor_mode 1
		.amdhsa_memory_ordered 1
		.amdhsa_forward_progress 0
		.amdhsa_shared_vgpr_count 0
		.amdhsa_exception_fp_ieee_invalid_op 0
		.amdhsa_exception_fp_denorm_src 0
		.amdhsa_exception_fp_ieee_div_zero 0
		.amdhsa_exception_fp_ieee_overflow 0
		.amdhsa_exception_fp_ieee_underflow 0
		.amdhsa_exception_fp_ieee_inexact 0
		.amdhsa_exception_int_div_zero 0
	.end_amdhsa_kernel
	.section	.text._ZN7rocprim17ROCPRIM_400000_NS6detail17trampoline_kernelINS0_14default_configENS1_25partition_config_selectorILNS1_17partition_subalgoE9EllbEEZZNS1_14partition_implILS5_9ELb0ES3_jPlS8_PNS0_10empty_typeENS0_5tupleIJS8_S9_EEENSB_IJS8_SA_EEENS0_18inequality_wrapperIZN2at6native12_GLOBAL__N_124unique_dim_cuda_templateIN3c104HalfEEESt5tupleIJNSF_6TensorESM_SM_EERKSM_lbbbEUlllE0_EEPmJS9_EEE10hipError_tPvRmT3_T4_T5_T6_T7_T9_mT8_P12ihipStream_tbDpT10_ENKUlT_T0_E_clISt17integral_constantIbLb0EES1B_IbLb1EEEEDaS17_S18_EUlS17_E_NS1_11comp_targetILNS1_3genE4ELNS1_11target_archE910ELNS1_3gpuE8ELNS1_3repE0EEENS1_30default_config_static_selectorELNS0_4arch9wavefront6targetE0EEEvT1_,"axG",@progbits,_ZN7rocprim17ROCPRIM_400000_NS6detail17trampoline_kernelINS0_14default_configENS1_25partition_config_selectorILNS1_17partition_subalgoE9EllbEEZZNS1_14partition_implILS5_9ELb0ES3_jPlS8_PNS0_10empty_typeENS0_5tupleIJS8_S9_EEENSB_IJS8_SA_EEENS0_18inequality_wrapperIZN2at6native12_GLOBAL__N_124unique_dim_cuda_templateIN3c104HalfEEESt5tupleIJNSF_6TensorESM_SM_EERKSM_lbbbEUlllE0_EEPmJS9_EEE10hipError_tPvRmT3_T4_T5_T6_T7_T9_mT8_P12ihipStream_tbDpT10_ENKUlT_T0_E_clISt17integral_constantIbLb0EES1B_IbLb1EEEEDaS17_S18_EUlS17_E_NS1_11comp_targetILNS1_3genE4ELNS1_11target_archE910ELNS1_3gpuE8ELNS1_3repE0EEENS1_30default_config_static_selectorELNS0_4arch9wavefront6targetE0EEEvT1_,comdat
.Lfunc_end1353:
	.size	_ZN7rocprim17ROCPRIM_400000_NS6detail17trampoline_kernelINS0_14default_configENS1_25partition_config_selectorILNS1_17partition_subalgoE9EllbEEZZNS1_14partition_implILS5_9ELb0ES3_jPlS8_PNS0_10empty_typeENS0_5tupleIJS8_S9_EEENSB_IJS8_SA_EEENS0_18inequality_wrapperIZN2at6native12_GLOBAL__N_124unique_dim_cuda_templateIN3c104HalfEEESt5tupleIJNSF_6TensorESM_SM_EERKSM_lbbbEUlllE0_EEPmJS9_EEE10hipError_tPvRmT3_T4_T5_T6_T7_T9_mT8_P12ihipStream_tbDpT10_ENKUlT_T0_E_clISt17integral_constantIbLb0EES1B_IbLb1EEEEDaS17_S18_EUlS17_E_NS1_11comp_targetILNS1_3genE4ELNS1_11target_archE910ELNS1_3gpuE8ELNS1_3repE0EEENS1_30default_config_static_selectorELNS0_4arch9wavefront6targetE0EEEvT1_, .Lfunc_end1353-_ZN7rocprim17ROCPRIM_400000_NS6detail17trampoline_kernelINS0_14default_configENS1_25partition_config_selectorILNS1_17partition_subalgoE9EllbEEZZNS1_14partition_implILS5_9ELb0ES3_jPlS8_PNS0_10empty_typeENS0_5tupleIJS8_S9_EEENSB_IJS8_SA_EEENS0_18inequality_wrapperIZN2at6native12_GLOBAL__N_124unique_dim_cuda_templateIN3c104HalfEEESt5tupleIJNSF_6TensorESM_SM_EERKSM_lbbbEUlllE0_EEPmJS9_EEE10hipError_tPvRmT3_T4_T5_T6_T7_T9_mT8_P12ihipStream_tbDpT10_ENKUlT_T0_E_clISt17integral_constantIbLb0EES1B_IbLb1EEEEDaS17_S18_EUlS17_E_NS1_11comp_targetILNS1_3genE4ELNS1_11target_archE910ELNS1_3gpuE8ELNS1_3repE0EEENS1_30default_config_static_selectorELNS0_4arch9wavefront6targetE0EEEvT1_
                                        ; -- End function
	.section	.AMDGPU.csdata,"",@progbits
; Kernel info:
; codeLenInByte = 0
; NumSgprs: 0
; NumVgprs: 0
; ScratchSize: 0
; MemoryBound: 0
; FloatMode: 240
; IeeeMode: 1
; LDSByteSize: 0 bytes/workgroup (compile time only)
; SGPRBlocks: 0
; VGPRBlocks: 0
; NumSGPRsForWavesPerEU: 1
; NumVGPRsForWavesPerEU: 1
; Occupancy: 16
; WaveLimiterHint : 0
; COMPUTE_PGM_RSRC2:SCRATCH_EN: 0
; COMPUTE_PGM_RSRC2:USER_SGPR: 15
; COMPUTE_PGM_RSRC2:TRAP_HANDLER: 0
; COMPUTE_PGM_RSRC2:TGID_X_EN: 1
; COMPUTE_PGM_RSRC2:TGID_Y_EN: 0
; COMPUTE_PGM_RSRC2:TGID_Z_EN: 0
; COMPUTE_PGM_RSRC2:TIDIG_COMP_CNT: 0
	.section	.text._ZN7rocprim17ROCPRIM_400000_NS6detail17trampoline_kernelINS0_14default_configENS1_25partition_config_selectorILNS1_17partition_subalgoE9EllbEEZZNS1_14partition_implILS5_9ELb0ES3_jPlS8_PNS0_10empty_typeENS0_5tupleIJS8_S9_EEENSB_IJS8_SA_EEENS0_18inequality_wrapperIZN2at6native12_GLOBAL__N_124unique_dim_cuda_templateIN3c104HalfEEESt5tupleIJNSF_6TensorESM_SM_EERKSM_lbbbEUlllE0_EEPmJS9_EEE10hipError_tPvRmT3_T4_T5_T6_T7_T9_mT8_P12ihipStream_tbDpT10_ENKUlT_T0_E_clISt17integral_constantIbLb0EES1B_IbLb1EEEEDaS17_S18_EUlS17_E_NS1_11comp_targetILNS1_3genE3ELNS1_11target_archE908ELNS1_3gpuE7ELNS1_3repE0EEENS1_30default_config_static_selectorELNS0_4arch9wavefront6targetE0EEEvT1_,"axG",@progbits,_ZN7rocprim17ROCPRIM_400000_NS6detail17trampoline_kernelINS0_14default_configENS1_25partition_config_selectorILNS1_17partition_subalgoE9EllbEEZZNS1_14partition_implILS5_9ELb0ES3_jPlS8_PNS0_10empty_typeENS0_5tupleIJS8_S9_EEENSB_IJS8_SA_EEENS0_18inequality_wrapperIZN2at6native12_GLOBAL__N_124unique_dim_cuda_templateIN3c104HalfEEESt5tupleIJNSF_6TensorESM_SM_EERKSM_lbbbEUlllE0_EEPmJS9_EEE10hipError_tPvRmT3_T4_T5_T6_T7_T9_mT8_P12ihipStream_tbDpT10_ENKUlT_T0_E_clISt17integral_constantIbLb0EES1B_IbLb1EEEEDaS17_S18_EUlS17_E_NS1_11comp_targetILNS1_3genE3ELNS1_11target_archE908ELNS1_3gpuE7ELNS1_3repE0EEENS1_30default_config_static_selectorELNS0_4arch9wavefront6targetE0EEEvT1_,comdat
	.globl	_ZN7rocprim17ROCPRIM_400000_NS6detail17trampoline_kernelINS0_14default_configENS1_25partition_config_selectorILNS1_17partition_subalgoE9EllbEEZZNS1_14partition_implILS5_9ELb0ES3_jPlS8_PNS0_10empty_typeENS0_5tupleIJS8_S9_EEENSB_IJS8_SA_EEENS0_18inequality_wrapperIZN2at6native12_GLOBAL__N_124unique_dim_cuda_templateIN3c104HalfEEESt5tupleIJNSF_6TensorESM_SM_EERKSM_lbbbEUlllE0_EEPmJS9_EEE10hipError_tPvRmT3_T4_T5_T6_T7_T9_mT8_P12ihipStream_tbDpT10_ENKUlT_T0_E_clISt17integral_constantIbLb0EES1B_IbLb1EEEEDaS17_S18_EUlS17_E_NS1_11comp_targetILNS1_3genE3ELNS1_11target_archE908ELNS1_3gpuE7ELNS1_3repE0EEENS1_30default_config_static_selectorELNS0_4arch9wavefront6targetE0EEEvT1_ ; -- Begin function _ZN7rocprim17ROCPRIM_400000_NS6detail17trampoline_kernelINS0_14default_configENS1_25partition_config_selectorILNS1_17partition_subalgoE9EllbEEZZNS1_14partition_implILS5_9ELb0ES3_jPlS8_PNS0_10empty_typeENS0_5tupleIJS8_S9_EEENSB_IJS8_SA_EEENS0_18inequality_wrapperIZN2at6native12_GLOBAL__N_124unique_dim_cuda_templateIN3c104HalfEEESt5tupleIJNSF_6TensorESM_SM_EERKSM_lbbbEUlllE0_EEPmJS9_EEE10hipError_tPvRmT3_T4_T5_T6_T7_T9_mT8_P12ihipStream_tbDpT10_ENKUlT_T0_E_clISt17integral_constantIbLb0EES1B_IbLb1EEEEDaS17_S18_EUlS17_E_NS1_11comp_targetILNS1_3genE3ELNS1_11target_archE908ELNS1_3gpuE7ELNS1_3repE0EEENS1_30default_config_static_selectorELNS0_4arch9wavefront6targetE0EEEvT1_
	.p2align	8
	.type	_ZN7rocprim17ROCPRIM_400000_NS6detail17trampoline_kernelINS0_14default_configENS1_25partition_config_selectorILNS1_17partition_subalgoE9EllbEEZZNS1_14partition_implILS5_9ELb0ES3_jPlS8_PNS0_10empty_typeENS0_5tupleIJS8_S9_EEENSB_IJS8_SA_EEENS0_18inequality_wrapperIZN2at6native12_GLOBAL__N_124unique_dim_cuda_templateIN3c104HalfEEESt5tupleIJNSF_6TensorESM_SM_EERKSM_lbbbEUlllE0_EEPmJS9_EEE10hipError_tPvRmT3_T4_T5_T6_T7_T9_mT8_P12ihipStream_tbDpT10_ENKUlT_T0_E_clISt17integral_constantIbLb0EES1B_IbLb1EEEEDaS17_S18_EUlS17_E_NS1_11comp_targetILNS1_3genE3ELNS1_11target_archE908ELNS1_3gpuE7ELNS1_3repE0EEENS1_30default_config_static_selectorELNS0_4arch9wavefront6targetE0EEEvT1_,@function
_ZN7rocprim17ROCPRIM_400000_NS6detail17trampoline_kernelINS0_14default_configENS1_25partition_config_selectorILNS1_17partition_subalgoE9EllbEEZZNS1_14partition_implILS5_9ELb0ES3_jPlS8_PNS0_10empty_typeENS0_5tupleIJS8_S9_EEENSB_IJS8_SA_EEENS0_18inequality_wrapperIZN2at6native12_GLOBAL__N_124unique_dim_cuda_templateIN3c104HalfEEESt5tupleIJNSF_6TensorESM_SM_EERKSM_lbbbEUlllE0_EEPmJS9_EEE10hipError_tPvRmT3_T4_T5_T6_T7_T9_mT8_P12ihipStream_tbDpT10_ENKUlT_T0_E_clISt17integral_constantIbLb0EES1B_IbLb1EEEEDaS17_S18_EUlS17_E_NS1_11comp_targetILNS1_3genE3ELNS1_11target_archE908ELNS1_3gpuE7ELNS1_3repE0EEENS1_30default_config_static_selectorELNS0_4arch9wavefront6targetE0EEEvT1_: ; @_ZN7rocprim17ROCPRIM_400000_NS6detail17trampoline_kernelINS0_14default_configENS1_25partition_config_selectorILNS1_17partition_subalgoE9EllbEEZZNS1_14partition_implILS5_9ELb0ES3_jPlS8_PNS0_10empty_typeENS0_5tupleIJS8_S9_EEENSB_IJS8_SA_EEENS0_18inequality_wrapperIZN2at6native12_GLOBAL__N_124unique_dim_cuda_templateIN3c104HalfEEESt5tupleIJNSF_6TensorESM_SM_EERKSM_lbbbEUlllE0_EEPmJS9_EEE10hipError_tPvRmT3_T4_T5_T6_T7_T9_mT8_P12ihipStream_tbDpT10_ENKUlT_T0_E_clISt17integral_constantIbLb0EES1B_IbLb1EEEEDaS17_S18_EUlS17_E_NS1_11comp_targetILNS1_3genE3ELNS1_11target_archE908ELNS1_3gpuE7ELNS1_3repE0EEENS1_30default_config_static_selectorELNS0_4arch9wavefront6targetE0EEEvT1_
; %bb.0:
	.section	.rodata,"a",@progbits
	.p2align	6, 0x0
	.amdhsa_kernel _ZN7rocprim17ROCPRIM_400000_NS6detail17trampoline_kernelINS0_14default_configENS1_25partition_config_selectorILNS1_17partition_subalgoE9EllbEEZZNS1_14partition_implILS5_9ELb0ES3_jPlS8_PNS0_10empty_typeENS0_5tupleIJS8_S9_EEENSB_IJS8_SA_EEENS0_18inequality_wrapperIZN2at6native12_GLOBAL__N_124unique_dim_cuda_templateIN3c104HalfEEESt5tupleIJNSF_6TensorESM_SM_EERKSM_lbbbEUlllE0_EEPmJS9_EEE10hipError_tPvRmT3_T4_T5_T6_T7_T9_mT8_P12ihipStream_tbDpT10_ENKUlT_T0_E_clISt17integral_constantIbLb0EES1B_IbLb1EEEEDaS17_S18_EUlS17_E_NS1_11comp_targetILNS1_3genE3ELNS1_11target_archE908ELNS1_3gpuE7ELNS1_3repE0EEENS1_30default_config_static_selectorELNS0_4arch9wavefront6targetE0EEEvT1_
		.amdhsa_group_segment_fixed_size 0
		.amdhsa_private_segment_fixed_size 0
		.amdhsa_kernarg_size 136
		.amdhsa_user_sgpr_count 15
		.amdhsa_user_sgpr_dispatch_ptr 0
		.amdhsa_user_sgpr_queue_ptr 0
		.amdhsa_user_sgpr_kernarg_segment_ptr 1
		.amdhsa_user_sgpr_dispatch_id 0
		.amdhsa_user_sgpr_private_segment_size 0
		.amdhsa_wavefront_size32 1
		.amdhsa_uses_dynamic_stack 0
		.amdhsa_enable_private_segment 0
		.amdhsa_system_sgpr_workgroup_id_x 1
		.amdhsa_system_sgpr_workgroup_id_y 0
		.amdhsa_system_sgpr_workgroup_id_z 0
		.amdhsa_system_sgpr_workgroup_info 0
		.amdhsa_system_vgpr_workitem_id 0
		.amdhsa_next_free_vgpr 1
		.amdhsa_next_free_sgpr 1
		.amdhsa_reserve_vcc 0
		.amdhsa_float_round_mode_32 0
		.amdhsa_float_round_mode_16_64 0
		.amdhsa_float_denorm_mode_32 3
		.amdhsa_float_denorm_mode_16_64 3
		.amdhsa_dx10_clamp 1
		.amdhsa_ieee_mode 1
		.amdhsa_fp16_overflow 0
		.amdhsa_workgroup_processor_mode 1
		.amdhsa_memory_ordered 1
		.amdhsa_forward_progress 0
		.amdhsa_shared_vgpr_count 0
		.amdhsa_exception_fp_ieee_invalid_op 0
		.amdhsa_exception_fp_denorm_src 0
		.amdhsa_exception_fp_ieee_div_zero 0
		.amdhsa_exception_fp_ieee_overflow 0
		.amdhsa_exception_fp_ieee_underflow 0
		.amdhsa_exception_fp_ieee_inexact 0
		.amdhsa_exception_int_div_zero 0
	.end_amdhsa_kernel
	.section	.text._ZN7rocprim17ROCPRIM_400000_NS6detail17trampoline_kernelINS0_14default_configENS1_25partition_config_selectorILNS1_17partition_subalgoE9EllbEEZZNS1_14partition_implILS5_9ELb0ES3_jPlS8_PNS0_10empty_typeENS0_5tupleIJS8_S9_EEENSB_IJS8_SA_EEENS0_18inequality_wrapperIZN2at6native12_GLOBAL__N_124unique_dim_cuda_templateIN3c104HalfEEESt5tupleIJNSF_6TensorESM_SM_EERKSM_lbbbEUlllE0_EEPmJS9_EEE10hipError_tPvRmT3_T4_T5_T6_T7_T9_mT8_P12ihipStream_tbDpT10_ENKUlT_T0_E_clISt17integral_constantIbLb0EES1B_IbLb1EEEEDaS17_S18_EUlS17_E_NS1_11comp_targetILNS1_3genE3ELNS1_11target_archE908ELNS1_3gpuE7ELNS1_3repE0EEENS1_30default_config_static_selectorELNS0_4arch9wavefront6targetE0EEEvT1_,"axG",@progbits,_ZN7rocprim17ROCPRIM_400000_NS6detail17trampoline_kernelINS0_14default_configENS1_25partition_config_selectorILNS1_17partition_subalgoE9EllbEEZZNS1_14partition_implILS5_9ELb0ES3_jPlS8_PNS0_10empty_typeENS0_5tupleIJS8_S9_EEENSB_IJS8_SA_EEENS0_18inequality_wrapperIZN2at6native12_GLOBAL__N_124unique_dim_cuda_templateIN3c104HalfEEESt5tupleIJNSF_6TensorESM_SM_EERKSM_lbbbEUlllE0_EEPmJS9_EEE10hipError_tPvRmT3_T4_T5_T6_T7_T9_mT8_P12ihipStream_tbDpT10_ENKUlT_T0_E_clISt17integral_constantIbLb0EES1B_IbLb1EEEEDaS17_S18_EUlS17_E_NS1_11comp_targetILNS1_3genE3ELNS1_11target_archE908ELNS1_3gpuE7ELNS1_3repE0EEENS1_30default_config_static_selectorELNS0_4arch9wavefront6targetE0EEEvT1_,comdat
.Lfunc_end1354:
	.size	_ZN7rocprim17ROCPRIM_400000_NS6detail17trampoline_kernelINS0_14default_configENS1_25partition_config_selectorILNS1_17partition_subalgoE9EllbEEZZNS1_14partition_implILS5_9ELb0ES3_jPlS8_PNS0_10empty_typeENS0_5tupleIJS8_S9_EEENSB_IJS8_SA_EEENS0_18inequality_wrapperIZN2at6native12_GLOBAL__N_124unique_dim_cuda_templateIN3c104HalfEEESt5tupleIJNSF_6TensorESM_SM_EERKSM_lbbbEUlllE0_EEPmJS9_EEE10hipError_tPvRmT3_T4_T5_T6_T7_T9_mT8_P12ihipStream_tbDpT10_ENKUlT_T0_E_clISt17integral_constantIbLb0EES1B_IbLb1EEEEDaS17_S18_EUlS17_E_NS1_11comp_targetILNS1_3genE3ELNS1_11target_archE908ELNS1_3gpuE7ELNS1_3repE0EEENS1_30default_config_static_selectorELNS0_4arch9wavefront6targetE0EEEvT1_, .Lfunc_end1354-_ZN7rocprim17ROCPRIM_400000_NS6detail17trampoline_kernelINS0_14default_configENS1_25partition_config_selectorILNS1_17partition_subalgoE9EllbEEZZNS1_14partition_implILS5_9ELb0ES3_jPlS8_PNS0_10empty_typeENS0_5tupleIJS8_S9_EEENSB_IJS8_SA_EEENS0_18inequality_wrapperIZN2at6native12_GLOBAL__N_124unique_dim_cuda_templateIN3c104HalfEEESt5tupleIJNSF_6TensorESM_SM_EERKSM_lbbbEUlllE0_EEPmJS9_EEE10hipError_tPvRmT3_T4_T5_T6_T7_T9_mT8_P12ihipStream_tbDpT10_ENKUlT_T0_E_clISt17integral_constantIbLb0EES1B_IbLb1EEEEDaS17_S18_EUlS17_E_NS1_11comp_targetILNS1_3genE3ELNS1_11target_archE908ELNS1_3gpuE7ELNS1_3repE0EEENS1_30default_config_static_selectorELNS0_4arch9wavefront6targetE0EEEvT1_
                                        ; -- End function
	.section	.AMDGPU.csdata,"",@progbits
; Kernel info:
; codeLenInByte = 0
; NumSgprs: 0
; NumVgprs: 0
; ScratchSize: 0
; MemoryBound: 0
; FloatMode: 240
; IeeeMode: 1
; LDSByteSize: 0 bytes/workgroup (compile time only)
; SGPRBlocks: 0
; VGPRBlocks: 0
; NumSGPRsForWavesPerEU: 1
; NumVGPRsForWavesPerEU: 1
; Occupancy: 16
; WaveLimiterHint : 0
; COMPUTE_PGM_RSRC2:SCRATCH_EN: 0
; COMPUTE_PGM_RSRC2:USER_SGPR: 15
; COMPUTE_PGM_RSRC2:TRAP_HANDLER: 0
; COMPUTE_PGM_RSRC2:TGID_X_EN: 1
; COMPUTE_PGM_RSRC2:TGID_Y_EN: 0
; COMPUTE_PGM_RSRC2:TGID_Z_EN: 0
; COMPUTE_PGM_RSRC2:TIDIG_COMP_CNT: 0
	.section	.text._ZN7rocprim17ROCPRIM_400000_NS6detail17trampoline_kernelINS0_14default_configENS1_25partition_config_selectorILNS1_17partition_subalgoE9EllbEEZZNS1_14partition_implILS5_9ELb0ES3_jPlS8_PNS0_10empty_typeENS0_5tupleIJS8_S9_EEENSB_IJS8_SA_EEENS0_18inequality_wrapperIZN2at6native12_GLOBAL__N_124unique_dim_cuda_templateIN3c104HalfEEESt5tupleIJNSF_6TensorESM_SM_EERKSM_lbbbEUlllE0_EEPmJS9_EEE10hipError_tPvRmT3_T4_T5_T6_T7_T9_mT8_P12ihipStream_tbDpT10_ENKUlT_T0_E_clISt17integral_constantIbLb0EES1B_IbLb1EEEEDaS17_S18_EUlS17_E_NS1_11comp_targetILNS1_3genE2ELNS1_11target_archE906ELNS1_3gpuE6ELNS1_3repE0EEENS1_30default_config_static_selectorELNS0_4arch9wavefront6targetE0EEEvT1_,"axG",@progbits,_ZN7rocprim17ROCPRIM_400000_NS6detail17trampoline_kernelINS0_14default_configENS1_25partition_config_selectorILNS1_17partition_subalgoE9EllbEEZZNS1_14partition_implILS5_9ELb0ES3_jPlS8_PNS0_10empty_typeENS0_5tupleIJS8_S9_EEENSB_IJS8_SA_EEENS0_18inequality_wrapperIZN2at6native12_GLOBAL__N_124unique_dim_cuda_templateIN3c104HalfEEESt5tupleIJNSF_6TensorESM_SM_EERKSM_lbbbEUlllE0_EEPmJS9_EEE10hipError_tPvRmT3_T4_T5_T6_T7_T9_mT8_P12ihipStream_tbDpT10_ENKUlT_T0_E_clISt17integral_constantIbLb0EES1B_IbLb1EEEEDaS17_S18_EUlS17_E_NS1_11comp_targetILNS1_3genE2ELNS1_11target_archE906ELNS1_3gpuE6ELNS1_3repE0EEENS1_30default_config_static_selectorELNS0_4arch9wavefront6targetE0EEEvT1_,comdat
	.globl	_ZN7rocprim17ROCPRIM_400000_NS6detail17trampoline_kernelINS0_14default_configENS1_25partition_config_selectorILNS1_17partition_subalgoE9EllbEEZZNS1_14partition_implILS5_9ELb0ES3_jPlS8_PNS0_10empty_typeENS0_5tupleIJS8_S9_EEENSB_IJS8_SA_EEENS0_18inequality_wrapperIZN2at6native12_GLOBAL__N_124unique_dim_cuda_templateIN3c104HalfEEESt5tupleIJNSF_6TensorESM_SM_EERKSM_lbbbEUlllE0_EEPmJS9_EEE10hipError_tPvRmT3_T4_T5_T6_T7_T9_mT8_P12ihipStream_tbDpT10_ENKUlT_T0_E_clISt17integral_constantIbLb0EES1B_IbLb1EEEEDaS17_S18_EUlS17_E_NS1_11comp_targetILNS1_3genE2ELNS1_11target_archE906ELNS1_3gpuE6ELNS1_3repE0EEENS1_30default_config_static_selectorELNS0_4arch9wavefront6targetE0EEEvT1_ ; -- Begin function _ZN7rocprim17ROCPRIM_400000_NS6detail17trampoline_kernelINS0_14default_configENS1_25partition_config_selectorILNS1_17partition_subalgoE9EllbEEZZNS1_14partition_implILS5_9ELb0ES3_jPlS8_PNS0_10empty_typeENS0_5tupleIJS8_S9_EEENSB_IJS8_SA_EEENS0_18inequality_wrapperIZN2at6native12_GLOBAL__N_124unique_dim_cuda_templateIN3c104HalfEEESt5tupleIJNSF_6TensorESM_SM_EERKSM_lbbbEUlllE0_EEPmJS9_EEE10hipError_tPvRmT3_T4_T5_T6_T7_T9_mT8_P12ihipStream_tbDpT10_ENKUlT_T0_E_clISt17integral_constantIbLb0EES1B_IbLb1EEEEDaS17_S18_EUlS17_E_NS1_11comp_targetILNS1_3genE2ELNS1_11target_archE906ELNS1_3gpuE6ELNS1_3repE0EEENS1_30default_config_static_selectorELNS0_4arch9wavefront6targetE0EEEvT1_
	.p2align	8
	.type	_ZN7rocprim17ROCPRIM_400000_NS6detail17trampoline_kernelINS0_14default_configENS1_25partition_config_selectorILNS1_17partition_subalgoE9EllbEEZZNS1_14partition_implILS5_9ELb0ES3_jPlS8_PNS0_10empty_typeENS0_5tupleIJS8_S9_EEENSB_IJS8_SA_EEENS0_18inequality_wrapperIZN2at6native12_GLOBAL__N_124unique_dim_cuda_templateIN3c104HalfEEESt5tupleIJNSF_6TensorESM_SM_EERKSM_lbbbEUlllE0_EEPmJS9_EEE10hipError_tPvRmT3_T4_T5_T6_T7_T9_mT8_P12ihipStream_tbDpT10_ENKUlT_T0_E_clISt17integral_constantIbLb0EES1B_IbLb1EEEEDaS17_S18_EUlS17_E_NS1_11comp_targetILNS1_3genE2ELNS1_11target_archE906ELNS1_3gpuE6ELNS1_3repE0EEENS1_30default_config_static_selectorELNS0_4arch9wavefront6targetE0EEEvT1_,@function
_ZN7rocprim17ROCPRIM_400000_NS6detail17trampoline_kernelINS0_14default_configENS1_25partition_config_selectorILNS1_17partition_subalgoE9EllbEEZZNS1_14partition_implILS5_9ELb0ES3_jPlS8_PNS0_10empty_typeENS0_5tupleIJS8_S9_EEENSB_IJS8_SA_EEENS0_18inequality_wrapperIZN2at6native12_GLOBAL__N_124unique_dim_cuda_templateIN3c104HalfEEESt5tupleIJNSF_6TensorESM_SM_EERKSM_lbbbEUlllE0_EEPmJS9_EEE10hipError_tPvRmT3_T4_T5_T6_T7_T9_mT8_P12ihipStream_tbDpT10_ENKUlT_T0_E_clISt17integral_constantIbLb0EES1B_IbLb1EEEEDaS17_S18_EUlS17_E_NS1_11comp_targetILNS1_3genE2ELNS1_11target_archE906ELNS1_3gpuE6ELNS1_3repE0EEENS1_30default_config_static_selectorELNS0_4arch9wavefront6targetE0EEEvT1_: ; @_ZN7rocprim17ROCPRIM_400000_NS6detail17trampoline_kernelINS0_14default_configENS1_25partition_config_selectorILNS1_17partition_subalgoE9EllbEEZZNS1_14partition_implILS5_9ELb0ES3_jPlS8_PNS0_10empty_typeENS0_5tupleIJS8_S9_EEENSB_IJS8_SA_EEENS0_18inequality_wrapperIZN2at6native12_GLOBAL__N_124unique_dim_cuda_templateIN3c104HalfEEESt5tupleIJNSF_6TensorESM_SM_EERKSM_lbbbEUlllE0_EEPmJS9_EEE10hipError_tPvRmT3_T4_T5_T6_T7_T9_mT8_P12ihipStream_tbDpT10_ENKUlT_T0_E_clISt17integral_constantIbLb0EES1B_IbLb1EEEEDaS17_S18_EUlS17_E_NS1_11comp_targetILNS1_3genE2ELNS1_11target_archE906ELNS1_3gpuE6ELNS1_3repE0EEENS1_30default_config_static_selectorELNS0_4arch9wavefront6targetE0EEEvT1_
; %bb.0:
	.section	.rodata,"a",@progbits
	.p2align	6, 0x0
	.amdhsa_kernel _ZN7rocprim17ROCPRIM_400000_NS6detail17trampoline_kernelINS0_14default_configENS1_25partition_config_selectorILNS1_17partition_subalgoE9EllbEEZZNS1_14partition_implILS5_9ELb0ES3_jPlS8_PNS0_10empty_typeENS0_5tupleIJS8_S9_EEENSB_IJS8_SA_EEENS0_18inequality_wrapperIZN2at6native12_GLOBAL__N_124unique_dim_cuda_templateIN3c104HalfEEESt5tupleIJNSF_6TensorESM_SM_EERKSM_lbbbEUlllE0_EEPmJS9_EEE10hipError_tPvRmT3_T4_T5_T6_T7_T9_mT8_P12ihipStream_tbDpT10_ENKUlT_T0_E_clISt17integral_constantIbLb0EES1B_IbLb1EEEEDaS17_S18_EUlS17_E_NS1_11comp_targetILNS1_3genE2ELNS1_11target_archE906ELNS1_3gpuE6ELNS1_3repE0EEENS1_30default_config_static_selectorELNS0_4arch9wavefront6targetE0EEEvT1_
		.amdhsa_group_segment_fixed_size 0
		.amdhsa_private_segment_fixed_size 0
		.amdhsa_kernarg_size 136
		.amdhsa_user_sgpr_count 15
		.amdhsa_user_sgpr_dispatch_ptr 0
		.amdhsa_user_sgpr_queue_ptr 0
		.amdhsa_user_sgpr_kernarg_segment_ptr 1
		.amdhsa_user_sgpr_dispatch_id 0
		.amdhsa_user_sgpr_private_segment_size 0
		.amdhsa_wavefront_size32 1
		.amdhsa_uses_dynamic_stack 0
		.amdhsa_enable_private_segment 0
		.amdhsa_system_sgpr_workgroup_id_x 1
		.amdhsa_system_sgpr_workgroup_id_y 0
		.amdhsa_system_sgpr_workgroup_id_z 0
		.amdhsa_system_sgpr_workgroup_info 0
		.amdhsa_system_vgpr_workitem_id 0
		.amdhsa_next_free_vgpr 1
		.amdhsa_next_free_sgpr 1
		.amdhsa_reserve_vcc 0
		.amdhsa_float_round_mode_32 0
		.amdhsa_float_round_mode_16_64 0
		.amdhsa_float_denorm_mode_32 3
		.amdhsa_float_denorm_mode_16_64 3
		.amdhsa_dx10_clamp 1
		.amdhsa_ieee_mode 1
		.amdhsa_fp16_overflow 0
		.amdhsa_workgroup_processor_mode 1
		.amdhsa_memory_ordered 1
		.amdhsa_forward_progress 0
		.amdhsa_shared_vgpr_count 0
		.amdhsa_exception_fp_ieee_invalid_op 0
		.amdhsa_exception_fp_denorm_src 0
		.amdhsa_exception_fp_ieee_div_zero 0
		.amdhsa_exception_fp_ieee_overflow 0
		.amdhsa_exception_fp_ieee_underflow 0
		.amdhsa_exception_fp_ieee_inexact 0
		.amdhsa_exception_int_div_zero 0
	.end_amdhsa_kernel
	.section	.text._ZN7rocprim17ROCPRIM_400000_NS6detail17trampoline_kernelINS0_14default_configENS1_25partition_config_selectorILNS1_17partition_subalgoE9EllbEEZZNS1_14partition_implILS5_9ELb0ES3_jPlS8_PNS0_10empty_typeENS0_5tupleIJS8_S9_EEENSB_IJS8_SA_EEENS0_18inequality_wrapperIZN2at6native12_GLOBAL__N_124unique_dim_cuda_templateIN3c104HalfEEESt5tupleIJNSF_6TensorESM_SM_EERKSM_lbbbEUlllE0_EEPmJS9_EEE10hipError_tPvRmT3_T4_T5_T6_T7_T9_mT8_P12ihipStream_tbDpT10_ENKUlT_T0_E_clISt17integral_constantIbLb0EES1B_IbLb1EEEEDaS17_S18_EUlS17_E_NS1_11comp_targetILNS1_3genE2ELNS1_11target_archE906ELNS1_3gpuE6ELNS1_3repE0EEENS1_30default_config_static_selectorELNS0_4arch9wavefront6targetE0EEEvT1_,"axG",@progbits,_ZN7rocprim17ROCPRIM_400000_NS6detail17trampoline_kernelINS0_14default_configENS1_25partition_config_selectorILNS1_17partition_subalgoE9EllbEEZZNS1_14partition_implILS5_9ELb0ES3_jPlS8_PNS0_10empty_typeENS0_5tupleIJS8_S9_EEENSB_IJS8_SA_EEENS0_18inequality_wrapperIZN2at6native12_GLOBAL__N_124unique_dim_cuda_templateIN3c104HalfEEESt5tupleIJNSF_6TensorESM_SM_EERKSM_lbbbEUlllE0_EEPmJS9_EEE10hipError_tPvRmT3_T4_T5_T6_T7_T9_mT8_P12ihipStream_tbDpT10_ENKUlT_T0_E_clISt17integral_constantIbLb0EES1B_IbLb1EEEEDaS17_S18_EUlS17_E_NS1_11comp_targetILNS1_3genE2ELNS1_11target_archE906ELNS1_3gpuE6ELNS1_3repE0EEENS1_30default_config_static_selectorELNS0_4arch9wavefront6targetE0EEEvT1_,comdat
.Lfunc_end1355:
	.size	_ZN7rocprim17ROCPRIM_400000_NS6detail17trampoline_kernelINS0_14default_configENS1_25partition_config_selectorILNS1_17partition_subalgoE9EllbEEZZNS1_14partition_implILS5_9ELb0ES3_jPlS8_PNS0_10empty_typeENS0_5tupleIJS8_S9_EEENSB_IJS8_SA_EEENS0_18inequality_wrapperIZN2at6native12_GLOBAL__N_124unique_dim_cuda_templateIN3c104HalfEEESt5tupleIJNSF_6TensorESM_SM_EERKSM_lbbbEUlllE0_EEPmJS9_EEE10hipError_tPvRmT3_T4_T5_T6_T7_T9_mT8_P12ihipStream_tbDpT10_ENKUlT_T0_E_clISt17integral_constantIbLb0EES1B_IbLb1EEEEDaS17_S18_EUlS17_E_NS1_11comp_targetILNS1_3genE2ELNS1_11target_archE906ELNS1_3gpuE6ELNS1_3repE0EEENS1_30default_config_static_selectorELNS0_4arch9wavefront6targetE0EEEvT1_, .Lfunc_end1355-_ZN7rocprim17ROCPRIM_400000_NS6detail17trampoline_kernelINS0_14default_configENS1_25partition_config_selectorILNS1_17partition_subalgoE9EllbEEZZNS1_14partition_implILS5_9ELb0ES3_jPlS8_PNS0_10empty_typeENS0_5tupleIJS8_S9_EEENSB_IJS8_SA_EEENS0_18inequality_wrapperIZN2at6native12_GLOBAL__N_124unique_dim_cuda_templateIN3c104HalfEEESt5tupleIJNSF_6TensorESM_SM_EERKSM_lbbbEUlllE0_EEPmJS9_EEE10hipError_tPvRmT3_T4_T5_T6_T7_T9_mT8_P12ihipStream_tbDpT10_ENKUlT_T0_E_clISt17integral_constantIbLb0EES1B_IbLb1EEEEDaS17_S18_EUlS17_E_NS1_11comp_targetILNS1_3genE2ELNS1_11target_archE906ELNS1_3gpuE6ELNS1_3repE0EEENS1_30default_config_static_selectorELNS0_4arch9wavefront6targetE0EEEvT1_
                                        ; -- End function
	.section	.AMDGPU.csdata,"",@progbits
; Kernel info:
; codeLenInByte = 0
; NumSgprs: 0
; NumVgprs: 0
; ScratchSize: 0
; MemoryBound: 0
; FloatMode: 240
; IeeeMode: 1
; LDSByteSize: 0 bytes/workgroup (compile time only)
; SGPRBlocks: 0
; VGPRBlocks: 0
; NumSGPRsForWavesPerEU: 1
; NumVGPRsForWavesPerEU: 1
; Occupancy: 15
; WaveLimiterHint : 0
; COMPUTE_PGM_RSRC2:SCRATCH_EN: 0
; COMPUTE_PGM_RSRC2:USER_SGPR: 15
; COMPUTE_PGM_RSRC2:TRAP_HANDLER: 0
; COMPUTE_PGM_RSRC2:TGID_X_EN: 1
; COMPUTE_PGM_RSRC2:TGID_Y_EN: 0
; COMPUTE_PGM_RSRC2:TGID_Z_EN: 0
; COMPUTE_PGM_RSRC2:TIDIG_COMP_CNT: 0
	.section	.text._ZN7rocprim17ROCPRIM_400000_NS6detail17trampoline_kernelINS0_14default_configENS1_25partition_config_selectorILNS1_17partition_subalgoE9EllbEEZZNS1_14partition_implILS5_9ELb0ES3_jPlS8_PNS0_10empty_typeENS0_5tupleIJS8_S9_EEENSB_IJS8_SA_EEENS0_18inequality_wrapperIZN2at6native12_GLOBAL__N_124unique_dim_cuda_templateIN3c104HalfEEESt5tupleIJNSF_6TensorESM_SM_EERKSM_lbbbEUlllE0_EEPmJS9_EEE10hipError_tPvRmT3_T4_T5_T6_T7_T9_mT8_P12ihipStream_tbDpT10_ENKUlT_T0_E_clISt17integral_constantIbLb0EES1B_IbLb1EEEEDaS17_S18_EUlS17_E_NS1_11comp_targetILNS1_3genE10ELNS1_11target_archE1200ELNS1_3gpuE4ELNS1_3repE0EEENS1_30default_config_static_selectorELNS0_4arch9wavefront6targetE0EEEvT1_,"axG",@progbits,_ZN7rocprim17ROCPRIM_400000_NS6detail17trampoline_kernelINS0_14default_configENS1_25partition_config_selectorILNS1_17partition_subalgoE9EllbEEZZNS1_14partition_implILS5_9ELb0ES3_jPlS8_PNS0_10empty_typeENS0_5tupleIJS8_S9_EEENSB_IJS8_SA_EEENS0_18inequality_wrapperIZN2at6native12_GLOBAL__N_124unique_dim_cuda_templateIN3c104HalfEEESt5tupleIJNSF_6TensorESM_SM_EERKSM_lbbbEUlllE0_EEPmJS9_EEE10hipError_tPvRmT3_T4_T5_T6_T7_T9_mT8_P12ihipStream_tbDpT10_ENKUlT_T0_E_clISt17integral_constantIbLb0EES1B_IbLb1EEEEDaS17_S18_EUlS17_E_NS1_11comp_targetILNS1_3genE10ELNS1_11target_archE1200ELNS1_3gpuE4ELNS1_3repE0EEENS1_30default_config_static_selectorELNS0_4arch9wavefront6targetE0EEEvT1_,comdat
	.globl	_ZN7rocprim17ROCPRIM_400000_NS6detail17trampoline_kernelINS0_14default_configENS1_25partition_config_selectorILNS1_17partition_subalgoE9EllbEEZZNS1_14partition_implILS5_9ELb0ES3_jPlS8_PNS0_10empty_typeENS0_5tupleIJS8_S9_EEENSB_IJS8_SA_EEENS0_18inequality_wrapperIZN2at6native12_GLOBAL__N_124unique_dim_cuda_templateIN3c104HalfEEESt5tupleIJNSF_6TensorESM_SM_EERKSM_lbbbEUlllE0_EEPmJS9_EEE10hipError_tPvRmT3_T4_T5_T6_T7_T9_mT8_P12ihipStream_tbDpT10_ENKUlT_T0_E_clISt17integral_constantIbLb0EES1B_IbLb1EEEEDaS17_S18_EUlS17_E_NS1_11comp_targetILNS1_3genE10ELNS1_11target_archE1200ELNS1_3gpuE4ELNS1_3repE0EEENS1_30default_config_static_selectorELNS0_4arch9wavefront6targetE0EEEvT1_ ; -- Begin function _ZN7rocprim17ROCPRIM_400000_NS6detail17trampoline_kernelINS0_14default_configENS1_25partition_config_selectorILNS1_17partition_subalgoE9EllbEEZZNS1_14partition_implILS5_9ELb0ES3_jPlS8_PNS0_10empty_typeENS0_5tupleIJS8_S9_EEENSB_IJS8_SA_EEENS0_18inequality_wrapperIZN2at6native12_GLOBAL__N_124unique_dim_cuda_templateIN3c104HalfEEESt5tupleIJNSF_6TensorESM_SM_EERKSM_lbbbEUlllE0_EEPmJS9_EEE10hipError_tPvRmT3_T4_T5_T6_T7_T9_mT8_P12ihipStream_tbDpT10_ENKUlT_T0_E_clISt17integral_constantIbLb0EES1B_IbLb1EEEEDaS17_S18_EUlS17_E_NS1_11comp_targetILNS1_3genE10ELNS1_11target_archE1200ELNS1_3gpuE4ELNS1_3repE0EEENS1_30default_config_static_selectorELNS0_4arch9wavefront6targetE0EEEvT1_
	.p2align	8
	.type	_ZN7rocprim17ROCPRIM_400000_NS6detail17trampoline_kernelINS0_14default_configENS1_25partition_config_selectorILNS1_17partition_subalgoE9EllbEEZZNS1_14partition_implILS5_9ELb0ES3_jPlS8_PNS0_10empty_typeENS0_5tupleIJS8_S9_EEENSB_IJS8_SA_EEENS0_18inequality_wrapperIZN2at6native12_GLOBAL__N_124unique_dim_cuda_templateIN3c104HalfEEESt5tupleIJNSF_6TensorESM_SM_EERKSM_lbbbEUlllE0_EEPmJS9_EEE10hipError_tPvRmT3_T4_T5_T6_T7_T9_mT8_P12ihipStream_tbDpT10_ENKUlT_T0_E_clISt17integral_constantIbLb0EES1B_IbLb1EEEEDaS17_S18_EUlS17_E_NS1_11comp_targetILNS1_3genE10ELNS1_11target_archE1200ELNS1_3gpuE4ELNS1_3repE0EEENS1_30default_config_static_selectorELNS0_4arch9wavefront6targetE0EEEvT1_,@function
_ZN7rocprim17ROCPRIM_400000_NS6detail17trampoline_kernelINS0_14default_configENS1_25partition_config_selectorILNS1_17partition_subalgoE9EllbEEZZNS1_14partition_implILS5_9ELb0ES3_jPlS8_PNS0_10empty_typeENS0_5tupleIJS8_S9_EEENSB_IJS8_SA_EEENS0_18inequality_wrapperIZN2at6native12_GLOBAL__N_124unique_dim_cuda_templateIN3c104HalfEEESt5tupleIJNSF_6TensorESM_SM_EERKSM_lbbbEUlllE0_EEPmJS9_EEE10hipError_tPvRmT3_T4_T5_T6_T7_T9_mT8_P12ihipStream_tbDpT10_ENKUlT_T0_E_clISt17integral_constantIbLb0EES1B_IbLb1EEEEDaS17_S18_EUlS17_E_NS1_11comp_targetILNS1_3genE10ELNS1_11target_archE1200ELNS1_3gpuE4ELNS1_3repE0EEENS1_30default_config_static_selectorELNS0_4arch9wavefront6targetE0EEEvT1_: ; @_ZN7rocprim17ROCPRIM_400000_NS6detail17trampoline_kernelINS0_14default_configENS1_25partition_config_selectorILNS1_17partition_subalgoE9EllbEEZZNS1_14partition_implILS5_9ELb0ES3_jPlS8_PNS0_10empty_typeENS0_5tupleIJS8_S9_EEENSB_IJS8_SA_EEENS0_18inequality_wrapperIZN2at6native12_GLOBAL__N_124unique_dim_cuda_templateIN3c104HalfEEESt5tupleIJNSF_6TensorESM_SM_EERKSM_lbbbEUlllE0_EEPmJS9_EEE10hipError_tPvRmT3_T4_T5_T6_T7_T9_mT8_P12ihipStream_tbDpT10_ENKUlT_T0_E_clISt17integral_constantIbLb0EES1B_IbLb1EEEEDaS17_S18_EUlS17_E_NS1_11comp_targetILNS1_3genE10ELNS1_11target_archE1200ELNS1_3gpuE4ELNS1_3repE0EEENS1_30default_config_static_selectorELNS0_4arch9wavefront6targetE0EEEvT1_
; %bb.0:
	.section	.rodata,"a",@progbits
	.p2align	6, 0x0
	.amdhsa_kernel _ZN7rocprim17ROCPRIM_400000_NS6detail17trampoline_kernelINS0_14default_configENS1_25partition_config_selectorILNS1_17partition_subalgoE9EllbEEZZNS1_14partition_implILS5_9ELb0ES3_jPlS8_PNS0_10empty_typeENS0_5tupleIJS8_S9_EEENSB_IJS8_SA_EEENS0_18inequality_wrapperIZN2at6native12_GLOBAL__N_124unique_dim_cuda_templateIN3c104HalfEEESt5tupleIJNSF_6TensorESM_SM_EERKSM_lbbbEUlllE0_EEPmJS9_EEE10hipError_tPvRmT3_T4_T5_T6_T7_T9_mT8_P12ihipStream_tbDpT10_ENKUlT_T0_E_clISt17integral_constantIbLb0EES1B_IbLb1EEEEDaS17_S18_EUlS17_E_NS1_11comp_targetILNS1_3genE10ELNS1_11target_archE1200ELNS1_3gpuE4ELNS1_3repE0EEENS1_30default_config_static_selectorELNS0_4arch9wavefront6targetE0EEEvT1_
		.amdhsa_group_segment_fixed_size 0
		.amdhsa_private_segment_fixed_size 0
		.amdhsa_kernarg_size 136
		.amdhsa_user_sgpr_count 15
		.amdhsa_user_sgpr_dispatch_ptr 0
		.amdhsa_user_sgpr_queue_ptr 0
		.amdhsa_user_sgpr_kernarg_segment_ptr 1
		.amdhsa_user_sgpr_dispatch_id 0
		.amdhsa_user_sgpr_private_segment_size 0
		.amdhsa_wavefront_size32 1
		.amdhsa_uses_dynamic_stack 0
		.amdhsa_enable_private_segment 0
		.amdhsa_system_sgpr_workgroup_id_x 1
		.amdhsa_system_sgpr_workgroup_id_y 0
		.amdhsa_system_sgpr_workgroup_id_z 0
		.amdhsa_system_sgpr_workgroup_info 0
		.amdhsa_system_vgpr_workitem_id 0
		.amdhsa_next_free_vgpr 1
		.amdhsa_next_free_sgpr 1
		.amdhsa_reserve_vcc 0
		.amdhsa_float_round_mode_32 0
		.amdhsa_float_round_mode_16_64 0
		.amdhsa_float_denorm_mode_32 3
		.amdhsa_float_denorm_mode_16_64 3
		.amdhsa_dx10_clamp 1
		.amdhsa_ieee_mode 1
		.amdhsa_fp16_overflow 0
		.amdhsa_workgroup_processor_mode 1
		.amdhsa_memory_ordered 1
		.amdhsa_forward_progress 0
		.amdhsa_shared_vgpr_count 0
		.amdhsa_exception_fp_ieee_invalid_op 0
		.amdhsa_exception_fp_denorm_src 0
		.amdhsa_exception_fp_ieee_div_zero 0
		.amdhsa_exception_fp_ieee_overflow 0
		.amdhsa_exception_fp_ieee_underflow 0
		.amdhsa_exception_fp_ieee_inexact 0
		.amdhsa_exception_int_div_zero 0
	.end_amdhsa_kernel
	.section	.text._ZN7rocprim17ROCPRIM_400000_NS6detail17trampoline_kernelINS0_14default_configENS1_25partition_config_selectorILNS1_17partition_subalgoE9EllbEEZZNS1_14partition_implILS5_9ELb0ES3_jPlS8_PNS0_10empty_typeENS0_5tupleIJS8_S9_EEENSB_IJS8_SA_EEENS0_18inequality_wrapperIZN2at6native12_GLOBAL__N_124unique_dim_cuda_templateIN3c104HalfEEESt5tupleIJNSF_6TensorESM_SM_EERKSM_lbbbEUlllE0_EEPmJS9_EEE10hipError_tPvRmT3_T4_T5_T6_T7_T9_mT8_P12ihipStream_tbDpT10_ENKUlT_T0_E_clISt17integral_constantIbLb0EES1B_IbLb1EEEEDaS17_S18_EUlS17_E_NS1_11comp_targetILNS1_3genE10ELNS1_11target_archE1200ELNS1_3gpuE4ELNS1_3repE0EEENS1_30default_config_static_selectorELNS0_4arch9wavefront6targetE0EEEvT1_,"axG",@progbits,_ZN7rocprim17ROCPRIM_400000_NS6detail17trampoline_kernelINS0_14default_configENS1_25partition_config_selectorILNS1_17partition_subalgoE9EllbEEZZNS1_14partition_implILS5_9ELb0ES3_jPlS8_PNS0_10empty_typeENS0_5tupleIJS8_S9_EEENSB_IJS8_SA_EEENS0_18inequality_wrapperIZN2at6native12_GLOBAL__N_124unique_dim_cuda_templateIN3c104HalfEEESt5tupleIJNSF_6TensorESM_SM_EERKSM_lbbbEUlllE0_EEPmJS9_EEE10hipError_tPvRmT3_T4_T5_T6_T7_T9_mT8_P12ihipStream_tbDpT10_ENKUlT_T0_E_clISt17integral_constantIbLb0EES1B_IbLb1EEEEDaS17_S18_EUlS17_E_NS1_11comp_targetILNS1_3genE10ELNS1_11target_archE1200ELNS1_3gpuE4ELNS1_3repE0EEENS1_30default_config_static_selectorELNS0_4arch9wavefront6targetE0EEEvT1_,comdat
.Lfunc_end1356:
	.size	_ZN7rocprim17ROCPRIM_400000_NS6detail17trampoline_kernelINS0_14default_configENS1_25partition_config_selectorILNS1_17partition_subalgoE9EllbEEZZNS1_14partition_implILS5_9ELb0ES3_jPlS8_PNS0_10empty_typeENS0_5tupleIJS8_S9_EEENSB_IJS8_SA_EEENS0_18inequality_wrapperIZN2at6native12_GLOBAL__N_124unique_dim_cuda_templateIN3c104HalfEEESt5tupleIJNSF_6TensorESM_SM_EERKSM_lbbbEUlllE0_EEPmJS9_EEE10hipError_tPvRmT3_T4_T5_T6_T7_T9_mT8_P12ihipStream_tbDpT10_ENKUlT_T0_E_clISt17integral_constantIbLb0EES1B_IbLb1EEEEDaS17_S18_EUlS17_E_NS1_11comp_targetILNS1_3genE10ELNS1_11target_archE1200ELNS1_3gpuE4ELNS1_3repE0EEENS1_30default_config_static_selectorELNS0_4arch9wavefront6targetE0EEEvT1_, .Lfunc_end1356-_ZN7rocprim17ROCPRIM_400000_NS6detail17trampoline_kernelINS0_14default_configENS1_25partition_config_selectorILNS1_17partition_subalgoE9EllbEEZZNS1_14partition_implILS5_9ELb0ES3_jPlS8_PNS0_10empty_typeENS0_5tupleIJS8_S9_EEENSB_IJS8_SA_EEENS0_18inequality_wrapperIZN2at6native12_GLOBAL__N_124unique_dim_cuda_templateIN3c104HalfEEESt5tupleIJNSF_6TensorESM_SM_EERKSM_lbbbEUlllE0_EEPmJS9_EEE10hipError_tPvRmT3_T4_T5_T6_T7_T9_mT8_P12ihipStream_tbDpT10_ENKUlT_T0_E_clISt17integral_constantIbLb0EES1B_IbLb1EEEEDaS17_S18_EUlS17_E_NS1_11comp_targetILNS1_3genE10ELNS1_11target_archE1200ELNS1_3gpuE4ELNS1_3repE0EEENS1_30default_config_static_selectorELNS0_4arch9wavefront6targetE0EEEvT1_
                                        ; -- End function
	.section	.AMDGPU.csdata,"",@progbits
; Kernel info:
; codeLenInByte = 0
; NumSgprs: 0
; NumVgprs: 0
; ScratchSize: 0
; MemoryBound: 0
; FloatMode: 240
; IeeeMode: 1
; LDSByteSize: 0 bytes/workgroup (compile time only)
; SGPRBlocks: 0
; VGPRBlocks: 0
; NumSGPRsForWavesPerEU: 1
; NumVGPRsForWavesPerEU: 1
; Occupancy: 15
; WaveLimiterHint : 0
; COMPUTE_PGM_RSRC2:SCRATCH_EN: 0
; COMPUTE_PGM_RSRC2:USER_SGPR: 15
; COMPUTE_PGM_RSRC2:TRAP_HANDLER: 0
; COMPUTE_PGM_RSRC2:TGID_X_EN: 1
; COMPUTE_PGM_RSRC2:TGID_Y_EN: 0
; COMPUTE_PGM_RSRC2:TGID_Z_EN: 0
; COMPUTE_PGM_RSRC2:TIDIG_COMP_CNT: 0
	.section	.text._ZN7rocprim17ROCPRIM_400000_NS6detail17trampoline_kernelINS0_14default_configENS1_25partition_config_selectorILNS1_17partition_subalgoE9EllbEEZZNS1_14partition_implILS5_9ELb0ES3_jPlS8_PNS0_10empty_typeENS0_5tupleIJS8_S9_EEENSB_IJS8_SA_EEENS0_18inequality_wrapperIZN2at6native12_GLOBAL__N_124unique_dim_cuda_templateIN3c104HalfEEESt5tupleIJNSF_6TensorESM_SM_EERKSM_lbbbEUlllE0_EEPmJS9_EEE10hipError_tPvRmT3_T4_T5_T6_T7_T9_mT8_P12ihipStream_tbDpT10_ENKUlT_T0_E_clISt17integral_constantIbLb0EES1B_IbLb1EEEEDaS17_S18_EUlS17_E_NS1_11comp_targetILNS1_3genE9ELNS1_11target_archE1100ELNS1_3gpuE3ELNS1_3repE0EEENS1_30default_config_static_selectorELNS0_4arch9wavefront6targetE0EEEvT1_,"axG",@progbits,_ZN7rocprim17ROCPRIM_400000_NS6detail17trampoline_kernelINS0_14default_configENS1_25partition_config_selectorILNS1_17partition_subalgoE9EllbEEZZNS1_14partition_implILS5_9ELb0ES3_jPlS8_PNS0_10empty_typeENS0_5tupleIJS8_S9_EEENSB_IJS8_SA_EEENS0_18inequality_wrapperIZN2at6native12_GLOBAL__N_124unique_dim_cuda_templateIN3c104HalfEEESt5tupleIJNSF_6TensorESM_SM_EERKSM_lbbbEUlllE0_EEPmJS9_EEE10hipError_tPvRmT3_T4_T5_T6_T7_T9_mT8_P12ihipStream_tbDpT10_ENKUlT_T0_E_clISt17integral_constantIbLb0EES1B_IbLb1EEEEDaS17_S18_EUlS17_E_NS1_11comp_targetILNS1_3genE9ELNS1_11target_archE1100ELNS1_3gpuE3ELNS1_3repE0EEENS1_30default_config_static_selectorELNS0_4arch9wavefront6targetE0EEEvT1_,comdat
	.globl	_ZN7rocprim17ROCPRIM_400000_NS6detail17trampoline_kernelINS0_14default_configENS1_25partition_config_selectorILNS1_17partition_subalgoE9EllbEEZZNS1_14partition_implILS5_9ELb0ES3_jPlS8_PNS0_10empty_typeENS0_5tupleIJS8_S9_EEENSB_IJS8_SA_EEENS0_18inequality_wrapperIZN2at6native12_GLOBAL__N_124unique_dim_cuda_templateIN3c104HalfEEESt5tupleIJNSF_6TensorESM_SM_EERKSM_lbbbEUlllE0_EEPmJS9_EEE10hipError_tPvRmT3_T4_T5_T6_T7_T9_mT8_P12ihipStream_tbDpT10_ENKUlT_T0_E_clISt17integral_constantIbLb0EES1B_IbLb1EEEEDaS17_S18_EUlS17_E_NS1_11comp_targetILNS1_3genE9ELNS1_11target_archE1100ELNS1_3gpuE3ELNS1_3repE0EEENS1_30default_config_static_selectorELNS0_4arch9wavefront6targetE0EEEvT1_ ; -- Begin function _ZN7rocprim17ROCPRIM_400000_NS6detail17trampoline_kernelINS0_14default_configENS1_25partition_config_selectorILNS1_17partition_subalgoE9EllbEEZZNS1_14partition_implILS5_9ELb0ES3_jPlS8_PNS0_10empty_typeENS0_5tupleIJS8_S9_EEENSB_IJS8_SA_EEENS0_18inequality_wrapperIZN2at6native12_GLOBAL__N_124unique_dim_cuda_templateIN3c104HalfEEESt5tupleIJNSF_6TensorESM_SM_EERKSM_lbbbEUlllE0_EEPmJS9_EEE10hipError_tPvRmT3_T4_T5_T6_T7_T9_mT8_P12ihipStream_tbDpT10_ENKUlT_T0_E_clISt17integral_constantIbLb0EES1B_IbLb1EEEEDaS17_S18_EUlS17_E_NS1_11comp_targetILNS1_3genE9ELNS1_11target_archE1100ELNS1_3gpuE3ELNS1_3repE0EEENS1_30default_config_static_selectorELNS0_4arch9wavefront6targetE0EEEvT1_
	.p2align	8
	.type	_ZN7rocprim17ROCPRIM_400000_NS6detail17trampoline_kernelINS0_14default_configENS1_25partition_config_selectorILNS1_17partition_subalgoE9EllbEEZZNS1_14partition_implILS5_9ELb0ES3_jPlS8_PNS0_10empty_typeENS0_5tupleIJS8_S9_EEENSB_IJS8_SA_EEENS0_18inequality_wrapperIZN2at6native12_GLOBAL__N_124unique_dim_cuda_templateIN3c104HalfEEESt5tupleIJNSF_6TensorESM_SM_EERKSM_lbbbEUlllE0_EEPmJS9_EEE10hipError_tPvRmT3_T4_T5_T6_T7_T9_mT8_P12ihipStream_tbDpT10_ENKUlT_T0_E_clISt17integral_constantIbLb0EES1B_IbLb1EEEEDaS17_S18_EUlS17_E_NS1_11comp_targetILNS1_3genE9ELNS1_11target_archE1100ELNS1_3gpuE3ELNS1_3repE0EEENS1_30default_config_static_selectorELNS0_4arch9wavefront6targetE0EEEvT1_,@function
_ZN7rocprim17ROCPRIM_400000_NS6detail17trampoline_kernelINS0_14default_configENS1_25partition_config_selectorILNS1_17partition_subalgoE9EllbEEZZNS1_14partition_implILS5_9ELb0ES3_jPlS8_PNS0_10empty_typeENS0_5tupleIJS8_S9_EEENSB_IJS8_SA_EEENS0_18inequality_wrapperIZN2at6native12_GLOBAL__N_124unique_dim_cuda_templateIN3c104HalfEEESt5tupleIJNSF_6TensorESM_SM_EERKSM_lbbbEUlllE0_EEPmJS9_EEE10hipError_tPvRmT3_T4_T5_T6_T7_T9_mT8_P12ihipStream_tbDpT10_ENKUlT_T0_E_clISt17integral_constantIbLb0EES1B_IbLb1EEEEDaS17_S18_EUlS17_E_NS1_11comp_targetILNS1_3genE9ELNS1_11target_archE1100ELNS1_3gpuE3ELNS1_3repE0EEENS1_30default_config_static_selectorELNS0_4arch9wavefront6targetE0EEEvT1_: ; @_ZN7rocprim17ROCPRIM_400000_NS6detail17trampoline_kernelINS0_14default_configENS1_25partition_config_selectorILNS1_17partition_subalgoE9EllbEEZZNS1_14partition_implILS5_9ELb0ES3_jPlS8_PNS0_10empty_typeENS0_5tupleIJS8_S9_EEENSB_IJS8_SA_EEENS0_18inequality_wrapperIZN2at6native12_GLOBAL__N_124unique_dim_cuda_templateIN3c104HalfEEESt5tupleIJNSF_6TensorESM_SM_EERKSM_lbbbEUlllE0_EEPmJS9_EEE10hipError_tPvRmT3_T4_T5_T6_T7_T9_mT8_P12ihipStream_tbDpT10_ENKUlT_T0_E_clISt17integral_constantIbLb0EES1B_IbLb1EEEEDaS17_S18_EUlS17_E_NS1_11comp_targetILNS1_3genE9ELNS1_11target_archE1100ELNS1_3gpuE3ELNS1_3repE0EEENS1_30default_config_static_selectorELNS0_4arch9wavefront6targetE0EEEvT1_
; %bb.0:
	s_clause 0x3
	s_load_b128 s[4:7], s[0:1], 0x8
	s_load_b64 s[24:25], s[0:1], 0x18
	s_load_b256 s[8:15], s[0:1], 0x40
	s_load_b128 s[20:23], s[0:1], 0x60
	v_cmp_ne_u32_e64 s3, 0, v0
	v_cmp_eq_u32_e64 s2, 0, v0
	s_delay_alu instid0(VALU_DEP_1)
	s_and_saveexec_b32 s16, s2
	s_cbranch_execz .LBB1357_4
; %bb.1:
	s_mov_b32 s18, exec_lo
	s_mov_b32 s17, exec_lo
	v_mbcnt_lo_u32_b32 v1, s18, 0
                                        ; implicit-def: $vgpr2
	s_delay_alu instid0(VALU_DEP_1)
	v_cmpx_eq_u32_e32 0, v1
	s_cbranch_execz .LBB1357_3
; %bb.2:
	s_load_b64 s[26:27], s[0:1], 0x78
	s_bcnt1_i32_b32 s18, s18
	s_delay_alu instid0(SALU_CYCLE_1)
	v_dual_mov_b32 v2, 0 :: v_dual_mov_b32 v3, s18
	s_waitcnt lgkmcnt(0)
	global_atomic_add_u32 v2, v2, v3, s[26:27] glc
.LBB1357_3:
	s_or_b32 exec_lo, exec_lo, s17
	s_waitcnt vmcnt(0)
	v_readfirstlane_b32 s17, v2
	s_delay_alu instid0(VALU_DEP_1)
	v_dual_mov_b32 v2, 0 :: v_dual_add_nc_u32 v1, s17, v1
	ds_store_b32 v2, v1
.LBB1357_4:
	s_or_b32 exec_lo, exec_lo, s16
	v_mov_b32_e32 v1, 0
	s_clause 0x1
	s_load_b128 s[16:19], s[0:1], 0x28
	s_load_b32 s0, s[0:1], 0x70
	s_waitcnt lgkmcnt(0)
	s_barrier
	buffer_gl0_inv
	ds_load_b32 v3, v1
	s_waitcnt lgkmcnt(0)
	s_barrier
	buffer_gl0_inv
	global_load_b64 v[1:2], v1, s[10:11]
	s_lshl_b64 s[26:27], s[6:7], 3
	s_mov_b32 s1, 0
	s_add_u32 s10, s4, s26
	s_addc_u32 s11, s5, s27
	v_lshlrev_b32_e32 v55, 3, v0
	v_lshrrev_b32_e32 v34, 2, v0
	v_or_b32_e32 v39, 0x200, v0
	v_or_b32_e32 v38, 0x400, v0
	;; [unrolled: 1-line block ×5, first 2 shown]
	s_add_i32 s28, s0, -1
	s_lshl_b32 s5, s0, 12
	s_lshl_b32 s4, s28, 12
	v_or_b32_e32 v33, 0xc00, v0
	v_readfirstlane_b32 s30, v3
	s_add_i32 s4, s6, s4
	v_or_b32_e32 v36, 0xe00, v0
	s_sub_i32 s31, s12, s4
	s_delay_alu instid0(VALU_DEP_2)
	s_lshl_b32 s0, s30, 12
	s_add_u32 s4, s6, s5
	s_addc_u32 s5, s7, 0
	s_cmp_eq_u32 s30, s28
	v_cmp_ge_u64_e64 s4, s[4:5], s[12:13]
	s_cselect_b32 s28, -1, 0
	s_lshl_b64 s[12:13], s[0:1], 3
	s_mov_b32 s1, -1
	s_delay_alu instid0(VALU_DEP_1) | instskip(NEXT) | instid1(SALU_CYCLE_1)
	s_and_b32 s33, s4, s28
	s_xor_b32 s29, s33, -1
	s_add_u32 s4, s10, s12
	s_addc_u32 s5, s11, s13
	s_and_b32 vcc_lo, exec_lo, s29
	s_waitcnt vmcnt(0)
	v_readfirstlane_b32 s10, v1
	v_readfirstlane_b32 s11, v2
	s_cbranch_vccz .LBB1357_6
; %bb.5:
	v_add_co_u32 v9, s0, s4, v55
	s_delay_alu instid0(VALU_DEP_1)
	v_add_co_ci_u32_e64 v10, null, s5, 0, s0
	global_load_b64 v[1:2], v55, s[4:5]
	v_add_co_u32 v3, vcc_lo, v9, 0x2000
	v_add_co_ci_u32_e32 v4, vcc_lo, 0, v10, vcc_lo
	v_add_co_u32 v5, vcc_lo, v9, 0x4000
	v_add_co_ci_u32_e32 v6, vcc_lo, 0, v10, vcc_lo
	;; [unrolled: 2-line block ×4, first 2 shown]
	s_clause 0x6
	global_load_b64 v[11:12], v[3:4], off offset:-4096
	global_load_b64 v[3:4], v[3:4], off
	global_load_b64 v[13:14], v[5:6], off offset:-4096
	global_load_b64 v[5:6], v[5:6], off
	;; [unrolled: 2-line block ×3, first 2 shown]
	global_load_b64 v[9:10], v[9:10], off
	v_lshrrev_b32_e32 v18, 2, v39
	v_lshrrev_b32_e32 v19, 2, v38
	;; [unrolled: 1-line block ×4, first 2 shown]
	v_and_b32_e32 v17, 0x78, v34
	v_lshrrev_b32_e32 v22, 2, v35
	v_lshrrev_b32_e32 v23, 2, v33
	;; [unrolled: 1-line block ×3, first 2 shown]
	v_and_b32_e32 v18, 0xf8, v18
	v_and_b32_e32 v19, 0x178, v19
	;; [unrolled: 1-line block ×4, first 2 shown]
	v_add_nc_u32_e32 v17, v17, v55
	v_and_b32_e32 v22, 0x2f8, v22
	v_and_b32_e32 v23, 0x378, v23
	;; [unrolled: 1-line block ×3, first 2 shown]
	v_add_nc_u32_e32 v18, v18, v55
	v_add_nc_u32_e32 v19, v19, v55
	;; [unrolled: 1-line block ×4, first 2 shown]
	s_mov_b32 s1, 0
	v_add_nc_u32_e32 v22, v22, v55
	v_add_nc_u32_e32 v23, v23, v55
	;; [unrolled: 1-line block ×3, first 2 shown]
	s_waitcnt vmcnt(7)
	ds_store_b64 v17, v[1:2]
	s_waitcnt vmcnt(6)
	ds_store_b64 v18, v[11:12] offset:4096
	s_waitcnt vmcnt(5)
	ds_store_b64 v19, v[3:4] offset:8192
	;; [unrolled: 2-line block ×7, first 2 shown]
	s_waitcnt lgkmcnt(0)
	s_barrier
.LBB1357_6:
	v_cmp_gt_u32_e64 s0, s31, v0
	s_and_not1_b32 vcc_lo, exec_lo, s1
	s_cbranch_vccnz .LBB1357_24
; %bb.7:
                                        ; implicit-def: $vgpr1_vgpr2_vgpr3_vgpr4_vgpr5_vgpr6_vgpr7_vgpr8_vgpr9_vgpr10_vgpr11_vgpr12_vgpr13_vgpr14_vgpr15_vgpr16
	s_delay_alu instid0(VALU_DEP_1)
	s_and_saveexec_b32 s1, s0
	s_cbranch_execz .LBB1357_15
; %bb.8:
	global_load_b64 v[1:2], v55, s[4:5]
	s_or_b32 exec_lo, exec_lo, s1
	s_delay_alu instid0(SALU_CYCLE_1)
	s_mov_b32 s0, exec_lo
	v_cmpx_gt_u32_e64 s31, v39
	s_cbranch_execnz .LBB1357_16
.LBB1357_9:
	s_or_b32 exec_lo, exec_lo, s0
	s_delay_alu instid0(SALU_CYCLE_1)
	s_mov_b32 s0, exec_lo
	v_cmpx_gt_u32_e64 s31, v38
	s_cbranch_execz .LBB1357_17
.LBB1357_10:
	v_lshlrev_b32_e32 v5, 3, v38
	global_load_b64 v[5:6], v5, s[4:5]
	s_or_b32 exec_lo, exec_lo, s0
	s_delay_alu instid0(SALU_CYCLE_1)
	s_mov_b32 s0, exec_lo
	v_cmpx_gt_u32_e64 s31, v40
	s_cbranch_execnz .LBB1357_18
.LBB1357_11:
	s_or_b32 exec_lo, exec_lo, s0
	s_delay_alu instid0(SALU_CYCLE_1)
	s_mov_b32 s0, exec_lo
	v_cmpx_gt_u32_e64 s31, v37
	s_cbranch_execz .LBB1357_19
.LBB1357_12:
	v_lshlrev_b32_e32 v9, 3, v37
	global_load_b64 v[9:10], v9, s[4:5]
	s_or_b32 exec_lo, exec_lo, s0
	s_delay_alu instid0(SALU_CYCLE_1)
	s_mov_b32 s0, exec_lo
	v_cmpx_gt_u32_e64 s31, v35
	s_cbranch_execnz .LBB1357_20
.LBB1357_13:
	s_or_b32 exec_lo, exec_lo, s0
	s_delay_alu instid0(SALU_CYCLE_1)
	s_mov_b32 s0, exec_lo
	v_cmpx_gt_u32_e64 s31, v33
	s_cbranch_execz .LBB1357_21
.LBB1357_14:
	v_lshlrev_b32_e32 v13, 3, v33
	global_load_b64 v[13:14], v13, s[4:5]
	s_or_b32 exec_lo, exec_lo, s0
	s_delay_alu instid0(SALU_CYCLE_1)
	s_mov_b32 s0, exec_lo
	v_cmpx_gt_u32_e64 s31, v36
	s_cbranch_execnz .LBB1357_22
	s_branch .LBB1357_23
.LBB1357_15:
	s_or_b32 exec_lo, exec_lo, s1
	s_delay_alu instid0(SALU_CYCLE_1)
	s_mov_b32 s0, exec_lo
	v_cmpx_gt_u32_e64 s31, v39
	s_cbranch_execz .LBB1357_9
.LBB1357_16:
	v_lshlrev_b32_e32 v3, 3, v39
	global_load_b64 v[3:4], v3, s[4:5]
	s_or_b32 exec_lo, exec_lo, s0
	s_delay_alu instid0(SALU_CYCLE_1)
	s_mov_b32 s0, exec_lo
	v_cmpx_gt_u32_e64 s31, v38
	s_cbranch_execnz .LBB1357_10
.LBB1357_17:
	s_or_b32 exec_lo, exec_lo, s0
	s_delay_alu instid0(SALU_CYCLE_1)
	s_mov_b32 s0, exec_lo
	v_cmpx_gt_u32_e64 s31, v40
	s_cbranch_execz .LBB1357_11
.LBB1357_18:
	v_lshlrev_b32_e32 v7, 3, v40
	global_load_b64 v[7:8], v7, s[4:5]
	s_or_b32 exec_lo, exec_lo, s0
	s_delay_alu instid0(SALU_CYCLE_1)
	s_mov_b32 s0, exec_lo
	v_cmpx_gt_u32_e64 s31, v37
	s_cbranch_execnz .LBB1357_12
.LBB1357_19:
	s_or_b32 exec_lo, exec_lo, s0
	s_delay_alu instid0(SALU_CYCLE_1)
	s_mov_b32 s0, exec_lo
	v_cmpx_gt_u32_e64 s31, v35
	s_cbranch_execz .LBB1357_13
.LBB1357_20:
	v_lshlrev_b32_e32 v11, 3, v35
	global_load_b64 v[11:12], v11, s[4:5]
	s_or_b32 exec_lo, exec_lo, s0
	s_delay_alu instid0(SALU_CYCLE_1)
	s_mov_b32 s0, exec_lo
	v_cmpx_gt_u32_e64 s31, v33
	s_cbranch_execnz .LBB1357_14
.LBB1357_21:
	s_or_b32 exec_lo, exec_lo, s0
	s_delay_alu instid0(SALU_CYCLE_1)
	s_mov_b32 s0, exec_lo
	v_cmpx_gt_u32_e64 s31, v36
	s_cbranch_execz .LBB1357_23
.LBB1357_22:
	v_lshlrev_b32_e32 v15, 3, v36
	global_load_b64 v[15:16], v15, s[4:5]
.LBB1357_23:
	s_or_b32 exec_lo, exec_lo, s0
	v_lshrrev_b32_e32 v17, 2, v39
	v_lshrrev_b32_e32 v18, 2, v38
	;; [unrolled: 1-line block ×4, first 2 shown]
	v_and_b32_e32 v19, 0x78, v34
	v_lshrrev_b32_e32 v22, 2, v35
	v_lshrrev_b32_e32 v23, 2, v33
	;; [unrolled: 1-line block ×3, first 2 shown]
	v_and_b32_e32 v17, 0xf8, v17
	v_and_b32_e32 v18, 0x1f8, v18
	;; [unrolled: 1-line block ×4, first 2 shown]
	v_add_nc_u32_e32 v19, v19, v55
	v_and_b32_e32 v22, 0x3f8, v22
	v_and_b32_e32 v23, 0x3f8, v23
	v_and_b32_e32 v24, 0x3f8, v24
	v_add_nc_u32_e32 v17, v17, v55
	v_add_nc_u32_e32 v18, v18, v55
	;; [unrolled: 1-line block ×7, first 2 shown]
	s_waitcnt vmcnt(0)
	ds_store_b64 v19, v[1:2]
	ds_store_b64 v17, v[3:4] offset:4096
	ds_store_b64 v18, v[5:6] offset:8192
	;; [unrolled: 1-line block ×7, first 2 shown]
	s_waitcnt lgkmcnt(0)
	s_barrier
.LBB1357_24:
	v_add_lshl_u32 v41, v34, v55, 3
	buffer_gl0_inv
	s_add_u32 s0, s24, s26
	s_addc_u32 s1, s25, s27
	s_add_u32 s0, s0, s12
	ds_load_2addr_b64 v[29:32], v41 offset1:1
	ds_load_2addr_b64 v[25:28], v41 offset0:2 offset1:3
	ds_load_2addr_b64 v[21:24], v41 offset0:4 offset1:5
	;; [unrolled: 1-line block ×3, first 2 shown]
	s_addc_u32 s1, s1, s13
	s_and_b32 vcc_lo, exec_lo, s29
	s_mov_b32 s12, -1
	s_waitcnt lgkmcnt(0)
	s_barrier
	buffer_gl0_inv
	s_cbranch_vccz .LBB1357_26
; %bb.25:
	v_add_co_u32 v9, s12, s0, v55
	s_delay_alu instid0(VALU_DEP_1)
	v_add_co_ci_u32_e64 v10, null, s1, 0, s12
	global_load_b64 v[1:2], v55, s[0:1]
	v_add_co_u32 v3, vcc_lo, v9, 0x2000
	v_add_co_ci_u32_e32 v4, vcc_lo, 0, v10, vcc_lo
	v_add_co_u32 v5, vcc_lo, v9, 0x4000
	v_add_co_ci_u32_e32 v6, vcc_lo, 0, v10, vcc_lo
	;; [unrolled: 2-line block ×4, first 2 shown]
	s_clause 0x6
	global_load_b64 v[11:12], v[3:4], off offset:-4096
	global_load_b64 v[3:4], v[3:4], off
	global_load_b64 v[13:14], v[5:6], off offset:-4096
	global_load_b64 v[5:6], v[5:6], off
	;; [unrolled: 2-line block ×3, first 2 shown]
	global_load_b64 v[9:10], v[9:10], off
	v_lshrrev_b32_e32 v43, 2, v39
	v_lshrrev_b32_e32 v44, 2, v38
	v_lshrrev_b32_e32 v45, 2, v40
	v_lshrrev_b32_e32 v46, 2, v37
	v_and_b32_e32 v42, 0x78, v34
	v_lshrrev_b32_e32 v47, 2, v35
	v_lshrrev_b32_e32 v48, 2, v33
	;; [unrolled: 1-line block ×3, first 2 shown]
	v_and_b32_e32 v43, 0xf8, v43
	v_and_b32_e32 v44, 0x178, v44
	;; [unrolled: 1-line block ×4, first 2 shown]
	v_add_nc_u32_e32 v42, v42, v55
	v_and_b32_e32 v47, 0x2f8, v47
	v_and_b32_e32 v48, 0x378, v48
	;; [unrolled: 1-line block ×3, first 2 shown]
	v_add_nc_u32_e32 v43, v43, v55
	v_add_nc_u32_e32 v44, v44, v55
	;; [unrolled: 1-line block ×4, first 2 shown]
	s_mov_b32 s12, 0
	v_add_nc_u32_e32 v47, v47, v55
	v_add_nc_u32_e32 v48, v48, v55
	;; [unrolled: 1-line block ×3, first 2 shown]
	s_waitcnt vmcnt(7)
	ds_store_b64 v42, v[1:2]
	s_waitcnt vmcnt(6)
	ds_store_b64 v43, v[11:12] offset:4096
	s_waitcnt vmcnt(5)
	ds_store_b64 v44, v[3:4] offset:8192
	;; [unrolled: 2-line block ×7, first 2 shown]
	s_waitcnt lgkmcnt(0)
	s_barrier
.LBB1357_26:
	s_and_not1_b32 vcc_lo, exec_lo, s12
	s_cbranch_vccnz .LBB1357_44
; %bb.27:
	s_mov_b32 s12, exec_lo
                                        ; implicit-def: $vgpr1_vgpr2
	v_cmpx_gt_u32_e64 s31, v0
	s_cbranch_execz .LBB1357_29
; %bb.28:
	global_load_b64 v[1:2], v55, s[0:1]
.LBB1357_29:
	s_or_b32 exec_lo, exec_lo, s12
	s_delay_alu instid0(SALU_CYCLE_1)
	s_mov_b32 s12, exec_lo
                                        ; implicit-def: $vgpr3_vgpr4
	v_cmpx_gt_u32_e64 s31, v39
	s_cbranch_execz .LBB1357_31
; %bb.30:
	v_lshlrev_b32_e32 v3, 3, v39
	global_load_b64 v[3:4], v3, s[0:1]
.LBB1357_31:
	s_or_b32 exec_lo, exec_lo, s12
	s_delay_alu instid0(SALU_CYCLE_1)
	s_mov_b32 s12, exec_lo
                                        ; implicit-def: $vgpr5_vgpr6
	v_cmpx_gt_u32_e64 s31, v38
	s_cbranch_execz .LBB1357_33
; %bb.32:
	v_lshlrev_b32_e32 v5, 3, v38
	global_load_b64 v[5:6], v5, s[0:1]
.LBB1357_33:
	s_or_b32 exec_lo, exec_lo, s12
	s_delay_alu instid0(SALU_CYCLE_1)
	s_mov_b32 s12, exec_lo
                                        ; implicit-def: $vgpr7_vgpr8
	v_cmpx_gt_u32_e64 s31, v40
	s_cbranch_execz .LBB1357_35
; %bb.34:
	v_lshlrev_b32_e32 v7, 3, v40
	global_load_b64 v[7:8], v7, s[0:1]
.LBB1357_35:
	s_or_b32 exec_lo, exec_lo, s12
	s_delay_alu instid0(SALU_CYCLE_1)
	s_mov_b32 s12, exec_lo
                                        ; implicit-def: $vgpr9_vgpr10
	v_cmpx_gt_u32_e64 s31, v37
	s_cbranch_execz .LBB1357_37
; %bb.36:
	v_lshlrev_b32_e32 v9, 3, v37
	global_load_b64 v[9:10], v9, s[0:1]
.LBB1357_37:
	s_or_b32 exec_lo, exec_lo, s12
	s_delay_alu instid0(SALU_CYCLE_1)
	s_mov_b32 s12, exec_lo
                                        ; implicit-def: $vgpr11_vgpr12
	v_cmpx_gt_u32_e64 s31, v35
	s_cbranch_execz .LBB1357_39
; %bb.38:
	v_lshlrev_b32_e32 v11, 3, v35
	global_load_b64 v[11:12], v11, s[0:1]
.LBB1357_39:
	s_or_b32 exec_lo, exec_lo, s12
	s_delay_alu instid0(SALU_CYCLE_1)
	s_mov_b32 s12, exec_lo
                                        ; implicit-def: $vgpr13_vgpr14
	v_cmpx_gt_u32_e64 s31, v33
	s_cbranch_execz .LBB1357_41
; %bb.40:
	v_lshlrev_b32_e32 v13, 3, v33
	global_load_b64 v[13:14], v13, s[0:1]
.LBB1357_41:
	s_or_b32 exec_lo, exec_lo, s12
	s_delay_alu instid0(SALU_CYCLE_1)
	s_mov_b32 s12, exec_lo
                                        ; implicit-def: $vgpr15_vgpr16
	v_cmpx_gt_u32_e64 s31, v36
	s_cbranch_execz .LBB1357_43
; %bb.42:
	v_lshlrev_b32_e32 v15, 3, v36
	global_load_b64 v[15:16], v15, s[0:1]
.LBB1357_43:
	s_or_b32 exec_lo, exec_lo, s12
	v_lshrrev_b32_e32 v39, 2, v39
	v_lshrrev_b32_e32 v38, 2, v38
	;; [unrolled: 1-line block ×4, first 2 shown]
	v_and_b32_e32 v34, 0x78, v34
	v_lshrrev_b32_e32 v35, 2, v35
	v_lshrrev_b32_e32 v33, 2, v33
	;; [unrolled: 1-line block ×3, first 2 shown]
	v_and_b32_e32 v39, 0xf8, v39
	v_and_b32_e32 v38, 0x1f8, v38
	;; [unrolled: 1-line block ×4, first 2 shown]
	v_add_nc_u32_e32 v34, v34, v55
	v_and_b32_e32 v35, 0x3f8, v35
	v_and_b32_e32 v33, 0x3f8, v33
	;; [unrolled: 1-line block ×3, first 2 shown]
	v_add_nc_u32_e32 v39, v39, v55
	v_add_nc_u32_e32 v38, v38, v55
	;; [unrolled: 1-line block ×7, first 2 shown]
	s_waitcnt vmcnt(0)
	ds_store_b64 v34, v[1:2]
	ds_store_b64 v39, v[3:4] offset:4096
	ds_store_b64 v38, v[5:6] offset:8192
	;; [unrolled: 1-line block ×7, first 2 shown]
	s_waitcnt lgkmcnt(0)
	s_barrier
.LBB1357_44:
	buffer_gl0_inv
	ds_load_2addr_b64 v[13:16], v41 offset1:1
	ds_load_2addr_b64 v[9:12], v41 offset0:2 offset1:3
	ds_load_2addr_b64 v[5:8], v41 offset0:4 offset1:5
	;; [unrolled: 1-line block ×3, first 2 shown]
	s_cmp_lg_u32 s30, 0
	v_cmp_gt_i64_e64 s13, s[14:15], 0
	s_cselect_b32 s12, -1, 0
	s_cmp_lg_u64 s[6:7], 0
	s_mov_b32 s1, 0
	s_cselect_b32 s0, -1, 0
	s_waitcnt lgkmcnt(0)
	s_or_b32 s0, s0, s12
	s_barrier
	s_and_b32 vcc_lo, exec_lo, s0
	buffer_gl0_inv
	s_cbranch_vccz .LBB1357_53
; %bb.45:
	v_mov_b32_e32 v33, 0
	v_cndmask_b32_e64 v43, 0, 1, s13
	s_and_b32 vcc_lo, exec_lo, s29
	ds_store_b64 v55, v[19:20]
	global_load_b64 v[33:34], v33, s[4:5] offset:-8
	v_cmp_ne_u32_e64 s0, 1, v43
	s_cbranch_vccz .LBB1357_54
; %bb.46:
	v_mul_lo_u32 v37, v18, s14
	v_mul_lo_u32 v38, v17, s15
	v_mad_u64_u32 v[35:36], null, v17, s14, 0
	s_and_b32 vcc_lo, exec_lo, s0
	s_mov_b32 s24, 0
	s_delay_alu instid0(VALU_DEP_1) | instskip(NEXT) | instid1(VALU_DEP_1)
	v_add3_u32 v36, v36, v38, v37
	v_lshlrev_b64 v[35:36], 1, v[35:36]
	s_cbranch_vccnz .LBB1357_57
; %bb.47:
	v_mul_lo_u32 v39, v20, s14
	v_mul_lo_u32 v40, v19, s15
	v_mad_u64_u32 v[37:38], null, v19, s14, 0
	s_mov_b32 s24, -1
	s_mov_b32 s25, exec_lo
	s_delay_alu instid0(VALU_DEP_1) | instskip(SKIP_2) | instid1(VALU_DEP_3)
	v_add3_u32 v38, v38, v40, v39
	v_add_co_u32 v39, vcc_lo, s20, v35
	v_add_co_ci_u32_e32 v40, vcc_lo, s21, v36, vcc_lo
	v_lshlrev_b64 v[37:38], 1, v[37:38]
	s_delay_alu instid0(VALU_DEP_1) | instskip(NEXT) | instid1(VALU_DEP_2)
	v_add_co_u32 v37, vcc_lo, s20, v37
	v_add_co_ci_u32_e32 v38, vcc_lo, s21, v38, vcc_lo
	s_clause 0x1
	global_load_u16 v41, v[39:40], off
	global_load_u16 v42, v[37:38], off
	s_waitcnt vmcnt(0)
	v_cmpx_eq_f16_e32 v41, v42
	s_cbranch_execz .LBB1357_56
; %bb.48:
	v_add_co_u32 v37, vcc_lo, v37, 2
	v_add_co_ci_u32_e32 v38, vcc_lo, 0, v38, vcc_lo
	v_add_co_u32 v39, vcc_lo, v39, 2
	v_add_co_ci_u32_e32 v40, vcc_lo, 0, v40, vcc_lo
	s_add_u32 s4, s14, -1
	s_addc_u32 s5, s15, -1
	s_mov_b64 s[6:7], 0
	s_mov_b32 s24, 0
                                        ; implicit-def: $sgpr26
	s_set_inst_prefetch_distance 0x1
	s_branch .LBB1357_51
	.p2align	6
.LBB1357_49:                            ;   in Loop: Header=BB1357_51 Depth=1
	global_load_u16 v41, v[39:40], off
	global_load_u16 v42, v[37:38], off
	v_add_co_u32 v37, vcc_lo, v37, 2
	v_add_co_ci_u32_e32 v38, vcc_lo, 0, v38, vcc_lo
	v_add_co_u32 v39, s0, v39, 2
	s_delay_alu instid0(VALU_DEP_1)
	v_add_co_ci_u32_e64 v40, s0, 0, v40, s0
	s_add_u32 s6, s6, 1
	s_addc_u32 s7, s7, 0
	s_and_not1_b32 s0, s26, exec_lo
	s_waitcnt vmcnt(0)
	v_cmp_neq_f16_e32 vcc_lo, v41, v42
	s_and_b32 s26, vcc_lo, exec_lo
	s_delay_alu instid0(SALU_CYCLE_1)
	s_or_b32 s26, s0, s26
.LBB1357_50:                            ;   in Loop: Header=BB1357_51 Depth=1
	v_dual_mov_b32 v42, s7 :: v_dual_mov_b32 v41, s6
	s_and_b32 s0, exec_lo, s26
	s_delay_alu instid0(SALU_CYCLE_1) | instskip(NEXT) | instid1(SALU_CYCLE_1)
	s_or_b32 s24, s0, s24
	s_and_not1_b32 exec_lo, exec_lo, s24
	s_cbranch_execz .LBB1357_55
.LBB1357_51:                            ; =>This Inner Loop Header: Depth=1
	s_or_b32 s26, s26, exec_lo
	s_cmp_eq_u64 s[4:5], s[6:7]
	s_cbranch_scc0 .LBB1357_49
; %bb.52:                               ;   in Loop: Header=BB1357_51 Depth=1
	s_mov_b64 s[6:7], s[14:15]
                                        ; implicit-def: $vgpr37_vgpr38
                                        ; implicit-def: $vgpr39_vgpr40
	s_branch .LBB1357_50
.LBB1357_53:
                                        ; implicit-def: $sgpr0
                                        ; implicit-def: $vgpr36
	s_branch .LBB1357_215
.LBB1357_54:
                                        ; implicit-def: $sgpr0
                                        ; implicit-def: $vgpr36
	s_cbranch_execnz .LBB1357_123
	s_branch .LBB1357_214
.LBB1357_55:
	s_set_inst_prefetch_distance 0x2
	s_or_b32 exec_lo, exec_lo, s24
	v_cmp_gt_i64_e32 vcc_lo, s[14:15], v[41:42]
	s_or_not1_b32 s24, vcc_lo, exec_lo
.LBB1357_56:
	s_or_b32 exec_lo, exec_lo, s25
.LBB1357_57:
	v_mul_lo_u32 v39, v24, s14
	v_mul_lo_u32 v40, v23, s15
	v_mad_u64_u32 v[37:38], null, v23, s14, 0
	s_and_not1_b32 vcc_lo, exec_lo, s13
	s_delay_alu instid0(VALU_DEP_1) | instskip(NEXT) | instid1(VALU_DEP_1)
	v_add3_u32 v38, v38, v40, v39
	v_lshlrev_b64 v[37:38], 1, v[37:38]
	s_cbranch_vccnz .LBB1357_66
; %bb.58:
	s_delay_alu instid0(VALU_DEP_1) | instskip(NEXT) | instid1(VALU_DEP_2)
	v_add_co_u32 v39, vcc_lo, s20, v37
	v_add_co_ci_u32_e32 v40, vcc_lo, s21, v38, vcc_lo
	v_add_co_u32 v35, vcc_lo, s20, v35
	v_add_co_ci_u32_e32 v36, vcc_lo, s21, v36, vcc_lo
	s_mov_b32 s1, -1
	s_clause 0x1
	global_load_u16 v41, v[39:40], off
	global_load_u16 v42, v[35:36], off
	s_mov_b32 s25, exec_lo
	s_waitcnt vmcnt(0)
	v_cmpx_eq_f16_e32 v41, v42
	s_cbranch_execz .LBB1357_65
; %bb.59:
	v_add_co_u32 v35, vcc_lo, v35, 2
	v_add_co_ci_u32_e32 v36, vcc_lo, 0, v36, vcc_lo
	v_add_co_u32 v39, vcc_lo, v39, 2
	v_add_co_ci_u32_e32 v40, vcc_lo, 0, v40, vcc_lo
	s_add_u32 s4, s14, -1
	s_addc_u32 s5, s15, -1
	s_mov_b64 s[6:7], 0
	s_mov_b32 s1, 0
                                        ; implicit-def: $sgpr26
	s_set_inst_prefetch_distance 0x1
	s_branch .LBB1357_62
	.p2align	6
.LBB1357_60:                            ;   in Loop: Header=BB1357_62 Depth=1
	global_load_u16 v41, v[39:40], off
	global_load_u16 v42, v[35:36], off
	v_add_co_u32 v35, vcc_lo, v35, 2
	v_add_co_ci_u32_e32 v36, vcc_lo, 0, v36, vcc_lo
	v_add_co_u32 v39, s0, v39, 2
	s_delay_alu instid0(VALU_DEP_1)
	v_add_co_ci_u32_e64 v40, s0, 0, v40, s0
	s_add_u32 s6, s6, 1
	s_addc_u32 s7, s7, 0
	s_and_not1_b32 s0, s26, exec_lo
	s_waitcnt vmcnt(0)
	v_cmp_neq_f16_e32 vcc_lo, v41, v42
	s_and_b32 s26, vcc_lo, exec_lo
	s_delay_alu instid0(SALU_CYCLE_1)
	s_or_b32 s26, s0, s26
.LBB1357_61:                            ;   in Loop: Header=BB1357_62 Depth=1
	v_dual_mov_b32 v42, s7 :: v_dual_mov_b32 v41, s6
	s_and_b32 s0, exec_lo, s26
	s_delay_alu instid0(SALU_CYCLE_1) | instskip(NEXT) | instid1(SALU_CYCLE_1)
	s_or_b32 s1, s0, s1
	s_and_not1_b32 exec_lo, exec_lo, s1
	s_cbranch_execz .LBB1357_64
.LBB1357_62:                            ; =>This Inner Loop Header: Depth=1
	s_or_b32 s26, s26, exec_lo
	s_cmp_eq_u64 s[4:5], s[6:7]
	s_cbranch_scc0 .LBB1357_60
; %bb.63:                               ;   in Loop: Header=BB1357_62 Depth=1
	s_mov_b64 s[6:7], s[14:15]
                                        ; implicit-def: $vgpr35_vgpr36
                                        ; implicit-def: $vgpr39_vgpr40
	s_branch .LBB1357_61
.LBB1357_64:
	s_set_inst_prefetch_distance 0x2
	s_or_b32 exec_lo, exec_lo, s1
	v_cmp_gt_i64_e32 vcc_lo, s[14:15], v[41:42]
	s_or_not1_b32 s1, vcc_lo, exec_lo
.LBB1357_65:
	s_or_b32 exec_lo, exec_lo, s25
.LBB1357_66:
	v_mul_lo_u32 v39, v22, s14
	v_mul_lo_u32 v40, v21, s15
	v_mad_u64_u32 v[35:36], null, v21, s14, 0
	s_mov_b32 s25, 0
	s_and_not1_b32 vcc_lo, exec_lo, s13
	s_mov_b32 s26, 0
	s_delay_alu instid0(VALU_DEP_1) | instskip(NEXT) | instid1(VALU_DEP_1)
	v_add3_u32 v36, v36, v40, v39
	v_lshlrev_b64 v[39:40], 1, v[35:36]
	s_cbranch_vccnz .LBB1357_75
; %bb.67:
	s_delay_alu instid0(VALU_DEP_1) | instskip(NEXT) | instid1(VALU_DEP_2)
	v_add_co_u32 v41, vcc_lo, s20, v39
	v_add_co_ci_u32_e32 v42, vcc_lo, s21, v40, vcc_lo
	v_add_co_u32 v35, vcc_lo, s20, v37
	v_add_co_ci_u32_e32 v36, vcc_lo, s21, v38, vcc_lo
	s_mov_b32 s26, -1
	s_clause 0x1
	global_load_u16 v37, v[41:42], off
	global_load_u16 v38, v[35:36], off
	s_mov_b32 s27, exec_lo
	s_waitcnt vmcnt(0)
	v_cmpx_eq_f16_e32 v37, v38
	s_cbranch_execz .LBB1357_74
; %bb.68:
	v_add_co_u32 v35, vcc_lo, v35, 2
	v_add_co_ci_u32_e32 v36, vcc_lo, 0, v36, vcc_lo
	v_add_co_u32 v37, vcc_lo, v41, 2
	v_add_co_ci_u32_e32 v38, vcc_lo, 0, v42, vcc_lo
	s_add_u32 s4, s14, -1
	s_addc_u32 s5, s15, -1
	s_mov_b64 s[6:7], 0
	s_mov_b32 s26, 0
                                        ; implicit-def: $sgpr34
	s_set_inst_prefetch_distance 0x1
	s_branch .LBB1357_71
	.p2align	6
.LBB1357_69:                            ;   in Loop: Header=BB1357_71 Depth=1
	global_load_u16 v41, v[37:38], off
	global_load_u16 v42, v[35:36], off
	v_add_co_u32 v35, vcc_lo, v35, 2
	v_add_co_ci_u32_e32 v36, vcc_lo, 0, v36, vcc_lo
	v_add_co_u32 v37, s0, v37, 2
	s_delay_alu instid0(VALU_DEP_1)
	v_add_co_ci_u32_e64 v38, s0, 0, v38, s0
	s_add_u32 s6, s6, 1
	s_addc_u32 s7, s7, 0
	s_and_not1_b32 s0, s34, exec_lo
	s_waitcnt vmcnt(0)
	v_cmp_neq_f16_e32 vcc_lo, v41, v42
	s_and_b32 s34, vcc_lo, exec_lo
	s_delay_alu instid0(SALU_CYCLE_1)
	s_or_b32 s34, s0, s34
.LBB1357_70:                            ;   in Loop: Header=BB1357_71 Depth=1
	v_dual_mov_b32 v42, s7 :: v_dual_mov_b32 v41, s6
	s_and_b32 s0, exec_lo, s34
	s_delay_alu instid0(SALU_CYCLE_1) | instskip(NEXT) | instid1(SALU_CYCLE_1)
	s_or_b32 s26, s0, s26
	s_and_not1_b32 exec_lo, exec_lo, s26
	s_cbranch_execz .LBB1357_73
.LBB1357_71:                            ; =>This Inner Loop Header: Depth=1
	s_or_b32 s34, s34, exec_lo
	s_cmp_eq_u64 s[4:5], s[6:7]
	s_cbranch_scc0 .LBB1357_69
; %bb.72:                               ;   in Loop: Header=BB1357_71 Depth=1
	s_mov_b64 s[6:7], s[14:15]
                                        ; implicit-def: $vgpr35_vgpr36
                                        ; implicit-def: $vgpr37_vgpr38
	s_branch .LBB1357_70
.LBB1357_73:
	s_set_inst_prefetch_distance 0x2
	s_or_b32 exec_lo, exec_lo, s26
	v_cmp_gt_i64_e32 vcc_lo, s[14:15], v[41:42]
	s_or_not1_b32 s26, vcc_lo, exec_lo
.LBB1357_74:
	s_or_b32 exec_lo, exec_lo, s27
.LBB1357_75:
	v_mul_lo_u32 v37, v28, s14
	v_mul_lo_u32 v38, v27, s15
	v_mad_u64_u32 v[35:36], null, v27, s14, 0
	s_and_not1_b32 vcc_lo, exec_lo, s13
	s_delay_alu instid0(VALU_DEP_1) | instskip(NEXT) | instid1(VALU_DEP_1)
	v_add3_u32 v36, v36, v38, v37
	v_lshlrev_b64 v[35:36], 1, v[35:36]
	s_cbranch_vccnz .LBB1357_84
; %bb.76:
	s_delay_alu instid0(VALU_DEP_1) | instskip(NEXT) | instid1(VALU_DEP_2)
	v_add_co_u32 v41, vcc_lo, s20, v35
	v_add_co_ci_u32_e32 v42, vcc_lo, s21, v36, vcc_lo
	v_add_co_u32 v37, vcc_lo, s20, v39
	v_add_co_ci_u32_e32 v38, vcc_lo, s21, v40, vcc_lo
	s_mov_b32 s25, -1
	s_clause 0x1
	global_load_u16 v39, v[41:42], off
	global_load_u16 v40, v[37:38], off
	s_mov_b32 s27, exec_lo
	s_waitcnt vmcnt(0)
	v_cmpx_eq_f16_e32 v39, v40
	s_cbranch_execz .LBB1357_83
; %bb.77:
	v_add_co_u32 v37, vcc_lo, v37, 2
	v_add_co_ci_u32_e32 v38, vcc_lo, 0, v38, vcc_lo
	v_add_co_u32 v39, vcc_lo, v41, 2
	v_add_co_ci_u32_e32 v40, vcc_lo, 0, v42, vcc_lo
	s_add_u32 s4, s14, -1
	s_addc_u32 s5, s15, -1
	s_mov_b64 s[6:7], 0
	s_mov_b32 s25, 0
                                        ; implicit-def: $sgpr34
	s_set_inst_prefetch_distance 0x1
	s_branch .LBB1357_80
	.p2align	6
.LBB1357_78:                            ;   in Loop: Header=BB1357_80 Depth=1
	global_load_u16 v41, v[39:40], off
	global_load_u16 v42, v[37:38], off
	v_add_co_u32 v37, vcc_lo, v37, 2
	v_add_co_ci_u32_e32 v38, vcc_lo, 0, v38, vcc_lo
	v_add_co_u32 v39, s0, v39, 2
	s_delay_alu instid0(VALU_DEP_1)
	v_add_co_ci_u32_e64 v40, s0, 0, v40, s0
	s_add_u32 s6, s6, 1
	s_addc_u32 s7, s7, 0
	s_and_not1_b32 s0, s34, exec_lo
	s_waitcnt vmcnt(0)
	v_cmp_neq_f16_e32 vcc_lo, v41, v42
	s_and_b32 s34, vcc_lo, exec_lo
	s_delay_alu instid0(SALU_CYCLE_1)
	s_or_b32 s34, s0, s34
.LBB1357_79:                            ;   in Loop: Header=BB1357_80 Depth=1
	v_dual_mov_b32 v42, s7 :: v_dual_mov_b32 v41, s6
	s_and_b32 s0, exec_lo, s34
	s_delay_alu instid0(SALU_CYCLE_1) | instskip(NEXT) | instid1(SALU_CYCLE_1)
	s_or_b32 s25, s0, s25
	s_and_not1_b32 exec_lo, exec_lo, s25
	s_cbranch_execz .LBB1357_82
.LBB1357_80:                            ; =>This Inner Loop Header: Depth=1
	s_or_b32 s34, s34, exec_lo
	s_cmp_eq_u64 s[4:5], s[6:7]
	s_cbranch_scc0 .LBB1357_78
; %bb.81:                               ;   in Loop: Header=BB1357_80 Depth=1
	s_mov_b64 s[6:7], s[14:15]
                                        ; implicit-def: $vgpr37_vgpr38
                                        ; implicit-def: $vgpr39_vgpr40
	s_branch .LBB1357_79
.LBB1357_82:
	s_set_inst_prefetch_distance 0x2
	s_or_b32 exec_lo, exec_lo, s25
	v_cmp_gt_i64_e32 vcc_lo, s[14:15], v[41:42]
	s_or_not1_b32 s25, vcc_lo, exec_lo
.LBB1357_83:
	s_or_b32 exec_lo, exec_lo, s27
.LBB1357_84:
	v_mul_lo_u32 v39, v26, s14
	v_mul_lo_u32 v40, v25, s15
	v_mad_u64_u32 v[37:38], null, v25, s14, 0
	s_mov_b32 s27, 0
	s_and_not1_b32 vcc_lo, exec_lo, s13
	s_mov_b32 s34, 0
	s_delay_alu instid0(VALU_DEP_1) | instskip(NEXT) | instid1(VALU_DEP_1)
	v_add3_u32 v38, v38, v40, v39
	v_lshlrev_b64 v[39:40], 1, v[37:38]
	s_cbranch_vccnz .LBB1357_93
; %bb.85:
	s_delay_alu instid0(VALU_DEP_1) | instskip(NEXT) | instid1(VALU_DEP_2)
	v_add_co_u32 v37, vcc_lo, s20, v39
	v_add_co_ci_u32_e32 v38, vcc_lo, s21, v40, vcc_lo
	v_add_co_u32 v35, vcc_lo, s20, v35
	v_add_co_ci_u32_e32 v36, vcc_lo, s21, v36, vcc_lo
	s_mov_b32 s34, -1
	s_clause 0x1
	global_load_u16 v41, v[37:38], off
	global_load_u16 v42, v[35:36], off
	s_mov_b32 s35, exec_lo
	s_waitcnt vmcnt(0)
	v_cmpx_eq_f16_e32 v41, v42
	s_cbranch_execz .LBB1357_92
; %bb.86:
	v_add_co_u32 v35, vcc_lo, v35, 2
	v_add_co_ci_u32_e32 v36, vcc_lo, 0, v36, vcc_lo
	v_add_co_u32 v37, vcc_lo, v37, 2
	v_add_co_ci_u32_e32 v38, vcc_lo, 0, v38, vcc_lo
	s_add_u32 s4, s14, -1
	s_addc_u32 s5, s15, -1
	s_mov_b64 s[6:7], 0
	s_mov_b32 s34, 0
                                        ; implicit-def: $sgpr36
	s_set_inst_prefetch_distance 0x1
	s_branch .LBB1357_89
	.p2align	6
.LBB1357_87:                            ;   in Loop: Header=BB1357_89 Depth=1
	global_load_u16 v41, v[37:38], off
	global_load_u16 v42, v[35:36], off
	v_add_co_u32 v35, vcc_lo, v35, 2
	v_add_co_ci_u32_e32 v36, vcc_lo, 0, v36, vcc_lo
	v_add_co_u32 v37, s0, v37, 2
	s_delay_alu instid0(VALU_DEP_1)
	v_add_co_ci_u32_e64 v38, s0, 0, v38, s0
	s_add_u32 s6, s6, 1
	s_addc_u32 s7, s7, 0
	s_and_not1_b32 s0, s36, exec_lo
	s_waitcnt vmcnt(0)
	v_cmp_neq_f16_e32 vcc_lo, v41, v42
	s_and_b32 s36, vcc_lo, exec_lo
	s_delay_alu instid0(SALU_CYCLE_1)
	s_or_b32 s36, s0, s36
.LBB1357_88:                            ;   in Loop: Header=BB1357_89 Depth=1
	v_dual_mov_b32 v42, s7 :: v_dual_mov_b32 v41, s6
	s_and_b32 s0, exec_lo, s36
	s_delay_alu instid0(SALU_CYCLE_1) | instskip(NEXT) | instid1(SALU_CYCLE_1)
	s_or_b32 s34, s0, s34
	s_and_not1_b32 exec_lo, exec_lo, s34
	s_cbranch_execz .LBB1357_91
.LBB1357_89:                            ; =>This Inner Loop Header: Depth=1
	s_or_b32 s36, s36, exec_lo
	s_cmp_eq_u64 s[4:5], s[6:7]
	s_cbranch_scc0 .LBB1357_87
; %bb.90:                               ;   in Loop: Header=BB1357_89 Depth=1
	s_mov_b64 s[6:7], s[14:15]
                                        ; implicit-def: $vgpr35_vgpr36
                                        ; implicit-def: $vgpr37_vgpr38
	s_branch .LBB1357_88
.LBB1357_91:
	s_set_inst_prefetch_distance 0x2
	s_or_b32 exec_lo, exec_lo, s34
	v_cmp_gt_i64_e32 vcc_lo, s[14:15], v[41:42]
	s_or_not1_b32 s34, vcc_lo, exec_lo
.LBB1357_92:
	s_or_b32 exec_lo, exec_lo, s35
.LBB1357_93:
	v_mul_lo_u32 v37, v32, s14
	v_mul_lo_u32 v38, v31, s15
	v_mad_u64_u32 v[35:36], null, v31, s14, 0
	s_and_not1_b32 vcc_lo, exec_lo, s13
	s_delay_alu instid0(VALU_DEP_1) | instskip(NEXT) | instid1(VALU_DEP_1)
	v_add3_u32 v36, v36, v38, v37
	v_lshlrev_b64 v[37:38], 1, v[35:36]
	s_cbranch_vccnz .LBB1357_102
; %bb.94:
	s_delay_alu instid0(VALU_DEP_1) | instskip(NEXT) | instid1(VALU_DEP_2)
	v_add_co_u32 v41, vcc_lo, s20, v37
	v_add_co_ci_u32_e32 v42, vcc_lo, s21, v38, vcc_lo
	v_add_co_u32 v35, vcc_lo, s20, v39
	v_add_co_ci_u32_e32 v36, vcc_lo, s21, v40, vcc_lo
	s_mov_b32 s27, -1
	s_clause 0x1
	global_load_u16 v39, v[41:42], off
	global_load_u16 v40, v[35:36], off
	s_mov_b32 s35, exec_lo
	s_waitcnt vmcnt(0)
	v_cmpx_eq_f16_e32 v39, v40
	s_cbranch_execz .LBB1357_101
; %bb.95:
	v_add_co_u32 v35, vcc_lo, v35, 2
	v_add_co_ci_u32_e32 v36, vcc_lo, 0, v36, vcc_lo
	v_add_co_u32 v39, vcc_lo, v41, 2
	v_add_co_ci_u32_e32 v40, vcc_lo, 0, v42, vcc_lo
	s_add_u32 s4, s14, -1
	s_addc_u32 s5, s15, -1
	s_mov_b64 s[6:7], 0
	s_mov_b32 s27, 0
                                        ; implicit-def: $sgpr36
	s_set_inst_prefetch_distance 0x1
	s_branch .LBB1357_98
	.p2align	6
.LBB1357_96:                            ;   in Loop: Header=BB1357_98 Depth=1
	global_load_u16 v41, v[39:40], off
	global_load_u16 v42, v[35:36], off
	v_add_co_u32 v35, vcc_lo, v35, 2
	v_add_co_ci_u32_e32 v36, vcc_lo, 0, v36, vcc_lo
	v_add_co_u32 v39, s0, v39, 2
	s_delay_alu instid0(VALU_DEP_1)
	v_add_co_ci_u32_e64 v40, s0, 0, v40, s0
	s_add_u32 s6, s6, 1
	s_addc_u32 s7, s7, 0
	s_and_not1_b32 s0, s36, exec_lo
	s_waitcnt vmcnt(0)
	v_cmp_neq_f16_e32 vcc_lo, v41, v42
	s_and_b32 s36, vcc_lo, exec_lo
	s_delay_alu instid0(SALU_CYCLE_1)
	s_or_b32 s36, s0, s36
.LBB1357_97:                            ;   in Loop: Header=BB1357_98 Depth=1
	v_dual_mov_b32 v42, s7 :: v_dual_mov_b32 v41, s6
	s_and_b32 s0, exec_lo, s36
	s_delay_alu instid0(SALU_CYCLE_1) | instskip(NEXT) | instid1(SALU_CYCLE_1)
	s_or_b32 s27, s0, s27
	s_and_not1_b32 exec_lo, exec_lo, s27
	s_cbranch_execz .LBB1357_100
.LBB1357_98:                            ; =>This Inner Loop Header: Depth=1
	s_or_b32 s36, s36, exec_lo
	s_cmp_eq_u64 s[4:5], s[6:7]
	s_cbranch_scc0 .LBB1357_96
; %bb.99:                               ;   in Loop: Header=BB1357_98 Depth=1
	s_mov_b64 s[6:7], s[14:15]
                                        ; implicit-def: $vgpr35_vgpr36
                                        ; implicit-def: $vgpr39_vgpr40
	s_branch .LBB1357_97
.LBB1357_100:
	s_set_inst_prefetch_distance 0x2
	s_or_b32 exec_lo, exec_lo, s27
	v_cmp_gt_i64_e32 vcc_lo, s[14:15], v[41:42]
	s_or_not1_b32 s27, vcc_lo, exec_lo
.LBB1357_101:
	s_or_b32 exec_lo, exec_lo, s35
.LBB1357_102:
	v_mul_lo_u32 v39, v30, s14
	v_mul_lo_u32 v40, v29, s15
	v_mad_u64_u32 v[35:36], null, v29, s14, 0
	s_and_not1_b32 vcc_lo, exec_lo, s13
	s_mov_b32 s0, 0
	s_delay_alu instid0(VALU_DEP_1) | instskip(NEXT) | instid1(VALU_DEP_1)
	v_add3_u32 v36, v36, v40, v39
	v_lshlrev_b64 v[35:36], 1, v[35:36]
	s_cbranch_vccnz .LBB1357_111
; %bb.103:
	s_delay_alu instid0(VALU_DEP_1) | instskip(NEXT) | instid1(VALU_DEP_2)
	v_add_co_u32 v39, vcc_lo, s20, v35
	v_add_co_ci_u32_e32 v40, vcc_lo, s21, v36, vcc_lo
	v_add_co_u32 v37, vcc_lo, s20, v37
	v_add_co_ci_u32_e32 v38, vcc_lo, s21, v38, vcc_lo
	s_mov_b32 s0, -1
	s_clause 0x1
	global_load_u16 v41, v[39:40], off
	global_load_u16 v42, v[37:38], off
	s_mov_b32 s35, exec_lo
	s_waitcnt vmcnt(0)
	v_cmpx_eq_f16_e32 v41, v42
	s_cbranch_execz .LBB1357_110
; %bb.104:
	v_add_co_u32 v37, vcc_lo, v37, 2
	v_add_co_ci_u32_e32 v38, vcc_lo, 0, v38, vcc_lo
	v_add_co_u32 v39, vcc_lo, v39, 2
	v_add_co_ci_u32_e32 v40, vcc_lo, 0, v40, vcc_lo
	s_add_u32 s4, s14, -1
	s_addc_u32 s5, s15, -1
	s_mov_b64 s[6:7], 0
	s_mov_b32 s36, 0
                                        ; implicit-def: $sgpr37
	s_set_inst_prefetch_distance 0x1
	s_branch .LBB1357_107
	.p2align	6
.LBB1357_105:                           ;   in Loop: Header=BB1357_107 Depth=1
	global_load_u16 v41, v[39:40], off
	global_load_u16 v42, v[37:38], off
	v_add_co_u32 v37, vcc_lo, v37, 2
	v_add_co_ci_u32_e32 v38, vcc_lo, 0, v38, vcc_lo
	v_add_co_u32 v39, s0, v39, 2
	s_delay_alu instid0(VALU_DEP_1)
	v_add_co_ci_u32_e64 v40, s0, 0, v40, s0
	s_add_u32 s6, s6, 1
	s_addc_u32 s7, s7, 0
	s_and_not1_b32 s0, s37, exec_lo
	s_waitcnt vmcnt(0)
	v_cmp_neq_f16_e32 vcc_lo, v41, v42
	s_and_b32 s37, vcc_lo, exec_lo
	s_delay_alu instid0(SALU_CYCLE_1)
	s_or_b32 s37, s0, s37
.LBB1357_106:                           ;   in Loop: Header=BB1357_107 Depth=1
	v_dual_mov_b32 v42, s7 :: v_dual_mov_b32 v41, s6
	s_and_b32 s0, exec_lo, s37
	s_delay_alu instid0(SALU_CYCLE_1) | instskip(NEXT) | instid1(SALU_CYCLE_1)
	s_or_b32 s36, s0, s36
	s_and_not1_b32 exec_lo, exec_lo, s36
	s_cbranch_execz .LBB1357_109
.LBB1357_107:                           ; =>This Inner Loop Header: Depth=1
	s_or_b32 s37, s37, exec_lo
	s_cmp_eq_u64 s[4:5], s[6:7]
	s_cbranch_scc0 .LBB1357_105
; %bb.108:                              ;   in Loop: Header=BB1357_107 Depth=1
	s_mov_b64 s[6:7], s[14:15]
                                        ; implicit-def: $vgpr37_vgpr38
                                        ; implicit-def: $vgpr39_vgpr40
	s_branch .LBB1357_106
.LBB1357_109:
	s_set_inst_prefetch_distance 0x2
	s_or_b32 exec_lo, exec_lo, s36
	v_cmp_gt_i64_e32 vcc_lo, s[14:15], v[41:42]
	s_or_not1_b32 s0, vcc_lo, exec_lo
.LBB1357_110:
	s_or_b32 exec_lo, exec_lo, s35
.LBB1357_111:
	s_waitcnt vmcnt(0)
	v_dual_mov_b32 v38, v34 :: v_dual_mov_b32 v37, v33
	s_waitcnt lgkmcnt(0)
	s_barrier
	buffer_gl0_inv
	s_and_saveexec_b32 s4, s3
	s_cbranch_execz .LBB1357_113
; %bb.112:
	v_add_nc_u32_e32 v37, -8, v55
	ds_load_b64 v[37:38], v37
.LBB1357_113:
	s_or_b32 exec_lo, exec_lo, s4
	v_cndmask_b32_e64 v40, 0, 1, s34
	v_cndmask_b32_e64 v42, 0, 1, s26
	;; [unrolled: 1-line block ×7, first 2 shown]
	v_lshlrev_b16 v40, 8, v40
	v_lshlrev_b16 v42, 8, v42
	;; [unrolled: 1-line block ×4, first 2 shown]
	s_mov_b32 s1, 0
	v_or_b32_e32 v39, v39, v40
	v_or_b32_e32 v40, v41, v42
	;; [unrolled: 1-line block ×3, first 2 shown]
	v_and_b32_e32 v41, 0xffff, v45
	s_and_not1_b32 vcc_lo, exec_lo, s13
	v_lshlrev_b32_e32 v42, 16, v39
	v_and_b32_e32 v44, 0xffff, v40
	v_lshlrev_b32_e32 v45, 16, v46
	s_mov_b32 s0, 0
	s_cbranch_vccnz .LBB1357_122
; %bb.114:
	s_waitcnt lgkmcnt(0)
	v_mul_lo_u32 v40, v38, s14
	v_mul_lo_u32 v46, v37, s15
	v_mad_u64_u32 v[38:39], null, v37, s14, 0
	s_mov_b32 s0, -1
	s_mov_b32 s24, exec_lo
	s_delay_alu instid0(VALU_DEP_1) | instskip(NEXT) | instid1(VALU_DEP_1)
	v_add3_u32 v39, v39, v46, v40
	v_lshlrev_b64 v[37:38], 1, v[38:39]
	s_delay_alu instid0(VALU_DEP_1) | instskip(NEXT) | instid1(VALU_DEP_2)
	v_add_co_u32 v37, vcc_lo, s20, v37
	v_add_co_ci_u32_e32 v38, vcc_lo, s21, v38, vcc_lo
	v_add_co_u32 v35, vcc_lo, s20, v35
	v_add_co_ci_u32_e32 v36, vcc_lo, s21, v36, vcc_lo
	s_clause 0x1
	global_load_u16 v39, v[37:38], off
	global_load_u16 v40, v[35:36], off
	s_waitcnt vmcnt(0)
	v_cmpx_eq_f16_e32 v39, v40
	s_cbranch_execz .LBB1357_121
; %bb.115:
	v_add_co_u32 v35, vcc_lo, v35, 2
	v_add_co_ci_u32_e32 v36, vcc_lo, 0, v36, vcc_lo
	v_add_co_u32 v37, vcc_lo, v37, 2
	v_add_co_ci_u32_e32 v38, vcc_lo, 0, v38, vcc_lo
	s_add_u32 s4, s14, -1
	s_addc_u32 s5, s15, -1
	s_mov_b64 s[6:7], 0
	s_mov_b32 s25, 0
                                        ; implicit-def: $sgpr26
	s_set_inst_prefetch_distance 0x1
	s_branch .LBB1357_118
	.p2align	6
.LBB1357_116:                           ;   in Loop: Header=BB1357_118 Depth=1
	global_load_u16 v39, v[37:38], off
	global_load_u16 v40, v[35:36], off
	v_add_co_u32 v35, vcc_lo, v35, 2
	v_add_co_ci_u32_e32 v36, vcc_lo, 0, v36, vcc_lo
	v_add_co_u32 v37, s0, v37, 2
	s_delay_alu instid0(VALU_DEP_1)
	v_add_co_ci_u32_e64 v38, s0, 0, v38, s0
	s_add_u32 s6, s6, 1
	s_addc_u32 s7, s7, 0
	s_and_not1_b32 s0, s26, exec_lo
	s_waitcnt vmcnt(0)
	v_cmp_neq_f16_e32 vcc_lo, v39, v40
	s_and_b32 s26, vcc_lo, exec_lo
	s_delay_alu instid0(SALU_CYCLE_1)
	s_or_b32 s26, s0, s26
.LBB1357_117:                           ;   in Loop: Header=BB1357_118 Depth=1
	v_dual_mov_b32 v40, s7 :: v_dual_mov_b32 v39, s6
	s_and_b32 s0, exec_lo, s26
	s_delay_alu instid0(SALU_CYCLE_1) | instskip(NEXT) | instid1(SALU_CYCLE_1)
	s_or_b32 s25, s0, s25
	s_and_not1_b32 exec_lo, exec_lo, s25
	s_cbranch_execz .LBB1357_120
.LBB1357_118:                           ; =>This Inner Loop Header: Depth=1
	s_or_b32 s26, s26, exec_lo
	s_cmp_eq_u64 s[4:5], s[6:7]
	s_cbranch_scc0 .LBB1357_116
; %bb.119:                              ;   in Loop: Header=BB1357_118 Depth=1
	s_mov_b64 s[6:7], s[14:15]
                                        ; implicit-def: $vgpr35_vgpr36
                                        ; implicit-def: $vgpr37_vgpr38
	s_branch .LBB1357_117
.LBB1357_120:
	s_set_inst_prefetch_distance 0x2
	s_or_b32 exec_lo, exec_lo, s25
	v_cmp_gt_i64_e32 vcc_lo, s[14:15], v[39:40]
	s_or_not1_b32 s0, vcc_lo, exec_lo
.LBB1357_121:
	s_or_b32 exec_lo, exec_lo, s24
.LBB1357_122:
	v_or_b32_e32 v35, v41, v42
	s_delay_alu instid0(VALU_DEP_2)
	v_or_b32_e32 v36, v44, v45
	s_and_b32 vcc_lo, exec_lo, s1
	s_cbranch_vccz .LBB1357_214
.LBB1357_123:
	v_or_b32_e32 v35, 7, v55
	s_mov_b32 s1, 0
	s_mov_b32 s24, 0
	s_mov_b32 s25, exec_lo
	s_delay_alu instid0(VALU_DEP_1)
	v_cmpx_gt_u32_e64 s31, v35
	s_cbranch_execz .LBB1357_134
; %bb.124:
	s_and_not1_b32 vcc_lo, exec_lo, s13
	s_mov_b32 s0, 0
	s_cbranch_vccnz .LBB1357_133
; %bb.125:
	v_mul_lo_u32 v39, v18, s14
	v_mul_lo_u32 v40, v17, s15
	v_mad_u64_u32 v[35:36], null, v17, s14, 0
	v_mul_lo_u32 v41, v20, s14
	v_mul_lo_u32 v42, v19, s15
	s_waitcnt lgkmcnt(0)
	v_mad_u64_u32 v[37:38], null, v19, s14, 0
	s_mov_b32 s0, -1
	s_mov_b32 s13, exec_lo
	s_delay_alu instid0(VALU_DEP_4) | instskip(NEXT) | instid1(VALU_DEP_2)
	v_add3_u32 v36, v36, v40, v39
	v_add3_u32 v38, v38, v42, v41
	s_delay_alu instid0(VALU_DEP_2) | instskip(NEXT) | instid1(VALU_DEP_2)
	v_lshlrev_b64 v[35:36], 1, v[35:36]
	v_lshlrev_b64 v[39:40], 1, v[37:38]
	s_delay_alu instid0(VALU_DEP_2) | instskip(NEXT) | instid1(VALU_DEP_3)
	v_add_co_u32 v37, vcc_lo, s20, v35
	v_add_co_ci_u32_e32 v38, vcc_lo, s21, v36, vcc_lo
	s_delay_alu instid0(VALU_DEP_3) | instskip(NEXT) | instid1(VALU_DEP_4)
	v_add_co_u32 v35, vcc_lo, s20, v39
	v_add_co_ci_u32_e32 v36, vcc_lo, s21, v40, vcc_lo
	s_clause 0x1
	global_load_u16 v39, v[37:38], off
	global_load_u16 v40, v[35:36], off
	s_waitcnt vmcnt(0)
	v_cmpx_eq_f16_e32 v39, v40
	s_cbranch_execz .LBB1357_132
; %bb.126:
	v_add_co_u32 v35, vcc_lo, v35, 2
	v_add_co_ci_u32_e32 v36, vcc_lo, 0, v36, vcc_lo
	v_add_co_u32 v37, vcc_lo, v37, 2
	v_add_co_ci_u32_e32 v38, vcc_lo, 0, v38, vcc_lo
	s_add_u32 s4, s14, -1
	s_addc_u32 s5, s15, -1
	s_mov_b64 s[6:7], 0
                                        ; implicit-def: $sgpr26
	s_set_inst_prefetch_distance 0x1
	s_branch .LBB1357_129
	.p2align	6
.LBB1357_127:                           ;   in Loop: Header=BB1357_129 Depth=1
	global_load_u16 v39, v[37:38], off
	global_load_u16 v40, v[35:36], off
	v_add_co_u32 v35, vcc_lo, v35, 2
	v_add_co_ci_u32_e32 v36, vcc_lo, 0, v36, vcc_lo
	v_add_co_u32 v37, s0, v37, 2
	s_delay_alu instid0(VALU_DEP_1)
	v_add_co_ci_u32_e64 v38, s0, 0, v38, s0
	s_add_u32 s6, s6, 1
	s_addc_u32 s7, s7, 0
	s_and_not1_b32 s0, s26, exec_lo
	s_waitcnt vmcnt(0)
	v_cmp_neq_f16_e32 vcc_lo, v39, v40
	s_and_b32 s26, vcc_lo, exec_lo
	s_delay_alu instid0(SALU_CYCLE_1)
	s_or_b32 s26, s0, s26
.LBB1357_128:                           ;   in Loop: Header=BB1357_129 Depth=1
	v_dual_mov_b32 v40, s7 :: v_dual_mov_b32 v39, s6
	s_and_b32 s0, exec_lo, s26
	s_delay_alu instid0(SALU_CYCLE_1) | instskip(NEXT) | instid1(SALU_CYCLE_1)
	s_or_b32 s24, s0, s24
	s_and_not1_b32 exec_lo, exec_lo, s24
	s_cbranch_execz .LBB1357_131
.LBB1357_129:                           ; =>This Inner Loop Header: Depth=1
	s_or_b32 s26, s26, exec_lo
	s_cmp_eq_u64 s[4:5], s[6:7]
	s_cbranch_scc0 .LBB1357_127
; %bb.130:                              ;   in Loop: Header=BB1357_129 Depth=1
	s_mov_b64 s[6:7], s[14:15]
                                        ; implicit-def: $vgpr35_vgpr36
                                        ; implicit-def: $vgpr37_vgpr38
	s_branch .LBB1357_128
.LBB1357_131:
	s_set_inst_prefetch_distance 0x2
	s_or_b32 exec_lo, exec_lo, s24
	v_cmp_gt_i64_e32 vcc_lo, s[14:15], v[39:40]
	s_or_not1_b32 s0, vcc_lo, exec_lo
.LBB1357_132:
	s_or_b32 exec_lo, exec_lo, s13
.LBB1357_133:
	s_delay_alu instid0(SALU_CYCLE_1)
	s_and_b32 s24, s0, exec_lo
.LBB1357_134:
	s_or_b32 exec_lo, exec_lo, s25
	v_or_b32_e32 v35, 6, v55
	s_mov_b32 s13, exec_lo
	s_delay_alu instid0(VALU_DEP_1)
	v_cmpx_gt_u32_e64 s31, v35
	s_cbranch_execz .LBB1357_145
; %bb.135:
	v_cmp_ne_u32_e32 vcc_lo, 1, v43
	s_mov_b32 s0, 0
	s_cbranch_vccnz .LBB1357_144
; %bb.136:
	v_mul_lo_u32 v39, v24, s14
	v_mul_lo_u32 v40, v23, s15
	v_mad_u64_u32 v[35:36], null, v23, s14, 0
	v_mul_lo_u32 v41, v18, s14
	v_mul_lo_u32 v42, v17, s15
	s_waitcnt lgkmcnt(0)
	v_mad_u64_u32 v[37:38], null, v17, s14, 0
	s_mov_b32 s0, -1
	s_mov_b32 s1, exec_lo
	s_delay_alu instid0(VALU_DEP_4) | instskip(NEXT) | instid1(VALU_DEP_2)
	v_add3_u32 v36, v36, v40, v39
	v_add3_u32 v38, v38, v42, v41
	s_delay_alu instid0(VALU_DEP_2) | instskip(NEXT) | instid1(VALU_DEP_2)
	v_lshlrev_b64 v[35:36], 1, v[35:36]
	v_lshlrev_b64 v[39:40], 1, v[37:38]
	s_delay_alu instid0(VALU_DEP_2) | instskip(NEXT) | instid1(VALU_DEP_3)
	v_add_co_u32 v37, vcc_lo, s20, v35
	v_add_co_ci_u32_e32 v38, vcc_lo, s21, v36, vcc_lo
	s_delay_alu instid0(VALU_DEP_3) | instskip(NEXT) | instid1(VALU_DEP_4)
	v_add_co_u32 v35, vcc_lo, s20, v39
	v_add_co_ci_u32_e32 v36, vcc_lo, s21, v40, vcc_lo
	s_clause 0x1
	global_load_u16 v39, v[37:38], off
	global_load_u16 v40, v[35:36], off
	s_waitcnt vmcnt(0)
	v_cmpx_eq_f16_e32 v39, v40
	s_cbranch_execz .LBB1357_143
; %bb.137:
	v_add_co_u32 v35, vcc_lo, v35, 2
	v_add_co_ci_u32_e32 v36, vcc_lo, 0, v36, vcc_lo
	v_add_co_u32 v37, vcc_lo, v37, 2
	v_add_co_ci_u32_e32 v38, vcc_lo, 0, v38, vcc_lo
	s_add_u32 s4, s14, -1
	s_addc_u32 s5, s15, -1
	s_mov_b64 s[6:7], 0
	s_mov_b32 s25, 0
                                        ; implicit-def: $sgpr26
	s_set_inst_prefetch_distance 0x1
	s_branch .LBB1357_140
	.p2align	6
.LBB1357_138:                           ;   in Loop: Header=BB1357_140 Depth=1
	global_load_u16 v39, v[37:38], off
	global_load_u16 v40, v[35:36], off
	v_add_co_u32 v35, vcc_lo, v35, 2
	v_add_co_ci_u32_e32 v36, vcc_lo, 0, v36, vcc_lo
	v_add_co_u32 v37, s0, v37, 2
	s_delay_alu instid0(VALU_DEP_1)
	v_add_co_ci_u32_e64 v38, s0, 0, v38, s0
	s_add_u32 s6, s6, 1
	s_addc_u32 s7, s7, 0
	s_and_not1_b32 s0, s26, exec_lo
	s_waitcnt vmcnt(0)
	v_cmp_neq_f16_e32 vcc_lo, v39, v40
	s_and_b32 s26, vcc_lo, exec_lo
	s_delay_alu instid0(SALU_CYCLE_1)
	s_or_b32 s26, s0, s26
.LBB1357_139:                           ;   in Loop: Header=BB1357_140 Depth=1
	v_dual_mov_b32 v40, s7 :: v_dual_mov_b32 v39, s6
	s_and_b32 s0, exec_lo, s26
	s_delay_alu instid0(SALU_CYCLE_1) | instskip(NEXT) | instid1(SALU_CYCLE_1)
	s_or_b32 s25, s0, s25
	s_and_not1_b32 exec_lo, exec_lo, s25
	s_cbranch_execz .LBB1357_142
.LBB1357_140:                           ; =>This Inner Loop Header: Depth=1
	s_or_b32 s26, s26, exec_lo
	s_cmp_eq_u64 s[4:5], s[6:7]
	s_cbranch_scc0 .LBB1357_138
; %bb.141:                              ;   in Loop: Header=BB1357_140 Depth=1
	s_mov_b64 s[6:7], s[14:15]
                                        ; implicit-def: $vgpr35_vgpr36
                                        ; implicit-def: $vgpr37_vgpr38
	s_branch .LBB1357_139
.LBB1357_142:
	s_set_inst_prefetch_distance 0x2
	s_or_b32 exec_lo, exec_lo, s25
	v_cmp_gt_i64_e32 vcc_lo, s[14:15], v[39:40]
	s_or_not1_b32 s0, vcc_lo, exec_lo
.LBB1357_143:
	s_or_b32 exec_lo, exec_lo, s1
.LBB1357_144:
	s_delay_alu instid0(SALU_CYCLE_1)
	s_and_b32 s1, s0, exec_lo
.LBB1357_145:
	s_or_b32 exec_lo, exec_lo, s13
	v_or_b32_e32 v35, 5, v55
	s_mov_b32 s25, 0
	s_mov_b32 s13, 0
	s_mov_b32 s26, exec_lo
	s_delay_alu instid0(VALU_DEP_1)
	v_cmpx_gt_u32_e64 s31, v35
	s_cbranch_execz .LBB1357_156
; %bb.146:
	v_cmp_ne_u32_e32 vcc_lo, 1, v43
	s_mov_b32 s0, 0
	s_cbranch_vccnz .LBB1357_155
; %bb.147:
	v_mul_lo_u32 v39, v22, s14
	v_mul_lo_u32 v40, v21, s15
	v_mad_u64_u32 v[35:36], null, v21, s14, 0
	v_mul_lo_u32 v41, v24, s14
	v_mul_lo_u32 v42, v23, s15
	s_waitcnt lgkmcnt(0)
	v_mad_u64_u32 v[37:38], null, v23, s14, 0
	s_mov_b32 s0, -1
	s_mov_b32 s13, exec_lo
	s_delay_alu instid0(VALU_DEP_4) | instskip(NEXT) | instid1(VALU_DEP_2)
	v_add3_u32 v36, v36, v40, v39
	v_add3_u32 v38, v38, v42, v41
	s_delay_alu instid0(VALU_DEP_2) | instskip(NEXT) | instid1(VALU_DEP_2)
	v_lshlrev_b64 v[35:36], 1, v[35:36]
	v_lshlrev_b64 v[39:40], 1, v[37:38]
	s_delay_alu instid0(VALU_DEP_2) | instskip(NEXT) | instid1(VALU_DEP_3)
	v_add_co_u32 v37, vcc_lo, s20, v35
	v_add_co_ci_u32_e32 v38, vcc_lo, s21, v36, vcc_lo
	s_delay_alu instid0(VALU_DEP_3) | instskip(NEXT) | instid1(VALU_DEP_4)
	v_add_co_u32 v35, vcc_lo, s20, v39
	v_add_co_ci_u32_e32 v36, vcc_lo, s21, v40, vcc_lo
	s_clause 0x1
	global_load_u16 v39, v[37:38], off
	global_load_u16 v40, v[35:36], off
	s_waitcnt vmcnt(0)
	v_cmpx_eq_f16_e32 v39, v40
	s_cbranch_execz .LBB1357_154
; %bb.148:
	v_add_co_u32 v35, vcc_lo, v35, 2
	v_add_co_ci_u32_e32 v36, vcc_lo, 0, v36, vcc_lo
	v_add_co_u32 v37, vcc_lo, v37, 2
	v_add_co_ci_u32_e32 v38, vcc_lo, 0, v38, vcc_lo
	s_add_u32 s4, s14, -1
	s_addc_u32 s5, s15, -1
	s_mov_b64 s[6:7], 0
	s_mov_b32 s27, 0
                                        ; implicit-def: $sgpr34
	s_set_inst_prefetch_distance 0x1
	s_branch .LBB1357_151
	.p2align	6
.LBB1357_149:                           ;   in Loop: Header=BB1357_151 Depth=1
	global_load_u16 v39, v[37:38], off
	global_load_u16 v40, v[35:36], off
	v_add_co_u32 v35, vcc_lo, v35, 2
	v_add_co_ci_u32_e32 v36, vcc_lo, 0, v36, vcc_lo
	v_add_co_u32 v37, s0, v37, 2
	s_delay_alu instid0(VALU_DEP_1)
	v_add_co_ci_u32_e64 v38, s0, 0, v38, s0
	s_add_u32 s6, s6, 1
	s_addc_u32 s7, s7, 0
	s_and_not1_b32 s0, s34, exec_lo
	s_waitcnt vmcnt(0)
	v_cmp_neq_f16_e32 vcc_lo, v39, v40
	s_and_b32 s34, vcc_lo, exec_lo
	s_delay_alu instid0(SALU_CYCLE_1)
	s_or_b32 s34, s0, s34
.LBB1357_150:                           ;   in Loop: Header=BB1357_151 Depth=1
	v_dual_mov_b32 v40, s7 :: v_dual_mov_b32 v39, s6
	s_and_b32 s0, exec_lo, s34
	s_delay_alu instid0(SALU_CYCLE_1) | instskip(NEXT) | instid1(SALU_CYCLE_1)
	s_or_b32 s27, s0, s27
	s_and_not1_b32 exec_lo, exec_lo, s27
	s_cbranch_execz .LBB1357_153
.LBB1357_151:                           ; =>This Inner Loop Header: Depth=1
	s_or_b32 s34, s34, exec_lo
	s_cmp_eq_u64 s[4:5], s[6:7]
	s_cbranch_scc0 .LBB1357_149
; %bb.152:                              ;   in Loop: Header=BB1357_151 Depth=1
	s_mov_b64 s[6:7], s[14:15]
                                        ; implicit-def: $vgpr35_vgpr36
                                        ; implicit-def: $vgpr37_vgpr38
	s_branch .LBB1357_150
.LBB1357_153:
	s_set_inst_prefetch_distance 0x2
	s_or_b32 exec_lo, exec_lo, s27
	v_cmp_gt_i64_e32 vcc_lo, s[14:15], v[39:40]
	s_or_not1_b32 s0, vcc_lo, exec_lo
.LBB1357_154:
	s_or_b32 exec_lo, exec_lo, s13
.LBB1357_155:
	s_delay_alu instid0(SALU_CYCLE_1)
	s_and_b32 s13, s0, exec_lo
.LBB1357_156:
	s_or_b32 exec_lo, exec_lo, s26
	v_or_b32_e32 v35, 4, v55
	s_mov_b32 s26, exec_lo
	s_delay_alu instid0(VALU_DEP_1)
	v_cmpx_gt_u32_e64 s31, v35
	s_cbranch_execz .LBB1357_167
; %bb.157:
	v_cmp_ne_u32_e32 vcc_lo, 1, v43
	s_mov_b32 s0, 0
	s_cbranch_vccnz .LBB1357_166
; %bb.158:
	v_mul_lo_u32 v39, v28, s14
	v_mul_lo_u32 v40, v27, s15
	v_mad_u64_u32 v[35:36], null, v27, s14, 0
	v_mul_lo_u32 v41, v22, s14
	v_mul_lo_u32 v42, v21, s15
	s_waitcnt lgkmcnt(0)
	v_mad_u64_u32 v[37:38], null, v21, s14, 0
	s_mov_b32 s0, -1
	s_mov_b32 s25, exec_lo
	s_delay_alu instid0(VALU_DEP_4) | instskip(NEXT) | instid1(VALU_DEP_2)
	v_add3_u32 v36, v36, v40, v39
	v_add3_u32 v38, v38, v42, v41
	s_delay_alu instid0(VALU_DEP_2) | instskip(NEXT) | instid1(VALU_DEP_2)
	v_lshlrev_b64 v[35:36], 1, v[35:36]
	v_lshlrev_b64 v[39:40], 1, v[37:38]
	s_delay_alu instid0(VALU_DEP_2) | instskip(NEXT) | instid1(VALU_DEP_3)
	v_add_co_u32 v37, vcc_lo, s20, v35
	v_add_co_ci_u32_e32 v38, vcc_lo, s21, v36, vcc_lo
	s_delay_alu instid0(VALU_DEP_3) | instskip(NEXT) | instid1(VALU_DEP_4)
	v_add_co_u32 v35, vcc_lo, s20, v39
	v_add_co_ci_u32_e32 v36, vcc_lo, s21, v40, vcc_lo
	s_clause 0x1
	global_load_u16 v39, v[37:38], off
	global_load_u16 v40, v[35:36], off
	s_waitcnt vmcnt(0)
	v_cmpx_eq_f16_e32 v39, v40
	s_cbranch_execz .LBB1357_165
; %bb.159:
	v_add_co_u32 v35, vcc_lo, v35, 2
	v_add_co_ci_u32_e32 v36, vcc_lo, 0, v36, vcc_lo
	v_add_co_u32 v37, vcc_lo, v37, 2
	v_add_co_ci_u32_e32 v38, vcc_lo, 0, v38, vcc_lo
	s_add_u32 s4, s14, -1
	s_addc_u32 s5, s15, -1
	s_mov_b64 s[6:7], 0
	s_mov_b32 s27, 0
                                        ; implicit-def: $sgpr34
	s_set_inst_prefetch_distance 0x1
	s_branch .LBB1357_162
	.p2align	6
.LBB1357_160:                           ;   in Loop: Header=BB1357_162 Depth=1
	global_load_u16 v39, v[37:38], off
	global_load_u16 v40, v[35:36], off
	v_add_co_u32 v35, vcc_lo, v35, 2
	v_add_co_ci_u32_e32 v36, vcc_lo, 0, v36, vcc_lo
	v_add_co_u32 v37, s0, v37, 2
	s_delay_alu instid0(VALU_DEP_1)
	v_add_co_ci_u32_e64 v38, s0, 0, v38, s0
	s_add_u32 s6, s6, 1
	s_addc_u32 s7, s7, 0
	s_and_not1_b32 s0, s34, exec_lo
	s_waitcnt vmcnt(0)
	v_cmp_neq_f16_e32 vcc_lo, v39, v40
	s_and_b32 s34, vcc_lo, exec_lo
	s_delay_alu instid0(SALU_CYCLE_1)
	s_or_b32 s34, s0, s34
.LBB1357_161:                           ;   in Loop: Header=BB1357_162 Depth=1
	v_dual_mov_b32 v40, s7 :: v_dual_mov_b32 v39, s6
	s_and_b32 s0, exec_lo, s34
	s_delay_alu instid0(SALU_CYCLE_1) | instskip(NEXT) | instid1(SALU_CYCLE_1)
	s_or_b32 s27, s0, s27
	s_and_not1_b32 exec_lo, exec_lo, s27
	s_cbranch_execz .LBB1357_164
.LBB1357_162:                           ; =>This Inner Loop Header: Depth=1
	s_or_b32 s34, s34, exec_lo
	s_cmp_eq_u64 s[4:5], s[6:7]
	s_cbranch_scc0 .LBB1357_160
; %bb.163:                              ;   in Loop: Header=BB1357_162 Depth=1
	s_mov_b64 s[6:7], s[14:15]
                                        ; implicit-def: $vgpr35_vgpr36
                                        ; implicit-def: $vgpr37_vgpr38
	s_branch .LBB1357_161
.LBB1357_164:
	s_set_inst_prefetch_distance 0x2
	s_or_b32 exec_lo, exec_lo, s27
	v_cmp_gt_i64_e32 vcc_lo, s[14:15], v[39:40]
	s_or_not1_b32 s0, vcc_lo, exec_lo
.LBB1357_165:
	s_or_b32 exec_lo, exec_lo, s25
.LBB1357_166:
	s_delay_alu instid0(SALU_CYCLE_1)
	s_and_b32 s25, s0, exec_lo
.LBB1357_167:
	s_or_b32 exec_lo, exec_lo, s26
	v_or_b32_e32 v35, 3, v55
	s_mov_b32 s27, 0
	s_mov_b32 s26, 0
	s_mov_b32 s34, exec_lo
	s_delay_alu instid0(VALU_DEP_1)
	v_cmpx_gt_u32_e64 s31, v35
	s_cbranch_execz .LBB1357_178
; %bb.168:
	v_cmp_ne_u32_e32 vcc_lo, 1, v43
	s_mov_b32 s0, 0
	s_cbranch_vccnz .LBB1357_177
; %bb.169:
	v_mul_lo_u32 v39, v26, s14
	v_mul_lo_u32 v40, v25, s15
	v_mad_u64_u32 v[35:36], null, v25, s14, 0
	v_mul_lo_u32 v41, v28, s14
	v_mul_lo_u32 v42, v27, s15
	s_waitcnt lgkmcnt(0)
	v_mad_u64_u32 v[37:38], null, v27, s14, 0
	s_mov_b32 s0, -1
	s_mov_b32 s26, exec_lo
	s_delay_alu instid0(VALU_DEP_4) | instskip(NEXT) | instid1(VALU_DEP_2)
	v_add3_u32 v36, v36, v40, v39
	v_add3_u32 v38, v38, v42, v41
	s_delay_alu instid0(VALU_DEP_2) | instskip(NEXT) | instid1(VALU_DEP_2)
	v_lshlrev_b64 v[35:36], 1, v[35:36]
	v_lshlrev_b64 v[39:40], 1, v[37:38]
	s_delay_alu instid0(VALU_DEP_2) | instskip(NEXT) | instid1(VALU_DEP_3)
	v_add_co_u32 v37, vcc_lo, s20, v35
	v_add_co_ci_u32_e32 v38, vcc_lo, s21, v36, vcc_lo
	s_delay_alu instid0(VALU_DEP_3) | instskip(NEXT) | instid1(VALU_DEP_4)
	v_add_co_u32 v35, vcc_lo, s20, v39
	v_add_co_ci_u32_e32 v36, vcc_lo, s21, v40, vcc_lo
	s_clause 0x1
	global_load_u16 v39, v[37:38], off
	global_load_u16 v40, v[35:36], off
	s_waitcnt vmcnt(0)
	v_cmpx_eq_f16_e32 v39, v40
	s_cbranch_execz .LBB1357_176
; %bb.170:
	v_add_co_u32 v35, vcc_lo, v35, 2
	v_add_co_ci_u32_e32 v36, vcc_lo, 0, v36, vcc_lo
	v_add_co_u32 v37, vcc_lo, v37, 2
	v_add_co_ci_u32_e32 v38, vcc_lo, 0, v38, vcc_lo
	s_add_u32 s4, s14, -1
	s_addc_u32 s5, s15, -1
	s_mov_b64 s[6:7], 0
	s_mov_b32 s35, 0
                                        ; implicit-def: $sgpr36
	s_set_inst_prefetch_distance 0x1
	s_branch .LBB1357_173
	.p2align	6
.LBB1357_171:                           ;   in Loop: Header=BB1357_173 Depth=1
	global_load_u16 v39, v[37:38], off
	global_load_u16 v40, v[35:36], off
	v_add_co_u32 v35, vcc_lo, v35, 2
	v_add_co_ci_u32_e32 v36, vcc_lo, 0, v36, vcc_lo
	v_add_co_u32 v37, s0, v37, 2
	s_delay_alu instid0(VALU_DEP_1)
	v_add_co_ci_u32_e64 v38, s0, 0, v38, s0
	s_add_u32 s6, s6, 1
	s_addc_u32 s7, s7, 0
	s_and_not1_b32 s0, s36, exec_lo
	s_waitcnt vmcnt(0)
	v_cmp_neq_f16_e32 vcc_lo, v39, v40
	s_and_b32 s36, vcc_lo, exec_lo
	s_delay_alu instid0(SALU_CYCLE_1)
	s_or_b32 s36, s0, s36
.LBB1357_172:                           ;   in Loop: Header=BB1357_173 Depth=1
	v_dual_mov_b32 v40, s7 :: v_dual_mov_b32 v39, s6
	s_and_b32 s0, exec_lo, s36
	s_delay_alu instid0(SALU_CYCLE_1) | instskip(NEXT) | instid1(SALU_CYCLE_1)
	s_or_b32 s35, s0, s35
	s_and_not1_b32 exec_lo, exec_lo, s35
	s_cbranch_execz .LBB1357_175
.LBB1357_173:                           ; =>This Inner Loop Header: Depth=1
	s_or_b32 s36, s36, exec_lo
	s_cmp_eq_u64 s[4:5], s[6:7]
	s_cbranch_scc0 .LBB1357_171
; %bb.174:                              ;   in Loop: Header=BB1357_173 Depth=1
	s_mov_b64 s[6:7], s[14:15]
                                        ; implicit-def: $vgpr35_vgpr36
                                        ; implicit-def: $vgpr37_vgpr38
	s_branch .LBB1357_172
.LBB1357_175:
	s_set_inst_prefetch_distance 0x2
	s_or_b32 exec_lo, exec_lo, s35
	v_cmp_gt_i64_e32 vcc_lo, s[14:15], v[39:40]
	s_or_not1_b32 s0, vcc_lo, exec_lo
.LBB1357_176:
	s_or_b32 exec_lo, exec_lo, s26
.LBB1357_177:
	s_delay_alu instid0(SALU_CYCLE_1)
	s_and_b32 s26, s0, exec_lo
.LBB1357_178:
	s_or_b32 exec_lo, exec_lo, s34
	v_or_b32_e32 v35, 2, v55
	s_mov_b32 s34, exec_lo
	s_delay_alu instid0(VALU_DEP_1)
	v_cmpx_gt_u32_e64 s31, v35
	s_cbranch_execz .LBB1357_189
; %bb.179:
	v_cmp_ne_u32_e32 vcc_lo, 1, v43
	s_mov_b32 s0, 0
	s_cbranch_vccnz .LBB1357_188
; %bb.180:
	v_mul_lo_u32 v39, v32, s14
	v_mul_lo_u32 v40, v31, s15
	v_mad_u64_u32 v[35:36], null, v31, s14, 0
	v_mul_lo_u32 v41, v26, s14
	v_mul_lo_u32 v42, v25, s15
	s_waitcnt lgkmcnt(0)
	v_mad_u64_u32 v[37:38], null, v25, s14, 0
	s_mov_b32 s0, -1
	s_mov_b32 s27, exec_lo
	s_delay_alu instid0(VALU_DEP_4) | instskip(NEXT) | instid1(VALU_DEP_2)
	v_add3_u32 v36, v36, v40, v39
	v_add3_u32 v38, v38, v42, v41
	s_delay_alu instid0(VALU_DEP_2) | instskip(NEXT) | instid1(VALU_DEP_2)
	v_lshlrev_b64 v[35:36], 1, v[35:36]
	v_lshlrev_b64 v[39:40], 1, v[37:38]
	s_delay_alu instid0(VALU_DEP_2) | instskip(NEXT) | instid1(VALU_DEP_3)
	v_add_co_u32 v37, vcc_lo, s20, v35
	v_add_co_ci_u32_e32 v38, vcc_lo, s21, v36, vcc_lo
	s_delay_alu instid0(VALU_DEP_3) | instskip(NEXT) | instid1(VALU_DEP_4)
	v_add_co_u32 v35, vcc_lo, s20, v39
	v_add_co_ci_u32_e32 v36, vcc_lo, s21, v40, vcc_lo
	s_clause 0x1
	global_load_u16 v39, v[37:38], off
	global_load_u16 v40, v[35:36], off
	s_waitcnt vmcnt(0)
	v_cmpx_eq_f16_e32 v39, v40
	s_cbranch_execz .LBB1357_187
; %bb.181:
	v_add_co_u32 v35, vcc_lo, v35, 2
	v_add_co_ci_u32_e32 v36, vcc_lo, 0, v36, vcc_lo
	v_add_co_u32 v37, vcc_lo, v37, 2
	v_add_co_ci_u32_e32 v38, vcc_lo, 0, v38, vcc_lo
	s_add_u32 s4, s14, -1
	s_addc_u32 s5, s15, -1
	s_mov_b64 s[6:7], 0
	s_mov_b32 s35, 0
                                        ; implicit-def: $sgpr36
	s_set_inst_prefetch_distance 0x1
	s_branch .LBB1357_184
	.p2align	6
.LBB1357_182:                           ;   in Loop: Header=BB1357_184 Depth=1
	global_load_u16 v39, v[37:38], off
	global_load_u16 v40, v[35:36], off
	v_add_co_u32 v35, vcc_lo, v35, 2
	v_add_co_ci_u32_e32 v36, vcc_lo, 0, v36, vcc_lo
	v_add_co_u32 v37, s0, v37, 2
	s_delay_alu instid0(VALU_DEP_1)
	v_add_co_ci_u32_e64 v38, s0, 0, v38, s0
	s_add_u32 s6, s6, 1
	s_addc_u32 s7, s7, 0
	s_and_not1_b32 s0, s36, exec_lo
	s_waitcnt vmcnt(0)
	v_cmp_neq_f16_e32 vcc_lo, v39, v40
	s_and_b32 s36, vcc_lo, exec_lo
	s_delay_alu instid0(SALU_CYCLE_1)
	s_or_b32 s36, s0, s36
.LBB1357_183:                           ;   in Loop: Header=BB1357_184 Depth=1
	v_dual_mov_b32 v40, s7 :: v_dual_mov_b32 v39, s6
	s_and_b32 s0, exec_lo, s36
	s_delay_alu instid0(SALU_CYCLE_1) | instskip(NEXT) | instid1(SALU_CYCLE_1)
	s_or_b32 s35, s0, s35
	s_and_not1_b32 exec_lo, exec_lo, s35
	s_cbranch_execz .LBB1357_186
.LBB1357_184:                           ; =>This Inner Loop Header: Depth=1
	s_or_b32 s36, s36, exec_lo
	s_cmp_eq_u64 s[4:5], s[6:7]
	s_cbranch_scc0 .LBB1357_182
; %bb.185:                              ;   in Loop: Header=BB1357_184 Depth=1
	s_mov_b64 s[6:7], s[14:15]
                                        ; implicit-def: $vgpr35_vgpr36
                                        ; implicit-def: $vgpr37_vgpr38
	s_branch .LBB1357_183
.LBB1357_186:
	s_set_inst_prefetch_distance 0x2
	s_or_b32 exec_lo, exec_lo, s35
	v_cmp_gt_i64_e32 vcc_lo, s[14:15], v[39:40]
	s_or_not1_b32 s0, vcc_lo, exec_lo
.LBB1357_187:
	s_or_b32 exec_lo, exec_lo, s27
.LBB1357_188:
	s_delay_alu instid0(SALU_CYCLE_1)
	s_and_b32 s27, s0, exec_lo
.LBB1357_189:
	s_or_b32 exec_lo, exec_lo, s34
	v_or_b32_e32 v35, 1, v55
	s_mov_b32 s0, 0
	s_mov_b32 s34, exec_lo
	s_delay_alu instid0(VALU_DEP_1)
	v_cmpx_gt_u32_e64 s31, v35
	s_cbranch_execz .LBB1357_200
; %bb.190:
	v_cmp_ne_u32_e32 vcc_lo, 1, v43
	s_cbranch_vccnz .LBB1357_199
; %bb.191:
	v_mul_lo_u32 v39, v30, s14
	v_mul_lo_u32 v40, v29, s15
	v_mad_u64_u32 v[35:36], null, v29, s14, 0
	v_mul_lo_u32 v41, v32, s14
	v_mul_lo_u32 v42, v31, s15
	s_waitcnt lgkmcnt(0)
	v_mad_u64_u32 v[37:38], null, v31, s14, 0
	s_mov_b32 s0, -1
	s_mov_b32 s35, exec_lo
	s_delay_alu instid0(VALU_DEP_4) | instskip(NEXT) | instid1(VALU_DEP_2)
	v_add3_u32 v36, v36, v40, v39
	v_add3_u32 v38, v38, v42, v41
	s_delay_alu instid0(VALU_DEP_2) | instskip(NEXT) | instid1(VALU_DEP_2)
	v_lshlrev_b64 v[35:36], 1, v[35:36]
	v_lshlrev_b64 v[39:40], 1, v[37:38]
	s_delay_alu instid0(VALU_DEP_2) | instskip(NEXT) | instid1(VALU_DEP_3)
	v_add_co_u32 v37, vcc_lo, s20, v35
	v_add_co_ci_u32_e32 v38, vcc_lo, s21, v36, vcc_lo
	s_delay_alu instid0(VALU_DEP_3) | instskip(NEXT) | instid1(VALU_DEP_4)
	v_add_co_u32 v35, vcc_lo, s20, v39
	v_add_co_ci_u32_e32 v36, vcc_lo, s21, v40, vcc_lo
	s_clause 0x1
	global_load_u16 v39, v[37:38], off
	global_load_u16 v40, v[35:36], off
	s_waitcnt vmcnt(0)
	v_cmpx_eq_f16_e32 v39, v40
	s_cbranch_execz .LBB1357_198
; %bb.192:
	v_add_co_u32 v35, vcc_lo, v35, 2
	v_add_co_ci_u32_e32 v36, vcc_lo, 0, v36, vcc_lo
	v_add_co_u32 v37, vcc_lo, v37, 2
	v_add_co_ci_u32_e32 v38, vcc_lo, 0, v38, vcc_lo
	s_add_u32 s4, s14, -1
	s_addc_u32 s5, s15, -1
	s_mov_b64 s[6:7], 0
	s_mov_b32 s36, 0
                                        ; implicit-def: $sgpr37
	s_set_inst_prefetch_distance 0x1
	s_branch .LBB1357_195
	.p2align	6
.LBB1357_193:                           ;   in Loop: Header=BB1357_195 Depth=1
	global_load_u16 v39, v[37:38], off
	global_load_u16 v40, v[35:36], off
	v_add_co_u32 v35, vcc_lo, v35, 2
	v_add_co_ci_u32_e32 v36, vcc_lo, 0, v36, vcc_lo
	v_add_co_u32 v37, s0, v37, 2
	s_delay_alu instid0(VALU_DEP_1)
	v_add_co_ci_u32_e64 v38, s0, 0, v38, s0
	s_add_u32 s6, s6, 1
	s_addc_u32 s7, s7, 0
	s_and_not1_b32 s0, s37, exec_lo
	s_waitcnt vmcnt(0)
	v_cmp_neq_f16_e32 vcc_lo, v39, v40
	s_and_b32 s37, vcc_lo, exec_lo
	s_delay_alu instid0(SALU_CYCLE_1)
	s_or_b32 s37, s0, s37
.LBB1357_194:                           ;   in Loop: Header=BB1357_195 Depth=1
	v_dual_mov_b32 v40, s7 :: v_dual_mov_b32 v39, s6
	s_and_b32 s0, exec_lo, s37
	s_delay_alu instid0(SALU_CYCLE_1) | instskip(NEXT) | instid1(SALU_CYCLE_1)
	s_or_b32 s36, s0, s36
	s_and_not1_b32 exec_lo, exec_lo, s36
	s_cbranch_execz .LBB1357_197
.LBB1357_195:                           ; =>This Inner Loop Header: Depth=1
	s_or_b32 s37, s37, exec_lo
	s_cmp_eq_u64 s[4:5], s[6:7]
	s_cbranch_scc0 .LBB1357_193
; %bb.196:                              ;   in Loop: Header=BB1357_195 Depth=1
	s_mov_b64 s[6:7], s[14:15]
                                        ; implicit-def: $vgpr35_vgpr36
                                        ; implicit-def: $vgpr37_vgpr38
	s_branch .LBB1357_194
.LBB1357_197:
	s_set_inst_prefetch_distance 0x2
	s_or_b32 exec_lo, exec_lo, s36
	v_cmp_gt_i64_e32 vcc_lo, s[14:15], v[39:40]
	s_or_not1_b32 s0, vcc_lo, exec_lo
.LBB1357_198:
	s_or_b32 exec_lo, exec_lo, s35
.LBB1357_199:
	s_delay_alu instid0(SALU_CYCLE_1)
	s_and_b32 s0, s0, exec_lo
.LBB1357_200:
	s_or_b32 exec_lo, exec_lo, s34
	s_waitcnt vmcnt(0) lgkmcnt(0)
	s_barrier
	buffer_gl0_inv
	s_and_saveexec_b32 s4, s3
	s_cbranch_execz .LBB1357_202
; %bb.201:
	v_add_nc_u32_e32 v33, -8, v55
	ds_load_b64 v[33:34], v33
.LBB1357_202:
	s_or_b32 exec_lo, exec_lo, s4
	v_cndmask_b32_e64 v36, 0, 1, s26
	v_cndmask_b32_e64 v38, 0, 1, s13
	;; [unrolled: 1-line block ×7, first 2 shown]
	v_lshlrev_b16 v36, 8, v36
	v_lshlrev_b16 v38, 8, v38
	;; [unrolled: 1-line block ×3, first 2 shown]
	s_mov_b32 s0, 0
	v_lshlrev_b16 v41, 8, v41
	v_or_b32_e32 v35, v35, v36
	v_or_b32_e32 v36, v37, v38
	;; [unrolled: 1-line block ×3, first 2 shown]
	s_mov_b32 s1, exec_lo
	v_and_b32_e32 v39, 0xffff, v41
	v_lshlrev_b32_e32 v40, 16, v35
	v_and_b32_e32 v41, 0xffff, v36
	v_lshlrev_b32_e32 v42, 16, v37
	v_cmpx_gt_u32_e64 s31, v55
	s_cbranch_execz .LBB1357_213
; %bb.203:
	v_cmp_ne_u32_e32 vcc_lo, 1, v43
	s_cbranch_vccnz .LBB1357_212
; %bb.204:
	s_waitcnt lgkmcnt(0)
	v_mul_lo_u32 v38, v34, s14
	v_mul_lo_u32 v43, v33, s15
	v_mad_u64_u32 v[34:35], null, v33, s14, 0
	v_mul_lo_u32 v33, v30, s14
	v_mul_lo_u32 v44, v29, s15
	v_mad_u64_u32 v[36:37], null, v29, s14, 0
	s_mov_b32 s0, -1
	s_mov_b32 s13, exec_lo
	s_delay_alu instid0(VALU_DEP_4) | instskip(NEXT) | instid1(VALU_DEP_2)
	v_add3_u32 v35, v35, v43, v38
	v_add3_u32 v37, v37, v44, v33
	s_delay_alu instid0(VALU_DEP_2) | instskip(NEXT) | instid1(VALU_DEP_2)
	v_lshlrev_b64 v[33:34], 1, v[34:35]
	v_lshlrev_b64 v[37:38], 1, v[36:37]
	s_delay_alu instid0(VALU_DEP_2) | instskip(NEXT) | instid1(VALU_DEP_3)
	v_add_co_u32 v35, vcc_lo, s20, v33
	v_add_co_ci_u32_e32 v36, vcc_lo, s21, v34, vcc_lo
	s_delay_alu instid0(VALU_DEP_3) | instskip(NEXT) | instid1(VALU_DEP_4)
	v_add_co_u32 v33, vcc_lo, s20, v37
	v_add_co_ci_u32_e32 v34, vcc_lo, s21, v38, vcc_lo
	s_clause 0x1
	global_load_u16 v37, v[35:36], off
	global_load_u16 v38, v[33:34], off
	s_waitcnt vmcnt(0)
	v_cmpx_eq_f16_e32 v37, v38
	s_cbranch_execz .LBB1357_211
; %bb.205:
	v_add_co_u32 v33, vcc_lo, v33, 2
	v_add_co_ci_u32_e32 v34, vcc_lo, 0, v34, vcc_lo
	v_add_co_u32 v35, vcc_lo, v35, 2
	v_add_co_ci_u32_e32 v36, vcc_lo, 0, v36, vcc_lo
	s_add_u32 s4, s14, -1
	s_addc_u32 s5, s15, -1
	s_mov_b64 s[6:7], 0
	s_mov_b32 s24, 0
                                        ; implicit-def: $sgpr25
	s_set_inst_prefetch_distance 0x1
	s_branch .LBB1357_208
	.p2align	6
.LBB1357_206:                           ;   in Loop: Header=BB1357_208 Depth=1
	global_load_u16 v37, v[35:36], off
	global_load_u16 v38, v[33:34], off
	v_add_co_u32 v33, vcc_lo, v33, 2
	v_add_co_ci_u32_e32 v34, vcc_lo, 0, v34, vcc_lo
	v_add_co_u32 v35, s0, v35, 2
	s_delay_alu instid0(VALU_DEP_1)
	v_add_co_ci_u32_e64 v36, s0, 0, v36, s0
	s_add_u32 s6, s6, 1
	s_addc_u32 s7, s7, 0
	s_and_not1_b32 s0, s25, exec_lo
	s_waitcnt vmcnt(0)
	v_cmp_neq_f16_e32 vcc_lo, v37, v38
	s_and_b32 s25, vcc_lo, exec_lo
	s_delay_alu instid0(SALU_CYCLE_1)
	s_or_b32 s25, s0, s25
.LBB1357_207:                           ;   in Loop: Header=BB1357_208 Depth=1
	v_dual_mov_b32 v38, s7 :: v_dual_mov_b32 v37, s6
	s_and_b32 s0, exec_lo, s25
	s_delay_alu instid0(SALU_CYCLE_1) | instskip(NEXT) | instid1(SALU_CYCLE_1)
	s_or_b32 s24, s0, s24
	s_and_not1_b32 exec_lo, exec_lo, s24
	s_cbranch_execz .LBB1357_210
.LBB1357_208:                           ; =>This Inner Loop Header: Depth=1
	s_or_b32 s25, s25, exec_lo
	s_cmp_eq_u64 s[4:5], s[6:7]
	s_cbranch_scc0 .LBB1357_206
; %bb.209:                              ;   in Loop: Header=BB1357_208 Depth=1
	s_mov_b64 s[6:7], s[14:15]
                                        ; implicit-def: $vgpr33_vgpr34
                                        ; implicit-def: $vgpr35_vgpr36
	s_branch .LBB1357_207
.LBB1357_210:
	s_set_inst_prefetch_distance 0x2
	s_or_b32 exec_lo, exec_lo, s24
	v_cmp_gt_i64_e32 vcc_lo, s[14:15], v[37:38]
	s_or_not1_b32 s0, vcc_lo, exec_lo
.LBB1357_211:
	s_or_b32 exec_lo, exec_lo, s13
.LBB1357_212:
	s_delay_alu instid0(SALU_CYCLE_1)
	s_and_b32 s0, s0, exec_lo
.LBB1357_213:
	s_or_b32 exec_lo, exec_lo, s1
	v_or_b32_e32 v35, v39, v40
	v_or_b32_e32 v36, v41, v42
.LBB1357_214:
	s_mov_b32 s1, -1
	s_cbranch_execnz .LBB1357_383
.LBB1357_215:
	v_cmp_gt_i64_e64 s13, s[14:15], 0
	s_and_b32 vcc_lo, exec_lo, s29
	ds_store_b64 v55, v[19:20]
	s_cbranch_vccz .LBB1357_223
; %bb.216:
	v_mul_lo_u32 v35, v18, s14
	v_mul_lo_u32 v36, v17, s15
	s_waitcnt vmcnt(0) lgkmcnt(1)
	v_mad_u64_u32 v[33:34], null, v17, s14, 0
	s_mov_b32 s24, 0
	s_and_not1_b32 vcc_lo, exec_lo, s13
	s_mov_b32 s25, 0
	s_delay_alu instid0(VALU_DEP_1) | instskip(NEXT) | instid1(VALU_DEP_1)
	v_add3_u32 v34, v34, v36, v35
	v_lshlrev_b64 v[33:34], 1, v[33:34]
	s_cbranch_vccnz .LBB1357_226
; %bb.217:
	v_mul_lo_u32 v37, v20, s14
	v_mul_lo_u32 v38, v19, s15
	v_mad_u64_u32 v[35:36], null, v19, s14, 0
	s_mov_b32 s25, -1
	s_mov_b32 s26, exec_lo
	s_delay_alu instid0(VALU_DEP_1) | instskip(SKIP_2) | instid1(VALU_DEP_3)
	v_add3_u32 v36, v36, v38, v37
	v_add_co_u32 v37, vcc_lo, s20, v33
	v_add_co_ci_u32_e32 v38, vcc_lo, s21, v34, vcc_lo
	v_lshlrev_b64 v[35:36], 1, v[35:36]
	s_delay_alu instid0(VALU_DEP_1) | instskip(NEXT) | instid1(VALU_DEP_2)
	v_add_co_u32 v35, vcc_lo, s20, v35
	v_add_co_ci_u32_e32 v36, vcc_lo, s21, v36, vcc_lo
	s_clause 0x1
	global_load_u16 v39, v[37:38], off
	global_load_u16 v40, v[35:36], off
	s_waitcnt vmcnt(0)
	v_cmpx_eq_f16_e32 v39, v40
	s_cbranch_execz .LBB1357_225
; %bb.218:
	v_add_co_u32 v35, vcc_lo, v35, 2
	v_add_co_ci_u32_e32 v36, vcc_lo, 0, v36, vcc_lo
	v_add_co_u32 v37, vcc_lo, v37, 2
	v_add_co_ci_u32_e32 v38, vcc_lo, 0, v38, vcc_lo
	s_add_u32 s4, s14, -1
	s_addc_u32 s5, s15, -1
	s_mov_b64 s[6:7], 0
	s_mov_b32 s25, 0
                                        ; implicit-def: $sgpr27
	s_set_inst_prefetch_distance 0x1
	s_branch .LBB1357_221
	.p2align	6
.LBB1357_219:                           ;   in Loop: Header=BB1357_221 Depth=1
	global_load_u16 v39, v[37:38], off
	global_load_u16 v40, v[35:36], off
	v_add_co_u32 v35, vcc_lo, v35, 2
	v_add_co_ci_u32_e32 v36, vcc_lo, 0, v36, vcc_lo
	v_add_co_u32 v37, s0, v37, 2
	s_delay_alu instid0(VALU_DEP_1)
	v_add_co_ci_u32_e64 v38, s0, 0, v38, s0
	s_add_u32 s6, s6, 1
	s_addc_u32 s7, s7, 0
	s_and_not1_b32 s0, s27, exec_lo
	s_waitcnt vmcnt(0)
	v_cmp_neq_f16_e32 vcc_lo, v39, v40
	s_and_b32 s27, vcc_lo, exec_lo
	s_delay_alu instid0(SALU_CYCLE_1)
	s_or_b32 s27, s0, s27
.LBB1357_220:                           ;   in Loop: Header=BB1357_221 Depth=1
	v_dual_mov_b32 v40, s7 :: v_dual_mov_b32 v39, s6
	s_and_b32 s0, exec_lo, s27
	s_delay_alu instid0(SALU_CYCLE_1) | instskip(NEXT) | instid1(SALU_CYCLE_1)
	s_or_b32 s25, s0, s25
	s_and_not1_b32 exec_lo, exec_lo, s25
	s_cbranch_execz .LBB1357_224
.LBB1357_221:                           ; =>This Inner Loop Header: Depth=1
	s_or_b32 s27, s27, exec_lo
	s_cmp_eq_u64 s[4:5], s[6:7]
	s_cbranch_scc0 .LBB1357_219
; %bb.222:                              ;   in Loop: Header=BB1357_221 Depth=1
	s_mov_b64 s[6:7], s[14:15]
                                        ; implicit-def: $vgpr35_vgpr36
                                        ; implicit-def: $vgpr37_vgpr38
	s_branch .LBB1357_220
.LBB1357_223:
                                        ; implicit-def: $sgpr0
                                        ; implicit-def: $vgpr36
	s_cbranch_execnz .LBB1357_292
	s_branch .LBB1357_383
.LBB1357_224:
	s_set_inst_prefetch_distance 0x2
	s_or_b32 exec_lo, exec_lo, s25
	v_cmp_gt_i64_e32 vcc_lo, s[14:15], v[39:40]
	s_or_not1_b32 s25, vcc_lo, exec_lo
.LBB1357_225:
	s_or_b32 exec_lo, exec_lo, s26
.LBB1357_226:
	v_mul_lo_u32 v37, v24, s14
	v_mul_lo_u32 v38, v23, s15
	v_mad_u64_u32 v[35:36], null, v23, s14, 0
	s_and_not1_b32 vcc_lo, exec_lo, s13
	s_delay_alu instid0(VALU_DEP_1) | instskip(NEXT) | instid1(VALU_DEP_1)
	v_add3_u32 v36, v36, v38, v37
	v_lshlrev_b64 v[35:36], 1, v[35:36]
	s_cbranch_vccnz .LBB1357_235
; %bb.227:
	s_delay_alu instid0(VALU_DEP_1) | instskip(NEXT) | instid1(VALU_DEP_2)
	v_add_co_u32 v37, vcc_lo, s20, v35
	v_add_co_ci_u32_e32 v38, vcc_lo, s21, v36, vcc_lo
	v_add_co_u32 v33, vcc_lo, s20, v33
	v_add_co_ci_u32_e32 v34, vcc_lo, s21, v34, vcc_lo
	s_mov_b32 s24, -1
	s_clause 0x1
	global_load_u16 v39, v[37:38], off
	global_load_u16 v40, v[33:34], off
	s_mov_b32 s26, exec_lo
	s_waitcnt vmcnt(0)
	v_cmpx_eq_f16_e32 v39, v40
	s_cbranch_execz .LBB1357_234
; %bb.228:
	v_add_co_u32 v33, vcc_lo, v33, 2
	v_add_co_ci_u32_e32 v34, vcc_lo, 0, v34, vcc_lo
	v_add_co_u32 v37, vcc_lo, v37, 2
	v_add_co_ci_u32_e32 v38, vcc_lo, 0, v38, vcc_lo
	s_add_u32 s4, s14, -1
	s_addc_u32 s5, s15, -1
	s_mov_b64 s[6:7], 0
	s_mov_b32 s24, 0
                                        ; implicit-def: $sgpr27
	s_set_inst_prefetch_distance 0x1
	s_branch .LBB1357_231
	.p2align	6
.LBB1357_229:                           ;   in Loop: Header=BB1357_231 Depth=1
	global_load_u16 v39, v[37:38], off
	global_load_u16 v40, v[33:34], off
	v_add_co_u32 v33, vcc_lo, v33, 2
	v_add_co_ci_u32_e32 v34, vcc_lo, 0, v34, vcc_lo
	v_add_co_u32 v37, s0, v37, 2
	s_delay_alu instid0(VALU_DEP_1)
	v_add_co_ci_u32_e64 v38, s0, 0, v38, s0
	s_add_u32 s6, s6, 1
	s_addc_u32 s7, s7, 0
	s_and_not1_b32 s0, s27, exec_lo
	s_waitcnt vmcnt(0)
	v_cmp_neq_f16_e32 vcc_lo, v39, v40
	s_and_b32 s27, vcc_lo, exec_lo
	s_delay_alu instid0(SALU_CYCLE_1)
	s_or_b32 s27, s0, s27
.LBB1357_230:                           ;   in Loop: Header=BB1357_231 Depth=1
	v_dual_mov_b32 v40, s7 :: v_dual_mov_b32 v39, s6
	s_and_b32 s0, exec_lo, s27
	s_delay_alu instid0(SALU_CYCLE_1) | instskip(NEXT) | instid1(SALU_CYCLE_1)
	s_or_b32 s24, s0, s24
	s_and_not1_b32 exec_lo, exec_lo, s24
	s_cbranch_execz .LBB1357_233
.LBB1357_231:                           ; =>This Inner Loop Header: Depth=1
	s_or_b32 s27, s27, exec_lo
	s_cmp_eq_u64 s[4:5], s[6:7]
	s_cbranch_scc0 .LBB1357_229
; %bb.232:                              ;   in Loop: Header=BB1357_231 Depth=1
	s_mov_b64 s[6:7], s[14:15]
                                        ; implicit-def: $vgpr33_vgpr34
                                        ; implicit-def: $vgpr37_vgpr38
	s_branch .LBB1357_230
.LBB1357_233:
	s_set_inst_prefetch_distance 0x2
	s_or_b32 exec_lo, exec_lo, s24
	v_cmp_gt_i64_e32 vcc_lo, s[14:15], v[39:40]
	s_or_not1_b32 s24, vcc_lo, exec_lo
.LBB1357_234:
	s_or_b32 exec_lo, exec_lo, s26
.LBB1357_235:
	v_mul_lo_u32 v37, v22, s14
	v_mul_lo_u32 v38, v21, s15
	v_mad_u64_u32 v[33:34], null, v21, s14, 0
	s_mov_b32 s26, 0
	s_and_not1_b32 vcc_lo, exec_lo, s13
	s_mov_b32 s27, 0
	s_delay_alu instid0(VALU_DEP_1) | instskip(NEXT) | instid1(VALU_DEP_1)
	v_add3_u32 v34, v34, v38, v37
	v_lshlrev_b64 v[37:38], 1, v[33:34]
	s_cbranch_vccnz .LBB1357_244
; %bb.236:
	s_delay_alu instid0(VALU_DEP_1) | instskip(NEXT) | instid1(VALU_DEP_2)
	v_add_co_u32 v39, vcc_lo, s20, v37
	v_add_co_ci_u32_e32 v40, vcc_lo, s21, v38, vcc_lo
	v_add_co_u32 v33, vcc_lo, s20, v35
	v_add_co_ci_u32_e32 v34, vcc_lo, s21, v36, vcc_lo
	s_mov_b32 s27, -1
	s_clause 0x1
	global_load_u16 v35, v[39:40], off
	global_load_u16 v36, v[33:34], off
	s_mov_b32 s34, exec_lo
	s_waitcnt vmcnt(0)
	v_cmpx_eq_f16_e32 v35, v36
	s_cbranch_execz .LBB1357_243
; %bb.237:
	v_add_co_u32 v33, vcc_lo, v33, 2
	v_add_co_ci_u32_e32 v34, vcc_lo, 0, v34, vcc_lo
	v_add_co_u32 v35, vcc_lo, v39, 2
	v_add_co_ci_u32_e32 v36, vcc_lo, 0, v40, vcc_lo
	s_add_u32 s4, s14, -1
	s_addc_u32 s5, s15, -1
	s_mov_b64 s[6:7], 0
	s_mov_b32 s27, 0
                                        ; implicit-def: $sgpr35
	s_set_inst_prefetch_distance 0x1
	s_branch .LBB1357_240
	.p2align	6
.LBB1357_238:                           ;   in Loop: Header=BB1357_240 Depth=1
	global_load_u16 v39, v[35:36], off
	global_load_u16 v40, v[33:34], off
	v_add_co_u32 v33, vcc_lo, v33, 2
	v_add_co_ci_u32_e32 v34, vcc_lo, 0, v34, vcc_lo
	v_add_co_u32 v35, s0, v35, 2
	s_delay_alu instid0(VALU_DEP_1)
	v_add_co_ci_u32_e64 v36, s0, 0, v36, s0
	s_add_u32 s6, s6, 1
	s_addc_u32 s7, s7, 0
	s_and_not1_b32 s0, s35, exec_lo
	s_waitcnt vmcnt(0)
	v_cmp_neq_f16_e32 vcc_lo, v39, v40
	s_and_b32 s35, vcc_lo, exec_lo
	s_delay_alu instid0(SALU_CYCLE_1)
	s_or_b32 s35, s0, s35
.LBB1357_239:                           ;   in Loop: Header=BB1357_240 Depth=1
	v_dual_mov_b32 v40, s7 :: v_dual_mov_b32 v39, s6
	s_and_b32 s0, exec_lo, s35
	s_delay_alu instid0(SALU_CYCLE_1) | instskip(NEXT) | instid1(SALU_CYCLE_1)
	s_or_b32 s27, s0, s27
	s_and_not1_b32 exec_lo, exec_lo, s27
	s_cbranch_execz .LBB1357_242
.LBB1357_240:                           ; =>This Inner Loop Header: Depth=1
	s_or_b32 s35, s35, exec_lo
	s_cmp_eq_u64 s[4:5], s[6:7]
	s_cbranch_scc0 .LBB1357_238
; %bb.241:                              ;   in Loop: Header=BB1357_240 Depth=1
	s_mov_b64 s[6:7], s[14:15]
                                        ; implicit-def: $vgpr33_vgpr34
                                        ; implicit-def: $vgpr35_vgpr36
	s_branch .LBB1357_239
.LBB1357_242:
	s_set_inst_prefetch_distance 0x2
	s_or_b32 exec_lo, exec_lo, s27
	v_cmp_gt_i64_e32 vcc_lo, s[14:15], v[39:40]
	s_or_not1_b32 s27, vcc_lo, exec_lo
.LBB1357_243:
	s_or_b32 exec_lo, exec_lo, s34
.LBB1357_244:
	v_mul_lo_u32 v35, v28, s14
	v_mul_lo_u32 v36, v27, s15
	v_mad_u64_u32 v[33:34], null, v27, s14, 0
	s_and_not1_b32 vcc_lo, exec_lo, s13
	s_delay_alu instid0(VALU_DEP_1) | instskip(NEXT) | instid1(VALU_DEP_1)
	v_add3_u32 v34, v34, v36, v35
	v_lshlrev_b64 v[33:34], 1, v[33:34]
	s_cbranch_vccnz .LBB1357_253
; %bb.245:
	s_delay_alu instid0(VALU_DEP_1) | instskip(NEXT) | instid1(VALU_DEP_2)
	v_add_co_u32 v39, vcc_lo, s20, v33
	v_add_co_ci_u32_e32 v40, vcc_lo, s21, v34, vcc_lo
	v_add_co_u32 v35, vcc_lo, s20, v37
	v_add_co_ci_u32_e32 v36, vcc_lo, s21, v38, vcc_lo
	s_mov_b32 s26, -1
	s_clause 0x1
	global_load_u16 v37, v[39:40], off
	global_load_u16 v38, v[35:36], off
	s_mov_b32 s34, exec_lo
	s_waitcnt vmcnt(0)
	v_cmpx_eq_f16_e32 v37, v38
	s_cbranch_execz .LBB1357_252
; %bb.246:
	v_add_co_u32 v35, vcc_lo, v35, 2
	v_add_co_ci_u32_e32 v36, vcc_lo, 0, v36, vcc_lo
	v_add_co_u32 v37, vcc_lo, v39, 2
	v_add_co_ci_u32_e32 v38, vcc_lo, 0, v40, vcc_lo
	s_add_u32 s4, s14, -1
	s_addc_u32 s5, s15, -1
	s_mov_b64 s[6:7], 0
	s_mov_b32 s26, 0
                                        ; implicit-def: $sgpr35
	s_set_inst_prefetch_distance 0x1
	s_branch .LBB1357_249
	.p2align	6
.LBB1357_247:                           ;   in Loop: Header=BB1357_249 Depth=1
	global_load_u16 v39, v[37:38], off
	global_load_u16 v40, v[35:36], off
	v_add_co_u32 v35, vcc_lo, v35, 2
	v_add_co_ci_u32_e32 v36, vcc_lo, 0, v36, vcc_lo
	v_add_co_u32 v37, s0, v37, 2
	s_delay_alu instid0(VALU_DEP_1)
	v_add_co_ci_u32_e64 v38, s0, 0, v38, s0
	s_add_u32 s6, s6, 1
	s_addc_u32 s7, s7, 0
	s_and_not1_b32 s0, s35, exec_lo
	s_waitcnt vmcnt(0)
	v_cmp_neq_f16_e32 vcc_lo, v39, v40
	s_and_b32 s35, vcc_lo, exec_lo
	s_delay_alu instid0(SALU_CYCLE_1)
	s_or_b32 s35, s0, s35
.LBB1357_248:                           ;   in Loop: Header=BB1357_249 Depth=1
	v_dual_mov_b32 v40, s7 :: v_dual_mov_b32 v39, s6
	s_and_b32 s0, exec_lo, s35
	s_delay_alu instid0(SALU_CYCLE_1) | instskip(NEXT) | instid1(SALU_CYCLE_1)
	s_or_b32 s26, s0, s26
	s_and_not1_b32 exec_lo, exec_lo, s26
	s_cbranch_execz .LBB1357_251
.LBB1357_249:                           ; =>This Inner Loop Header: Depth=1
	s_or_b32 s35, s35, exec_lo
	s_cmp_eq_u64 s[4:5], s[6:7]
	s_cbranch_scc0 .LBB1357_247
; %bb.250:                              ;   in Loop: Header=BB1357_249 Depth=1
	s_mov_b64 s[6:7], s[14:15]
                                        ; implicit-def: $vgpr35_vgpr36
                                        ; implicit-def: $vgpr37_vgpr38
	s_branch .LBB1357_248
.LBB1357_251:
	s_set_inst_prefetch_distance 0x2
	s_or_b32 exec_lo, exec_lo, s26
	v_cmp_gt_i64_e32 vcc_lo, s[14:15], v[39:40]
	s_or_not1_b32 s26, vcc_lo, exec_lo
.LBB1357_252:
	s_or_b32 exec_lo, exec_lo, s34
.LBB1357_253:
	v_mul_lo_u32 v37, v26, s14
	v_mul_lo_u32 v38, v25, s15
	v_mad_u64_u32 v[35:36], null, v25, s14, 0
	s_mov_b32 s34, 0
	s_and_not1_b32 vcc_lo, exec_lo, s13
	s_mov_b32 s35, 0
	s_delay_alu instid0(VALU_DEP_1) | instskip(NEXT) | instid1(VALU_DEP_1)
	v_add3_u32 v36, v36, v38, v37
	v_lshlrev_b64 v[37:38], 1, v[35:36]
	s_cbranch_vccnz .LBB1357_262
; %bb.254:
	s_delay_alu instid0(VALU_DEP_1) | instskip(NEXT) | instid1(VALU_DEP_2)
	v_add_co_u32 v35, vcc_lo, s20, v37
	v_add_co_ci_u32_e32 v36, vcc_lo, s21, v38, vcc_lo
	v_add_co_u32 v33, vcc_lo, s20, v33
	v_add_co_ci_u32_e32 v34, vcc_lo, s21, v34, vcc_lo
	s_mov_b32 s35, -1
	s_clause 0x1
	global_load_u16 v39, v[35:36], off
	global_load_u16 v40, v[33:34], off
	s_mov_b32 s36, exec_lo
	s_waitcnt vmcnt(0)
	v_cmpx_eq_f16_e32 v39, v40
	s_cbranch_execz .LBB1357_261
; %bb.255:
	v_add_co_u32 v33, vcc_lo, v33, 2
	v_add_co_ci_u32_e32 v34, vcc_lo, 0, v34, vcc_lo
	v_add_co_u32 v35, vcc_lo, v35, 2
	v_add_co_ci_u32_e32 v36, vcc_lo, 0, v36, vcc_lo
	s_add_u32 s4, s14, -1
	s_addc_u32 s5, s15, -1
	s_mov_b64 s[6:7], 0
	s_mov_b32 s35, 0
                                        ; implicit-def: $sgpr37
	s_set_inst_prefetch_distance 0x1
	s_branch .LBB1357_258
	.p2align	6
.LBB1357_256:                           ;   in Loop: Header=BB1357_258 Depth=1
	global_load_u16 v39, v[35:36], off
	global_load_u16 v40, v[33:34], off
	v_add_co_u32 v33, vcc_lo, v33, 2
	v_add_co_ci_u32_e32 v34, vcc_lo, 0, v34, vcc_lo
	v_add_co_u32 v35, s0, v35, 2
	s_delay_alu instid0(VALU_DEP_1)
	v_add_co_ci_u32_e64 v36, s0, 0, v36, s0
	s_add_u32 s6, s6, 1
	s_addc_u32 s7, s7, 0
	s_and_not1_b32 s0, s37, exec_lo
	s_waitcnt vmcnt(0)
	v_cmp_neq_f16_e32 vcc_lo, v39, v40
	s_and_b32 s37, vcc_lo, exec_lo
	s_delay_alu instid0(SALU_CYCLE_1)
	s_or_b32 s37, s0, s37
.LBB1357_257:                           ;   in Loop: Header=BB1357_258 Depth=1
	v_dual_mov_b32 v40, s7 :: v_dual_mov_b32 v39, s6
	s_and_b32 s0, exec_lo, s37
	s_delay_alu instid0(SALU_CYCLE_1) | instskip(NEXT) | instid1(SALU_CYCLE_1)
	s_or_b32 s35, s0, s35
	s_and_not1_b32 exec_lo, exec_lo, s35
	s_cbranch_execz .LBB1357_260
.LBB1357_258:                           ; =>This Inner Loop Header: Depth=1
	s_or_b32 s37, s37, exec_lo
	s_cmp_eq_u64 s[4:5], s[6:7]
	s_cbranch_scc0 .LBB1357_256
; %bb.259:                              ;   in Loop: Header=BB1357_258 Depth=1
	s_mov_b64 s[6:7], s[14:15]
                                        ; implicit-def: $vgpr33_vgpr34
                                        ; implicit-def: $vgpr35_vgpr36
	s_branch .LBB1357_257
.LBB1357_260:
	s_set_inst_prefetch_distance 0x2
	s_or_b32 exec_lo, exec_lo, s35
	v_cmp_gt_i64_e32 vcc_lo, s[14:15], v[39:40]
	s_or_not1_b32 s35, vcc_lo, exec_lo
.LBB1357_261:
	s_or_b32 exec_lo, exec_lo, s36
.LBB1357_262:
	v_mul_lo_u32 v35, v32, s14
	v_mul_lo_u32 v36, v31, s15
	v_mad_u64_u32 v[33:34], null, v31, s14, 0
	s_and_not1_b32 vcc_lo, exec_lo, s13
	s_delay_alu instid0(VALU_DEP_1) | instskip(NEXT) | instid1(VALU_DEP_1)
	v_add3_u32 v34, v34, v36, v35
	v_lshlrev_b64 v[35:36], 1, v[33:34]
	s_cbranch_vccnz .LBB1357_271
; %bb.263:
	s_delay_alu instid0(VALU_DEP_1) | instskip(NEXT) | instid1(VALU_DEP_2)
	v_add_co_u32 v39, vcc_lo, s20, v35
	v_add_co_ci_u32_e32 v40, vcc_lo, s21, v36, vcc_lo
	v_add_co_u32 v33, vcc_lo, s20, v37
	v_add_co_ci_u32_e32 v34, vcc_lo, s21, v38, vcc_lo
	s_mov_b32 s34, -1
	s_clause 0x1
	global_load_u16 v37, v[39:40], off
	global_load_u16 v38, v[33:34], off
	s_mov_b32 s36, exec_lo
	s_waitcnt vmcnt(0)
	v_cmpx_eq_f16_e32 v37, v38
	s_cbranch_execz .LBB1357_270
; %bb.264:
	v_add_co_u32 v33, vcc_lo, v33, 2
	v_add_co_ci_u32_e32 v34, vcc_lo, 0, v34, vcc_lo
	v_add_co_u32 v37, vcc_lo, v39, 2
	v_add_co_ci_u32_e32 v38, vcc_lo, 0, v40, vcc_lo
	s_add_u32 s4, s14, -1
	s_addc_u32 s5, s15, -1
	s_mov_b64 s[6:7], 0
	s_mov_b32 s34, 0
                                        ; implicit-def: $sgpr37
	s_set_inst_prefetch_distance 0x1
	s_branch .LBB1357_267
	.p2align	6
.LBB1357_265:                           ;   in Loop: Header=BB1357_267 Depth=1
	global_load_u16 v39, v[37:38], off
	global_load_u16 v40, v[33:34], off
	v_add_co_u32 v33, vcc_lo, v33, 2
	v_add_co_ci_u32_e32 v34, vcc_lo, 0, v34, vcc_lo
	v_add_co_u32 v37, s0, v37, 2
	s_delay_alu instid0(VALU_DEP_1)
	v_add_co_ci_u32_e64 v38, s0, 0, v38, s0
	s_add_u32 s6, s6, 1
	s_addc_u32 s7, s7, 0
	s_and_not1_b32 s0, s37, exec_lo
	s_waitcnt vmcnt(0)
	v_cmp_neq_f16_e32 vcc_lo, v39, v40
	s_and_b32 s37, vcc_lo, exec_lo
	s_delay_alu instid0(SALU_CYCLE_1)
	s_or_b32 s37, s0, s37
.LBB1357_266:                           ;   in Loop: Header=BB1357_267 Depth=1
	v_dual_mov_b32 v40, s7 :: v_dual_mov_b32 v39, s6
	s_and_b32 s0, exec_lo, s37
	s_delay_alu instid0(SALU_CYCLE_1) | instskip(NEXT) | instid1(SALU_CYCLE_1)
	s_or_b32 s34, s0, s34
	s_and_not1_b32 exec_lo, exec_lo, s34
	s_cbranch_execz .LBB1357_269
.LBB1357_267:                           ; =>This Inner Loop Header: Depth=1
	s_or_b32 s37, s37, exec_lo
	s_cmp_eq_u64 s[4:5], s[6:7]
	s_cbranch_scc0 .LBB1357_265
; %bb.268:                              ;   in Loop: Header=BB1357_267 Depth=1
	s_mov_b64 s[6:7], s[14:15]
                                        ; implicit-def: $vgpr33_vgpr34
                                        ; implicit-def: $vgpr37_vgpr38
	s_branch .LBB1357_266
.LBB1357_269:
	s_set_inst_prefetch_distance 0x2
	s_or_b32 exec_lo, exec_lo, s34
	v_cmp_gt_i64_e32 vcc_lo, s[14:15], v[39:40]
	s_or_not1_b32 s34, vcc_lo, exec_lo
.LBB1357_270:
	s_or_b32 exec_lo, exec_lo, s36
.LBB1357_271:
	v_mul_lo_u32 v37, v30, s14
	v_mul_lo_u32 v38, v29, s15
	v_mad_u64_u32 v[33:34], null, v29, s14, 0
	s_and_not1_b32 vcc_lo, exec_lo, s13
	s_mov_b32 s0, 0
	s_delay_alu instid0(VALU_DEP_1)
	v_add3_u32 v34, v34, v38, v37
	s_cbranch_vccnz .LBB1357_280
; %bb.272:
	s_delay_alu instid0(VALU_DEP_1) | instskip(SKIP_2) | instid1(VALU_DEP_1)
	v_lshlrev_b64 v[37:38], 1, v[33:34]
	s_mov_b32 s0, -1
	s_mov_b32 s36, exec_lo
	v_add_co_u32 v37, vcc_lo, s20, v37
	s_delay_alu instid0(VALU_DEP_2)
	v_add_co_ci_u32_e32 v38, vcc_lo, s21, v38, vcc_lo
	v_add_co_u32 v35, vcc_lo, s20, v35
	v_add_co_ci_u32_e32 v36, vcc_lo, s21, v36, vcc_lo
	s_clause 0x1
	global_load_u16 v39, v[37:38], off
	global_load_u16 v40, v[35:36], off
	s_waitcnt vmcnt(0)
	v_cmpx_eq_f16_e32 v39, v40
	s_cbranch_execz .LBB1357_279
; %bb.273:
	v_add_co_u32 v35, vcc_lo, v35, 2
	v_add_co_ci_u32_e32 v36, vcc_lo, 0, v36, vcc_lo
	v_add_co_u32 v37, vcc_lo, v37, 2
	v_add_co_ci_u32_e32 v38, vcc_lo, 0, v38, vcc_lo
	s_add_u32 s4, s14, -1
	s_addc_u32 s5, s15, -1
	s_mov_b64 s[6:7], 0
	s_mov_b32 s37, 0
                                        ; implicit-def: $sgpr38
	s_set_inst_prefetch_distance 0x1
	s_branch .LBB1357_276
	.p2align	6
.LBB1357_274:                           ;   in Loop: Header=BB1357_276 Depth=1
	global_load_u16 v39, v[37:38], off
	global_load_u16 v40, v[35:36], off
	v_add_co_u32 v35, vcc_lo, v35, 2
	v_add_co_ci_u32_e32 v36, vcc_lo, 0, v36, vcc_lo
	v_add_co_u32 v37, s0, v37, 2
	s_delay_alu instid0(VALU_DEP_1)
	v_add_co_ci_u32_e64 v38, s0, 0, v38, s0
	s_add_u32 s6, s6, 1
	s_addc_u32 s7, s7, 0
	s_and_not1_b32 s0, s38, exec_lo
	s_waitcnt vmcnt(0)
	v_cmp_neq_f16_e32 vcc_lo, v39, v40
	s_and_b32 s38, vcc_lo, exec_lo
	s_delay_alu instid0(SALU_CYCLE_1)
	s_or_b32 s38, s0, s38
.LBB1357_275:                           ;   in Loop: Header=BB1357_276 Depth=1
	v_dual_mov_b32 v40, s7 :: v_dual_mov_b32 v39, s6
	s_and_b32 s0, exec_lo, s38
	s_delay_alu instid0(SALU_CYCLE_1) | instskip(NEXT) | instid1(SALU_CYCLE_1)
	s_or_b32 s37, s0, s37
	s_and_not1_b32 exec_lo, exec_lo, s37
	s_cbranch_execz .LBB1357_278
.LBB1357_276:                           ; =>This Inner Loop Header: Depth=1
	s_or_b32 s38, s38, exec_lo
	s_cmp_eq_u64 s[4:5], s[6:7]
	s_cbranch_scc0 .LBB1357_274
; %bb.277:                              ;   in Loop: Header=BB1357_276 Depth=1
	s_mov_b64 s[6:7], s[14:15]
                                        ; implicit-def: $vgpr35_vgpr36
                                        ; implicit-def: $vgpr37_vgpr38
	s_branch .LBB1357_275
.LBB1357_278:
	s_set_inst_prefetch_distance 0x2
	s_or_b32 exec_lo, exec_lo, s37
	v_cmp_gt_i64_e32 vcc_lo, s[14:15], v[39:40]
	s_or_not1_b32 s0, vcc_lo, exec_lo
.LBB1357_279:
	s_or_b32 exec_lo, exec_lo, s36
.LBB1357_280:
	v_cndmask_b32_e64 v36, 0, 1, s35
	v_cndmask_b32_e64 v37, 0, 1, s27
	v_cndmask_b32_e64 v38, 0, 1, s25
	v_cndmask_b32_e64 v39, 0, 1, s0
	v_cndmask_b32_e64 v35, 0, 1, s34
	v_cndmask_b32_e64 v40, 0, 1, s26
	v_cndmask_b32_e64 v41, 0, 1, s24
	v_lshlrev_b16 v37, 8, v37
	v_lshlrev_b16 v38, 8, v38
	;; [unrolled: 1-line block ×4, first 2 shown]
	s_waitcnt lgkmcnt(0)
	v_or_b32_e32 v37, v40, v37
	v_or_b32_e32 v38, v41, v38
	v_or_b32_e32 v39, 1, v39
	v_or_b32_e32 v35, v35, v36
	s_barrier
	v_and_b32_e32 v36, 0xffff, v37
	v_lshlrev_b32_e32 v37, 16, v38
	v_and_b32_e32 v38, 0xffff, v39
	v_lshlrev_b32_e32 v35, 16, v35
	buffer_gl0_inv
                                        ; implicit-def: $sgpr0
	v_or_b32_e32 v36, v36, v37
	v_or_b32_e32 v35, v38, v35
	s_and_saveexec_b32 s4, s3
	s_delay_alu instid0(SALU_CYCLE_1)
	s_xor_b32 s24, exec_lo, s4
	s_cbranch_execz .LBB1357_291
; %bb.281:
	s_and_not1_b32 vcc_lo, exec_lo, s13
	s_mov_b32 s0, 0
	s_cbranch_vccnz .LBB1357_290
; %bb.282:
	v_add_nc_u32_e32 v37, -8, v55
	v_lshlrev_b64 v[33:34], 1, v[33:34]
	s_mov_b32 s0, -1
	s_mov_b32 s25, exec_lo
	ds_load_b64 v[37:38], v37
	s_waitcnt lgkmcnt(0)
	v_mul_lo_u32 v40, v38, s14
	v_mul_lo_u32 v41, v37, s15
	v_mad_u64_u32 v[38:39], null, v37, s14, 0
	s_delay_alu instid0(VALU_DEP_1) | instskip(NEXT) | instid1(VALU_DEP_1)
	v_add3_u32 v39, v39, v41, v40
	v_lshlrev_b64 v[37:38], 1, v[38:39]
	s_delay_alu instid0(VALU_DEP_1) | instskip(NEXT) | instid1(VALU_DEP_2)
	v_add_co_u32 v37, vcc_lo, s20, v37
	v_add_co_ci_u32_e32 v38, vcc_lo, s21, v38, vcc_lo
	v_add_co_u32 v33, vcc_lo, s20, v33
	v_add_co_ci_u32_e32 v34, vcc_lo, s21, v34, vcc_lo
	s_clause 0x1
	global_load_u16 v39, v[37:38], off
	global_load_u16 v40, v[33:34], off
	s_waitcnt vmcnt(0)
	v_cmpx_eq_f16_e32 v39, v40
	s_cbranch_execz .LBB1357_289
; %bb.283:
	v_add_co_u32 v33, vcc_lo, v33, 2
	v_add_co_ci_u32_e32 v34, vcc_lo, 0, v34, vcc_lo
	v_add_co_u32 v37, vcc_lo, v37, 2
	v_add_co_ci_u32_e32 v38, vcc_lo, 0, v38, vcc_lo
	s_add_u32 s4, s14, -1
	s_addc_u32 s5, s15, -1
	s_mov_b64 s[6:7], 0
	s_mov_b32 s26, 0
                                        ; implicit-def: $sgpr27
	s_set_inst_prefetch_distance 0x1
	s_branch .LBB1357_286
	.p2align	6
.LBB1357_284:                           ;   in Loop: Header=BB1357_286 Depth=1
	global_load_u16 v39, v[37:38], off
	global_load_u16 v40, v[33:34], off
	v_add_co_u32 v33, vcc_lo, v33, 2
	v_add_co_ci_u32_e32 v34, vcc_lo, 0, v34, vcc_lo
	v_add_co_u32 v37, s0, v37, 2
	s_delay_alu instid0(VALU_DEP_1)
	v_add_co_ci_u32_e64 v38, s0, 0, v38, s0
	s_add_u32 s6, s6, 1
	s_addc_u32 s7, s7, 0
	s_and_not1_b32 s0, s27, exec_lo
	s_waitcnt vmcnt(0)
	v_cmp_neq_f16_e32 vcc_lo, v39, v40
	s_and_b32 s27, vcc_lo, exec_lo
	s_delay_alu instid0(SALU_CYCLE_1)
	s_or_b32 s27, s0, s27
.LBB1357_285:                           ;   in Loop: Header=BB1357_286 Depth=1
	v_dual_mov_b32 v40, s7 :: v_dual_mov_b32 v39, s6
	s_and_b32 s0, exec_lo, s27
	s_delay_alu instid0(SALU_CYCLE_1) | instskip(NEXT) | instid1(SALU_CYCLE_1)
	s_or_b32 s26, s0, s26
	s_and_not1_b32 exec_lo, exec_lo, s26
	s_cbranch_execz .LBB1357_288
.LBB1357_286:                           ; =>This Inner Loop Header: Depth=1
	s_or_b32 s27, s27, exec_lo
	s_cmp_eq_u64 s[4:5], s[6:7]
	s_cbranch_scc0 .LBB1357_284
; %bb.287:                              ;   in Loop: Header=BB1357_286 Depth=1
	s_mov_b64 s[6:7], s[14:15]
                                        ; implicit-def: $vgpr33_vgpr34
                                        ; implicit-def: $vgpr37_vgpr38
	s_branch .LBB1357_285
.LBB1357_288:
	s_set_inst_prefetch_distance 0x2
	s_or_b32 exec_lo, exec_lo, s26
	v_cmp_gt_i64_e32 vcc_lo, s[14:15], v[39:40]
	s_or_not1_b32 s0, vcc_lo, exec_lo
.LBB1357_289:
	s_or_b32 exec_lo, exec_lo, s25
.LBB1357_290:
	s_delay_alu instid0(SALU_CYCLE_1)
	s_and_b32 s0, s0, exec_lo
	s_or_b32 s1, s1, exec_lo
.LBB1357_291:
	s_or_b32 exec_lo, exec_lo, s24
	s_branch .LBB1357_383
.LBB1357_292:
	s_waitcnt vmcnt(0) lgkmcnt(1)
	v_or_b32_e32 v33, 7, v55
	s_mov_b32 s24, 0
	s_mov_b32 s25, 0
	s_mov_b32 s26, exec_lo
	s_delay_alu instid0(VALU_DEP_1)
	v_cmpx_gt_u32_e64 s31, v33
	s_cbranch_execz .LBB1357_303
; %bb.293:
	s_and_not1_b32 vcc_lo, exec_lo, s13
	s_mov_b32 s0, 0
	s_cbranch_vccnz .LBB1357_302
; %bb.294:
	v_mul_lo_u32 v37, v18, s14
	v_mul_lo_u32 v38, v17, s15
	v_mad_u64_u32 v[33:34], null, v17, s14, 0
	v_mul_lo_u32 v39, v20, s14
	v_mul_lo_u32 v40, v19, s15
	v_mad_u64_u32 v[35:36], null, v19, s14, 0
	s_mov_b32 s0, -1
	s_mov_b32 s25, exec_lo
	s_delay_alu instid0(VALU_DEP_4) | instskip(NEXT) | instid1(VALU_DEP_2)
	v_add3_u32 v34, v34, v38, v37
	v_add3_u32 v36, v36, v40, v39
	s_delay_alu instid0(VALU_DEP_2) | instskip(NEXT) | instid1(VALU_DEP_2)
	v_lshlrev_b64 v[33:34], 1, v[33:34]
	v_lshlrev_b64 v[37:38], 1, v[35:36]
	s_delay_alu instid0(VALU_DEP_2) | instskip(NEXT) | instid1(VALU_DEP_3)
	v_add_co_u32 v35, vcc_lo, s20, v33
	v_add_co_ci_u32_e32 v36, vcc_lo, s21, v34, vcc_lo
	s_delay_alu instid0(VALU_DEP_3) | instskip(NEXT) | instid1(VALU_DEP_4)
	v_add_co_u32 v33, vcc_lo, s20, v37
	v_add_co_ci_u32_e32 v34, vcc_lo, s21, v38, vcc_lo
	s_clause 0x1
	global_load_u16 v37, v[35:36], off
	global_load_u16 v38, v[33:34], off
	s_waitcnt vmcnt(0)
	v_cmpx_eq_f16_e32 v37, v38
	s_cbranch_execz .LBB1357_301
; %bb.295:
	v_add_co_u32 v33, vcc_lo, v33, 2
	v_add_co_ci_u32_e32 v34, vcc_lo, 0, v34, vcc_lo
	v_add_co_u32 v35, vcc_lo, v35, 2
	v_add_co_ci_u32_e32 v36, vcc_lo, 0, v36, vcc_lo
	s_add_u32 s4, s14, -1
	s_addc_u32 s5, s15, -1
	s_mov_b64 s[6:7], 0
	s_mov_b32 s27, 0
                                        ; implicit-def: $sgpr34
	s_set_inst_prefetch_distance 0x1
	s_branch .LBB1357_298
	.p2align	6
.LBB1357_296:                           ;   in Loop: Header=BB1357_298 Depth=1
	global_load_u16 v37, v[35:36], off
	global_load_u16 v38, v[33:34], off
	v_add_co_u32 v33, vcc_lo, v33, 2
	v_add_co_ci_u32_e32 v34, vcc_lo, 0, v34, vcc_lo
	v_add_co_u32 v35, s0, v35, 2
	s_delay_alu instid0(VALU_DEP_1)
	v_add_co_ci_u32_e64 v36, s0, 0, v36, s0
	s_add_u32 s6, s6, 1
	s_addc_u32 s7, s7, 0
	s_and_not1_b32 s0, s34, exec_lo
	s_waitcnt vmcnt(0)
	v_cmp_neq_f16_e32 vcc_lo, v37, v38
	s_and_b32 s34, vcc_lo, exec_lo
	s_delay_alu instid0(SALU_CYCLE_1)
	s_or_b32 s34, s0, s34
.LBB1357_297:                           ;   in Loop: Header=BB1357_298 Depth=1
	v_dual_mov_b32 v38, s7 :: v_dual_mov_b32 v37, s6
	s_and_b32 s0, exec_lo, s34
	s_delay_alu instid0(SALU_CYCLE_1) | instskip(NEXT) | instid1(SALU_CYCLE_1)
	s_or_b32 s27, s0, s27
	s_and_not1_b32 exec_lo, exec_lo, s27
	s_cbranch_execz .LBB1357_300
.LBB1357_298:                           ; =>This Inner Loop Header: Depth=1
	s_or_b32 s34, s34, exec_lo
	s_cmp_eq_u64 s[4:5], s[6:7]
	s_cbranch_scc0 .LBB1357_296
; %bb.299:                              ;   in Loop: Header=BB1357_298 Depth=1
	s_mov_b64 s[6:7], s[14:15]
                                        ; implicit-def: $vgpr33_vgpr34
                                        ; implicit-def: $vgpr35_vgpr36
	s_branch .LBB1357_297
.LBB1357_300:
	s_set_inst_prefetch_distance 0x2
	s_or_b32 exec_lo, exec_lo, s27
	v_cmp_gt_i64_e32 vcc_lo, s[14:15], v[37:38]
	s_or_not1_b32 s0, vcc_lo, exec_lo
.LBB1357_301:
	s_or_b32 exec_lo, exec_lo, s25
.LBB1357_302:
	s_delay_alu instid0(SALU_CYCLE_1)
	s_and_b32 s25, s0, exec_lo
.LBB1357_303:
	s_or_b32 exec_lo, exec_lo, s26
	v_or_b32_e32 v33, 6, v55
	s_mov_b32 s26, exec_lo
	s_delay_alu instid0(VALU_DEP_1)
	v_cmpx_gt_u32_e64 s31, v33
	s_cbranch_execz .LBB1357_314
; %bb.304:
	s_and_not1_b32 vcc_lo, exec_lo, s13
	s_mov_b32 s0, 0
	s_cbranch_vccnz .LBB1357_313
; %bb.305:
	v_mul_lo_u32 v37, v24, s14
	v_mul_lo_u32 v38, v23, s15
	v_mad_u64_u32 v[33:34], null, v23, s14, 0
	v_mul_lo_u32 v39, v18, s14
	v_mul_lo_u32 v40, v17, s15
	v_mad_u64_u32 v[35:36], null, v17, s14, 0
	s_mov_b32 s0, -1
	s_mov_b32 s24, exec_lo
	s_delay_alu instid0(VALU_DEP_4) | instskip(NEXT) | instid1(VALU_DEP_2)
	v_add3_u32 v34, v34, v38, v37
	v_add3_u32 v36, v36, v40, v39
	s_delay_alu instid0(VALU_DEP_2) | instskip(NEXT) | instid1(VALU_DEP_2)
	v_lshlrev_b64 v[33:34], 1, v[33:34]
	v_lshlrev_b64 v[37:38], 1, v[35:36]
	s_delay_alu instid0(VALU_DEP_2) | instskip(NEXT) | instid1(VALU_DEP_3)
	v_add_co_u32 v35, vcc_lo, s20, v33
	v_add_co_ci_u32_e32 v36, vcc_lo, s21, v34, vcc_lo
	s_delay_alu instid0(VALU_DEP_3) | instskip(NEXT) | instid1(VALU_DEP_4)
	v_add_co_u32 v33, vcc_lo, s20, v37
	v_add_co_ci_u32_e32 v34, vcc_lo, s21, v38, vcc_lo
	s_clause 0x1
	global_load_u16 v37, v[35:36], off
	global_load_u16 v38, v[33:34], off
	s_waitcnt vmcnt(0)
	v_cmpx_eq_f16_e32 v37, v38
	s_cbranch_execz .LBB1357_312
; %bb.306:
	v_add_co_u32 v33, vcc_lo, v33, 2
	v_add_co_ci_u32_e32 v34, vcc_lo, 0, v34, vcc_lo
	v_add_co_u32 v35, vcc_lo, v35, 2
	v_add_co_ci_u32_e32 v36, vcc_lo, 0, v36, vcc_lo
	s_add_u32 s4, s14, -1
	s_addc_u32 s5, s15, -1
	s_mov_b64 s[6:7], 0
	s_mov_b32 s27, 0
                                        ; implicit-def: $sgpr34
	s_set_inst_prefetch_distance 0x1
	s_branch .LBB1357_309
	.p2align	6
.LBB1357_307:                           ;   in Loop: Header=BB1357_309 Depth=1
	global_load_u16 v37, v[35:36], off
	global_load_u16 v38, v[33:34], off
	v_add_co_u32 v33, vcc_lo, v33, 2
	v_add_co_ci_u32_e32 v34, vcc_lo, 0, v34, vcc_lo
	v_add_co_u32 v35, s0, v35, 2
	s_delay_alu instid0(VALU_DEP_1)
	v_add_co_ci_u32_e64 v36, s0, 0, v36, s0
	s_add_u32 s6, s6, 1
	s_addc_u32 s7, s7, 0
	s_and_not1_b32 s0, s34, exec_lo
	s_waitcnt vmcnt(0)
	v_cmp_neq_f16_e32 vcc_lo, v37, v38
	s_and_b32 s34, vcc_lo, exec_lo
	s_delay_alu instid0(SALU_CYCLE_1)
	s_or_b32 s34, s0, s34
.LBB1357_308:                           ;   in Loop: Header=BB1357_309 Depth=1
	v_dual_mov_b32 v38, s7 :: v_dual_mov_b32 v37, s6
	s_and_b32 s0, exec_lo, s34
	s_delay_alu instid0(SALU_CYCLE_1) | instskip(NEXT) | instid1(SALU_CYCLE_1)
	s_or_b32 s27, s0, s27
	s_and_not1_b32 exec_lo, exec_lo, s27
	s_cbranch_execz .LBB1357_311
.LBB1357_309:                           ; =>This Inner Loop Header: Depth=1
	s_or_b32 s34, s34, exec_lo
	s_cmp_eq_u64 s[4:5], s[6:7]
	s_cbranch_scc0 .LBB1357_307
; %bb.310:                              ;   in Loop: Header=BB1357_309 Depth=1
	s_mov_b64 s[6:7], s[14:15]
                                        ; implicit-def: $vgpr33_vgpr34
                                        ; implicit-def: $vgpr35_vgpr36
	s_branch .LBB1357_308
.LBB1357_311:
	s_set_inst_prefetch_distance 0x2
	s_or_b32 exec_lo, exec_lo, s27
	v_cmp_gt_i64_e32 vcc_lo, s[14:15], v[37:38]
	s_or_not1_b32 s0, vcc_lo, exec_lo
.LBB1357_312:
	s_or_b32 exec_lo, exec_lo, s24
.LBB1357_313:
	s_delay_alu instid0(SALU_CYCLE_1)
	s_and_b32 s24, s0, exec_lo
.LBB1357_314:
	s_or_b32 exec_lo, exec_lo, s26
	v_or_b32_e32 v33, 5, v55
	s_mov_b32 s26, 0
	s_mov_b32 s27, 0
	s_mov_b32 s34, exec_lo
	s_delay_alu instid0(VALU_DEP_1)
	v_cmpx_gt_u32_e64 s31, v33
	s_cbranch_execz .LBB1357_325
; %bb.315:
	s_and_not1_b32 vcc_lo, exec_lo, s13
	s_mov_b32 s0, 0
	s_cbranch_vccnz .LBB1357_324
; %bb.316:
	v_mul_lo_u32 v37, v22, s14
	v_mul_lo_u32 v38, v21, s15
	v_mad_u64_u32 v[33:34], null, v21, s14, 0
	v_mul_lo_u32 v39, v24, s14
	v_mul_lo_u32 v40, v23, s15
	v_mad_u64_u32 v[35:36], null, v23, s14, 0
	s_mov_b32 s0, -1
	s_mov_b32 s27, exec_lo
	s_delay_alu instid0(VALU_DEP_4) | instskip(NEXT) | instid1(VALU_DEP_2)
	v_add3_u32 v34, v34, v38, v37
	v_add3_u32 v36, v36, v40, v39
	s_delay_alu instid0(VALU_DEP_2) | instskip(NEXT) | instid1(VALU_DEP_2)
	v_lshlrev_b64 v[33:34], 1, v[33:34]
	v_lshlrev_b64 v[37:38], 1, v[35:36]
	s_delay_alu instid0(VALU_DEP_2) | instskip(NEXT) | instid1(VALU_DEP_3)
	v_add_co_u32 v35, vcc_lo, s20, v33
	v_add_co_ci_u32_e32 v36, vcc_lo, s21, v34, vcc_lo
	s_delay_alu instid0(VALU_DEP_3) | instskip(NEXT) | instid1(VALU_DEP_4)
	v_add_co_u32 v33, vcc_lo, s20, v37
	v_add_co_ci_u32_e32 v34, vcc_lo, s21, v38, vcc_lo
	s_clause 0x1
	global_load_u16 v37, v[35:36], off
	global_load_u16 v38, v[33:34], off
	s_waitcnt vmcnt(0)
	v_cmpx_eq_f16_e32 v37, v38
	s_cbranch_execz .LBB1357_323
; %bb.317:
	v_add_co_u32 v33, vcc_lo, v33, 2
	v_add_co_ci_u32_e32 v34, vcc_lo, 0, v34, vcc_lo
	v_add_co_u32 v35, vcc_lo, v35, 2
	v_add_co_ci_u32_e32 v36, vcc_lo, 0, v36, vcc_lo
	s_add_u32 s4, s14, -1
	s_addc_u32 s5, s15, -1
	s_mov_b64 s[6:7], 0
	s_mov_b32 s35, 0
                                        ; implicit-def: $sgpr36
	s_set_inst_prefetch_distance 0x1
	s_branch .LBB1357_320
	.p2align	6
.LBB1357_318:                           ;   in Loop: Header=BB1357_320 Depth=1
	global_load_u16 v37, v[35:36], off
	global_load_u16 v38, v[33:34], off
	v_add_co_u32 v33, vcc_lo, v33, 2
	v_add_co_ci_u32_e32 v34, vcc_lo, 0, v34, vcc_lo
	v_add_co_u32 v35, s0, v35, 2
	s_delay_alu instid0(VALU_DEP_1)
	v_add_co_ci_u32_e64 v36, s0, 0, v36, s0
	s_add_u32 s6, s6, 1
	s_addc_u32 s7, s7, 0
	s_and_not1_b32 s0, s36, exec_lo
	s_waitcnt vmcnt(0)
	v_cmp_neq_f16_e32 vcc_lo, v37, v38
	s_and_b32 s36, vcc_lo, exec_lo
	s_delay_alu instid0(SALU_CYCLE_1)
	s_or_b32 s36, s0, s36
.LBB1357_319:                           ;   in Loop: Header=BB1357_320 Depth=1
	v_dual_mov_b32 v38, s7 :: v_dual_mov_b32 v37, s6
	s_and_b32 s0, exec_lo, s36
	s_delay_alu instid0(SALU_CYCLE_1) | instskip(NEXT) | instid1(SALU_CYCLE_1)
	s_or_b32 s35, s0, s35
	s_and_not1_b32 exec_lo, exec_lo, s35
	s_cbranch_execz .LBB1357_322
.LBB1357_320:                           ; =>This Inner Loop Header: Depth=1
	s_or_b32 s36, s36, exec_lo
	s_cmp_eq_u64 s[4:5], s[6:7]
	s_cbranch_scc0 .LBB1357_318
; %bb.321:                              ;   in Loop: Header=BB1357_320 Depth=1
	s_mov_b64 s[6:7], s[14:15]
                                        ; implicit-def: $vgpr33_vgpr34
                                        ; implicit-def: $vgpr35_vgpr36
	s_branch .LBB1357_319
.LBB1357_322:
	s_set_inst_prefetch_distance 0x2
	s_or_b32 exec_lo, exec_lo, s35
	v_cmp_gt_i64_e32 vcc_lo, s[14:15], v[37:38]
	s_or_not1_b32 s0, vcc_lo, exec_lo
.LBB1357_323:
	s_or_b32 exec_lo, exec_lo, s27
.LBB1357_324:
	s_delay_alu instid0(SALU_CYCLE_1)
	s_and_b32 s27, s0, exec_lo
.LBB1357_325:
	s_or_b32 exec_lo, exec_lo, s34
	v_or_b32_e32 v33, 4, v55
	s_mov_b32 s34, exec_lo
	s_delay_alu instid0(VALU_DEP_1)
	v_cmpx_gt_u32_e64 s31, v33
	s_cbranch_execz .LBB1357_336
; %bb.326:
	s_and_not1_b32 vcc_lo, exec_lo, s13
	s_mov_b32 s0, 0
	s_cbranch_vccnz .LBB1357_335
; %bb.327:
	v_mul_lo_u32 v37, v28, s14
	v_mul_lo_u32 v38, v27, s15
	v_mad_u64_u32 v[33:34], null, v27, s14, 0
	v_mul_lo_u32 v39, v22, s14
	v_mul_lo_u32 v40, v21, s15
	v_mad_u64_u32 v[35:36], null, v21, s14, 0
	s_mov_b32 s0, -1
	s_mov_b32 s26, exec_lo
	s_delay_alu instid0(VALU_DEP_4) | instskip(NEXT) | instid1(VALU_DEP_2)
	v_add3_u32 v34, v34, v38, v37
	v_add3_u32 v36, v36, v40, v39
	s_delay_alu instid0(VALU_DEP_2) | instskip(NEXT) | instid1(VALU_DEP_2)
	v_lshlrev_b64 v[33:34], 1, v[33:34]
	v_lshlrev_b64 v[37:38], 1, v[35:36]
	s_delay_alu instid0(VALU_DEP_2) | instskip(NEXT) | instid1(VALU_DEP_3)
	v_add_co_u32 v35, vcc_lo, s20, v33
	v_add_co_ci_u32_e32 v36, vcc_lo, s21, v34, vcc_lo
	s_delay_alu instid0(VALU_DEP_3) | instskip(NEXT) | instid1(VALU_DEP_4)
	v_add_co_u32 v33, vcc_lo, s20, v37
	v_add_co_ci_u32_e32 v34, vcc_lo, s21, v38, vcc_lo
	s_clause 0x1
	global_load_u16 v37, v[35:36], off
	global_load_u16 v38, v[33:34], off
	s_waitcnt vmcnt(0)
	v_cmpx_eq_f16_e32 v37, v38
	s_cbranch_execz .LBB1357_334
; %bb.328:
	v_add_co_u32 v33, vcc_lo, v33, 2
	v_add_co_ci_u32_e32 v34, vcc_lo, 0, v34, vcc_lo
	v_add_co_u32 v35, vcc_lo, v35, 2
	v_add_co_ci_u32_e32 v36, vcc_lo, 0, v36, vcc_lo
	s_add_u32 s4, s14, -1
	s_addc_u32 s5, s15, -1
	s_mov_b64 s[6:7], 0
	s_mov_b32 s35, 0
                                        ; implicit-def: $sgpr36
	s_set_inst_prefetch_distance 0x1
	s_branch .LBB1357_331
	.p2align	6
.LBB1357_329:                           ;   in Loop: Header=BB1357_331 Depth=1
	global_load_u16 v37, v[35:36], off
	global_load_u16 v38, v[33:34], off
	v_add_co_u32 v33, vcc_lo, v33, 2
	v_add_co_ci_u32_e32 v34, vcc_lo, 0, v34, vcc_lo
	v_add_co_u32 v35, s0, v35, 2
	s_delay_alu instid0(VALU_DEP_1)
	v_add_co_ci_u32_e64 v36, s0, 0, v36, s0
	s_add_u32 s6, s6, 1
	s_addc_u32 s7, s7, 0
	s_and_not1_b32 s0, s36, exec_lo
	s_waitcnt vmcnt(0)
	v_cmp_neq_f16_e32 vcc_lo, v37, v38
	s_and_b32 s36, vcc_lo, exec_lo
	s_delay_alu instid0(SALU_CYCLE_1)
	s_or_b32 s36, s0, s36
.LBB1357_330:                           ;   in Loop: Header=BB1357_331 Depth=1
	v_dual_mov_b32 v38, s7 :: v_dual_mov_b32 v37, s6
	s_and_b32 s0, exec_lo, s36
	s_delay_alu instid0(SALU_CYCLE_1) | instskip(NEXT) | instid1(SALU_CYCLE_1)
	s_or_b32 s35, s0, s35
	s_and_not1_b32 exec_lo, exec_lo, s35
	s_cbranch_execz .LBB1357_333
.LBB1357_331:                           ; =>This Inner Loop Header: Depth=1
	s_or_b32 s36, s36, exec_lo
	s_cmp_eq_u64 s[4:5], s[6:7]
	s_cbranch_scc0 .LBB1357_329
; %bb.332:                              ;   in Loop: Header=BB1357_331 Depth=1
	s_mov_b64 s[6:7], s[14:15]
                                        ; implicit-def: $vgpr33_vgpr34
                                        ; implicit-def: $vgpr35_vgpr36
	s_branch .LBB1357_330
.LBB1357_333:
	s_set_inst_prefetch_distance 0x2
	s_or_b32 exec_lo, exec_lo, s35
	v_cmp_gt_i64_e32 vcc_lo, s[14:15], v[37:38]
	s_or_not1_b32 s0, vcc_lo, exec_lo
.LBB1357_334:
	s_or_b32 exec_lo, exec_lo, s26
.LBB1357_335:
	s_delay_alu instid0(SALU_CYCLE_1)
	s_and_b32 s26, s0, exec_lo
.LBB1357_336:
	s_or_b32 exec_lo, exec_lo, s34
	v_or_b32_e32 v33, 3, v55
	s_mov_b32 s35, 0
	s_mov_b32 s34, 0
	s_mov_b32 s36, exec_lo
	s_delay_alu instid0(VALU_DEP_1)
	v_cmpx_gt_u32_e64 s31, v33
	s_cbranch_execz .LBB1357_347
; %bb.337:
	s_and_not1_b32 vcc_lo, exec_lo, s13
	s_mov_b32 s0, 0
	s_cbranch_vccnz .LBB1357_346
; %bb.338:
	v_mul_lo_u32 v37, v26, s14
	v_mul_lo_u32 v38, v25, s15
	v_mad_u64_u32 v[33:34], null, v25, s14, 0
	v_mul_lo_u32 v39, v28, s14
	v_mul_lo_u32 v40, v27, s15
	v_mad_u64_u32 v[35:36], null, v27, s14, 0
	s_mov_b32 s0, -1
	s_mov_b32 s34, exec_lo
	s_delay_alu instid0(VALU_DEP_4) | instskip(NEXT) | instid1(VALU_DEP_2)
	v_add3_u32 v34, v34, v38, v37
	v_add3_u32 v36, v36, v40, v39
	s_delay_alu instid0(VALU_DEP_2) | instskip(NEXT) | instid1(VALU_DEP_2)
	v_lshlrev_b64 v[33:34], 1, v[33:34]
	v_lshlrev_b64 v[37:38], 1, v[35:36]
	s_delay_alu instid0(VALU_DEP_2) | instskip(NEXT) | instid1(VALU_DEP_3)
	v_add_co_u32 v35, vcc_lo, s20, v33
	v_add_co_ci_u32_e32 v36, vcc_lo, s21, v34, vcc_lo
	s_delay_alu instid0(VALU_DEP_3) | instskip(NEXT) | instid1(VALU_DEP_4)
	v_add_co_u32 v33, vcc_lo, s20, v37
	v_add_co_ci_u32_e32 v34, vcc_lo, s21, v38, vcc_lo
	s_clause 0x1
	global_load_u16 v37, v[35:36], off
	global_load_u16 v38, v[33:34], off
	s_waitcnt vmcnt(0)
	v_cmpx_eq_f16_e32 v37, v38
	s_cbranch_execz .LBB1357_345
; %bb.339:
	v_add_co_u32 v33, vcc_lo, v33, 2
	v_add_co_ci_u32_e32 v34, vcc_lo, 0, v34, vcc_lo
	v_add_co_u32 v35, vcc_lo, v35, 2
	v_add_co_ci_u32_e32 v36, vcc_lo, 0, v36, vcc_lo
	s_add_u32 s4, s14, -1
	s_addc_u32 s5, s15, -1
	s_mov_b64 s[6:7], 0
	s_mov_b32 s37, 0
                                        ; implicit-def: $sgpr38
	s_set_inst_prefetch_distance 0x1
	s_branch .LBB1357_342
	.p2align	6
.LBB1357_340:                           ;   in Loop: Header=BB1357_342 Depth=1
	global_load_u16 v37, v[35:36], off
	global_load_u16 v38, v[33:34], off
	v_add_co_u32 v33, vcc_lo, v33, 2
	v_add_co_ci_u32_e32 v34, vcc_lo, 0, v34, vcc_lo
	v_add_co_u32 v35, s0, v35, 2
	s_delay_alu instid0(VALU_DEP_1)
	v_add_co_ci_u32_e64 v36, s0, 0, v36, s0
	s_add_u32 s6, s6, 1
	s_addc_u32 s7, s7, 0
	s_and_not1_b32 s0, s38, exec_lo
	s_waitcnt vmcnt(0)
	v_cmp_neq_f16_e32 vcc_lo, v37, v38
	s_and_b32 s38, vcc_lo, exec_lo
	s_delay_alu instid0(SALU_CYCLE_1)
	s_or_b32 s38, s0, s38
.LBB1357_341:                           ;   in Loop: Header=BB1357_342 Depth=1
	v_dual_mov_b32 v38, s7 :: v_dual_mov_b32 v37, s6
	s_and_b32 s0, exec_lo, s38
	s_delay_alu instid0(SALU_CYCLE_1) | instskip(NEXT) | instid1(SALU_CYCLE_1)
	s_or_b32 s37, s0, s37
	s_and_not1_b32 exec_lo, exec_lo, s37
	s_cbranch_execz .LBB1357_344
.LBB1357_342:                           ; =>This Inner Loop Header: Depth=1
	s_or_b32 s38, s38, exec_lo
	s_cmp_eq_u64 s[4:5], s[6:7]
	s_cbranch_scc0 .LBB1357_340
; %bb.343:                              ;   in Loop: Header=BB1357_342 Depth=1
	s_mov_b64 s[6:7], s[14:15]
                                        ; implicit-def: $vgpr33_vgpr34
                                        ; implicit-def: $vgpr35_vgpr36
	s_branch .LBB1357_341
.LBB1357_344:
	s_set_inst_prefetch_distance 0x2
	s_or_b32 exec_lo, exec_lo, s37
	v_cmp_gt_i64_e32 vcc_lo, s[14:15], v[37:38]
	s_or_not1_b32 s0, vcc_lo, exec_lo
.LBB1357_345:
	s_or_b32 exec_lo, exec_lo, s34
.LBB1357_346:
	s_delay_alu instid0(SALU_CYCLE_1)
	s_and_b32 s34, s0, exec_lo
.LBB1357_347:
	s_or_b32 exec_lo, exec_lo, s36
	v_or_b32_e32 v33, 2, v55
	s_mov_b32 s36, exec_lo
	s_delay_alu instid0(VALU_DEP_1)
	v_cmpx_gt_u32_e64 s31, v33
	s_cbranch_execz .LBB1357_358
; %bb.348:
	s_and_not1_b32 vcc_lo, exec_lo, s13
	s_mov_b32 s0, 0
	s_cbranch_vccnz .LBB1357_357
; %bb.349:
	v_mul_lo_u32 v37, v32, s14
	v_mul_lo_u32 v38, v31, s15
	v_mad_u64_u32 v[33:34], null, v31, s14, 0
	v_mul_lo_u32 v39, v26, s14
	v_mul_lo_u32 v40, v25, s15
	v_mad_u64_u32 v[35:36], null, v25, s14, 0
	s_mov_b32 s0, -1
	s_mov_b32 s35, exec_lo
	s_delay_alu instid0(VALU_DEP_4) | instskip(NEXT) | instid1(VALU_DEP_2)
	v_add3_u32 v34, v34, v38, v37
	v_add3_u32 v36, v36, v40, v39
	s_delay_alu instid0(VALU_DEP_2) | instskip(NEXT) | instid1(VALU_DEP_2)
	v_lshlrev_b64 v[33:34], 1, v[33:34]
	v_lshlrev_b64 v[37:38], 1, v[35:36]
	s_delay_alu instid0(VALU_DEP_2) | instskip(NEXT) | instid1(VALU_DEP_3)
	v_add_co_u32 v35, vcc_lo, s20, v33
	v_add_co_ci_u32_e32 v36, vcc_lo, s21, v34, vcc_lo
	s_delay_alu instid0(VALU_DEP_3) | instskip(NEXT) | instid1(VALU_DEP_4)
	v_add_co_u32 v33, vcc_lo, s20, v37
	v_add_co_ci_u32_e32 v34, vcc_lo, s21, v38, vcc_lo
	s_clause 0x1
	global_load_u16 v37, v[35:36], off
	global_load_u16 v38, v[33:34], off
	s_waitcnt vmcnt(0)
	v_cmpx_eq_f16_e32 v37, v38
	s_cbranch_execz .LBB1357_356
; %bb.350:
	v_add_co_u32 v33, vcc_lo, v33, 2
	v_add_co_ci_u32_e32 v34, vcc_lo, 0, v34, vcc_lo
	v_add_co_u32 v35, vcc_lo, v35, 2
	v_add_co_ci_u32_e32 v36, vcc_lo, 0, v36, vcc_lo
	s_add_u32 s4, s14, -1
	s_addc_u32 s5, s15, -1
	s_mov_b64 s[6:7], 0
	s_mov_b32 s37, 0
                                        ; implicit-def: $sgpr38
	s_set_inst_prefetch_distance 0x1
	s_branch .LBB1357_353
	.p2align	6
.LBB1357_351:                           ;   in Loop: Header=BB1357_353 Depth=1
	global_load_u16 v37, v[35:36], off
	global_load_u16 v38, v[33:34], off
	v_add_co_u32 v33, vcc_lo, v33, 2
	v_add_co_ci_u32_e32 v34, vcc_lo, 0, v34, vcc_lo
	v_add_co_u32 v35, s0, v35, 2
	s_delay_alu instid0(VALU_DEP_1)
	v_add_co_ci_u32_e64 v36, s0, 0, v36, s0
	s_add_u32 s6, s6, 1
	s_addc_u32 s7, s7, 0
	s_and_not1_b32 s0, s38, exec_lo
	s_waitcnt vmcnt(0)
	v_cmp_neq_f16_e32 vcc_lo, v37, v38
	s_and_b32 s38, vcc_lo, exec_lo
	s_delay_alu instid0(SALU_CYCLE_1)
	s_or_b32 s38, s0, s38
.LBB1357_352:                           ;   in Loop: Header=BB1357_353 Depth=1
	v_dual_mov_b32 v38, s7 :: v_dual_mov_b32 v37, s6
	s_and_b32 s0, exec_lo, s38
	s_delay_alu instid0(SALU_CYCLE_1) | instskip(NEXT) | instid1(SALU_CYCLE_1)
	s_or_b32 s37, s0, s37
	s_and_not1_b32 exec_lo, exec_lo, s37
	s_cbranch_execz .LBB1357_355
.LBB1357_353:                           ; =>This Inner Loop Header: Depth=1
	s_or_b32 s38, s38, exec_lo
	s_cmp_eq_u64 s[4:5], s[6:7]
	s_cbranch_scc0 .LBB1357_351
; %bb.354:                              ;   in Loop: Header=BB1357_353 Depth=1
	s_mov_b64 s[6:7], s[14:15]
                                        ; implicit-def: $vgpr33_vgpr34
                                        ; implicit-def: $vgpr35_vgpr36
	s_branch .LBB1357_352
.LBB1357_355:
	s_set_inst_prefetch_distance 0x2
	s_or_b32 exec_lo, exec_lo, s37
	v_cmp_gt_i64_e32 vcc_lo, s[14:15], v[37:38]
	s_or_not1_b32 s0, vcc_lo, exec_lo
.LBB1357_356:
	s_or_b32 exec_lo, exec_lo, s35
.LBB1357_357:
	s_delay_alu instid0(SALU_CYCLE_1)
	s_and_b32 s35, s0, exec_lo
.LBB1357_358:
	s_or_b32 exec_lo, exec_lo, s36
	v_or_b32_e32 v33, 1, v55
	s_mov_b32 s0, 0
	s_mov_b32 s36, exec_lo
	s_delay_alu instid0(VALU_DEP_1)
	v_cmpx_gt_u32_e64 s31, v33
	s_cbranch_execz .LBB1357_369
; %bb.359:
	s_and_not1_b32 vcc_lo, exec_lo, s13
	s_cbranch_vccnz .LBB1357_368
; %bb.360:
	v_mul_lo_u32 v37, v30, s14
	v_mul_lo_u32 v38, v29, s15
	v_mad_u64_u32 v[33:34], null, v29, s14, 0
	v_mul_lo_u32 v39, v32, s14
	v_mul_lo_u32 v40, v31, s15
	v_mad_u64_u32 v[35:36], null, v31, s14, 0
	s_mov_b32 s0, -1
	s_mov_b32 s37, exec_lo
	s_delay_alu instid0(VALU_DEP_4) | instskip(NEXT) | instid1(VALU_DEP_2)
	v_add3_u32 v34, v34, v38, v37
	v_add3_u32 v36, v36, v40, v39
	s_delay_alu instid0(VALU_DEP_2) | instskip(NEXT) | instid1(VALU_DEP_2)
	v_lshlrev_b64 v[33:34], 1, v[33:34]
	v_lshlrev_b64 v[37:38], 1, v[35:36]
	s_delay_alu instid0(VALU_DEP_2) | instskip(NEXT) | instid1(VALU_DEP_3)
	v_add_co_u32 v35, vcc_lo, s20, v33
	v_add_co_ci_u32_e32 v36, vcc_lo, s21, v34, vcc_lo
	s_delay_alu instid0(VALU_DEP_3) | instskip(NEXT) | instid1(VALU_DEP_4)
	v_add_co_u32 v33, vcc_lo, s20, v37
	v_add_co_ci_u32_e32 v34, vcc_lo, s21, v38, vcc_lo
	s_clause 0x1
	global_load_u16 v37, v[35:36], off
	global_load_u16 v38, v[33:34], off
	s_waitcnt vmcnt(0)
	v_cmpx_eq_f16_e32 v37, v38
	s_cbranch_execz .LBB1357_367
; %bb.361:
	v_add_co_u32 v33, vcc_lo, v33, 2
	v_add_co_ci_u32_e32 v34, vcc_lo, 0, v34, vcc_lo
	v_add_co_u32 v35, vcc_lo, v35, 2
	v_add_co_ci_u32_e32 v36, vcc_lo, 0, v36, vcc_lo
	s_add_u32 s4, s14, -1
	s_addc_u32 s5, s15, -1
	s_mov_b64 s[6:7], 0
	s_mov_b32 s38, 0
                                        ; implicit-def: $sgpr39
	s_set_inst_prefetch_distance 0x1
	s_branch .LBB1357_364
	.p2align	6
.LBB1357_362:                           ;   in Loop: Header=BB1357_364 Depth=1
	global_load_u16 v37, v[35:36], off
	global_load_u16 v38, v[33:34], off
	v_add_co_u32 v33, vcc_lo, v33, 2
	v_add_co_ci_u32_e32 v34, vcc_lo, 0, v34, vcc_lo
	v_add_co_u32 v35, s0, v35, 2
	s_delay_alu instid0(VALU_DEP_1)
	v_add_co_ci_u32_e64 v36, s0, 0, v36, s0
	s_add_u32 s6, s6, 1
	s_addc_u32 s7, s7, 0
	s_and_not1_b32 s0, s39, exec_lo
	s_waitcnt vmcnt(0)
	v_cmp_neq_f16_e32 vcc_lo, v37, v38
	s_and_b32 s39, vcc_lo, exec_lo
	s_delay_alu instid0(SALU_CYCLE_1)
	s_or_b32 s39, s0, s39
.LBB1357_363:                           ;   in Loop: Header=BB1357_364 Depth=1
	v_dual_mov_b32 v38, s7 :: v_dual_mov_b32 v37, s6
	s_and_b32 s0, exec_lo, s39
	s_delay_alu instid0(SALU_CYCLE_1) | instskip(NEXT) | instid1(SALU_CYCLE_1)
	s_or_b32 s38, s0, s38
	s_and_not1_b32 exec_lo, exec_lo, s38
	s_cbranch_execz .LBB1357_366
.LBB1357_364:                           ; =>This Inner Loop Header: Depth=1
	s_or_b32 s39, s39, exec_lo
	s_cmp_eq_u64 s[4:5], s[6:7]
	s_cbranch_scc0 .LBB1357_362
; %bb.365:                              ;   in Loop: Header=BB1357_364 Depth=1
	s_mov_b64 s[6:7], s[14:15]
                                        ; implicit-def: $vgpr33_vgpr34
                                        ; implicit-def: $vgpr35_vgpr36
	s_branch .LBB1357_363
.LBB1357_366:
	s_set_inst_prefetch_distance 0x2
	s_or_b32 exec_lo, exec_lo, s38
	v_cmp_gt_i64_e32 vcc_lo, s[14:15], v[37:38]
	s_or_not1_b32 s0, vcc_lo, exec_lo
.LBB1357_367:
	s_or_b32 exec_lo, exec_lo, s37
.LBB1357_368:
	s_delay_alu instid0(SALU_CYCLE_1)
	s_and_b32 s0, s0, exec_lo
.LBB1357_369:
	s_or_b32 exec_lo, exec_lo, s36
	v_cndmask_b32_e64 v34, 0, 1, s34
	v_cndmask_b32_e64 v35, 0, 1, s27
	;; [unrolled: 1-line block ×7, first 2 shown]
	v_lshlrev_b16 v35, 8, v35
	v_lshlrev_b16 v36, 8, v36
	;; [unrolled: 1-line block ×4, first 2 shown]
	s_waitcnt lgkmcnt(0)
	v_or_b32_e32 v35, v38, v35
	v_or_b32_e32 v36, v39, v36
	;; [unrolled: 1-line block ×4, first 2 shown]
	s_barrier
	v_and_b32_e32 v34, 0xffff, v35
	v_lshlrev_b32_e32 v35, 16, v36
	v_and_b32_e32 v37, 0xffff, v37
	v_lshlrev_b32_e32 v33, 16, v33
	buffer_gl0_inv
                                        ; implicit-def: $sgpr0
	v_or_b32_e32 v36, v34, v35
	v_or_b32_e32 v35, v37, v33
	s_and_saveexec_b32 s24, s3
	s_cbranch_execz .LBB1357_382
; %bb.370:
	s_mov_b32 s0, 0
	s_mov_b32 s3, exec_lo
	v_cmpx_gt_u32_e64 s31, v55
	s_cbranch_execz .LBB1357_381
; %bb.371:
	s_and_not1_b32 vcc_lo, exec_lo, s13
	s_cbranch_vccnz .LBB1357_380
; %bb.372:
	v_add_nc_u32_e32 v33, -8, v55
	v_mul_lo_u32 v41, v30, s14
	v_mul_lo_u32 v42, v29, s15
	s_mov_b32 s0, -1
	s_mov_b32 s13, exec_lo
	ds_load_b64 v[33:34], v33
	s_waitcnt lgkmcnt(0)
	v_mul_lo_u32 v39, v34, s14
	v_mul_lo_u32 v40, v33, s15
	v_mad_u64_u32 v[37:38], null, v33, s14, 0
	v_mad_u64_u32 v[33:34], null, v29, s14, 0
	s_delay_alu instid0(VALU_DEP_2) | instskip(NEXT) | instid1(VALU_DEP_2)
	v_add3_u32 v38, v38, v40, v39
	v_add3_u32 v34, v34, v42, v41
	s_delay_alu instid0(VALU_DEP_2) | instskip(NEXT) | instid1(VALU_DEP_2)
	v_lshlrev_b64 v[37:38], 1, v[37:38]
	v_lshlrev_b64 v[33:34], 1, v[33:34]
	s_delay_alu instid0(VALU_DEP_2) | instskip(NEXT) | instid1(VALU_DEP_3)
	v_add_co_u32 v37, vcc_lo, s20, v37
	v_add_co_ci_u32_e32 v38, vcc_lo, s21, v38, vcc_lo
	s_delay_alu instid0(VALU_DEP_3) | instskip(NEXT) | instid1(VALU_DEP_4)
	v_add_co_u32 v33, vcc_lo, s20, v33
	v_add_co_ci_u32_e32 v34, vcc_lo, s21, v34, vcc_lo
	s_clause 0x1
	global_load_u16 v39, v[37:38], off
	global_load_u16 v40, v[33:34], off
	s_waitcnt vmcnt(0)
	v_cmpx_eq_f16_e32 v39, v40
	s_cbranch_execz .LBB1357_379
; %bb.373:
	v_add_co_u32 v33, vcc_lo, v33, 2
	v_add_co_ci_u32_e32 v34, vcc_lo, 0, v34, vcc_lo
	v_add_co_u32 v37, vcc_lo, v37, 2
	v_add_co_ci_u32_e32 v38, vcc_lo, 0, v38, vcc_lo
	s_add_u32 s4, s14, -1
	s_addc_u32 s5, s15, -1
	s_mov_b64 s[6:7], 0
	s_mov_b32 s20, 0
                                        ; implicit-def: $sgpr21
	s_set_inst_prefetch_distance 0x1
	s_branch .LBB1357_376
	.p2align	6
.LBB1357_374:                           ;   in Loop: Header=BB1357_376 Depth=1
	global_load_u16 v39, v[37:38], off
	global_load_u16 v40, v[33:34], off
	v_add_co_u32 v33, vcc_lo, v33, 2
	v_add_co_ci_u32_e32 v34, vcc_lo, 0, v34, vcc_lo
	v_add_co_u32 v37, s0, v37, 2
	s_delay_alu instid0(VALU_DEP_1)
	v_add_co_ci_u32_e64 v38, s0, 0, v38, s0
	s_add_u32 s6, s6, 1
	s_addc_u32 s7, s7, 0
	s_and_not1_b32 s0, s21, exec_lo
	s_waitcnt vmcnt(0)
	v_cmp_neq_f16_e32 vcc_lo, v39, v40
	s_and_b32 s21, vcc_lo, exec_lo
	s_delay_alu instid0(SALU_CYCLE_1)
	s_or_b32 s21, s0, s21
.LBB1357_375:                           ;   in Loop: Header=BB1357_376 Depth=1
	v_dual_mov_b32 v40, s7 :: v_dual_mov_b32 v39, s6
	s_and_b32 s0, exec_lo, s21
	s_delay_alu instid0(SALU_CYCLE_1) | instskip(NEXT) | instid1(SALU_CYCLE_1)
	s_or_b32 s20, s0, s20
	s_and_not1_b32 exec_lo, exec_lo, s20
	s_cbranch_execz .LBB1357_378
.LBB1357_376:                           ; =>This Inner Loop Header: Depth=1
	s_or_b32 s21, s21, exec_lo
	s_cmp_eq_u64 s[4:5], s[6:7]
	s_cbranch_scc0 .LBB1357_374
; %bb.377:                              ;   in Loop: Header=BB1357_376 Depth=1
	s_mov_b64 s[6:7], s[14:15]
                                        ; implicit-def: $vgpr33_vgpr34
                                        ; implicit-def: $vgpr37_vgpr38
	s_branch .LBB1357_375
.LBB1357_378:
	s_set_inst_prefetch_distance 0x2
	s_or_b32 exec_lo, exec_lo, s20
	v_cmp_gt_i64_e32 vcc_lo, s[14:15], v[39:40]
	s_or_not1_b32 s0, vcc_lo, exec_lo
.LBB1357_379:
	s_or_b32 exec_lo, exec_lo, s13
.LBB1357_380:
	s_delay_alu instid0(SALU_CYCLE_1)
	s_and_b32 s0, s0, exec_lo
.LBB1357_381:
	s_or_b32 exec_lo, exec_lo, s3
	s_delay_alu instid0(SALU_CYCLE_1)
	s_and_b32 s0, s0, exec_lo
	s_or_b32 s1, s1, exec_lo
.LBB1357_382:
	s_or_b32 exec_lo, exec_lo, s24
.LBB1357_383:
	s_and_saveexec_b32 s3, s1
	s_cbranch_execz .LBB1357_385
; %bb.384:
	s_waitcnt vmcnt(0) lgkmcnt(0)
	v_and_b32_e32 v33, 0xffffff00, v35
	v_cndmask_b32_e64 v34, 0, 1, s0
	s_delay_alu instid0(VALU_DEP_1) | instskip(NEXT) | instid1(VALU_DEP_1)
	v_or_b32_e32 v33, v34, v33
	v_and_b32_e32 v33, 0xffff, v33
	s_delay_alu instid0(VALU_DEP_1)
	v_and_or_b32 v35, 0xffff0000, v35, v33
.LBB1357_385:
	s_or_b32 exec_lo, exec_lo, s3
	s_delay_alu instid0(SALU_CYCLE_1)
	s_and_not1_b32 vcc_lo, exec_lo, s33
	s_cbranch_vccnz .LBB1357_387
; %bb.386:
	v_cmp_gt_u32_e32 vcc_lo, s31, v55
	s_waitcnt vmcnt(0) lgkmcnt(0)
	v_or_b32_e32 v34, 1, v55
	v_and_b32_e32 v37, 0xffffff00, v36
	v_or_b32_e32 v38, 2, v55
	v_cndmask_b32_e32 v33, 0, v35, vcc_lo
	s_delay_alu instid0(VALU_DEP_4) | instskip(SKIP_1) | instid1(VALU_DEP_4)
	v_cmp_gt_u32_e32 vcc_lo, s31, v34
	v_or_b32_e32 v34, 4, v55
	v_cmp_gt_u32_e64 s0, s31, v38
	v_or_b32_e32 v38, 3, v55
	v_and_b32_e32 v33, 0xff, v33
	s_delay_alu instid0(VALU_DEP_2) | instskip(NEXT) | instid1(VALU_DEP_2)
	v_cmp_gt_u32_e64 s1, s31, v38
	v_cndmask_b32_e32 v33, v33, v35, vcc_lo
	v_cmp_gt_u32_e32 vcc_lo, s31, v34
	v_cndmask_b32_e32 v34, v37, v36, vcc_lo
	v_or_b32_e32 v37, 5, v55
	s_delay_alu instid0(VALU_DEP_2) | instskip(SKIP_1) | instid1(VALU_DEP_1)
	v_and_b32_e32 v34, 0xffff00ff, v34
	v_and_b32_e32 v33, 0xffff, v33
	v_cndmask_b32_e64 v33, v33, v35, s0
	s_delay_alu instid0(VALU_DEP_4) | instskip(SKIP_1) | instid1(VALU_DEP_3)
	v_cmp_gt_u32_e64 s0, s31, v37
	v_or_b32_e32 v37, 6, v55
	v_and_b32_e32 v33, 0xffffff, v33
	s_delay_alu instid0(VALU_DEP_3) | instskip(NEXT) | instid1(VALU_DEP_2)
	v_cndmask_b32_e64 v34, v34, v36, s0
	v_cndmask_b32_e64 v33, v33, v35, s1
	s_delay_alu instid0(VALU_DEP_1) | instskip(SKIP_2) | instid1(VALU_DEP_3)
	v_dual_cndmask_b32 v33, v33, v35 :: v_dual_and_b32 v34, 0xff00ffff, v34
	v_cmp_gt_u32_e32 vcc_lo, s31, v37
	v_or_b32_e32 v37, 7, v55
	v_cndmask_b32_e64 v33, v33, v35, s0
	s_delay_alu instid0(VALU_DEP_1) | instskip(NEXT) | instid1(VALU_DEP_1)
	v_dual_cndmask_b32 v34, v34, v36 :: v_dual_cndmask_b32 v33, v33, v35
	v_and_b32_e32 v34, 0xffffff, v34
	s_delay_alu instid0(VALU_DEP_4) | instskip(NEXT) | instid1(VALU_DEP_2)
	v_cmp_gt_u32_e32 vcc_lo, s31, v37
	v_dual_cndmask_b32 v36, v34, v36 :: v_dual_cndmask_b32 v35, v33, v35
.LBB1357_387:
	s_delay_alu instid0(VALU_DEP_1) | instskip(SKIP_1) | instid1(VALU_DEP_2)
	v_and_b32_e32 v44, 0xff, v35
	s_waitcnt vmcnt(0) lgkmcnt(0)
	v_alignbit_b32 v33, v36, v35, 24
	v_bfe_u32 v46, v35, 8, 8
	v_bfe_u32 v48, v35, 16, 8
	v_and_b32_e32 v52, 0xff, v36
	v_bfe_u32 v54, v36, 8, 8
	v_and_b32_e32 v50, 0xff, v33
	v_add_nc_u32_e32 v33, v46, v44
	v_mbcnt_lo_u32_b32 v58, -1, 0
	v_bfe_u32 v57, v36, 16, 8
	v_lshrrev_b32_e32 v56, 24, v36
	v_lshrrev_b32_e32 v59, 5, v0
	v_add3_u32 v33, v33, v48, v50
	v_and_b32_e32 v34, 15, v58
	v_and_b32_e32 v37, 16, v58
	s_and_b32 vcc_lo, exec_lo, s12
	s_mov_b32 s7, -1
	v_add3_u32 v33, v33, v52, v54
	v_cmp_eq_u32_e64 s3, 0, v34
	v_cmp_lt_u32_e64 s0, 1, v34
	v_cmp_lt_u32_e64 s4, 3, v34
	;; [unrolled: 1-line block ×3, first 2 shown]
	v_add3_u32 v60, v33, v57, v56
	v_or_b32_e32 v33, 31, v0
	v_cmp_eq_u32_e64 s6, 0, v37
	s_barrier
	buffer_gl0_inv
	v_cmp_eq_u32_e64 s5, v33, v0
	s_cbranch_vccz .LBB1357_413
; %bb.388:
	v_mov_b32_dpp v33, v60 row_shr:1 row_mask:0xf bank_mask:0xf
	s_delay_alu instid0(VALU_DEP_1) | instskip(NEXT) | instid1(VALU_DEP_1)
	v_cndmask_b32_e64 v33, v33, 0, s3
	v_add_nc_u32_e32 v33, v33, v60
	s_delay_alu instid0(VALU_DEP_1) | instskip(NEXT) | instid1(VALU_DEP_1)
	v_mov_b32_dpp v34, v33 row_shr:2 row_mask:0xf bank_mask:0xf
	v_cndmask_b32_e64 v34, 0, v34, s0
	s_delay_alu instid0(VALU_DEP_1) | instskip(NEXT) | instid1(VALU_DEP_1)
	v_add_nc_u32_e32 v33, v33, v34
	v_mov_b32_dpp v34, v33 row_shr:4 row_mask:0xf bank_mask:0xf
	s_delay_alu instid0(VALU_DEP_1) | instskip(NEXT) | instid1(VALU_DEP_1)
	v_cndmask_b32_e64 v34, 0, v34, s4
	v_add_nc_u32_e32 v33, v33, v34
	s_delay_alu instid0(VALU_DEP_1) | instskip(NEXT) | instid1(VALU_DEP_1)
	v_mov_b32_dpp v34, v33 row_shr:8 row_mask:0xf bank_mask:0xf
	v_cndmask_b32_e64 v34, 0, v34, s1
	s_delay_alu instid0(VALU_DEP_1) | instskip(SKIP_3) | instid1(VALU_DEP_1)
	v_add_nc_u32_e32 v33, v33, v34
	ds_swizzle_b32 v34, v33 offset:swizzle(BROADCAST,32,15)
	s_waitcnt lgkmcnt(0)
	v_cndmask_b32_e64 v34, v34, 0, s6
	v_add_nc_u32_e32 v33, v33, v34
	s_and_saveexec_b32 s7, s5
	s_cbranch_execz .LBB1357_390
; %bb.389:
	v_lshlrev_b32_e32 v34, 2, v59
	ds_store_b32 v34, v33
.LBB1357_390:
	s_or_b32 exec_lo, exec_lo, s7
	s_delay_alu instid0(SALU_CYCLE_1)
	s_mov_b32 s7, exec_lo
	s_waitcnt lgkmcnt(0)
	s_barrier
	buffer_gl0_inv
	v_cmpx_gt_u32_e32 16, v0
	s_cbranch_execz .LBB1357_392
; %bb.391:
	v_lshlrev_b32_e32 v34, 2, v0
	ds_load_b32 v37, v34
	s_waitcnt lgkmcnt(0)
	v_mov_b32_dpp v38, v37 row_shr:1 row_mask:0xf bank_mask:0xf
	s_delay_alu instid0(VALU_DEP_1) | instskip(NEXT) | instid1(VALU_DEP_1)
	v_cndmask_b32_e64 v38, v38, 0, s3
	v_add_nc_u32_e32 v37, v38, v37
	s_delay_alu instid0(VALU_DEP_1) | instskip(NEXT) | instid1(VALU_DEP_1)
	v_mov_b32_dpp v38, v37 row_shr:2 row_mask:0xf bank_mask:0xf
	v_cndmask_b32_e64 v38, 0, v38, s0
	s_delay_alu instid0(VALU_DEP_1) | instskip(NEXT) | instid1(VALU_DEP_1)
	v_add_nc_u32_e32 v37, v37, v38
	v_mov_b32_dpp v38, v37 row_shr:4 row_mask:0xf bank_mask:0xf
	s_delay_alu instid0(VALU_DEP_1) | instskip(NEXT) | instid1(VALU_DEP_1)
	v_cndmask_b32_e64 v38, 0, v38, s4
	v_add_nc_u32_e32 v37, v37, v38
	s_delay_alu instid0(VALU_DEP_1) | instskip(NEXT) | instid1(VALU_DEP_1)
	v_mov_b32_dpp v38, v37 row_shr:8 row_mask:0xf bank_mask:0xf
	v_cndmask_b32_e64 v38, 0, v38, s1
	s_delay_alu instid0(VALU_DEP_1)
	v_add_nc_u32_e32 v37, v37, v38
	ds_store_b32 v34, v37
.LBB1357_392:
	s_or_b32 exec_lo, exec_lo, s7
	v_cmp_gt_u32_e32 vcc_lo, 32, v0
	s_mov_b32 s12, exec_lo
	s_waitcnt lgkmcnt(0)
	s_barrier
	buffer_gl0_inv
                                        ; implicit-def: $vgpr43
	v_cmpx_lt_u32_e32 31, v0
	s_cbranch_execz .LBB1357_394
; %bb.393:
	v_lshl_add_u32 v34, v59, 2, -4
	ds_load_b32 v43, v34
	s_waitcnt lgkmcnt(0)
	v_add_nc_u32_e32 v33, v43, v33
.LBB1357_394:
	s_or_b32 exec_lo, exec_lo, s12
	v_add_nc_u32_e32 v34, -1, v58
	s_delay_alu instid0(VALU_DEP_1) | instskip(NEXT) | instid1(VALU_DEP_1)
	v_cmp_gt_i32_e64 s7, 0, v34
	v_cndmask_b32_e64 v34, v34, v58, s7
	v_cmp_eq_u32_e64 s7, 0, v58
	s_delay_alu instid0(VALU_DEP_2)
	v_lshlrev_b32_e32 v34, 2, v34
	ds_bpermute_b32 v45, v34, v33
	s_and_saveexec_b32 s12, vcc_lo
	s_cbranch_execz .LBB1357_412
; %bb.395:
	v_mov_b32_e32 v39, 0
	ds_load_b32 v33, v39 offset:60
	s_and_saveexec_b32 s13, s7
	s_cbranch_execz .LBB1357_397
; %bb.396:
	s_add_i32 s14, s30, 32
	s_mov_b32 s15, 0
	v_mov_b32_e32 v34, 1
	s_lshl_b64 s[14:15], s[14:15], 3
	s_delay_alu instid0(SALU_CYCLE_1)
	s_add_u32 s14, s22, s14
	s_addc_u32 s15, s23, s15
	s_waitcnt lgkmcnt(0)
	global_store_b64 v39, v[33:34], s[14:15]
.LBB1357_397:
	s_or_b32 exec_lo, exec_lo, s13
	v_xad_u32 v37, v58, -1, s30
	s_mov_b32 s14, 0
	s_mov_b32 s13, exec_lo
	s_delay_alu instid0(VALU_DEP_1) | instskip(NEXT) | instid1(VALU_DEP_1)
	v_add_nc_u32_e32 v38, 32, v37
	v_lshlrev_b64 v[38:39], 3, v[38:39]
	s_delay_alu instid0(VALU_DEP_1) | instskip(NEXT) | instid1(VALU_DEP_2)
	v_add_co_u32 v41, vcc_lo, s22, v38
	v_add_co_ci_u32_e32 v42, vcc_lo, s23, v39, vcc_lo
	global_load_b64 v[39:40], v[41:42], off glc
	s_waitcnt vmcnt(0)
	v_and_b32_e32 v34, 0xff, v40
	s_delay_alu instid0(VALU_DEP_1)
	v_cmpx_eq_u16_e32 0, v34
	s_cbranch_execz .LBB1357_400
.LBB1357_398:                           ; =>This Inner Loop Header: Depth=1
	global_load_b64 v[39:40], v[41:42], off glc
	s_waitcnt vmcnt(0)
	v_and_b32_e32 v34, 0xff, v40
	s_delay_alu instid0(VALU_DEP_1) | instskip(SKIP_1) | instid1(SALU_CYCLE_1)
	v_cmp_ne_u16_e32 vcc_lo, 0, v34
	s_or_b32 s14, vcc_lo, s14
	s_and_not1_b32 exec_lo, exec_lo, s14
	s_cbranch_execnz .LBB1357_398
; %bb.399:
	s_or_b32 exec_lo, exec_lo, s14
.LBB1357_400:
	s_delay_alu instid0(SALU_CYCLE_1)
	s_or_b32 exec_lo, exec_lo, s13
	v_cmp_ne_u32_e32 vcc_lo, 31, v58
	v_and_b32_e32 v38, 0xff, v40
	v_lshlrev_b32_e64 v47, v58, -1
	v_add_nc_u32_e32 v51, 2, v58
	v_add_nc_u32_e32 v61, 4, v58
	v_add_co_ci_u32_e32 v34, vcc_lo, 0, v58, vcc_lo
	v_cmp_eq_u16_e32 vcc_lo, 2, v38
	v_add_nc_u32_e32 v64, 8, v58
	v_add_nc_u32_e32 v66, 16, v58
	v_and_or_b32 v38, vcc_lo, v47, 0x80000000
	v_cmp_gt_u32_e32 vcc_lo, 30, v58
	s_delay_alu instid0(VALU_DEP_2) | instskip(SKIP_1) | instid1(VALU_DEP_2)
	v_ctz_i32_b32_e32 v38, v38
	v_cndmask_b32_e64 v42, 0, 1, vcc_lo
	v_cmp_lt_u32_e32 vcc_lo, v58, v38
	v_lshlrev_b32_e32 v34, 2, v34
	s_delay_alu instid0(VALU_DEP_3)
	v_lshlrev_b32_e32 v42, 1, v42
	ds_bpermute_b32 v41, v34, v39
	v_add_lshl_u32 v49, v42, v58, 2
	s_waitcnt lgkmcnt(0)
	v_cndmask_b32_e32 v41, 0, v41, vcc_lo
	v_cmp_gt_u32_e32 vcc_lo, 28, v58
	s_delay_alu instid0(VALU_DEP_2) | instskip(SKIP_4) | instid1(VALU_DEP_1)
	v_add_nc_u32_e32 v39, v41, v39
	v_cndmask_b32_e64 v42, 0, 1, vcc_lo
	v_cmp_le_u32_e32 vcc_lo, v51, v38
	ds_bpermute_b32 v41, v49, v39
	v_lshlrev_b32_e32 v42, 2, v42
	v_add_lshl_u32 v53, v42, v58, 2
	s_waitcnt lgkmcnt(0)
	v_cndmask_b32_e32 v41, 0, v41, vcc_lo
	v_cmp_gt_u32_e32 vcc_lo, 24, v58
	s_delay_alu instid0(VALU_DEP_2) | instskip(SKIP_4) | instid1(VALU_DEP_1)
	v_add_nc_u32_e32 v39, v39, v41
	v_cndmask_b32_e64 v42, 0, 1, vcc_lo
	v_cmp_le_u32_e32 vcc_lo, v61, v38
	ds_bpermute_b32 v41, v53, v39
	v_lshlrev_b32_e32 v42, 3, v42
	;; [unrolled: 10-line block ×3, first 2 shown]
	v_add_lshl_u32 v65, v42, v58, 2
	s_waitcnt lgkmcnt(0)
	v_cndmask_b32_e32 v41, 0, v41, vcc_lo
	v_cmp_le_u32_e32 vcc_lo, v66, v38
	s_delay_alu instid0(VALU_DEP_2) | instskip(SKIP_3) | instid1(VALU_DEP_1)
	v_add_nc_u32_e32 v39, v39, v41
	ds_bpermute_b32 v41, v65, v39
	s_waitcnt lgkmcnt(0)
	v_cndmask_b32_e32 v38, 0, v41, vcc_lo
	v_dual_mov_b32 v38, 0 :: v_dual_add_nc_u32 v39, v39, v38
	s_branch .LBB1357_402
.LBB1357_401:                           ;   in Loop: Header=BB1357_402 Depth=1
	s_or_b32 exec_lo, exec_lo, s13
	ds_bpermute_b32 v42, v34, v39
	v_and_b32_e32 v41, 0xff, v40
	v_subrev_nc_u32_e32 v37, 32, v37
	s_delay_alu instid0(VALU_DEP_2) | instskip(SKIP_1) | instid1(VALU_DEP_1)
	v_cmp_eq_u16_e32 vcc_lo, 2, v41
	v_and_or_b32 v41, vcc_lo, v47, 0x80000000
	v_ctz_i32_b32_e32 v41, v41
	s_delay_alu instid0(VALU_DEP_1) | instskip(SKIP_3) | instid1(VALU_DEP_2)
	v_cmp_lt_u32_e32 vcc_lo, v58, v41
	s_waitcnt lgkmcnt(0)
	v_cndmask_b32_e32 v42, 0, v42, vcc_lo
	v_cmp_le_u32_e32 vcc_lo, v51, v41
	v_add_nc_u32_e32 v39, v42, v39
	ds_bpermute_b32 v42, v49, v39
	s_waitcnt lgkmcnt(0)
	v_cndmask_b32_e32 v42, 0, v42, vcc_lo
	v_cmp_le_u32_e32 vcc_lo, v61, v41
	s_delay_alu instid0(VALU_DEP_2) | instskip(SKIP_4) | instid1(VALU_DEP_2)
	v_add_nc_u32_e32 v39, v39, v42
	ds_bpermute_b32 v42, v53, v39
	s_waitcnt lgkmcnt(0)
	v_cndmask_b32_e32 v42, 0, v42, vcc_lo
	v_cmp_le_u32_e32 vcc_lo, v64, v41
	v_add_nc_u32_e32 v39, v39, v42
	ds_bpermute_b32 v42, v63, v39
	s_waitcnt lgkmcnt(0)
	v_cndmask_b32_e32 v42, 0, v42, vcc_lo
	v_cmp_le_u32_e32 vcc_lo, v66, v41
	s_delay_alu instid0(VALU_DEP_2) | instskip(SKIP_3) | instid1(VALU_DEP_1)
	v_add_nc_u32_e32 v39, v39, v42
	ds_bpermute_b32 v42, v65, v39
	s_waitcnt lgkmcnt(0)
	v_cndmask_b32_e32 v41, 0, v42, vcc_lo
	v_add3_u32 v39, v41, v62, v39
.LBB1357_402:                           ; =>This Loop Header: Depth=1
                                        ;     Child Loop BB1357_405 Depth 2
	v_and_b32_e32 v40, 0xff, v40
	s_delay_alu instid0(VALU_DEP_2) | instskip(NEXT) | instid1(VALU_DEP_2)
	v_mov_b32_e32 v62, v39
	v_cmp_ne_u16_e32 vcc_lo, 2, v40
	v_cndmask_b32_e64 v40, 0, 1, vcc_lo
	;;#ASMSTART
	;;#ASMEND
	s_delay_alu instid0(VALU_DEP_1)
	v_cmp_ne_u32_e32 vcc_lo, 0, v40
	s_cmp_lg_u32 vcc_lo, exec_lo
	s_cbranch_scc1 .LBB1357_407
; %bb.403:                              ;   in Loop: Header=BB1357_402 Depth=1
	v_lshlrev_b64 v[39:40], 3, v[37:38]
	s_mov_b32 s13, exec_lo
	s_delay_alu instid0(VALU_DEP_1) | instskip(NEXT) | instid1(VALU_DEP_2)
	v_add_co_u32 v41, vcc_lo, s22, v39
	v_add_co_ci_u32_e32 v42, vcc_lo, s23, v40, vcc_lo
	global_load_b64 v[39:40], v[41:42], off glc
	s_waitcnt vmcnt(0)
	v_and_b32_e32 v67, 0xff, v40
	s_delay_alu instid0(VALU_DEP_1)
	v_cmpx_eq_u16_e32 0, v67
	s_cbranch_execz .LBB1357_401
; %bb.404:                              ;   in Loop: Header=BB1357_402 Depth=1
	s_mov_b32 s14, 0
.LBB1357_405:                           ;   Parent Loop BB1357_402 Depth=1
                                        ; =>  This Inner Loop Header: Depth=2
	global_load_b64 v[39:40], v[41:42], off glc
	s_waitcnt vmcnt(0)
	v_and_b32_e32 v67, 0xff, v40
	s_delay_alu instid0(VALU_DEP_1) | instskip(SKIP_1) | instid1(SALU_CYCLE_1)
	v_cmp_ne_u16_e32 vcc_lo, 0, v67
	s_or_b32 s14, vcc_lo, s14
	s_and_not1_b32 exec_lo, exec_lo, s14
	s_cbranch_execnz .LBB1357_405
; %bb.406:                              ;   in Loop: Header=BB1357_402 Depth=1
	s_or_b32 exec_lo, exec_lo, s14
	s_branch .LBB1357_401
.LBB1357_407:                           ;   in Loop: Header=BB1357_402 Depth=1
                                        ; implicit-def: $vgpr39
                                        ; implicit-def: $vgpr40
	s_cbranch_execz .LBB1357_402
; %bb.408:
	s_and_saveexec_b32 s13, s7
	s_cbranch_execz .LBB1357_410
; %bb.409:
	s_add_i32 s14, s30, 32
	s_mov_b32 s15, 0
	v_dual_mov_b32 v38, 2 :: v_dual_add_nc_u32 v37, v62, v33
	s_lshl_b64 s[14:15], s[14:15], 3
	v_mov_b32_e32 v34, 0
	v_add_nc_u32_e64 v39, 0x8400, 0
	s_add_u32 s14, s22, s14
	s_addc_u32 s15, s23, s15
	global_store_b64 v34, v[37:38], s[14:15]
	ds_store_2addr_b32 v39, v33, v62 offset1:2
.LBB1357_410:
	s_or_b32 exec_lo, exec_lo, s13
	s_delay_alu instid0(SALU_CYCLE_1)
	s_and_b32 exec_lo, exec_lo, s2
	s_cbranch_execz .LBB1357_412
; %bb.411:
	v_mov_b32_e32 v33, 0
	ds_store_b32 v33, v62 offset:60
.LBB1357_412:
	s_or_b32 exec_lo, exec_lo, s12
	v_mov_b32_e32 v33, 0
	s_waitcnt lgkmcnt(0)
	s_waitcnt_vscnt null, 0x0
	s_barrier
	buffer_gl0_inv
	v_cndmask_b32_e64 v34, v45, v43, s7
	ds_load_b32 v33, v33 offset:60
	s_waitcnt lgkmcnt(0)
	s_barrier
	buffer_gl0_inv
	v_cndmask_b32_e64 v34, v34, 0, s2
	s_delay_alu instid0(VALU_DEP_1) | instskip(SKIP_1) | instid1(VALU_DEP_2)
	v_add_nc_u32_e32 v53, v33, v34
	v_add_nc_u32_e64 v33, 0x8400, 0
	v_add_nc_u32_e32 v51, v53, v44
	ds_load_2addr_b32 v[33:34], v33 offset1:2
	v_add_nc_u32_e32 v49, v51, v46
	s_delay_alu instid0(VALU_DEP_1) | instskip(NEXT) | instid1(VALU_DEP_1)
	v_add_nc_u32_e32 v47, v49, v48
	v_add_nc_u32_e32 v45, v47, v50
	s_delay_alu instid0(VALU_DEP_1) | instskip(SKIP_2) | instid1(VALU_DEP_2)
	v_add_nc_u32_e32 v43, v45, v52
	s_waitcnt lgkmcnt(0)
	v_readfirstlane_b32 s12, v34
	v_add_nc_u32_e32 v41, v43, v54
	s_delay_alu instid0(VALU_DEP_1)
	v_add_nc_u32_e32 v39, v41, v57
	v_lshrrev_b64 v[37:38], 24, v[35:36]
	s_branch .LBB1357_423
.LBB1357_413:
                                        ; implicit-def: $vgpr39
                                        ; implicit-def: $vgpr41
                                        ; implicit-def: $vgpr43
                                        ; implicit-def: $vgpr45
                                        ; implicit-def: $vgpr47
                                        ; implicit-def: $vgpr49
                                        ; implicit-def: $vgpr51
                                        ; implicit-def: $vgpr53
                                        ; implicit-def: $sgpr12
                                        ; implicit-def: $vgpr33
	v_lshrrev_b64 v[37:38], 24, v[35:36]
	s_and_b32 vcc_lo, exec_lo, s7
	s_cbranch_vccz .LBB1357_423
; %bb.414:
	v_mov_b32_dpp v33, v60 row_shr:1 row_mask:0xf bank_mask:0xf
	s_delay_alu instid0(VALU_DEP_1) | instskip(NEXT) | instid1(VALU_DEP_1)
	v_cndmask_b32_e64 v33, v33, 0, s3
	v_add_nc_u32_e32 v33, v33, v60
	s_delay_alu instid0(VALU_DEP_1) | instskip(NEXT) | instid1(VALU_DEP_1)
	v_mov_b32_dpp v34, v33 row_shr:2 row_mask:0xf bank_mask:0xf
	v_cndmask_b32_e64 v34, 0, v34, s0
	s_delay_alu instid0(VALU_DEP_1) | instskip(NEXT) | instid1(VALU_DEP_1)
	v_add_nc_u32_e32 v33, v33, v34
	v_mov_b32_dpp v34, v33 row_shr:4 row_mask:0xf bank_mask:0xf
	s_delay_alu instid0(VALU_DEP_1) | instskip(NEXT) | instid1(VALU_DEP_1)
	v_cndmask_b32_e64 v34, 0, v34, s4
	v_add_nc_u32_e32 v33, v33, v34
	s_delay_alu instid0(VALU_DEP_1) | instskip(NEXT) | instid1(VALU_DEP_1)
	v_mov_b32_dpp v34, v33 row_shr:8 row_mask:0xf bank_mask:0xf
	v_cndmask_b32_e64 v34, 0, v34, s1
	s_delay_alu instid0(VALU_DEP_1) | instskip(SKIP_3) | instid1(VALU_DEP_1)
	v_add_nc_u32_e32 v33, v33, v34
	ds_swizzle_b32 v34, v33 offset:swizzle(BROADCAST,32,15)
	s_waitcnt lgkmcnt(0)
	v_cndmask_b32_e64 v34, v34, 0, s6
	v_add_nc_u32_e32 v33, v33, v34
	s_and_saveexec_b32 s6, s5
	s_cbranch_execz .LBB1357_416
; %bb.415:
	v_lshlrev_b32_e32 v34, 2, v59
	ds_store_b32 v34, v33
.LBB1357_416:
	s_or_b32 exec_lo, exec_lo, s6
	s_delay_alu instid0(SALU_CYCLE_1)
	s_mov_b32 s5, exec_lo
	s_waitcnt lgkmcnt(0)
	s_barrier
	buffer_gl0_inv
	v_cmpx_gt_u32_e32 16, v0
	s_cbranch_execz .LBB1357_418
; %bb.417:
	v_lshlrev_b32_e32 v34, 2, v0
	ds_load_b32 v38, v34
	s_waitcnt lgkmcnt(0)
	v_mov_b32_dpp v39, v38 row_shr:1 row_mask:0xf bank_mask:0xf
	s_delay_alu instid0(VALU_DEP_1) | instskip(NEXT) | instid1(VALU_DEP_1)
	v_cndmask_b32_e64 v39, v39, 0, s3
	v_add_nc_u32_e32 v38, v39, v38
	s_delay_alu instid0(VALU_DEP_1) | instskip(NEXT) | instid1(VALU_DEP_1)
	v_mov_b32_dpp v39, v38 row_shr:2 row_mask:0xf bank_mask:0xf
	v_cndmask_b32_e64 v39, 0, v39, s0
	s_delay_alu instid0(VALU_DEP_1) | instskip(NEXT) | instid1(VALU_DEP_1)
	v_add_nc_u32_e32 v38, v38, v39
	v_mov_b32_dpp v39, v38 row_shr:4 row_mask:0xf bank_mask:0xf
	s_delay_alu instid0(VALU_DEP_1) | instskip(NEXT) | instid1(VALU_DEP_1)
	v_cndmask_b32_e64 v39, 0, v39, s4
	v_add_nc_u32_e32 v38, v38, v39
	s_delay_alu instid0(VALU_DEP_1) | instskip(NEXT) | instid1(VALU_DEP_1)
	v_mov_b32_dpp v39, v38 row_shr:8 row_mask:0xf bank_mask:0xf
	v_cndmask_b32_e64 v39, 0, v39, s1
	s_delay_alu instid0(VALU_DEP_1)
	v_add_nc_u32_e32 v38, v38, v39
	ds_store_b32 v34, v38
.LBB1357_418:
	s_or_b32 exec_lo, exec_lo, s5
	v_mov_b32_e32 v34, 0
	v_mov_b32_e32 v38, 0
	s_mov_b32 s0, exec_lo
	s_waitcnt lgkmcnt(0)
	s_barrier
	buffer_gl0_inv
	v_cmpx_lt_u32_e32 31, v0
	s_cbranch_execz .LBB1357_420
; %bb.419:
	v_lshl_add_u32 v38, v59, 2, -4
	ds_load_b32 v38, v38
.LBB1357_420:
	s_or_b32 exec_lo, exec_lo, s0
	v_add_nc_u32_e32 v39, -1, v58
	s_waitcnt lgkmcnt(0)
	v_add_nc_u32_e32 v33, v38, v33
	s_mov_b32 s12, 0
	s_delay_alu instid0(VALU_DEP_2) | instskip(SKIP_1) | instid1(VALU_DEP_1)
	v_cmp_gt_i32_e32 vcc_lo, 0, v39
	v_cndmask_b32_e32 v39, v39, v58, vcc_lo
	v_lshlrev_b32_e32 v39, 2, v39
	ds_bpermute_b32 v39, v39, v33
	ds_load_b32 v33, v34 offset:60
	s_and_saveexec_b32 s0, s2
	s_cbranch_execz .LBB1357_422
; %bb.421:
	v_mov_b32_e32 v40, 0
	v_mov_b32_e32 v34, 2
	s_waitcnt lgkmcnt(0)
	global_store_b64 v40, v[33:34], s[22:23] offset:256
.LBB1357_422:
	s_or_b32 exec_lo, exec_lo, s0
	v_cmp_eq_u32_e32 vcc_lo, 0, v58
	s_waitcnt lgkmcnt(0)
	s_waitcnt_vscnt null, 0x0
	s_barrier
	buffer_gl0_inv
	v_cndmask_b32_e32 v34, v39, v38, vcc_lo
	s_delay_alu instid0(VALU_DEP_1) | instskip(NEXT) | instid1(VALU_DEP_1)
	v_cndmask_b32_e64 v53, v34, 0, s2
	v_add_nc_u32_e32 v51, v53, v44
	s_delay_alu instid0(VALU_DEP_1) | instskip(NEXT) | instid1(VALU_DEP_1)
	v_add_nc_u32_e32 v49, v51, v46
	v_add_nc_u32_e32 v47, v49, v48
	s_delay_alu instid0(VALU_DEP_1) | instskip(NEXT) | instid1(VALU_DEP_1)
	v_add_nc_u32_e32 v45, v47, v50
	;; [unrolled: 3-line block ×3, first 2 shown]
	v_add_nc_u32_e32 v39, v41, v57
.LBB1357_423:
	v_add_nc_u32_e32 v59, s12, v33
	v_cmp_gt_u32_e64 s0, 0x201, v33
	v_lshrrev_b32_e32 v58, 8, v35
	v_lshrrev_b32_e32 v57, 16, v35
	;; [unrolled: 1-line block ×4, first 2 shown]
	v_cmp_lt_u32_e64 s1, v53, v59
	s_and_b32 vcc_lo, exec_lo, s0
	s_mov_b32 s3, -1
	s_cbranch_vccz .LBB1357_449
; %bb.424:
	s_delay_alu instid0(VALU_DEP_1) | instskip(NEXT) | instid1(SALU_CYCLE_1)
	s_or_b32 s3, s29, s1
	s_and_saveexec_b32 s1, s3
	s_cbranch_execz .LBB1357_427
; %bb.425:
	v_and_b32_e32 v40, 1, v35
	s_delay_alu instid0(VALU_DEP_1)
	v_cmp_eq_u32_e32 vcc_lo, 1, v40
	s_and_b32 exec_lo, exec_lo, vcc_lo
	s_cbranch_execz .LBB1357_427
; %bb.426:
	v_mov_b32_e32 v54, 0
	s_lshl_b64 s[4:5], s[10:11], 3
	s_delay_alu instid0(SALU_CYCLE_1) | instskip(SKIP_1) | instid1(VALU_DEP_1)
	s_add_u32 s3, s16, s4
	s_addc_u32 s4, s17, s5
	v_lshlrev_b64 v[60:61], 3, v[53:54]
	s_delay_alu instid0(VALU_DEP_1) | instskip(NEXT) | instid1(VALU_DEP_2)
	v_add_co_u32 v60, vcc_lo, s3, v60
	v_add_co_ci_u32_e32 v61, vcc_lo, s4, v61, vcc_lo
	global_store_b64 v[60:61], v[29:30], off
.LBB1357_427:
	s_or_b32 exec_lo, exec_lo, s1
	v_cmp_lt_u32_e32 vcc_lo, v51, v59
	s_or_b32 s3, s29, vcc_lo
	s_delay_alu instid0(SALU_CYCLE_1)
	s_and_saveexec_b32 s1, s3
	s_cbranch_execz .LBB1357_430
; %bb.428:
	v_and_b32_e32 v40, 1, v58
	s_delay_alu instid0(VALU_DEP_1)
	v_cmp_eq_u32_e32 vcc_lo, 1, v40
	s_and_b32 exec_lo, exec_lo, vcc_lo
	s_cbranch_execz .LBB1357_430
; %bb.429:
	v_mov_b32_e32 v52, 0
	s_lshl_b64 s[4:5], s[10:11], 3
	s_delay_alu instid0(SALU_CYCLE_1) | instskip(SKIP_1) | instid1(VALU_DEP_1)
	s_add_u32 s3, s16, s4
	s_addc_u32 s4, s17, s5
	v_lshlrev_b64 v[60:61], 3, v[51:52]
	s_delay_alu instid0(VALU_DEP_1) | instskip(NEXT) | instid1(VALU_DEP_2)
	v_add_co_u32 v60, vcc_lo, s3, v60
	v_add_co_ci_u32_e32 v61, vcc_lo, s4, v61, vcc_lo
	global_store_b64 v[60:61], v[31:32], off
.LBB1357_430:
	s_or_b32 exec_lo, exec_lo, s1
	v_cmp_lt_u32_e32 vcc_lo, v49, v59
	s_or_b32 s3, s29, vcc_lo
	s_delay_alu instid0(SALU_CYCLE_1)
	;; [unrolled: 24-line block ×7, first 2 shown]
	s_and_saveexec_b32 s1, s3
	s_cbranch_execz .LBB1357_448
; %bb.446:
	v_and_b32_e32 v40, 1, v56
	s_delay_alu instid0(VALU_DEP_1)
	v_cmp_eq_u32_e32 vcc_lo, 1, v40
	s_and_b32 exec_lo, exec_lo, vcc_lo
	s_cbranch_execz .LBB1357_448
; %bb.447:
	v_mov_b32_e32 v40, 0
	s_lshl_b64 s[4:5], s[10:11], 3
	s_delay_alu instid0(SALU_CYCLE_1) | instskip(SKIP_1) | instid1(VALU_DEP_1)
	s_add_u32 s3, s16, s4
	s_addc_u32 s4, s17, s5
	v_lshlrev_b64 v[60:61], 3, v[39:40]
	s_delay_alu instid0(VALU_DEP_1) | instskip(NEXT) | instid1(VALU_DEP_2)
	v_add_co_u32 v60, vcc_lo, s3, v60
	v_add_co_ci_u32_e32 v61, vcc_lo, s4, v61, vcc_lo
	global_store_b64 v[60:61], v[19:20], off
.LBB1357_448:
	s_or_b32 exec_lo, exec_lo, s1
	s_mov_b32 s3, 0
.LBB1357_449:
	v_and_b32_e32 v35, 1, v35
	s_and_b32 vcc_lo, exec_lo, s3
	s_delay_alu instid0(VALU_DEP_1)
	v_cmp_eq_u32_e64 s1, 1, v35
	s_cbranch_vccz .LBB1357_470
; %bb.450:
	s_delay_alu instid0(VALU_DEP_1)
	s_and_saveexec_b32 s3, s1
	s_cbranch_execz .LBB1357_452
; %bb.451:
	v_subrev_nc_u32_e32 v40, s12, v53
	s_delay_alu instid0(VALU_DEP_1)
	v_lshlrev_b32_e32 v40, 3, v40
	ds_store_b64 v40, v[29:30]
.LBB1357_452:
	s_or_b32 exec_lo, exec_lo, s3
	v_and_b32_e32 v29, 1, v58
	s_mov_b32 s1, exec_lo
	s_delay_alu instid0(VALU_DEP_1)
	v_cmpx_eq_u32_e32 1, v29
	s_cbranch_execz .LBB1357_454
; %bb.453:
	v_subrev_nc_u32_e32 v29, s12, v51
	s_delay_alu instid0(VALU_DEP_1)
	v_lshlrev_b32_e32 v29, 3, v29
	ds_store_b64 v29, v[31:32]
.LBB1357_454:
	s_or_b32 exec_lo, exec_lo, s1
	v_and_b32_e32 v29, 1, v57
	s_mov_b32 s1, exec_lo
	s_delay_alu instid0(VALU_DEP_1)
	v_cmpx_eq_u32_e32 1, v29
	;; [unrolled: 12-line block ×7, first 2 shown]
	s_cbranch_execz .LBB1357_466
; %bb.465:
	v_subrev_nc_u32_e32 v17, s12, v39
	s_delay_alu instid0(VALU_DEP_1)
	v_lshlrev_b32_e32 v17, 3, v17
	ds_store_b64 v17, v[19:20]
.LBB1357_466:
	s_or_b32 exec_lo, exec_lo, s1
	s_delay_alu instid0(SALU_CYCLE_1)
	s_mov_b32 s3, exec_lo
	s_waitcnt lgkmcnt(0)
	s_waitcnt_vscnt null, 0x0
	s_barrier
	buffer_gl0_inv
	v_cmpx_lt_u32_e64 v0, v33
	s_cbranch_execz .LBB1357_469
; %bb.467:
	s_mov_b32 s13, 0
	s_lshl_b64 s[4:5], s[10:11], 3
	s_lshl_b64 s[6:7], s[12:13], 3
	v_dual_mov_b32 v19, v55 :: v_dual_mov_b32 v20, v0
	s_add_u32 s1, s4, s6
	s_addc_u32 s4, s5, s7
	s_add_u32 s1, s16, s1
	s_addc_u32 s4, s17, s4
	v_add_co_u32 v17, s1, s1, v55
	s_delay_alu instid0(VALU_DEP_1)
	v_add_co_ci_u32_e64 v18, null, s4, 0, s1
	.p2align	6
.LBB1357_468:                           ; =>This Inner Loop Header: Depth=1
	ds_load_b64 v[21:22], v19
	v_add_nc_u32_e32 v20, 0x200, v20
	v_add_nc_u32_e32 v19, 0x1000, v19
	s_delay_alu instid0(VALU_DEP_2) | instskip(SKIP_4) | instid1(VALU_DEP_1)
	v_cmp_ge_u32_e32 vcc_lo, v20, v33
	s_or_b32 s13, vcc_lo, s13
	s_waitcnt lgkmcnt(0)
	global_store_b64 v[17:18], v[21:22], off
	v_add_co_u32 v17, s1, 0x1000, v17
	v_add_co_ci_u32_e64 v18, s1, 0, v18, s1
	s_and_not1_b32 exec_lo, exec_lo, s13
	s_cbranch_execnz .LBB1357_468
.LBB1357_469:
	s_or_b32 exec_lo, exec_lo, s3
.LBB1357_470:
	s_delay_alu instid0(SALU_CYCLE_1)
	s_and_b32 vcc_lo, exec_lo, s0
	s_mov_b32 s0, -1
	s_waitcnt_vscnt null, 0x0
	s_barrier
	buffer_gl0_inv
	s_cbranch_vccz .LBB1357_498
; %bb.471:
	v_cmp_lt_u32_e32 vcc_lo, v53, v59
	s_or_b32 s1, s29, vcc_lo
	s_delay_alu instid0(SALU_CYCLE_1)
	s_and_saveexec_b32 s0, s1
	s_cbranch_execz .LBB1357_474
; %bb.472:
	v_cmp_eq_u32_e32 vcc_lo, 1, v35
	s_and_b32 exec_lo, exec_lo, vcc_lo
	s_cbranch_execz .LBB1357_474
; %bb.473:
	v_mov_b32_e32 v54, 0
	s_lshl_b64 s[4:5], s[10:11], 3
	s_delay_alu instid0(SALU_CYCLE_1) | instskip(SKIP_1) | instid1(VALU_DEP_1)
	s_add_u32 s1, s18, s4
	s_addc_u32 s3, s19, s5
	v_lshlrev_b64 v[17:18], 3, v[53:54]
	s_delay_alu instid0(VALU_DEP_1) | instskip(NEXT) | instid1(VALU_DEP_2)
	v_add_co_u32 v17, vcc_lo, s1, v17
	v_add_co_ci_u32_e32 v18, vcc_lo, s3, v18, vcc_lo
	global_store_b64 v[17:18], v[13:14], off
.LBB1357_474:
	s_or_b32 exec_lo, exec_lo, s0
	v_cmp_lt_u32_e32 vcc_lo, v51, v59
	s_or_b32 s1, s29, vcc_lo
	s_delay_alu instid0(SALU_CYCLE_1)
	s_and_saveexec_b32 s0, s1
	s_cbranch_execz .LBB1357_477
; %bb.475:
	v_and_b32_e32 v17, 1, v58
	s_delay_alu instid0(VALU_DEP_1)
	v_cmp_eq_u32_e32 vcc_lo, 1, v17
	s_and_b32 exec_lo, exec_lo, vcc_lo
	s_cbranch_execz .LBB1357_477
; %bb.476:
	v_mov_b32_e32 v52, 0
	s_lshl_b64 s[4:5], s[10:11], 3
	s_delay_alu instid0(SALU_CYCLE_1) | instskip(SKIP_1) | instid1(VALU_DEP_1)
	s_add_u32 s1, s18, s4
	s_addc_u32 s3, s19, s5
	v_lshlrev_b64 v[17:18], 3, v[51:52]
	s_delay_alu instid0(VALU_DEP_1) | instskip(NEXT) | instid1(VALU_DEP_2)
	v_add_co_u32 v17, vcc_lo, s1, v17
	v_add_co_ci_u32_e32 v18, vcc_lo, s3, v18, vcc_lo
	global_store_b64 v[17:18], v[15:16], off
.LBB1357_477:
	s_or_b32 exec_lo, exec_lo, s0
	v_cmp_lt_u32_e32 vcc_lo, v49, v59
	s_or_b32 s1, s29, vcc_lo
	s_delay_alu instid0(SALU_CYCLE_1)
	s_and_saveexec_b32 s0, s1
	s_cbranch_execz .LBB1357_480
; %bb.478:
	v_and_b32_e32 v17, 1, v57
	s_delay_alu instid0(VALU_DEP_1)
	v_cmp_eq_u32_e32 vcc_lo, 1, v17
	s_and_b32 exec_lo, exec_lo, vcc_lo
	s_cbranch_execz .LBB1357_480
; %bb.479:
	v_mov_b32_e32 v50, 0
	s_lshl_b64 s[4:5], s[10:11], 3
	s_delay_alu instid0(SALU_CYCLE_1) | instskip(SKIP_1) | instid1(VALU_DEP_1)
	s_add_u32 s1, s18, s4
	s_addc_u32 s3, s19, s5
	v_lshlrev_b64 v[17:18], 3, v[49:50]
	s_delay_alu instid0(VALU_DEP_1) | instskip(NEXT) | instid1(VALU_DEP_2)
	v_add_co_u32 v17, vcc_lo, s1, v17
	v_add_co_ci_u32_e32 v18, vcc_lo, s3, v18, vcc_lo
	global_store_b64 v[17:18], v[9:10], off
.LBB1357_480:
	;; [unrolled: 24-line block ×7, first 2 shown]
	s_or_b32 exec_lo, exec_lo, s0
.LBB1357_496:
	s_and_b32 s0, s2, s28
	s_delay_alu instid0(SALU_CYCLE_1)
	s_and_saveexec_b32 s1, s0
	s_cbranch_execz .LBB1357_519
.LBB1357_497:
	v_add_co_u32 v0, s0, s10, v33
	s_delay_alu instid0(VALU_DEP_1) | instskip(SKIP_1) | instid1(VALU_DEP_3)
	v_add_co_ci_u32_e64 v1, null, s11, 0, s0
	v_mov_b32_e32 v2, 0
	v_add_co_u32 v0, vcc_lo, v0, s12
	s_delay_alu instid0(VALU_DEP_3)
	v_add_co_ci_u32_e32 v1, vcc_lo, 0, v1, vcc_lo
	global_store_b64 v2, v[0:1], s[8:9]
	s_nop 0
	s_sendmsg sendmsg(MSG_DEALLOC_VGPRS)
	s_endpgm
.LBB1357_498:
	s_and_b32 vcc_lo, exec_lo, s0
	s_cbranch_vccz .LBB1357_496
; %bb.499:
	s_mov_b32 s0, exec_lo
	v_cmpx_eq_u32_e32 1, v35
	s_cbranch_execz .LBB1357_501
; %bb.500:
	v_subrev_nc_u32_e32 v17, s12, v53
	s_delay_alu instid0(VALU_DEP_1)
	v_lshlrev_b32_e32 v17, 3, v17
	ds_store_b64 v17, v[13:14]
.LBB1357_501:
	s_or_b32 exec_lo, exec_lo, s0
	v_and_b32_e32 v13, 1, v58
	s_mov_b32 s0, exec_lo
	s_delay_alu instid0(VALU_DEP_1)
	v_cmpx_eq_u32_e32 1, v13
	s_cbranch_execz .LBB1357_503
; %bb.502:
	v_subrev_nc_u32_e32 v13, s12, v51
	s_delay_alu instid0(VALU_DEP_1)
	v_lshlrev_b32_e32 v13, 3, v13
	ds_store_b64 v13, v[15:16]
.LBB1357_503:
	s_or_b32 exec_lo, exec_lo, s0
	v_and_b32_e32 v13, 1, v57
	s_mov_b32 s0, exec_lo
	s_delay_alu instid0(VALU_DEP_1)
	;; [unrolled: 12-line block ×7, first 2 shown]
	v_cmpx_eq_u32_e32 1, v1
	s_cbranch_execz .LBB1357_515
; %bb.514:
	v_subrev_nc_u32_e32 v1, s12, v39
	s_delay_alu instid0(VALU_DEP_1)
	v_lshlrev_b32_e32 v1, 3, v1
	ds_store_b64 v1, v[3:4]
.LBB1357_515:
	s_or_b32 exec_lo, exec_lo, s0
	s_delay_alu instid0(SALU_CYCLE_1)
	s_mov_b32 s1, exec_lo
	s_waitcnt lgkmcnt(0)
	s_waitcnt_vscnt null, 0x0
	s_barrier
	buffer_gl0_inv
	v_cmpx_lt_u32_e64 v0, v33
	s_cbranch_execz .LBB1357_518
; %bb.516:
	s_mov_b32 s13, 0
	s_lshl_b64 s[4:5], s[10:11], 3
	s_lshl_b64 s[6:7], s[12:13], 3
	s_delay_alu instid0(SALU_CYCLE_1) | instskip(SKIP_4) | instid1(VALU_DEP_1)
	s_add_u32 s0, s4, s6
	s_addc_u32 s3, s5, s7
	s_add_u32 s0, s18, s0
	s_addc_u32 s3, s19, s3
	v_add_co_u32 v1, s0, s0, v55
	v_add_co_ci_u32_e64 v2, null, s3, 0, s0
	.p2align	6
.LBB1357_517:                           ; =>This Inner Loop Header: Depth=1
	ds_load_b64 v[3:4], v55
	v_add_nc_u32_e32 v0, 0x200, v0
	v_add_nc_u32_e32 v55, 0x1000, v55
	s_delay_alu instid0(VALU_DEP_2) | instskip(SKIP_4) | instid1(VALU_DEP_1)
	v_cmp_ge_u32_e32 vcc_lo, v0, v33
	s_or_b32 s13, vcc_lo, s13
	s_waitcnt lgkmcnt(0)
	global_store_b64 v[1:2], v[3:4], off
	v_add_co_u32 v1, s0, 0x1000, v1
	v_add_co_ci_u32_e64 v2, s0, 0, v2, s0
	s_and_not1_b32 exec_lo, exec_lo, s13
	s_cbranch_execnz .LBB1357_517
.LBB1357_518:
	s_or_b32 exec_lo, exec_lo, s1
	s_and_b32 s0, s2, s28
	s_delay_alu instid0(SALU_CYCLE_1)
	s_and_saveexec_b32 s1, s0
	s_cbranch_execnz .LBB1357_497
.LBB1357_519:
	s_nop 0
	s_sendmsg sendmsg(MSG_DEALLOC_VGPRS)
	s_endpgm
	.section	.rodata,"a",@progbits
	.p2align	6, 0x0
	.amdhsa_kernel _ZN7rocprim17ROCPRIM_400000_NS6detail17trampoline_kernelINS0_14default_configENS1_25partition_config_selectorILNS1_17partition_subalgoE9EllbEEZZNS1_14partition_implILS5_9ELb0ES3_jPlS8_PNS0_10empty_typeENS0_5tupleIJS8_S9_EEENSB_IJS8_SA_EEENS0_18inequality_wrapperIZN2at6native12_GLOBAL__N_124unique_dim_cuda_templateIN3c104HalfEEESt5tupleIJNSF_6TensorESM_SM_EERKSM_lbbbEUlllE0_EEPmJS9_EEE10hipError_tPvRmT3_T4_T5_T6_T7_T9_mT8_P12ihipStream_tbDpT10_ENKUlT_T0_E_clISt17integral_constantIbLb0EES1B_IbLb1EEEEDaS17_S18_EUlS17_E_NS1_11comp_targetILNS1_3genE9ELNS1_11target_archE1100ELNS1_3gpuE3ELNS1_3repE0EEENS1_30default_config_static_selectorELNS0_4arch9wavefront6targetE0EEEvT1_
		.amdhsa_group_segment_fixed_size 33804
		.amdhsa_private_segment_fixed_size 0
		.amdhsa_kernarg_size 136
		.amdhsa_user_sgpr_count 15
		.amdhsa_user_sgpr_dispatch_ptr 0
		.amdhsa_user_sgpr_queue_ptr 0
		.amdhsa_user_sgpr_kernarg_segment_ptr 1
		.amdhsa_user_sgpr_dispatch_id 0
		.amdhsa_user_sgpr_private_segment_size 0
		.amdhsa_wavefront_size32 1
		.amdhsa_uses_dynamic_stack 0
		.amdhsa_enable_private_segment 0
		.amdhsa_system_sgpr_workgroup_id_x 1
		.amdhsa_system_sgpr_workgroup_id_y 0
		.amdhsa_system_sgpr_workgroup_id_z 0
		.amdhsa_system_sgpr_workgroup_info 0
		.amdhsa_system_vgpr_workitem_id 0
		.amdhsa_next_free_vgpr 68
		.amdhsa_next_free_sgpr 40
		.amdhsa_reserve_vcc 1
		.amdhsa_float_round_mode_32 0
		.amdhsa_float_round_mode_16_64 0
		.amdhsa_float_denorm_mode_32 3
		.amdhsa_float_denorm_mode_16_64 3
		.amdhsa_dx10_clamp 1
		.amdhsa_ieee_mode 1
		.amdhsa_fp16_overflow 0
		.amdhsa_workgroup_processor_mode 1
		.amdhsa_memory_ordered 1
		.amdhsa_forward_progress 0
		.amdhsa_shared_vgpr_count 0
		.amdhsa_exception_fp_ieee_invalid_op 0
		.amdhsa_exception_fp_denorm_src 0
		.amdhsa_exception_fp_ieee_div_zero 0
		.amdhsa_exception_fp_ieee_overflow 0
		.amdhsa_exception_fp_ieee_underflow 0
		.amdhsa_exception_fp_ieee_inexact 0
		.amdhsa_exception_int_div_zero 0
	.end_amdhsa_kernel
	.section	.text._ZN7rocprim17ROCPRIM_400000_NS6detail17trampoline_kernelINS0_14default_configENS1_25partition_config_selectorILNS1_17partition_subalgoE9EllbEEZZNS1_14partition_implILS5_9ELb0ES3_jPlS8_PNS0_10empty_typeENS0_5tupleIJS8_S9_EEENSB_IJS8_SA_EEENS0_18inequality_wrapperIZN2at6native12_GLOBAL__N_124unique_dim_cuda_templateIN3c104HalfEEESt5tupleIJNSF_6TensorESM_SM_EERKSM_lbbbEUlllE0_EEPmJS9_EEE10hipError_tPvRmT3_T4_T5_T6_T7_T9_mT8_P12ihipStream_tbDpT10_ENKUlT_T0_E_clISt17integral_constantIbLb0EES1B_IbLb1EEEEDaS17_S18_EUlS17_E_NS1_11comp_targetILNS1_3genE9ELNS1_11target_archE1100ELNS1_3gpuE3ELNS1_3repE0EEENS1_30default_config_static_selectorELNS0_4arch9wavefront6targetE0EEEvT1_,"axG",@progbits,_ZN7rocprim17ROCPRIM_400000_NS6detail17trampoline_kernelINS0_14default_configENS1_25partition_config_selectorILNS1_17partition_subalgoE9EllbEEZZNS1_14partition_implILS5_9ELb0ES3_jPlS8_PNS0_10empty_typeENS0_5tupleIJS8_S9_EEENSB_IJS8_SA_EEENS0_18inequality_wrapperIZN2at6native12_GLOBAL__N_124unique_dim_cuda_templateIN3c104HalfEEESt5tupleIJNSF_6TensorESM_SM_EERKSM_lbbbEUlllE0_EEPmJS9_EEE10hipError_tPvRmT3_T4_T5_T6_T7_T9_mT8_P12ihipStream_tbDpT10_ENKUlT_T0_E_clISt17integral_constantIbLb0EES1B_IbLb1EEEEDaS17_S18_EUlS17_E_NS1_11comp_targetILNS1_3genE9ELNS1_11target_archE1100ELNS1_3gpuE3ELNS1_3repE0EEENS1_30default_config_static_selectorELNS0_4arch9wavefront6targetE0EEEvT1_,comdat
.Lfunc_end1357:
	.size	_ZN7rocprim17ROCPRIM_400000_NS6detail17trampoline_kernelINS0_14default_configENS1_25partition_config_selectorILNS1_17partition_subalgoE9EllbEEZZNS1_14partition_implILS5_9ELb0ES3_jPlS8_PNS0_10empty_typeENS0_5tupleIJS8_S9_EEENSB_IJS8_SA_EEENS0_18inequality_wrapperIZN2at6native12_GLOBAL__N_124unique_dim_cuda_templateIN3c104HalfEEESt5tupleIJNSF_6TensorESM_SM_EERKSM_lbbbEUlllE0_EEPmJS9_EEE10hipError_tPvRmT3_T4_T5_T6_T7_T9_mT8_P12ihipStream_tbDpT10_ENKUlT_T0_E_clISt17integral_constantIbLb0EES1B_IbLb1EEEEDaS17_S18_EUlS17_E_NS1_11comp_targetILNS1_3genE9ELNS1_11target_archE1100ELNS1_3gpuE3ELNS1_3repE0EEENS1_30default_config_static_selectorELNS0_4arch9wavefront6targetE0EEEvT1_, .Lfunc_end1357-_ZN7rocprim17ROCPRIM_400000_NS6detail17trampoline_kernelINS0_14default_configENS1_25partition_config_selectorILNS1_17partition_subalgoE9EllbEEZZNS1_14partition_implILS5_9ELb0ES3_jPlS8_PNS0_10empty_typeENS0_5tupleIJS8_S9_EEENSB_IJS8_SA_EEENS0_18inequality_wrapperIZN2at6native12_GLOBAL__N_124unique_dim_cuda_templateIN3c104HalfEEESt5tupleIJNSF_6TensorESM_SM_EERKSM_lbbbEUlllE0_EEPmJS9_EEE10hipError_tPvRmT3_T4_T5_T6_T7_T9_mT8_P12ihipStream_tbDpT10_ENKUlT_T0_E_clISt17integral_constantIbLb0EES1B_IbLb1EEEEDaS17_S18_EUlS17_E_NS1_11comp_targetILNS1_3genE9ELNS1_11target_archE1100ELNS1_3gpuE3ELNS1_3repE0EEENS1_30default_config_static_selectorELNS0_4arch9wavefront6targetE0EEEvT1_
                                        ; -- End function
	.section	.AMDGPU.csdata,"",@progbits
; Kernel info:
; codeLenInByte = 20504
; NumSgprs: 42
; NumVgprs: 68
; ScratchSize: 0
; MemoryBound: 0
; FloatMode: 240
; IeeeMode: 1
; LDSByteSize: 33804 bytes/workgroup (compile time only)
; SGPRBlocks: 5
; VGPRBlocks: 8
; NumSGPRsForWavesPerEU: 42
; NumVGPRsForWavesPerEU: 68
; Occupancy: 12
; WaveLimiterHint : 1
; COMPUTE_PGM_RSRC2:SCRATCH_EN: 0
; COMPUTE_PGM_RSRC2:USER_SGPR: 15
; COMPUTE_PGM_RSRC2:TRAP_HANDLER: 0
; COMPUTE_PGM_RSRC2:TGID_X_EN: 1
; COMPUTE_PGM_RSRC2:TGID_Y_EN: 0
; COMPUTE_PGM_RSRC2:TGID_Z_EN: 0
; COMPUTE_PGM_RSRC2:TIDIG_COMP_CNT: 0
	.section	.text._ZN7rocprim17ROCPRIM_400000_NS6detail17trampoline_kernelINS0_14default_configENS1_25partition_config_selectorILNS1_17partition_subalgoE9EllbEEZZNS1_14partition_implILS5_9ELb0ES3_jPlS8_PNS0_10empty_typeENS0_5tupleIJS8_S9_EEENSB_IJS8_SA_EEENS0_18inequality_wrapperIZN2at6native12_GLOBAL__N_124unique_dim_cuda_templateIN3c104HalfEEESt5tupleIJNSF_6TensorESM_SM_EERKSM_lbbbEUlllE0_EEPmJS9_EEE10hipError_tPvRmT3_T4_T5_T6_T7_T9_mT8_P12ihipStream_tbDpT10_ENKUlT_T0_E_clISt17integral_constantIbLb0EES1B_IbLb1EEEEDaS17_S18_EUlS17_E_NS1_11comp_targetILNS1_3genE8ELNS1_11target_archE1030ELNS1_3gpuE2ELNS1_3repE0EEENS1_30default_config_static_selectorELNS0_4arch9wavefront6targetE0EEEvT1_,"axG",@progbits,_ZN7rocprim17ROCPRIM_400000_NS6detail17trampoline_kernelINS0_14default_configENS1_25partition_config_selectorILNS1_17partition_subalgoE9EllbEEZZNS1_14partition_implILS5_9ELb0ES3_jPlS8_PNS0_10empty_typeENS0_5tupleIJS8_S9_EEENSB_IJS8_SA_EEENS0_18inequality_wrapperIZN2at6native12_GLOBAL__N_124unique_dim_cuda_templateIN3c104HalfEEESt5tupleIJNSF_6TensorESM_SM_EERKSM_lbbbEUlllE0_EEPmJS9_EEE10hipError_tPvRmT3_T4_T5_T6_T7_T9_mT8_P12ihipStream_tbDpT10_ENKUlT_T0_E_clISt17integral_constantIbLb0EES1B_IbLb1EEEEDaS17_S18_EUlS17_E_NS1_11comp_targetILNS1_3genE8ELNS1_11target_archE1030ELNS1_3gpuE2ELNS1_3repE0EEENS1_30default_config_static_selectorELNS0_4arch9wavefront6targetE0EEEvT1_,comdat
	.globl	_ZN7rocprim17ROCPRIM_400000_NS6detail17trampoline_kernelINS0_14default_configENS1_25partition_config_selectorILNS1_17partition_subalgoE9EllbEEZZNS1_14partition_implILS5_9ELb0ES3_jPlS8_PNS0_10empty_typeENS0_5tupleIJS8_S9_EEENSB_IJS8_SA_EEENS0_18inequality_wrapperIZN2at6native12_GLOBAL__N_124unique_dim_cuda_templateIN3c104HalfEEESt5tupleIJNSF_6TensorESM_SM_EERKSM_lbbbEUlllE0_EEPmJS9_EEE10hipError_tPvRmT3_T4_T5_T6_T7_T9_mT8_P12ihipStream_tbDpT10_ENKUlT_T0_E_clISt17integral_constantIbLb0EES1B_IbLb1EEEEDaS17_S18_EUlS17_E_NS1_11comp_targetILNS1_3genE8ELNS1_11target_archE1030ELNS1_3gpuE2ELNS1_3repE0EEENS1_30default_config_static_selectorELNS0_4arch9wavefront6targetE0EEEvT1_ ; -- Begin function _ZN7rocprim17ROCPRIM_400000_NS6detail17trampoline_kernelINS0_14default_configENS1_25partition_config_selectorILNS1_17partition_subalgoE9EllbEEZZNS1_14partition_implILS5_9ELb0ES3_jPlS8_PNS0_10empty_typeENS0_5tupleIJS8_S9_EEENSB_IJS8_SA_EEENS0_18inequality_wrapperIZN2at6native12_GLOBAL__N_124unique_dim_cuda_templateIN3c104HalfEEESt5tupleIJNSF_6TensorESM_SM_EERKSM_lbbbEUlllE0_EEPmJS9_EEE10hipError_tPvRmT3_T4_T5_T6_T7_T9_mT8_P12ihipStream_tbDpT10_ENKUlT_T0_E_clISt17integral_constantIbLb0EES1B_IbLb1EEEEDaS17_S18_EUlS17_E_NS1_11comp_targetILNS1_3genE8ELNS1_11target_archE1030ELNS1_3gpuE2ELNS1_3repE0EEENS1_30default_config_static_selectorELNS0_4arch9wavefront6targetE0EEEvT1_
	.p2align	8
	.type	_ZN7rocprim17ROCPRIM_400000_NS6detail17trampoline_kernelINS0_14default_configENS1_25partition_config_selectorILNS1_17partition_subalgoE9EllbEEZZNS1_14partition_implILS5_9ELb0ES3_jPlS8_PNS0_10empty_typeENS0_5tupleIJS8_S9_EEENSB_IJS8_SA_EEENS0_18inequality_wrapperIZN2at6native12_GLOBAL__N_124unique_dim_cuda_templateIN3c104HalfEEESt5tupleIJNSF_6TensorESM_SM_EERKSM_lbbbEUlllE0_EEPmJS9_EEE10hipError_tPvRmT3_T4_T5_T6_T7_T9_mT8_P12ihipStream_tbDpT10_ENKUlT_T0_E_clISt17integral_constantIbLb0EES1B_IbLb1EEEEDaS17_S18_EUlS17_E_NS1_11comp_targetILNS1_3genE8ELNS1_11target_archE1030ELNS1_3gpuE2ELNS1_3repE0EEENS1_30default_config_static_selectorELNS0_4arch9wavefront6targetE0EEEvT1_,@function
_ZN7rocprim17ROCPRIM_400000_NS6detail17trampoline_kernelINS0_14default_configENS1_25partition_config_selectorILNS1_17partition_subalgoE9EllbEEZZNS1_14partition_implILS5_9ELb0ES3_jPlS8_PNS0_10empty_typeENS0_5tupleIJS8_S9_EEENSB_IJS8_SA_EEENS0_18inequality_wrapperIZN2at6native12_GLOBAL__N_124unique_dim_cuda_templateIN3c104HalfEEESt5tupleIJNSF_6TensorESM_SM_EERKSM_lbbbEUlllE0_EEPmJS9_EEE10hipError_tPvRmT3_T4_T5_T6_T7_T9_mT8_P12ihipStream_tbDpT10_ENKUlT_T0_E_clISt17integral_constantIbLb0EES1B_IbLb1EEEEDaS17_S18_EUlS17_E_NS1_11comp_targetILNS1_3genE8ELNS1_11target_archE1030ELNS1_3gpuE2ELNS1_3repE0EEENS1_30default_config_static_selectorELNS0_4arch9wavefront6targetE0EEEvT1_: ; @_ZN7rocprim17ROCPRIM_400000_NS6detail17trampoline_kernelINS0_14default_configENS1_25partition_config_selectorILNS1_17partition_subalgoE9EllbEEZZNS1_14partition_implILS5_9ELb0ES3_jPlS8_PNS0_10empty_typeENS0_5tupleIJS8_S9_EEENSB_IJS8_SA_EEENS0_18inequality_wrapperIZN2at6native12_GLOBAL__N_124unique_dim_cuda_templateIN3c104HalfEEESt5tupleIJNSF_6TensorESM_SM_EERKSM_lbbbEUlllE0_EEPmJS9_EEE10hipError_tPvRmT3_T4_T5_T6_T7_T9_mT8_P12ihipStream_tbDpT10_ENKUlT_T0_E_clISt17integral_constantIbLb0EES1B_IbLb1EEEEDaS17_S18_EUlS17_E_NS1_11comp_targetILNS1_3genE8ELNS1_11target_archE1030ELNS1_3gpuE2ELNS1_3repE0EEENS1_30default_config_static_selectorELNS0_4arch9wavefront6targetE0EEEvT1_
; %bb.0:
	.section	.rodata,"a",@progbits
	.p2align	6, 0x0
	.amdhsa_kernel _ZN7rocprim17ROCPRIM_400000_NS6detail17trampoline_kernelINS0_14default_configENS1_25partition_config_selectorILNS1_17partition_subalgoE9EllbEEZZNS1_14partition_implILS5_9ELb0ES3_jPlS8_PNS0_10empty_typeENS0_5tupleIJS8_S9_EEENSB_IJS8_SA_EEENS0_18inequality_wrapperIZN2at6native12_GLOBAL__N_124unique_dim_cuda_templateIN3c104HalfEEESt5tupleIJNSF_6TensorESM_SM_EERKSM_lbbbEUlllE0_EEPmJS9_EEE10hipError_tPvRmT3_T4_T5_T6_T7_T9_mT8_P12ihipStream_tbDpT10_ENKUlT_T0_E_clISt17integral_constantIbLb0EES1B_IbLb1EEEEDaS17_S18_EUlS17_E_NS1_11comp_targetILNS1_3genE8ELNS1_11target_archE1030ELNS1_3gpuE2ELNS1_3repE0EEENS1_30default_config_static_selectorELNS0_4arch9wavefront6targetE0EEEvT1_
		.amdhsa_group_segment_fixed_size 0
		.amdhsa_private_segment_fixed_size 0
		.amdhsa_kernarg_size 136
		.amdhsa_user_sgpr_count 15
		.amdhsa_user_sgpr_dispatch_ptr 0
		.amdhsa_user_sgpr_queue_ptr 0
		.amdhsa_user_sgpr_kernarg_segment_ptr 1
		.amdhsa_user_sgpr_dispatch_id 0
		.amdhsa_user_sgpr_private_segment_size 0
		.amdhsa_wavefront_size32 1
		.amdhsa_uses_dynamic_stack 0
		.amdhsa_enable_private_segment 0
		.amdhsa_system_sgpr_workgroup_id_x 1
		.amdhsa_system_sgpr_workgroup_id_y 0
		.amdhsa_system_sgpr_workgroup_id_z 0
		.amdhsa_system_sgpr_workgroup_info 0
		.amdhsa_system_vgpr_workitem_id 0
		.amdhsa_next_free_vgpr 1
		.amdhsa_next_free_sgpr 1
		.amdhsa_reserve_vcc 0
		.amdhsa_float_round_mode_32 0
		.amdhsa_float_round_mode_16_64 0
		.amdhsa_float_denorm_mode_32 3
		.amdhsa_float_denorm_mode_16_64 3
		.amdhsa_dx10_clamp 1
		.amdhsa_ieee_mode 1
		.amdhsa_fp16_overflow 0
		.amdhsa_workgroup_processor_mode 1
		.amdhsa_memory_ordered 1
		.amdhsa_forward_progress 0
		.amdhsa_shared_vgpr_count 0
		.amdhsa_exception_fp_ieee_invalid_op 0
		.amdhsa_exception_fp_denorm_src 0
		.amdhsa_exception_fp_ieee_div_zero 0
		.amdhsa_exception_fp_ieee_overflow 0
		.amdhsa_exception_fp_ieee_underflow 0
		.amdhsa_exception_fp_ieee_inexact 0
		.amdhsa_exception_int_div_zero 0
	.end_amdhsa_kernel
	.section	.text._ZN7rocprim17ROCPRIM_400000_NS6detail17trampoline_kernelINS0_14default_configENS1_25partition_config_selectorILNS1_17partition_subalgoE9EllbEEZZNS1_14partition_implILS5_9ELb0ES3_jPlS8_PNS0_10empty_typeENS0_5tupleIJS8_S9_EEENSB_IJS8_SA_EEENS0_18inequality_wrapperIZN2at6native12_GLOBAL__N_124unique_dim_cuda_templateIN3c104HalfEEESt5tupleIJNSF_6TensorESM_SM_EERKSM_lbbbEUlllE0_EEPmJS9_EEE10hipError_tPvRmT3_T4_T5_T6_T7_T9_mT8_P12ihipStream_tbDpT10_ENKUlT_T0_E_clISt17integral_constantIbLb0EES1B_IbLb1EEEEDaS17_S18_EUlS17_E_NS1_11comp_targetILNS1_3genE8ELNS1_11target_archE1030ELNS1_3gpuE2ELNS1_3repE0EEENS1_30default_config_static_selectorELNS0_4arch9wavefront6targetE0EEEvT1_,"axG",@progbits,_ZN7rocprim17ROCPRIM_400000_NS6detail17trampoline_kernelINS0_14default_configENS1_25partition_config_selectorILNS1_17partition_subalgoE9EllbEEZZNS1_14partition_implILS5_9ELb0ES3_jPlS8_PNS0_10empty_typeENS0_5tupleIJS8_S9_EEENSB_IJS8_SA_EEENS0_18inequality_wrapperIZN2at6native12_GLOBAL__N_124unique_dim_cuda_templateIN3c104HalfEEESt5tupleIJNSF_6TensorESM_SM_EERKSM_lbbbEUlllE0_EEPmJS9_EEE10hipError_tPvRmT3_T4_T5_T6_T7_T9_mT8_P12ihipStream_tbDpT10_ENKUlT_T0_E_clISt17integral_constantIbLb0EES1B_IbLb1EEEEDaS17_S18_EUlS17_E_NS1_11comp_targetILNS1_3genE8ELNS1_11target_archE1030ELNS1_3gpuE2ELNS1_3repE0EEENS1_30default_config_static_selectorELNS0_4arch9wavefront6targetE0EEEvT1_,comdat
.Lfunc_end1358:
	.size	_ZN7rocprim17ROCPRIM_400000_NS6detail17trampoline_kernelINS0_14default_configENS1_25partition_config_selectorILNS1_17partition_subalgoE9EllbEEZZNS1_14partition_implILS5_9ELb0ES3_jPlS8_PNS0_10empty_typeENS0_5tupleIJS8_S9_EEENSB_IJS8_SA_EEENS0_18inequality_wrapperIZN2at6native12_GLOBAL__N_124unique_dim_cuda_templateIN3c104HalfEEESt5tupleIJNSF_6TensorESM_SM_EERKSM_lbbbEUlllE0_EEPmJS9_EEE10hipError_tPvRmT3_T4_T5_T6_T7_T9_mT8_P12ihipStream_tbDpT10_ENKUlT_T0_E_clISt17integral_constantIbLb0EES1B_IbLb1EEEEDaS17_S18_EUlS17_E_NS1_11comp_targetILNS1_3genE8ELNS1_11target_archE1030ELNS1_3gpuE2ELNS1_3repE0EEENS1_30default_config_static_selectorELNS0_4arch9wavefront6targetE0EEEvT1_, .Lfunc_end1358-_ZN7rocprim17ROCPRIM_400000_NS6detail17trampoline_kernelINS0_14default_configENS1_25partition_config_selectorILNS1_17partition_subalgoE9EllbEEZZNS1_14partition_implILS5_9ELb0ES3_jPlS8_PNS0_10empty_typeENS0_5tupleIJS8_S9_EEENSB_IJS8_SA_EEENS0_18inequality_wrapperIZN2at6native12_GLOBAL__N_124unique_dim_cuda_templateIN3c104HalfEEESt5tupleIJNSF_6TensorESM_SM_EERKSM_lbbbEUlllE0_EEPmJS9_EEE10hipError_tPvRmT3_T4_T5_T6_T7_T9_mT8_P12ihipStream_tbDpT10_ENKUlT_T0_E_clISt17integral_constantIbLb0EES1B_IbLb1EEEEDaS17_S18_EUlS17_E_NS1_11comp_targetILNS1_3genE8ELNS1_11target_archE1030ELNS1_3gpuE2ELNS1_3repE0EEENS1_30default_config_static_selectorELNS0_4arch9wavefront6targetE0EEEvT1_
                                        ; -- End function
	.section	.AMDGPU.csdata,"",@progbits
; Kernel info:
; codeLenInByte = 0
; NumSgprs: 0
; NumVgprs: 0
; ScratchSize: 0
; MemoryBound: 0
; FloatMode: 240
; IeeeMode: 1
; LDSByteSize: 0 bytes/workgroup (compile time only)
; SGPRBlocks: 0
; VGPRBlocks: 0
; NumSGPRsForWavesPerEU: 1
; NumVGPRsForWavesPerEU: 1
; Occupancy: 16
; WaveLimiterHint : 0
; COMPUTE_PGM_RSRC2:SCRATCH_EN: 0
; COMPUTE_PGM_RSRC2:USER_SGPR: 15
; COMPUTE_PGM_RSRC2:TRAP_HANDLER: 0
; COMPUTE_PGM_RSRC2:TGID_X_EN: 1
; COMPUTE_PGM_RSRC2:TGID_Y_EN: 0
; COMPUTE_PGM_RSRC2:TGID_Z_EN: 0
; COMPUTE_PGM_RSRC2:TIDIG_COMP_CNT: 0
	.section	.text._ZN7rocprim17ROCPRIM_400000_NS6detail17trampoline_kernelINS0_14default_configENS1_37merge_sort_block_sort_config_selectorIlNS0_10empty_typeEEEZNS1_21merge_sort_block_sortIS3_PlS8_PS5_S9_ZN2at6native12_GLOBAL__N_124unique_dim_cuda_templateItEESt5tupleIJNSA_6TensorESF_SF_EERKSF_lbbbEUlllE_EE10hipError_tT0_T1_T2_T3_mRjT4_P12ihipStream_tbNS1_7vsmem_tEEUlT_E_NS1_11comp_targetILNS1_3genE0ELNS1_11target_archE4294967295ELNS1_3gpuE0ELNS1_3repE0EEENS1_30default_config_static_selectorELNS0_4arch9wavefront6targetE0EEEvSM_,"axG",@progbits,_ZN7rocprim17ROCPRIM_400000_NS6detail17trampoline_kernelINS0_14default_configENS1_37merge_sort_block_sort_config_selectorIlNS0_10empty_typeEEEZNS1_21merge_sort_block_sortIS3_PlS8_PS5_S9_ZN2at6native12_GLOBAL__N_124unique_dim_cuda_templateItEESt5tupleIJNSA_6TensorESF_SF_EERKSF_lbbbEUlllE_EE10hipError_tT0_T1_T2_T3_mRjT4_P12ihipStream_tbNS1_7vsmem_tEEUlT_E_NS1_11comp_targetILNS1_3genE0ELNS1_11target_archE4294967295ELNS1_3gpuE0ELNS1_3repE0EEENS1_30default_config_static_selectorELNS0_4arch9wavefront6targetE0EEEvSM_,comdat
	.globl	_ZN7rocprim17ROCPRIM_400000_NS6detail17trampoline_kernelINS0_14default_configENS1_37merge_sort_block_sort_config_selectorIlNS0_10empty_typeEEEZNS1_21merge_sort_block_sortIS3_PlS8_PS5_S9_ZN2at6native12_GLOBAL__N_124unique_dim_cuda_templateItEESt5tupleIJNSA_6TensorESF_SF_EERKSF_lbbbEUlllE_EE10hipError_tT0_T1_T2_T3_mRjT4_P12ihipStream_tbNS1_7vsmem_tEEUlT_E_NS1_11comp_targetILNS1_3genE0ELNS1_11target_archE4294967295ELNS1_3gpuE0ELNS1_3repE0EEENS1_30default_config_static_selectorELNS0_4arch9wavefront6targetE0EEEvSM_ ; -- Begin function _ZN7rocprim17ROCPRIM_400000_NS6detail17trampoline_kernelINS0_14default_configENS1_37merge_sort_block_sort_config_selectorIlNS0_10empty_typeEEEZNS1_21merge_sort_block_sortIS3_PlS8_PS5_S9_ZN2at6native12_GLOBAL__N_124unique_dim_cuda_templateItEESt5tupleIJNSA_6TensorESF_SF_EERKSF_lbbbEUlllE_EE10hipError_tT0_T1_T2_T3_mRjT4_P12ihipStream_tbNS1_7vsmem_tEEUlT_E_NS1_11comp_targetILNS1_3genE0ELNS1_11target_archE4294967295ELNS1_3gpuE0ELNS1_3repE0EEENS1_30default_config_static_selectorELNS0_4arch9wavefront6targetE0EEEvSM_
	.p2align	8
	.type	_ZN7rocprim17ROCPRIM_400000_NS6detail17trampoline_kernelINS0_14default_configENS1_37merge_sort_block_sort_config_selectorIlNS0_10empty_typeEEEZNS1_21merge_sort_block_sortIS3_PlS8_PS5_S9_ZN2at6native12_GLOBAL__N_124unique_dim_cuda_templateItEESt5tupleIJNSA_6TensorESF_SF_EERKSF_lbbbEUlllE_EE10hipError_tT0_T1_T2_T3_mRjT4_P12ihipStream_tbNS1_7vsmem_tEEUlT_E_NS1_11comp_targetILNS1_3genE0ELNS1_11target_archE4294967295ELNS1_3gpuE0ELNS1_3repE0EEENS1_30default_config_static_selectorELNS0_4arch9wavefront6targetE0EEEvSM_,@function
_ZN7rocprim17ROCPRIM_400000_NS6detail17trampoline_kernelINS0_14default_configENS1_37merge_sort_block_sort_config_selectorIlNS0_10empty_typeEEEZNS1_21merge_sort_block_sortIS3_PlS8_PS5_S9_ZN2at6native12_GLOBAL__N_124unique_dim_cuda_templateItEESt5tupleIJNSA_6TensorESF_SF_EERKSF_lbbbEUlllE_EE10hipError_tT0_T1_T2_T3_mRjT4_P12ihipStream_tbNS1_7vsmem_tEEUlT_E_NS1_11comp_targetILNS1_3genE0ELNS1_11target_archE4294967295ELNS1_3gpuE0ELNS1_3repE0EEENS1_30default_config_static_selectorELNS0_4arch9wavefront6targetE0EEEvSM_: ; @_ZN7rocprim17ROCPRIM_400000_NS6detail17trampoline_kernelINS0_14default_configENS1_37merge_sort_block_sort_config_selectorIlNS0_10empty_typeEEEZNS1_21merge_sort_block_sortIS3_PlS8_PS5_S9_ZN2at6native12_GLOBAL__N_124unique_dim_cuda_templateItEESt5tupleIJNSA_6TensorESF_SF_EERKSF_lbbbEUlllE_EE10hipError_tT0_T1_T2_T3_mRjT4_P12ihipStream_tbNS1_7vsmem_tEEUlT_E_NS1_11comp_targetILNS1_3genE0ELNS1_11target_archE4294967295ELNS1_3gpuE0ELNS1_3repE0EEENS1_30default_config_static_selectorELNS0_4arch9wavefront6targetE0EEEvSM_
; %bb.0:
	.section	.rodata,"a",@progbits
	.p2align	6, 0x0
	.amdhsa_kernel _ZN7rocprim17ROCPRIM_400000_NS6detail17trampoline_kernelINS0_14default_configENS1_37merge_sort_block_sort_config_selectorIlNS0_10empty_typeEEEZNS1_21merge_sort_block_sortIS3_PlS8_PS5_S9_ZN2at6native12_GLOBAL__N_124unique_dim_cuda_templateItEESt5tupleIJNSA_6TensorESF_SF_EERKSF_lbbbEUlllE_EE10hipError_tT0_T1_T2_T3_mRjT4_P12ihipStream_tbNS1_7vsmem_tEEUlT_E_NS1_11comp_targetILNS1_3genE0ELNS1_11target_archE4294967295ELNS1_3gpuE0ELNS1_3repE0EEENS1_30default_config_static_selectorELNS0_4arch9wavefront6targetE0EEEvSM_
		.amdhsa_group_segment_fixed_size 0
		.amdhsa_private_segment_fixed_size 0
		.amdhsa_kernarg_size 72
		.amdhsa_user_sgpr_count 15
		.amdhsa_user_sgpr_dispatch_ptr 0
		.amdhsa_user_sgpr_queue_ptr 0
		.amdhsa_user_sgpr_kernarg_segment_ptr 1
		.amdhsa_user_sgpr_dispatch_id 0
		.amdhsa_user_sgpr_private_segment_size 0
		.amdhsa_wavefront_size32 1
		.amdhsa_uses_dynamic_stack 0
		.amdhsa_enable_private_segment 0
		.amdhsa_system_sgpr_workgroup_id_x 1
		.amdhsa_system_sgpr_workgroup_id_y 0
		.amdhsa_system_sgpr_workgroup_id_z 0
		.amdhsa_system_sgpr_workgroup_info 0
		.amdhsa_system_vgpr_workitem_id 0
		.amdhsa_next_free_vgpr 1
		.amdhsa_next_free_sgpr 1
		.amdhsa_reserve_vcc 0
		.amdhsa_float_round_mode_32 0
		.amdhsa_float_round_mode_16_64 0
		.amdhsa_float_denorm_mode_32 3
		.amdhsa_float_denorm_mode_16_64 3
		.amdhsa_dx10_clamp 1
		.amdhsa_ieee_mode 1
		.amdhsa_fp16_overflow 0
		.amdhsa_workgroup_processor_mode 1
		.amdhsa_memory_ordered 1
		.amdhsa_forward_progress 0
		.amdhsa_shared_vgpr_count 0
		.amdhsa_exception_fp_ieee_invalid_op 0
		.amdhsa_exception_fp_denorm_src 0
		.amdhsa_exception_fp_ieee_div_zero 0
		.amdhsa_exception_fp_ieee_overflow 0
		.amdhsa_exception_fp_ieee_underflow 0
		.amdhsa_exception_fp_ieee_inexact 0
		.amdhsa_exception_int_div_zero 0
	.end_amdhsa_kernel
	.section	.text._ZN7rocprim17ROCPRIM_400000_NS6detail17trampoline_kernelINS0_14default_configENS1_37merge_sort_block_sort_config_selectorIlNS0_10empty_typeEEEZNS1_21merge_sort_block_sortIS3_PlS8_PS5_S9_ZN2at6native12_GLOBAL__N_124unique_dim_cuda_templateItEESt5tupleIJNSA_6TensorESF_SF_EERKSF_lbbbEUlllE_EE10hipError_tT0_T1_T2_T3_mRjT4_P12ihipStream_tbNS1_7vsmem_tEEUlT_E_NS1_11comp_targetILNS1_3genE0ELNS1_11target_archE4294967295ELNS1_3gpuE0ELNS1_3repE0EEENS1_30default_config_static_selectorELNS0_4arch9wavefront6targetE0EEEvSM_,"axG",@progbits,_ZN7rocprim17ROCPRIM_400000_NS6detail17trampoline_kernelINS0_14default_configENS1_37merge_sort_block_sort_config_selectorIlNS0_10empty_typeEEEZNS1_21merge_sort_block_sortIS3_PlS8_PS5_S9_ZN2at6native12_GLOBAL__N_124unique_dim_cuda_templateItEESt5tupleIJNSA_6TensorESF_SF_EERKSF_lbbbEUlllE_EE10hipError_tT0_T1_T2_T3_mRjT4_P12ihipStream_tbNS1_7vsmem_tEEUlT_E_NS1_11comp_targetILNS1_3genE0ELNS1_11target_archE4294967295ELNS1_3gpuE0ELNS1_3repE0EEENS1_30default_config_static_selectorELNS0_4arch9wavefront6targetE0EEEvSM_,comdat
.Lfunc_end1359:
	.size	_ZN7rocprim17ROCPRIM_400000_NS6detail17trampoline_kernelINS0_14default_configENS1_37merge_sort_block_sort_config_selectorIlNS0_10empty_typeEEEZNS1_21merge_sort_block_sortIS3_PlS8_PS5_S9_ZN2at6native12_GLOBAL__N_124unique_dim_cuda_templateItEESt5tupleIJNSA_6TensorESF_SF_EERKSF_lbbbEUlllE_EE10hipError_tT0_T1_T2_T3_mRjT4_P12ihipStream_tbNS1_7vsmem_tEEUlT_E_NS1_11comp_targetILNS1_3genE0ELNS1_11target_archE4294967295ELNS1_3gpuE0ELNS1_3repE0EEENS1_30default_config_static_selectorELNS0_4arch9wavefront6targetE0EEEvSM_, .Lfunc_end1359-_ZN7rocprim17ROCPRIM_400000_NS6detail17trampoline_kernelINS0_14default_configENS1_37merge_sort_block_sort_config_selectorIlNS0_10empty_typeEEEZNS1_21merge_sort_block_sortIS3_PlS8_PS5_S9_ZN2at6native12_GLOBAL__N_124unique_dim_cuda_templateItEESt5tupleIJNSA_6TensorESF_SF_EERKSF_lbbbEUlllE_EE10hipError_tT0_T1_T2_T3_mRjT4_P12ihipStream_tbNS1_7vsmem_tEEUlT_E_NS1_11comp_targetILNS1_3genE0ELNS1_11target_archE4294967295ELNS1_3gpuE0ELNS1_3repE0EEENS1_30default_config_static_selectorELNS0_4arch9wavefront6targetE0EEEvSM_
                                        ; -- End function
	.section	.AMDGPU.csdata,"",@progbits
; Kernel info:
; codeLenInByte = 0
; NumSgprs: 0
; NumVgprs: 0
; ScratchSize: 0
; MemoryBound: 0
; FloatMode: 240
; IeeeMode: 1
; LDSByteSize: 0 bytes/workgroup (compile time only)
; SGPRBlocks: 0
; VGPRBlocks: 0
; NumSGPRsForWavesPerEU: 1
; NumVGPRsForWavesPerEU: 1
; Occupancy: 16
; WaveLimiterHint : 0
; COMPUTE_PGM_RSRC2:SCRATCH_EN: 0
; COMPUTE_PGM_RSRC2:USER_SGPR: 15
; COMPUTE_PGM_RSRC2:TRAP_HANDLER: 0
; COMPUTE_PGM_RSRC2:TGID_X_EN: 1
; COMPUTE_PGM_RSRC2:TGID_Y_EN: 0
; COMPUTE_PGM_RSRC2:TGID_Z_EN: 0
; COMPUTE_PGM_RSRC2:TIDIG_COMP_CNT: 0
	.section	.text._ZN7rocprim17ROCPRIM_400000_NS6detail17trampoline_kernelINS0_14default_configENS1_37merge_sort_block_sort_config_selectorIlNS0_10empty_typeEEEZNS1_21merge_sort_block_sortIS3_PlS8_PS5_S9_ZN2at6native12_GLOBAL__N_124unique_dim_cuda_templateItEESt5tupleIJNSA_6TensorESF_SF_EERKSF_lbbbEUlllE_EE10hipError_tT0_T1_T2_T3_mRjT4_P12ihipStream_tbNS1_7vsmem_tEEUlT_E_NS1_11comp_targetILNS1_3genE5ELNS1_11target_archE942ELNS1_3gpuE9ELNS1_3repE0EEENS1_30default_config_static_selectorELNS0_4arch9wavefront6targetE0EEEvSM_,"axG",@progbits,_ZN7rocprim17ROCPRIM_400000_NS6detail17trampoline_kernelINS0_14default_configENS1_37merge_sort_block_sort_config_selectorIlNS0_10empty_typeEEEZNS1_21merge_sort_block_sortIS3_PlS8_PS5_S9_ZN2at6native12_GLOBAL__N_124unique_dim_cuda_templateItEESt5tupleIJNSA_6TensorESF_SF_EERKSF_lbbbEUlllE_EE10hipError_tT0_T1_T2_T3_mRjT4_P12ihipStream_tbNS1_7vsmem_tEEUlT_E_NS1_11comp_targetILNS1_3genE5ELNS1_11target_archE942ELNS1_3gpuE9ELNS1_3repE0EEENS1_30default_config_static_selectorELNS0_4arch9wavefront6targetE0EEEvSM_,comdat
	.globl	_ZN7rocprim17ROCPRIM_400000_NS6detail17trampoline_kernelINS0_14default_configENS1_37merge_sort_block_sort_config_selectorIlNS0_10empty_typeEEEZNS1_21merge_sort_block_sortIS3_PlS8_PS5_S9_ZN2at6native12_GLOBAL__N_124unique_dim_cuda_templateItEESt5tupleIJNSA_6TensorESF_SF_EERKSF_lbbbEUlllE_EE10hipError_tT0_T1_T2_T3_mRjT4_P12ihipStream_tbNS1_7vsmem_tEEUlT_E_NS1_11comp_targetILNS1_3genE5ELNS1_11target_archE942ELNS1_3gpuE9ELNS1_3repE0EEENS1_30default_config_static_selectorELNS0_4arch9wavefront6targetE0EEEvSM_ ; -- Begin function _ZN7rocprim17ROCPRIM_400000_NS6detail17trampoline_kernelINS0_14default_configENS1_37merge_sort_block_sort_config_selectorIlNS0_10empty_typeEEEZNS1_21merge_sort_block_sortIS3_PlS8_PS5_S9_ZN2at6native12_GLOBAL__N_124unique_dim_cuda_templateItEESt5tupleIJNSA_6TensorESF_SF_EERKSF_lbbbEUlllE_EE10hipError_tT0_T1_T2_T3_mRjT4_P12ihipStream_tbNS1_7vsmem_tEEUlT_E_NS1_11comp_targetILNS1_3genE5ELNS1_11target_archE942ELNS1_3gpuE9ELNS1_3repE0EEENS1_30default_config_static_selectorELNS0_4arch9wavefront6targetE0EEEvSM_
	.p2align	8
	.type	_ZN7rocprim17ROCPRIM_400000_NS6detail17trampoline_kernelINS0_14default_configENS1_37merge_sort_block_sort_config_selectorIlNS0_10empty_typeEEEZNS1_21merge_sort_block_sortIS3_PlS8_PS5_S9_ZN2at6native12_GLOBAL__N_124unique_dim_cuda_templateItEESt5tupleIJNSA_6TensorESF_SF_EERKSF_lbbbEUlllE_EE10hipError_tT0_T1_T2_T3_mRjT4_P12ihipStream_tbNS1_7vsmem_tEEUlT_E_NS1_11comp_targetILNS1_3genE5ELNS1_11target_archE942ELNS1_3gpuE9ELNS1_3repE0EEENS1_30default_config_static_selectorELNS0_4arch9wavefront6targetE0EEEvSM_,@function
_ZN7rocprim17ROCPRIM_400000_NS6detail17trampoline_kernelINS0_14default_configENS1_37merge_sort_block_sort_config_selectorIlNS0_10empty_typeEEEZNS1_21merge_sort_block_sortIS3_PlS8_PS5_S9_ZN2at6native12_GLOBAL__N_124unique_dim_cuda_templateItEESt5tupleIJNSA_6TensorESF_SF_EERKSF_lbbbEUlllE_EE10hipError_tT0_T1_T2_T3_mRjT4_P12ihipStream_tbNS1_7vsmem_tEEUlT_E_NS1_11comp_targetILNS1_3genE5ELNS1_11target_archE942ELNS1_3gpuE9ELNS1_3repE0EEENS1_30default_config_static_selectorELNS0_4arch9wavefront6targetE0EEEvSM_: ; @_ZN7rocprim17ROCPRIM_400000_NS6detail17trampoline_kernelINS0_14default_configENS1_37merge_sort_block_sort_config_selectorIlNS0_10empty_typeEEEZNS1_21merge_sort_block_sortIS3_PlS8_PS5_S9_ZN2at6native12_GLOBAL__N_124unique_dim_cuda_templateItEESt5tupleIJNSA_6TensorESF_SF_EERKSF_lbbbEUlllE_EE10hipError_tT0_T1_T2_T3_mRjT4_P12ihipStream_tbNS1_7vsmem_tEEUlT_E_NS1_11comp_targetILNS1_3genE5ELNS1_11target_archE942ELNS1_3gpuE9ELNS1_3repE0EEENS1_30default_config_static_selectorELNS0_4arch9wavefront6targetE0EEEvSM_
; %bb.0:
	.section	.rodata,"a",@progbits
	.p2align	6, 0x0
	.amdhsa_kernel _ZN7rocprim17ROCPRIM_400000_NS6detail17trampoline_kernelINS0_14default_configENS1_37merge_sort_block_sort_config_selectorIlNS0_10empty_typeEEEZNS1_21merge_sort_block_sortIS3_PlS8_PS5_S9_ZN2at6native12_GLOBAL__N_124unique_dim_cuda_templateItEESt5tupleIJNSA_6TensorESF_SF_EERKSF_lbbbEUlllE_EE10hipError_tT0_T1_T2_T3_mRjT4_P12ihipStream_tbNS1_7vsmem_tEEUlT_E_NS1_11comp_targetILNS1_3genE5ELNS1_11target_archE942ELNS1_3gpuE9ELNS1_3repE0EEENS1_30default_config_static_selectorELNS0_4arch9wavefront6targetE0EEEvSM_
		.amdhsa_group_segment_fixed_size 0
		.amdhsa_private_segment_fixed_size 0
		.amdhsa_kernarg_size 72
		.amdhsa_user_sgpr_count 15
		.amdhsa_user_sgpr_dispatch_ptr 0
		.amdhsa_user_sgpr_queue_ptr 0
		.amdhsa_user_sgpr_kernarg_segment_ptr 1
		.amdhsa_user_sgpr_dispatch_id 0
		.amdhsa_user_sgpr_private_segment_size 0
		.amdhsa_wavefront_size32 1
		.amdhsa_uses_dynamic_stack 0
		.amdhsa_enable_private_segment 0
		.amdhsa_system_sgpr_workgroup_id_x 1
		.amdhsa_system_sgpr_workgroup_id_y 0
		.amdhsa_system_sgpr_workgroup_id_z 0
		.amdhsa_system_sgpr_workgroup_info 0
		.amdhsa_system_vgpr_workitem_id 0
		.amdhsa_next_free_vgpr 1
		.amdhsa_next_free_sgpr 1
		.amdhsa_reserve_vcc 0
		.amdhsa_float_round_mode_32 0
		.amdhsa_float_round_mode_16_64 0
		.amdhsa_float_denorm_mode_32 3
		.amdhsa_float_denorm_mode_16_64 3
		.amdhsa_dx10_clamp 1
		.amdhsa_ieee_mode 1
		.amdhsa_fp16_overflow 0
		.amdhsa_workgroup_processor_mode 1
		.amdhsa_memory_ordered 1
		.amdhsa_forward_progress 0
		.amdhsa_shared_vgpr_count 0
		.amdhsa_exception_fp_ieee_invalid_op 0
		.amdhsa_exception_fp_denorm_src 0
		.amdhsa_exception_fp_ieee_div_zero 0
		.amdhsa_exception_fp_ieee_overflow 0
		.amdhsa_exception_fp_ieee_underflow 0
		.amdhsa_exception_fp_ieee_inexact 0
		.amdhsa_exception_int_div_zero 0
	.end_amdhsa_kernel
	.section	.text._ZN7rocprim17ROCPRIM_400000_NS6detail17trampoline_kernelINS0_14default_configENS1_37merge_sort_block_sort_config_selectorIlNS0_10empty_typeEEEZNS1_21merge_sort_block_sortIS3_PlS8_PS5_S9_ZN2at6native12_GLOBAL__N_124unique_dim_cuda_templateItEESt5tupleIJNSA_6TensorESF_SF_EERKSF_lbbbEUlllE_EE10hipError_tT0_T1_T2_T3_mRjT4_P12ihipStream_tbNS1_7vsmem_tEEUlT_E_NS1_11comp_targetILNS1_3genE5ELNS1_11target_archE942ELNS1_3gpuE9ELNS1_3repE0EEENS1_30default_config_static_selectorELNS0_4arch9wavefront6targetE0EEEvSM_,"axG",@progbits,_ZN7rocprim17ROCPRIM_400000_NS6detail17trampoline_kernelINS0_14default_configENS1_37merge_sort_block_sort_config_selectorIlNS0_10empty_typeEEEZNS1_21merge_sort_block_sortIS3_PlS8_PS5_S9_ZN2at6native12_GLOBAL__N_124unique_dim_cuda_templateItEESt5tupleIJNSA_6TensorESF_SF_EERKSF_lbbbEUlllE_EE10hipError_tT0_T1_T2_T3_mRjT4_P12ihipStream_tbNS1_7vsmem_tEEUlT_E_NS1_11comp_targetILNS1_3genE5ELNS1_11target_archE942ELNS1_3gpuE9ELNS1_3repE0EEENS1_30default_config_static_selectorELNS0_4arch9wavefront6targetE0EEEvSM_,comdat
.Lfunc_end1360:
	.size	_ZN7rocprim17ROCPRIM_400000_NS6detail17trampoline_kernelINS0_14default_configENS1_37merge_sort_block_sort_config_selectorIlNS0_10empty_typeEEEZNS1_21merge_sort_block_sortIS3_PlS8_PS5_S9_ZN2at6native12_GLOBAL__N_124unique_dim_cuda_templateItEESt5tupleIJNSA_6TensorESF_SF_EERKSF_lbbbEUlllE_EE10hipError_tT0_T1_T2_T3_mRjT4_P12ihipStream_tbNS1_7vsmem_tEEUlT_E_NS1_11comp_targetILNS1_3genE5ELNS1_11target_archE942ELNS1_3gpuE9ELNS1_3repE0EEENS1_30default_config_static_selectorELNS0_4arch9wavefront6targetE0EEEvSM_, .Lfunc_end1360-_ZN7rocprim17ROCPRIM_400000_NS6detail17trampoline_kernelINS0_14default_configENS1_37merge_sort_block_sort_config_selectorIlNS0_10empty_typeEEEZNS1_21merge_sort_block_sortIS3_PlS8_PS5_S9_ZN2at6native12_GLOBAL__N_124unique_dim_cuda_templateItEESt5tupleIJNSA_6TensorESF_SF_EERKSF_lbbbEUlllE_EE10hipError_tT0_T1_T2_T3_mRjT4_P12ihipStream_tbNS1_7vsmem_tEEUlT_E_NS1_11comp_targetILNS1_3genE5ELNS1_11target_archE942ELNS1_3gpuE9ELNS1_3repE0EEENS1_30default_config_static_selectorELNS0_4arch9wavefront6targetE0EEEvSM_
                                        ; -- End function
	.section	.AMDGPU.csdata,"",@progbits
; Kernel info:
; codeLenInByte = 0
; NumSgprs: 0
; NumVgprs: 0
; ScratchSize: 0
; MemoryBound: 0
; FloatMode: 240
; IeeeMode: 1
; LDSByteSize: 0 bytes/workgroup (compile time only)
; SGPRBlocks: 0
; VGPRBlocks: 0
; NumSGPRsForWavesPerEU: 1
; NumVGPRsForWavesPerEU: 1
; Occupancy: 16
; WaveLimiterHint : 0
; COMPUTE_PGM_RSRC2:SCRATCH_EN: 0
; COMPUTE_PGM_RSRC2:USER_SGPR: 15
; COMPUTE_PGM_RSRC2:TRAP_HANDLER: 0
; COMPUTE_PGM_RSRC2:TGID_X_EN: 1
; COMPUTE_PGM_RSRC2:TGID_Y_EN: 0
; COMPUTE_PGM_RSRC2:TGID_Z_EN: 0
; COMPUTE_PGM_RSRC2:TIDIG_COMP_CNT: 0
	.section	.text._ZN7rocprim17ROCPRIM_400000_NS6detail17trampoline_kernelINS0_14default_configENS1_37merge_sort_block_sort_config_selectorIlNS0_10empty_typeEEEZNS1_21merge_sort_block_sortIS3_PlS8_PS5_S9_ZN2at6native12_GLOBAL__N_124unique_dim_cuda_templateItEESt5tupleIJNSA_6TensorESF_SF_EERKSF_lbbbEUlllE_EE10hipError_tT0_T1_T2_T3_mRjT4_P12ihipStream_tbNS1_7vsmem_tEEUlT_E_NS1_11comp_targetILNS1_3genE4ELNS1_11target_archE910ELNS1_3gpuE8ELNS1_3repE0EEENS1_30default_config_static_selectorELNS0_4arch9wavefront6targetE0EEEvSM_,"axG",@progbits,_ZN7rocprim17ROCPRIM_400000_NS6detail17trampoline_kernelINS0_14default_configENS1_37merge_sort_block_sort_config_selectorIlNS0_10empty_typeEEEZNS1_21merge_sort_block_sortIS3_PlS8_PS5_S9_ZN2at6native12_GLOBAL__N_124unique_dim_cuda_templateItEESt5tupleIJNSA_6TensorESF_SF_EERKSF_lbbbEUlllE_EE10hipError_tT0_T1_T2_T3_mRjT4_P12ihipStream_tbNS1_7vsmem_tEEUlT_E_NS1_11comp_targetILNS1_3genE4ELNS1_11target_archE910ELNS1_3gpuE8ELNS1_3repE0EEENS1_30default_config_static_selectorELNS0_4arch9wavefront6targetE0EEEvSM_,comdat
	.globl	_ZN7rocprim17ROCPRIM_400000_NS6detail17trampoline_kernelINS0_14default_configENS1_37merge_sort_block_sort_config_selectorIlNS0_10empty_typeEEEZNS1_21merge_sort_block_sortIS3_PlS8_PS5_S9_ZN2at6native12_GLOBAL__N_124unique_dim_cuda_templateItEESt5tupleIJNSA_6TensorESF_SF_EERKSF_lbbbEUlllE_EE10hipError_tT0_T1_T2_T3_mRjT4_P12ihipStream_tbNS1_7vsmem_tEEUlT_E_NS1_11comp_targetILNS1_3genE4ELNS1_11target_archE910ELNS1_3gpuE8ELNS1_3repE0EEENS1_30default_config_static_selectorELNS0_4arch9wavefront6targetE0EEEvSM_ ; -- Begin function _ZN7rocprim17ROCPRIM_400000_NS6detail17trampoline_kernelINS0_14default_configENS1_37merge_sort_block_sort_config_selectorIlNS0_10empty_typeEEEZNS1_21merge_sort_block_sortIS3_PlS8_PS5_S9_ZN2at6native12_GLOBAL__N_124unique_dim_cuda_templateItEESt5tupleIJNSA_6TensorESF_SF_EERKSF_lbbbEUlllE_EE10hipError_tT0_T1_T2_T3_mRjT4_P12ihipStream_tbNS1_7vsmem_tEEUlT_E_NS1_11comp_targetILNS1_3genE4ELNS1_11target_archE910ELNS1_3gpuE8ELNS1_3repE0EEENS1_30default_config_static_selectorELNS0_4arch9wavefront6targetE0EEEvSM_
	.p2align	8
	.type	_ZN7rocprim17ROCPRIM_400000_NS6detail17trampoline_kernelINS0_14default_configENS1_37merge_sort_block_sort_config_selectorIlNS0_10empty_typeEEEZNS1_21merge_sort_block_sortIS3_PlS8_PS5_S9_ZN2at6native12_GLOBAL__N_124unique_dim_cuda_templateItEESt5tupleIJNSA_6TensorESF_SF_EERKSF_lbbbEUlllE_EE10hipError_tT0_T1_T2_T3_mRjT4_P12ihipStream_tbNS1_7vsmem_tEEUlT_E_NS1_11comp_targetILNS1_3genE4ELNS1_11target_archE910ELNS1_3gpuE8ELNS1_3repE0EEENS1_30default_config_static_selectorELNS0_4arch9wavefront6targetE0EEEvSM_,@function
_ZN7rocprim17ROCPRIM_400000_NS6detail17trampoline_kernelINS0_14default_configENS1_37merge_sort_block_sort_config_selectorIlNS0_10empty_typeEEEZNS1_21merge_sort_block_sortIS3_PlS8_PS5_S9_ZN2at6native12_GLOBAL__N_124unique_dim_cuda_templateItEESt5tupleIJNSA_6TensorESF_SF_EERKSF_lbbbEUlllE_EE10hipError_tT0_T1_T2_T3_mRjT4_P12ihipStream_tbNS1_7vsmem_tEEUlT_E_NS1_11comp_targetILNS1_3genE4ELNS1_11target_archE910ELNS1_3gpuE8ELNS1_3repE0EEENS1_30default_config_static_selectorELNS0_4arch9wavefront6targetE0EEEvSM_: ; @_ZN7rocprim17ROCPRIM_400000_NS6detail17trampoline_kernelINS0_14default_configENS1_37merge_sort_block_sort_config_selectorIlNS0_10empty_typeEEEZNS1_21merge_sort_block_sortIS3_PlS8_PS5_S9_ZN2at6native12_GLOBAL__N_124unique_dim_cuda_templateItEESt5tupleIJNSA_6TensorESF_SF_EERKSF_lbbbEUlllE_EE10hipError_tT0_T1_T2_T3_mRjT4_P12ihipStream_tbNS1_7vsmem_tEEUlT_E_NS1_11comp_targetILNS1_3genE4ELNS1_11target_archE910ELNS1_3gpuE8ELNS1_3repE0EEENS1_30default_config_static_selectorELNS0_4arch9wavefront6targetE0EEEvSM_
; %bb.0:
	.section	.rodata,"a",@progbits
	.p2align	6, 0x0
	.amdhsa_kernel _ZN7rocprim17ROCPRIM_400000_NS6detail17trampoline_kernelINS0_14default_configENS1_37merge_sort_block_sort_config_selectorIlNS0_10empty_typeEEEZNS1_21merge_sort_block_sortIS3_PlS8_PS5_S9_ZN2at6native12_GLOBAL__N_124unique_dim_cuda_templateItEESt5tupleIJNSA_6TensorESF_SF_EERKSF_lbbbEUlllE_EE10hipError_tT0_T1_T2_T3_mRjT4_P12ihipStream_tbNS1_7vsmem_tEEUlT_E_NS1_11comp_targetILNS1_3genE4ELNS1_11target_archE910ELNS1_3gpuE8ELNS1_3repE0EEENS1_30default_config_static_selectorELNS0_4arch9wavefront6targetE0EEEvSM_
		.amdhsa_group_segment_fixed_size 0
		.amdhsa_private_segment_fixed_size 0
		.amdhsa_kernarg_size 72
		.amdhsa_user_sgpr_count 15
		.amdhsa_user_sgpr_dispatch_ptr 0
		.amdhsa_user_sgpr_queue_ptr 0
		.amdhsa_user_sgpr_kernarg_segment_ptr 1
		.amdhsa_user_sgpr_dispatch_id 0
		.amdhsa_user_sgpr_private_segment_size 0
		.amdhsa_wavefront_size32 1
		.amdhsa_uses_dynamic_stack 0
		.amdhsa_enable_private_segment 0
		.amdhsa_system_sgpr_workgroup_id_x 1
		.amdhsa_system_sgpr_workgroup_id_y 0
		.amdhsa_system_sgpr_workgroup_id_z 0
		.amdhsa_system_sgpr_workgroup_info 0
		.amdhsa_system_vgpr_workitem_id 0
		.amdhsa_next_free_vgpr 1
		.amdhsa_next_free_sgpr 1
		.amdhsa_reserve_vcc 0
		.amdhsa_float_round_mode_32 0
		.amdhsa_float_round_mode_16_64 0
		.amdhsa_float_denorm_mode_32 3
		.amdhsa_float_denorm_mode_16_64 3
		.amdhsa_dx10_clamp 1
		.amdhsa_ieee_mode 1
		.amdhsa_fp16_overflow 0
		.amdhsa_workgroup_processor_mode 1
		.amdhsa_memory_ordered 1
		.amdhsa_forward_progress 0
		.amdhsa_shared_vgpr_count 0
		.amdhsa_exception_fp_ieee_invalid_op 0
		.amdhsa_exception_fp_denorm_src 0
		.amdhsa_exception_fp_ieee_div_zero 0
		.amdhsa_exception_fp_ieee_overflow 0
		.amdhsa_exception_fp_ieee_underflow 0
		.amdhsa_exception_fp_ieee_inexact 0
		.amdhsa_exception_int_div_zero 0
	.end_amdhsa_kernel
	.section	.text._ZN7rocprim17ROCPRIM_400000_NS6detail17trampoline_kernelINS0_14default_configENS1_37merge_sort_block_sort_config_selectorIlNS0_10empty_typeEEEZNS1_21merge_sort_block_sortIS3_PlS8_PS5_S9_ZN2at6native12_GLOBAL__N_124unique_dim_cuda_templateItEESt5tupleIJNSA_6TensorESF_SF_EERKSF_lbbbEUlllE_EE10hipError_tT0_T1_T2_T3_mRjT4_P12ihipStream_tbNS1_7vsmem_tEEUlT_E_NS1_11comp_targetILNS1_3genE4ELNS1_11target_archE910ELNS1_3gpuE8ELNS1_3repE0EEENS1_30default_config_static_selectorELNS0_4arch9wavefront6targetE0EEEvSM_,"axG",@progbits,_ZN7rocprim17ROCPRIM_400000_NS6detail17trampoline_kernelINS0_14default_configENS1_37merge_sort_block_sort_config_selectorIlNS0_10empty_typeEEEZNS1_21merge_sort_block_sortIS3_PlS8_PS5_S9_ZN2at6native12_GLOBAL__N_124unique_dim_cuda_templateItEESt5tupleIJNSA_6TensorESF_SF_EERKSF_lbbbEUlllE_EE10hipError_tT0_T1_T2_T3_mRjT4_P12ihipStream_tbNS1_7vsmem_tEEUlT_E_NS1_11comp_targetILNS1_3genE4ELNS1_11target_archE910ELNS1_3gpuE8ELNS1_3repE0EEENS1_30default_config_static_selectorELNS0_4arch9wavefront6targetE0EEEvSM_,comdat
.Lfunc_end1361:
	.size	_ZN7rocprim17ROCPRIM_400000_NS6detail17trampoline_kernelINS0_14default_configENS1_37merge_sort_block_sort_config_selectorIlNS0_10empty_typeEEEZNS1_21merge_sort_block_sortIS3_PlS8_PS5_S9_ZN2at6native12_GLOBAL__N_124unique_dim_cuda_templateItEESt5tupleIJNSA_6TensorESF_SF_EERKSF_lbbbEUlllE_EE10hipError_tT0_T1_T2_T3_mRjT4_P12ihipStream_tbNS1_7vsmem_tEEUlT_E_NS1_11comp_targetILNS1_3genE4ELNS1_11target_archE910ELNS1_3gpuE8ELNS1_3repE0EEENS1_30default_config_static_selectorELNS0_4arch9wavefront6targetE0EEEvSM_, .Lfunc_end1361-_ZN7rocprim17ROCPRIM_400000_NS6detail17trampoline_kernelINS0_14default_configENS1_37merge_sort_block_sort_config_selectorIlNS0_10empty_typeEEEZNS1_21merge_sort_block_sortIS3_PlS8_PS5_S9_ZN2at6native12_GLOBAL__N_124unique_dim_cuda_templateItEESt5tupleIJNSA_6TensorESF_SF_EERKSF_lbbbEUlllE_EE10hipError_tT0_T1_T2_T3_mRjT4_P12ihipStream_tbNS1_7vsmem_tEEUlT_E_NS1_11comp_targetILNS1_3genE4ELNS1_11target_archE910ELNS1_3gpuE8ELNS1_3repE0EEENS1_30default_config_static_selectorELNS0_4arch9wavefront6targetE0EEEvSM_
                                        ; -- End function
	.section	.AMDGPU.csdata,"",@progbits
; Kernel info:
; codeLenInByte = 0
; NumSgprs: 0
; NumVgprs: 0
; ScratchSize: 0
; MemoryBound: 0
; FloatMode: 240
; IeeeMode: 1
; LDSByteSize: 0 bytes/workgroup (compile time only)
; SGPRBlocks: 0
; VGPRBlocks: 0
; NumSGPRsForWavesPerEU: 1
; NumVGPRsForWavesPerEU: 1
; Occupancy: 16
; WaveLimiterHint : 0
; COMPUTE_PGM_RSRC2:SCRATCH_EN: 0
; COMPUTE_PGM_RSRC2:USER_SGPR: 15
; COMPUTE_PGM_RSRC2:TRAP_HANDLER: 0
; COMPUTE_PGM_RSRC2:TGID_X_EN: 1
; COMPUTE_PGM_RSRC2:TGID_Y_EN: 0
; COMPUTE_PGM_RSRC2:TGID_Z_EN: 0
; COMPUTE_PGM_RSRC2:TIDIG_COMP_CNT: 0
	.section	.text._ZN7rocprim17ROCPRIM_400000_NS6detail17trampoline_kernelINS0_14default_configENS1_37merge_sort_block_sort_config_selectorIlNS0_10empty_typeEEEZNS1_21merge_sort_block_sortIS3_PlS8_PS5_S9_ZN2at6native12_GLOBAL__N_124unique_dim_cuda_templateItEESt5tupleIJNSA_6TensorESF_SF_EERKSF_lbbbEUlllE_EE10hipError_tT0_T1_T2_T3_mRjT4_P12ihipStream_tbNS1_7vsmem_tEEUlT_E_NS1_11comp_targetILNS1_3genE3ELNS1_11target_archE908ELNS1_3gpuE7ELNS1_3repE0EEENS1_30default_config_static_selectorELNS0_4arch9wavefront6targetE0EEEvSM_,"axG",@progbits,_ZN7rocprim17ROCPRIM_400000_NS6detail17trampoline_kernelINS0_14default_configENS1_37merge_sort_block_sort_config_selectorIlNS0_10empty_typeEEEZNS1_21merge_sort_block_sortIS3_PlS8_PS5_S9_ZN2at6native12_GLOBAL__N_124unique_dim_cuda_templateItEESt5tupleIJNSA_6TensorESF_SF_EERKSF_lbbbEUlllE_EE10hipError_tT0_T1_T2_T3_mRjT4_P12ihipStream_tbNS1_7vsmem_tEEUlT_E_NS1_11comp_targetILNS1_3genE3ELNS1_11target_archE908ELNS1_3gpuE7ELNS1_3repE0EEENS1_30default_config_static_selectorELNS0_4arch9wavefront6targetE0EEEvSM_,comdat
	.globl	_ZN7rocprim17ROCPRIM_400000_NS6detail17trampoline_kernelINS0_14default_configENS1_37merge_sort_block_sort_config_selectorIlNS0_10empty_typeEEEZNS1_21merge_sort_block_sortIS3_PlS8_PS5_S9_ZN2at6native12_GLOBAL__N_124unique_dim_cuda_templateItEESt5tupleIJNSA_6TensorESF_SF_EERKSF_lbbbEUlllE_EE10hipError_tT0_T1_T2_T3_mRjT4_P12ihipStream_tbNS1_7vsmem_tEEUlT_E_NS1_11comp_targetILNS1_3genE3ELNS1_11target_archE908ELNS1_3gpuE7ELNS1_3repE0EEENS1_30default_config_static_selectorELNS0_4arch9wavefront6targetE0EEEvSM_ ; -- Begin function _ZN7rocprim17ROCPRIM_400000_NS6detail17trampoline_kernelINS0_14default_configENS1_37merge_sort_block_sort_config_selectorIlNS0_10empty_typeEEEZNS1_21merge_sort_block_sortIS3_PlS8_PS5_S9_ZN2at6native12_GLOBAL__N_124unique_dim_cuda_templateItEESt5tupleIJNSA_6TensorESF_SF_EERKSF_lbbbEUlllE_EE10hipError_tT0_T1_T2_T3_mRjT4_P12ihipStream_tbNS1_7vsmem_tEEUlT_E_NS1_11comp_targetILNS1_3genE3ELNS1_11target_archE908ELNS1_3gpuE7ELNS1_3repE0EEENS1_30default_config_static_selectorELNS0_4arch9wavefront6targetE0EEEvSM_
	.p2align	8
	.type	_ZN7rocprim17ROCPRIM_400000_NS6detail17trampoline_kernelINS0_14default_configENS1_37merge_sort_block_sort_config_selectorIlNS0_10empty_typeEEEZNS1_21merge_sort_block_sortIS3_PlS8_PS5_S9_ZN2at6native12_GLOBAL__N_124unique_dim_cuda_templateItEESt5tupleIJNSA_6TensorESF_SF_EERKSF_lbbbEUlllE_EE10hipError_tT0_T1_T2_T3_mRjT4_P12ihipStream_tbNS1_7vsmem_tEEUlT_E_NS1_11comp_targetILNS1_3genE3ELNS1_11target_archE908ELNS1_3gpuE7ELNS1_3repE0EEENS1_30default_config_static_selectorELNS0_4arch9wavefront6targetE0EEEvSM_,@function
_ZN7rocprim17ROCPRIM_400000_NS6detail17trampoline_kernelINS0_14default_configENS1_37merge_sort_block_sort_config_selectorIlNS0_10empty_typeEEEZNS1_21merge_sort_block_sortIS3_PlS8_PS5_S9_ZN2at6native12_GLOBAL__N_124unique_dim_cuda_templateItEESt5tupleIJNSA_6TensorESF_SF_EERKSF_lbbbEUlllE_EE10hipError_tT0_T1_T2_T3_mRjT4_P12ihipStream_tbNS1_7vsmem_tEEUlT_E_NS1_11comp_targetILNS1_3genE3ELNS1_11target_archE908ELNS1_3gpuE7ELNS1_3repE0EEENS1_30default_config_static_selectorELNS0_4arch9wavefront6targetE0EEEvSM_: ; @_ZN7rocprim17ROCPRIM_400000_NS6detail17trampoline_kernelINS0_14default_configENS1_37merge_sort_block_sort_config_selectorIlNS0_10empty_typeEEEZNS1_21merge_sort_block_sortIS3_PlS8_PS5_S9_ZN2at6native12_GLOBAL__N_124unique_dim_cuda_templateItEESt5tupleIJNSA_6TensorESF_SF_EERKSF_lbbbEUlllE_EE10hipError_tT0_T1_T2_T3_mRjT4_P12ihipStream_tbNS1_7vsmem_tEEUlT_E_NS1_11comp_targetILNS1_3genE3ELNS1_11target_archE908ELNS1_3gpuE7ELNS1_3repE0EEENS1_30default_config_static_selectorELNS0_4arch9wavefront6targetE0EEEvSM_
; %bb.0:
	.section	.rodata,"a",@progbits
	.p2align	6, 0x0
	.amdhsa_kernel _ZN7rocprim17ROCPRIM_400000_NS6detail17trampoline_kernelINS0_14default_configENS1_37merge_sort_block_sort_config_selectorIlNS0_10empty_typeEEEZNS1_21merge_sort_block_sortIS3_PlS8_PS5_S9_ZN2at6native12_GLOBAL__N_124unique_dim_cuda_templateItEESt5tupleIJNSA_6TensorESF_SF_EERKSF_lbbbEUlllE_EE10hipError_tT0_T1_T2_T3_mRjT4_P12ihipStream_tbNS1_7vsmem_tEEUlT_E_NS1_11comp_targetILNS1_3genE3ELNS1_11target_archE908ELNS1_3gpuE7ELNS1_3repE0EEENS1_30default_config_static_selectorELNS0_4arch9wavefront6targetE0EEEvSM_
		.amdhsa_group_segment_fixed_size 0
		.amdhsa_private_segment_fixed_size 0
		.amdhsa_kernarg_size 72
		.amdhsa_user_sgpr_count 15
		.amdhsa_user_sgpr_dispatch_ptr 0
		.amdhsa_user_sgpr_queue_ptr 0
		.amdhsa_user_sgpr_kernarg_segment_ptr 1
		.amdhsa_user_sgpr_dispatch_id 0
		.amdhsa_user_sgpr_private_segment_size 0
		.amdhsa_wavefront_size32 1
		.amdhsa_uses_dynamic_stack 0
		.amdhsa_enable_private_segment 0
		.amdhsa_system_sgpr_workgroup_id_x 1
		.amdhsa_system_sgpr_workgroup_id_y 0
		.amdhsa_system_sgpr_workgroup_id_z 0
		.amdhsa_system_sgpr_workgroup_info 0
		.amdhsa_system_vgpr_workitem_id 0
		.amdhsa_next_free_vgpr 1
		.amdhsa_next_free_sgpr 1
		.amdhsa_reserve_vcc 0
		.amdhsa_float_round_mode_32 0
		.amdhsa_float_round_mode_16_64 0
		.amdhsa_float_denorm_mode_32 3
		.amdhsa_float_denorm_mode_16_64 3
		.amdhsa_dx10_clamp 1
		.amdhsa_ieee_mode 1
		.amdhsa_fp16_overflow 0
		.amdhsa_workgroup_processor_mode 1
		.amdhsa_memory_ordered 1
		.amdhsa_forward_progress 0
		.amdhsa_shared_vgpr_count 0
		.amdhsa_exception_fp_ieee_invalid_op 0
		.amdhsa_exception_fp_denorm_src 0
		.amdhsa_exception_fp_ieee_div_zero 0
		.amdhsa_exception_fp_ieee_overflow 0
		.amdhsa_exception_fp_ieee_underflow 0
		.amdhsa_exception_fp_ieee_inexact 0
		.amdhsa_exception_int_div_zero 0
	.end_amdhsa_kernel
	.section	.text._ZN7rocprim17ROCPRIM_400000_NS6detail17trampoline_kernelINS0_14default_configENS1_37merge_sort_block_sort_config_selectorIlNS0_10empty_typeEEEZNS1_21merge_sort_block_sortIS3_PlS8_PS5_S9_ZN2at6native12_GLOBAL__N_124unique_dim_cuda_templateItEESt5tupleIJNSA_6TensorESF_SF_EERKSF_lbbbEUlllE_EE10hipError_tT0_T1_T2_T3_mRjT4_P12ihipStream_tbNS1_7vsmem_tEEUlT_E_NS1_11comp_targetILNS1_3genE3ELNS1_11target_archE908ELNS1_3gpuE7ELNS1_3repE0EEENS1_30default_config_static_selectorELNS0_4arch9wavefront6targetE0EEEvSM_,"axG",@progbits,_ZN7rocprim17ROCPRIM_400000_NS6detail17trampoline_kernelINS0_14default_configENS1_37merge_sort_block_sort_config_selectorIlNS0_10empty_typeEEEZNS1_21merge_sort_block_sortIS3_PlS8_PS5_S9_ZN2at6native12_GLOBAL__N_124unique_dim_cuda_templateItEESt5tupleIJNSA_6TensorESF_SF_EERKSF_lbbbEUlllE_EE10hipError_tT0_T1_T2_T3_mRjT4_P12ihipStream_tbNS1_7vsmem_tEEUlT_E_NS1_11comp_targetILNS1_3genE3ELNS1_11target_archE908ELNS1_3gpuE7ELNS1_3repE0EEENS1_30default_config_static_selectorELNS0_4arch9wavefront6targetE0EEEvSM_,comdat
.Lfunc_end1362:
	.size	_ZN7rocprim17ROCPRIM_400000_NS6detail17trampoline_kernelINS0_14default_configENS1_37merge_sort_block_sort_config_selectorIlNS0_10empty_typeEEEZNS1_21merge_sort_block_sortIS3_PlS8_PS5_S9_ZN2at6native12_GLOBAL__N_124unique_dim_cuda_templateItEESt5tupleIJNSA_6TensorESF_SF_EERKSF_lbbbEUlllE_EE10hipError_tT0_T1_T2_T3_mRjT4_P12ihipStream_tbNS1_7vsmem_tEEUlT_E_NS1_11comp_targetILNS1_3genE3ELNS1_11target_archE908ELNS1_3gpuE7ELNS1_3repE0EEENS1_30default_config_static_selectorELNS0_4arch9wavefront6targetE0EEEvSM_, .Lfunc_end1362-_ZN7rocprim17ROCPRIM_400000_NS6detail17trampoline_kernelINS0_14default_configENS1_37merge_sort_block_sort_config_selectorIlNS0_10empty_typeEEEZNS1_21merge_sort_block_sortIS3_PlS8_PS5_S9_ZN2at6native12_GLOBAL__N_124unique_dim_cuda_templateItEESt5tupleIJNSA_6TensorESF_SF_EERKSF_lbbbEUlllE_EE10hipError_tT0_T1_T2_T3_mRjT4_P12ihipStream_tbNS1_7vsmem_tEEUlT_E_NS1_11comp_targetILNS1_3genE3ELNS1_11target_archE908ELNS1_3gpuE7ELNS1_3repE0EEENS1_30default_config_static_selectorELNS0_4arch9wavefront6targetE0EEEvSM_
                                        ; -- End function
	.section	.AMDGPU.csdata,"",@progbits
; Kernel info:
; codeLenInByte = 0
; NumSgprs: 0
; NumVgprs: 0
; ScratchSize: 0
; MemoryBound: 0
; FloatMode: 240
; IeeeMode: 1
; LDSByteSize: 0 bytes/workgroup (compile time only)
; SGPRBlocks: 0
; VGPRBlocks: 0
; NumSGPRsForWavesPerEU: 1
; NumVGPRsForWavesPerEU: 1
; Occupancy: 16
; WaveLimiterHint : 0
; COMPUTE_PGM_RSRC2:SCRATCH_EN: 0
; COMPUTE_PGM_RSRC2:USER_SGPR: 15
; COMPUTE_PGM_RSRC2:TRAP_HANDLER: 0
; COMPUTE_PGM_RSRC2:TGID_X_EN: 1
; COMPUTE_PGM_RSRC2:TGID_Y_EN: 0
; COMPUTE_PGM_RSRC2:TGID_Z_EN: 0
; COMPUTE_PGM_RSRC2:TIDIG_COMP_CNT: 0
	.section	.text._ZN7rocprim17ROCPRIM_400000_NS6detail17trampoline_kernelINS0_14default_configENS1_37merge_sort_block_sort_config_selectorIlNS0_10empty_typeEEEZNS1_21merge_sort_block_sortIS3_PlS8_PS5_S9_ZN2at6native12_GLOBAL__N_124unique_dim_cuda_templateItEESt5tupleIJNSA_6TensorESF_SF_EERKSF_lbbbEUlllE_EE10hipError_tT0_T1_T2_T3_mRjT4_P12ihipStream_tbNS1_7vsmem_tEEUlT_E_NS1_11comp_targetILNS1_3genE2ELNS1_11target_archE906ELNS1_3gpuE6ELNS1_3repE0EEENS1_30default_config_static_selectorELNS0_4arch9wavefront6targetE0EEEvSM_,"axG",@progbits,_ZN7rocprim17ROCPRIM_400000_NS6detail17trampoline_kernelINS0_14default_configENS1_37merge_sort_block_sort_config_selectorIlNS0_10empty_typeEEEZNS1_21merge_sort_block_sortIS3_PlS8_PS5_S9_ZN2at6native12_GLOBAL__N_124unique_dim_cuda_templateItEESt5tupleIJNSA_6TensorESF_SF_EERKSF_lbbbEUlllE_EE10hipError_tT0_T1_T2_T3_mRjT4_P12ihipStream_tbNS1_7vsmem_tEEUlT_E_NS1_11comp_targetILNS1_3genE2ELNS1_11target_archE906ELNS1_3gpuE6ELNS1_3repE0EEENS1_30default_config_static_selectorELNS0_4arch9wavefront6targetE0EEEvSM_,comdat
	.globl	_ZN7rocprim17ROCPRIM_400000_NS6detail17trampoline_kernelINS0_14default_configENS1_37merge_sort_block_sort_config_selectorIlNS0_10empty_typeEEEZNS1_21merge_sort_block_sortIS3_PlS8_PS5_S9_ZN2at6native12_GLOBAL__N_124unique_dim_cuda_templateItEESt5tupleIJNSA_6TensorESF_SF_EERKSF_lbbbEUlllE_EE10hipError_tT0_T1_T2_T3_mRjT4_P12ihipStream_tbNS1_7vsmem_tEEUlT_E_NS1_11comp_targetILNS1_3genE2ELNS1_11target_archE906ELNS1_3gpuE6ELNS1_3repE0EEENS1_30default_config_static_selectorELNS0_4arch9wavefront6targetE0EEEvSM_ ; -- Begin function _ZN7rocprim17ROCPRIM_400000_NS6detail17trampoline_kernelINS0_14default_configENS1_37merge_sort_block_sort_config_selectorIlNS0_10empty_typeEEEZNS1_21merge_sort_block_sortIS3_PlS8_PS5_S9_ZN2at6native12_GLOBAL__N_124unique_dim_cuda_templateItEESt5tupleIJNSA_6TensorESF_SF_EERKSF_lbbbEUlllE_EE10hipError_tT0_T1_T2_T3_mRjT4_P12ihipStream_tbNS1_7vsmem_tEEUlT_E_NS1_11comp_targetILNS1_3genE2ELNS1_11target_archE906ELNS1_3gpuE6ELNS1_3repE0EEENS1_30default_config_static_selectorELNS0_4arch9wavefront6targetE0EEEvSM_
	.p2align	8
	.type	_ZN7rocprim17ROCPRIM_400000_NS6detail17trampoline_kernelINS0_14default_configENS1_37merge_sort_block_sort_config_selectorIlNS0_10empty_typeEEEZNS1_21merge_sort_block_sortIS3_PlS8_PS5_S9_ZN2at6native12_GLOBAL__N_124unique_dim_cuda_templateItEESt5tupleIJNSA_6TensorESF_SF_EERKSF_lbbbEUlllE_EE10hipError_tT0_T1_T2_T3_mRjT4_P12ihipStream_tbNS1_7vsmem_tEEUlT_E_NS1_11comp_targetILNS1_3genE2ELNS1_11target_archE906ELNS1_3gpuE6ELNS1_3repE0EEENS1_30default_config_static_selectorELNS0_4arch9wavefront6targetE0EEEvSM_,@function
_ZN7rocprim17ROCPRIM_400000_NS6detail17trampoline_kernelINS0_14default_configENS1_37merge_sort_block_sort_config_selectorIlNS0_10empty_typeEEEZNS1_21merge_sort_block_sortIS3_PlS8_PS5_S9_ZN2at6native12_GLOBAL__N_124unique_dim_cuda_templateItEESt5tupleIJNSA_6TensorESF_SF_EERKSF_lbbbEUlllE_EE10hipError_tT0_T1_T2_T3_mRjT4_P12ihipStream_tbNS1_7vsmem_tEEUlT_E_NS1_11comp_targetILNS1_3genE2ELNS1_11target_archE906ELNS1_3gpuE6ELNS1_3repE0EEENS1_30default_config_static_selectorELNS0_4arch9wavefront6targetE0EEEvSM_: ; @_ZN7rocprim17ROCPRIM_400000_NS6detail17trampoline_kernelINS0_14default_configENS1_37merge_sort_block_sort_config_selectorIlNS0_10empty_typeEEEZNS1_21merge_sort_block_sortIS3_PlS8_PS5_S9_ZN2at6native12_GLOBAL__N_124unique_dim_cuda_templateItEESt5tupleIJNSA_6TensorESF_SF_EERKSF_lbbbEUlllE_EE10hipError_tT0_T1_T2_T3_mRjT4_P12ihipStream_tbNS1_7vsmem_tEEUlT_E_NS1_11comp_targetILNS1_3genE2ELNS1_11target_archE906ELNS1_3gpuE6ELNS1_3repE0EEENS1_30default_config_static_selectorELNS0_4arch9wavefront6targetE0EEEvSM_
; %bb.0:
	.section	.rodata,"a",@progbits
	.p2align	6, 0x0
	.amdhsa_kernel _ZN7rocprim17ROCPRIM_400000_NS6detail17trampoline_kernelINS0_14default_configENS1_37merge_sort_block_sort_config_selectorIlNS0_10empty_typeEEEZNS1_21merge_sort_block_sortIS3_PlS8_PS5_S9_ZN2at6native12_GLOBAL__N_124unique_dim_cuda_templateItEESt5tupleIJNSA_6TensorESF_SF_EERKSF_lbbbEUlllE_EE10hipError_tT0_T1_T2_T3_mRjT4_P12ihipStream_tbNS1_7vsmem_tEEUlT_E_NS1_11comp_targetILNS1_3genE2ELNS1_11target_archE906ELNS1_3gpuE6ELNS1_3repE0EEENS1_30default_config_static_selectorELNS0_4arch9wavefront6targetE0EEEvSM_
		.amdhsa_group_segment_fixed_size 0
		.amdhsa_private_segment_fixed_size 0
		.amdhsa_kernarg_size 72
		.amdhsa_user_sgpr_count 15
		.amdhsa_user_sgpr_dispatch_ptr 0
		.amdhsa_user_sgpr_queue_ptr 0
		.amdhsa_user_sgpr_kernarg_segment_ptr 1
		.amdhsa_user_sgpr_dispatch_id 0
		.amdhsa_user_sgpr_private_segment_size 0
		.amdhsa_wavefront_size32 1
		.amdhsa_uses_dynamic_stack 0
		.amdhsa_enable_private_segment 0
		.amdhsa_system_sgpr_workgroup_id_x 1
		.amdhsa_system_sgpr_workgroup_id_y 0
		.amdhsa_system_sgpr_workgroup_id_z 0
		.amdhsa_system_sgpr_workgroup_info 0
		.amdhsa_system_vgpr_workitem_id 0
		.amdhsa_next_free_vgpr 1
		.amdhsa_next_free_sgpr 1
		.amdhsa_reserve_vcc 0
		.amdhsa_float_round_mode_32 0
		.amdhsa_float_round_mode_16_64 0
		.amdhsa_float_denorm_mode_32 3
		.amdhsa_float_denorm_mode_16_64 3
		.amdhsa_dx10_clamp 1
		.amdhsa_ieee_mode 1
		.amdhsa_fp16_overflow 0
		.amdhsa_workgroup_processor_mode 1
		.amdhsa_memory_ordered 1
		.amdhsa_forward_progress 0
		.amdhsa_shared_vgpr_count 0
		.amdhsa_exception_fp_ieee_invalid_op 0
		.amdhsa_exception_fp_denorm_src 0
		.amdhsa_exception_fp_ieee_div_zero 0
		.amdhsa_exception_fp_ieee_overflow 0
		.amdhsa_exception_fp_ieee_underflow 0
		.amdhsa_exception_fp_ieee_inexact 0
		.amdhsa_exception_int_div_zero 0
	.end_amdhsa_kernel
	.section	.text._ZN7rocprim17ROCPRIM_400000_NS6detail17trampoline_kernelINS0_14default_configENS1_37merge_sort_block_sort_config_selectorIlNS0_10empty_typeEEEZNS1_21merge_sort_block_sortIS3_PlS8_PS5_S9_ZN2at6native12_GLOBAL__N_124unique_dim_cuda_templateItEESt5tupleIJNSA_6TensorESF_SF_EERKSF_lbbbEUlllE_EE10hipError_tT0_T1_T2_T3_mRjT4_P12ihipStream_tbNS1_7vsmem_tEEUlT_E_NS1_11comp_targetILNS1_3genE2ELNS1_11target_archE906ELNS1_3gpuE6ELNS1_3repE0EEENS1_30default_config_static_selectorELNS0_4arch9wavefront6targetE0EEEvSM_,"axG",@progbits,_ZN7rocprim17ROCPRIM_400000_NS6detail17trampoline_kernelINS0_14default_configENS1_37merge_sort_block_sort_config_selectorIlNS0_10empty_typeEEEZNS1_21merge_sort_block_sortIS3_PlS8_PS5_S9_ZN2at6native12_GLOBAL__N_124unique_dim_cuda_templateItEESt5tupleIJNSA_6TensorESF_SF_EERKSF_lbbbEUlllE_EE10hipError_tT0_T1_T2_T3_mRjT4_P12ihipStream_tbNS1_7vsmem_tEEUlT_E_NS1_11comp_targetILNS1_3genE2ELNS1_11target_archE906ELNS1_3gpuE6ELNS1_3repE0EEENS1_30default_config_static_selectorELNS0_4arch9wavefront6targetE0EEEvSM_,comdat
.Lfunc_end1363:
	.size	_ZN7rocprim17ROCPRIM_400000_NS6detail17trampoline_kernelINS0_14default_configENS1_37merge_sort_block_sort_config_selectorIlNS0_10empty_typeEEEZNS1_21merge_sort_block_sortIS3_PlS8_PS5_S9_ZN2at6native12_GLOBAL__N_124unique_dim_cuda_templateItEESt5tupleIJNSA_6TensorESF_SF_EERKSF_lbbbEUlllE_EE10hipError_tT0_T1_T2_T3_mRjT4_P12ihipStream_tbNS1_7vsmem_tEEUlT_E_NS1_11comp_targetILNS1_3genE2ELNS1_11target_archE906ELNS1_3gpuE6ELNS1_3repE0EEENS1_30default_config_static_selectorELNS0_4arch9wavefront6targetE0EEEvSM_, .Lfunc_end1363-_ZN7rocprim17ROCPRIM_400000_NS6detail17trampoline_kernelINS0_14default_configENS1_37merge_sort_block_sort_config_selectorIlNS0_10empty_typeEEEZNS1_21merge_sort_block_sortIS3_PlS8_PS5_S9_ZN2at6native12_GLOBAL__N_124unique_dim_cuda_templateItEESt5tupleIJNSA_6TensorESF_SF_EERKSF_lbbbEUlllE_EE10hipError_tT0_T1_T2_T3_mRjT4_P12ihipStream_tbNS1_7vsmem_tEEUlT_E_NS1_11comp_targetILNS1_3genE2ELNS1_11target_archE906ELNS1_3gpuE6ELNS1_3repE0EEENS1_30default_config_static_selectorELNS0_4arch9wavefront6targetE0EEEvSM_
                                        ; -- End function
	.section	.AMDGPU.csdata,"",@progbits
; Kernel info:
; codeLenInByte = 0
; NumSgprs: 0
; NumVgprs: 0
; ScratchSize: 0
; MemoryBound: 0
; FloatMode: 240
; IeeeMode: 1
; LDSByteSize: 0 bytes/workgroup (compile time only)
; SGPRBlocks: 0
; VGPRBlocks: 0
; NumSGPRsForWavesPerEU: 1
; NumVGPRsForWavesPerEU: 1
; Occupancy: 16
; WaveLimiterHint : 0
; COMPUTE_PGM_RSRC2:SCRATCH_EN: 0
; COMPUTE_PGM_RSRC2:USER_SGPR: 15
; COMPUTE_PGM_RSRC2:TRAP_HANDLER: 0
; COMPUTE_PGM_RSRC2:TGID_X_EN: 1
; COMPUTE_PGM_RSRC2:TGID_Y_EN: 0
; COMPUTE_PGM_RSRC2:TGID_Z_EN: 0
; COMPUTE_PGM_RSRC2:TIDIG_COMP_CNT: 0
	.section	.text._ZN7rocprim17ROCPRIM_400000_NS6detail17trampoline_kernelINS0_14default_configENS1_37merge_sort_block_sort_config_selectorIlNS0_10empty_typeEEEZNS1_21merge_sort_block_sortIS3_PlS8_PS5_S9_ZN2at6native12_GLOBAL__N_124unique_dim_cuda_templateItEESt5tupleIJNSA_6TensorESF_SF_EERKSF_lbbbEUlllE_EE10hipError_tT0_T1_T2_T3_mRjT4_P12ihipStream_tbNS1_7vsmem_tEEUlT_E_NS1_11comp_targetILNS1_3genE10ELNS1_11target_archE1201ELNS1_3gpuE5ELNS1_3repE0EEENS1_30default_config_static_selectorELNS0_4arch9wavefront6targetE0EEEvSM_,"axG",@progbits,_ZN7rocprim17ROCPRIM_400000_NS6detail17trampoline_kernelINS0_14default_configENS1_37merge_sort_block_sort_config_selectorIlNS0_10empty_typeEEEZNS1_21merge_sort_block_sortIS3_PlS8_PS5_S9_ZN2at6native12_GLOBAL__N_124unique_dim_cuda_templateItEESt5tupleIJNSA_6TensorESF_SF_EERKSF_lbbbEUlllE_EE10hipError_tT0_T1_T2_T3_mRjT4_P12ihipStream_tbNS1_7vsmem_tEEUlT_E_NS1_11comp_targetILNS1_3genE10ELNS1_11target_archE1201ELNS1_3gpuE5ELNS1_3repE0EEENS1_30default_config_static_selectorELNS0_4arch9wavefront6targetE0EEEvSM_,comdat
	.globl	_ZN7rocprim17ROCPRIM_400000_NS6detail17trampoline_kernelINS0_14default_configENS1_37merge_sort_block_sort_config_selectorIlNS0_10empty_typeEEEZNS1_21merge_sort_block_sortIS3_PlS8_PS5_S9_ZN2at6native12_GLOBAL__N_124unique_dim_cuda_templateItEESt5tupleIJNSA_6TensorESF_SF_EERKSF_lbbbEUlllE_EE10hipError_tT0_T1_T2_T3_mRjT4_P12ihipStream_tbNS1_7vsmem_tEEUlT_E_NS1_11comp_targetILNS1_3genE10ELNS1_11target_archE1201ELNS1_3gpuE5ELNS1_3repE0EEENS1_30default_config_static_selectorELNS0_4arch9wavefront6targetE0EEEvSM_ ; -- Begin function _ZN7rocprim17ROCPRIM_400000_NS6detail17trampoline_kernelINS0_14default_configENS1_37merge_sort_block_sort_config_selectorIlNS0_10empty_typeEEEZNS1_21merge_sort_block_sortIS3_PlS8_PS5_S9_ZN2at6native12_GLOBAL__N_124unique_dim_cuda_templateItEESt5tupleIJNSA_6TensorESF_SF_EERKSF_lbbbEUlllE_EE10hipError_tT0_T1_T2_T3_mRjT4_P12ihipStream_tbNS1_7vsmem_tEEUlT_E_NS1_11comp_targetILNS1_3genE10ELNS1_11target_archE1201ELNS1_3gpuE5ELNS1_3repE0EEENS1_30default_config_static_selectorELNS0_4arch9wavefront6targetE0EEEvSM_
	.p2align	8
	.type	_ZN7rocprim17ROCPRIM_400000_NS6detail17trampoline_kernelINS0_14default_configENS1_37merge_sort_block_sort_config_selectorIlNS0_10empty_typeEEEZNS1_21merge_sort_block_sortIS3_PlS8_PS5_S9_ZN2at6native12_GLOBAL__N_124unique_dim_cuda_templateItEESt5tupleIJNSA_6TensorESF_SF_EERKSF_lbbbEUlllE_EE10hipError_tT0_T1_T2_T3_mRjT4_P12ihipStream_tbNS1_7vsmem_tEEUlT_E_NS1_11comp_targetILNS1_3genE10ELNS1_11target_archE1201ELNS1_3gpuE5ELNS1_3repE0EEENS1_30default_config_static_selectorELNS0_4arch9wavefront6targetE0EEEvSM_,@function
_ZN7rocprim17ROCPRIM_400000_NS6detail17trampoline_kernelINS0_14default_configENS1_37merge_sort_block_sort_config_selectorIlNS0_10empty_typeEEEZNS1_21merge_sort_block_sortIS3_PlS8_PS5_S9_ZN2at6native12_GLOBAL__N_124unique_dim_cuda_templateItEESt5tupleIJNSA_6TensorESF_SF_EERKSF_lbbbEUlllE_EE10hipError_tT0_T1_T2_T3_mRjT4_P12ihipStream_tbNS1_7vsmem_tEEUlT_E_NS1_11comp_targetILNS1_3genE10ELNS1_11target_archE1201ELNS1_3gpuE5ELNS1_3repE0EEENS1_30default_config_static_selectorELNS0_4arch9wavefront6targetE0EEEvSM_: ; @_ZN7rocprim17ROCPRIM_400000_NS6detail17trampoline_kernelINS0_14default_configENS1_37merge_sort_block_sort_config_selectorIlNS0_10empty_typeEEEZNS1_21merge_sort_block_sortIS3_PlS8_PS5_S9_ZN2at6native12_GLOBAL__N_124unique_dim_cuda_templateItEESt5tupleIJNSA_6TensorESF_SF_EERKSF_lbbbEUlllE_EE10hipError_tT0_T1_T2_T3_mRjT4_P12ihipStream_tbNS1_7vsmem_tEEUlT_E_NS1_11comp_targetILNS1_3genE10ELNS1_11target_archE1201ELNS1_3gpuE5ELNS1_3repE0EEENS1_30default_config_static_selectorELNS0_4arch9wavefront6targetE0EEEvSM_
; %bb.0:
	.section	.rodata,"a",@progbits
	.p2align	6, 0x0
	.amdhsa_kernel _ZN7rocprim17ROCPRIM_400000_NS6detail17trampoline_kernelINS0_14default_configENS1_37merge_sort_block_sort_config_selectorIlNS0_10empty_typeEEEZNS1_21merge_sort_block_sortIS3_PlS8_PS5_S9_ZN2at6native12_GLOBAL__N_124unique_dim_cuda_templateItEESt5tupleIJNSA_6TensorESF_SF_EERKSF_lbbbEUlllE_EE10hipError_tT0_T1_T2_T3_mRjT4_P12ihipStream_tbNS1_7vsmem_tEEUlT_E_NS1_11comp_targetILNS1_3genE10ELNS1_11target_archE1201ELNS1_3gpuE5ELNS1_3repE0EEENS1_30default_config_static_selectorELNS0_4arch9wavefront6targetE0EEEvSM_
		.amdhsa_group_segment_fixed_size 0
		.amdhsa_private_segment_fixed_size 0
		.amdhsa_kernarg_size 72
		.amdhsa_user_sgpr_count 15
		.amdhsa_user_sgpr_dispatch_ptr 0
		.amdhsa_user_sgpr_queue_ptr 0
		.amdhsa_user_sgpr_kernarg_segment_ptr 1
		.amdhsa_user_sgpr_dispatch_id 0
		.amdhsa_user_sgpr_private_segment_size 0
		.amdhsa_wavefront_size32 1
		.amdhsa_uses_dynamic_stack 0
		.amdhsa_enable_private_segment 0
		.amdhsa_system_sgpr_workgroup_id_x 1
		.amdhsa_system_sgpr_workgroup_id_y 0
		.amdhsa_system_sgpr_workgroup_id_z 0
		.amdhsa_system_sgpr_workgroup_info 0
		.amdhsa_system_vgpr_workitem_id 0
		.amdhsa_next_free_vgpr 1
		.amdhsa_next_free_sgpr 1
		.amdhsa_reserve_vcc 0
		.amdhsa_float_round_mode_32 0
		.amdhsa_float_round_mode_16_64 0
		.amdhsa_float_denorm_mode_32 3
		.amdhsa_float_denorm_mode_16_64 3
		.amdhsa_dx10_clamp 1
		.amdhsa_ieee_mode 1
		.amdhsa_fp16_overflow 0
		.amdhsa_workgroup_processor_mode 1
		.amdhsa_memory_ordered 1
		.amdhsa_forward_progress 0
		.amdhsa_shared_vgpr_count 0
		.amdhsa_exception_fp_ieee_invalid_op 0
		.amdhsa_exception_fp_denorm_src 0
		.amdhsa_exception_fp_ieee_div_zero 0
		.amdhsa_exception_fp_ieee_overflow 0
		.amdhsa_exception_fp_ieee_underflow 0
		.amdhsa_exception_fp_ieee_inexact 0
		.amdhsa_exception_int_div_zero 0
	.end_amdhsa_kernel
	.section	.text._ZN7rocprim17ROCPRIM_400000_NS6detail17trampoline_kernelINS0_14default_configENS1_37merge_sort_block_sort_config_selectorIlNS0_10empty_typeEEEZNS1_21merge_sort_block_sortIS3_PlS8_PS5_S9_ZN2at6native12_GLOBAL__N_124unique_dim_cuda_templateItEESt5tupleIJNSA_6TensorESF_SF_EERKSF_lbbbEUlllE_EE10hipError_tT0_T1_T2_T3_mRjT4_P12ihipStream_tbNS1_7vsmem_tEEUlT_E_NS1_11comp_targetILNS1_3genE10ELNS1_11target_archE1201ELNS1_3gpuE5ELNS1_3repE0EEENS1_30default_config_static_selectorELNS0_4arch9wavefront6targetE0EEEvSM_,"axG",@progbits,_ZN7rocprim17ROCPRIM_400000_NS6detail17trampoline_kernelINS0_14default_configENS1_37merge_sort_block_sort_config_selectorIlNS0_10empty_typeEEEZNS1_21merge_sort_block_sortIS3_PlS8_PS5_S9_ZN2at6native12_GLOBAL__N_124unique_dim_cuda_templateItEESt5tupleIJNSA_6TensorESF_SF_EERKSF_lbbbEUlllE_EE10hipError_tT0_T1_T2_T3_mRjT4_P12ihipStream_tbNS1_7vsmem_tEEUlT_E_NS1_11comp_targetILNS1_3genE10ELNS1_11target_archE1201ELNS1_3gpuE5ELNS1_3repE0EEENS1_30default_config_static_selectorELNS0_4arch9wavefront6targetE0EEEvSM_,comdat
.Lfunc_end1364:
	.size	_ZN7rocprim17ROCPRIM_400000_NS6detail17trampoline_kernelINS0_14default_configENS1_37merge_sort_block_sort_config_selectorIlNS0_10empty_typeEEEZNS1_21merge_sort_block_sortIS3_PlS8_PS5_S9_ZN2at6native12_GLOBAL__N_124unique_dim_cuda_templateItEESt5tupleIJNSA_6TensorESF_SF_EERKSF_lbbbEUlllE_EE10hipError_tT0_T1_T2_T3_mRjT4_P12ihipStream_tbNS1_7vsmem_tEEUlT_E_NS1_11comp_targetILNS1_3genE10ELNS1_11target_archE1201ELNS1_3gpuE5ELNS1_3repE0EEENS1_30default_config_static_selectorELNS0_4arch9wavefront6targetE0EEEvSM_, .Lfunc_end1364-_ZN7rocprim17ROCPRIM_400000_NS6detail17trampoline_kernelINS0_14default_configENS1_37merge_sort_block_sort_config_selectorIlNS0_10empty_typeEEEZNS1_21merge_sort_block_sortIS3_PlS8_PS5_S9_ZN2at6native12_GLOBAL__N_124unique_dim_cuda_templateItEESt5tupleIJNSA_6TensorESF_SF_EERKSF_lbbbEUlllE_EE10hipError_tT0_T1_T2_T3_mRjT4_P12ihipStream_tbNS1_7vsmem_tEEUlT_E_NS1_11comp_targetILNS1_3genE10ELNS1_11target_archE1201ELNS1_3gpuE5ELNS1_3repE0EEENS1_30default_config_static_selectorELNS0_4arch9wavefront6targetE0EEEvSM_
                                        ; -- End function
	.section	.AMDGPU.csdata,"",@progbits
; Kernel info:
; codeLenInByte = 0
; NumSgprs: 0
; NumVgprs: 0
; ScratchSize: 0
; MemoryBound: 0
; FloatMode: 240
; IeeeMode: 1
; LDSByteSize: 0 bytes/workgroup (compile time only)
; SGPRBlocks: 0
; VGPRBlocks: 0
; NumSGPRsForWavesPerEU: 1
; NumVGPRsForWavesPerEU: 1
; Occupancy: 16
; WaveLimiterHint : 0
; COMPUTE_PGM_RSRC2:SCRATCH_EN: 0
; COMPUTE_PGM_RSRC2:USER_SGPR: 15
; COMPUTE_PGM_RSRC2:TRAP_HANDLER: 0
; COMPUTE_PGM_RSRC2:TGID_X_EN: 1
; COMPUTE_PGM_RSRC2:TGID_Y_EN: 0
; COMPUTE_PGM_RSRC2:TGID_Z_EN: 0
; COMPUTE_PGM_RSRC2:TIDIG_COMP_CNT: 0
	.section	.text._ZN7rocprim17ROCPRIM_400000_NS6detail17trampoline_kernelINS0_14default_configENS1_37merge_sort_block_sort_config_selectorIlNS0_10empty_typeEEEZNS1_21merge_sort_block_sortIS3_PlS8_PS5_S9_ZN2at6native12_GLOBAL__N_124unique_dim_cuda_templateItEESt5tupleIJNSA_6TensorESF_SF_EERKSF_lbbbEUlllE_EE10hipError_tT0_T1_T2_T3_mRjT4_P12ihipStream_tbNS1_7vsmem_tEEUlT_E_NS1_11comp_targetILNS1_3genE10ELNS1_11target_archE1200ELNS1_3gpuE4ELNS1_3repE0EEENS1_30default_config_static_selectorELNS0_4arch9wavefront6targetE0EEEvSM_,"axG",@progbits,_ZN7rocprim17ROCPRIM_400000_NS6detail17trampoline_kernelINS0_14default_configENS1_37merge_sort_block_sort_config_selectorIlNS0_10empty_typeEEEZNS1_21merge_sort_block_sortIS3_PlS8_PS5_S9_ZN2at6native12_GLOBAL__N_124unique_dim_cuda_templateItEESt5tupleIJNSA_6TensorESF_SF_EERKSF_lbbbEUlllE_EE10hipError_tT0_T1_T2_T3_mRjT4_P12ihipStream_tbNS1_7vsmem_tEEUlT_E_NS1_11comp_targetILNS1_3genE10ELNS1_11target_archE1200ELNS1_3gpuE4ELNS1_3repE0EEENS1_30default_config_static_selectorELNS0_4arch9wavefront6targetE0EEEvSM_,comdat
	.globl	_ZN7rocprim17ROCPRIM_400000_NS6detail17trampoline_kernelINS0_14default_configENS1_37merge_sort_block_sort_config_selectorIlNS0_10empty_typeEEEZNS1_21merge_sort_block_sortIS3_PlS8_PS5_S9_ZN2at6native12_GLOBAL__N_124unique_dim_cuda_templateItEESt5tupleIJNSA_6TensorESF_SF_EERKSF_lbbbEUlllE_EE10hipError_tT0_T1_T2_T3_mRjT4_P12ihipStream_tbNS1_7vsmem_tEEUlT_E_NS1_11comp_targetILNS1_3genE10ELNS1_11target_archE1200ELNS1_3gpuE4ELNS1_3repE0EEENS1_30default_config_static_selectorELNS0_4arch9wavefront6targetE0EEEvSM_ ; -- Begin function _ZN7rocprim17ROCPRIM_400000_NS6detail17trampoline_kernelINS0_14default_configENS1_37merge_sort_block_sort_config_selectorIlNS0_10empty_typeEEEZNS1_21merge_sort_block_sortIS3_PlS8_PS5_S9_ZN2at6native12_GLOBAL__N_124unique_dim_cuda_templateItEESt5tupleIJNSA_6TensorESF_SF_EERKSF_lbbbEUlllE_EE10hipError_tT0_T1_T2_T3_mRjT4_P12ihipStream_tbNS1_7vsmem_tEEUlT_E_NS1_11comp_targetILNS1_3genE10ELNS1_11target_archE1200ELNS1_3gpuE4ELNS1_3repE0EEENS1_30default_config_static_selectorELNS0_4arch9wavefront6targetE0EEEvSM_
	.p2align	8
	.type	_ZN7rocprim17ROCPRIM_400000_NS6detail17trampoline_kernelINS0_14default_configENS1_37merge_sort_block_sort_config_selectorIlNS0_10empty_typeEEEZNS1_21merge_sort_block_sortIS3_PlS8_PS5_S9_ZN2at6native12_GLOBAL__N_124unique_dim_cuda_templateItEESt5tupleIJNSA_6TensorESF_SF_EERKSF_lbbbEUlllE_EE10hipError_tT0_T1_T2_T3_mRjT4_P12ihipStream_tbNS1_7vsmem_tEEUlT_E_NS1_11comp_targetILNS1_3genE10ELNS1_11target_archE1200ELNS1_3gpuE4ELNS1_3repE0EEENS1_30default_config_static_selectorELNS0_4arch9wavefront6targetE0EEEvSM_,@function
_ZN7rocprim17ROCPRIM_400000_NS6detail17trampoline_kernelINS0_14default_configENS1_37merge_sort_block_sort_config_selectorIlNS0_10empty_typeEEEZNS1_21merge_sort_block_sortIS3_PlS8_PS5_S9_ZN2at6native12_GLOBAL__N_124unique_dim_cuda_templateItEESt5tupleIJNSA_6TensorESF_SF_EERKSF_lbbbEUlllE_EE10hipError_tT0_T1_T2_T3_mRjT4_P12ihipStream_tbNS1_7vsmem_tEEUlT_E_NS1_11comp_targetILNS1_3genE10ELNS1_11target_archE1200ELNS1_3gpuE4ELNS1_3repE0EEENS1_30default_config_static_selectorELNS0_4arch9wavefront6targetE0EEEvSM_: ; @_ZN7rocprim17ROCPRIM_400000_NS6detail17trampoline_kernelINS0_14default_configENS1_37merge_sort_block_sort_config_selectorIlNS0_10empty_typeEEEZNS1_21merge_sort_block_sortIS3_PlS8_PS5_S9_ZN2at6native12_GLOBAL__N_124unique_dim_cuda_templateItEESt5tupleIJNSA_6TensorESF_SF_EERKSF_lbbbEUlllE_EE10hipError_tT0_T1_T2_T3_mRjT4_P12ihipStream_tbNS1_7vsmem_tEEUlT_E_NS1_11comp_targetILNS1_3genE10ELNS1_11target_archE1200ELNS1_3gpuE4ELNS1_3repE0EEENS1_30default_config_static_selectorELNS0_4arch9wavefront6targetE0EEEvSM_
; %bb.0:
	.section	.rodata,"a",@progbits
	.p2align	6, 0x0
	.amdhsa_kernel _ZN7rocprim17ROCPRIM_400000_NS6detail17trampoline_kernelINS0_14default_configENS1_37merge_sort_block_sort_config_selectorIlNS0_10empty_typeEEEZNS1_21merge_sort_block_sortIS3_PlS8_PS5_S9_ZN2at6native12_GLOBAL__N_124unique_dim_cuda_templateItEESt5tupleIJNSA_6TensorESF_SF_EERKSF_lbbbEUlllE_EE10hipError_tT0_T1_T2_T3_mRjT4_P12ihipStream_tbNS1_7vsmem_tEEUlT_E_NS1_11comp_targetILNS1_3genE10ELNS1_11target_archE1200ELNS1_3gpuE4ELNS1_3repE0EEENS1_30default_config_static_selectorELNS0_4arch9wavefront6targetE0EEEvSM_
		.amdhsa_group_segment_fixed_size 0
		.amdhsa_private_segment_fixed_size 0
		.amdhsa_kernarg_size 72
		.amdhsa_user_sgpr_count 15
		.amdhsa_user_sgpr_dispatch_ptr 0
		.amdhsa_user_sgpr_queue_ptr 0
		.amdhsa_user_sgpr_kernarg_segment_ptr 1
		.amdhsa_user_sgpr_dispatch_id 0
		.amdhsa_user_sgpr_private_segment_size 0
		.amdhsa_wavefront_size32 1
		.amdhsa_uses_dynamic_stack 0
		.amdhsa_enable_private_segment 0
		.amdhsa_system_sgpr_workgroup_id_x 1
		.amdhsa_system_sgpr_workgroup_id_y 0
		.amdhsa_system_sgpr_workgroup_id_z 0
		.amdhsa_system_sgpr_workgroup_info 0
		.amdhsa_system_vgpr_workitem_id 0
		.amdhsa_next_free_vgpr 1
		.amdhsa_next_free_sgpr 1
		.amdhsa_reserve_vcc 0
		.amdhsa_float_round_mode_32 0
		.amdhsa_float_round_mode_16_64 0
		.amdhsa_float_denorm_mode_32 3
		.amdhsa_float_denorm_mode_16_64 3
		.amdhsa_dx10_clamp 1
		.amdhsa_ieee_mode 1
		.amdhsa_fp16_overflow 0
		.amdhsa_workgroup_processor_mode 1
		.amdhsa_memory_ordered 1
		.amdhsa_forward_progress 0
		.amdhsa_shared_vgpr_count 0
		.amdhsa_exception_fp_ieee_invalid_op 0
		.amdhsa_exception_fp_denorm_src 0
		.amdhsa_exception_fp_ieee_div_zero 0
		.amdhsa_exception_fp_ieee_overflow 0
		.amdhsa_exception_fp_ieee_underflow 0
		.amdhsa_exception_fp_ieee_inexact 0
		.amdhsa_exception_int_div_zero 0
	.end_amdhsa_kernel
	.section	.text._ZN7rocprim17ROCPRIM_400000_NS6detail17trampoline_kernelINS0_14default_configENS1_37merge_sort_block_sort_config_selectorIlNS0_10empty_typeEEEZNS1_21merge_sort_block_sortIS3_PlS8_PS5_S9_ZN2at6native12_GLOBAL__N_124unique_dim_cuda_templateItEESt5tupleIJNSA_6TensorESF_SF_EERKSF_lbbbEUlllE_EE10hipError_tT0_T1_T2_T3_mRjT4_P12ihipStream_tbNS1_7vsmem_tEEUlT_E_NS1_11comp_targetILNS1_3genE10ELNS1_11target_archE1200ELNS1_3gpuE4ELNS1_3repE0EEENS1_30default_config_static_selectorELNS0_4arch9wavefront6targetE0EEEvSM_,"axG",@progbits,_ZN7rocprim17ROCPRIM_400000_NS6detail17trampoline_kernelINS0_14default_configENS1_37merge_sort_block_sort_config_selectorIlNS0_10empty_typeEEEZNS1_21merge_sort_block_sortIS3_PlS8_PS5_S9_ZN2at6native12_GLOBAL__N_124unique_dim_cuda_templateItEESt5tupleIJNSA_6TensorESF_SF_EERKSF_lbbbEUlllE_EE10hipError_tT0_T1_T2_T3_mRjT4_P12ihipStream_tbNS1_7vsmem_tEEUlT_E_NS1_11comp_targetILNS1_3genE10ELNS1_11target_archE1200ELNS1_3gpuE4ELNS1_3repE0EEENS1_30default_config_static_selectorELNS0_4arch9wavefront6targetE0EEEvSM_,comdat
.Lfunc_end1365:
	.size	_ZN7rocprim17ROCPRIM_400000_NS6detail17trampoline_kernelINS0_14default_configENS1_37merge_sort_block_sort_config_selectorIlNS0_10empty_typeEEEZNS1_21merge_sort_block_sortIS3_PlS8_PS5_S9_ZN2at6native12_GLOBAL__N_124unique_dim_cuda_templateItEESt5tupleIJNSA_6TensorESF_SF_EERKSF_lbbbEUlllE_EE10hipError_tT0_T1_T2_T3_mRjT4_P12ihipStream_tbNS1_7vsmem_tEEUlT_E_NS1_11comp_targetILNS1_3genE10ELNS1_11target_archE1200ELNS1_3gpuE4ELNS1_3repE0EEENS1_30default_config_static_selectorELNS0_4arch9wavefront6targetE0EEEvSM_, .Lfunc_end1365-_ZN7rocprim17ROCPRIM_400000_NS6detail17trampoline_kernelINS0_14default_configENS1_37merge_sort_block_sort_config_selectorIlNS0_10empty_typeEEEZNS1_21merge_sort_block_sortIS3_PlS8_PS5_S9_ZN2at6native12_GLOBAL__N_124unique_dim_cuda_templateItEESt5tupleIJNSA_6TensorESF_SF_EERKSF_lbbbEUlllE_EE10hipError_tT0_T1_T2_T3_mRjT4_P12ihipStream_tbNS1_7vsmem_tEEUlT_E_NS1_11comp_targetILNS1_3genE10ELNS1_11target_archE1200ELNS1_3gpuE4ELNS1_3repE0EEENS1_30default_config_static_selectorELNS0_4arch9wavefront6targetE0EEEvSM_
                                        ; -- End function
	.section	.AMDGPU.csdata,"",@progbits
; Kernel info:
; codeLenInByte = 0
; NumSgprs: 0
; NumVgprs: 0
; ScratchSize: 0
; MemoryBound: 0
; FloatMode: 240
; IeeeMode: 1
; LDSByteSize: 0 bytes/workgroup (compile time only)
; SGPRBlocks: 0
; VGPRBlocks: 0
; NumSGPRsForWavesPerEU: 1
; NumVGPRsForWavesPerEU: 1
; Occupancy: 16
; WaveLimiterHint : 0
; COMPUTE_PGM_RSRC2:SCRATCH_EN: 0
; COMPUTE_PGM_RSRC2:USER_SGPR: 15
; COMPUTE_PGM_RSRC2:TRAP_HANDLER: 0
; COMPUTE_PGM_RSRC2:TGID_X_EN: 1
; COMPUTE_PGM_RSRC2:TGID_Y_EN: 0
; COMPUTE_PGM_RSRC2:TGID_Z_EN: 0
; COMPUTE_PGM_RSRC2:TIDIG_COMP_CNT: 0
	.section	.text._ZN7rocprim17ROCPRIM_400000_NS6detail17trampoline_kernelINS0_14default_configENS1_37merge_sort_block_sort_config_selectorIlNS0_10empty_typeEEEZNS1_21merge_sort_block_sortIS3_PlS8_PS5_S9_ZN2at6native12_GLOBAL__N_124unique_dim_cuda_templateItEESt5tupleIJNSA_6TensorESF_SF_EERKSF_lbbbEUlllE_EE10hipError_tT0_T1_T2_T3_mRjT4_P12ihipStream_tbNS1_7vsmem_tEEUlT_E_NS1_11comp_targetILNS1_3genE9ELNS1_11target_archE1100ELNS1_3gpuE3ELNS1_3repE0EEENS1_30default_config_static_selectorELNS0_4arch9wavefront6targetE0EEEvSM_,"axG",@progbits,_ZN7rocprim17ROCPRIM_400000_NS6detail17trampoline_kernelINS0_14default_configENS1_37merge_sort_block_sort_config_selectorIlNS0_10empty_typeEEEZNS1_21merge_sort_block_sortIS3_PlS8_PS5_S9_ZN2at6native12_GLOBAL__N_124unique_dim_cuda_templateItEESt5tupleIJNSA_6TensorESF_SF_EERKSF_lbbbEUlllE_EE10hipError_tT0_T1_T2_T3_mRjT4_P12ihipStream_tbNS1_7vsmem_tEEUlT_E_NS1_11comp_targetILNS1_3genE9ELNS1_11target_archE1100ELNS1_3gpuE3ELNS1_3repE0EEENS1_30default_config_static_selectorELNS0_4arch9wavefront6targetE0EEEvSM_,comdat
	.globl	_ZN7rocprim17ROCPRIM_400000_NS6detail17trampoline_kernelINS0_14default_configENS1_37merge_sort_block_sort_config_selectorIlNS0_10empty_typeEEEZNS1_21merge_sort_block_sortIS3_PlS8_PS5_S9_ZN2at6native12_GLOBAL__N_124unique_dim_cuda_templateItEESt5tupleIJNSA_6TensorESF_SF_EERKSF_lbbbEUlllE_EE10hipError_tT0_T1_T2_T3_mRjT4_P12ihipStream_tbNS1_7vsmem_tEEUlT_E_NS1_11comp_targetILNS1_3genE9ELNS1_11target_archE1100ELNS1_3gpuE3ELNS1_3repE0EEENS1_30default_config_static_selectorELNS0_4arch9wavefront6targetE0EEEvSM_ ; -- Begin function _ZN7rocprim17ROCPRIM_400000_NS6detail17trampoline_kernelINS0_14default_configENS1_37merge_sort_block_sort_config_selectorIlNS0_10empty_typeEEEZNS1_21merge_sort_block_sortIS3_PlS8_PS5_S9_ZN2at6native12_GLOBAL__N_124unique_dim_cuda_templateItEESt5tupleIJNSA_6TensorESF_SF_EERKSF_lbbbEUlllE_EE10hipError_tT0_T1_T2_T3_mRjT4_P12ihipStream_tbNS1_7vsmem_tEEUlT_E_NS1_11comp_targetILNS1_3genE9ELNS1_11target_archE1100ELNS1_3gpuE3ELNS1_3repE0EEENS1_30default_config_static_selectorELNS0_4arch9wavefront6targetE0EEEvSM_
	.p2align	8
	.type	_ZN7rocprim17ROCPRIM_400000_NS6detail17trampoline_kernelINS0_14default_configENS1_37merge_sort_block_sort_config_selectorIlNS0_10empty_typeEEEZNS1_21merge_sort_block_sortIS3_PlS8_PS5_S9_ZN2at6native12_GLOBAL__N_124unique_dim_cuda_templateItEESt5tupleIJNSA_6TensorESF_SF_EERKSF_lbbbEUlllE_EE10hipError_tT0_T1_T2_T3_mRjT4_P12ihipStream_tbNS1_7vsmem_tEEUlT_E_NS1_11comp_targetILNS1_3genE9ELNS1_11target_archE1100ELNS1_3gpuE3ELNS1_3repE0EEENS1_30default_config_static_selectorELNS0_4arch9wavefront6targetE0EEEvSM_,@function
_ZN7rocprim17ROCPRIM_400000_NS6detail17trampoline_kernelINS0_14default_configENS1_37merge_sort_block_sort_config_selectorIlNS0_10empty_typeEEEZNS1_21merge_sort_block_sortIS3_PlS8_PS5_S9_ZN2at6native12_GLOBAL__N_124unique_dim_cuda_templateItEESt5tupleIJNSA_6TensorESF_SF_EERKSF_lbbbEUlllE_EE10hipError_tT0_T1_T2_T3_mRjT4_P12ihipStream_tbNS1_7vsmem_tEEUlT_E_NS1_11comp_targetILNS1_3genE9ELNS1_11target_archE1100ELNS1_3gpuE3ELNS1_3repE0EEENS1_30default_config_static_selectorELNS0_4arch9wavefront6targetE0EEEvSM_: ; @_ZN7rocprim17ROCPRIM_400000_NS6detail17trampoline_kernelINS0_14default_configENS1_37merge_sort_block_sort_config_selectorIlNS0_10empty_typeEEEZNS1_21merge_sort_block_sortIS3_PlS8_PS5_S9_ZN2at6native12_GLOBAL__N_124unique_dim_cuda_templateItEESt5tupleIJNSA_6TensorESF_SF_EERKSF_lbbbEUlllE_EE10hipError_tT0_T1_T2_T3_mRjT4_P12ihipStream_tbNS1_7vsmem_tEEUlT_E_NS1_11comp_targetILNS1_3genE9ELNS1_11target_archE1100ELNS1_3gpuE3ELNS1_3repE0EEENS1_30default_config_static_selectorELNS0_4arch9wavefront6targetE0EEEvSM_
; %bb.0:
	s_clause 0x1
	s_load_b64 s[6:7], s[0:1], 0x48
	s_load_b32 s3, s[0:1], 0x0
	s_add_u32 s4, s0, 0x48
	s_addc_u32 s5, s1, 0
	s_waitcnt lgkmcnt(0)
	s_mul_i32 s2, s7, s15
	s_delay_alu instid0(SALU_CYCLE_1) | instskip(NEXT) | instid1(SALU_CYCLE_1)
	s_add_i32 s2, s2, s14
	s_mul_i32 s2, s2, s6
	s_delay_alu instid0(SALU_CYCLE_1) | instskip(NEXT) | instid1(SALU_CYCLE_1)
	s_add_i32 s2, s2, s13
	s_cmp_ge_u32 s2, s3
	s_cbranch_scc1 .LBB1366_878
; %bb.1:
	s_clause 0x2
	s_load_b64 s[18:19], s[0:1], 0x8
	s_load_b128 s[8:11], s[0:1], 0x38
	s_load_b128 s[20:23], s[0:1], 0x18
	v_and_b32_e32 v12, 0x3ff, v0
	s_mov_b32 s3, 0
	v_bfe_u32 v28, v0, 10, 10
	s_lshl_b64 s[0:1], s[2:3], 13
	v_bfe_u32 v29, v0, 20, 10
	v_lshlrev_b32_e32 v26, 3, v12
	v_lshrrev_b32_e32 v31, 2, v12
	v_add_nc_u32_e32 v34, 0x100, v12
	v_add_nc_u32_e32 v33, 0x200, v12
	;; [unrolled: 1-line block ×3, first 2 shown]
	v_lshlrev_b32_e32 v27, 2, v12
	v_lshrrev_b32_e32 v30, 3, v12
	s_waitcnt lgkmcnt(0)
	s_lshr_b64 s[24:25], s[18:19], 10
	v_cmp_gt_i64_e64 s7, s[8:9], 0
	s_add_u32 s16, s20, s0
	s_addc_u32 s17, s21, s1
	s_add_u32 s14, s22, s0
	s_addc_u32 s15, s23, s1
	s_cmp_lg_u64 s[24:25], s[2:3]
	s_cbranch_scc0 .LBB1366_8
; %bb.2:
	v_add_co_u32 v0, s0, s16, v26
	s_delay_alu instid0(VALU_DEP_1) | instskip(SKIP_1) | instid1(VALU_DEP_3)
	v_add_co_ci_u32_e64 v1, null, s17, 0, s0
	v_lshrrev_b32_e32 v8, 2, v34
	v_add_co_u32 v0, vcc_lo, 0x1000, v0
	s_delay_alu instid0(VALU_DEP_3)
	v_add_co_ci_u32_e32 v1, vcc_lo, 0, v1, vcc_lo
	v_lshrrev_b32_e32 v9, 2, v33
	s_clause 0x3
	global_load_b64 v[2:3], v26, s[16:17]
	global_load_b64 v[4:5], v26, s[16:17] offset:2048
	global_load_b64 v[6:7], v[0:1], off
	global_load_b64 v[0:1], v[0:1], off offset:2048
	v_lshrrev_b32_e32 v10, 2, v32
	v_and_b32_e32 v11, 0xf8, v31
	v_dual_mov_b32 v13, 0 :: v_dual_and_b32 v8, 0x1f8, v8
	v_and_b32_e32 v9, 0x1f8, v9
	s_delay_alu instid0(VALU_DEP_4) | instskip(NEXT) | instid1(VALU_DEP_4)
	v_and_b32_e32 v10, 0x1f8, v10
	v_add_nc_u32_e32 v35, v11, v26
	v_add_lshl_u32 v39, v30, v27, 3
	v_add_nc_u32_e32 v38, v8, v26
	v_add_nc_u32_e32 v36, v9, v26
	;; [unrolled: 1-line block ×3, first 2 shown]
	s_waitcnt vmcnt(3)
	ds_store_b64 v35, v[2:3]
	s_waitcnt vmcnt(2)
	ds_store_b64 v38, v[4:5] offset:2048
	s_waitcnt vmcnt(1)
	ds_store_b64 v36, v[6:7] offset:4096
	;; [unrolled: 2-line block ×3, first 2 shown]
	s_waitcnt lgkmcnt(0)
	s_barrier
	buffer_gl0_inv
	ds_load_2addr_b64 v[8:11], v39 offset1:1
	ds_load_2addr_b64 v[4:7], v39 offset0:2 offset1:3
	s_waitcnt lgkmcnt(0)
	s_barrier
	buffer_gl0_inv
	s_load_b32 s0, s[4:5], 0xc
	v_dual_mov_b32 v3, v11 :: v_dual_mov_b32 v2, v10
	s_waitcnt lgkmcnt(0)
	s_lshr_b32 s12, s0, 16
	s_cmp_lt_u32 s13, s6
	v_mad_u32_u24 v1, v29, s12, v28
	s_cselect_b32 s0, 12, 18
	s_mov_b32 s12, exec_lo
	s_add_u32 s0, s4, s0
	s_addc_u32 s1, s5, 0
	global_load_u16 v0, v13, s[0:1]
	s_waitcnt vmcnt(0)
	v_mul_lo_u32 v0, v1, v0
	v_mov_b32_e32 v1, v9
	s_delay_alu instid0(VALU_DEP_2) | instskip(SKIP_1) | instid1(VALU_DEP_2)
	v_add_lshl_u32 v40, v0, v12, 2
	v_mov_b32_e32 v0, v8
	v_cmpx_gt_u32_e32 0x400, v40
	s_cbranch_execz .LBB1366_62
; %bb.3:
	s_and_not1_b32 vcc_lo, exec_lo, s7
	s_cbranch_vccnz .LBB1366_14
; %bb.4:
	v_mul_lo_u32 v18, v11, s8
	v_mul_lo_u32 v19, v10, s9
	v_mad_u64_u32 v[14:15], null, v10, s8, 0
	v_mul_lo_u32 v20, v9, s8
	v_mul_lo_u32 v21, v8, s9
	v_mad_u64_u32 v[16:17], null, v8, s8, 0
	s_mov_b32 s22, 0
	s_mov_b64 s[20:21], s[8:9]
	s_delay_alu instid0(VALU_DEP_4) | instskip(NEXT) | instid1(VALU_DEP_2)
	v_add3_u32 v15, v15, v19, v18
                                        ; implicit-def: $sgpr19
                                        ; implicit-def: $sgpr23
                                        ; implicit-def: $sgpr25
                                        ; implicit-def: $sgpr24
                                        ; implicit-def: $sgpr26
                                        ; implicit-def: $sgpr27
	v_add3_u32 v17, v17, v21, v20
	s_delay_alu instid0(VALU_DEP_2) | instskip(NEXT) | instid1(VALU_DEP_2)
	v_lshlrev_b64 v[14:15], 1, v[14:15]
	v_lshlrev_b64 v[16:17], 1, v[16:17]
	s_delay_alu instid0(VALU_DEP_2) | instskip(NEXT) | instid1(VALU_DEP_3)
	v_add_co_u32 v14, vcc_lo, s10, v14
	v_add_co_ci_u32_e32 v15, vcc_lo, s11, v15, vcc_lo
	s_delay_alu instid0(VALU_DEP_3) | instskip(NEXT) | instid1(VALU_DEP_4)
	v_add_co_u32 v16, vcc_lo, s10, v16
	v_add_co_ci_u32_e32 v17, vcc_lo, s11, v17, vcc_lo
	s_set_inst_prefetch_distance 0x1
	s_branch .LBB1366_6
	.p2align	6
.LBB1366_5:                             ;   in Loop: Header=BB1366_6 Depth=1
	s_or_b32 exec_lo, exec_lo, s28
	s_delay_alu instid0(SALU_CYCLE_1) | instskip(NEXT) | instid1(SALU_CYCLE_1)
	s_and_b32 s1, exec_lo, s25
	s_or_b32 s22, s1, s22
	s_and_not1_b32 s1, s27, exec_lo
	s_and_b32 s27, s26, exec_lo
	s_and_not1_b32 s23, s23, exec_lo
	s_or_b32 s27, s1, s27
	s_and_b32 s1, s24, exec_lo
	s_and_not1_b32 s19, s19, exec_lo
	s_and_b32 s0, s0, exec_lo
	s_or_b32 s23, s23, s1
	s_or_b32 s19, s19, s0
	s_and_not1_b32 exec_lo, exec_lo, s22
	s_cbranch_execz .LBB1366_9
.LBB1366_6:                             ; =>This Inner Loop Header: Depth=1
	global_load_u16 v18, v[14:15], off
	global_load_u16 v19, v[16:17], off
	s_and_not1_b32 s26, s26, exec_lo
	s_or_b32 s24, s24, exec_lo
	s_or_b32 s25, s25, exec_lo
	s_waitcnt vmcnt(0)
	v_cmp_le_u16_e32 vcc_lo, v18, v19
	v_cmp_lt_u16_e64 s0, v18, v19
	s_and_b32 s28, vcc_lo, s27
	s_delay_alu instid0(VALU_DEP_1) | instid1(SALU_CYCLE_1)
	s_or_b32 s0, s0, s28
	s_mov_b32 s28, exec_lo
	v_cmpx_eq_u16_e64 v18, v19
	s_cbranch_execz .LBB1366_5
; %bb.7:                                ;   in Loop: Header=BB1366_6 Depth=1
	s_add_u32 s20, s20, -1
	s_addc_u32 s21, s21, -1
	v_add_co_u32 v14, vcc_lo, v14, 2
	s_cmp_eq_u64 s[20:21], 0
	v_add_co_ci_u32_e32 v15, vcc_lo, 0, v15, vcc_lo
	v_add_co_u32 v16, vcc_lo, v16, 2
	s_cselect_b32 s1, -1, 0
	v_add_co_ci_u32_e32 v17, vcc_lo, 0, v17, vcc_lo
	s_and_not1_b32 s26, s26, exec_lo
	s_and_b32 s27, s0, exec_lo
	s_and_not1_b32 s25, s25, exec_lo
	s_and_b32 s1, s1, exec_lo
	s_or_b32 s26, s26, s27
	s_and_not1_b32 s24, s24, exec_lo
	s_or_b32 s25, s25, s1
                                        ; implicit-def: $sgpr27
	s_branch .LBB1366_5
.LBB1366_8:
	s_mov_b32 s19, s3
                                        ; implicit-def: $vgpr0_vgpr1
	s_cbranch_execnz .LBB1366_520
	s_branch .LBB1366_876
.LBB1366_9:
	s_set_inst_prefetch_distance 0x2
	s_or_b32 exec_lo, exec_lo, s22
	s_and_saveexec_b32 s0, s23
	s_delay_alu instid0(SALU_CYCLE_1)
	s_xor_b32 s0, exec_lo, s0
	s_cbranch_execz .LBB1366_13
; %bb.10:
	v_dual_mov_b32 v15, v11 :: v_dual_mov_b32 v14, v10
	s_and_saveexec_b32 s1, s19
; %bb.11:
	v_dual_mov_b32 v0, v10 :: v_dual_mov_b32 v1, v11
	v_dual_mov_b32 v2, v8 :: v_dual_mov_b32 v3, v9
	;; [unrolled: 1-line block ×4, first 2 shown]
; %bb.12:
	s_or_b32 exec_lo, exec_lo, s1
	s_delay_alu instid0(VALU_DEP_2)
	v_dual_mov_b32 v10, v14 :: v_dual_mov_b32 v11, v15
.LBB1366_13:
	s_or_b32 exec_lo, exec_lo, s0
.LBB1366_14:
	v_mul_lo_u32 v20, v5, s8
	v_mul_lo_u32 v21, v4, s9
	v_mad_u64_u32 v[18:19], null, v4, s8, 0
	v_dual_mov_b32 v16, v6 :: v_dual_mov_b32 v17, v7
	v_dual_mov_b32 v14, v4 :: v_dual_mov_b32 v15, v5
	s_and_not1_b32 vcc_lo, exec_lo, s7
	s_delay_alu instid0(VALU_DEP_3)
	v_add3_u32 v19, v19, v21, v20
	s_cbranch_vccnz .LBB1366_24
; %bb.15:
	v_mul_lo_u32 v22, v7, s8
	v_mul_lo_u32 v23, v6, s9
	v_mad_u64_u32 v[20:21], null, v6, s8, 0
	v_lshlrev_b64 v[24:25], 1, v[18:19]
	s_mov_b32 s22, 0
	s_mov_b64 s[20:21], s[8:9]
                                        ; implicit-def: $sgpr19
                                        ; implicit-def: $sgpr23
                                        ; implicit-def: $sgpr25
                                        ; implicit-def: $sgpr24
                                        ; implicit-def: $sgpr26
                                        ; implicit-def: $sgpr27
	s_delay_alu instid0(VALU_DEP_2) | instskip(NEXT) | instid1(VALU_DEP_1)
	v_add3_u32 v21, v21, v23, v22
	v_lshlrev_b64 v[22:23], 1, v[20:21]
	s_delay_alu instid0(VALU_DEP_1) | instskip(NEXT) | instid1(VALU_DEP_2)
	v_add_co_u32 v22, vcc_lo, s10, v22
	v_add_co_ci_u32_e32 v23, vcc_lo, s11, v23, vcc_lo
	v_add_co_u32 v24, vcc_lo, s10, v24
	v_add_co_ci_u32_e32 v25, vcc_lo, s11, v25, vcc_lo
	s_set_inst_prefetch_distance 0x1
	s_branch .LBB1366_17
	.p2align	6
.LBB1366_16:                            ;   in Loop: Header=BB1366_17 Depth=1
	s_or_b32 exec_lo, exec_lo, s28
	s_delay_alu instid0(SALU_CYCLE_1) | instskip(NEXT) | instid1(SALU_CYCLE_1)
	s_and_b32 s1, exec_lo, s25
	s_or_b32 s22, s1, s22
	s_and_not1_b32 s1, s27, exec_lo
	s_and_b32 s27, s26, exec_lo
	s_and_not1_b32 s23, s23, exec_lo
	s_or_b32 s27, s1, s27
	s_and_b32 s1, s24, exec_lo
	s_and_not1_b32 s19, s19, exec_lo
	s_and_b32 s0, s0, exec_lo
	s_or_b32 s23, s23, s1
	s_or_b32 s19, s19, s0
	s_and_not1_b32 exec_lo, exec_lo, s22
	s_cbranch_execz .LBB1366_19
.LBB1366_17:                            ; =>This Inner Loop Header: Depth=1
	global_load_u16 v41, v[22:23], off
	global_load_u16 v42, v[24:25], off
	s_and_not1_b32 s26, s26, exec_lo
	s_or_b32 s24, s24, exec_lo
	s_or_b32 s25, s25, exec_lo
	s_waitcnt vmcnt(0)
	v_cmp_le_u16_e32 vcc_lo, v41, v42
	v_cmp_lt_u16_e64 s0, v41, v42
	s_and_b32 s28, vcc_lo, s27
	s_delay_alu instid0(VALU_DEP_1) | instid1(SALU_CYCLE_1)
	s_or_b32 s0, s0, s28
	s_mov_b32 s28, exec_lo
	v_cmpx_eq_u16_e64 v41, v42
	s_cbranch_execz .LBB1366_16
; %bb.18:                               ;   in Loop: Header=BB1366_17 Depth=1
	s_add_u32 s20, s20, -1
	s_addc_u32 s21, s21, -1
	v_add_co_u32 v22, vcc_lo, v22, 2
	s_cmp_eq_u64 s[20:21], 0
	v_add_co_ci_u32_e32 v23, vcc_lo, 0, v23, vcc_lo
	v_add_co_u32 v24, vcc_lo, v24, 2
	s_cselect_b32 s1, -1, 0
	v_add_co_ci_u32_e32 v25, vcc_lo, 0, v25, vcc_lo
	s_and_not1_b32 s26, s26, exec_lo
	s_and_b32 s27, s0, exec_lo
	s_and_not1_b32 s25, s25, exec_lo
	s_and_b32 s1, s1, exec_lo
	s_or_b32 s26, s26, s27
	s_and_not1_b32 s24, s24, exec_lo
	s_or_b32 s25, s25, s1
                                        ; implicit-def: $sgpr27
	s_branch .LBB1366_16
.LBB1366_19:
	s_set_inst_prefetch_distance 0x2
	s_or_b32 exec_lo, exec_lo, s22
	s_and_saveexec_b32 s0, s23
	s_delay_alu instid0(SALU_CYCLE_1)
	s_xor_b32 s0, exec_lo, s0
	s_cbranch_execz .LBB1366_23
; %bb.20:
	s_and_saveexec_b32 s1, s19
	s_cbranch_execz .LBB1366_22
; %bb.21:
	v_dual_mov_b32 v41, v0 :: v_dual_mov_b32 v42, v1
	v_dual_mov_b32 v43, v2 :: v_dual_mov_b32 v44, v3
	;; [unrolled: 1-line block ×12, first 2 shown]
.LBB1366_22:
	s_or_b32 exec_lo, exec_lo, s1
.LBB1366_23:
	s_delay_alu instid0(SALU_CYCLE_1)
	s_or_b32 exec_lo, exec_lo, s0
.LBB1366_24:
	v_mul_lo_u32 v22, v11, s8
	v_mul_lo_u32 v23, v10, s9
	v_mad_u64_u32 v[20:21], null, v10, s8, 0
	s_and_not1_b32 vcc_lo, exec_lo, s7
	s_delay_alu instid0(VALU_DEP_1)
	v_add3_u32 v21, v21, v23, v22
	s_cbranch_vccnz .LBB1366_34
; %bb.25:
	v_lshlrev_b64 v[22:23], 1, v[18:19]
	s_delay_alu instid0(VALU_DEP_2) | instskip(SKIP_2) | instid1(VALU_DEP_2)
	v_lshlrev_b64 v[24:25], 1, v[20:21]
	s_mov_b32 s22, 0
	s_mov_b64 s[20:21], s[8:9]
                                        ; implicit-def: $sgpr19
                                        ; implicit-def: $sgpr23
                                        ; implicit-def: $sgpr25
                                        ; implicit-def: $sgpr24
                                        ; implicit-def: $sgpr26
                                        ; implicit-def: $sgpr27
	v_add_co_u32 v22, vcc_lo, s10, v22
	s_delay_alu instid0(VALU_DEP_3) | instskip(NEXT) | instid1(VALU_DEP_3)
	v_add_co_ci_u32_e32 v23, vcc_lo, s11, v23, vcc_lo
	v_add_co_u32 v24, vcc_lo, s10, v24
	v_add_co_ci_u32_e32 v25, vcc_lo, s11, v25, vcc_lo
	s_set_inst_prefetch_distance 0x1
	s_branch .LBB1366_27
	.p2align	6
.LBB1366_26:                            ;   in Loop: Header=BB1366_27 Depth=1
	s_or_b32 exec_lo, exec_lo, s28
	s_delay_alu instid0(SALU_CYCLE_1) | instskip(NEXT) | instid1(SALU_CYCLE_1)
	s_and_b32 s1, exec_lo, s25
	s_or_b32 s22, s1, s22
	s_and_not1_b32 s1, s27, exec_lo
	s_and_b32 s27, s26, exec_lo
	s_and_not1_b32 s23, s23, exec_lo
	s_or_b32 s27, s1, s27
	s_and_b32 s1, s24, exec_lo
	s_and_not1_b32 s19, s19, exec_lo
	s_and_b32 s0, s0, exec_lo
	s_or_b32 s23, s23, s1
	s_or_b32 s19, s19, s0
	s_and_not1_b32 exec_lo, exec_lo, s22
	s_cbranch_execz .LBB1366_29
.LBB1366_27:                            ; =>This Inner Loop Header: Depth=1
	global_load_u16 v41, v[22:23], off
	global_load_u16 v42, v[24:25], off
	s_and_not1_b32 s26, s26, exec_lo
	s_or_b32 s24, s24, exec_lo
	s_or_b32 s25, s25, exec_lo
	s_waitcnt vmcnt(0)
	v_cmp_le_u16_e32 vcc_lo, v41, v42
	v_cmp_lt_u16_e64 s0, v41, v42
	s_and_b32 s28, vcc_lo, s27
	s_delay_alu instid0(VALU_DEP_1) | instid1(SALU_CYCLE_1)
	s_or_b32 s0, s0, s28
	s_mov_b32 s28, exec_lo
	v_cmpx_eq_u16_e64 v41, v42
	s_cbranch_execz .LBB1366_26
; %bb.28:                               ;   in Loop: Header=BB1366_27 Depth=1
	s_add_u32 s20, s20, -1
	s_addc_u32 s21, s21, -1
	v_add_co_u32 v22, vcc_lo, v22, 2
	s_cmp_eq_u64 s[20:21], 0
	v_add_co_ci_u32_e32 v23, vcc_lo, 0, v23, vcc_lo
	v_add_co_u32 v24, vcc_lo, v24, 2
	s_cselect_b32 s1, -1, 0
	v_add_co_ci_u32_e32 v25, vcc_lo, 0, v25, vcc_lo
	s_and_not1_b32 s26, s26, exec_lo
	s_and_b32 s27, s0, exec_lo
	s_and_not1_b32 s25, s25, exec_lo
	s_and_b32 s1, s1, exec_lo
	s_or_b32 s26, s26, s27
	s_and_not1_b32 s24, s24, exec_lo
	s_or_b32 s25, s25, s1
                                        ; implicit-def: $sgpr27
	s_branch .LBB1366_26
.LBB1366_29:
	s_set_inst_prefetch_distance 0x2
	s_or_b32 exec_lo, exec_lo, s22
	s_and_saveexec_b32 s0, s23
	s_delay_alu instid0(SALU_CYCLE_1)
	s_xor_b32 s0, exec_lo, s0
	s_cbranch_execz .LBB1366_33
; %bb.30:
	v_dual_mov_b32 v23, v11 :: v_dual_mov_b32 v22, v10
	s_and_saveexec_b32 s1, s19
; %bb.31:
	v_dual_mov_b32 v2, v14 :: v_dual_mov_b32 v3, v15
	v_dual_mov_b32 v4, v10 :: v_dual_mov_b32 v5, v11
	;; [unrolled: 1-line block ×5, first 2 shown]
; %bb.32:
	s_or_b32 exec_lo, exec_lo, s1
	s_delay_alu instid0(VALU_DEP_3)
	v_dual_mov_b32 v10, v22 :: v_dual_mov_b32 v11, v23
.LBB1366_33:
	s_or_b32 exec_lo, exec_lo, s0
.LBB1366_34:
	s_delay_alu instid0(SALU_CYCLE_1)
	s_and_not1_b32 vcc_lo, exec_lo, s7
	s_cbranch_vccnz .LBB1366_44
; %bb.35:
	v_mul_lo_u32 v22, v9, s8
	v_mul_lo_u32 v23, v8, s9
	v_mad_u64_u32 v[18:19], null, v8, s8, 0
	v_lshlrev_b64 v[20:21], 1, v[20:21]
	s_mov_b32 s22, 0
	s_mov_b64 s[20:21], s[8:9]
                                        ; implicit-def: $sgpr19
                                        ; implicit-def: $sgpr23
                                        ; implicit-def: $sgpr25
                                        ; implicit-def: $sgpr24
                                        ; implicit-def: $sgpr26
                                        ; implicit-def: $sgpr27
	s_delay_alu instid0(VALU_DEP_2) | instskip(NEXT) | instid1(VALU_DEP_1)
	v_add3_u32 v19, v19, v23, v22
	v_lshlrev_b64 v[22:23], 1, v[18:19]
	s_delay_alu instid0(VALU_DEP_3) | instskip(SKIP_1) | instid1(VALU_DEP_3)
	v_add_co_u32 v18, vcc_lo, s10, v20
	v_add_co_ci_u32_e32 v19, vcc_lo, s11, v21, vcc_lo
	v_add_co_u32 v20, vcc_lo, s10, v22
	s_delay_alu instid0(VALU_DEP_4)
	v_add_co_ci_u32_e32 v21, vcc_lo, s11, v23, vcc_lo
	s_set_inst_prefetch_distance 0x1
	s_branch .LBB1366_37
	.p2align	6
.LBB1366_36:                            ;   in Loop: Header=BB1366_37 Depth=1
	s_or_b32 exec_lo, exec_lo, s28
	s_delay_alu instid0(SALU_CYCLE_1) | instskip(NEXT) | instid1(SALU_CYCLE_1)
	s_and_b32 s1, exec_lo, s25
	s_or_b32 s22, s1, s22
	s_and_not1_b32 s1, s27, exec_lo
	s_and_b32 s27, s26, exec_lo
	s_and_not1_b32 s23, s23, exec_lo
	s_or_b32 s27, s1, s27
	s_and_b32 s1, s24, exec_lo
	s_and_not1_b32 s19, s19, exec_lo
	s_and_b32 s0, s0, exec_lo
	s_or_b32 s23, s23, s1
	s_or_b32 s19, s19, s0
	s_and_not1_b32 exec_lo, exec_lo, s22
	s_cbranch_execz .LBB1366_39
.LBB1366_37:                            ; =>This Inner Loop Header: Depth=1
	global_load_u16 v22, v[18:19], off
	global_load_u16 v23, v[20:21], off
	s_and_not1_b32 s26, s26, exec_lo
	s_or_b32 s24, s24, exec_lo
	s_or_b32 s25, s25, exec_lo
	s_waitcnt vmcnt(0)
	v_cmp_le_u16_e32 vcc_lo, v22, v23
	v_cmp_lt_u16_e64 s0, v22, v23
	s_and_b32 s28, vcc_lo, s27
	s_delay_alu instid0(VALU_DEP_1) | instid1(SALU_CYCLE_1)
	s_or_b32 s0, s0, s28
	s_mov_b32 s28, exec_lo
	v_cmpx_eq_u16_e64 v22, v23
	s_cbranch_execz .LBB1366_36
; %bb.38:                               ;   in Loop: Header=BB1366_37 Depth=1
	s_add_u32 s20, s20, -1
	s_addc_u32 s21, s21, -1
	v_add_co_u32 v18, vcc_lo, v18, 2
	s_cmp_eq_u64 s[20:21], 0
	v_add_co_ci_u32_e32 v19, vcc_lo, 0, v19, vcc_lo
	v_add_co_u32 v20, vcc_lo, v20, 2
	s_cselect_b32 s1, -1, 0
	v_add_co_ci_u32_e32 v21, vcc_lo, 0, v21, vcc_lo
	s_and_not1_b32 s26, s26, exec_lo
	s_and_b32 s27, s0, exec_lo
	s_and_not1_b32 s25, s25, exec_lo
	s_and_b32 s1, s1, exec_lo
	s_or_b32 s26, s26, s27
	s_and_not1_b32 s24, s24, exec_lo
	s_or_b32 s25, s25, s1
                                        ; implicit-def: $sgpr27
	s_branch .LBB1366_36
.LBB1366_39:
	s_set_inst_prefetch_distance 0x2
	s_or_b32 exec_lo, exec_lo, s22
	s_and_saveexec_b32 s0, s23
	s_delay_alu instid0(SALU_CYCLE_1)
	s_xor_b32 s0, exec_lo, s0
	s_cbranch_execz .LBB1366_43
; %bb.40:
	v_dual_mov_b32 v19, v11 :: v_dual_mov_b32 v18, v10
	s_and_saveexec_b32 s1, s19
; %bb.41:
	v_dual_mov_b32 v0, v10 :: v_dual_mov_b32 v1, v11
	v_dual_mov_b32 v2, v8 :: v_dual_mov_b32 v3, v9
	;; [unrolled: 1-line block ×4, first 2 shown]
; %bb.42:
	s_or_b32 exec_lo, exec_lo, s1
	s_delay_alu instid0(VALU_DEP_2)
	v_dual_mov_b32 v10, v18 :: v_dual_mov_b32 v11, v19
.LBB1366_43:
	s_or_b32 exec_lo, exec_lo, s0
.LBB1366_44:
	v_mul_lo_u32 v20, v15, s8
	v_mul_lo_u32 v21, v14, s9
	v_mad_u64_u32 v[18:19], null, v14, s8, 0
	s_and_not1_b32 vcc_lo, exec_lo, s7
	s_delay_alu instid0(VALU_DEP_1)
	v_add3_u32 v19, v19, v21, v20
	s_cbranch_vccnz .LBB1366_54
; %bb.45:
	v_mul_lo_u32 v22, v17, s8
	v_mul_lo_u32 v23, v16, s9
	v_mad_u64_u32 v[20:21], null, v16, s8, 0
	v_lshlrev_b64 v[24:25], 1, v[18:19]
	s_mov_b32 s22, 0
	s_mov_b64 s[20:21], s[8:9]
                                        ; implicit-def: $sgpr19
                                        ; implicit-def: $sgpr23
                                        ; implicit-def: $sgpr25
                                        ; implicit-def: $sgpr24
                                        ; implicit-def: $sgpr26
                                        ; implicit-def: $sgpr27
	s_delay_alu instid0(VALU_DEP_2) | instskip(NEXT) | instid1(VALU_DEP_1)
	v_add3_u32 v21, v21, v23, v22
	v_lshlrev_b64 v[22:23], 1, v[20:21]
	s_delay_alu instid0(VALU_DEP_1) | instskip(NEXT) | instid1(VALU_DEP_2)
	v_add_co_u32 v22, vcc_lo, s10, v22
	v_add_co_ci_u32_e32 v23, vcc_lo, s11, v23, vcc_lo
	v_add_co_u32 v24, vcc_lo, s10, v24
	v_add_co_ci_u32_e32 v25, vcc_lo, s11, v25, vcc_lo
	s_set_inst_prefetch_distance 0x1
	s_branch .LBB1366_47
	.p2align	6
.LBB1366_46:                            ;   in Loop: Header=BB1366_47 Depth=1
	s_or_b32 exec_lo, exec_lo, s28
	s_delay_alu instid0(SALU_CYCLE_1) | instskip(NEXT) | instid1(SALU_CYCLE_1)
	s_and_b32 s1, exec_lo, s25
	s_or_b32 s22, s1, s22
	s_and_not1_b32 s1, s27, exec_lo
	s_and_b32 s27, s26, exec_lo
	s_and_not1_b32 s23, s23, exec_lo
	s_or_b32 s27, s1, s27
	s_and_b32 s1, s24, exec_lo
	s_and_not1_b32 s19, s19, exec_lo
	s_and_b32 s0, s0, exec_lo
	s_or_b32 s23, s23, s1
	s_or_b32 s19, s19, s0
	s_and_not1_b32 exec_lo, exec_lo, s22
	s_cbranch_execz .LBB1366_49
.LBB1366_47:                            ; =>This Inner Loop Header: Depth=1
	global_load_u16 v41, v[22:23], off
	global_load_u16 v42, v[24:25], off
	s_and_not1_b32 s26, s26, exec_lo
	s_or_b32 s24, s24, exec_lo
	s_or_b32 s25, s25, exec_lo
	s_waitcnt vmcnt(0)
	v_cmp_le_u16_e32 vcc_lo, v41, v42
	v_cmp_lt_u16_e64 s0, v41, v42
	s_and_b32 s28, vcc_lo, s27
	s_delay_alu instid0(VALU_DEP_1) | instid1(SALU_CYCLE_1)
	s_or_b32 s0, s0, s28
	s_mov_b32 s28, exec_lo
	v_cmpx_eq_u16_e64 v41, v42
	s_cbranch_execz .LBB1366_46
; %bb.48:                               ;   in Loop: Header=BB1366_47 Depth=1
	s_add_u32 s20, s20, -1
	s_addc_u32 s21, s21, -1
	v_add_co_u32 v22, vcc_lo, v22, 2
	s_cmp_eq_u64 s[20:21], 0
	v_add_co_ci_u32_e32 v23, vcc_lo, 0, v23, vcc_lo
	v_add_co_u32 v24, vcc_lo, v24, 2
	s_cselect_b32 s1, -1, 0
	v_add_co_ci_u32_e32 v25, vcc_lo, 0, v25, vcc_lo
	s_and_not1_b32 s26, s26, exec_lo
	s_and_b32 s27, s0, exec_lo
	s_and_not1_b32 s25, s25, exec_lo
	s_and_b32 s1, s1, exec_lo
	s_or_b32 s26, s26, s27
	s_and_not1_b32 s24, s24, exec_lo
	s_or_b32 s25, s25, s1
                                        ; implicit-def: $sgpr27
	s_branch .LBB1366_46
.LBB1366_49:
	s_set_inst_prefetch_distance 0x2
	s_or_b32 exec_lo, exec_lo, s22
	s_and_saveexec_b32 s0, s23
	s_delay_alu instid0(SALU_CYCLE_1)
	s_xor_b32 s0, exec_lo, s0
	s_cbranch_execz .LBB1366_53
; %bb.50:
	s_and_saveexec_b32 s1, s19
; %bb.51:
	v_dual_mov_b32 v4, v16 :: v_dual_mov_b32 v5, v17
	v_dual_mov_b32 v6, v14 :: v_dual_mov_b32 v7, v15
	;; [unrolled: 1-line block ×4, first 2 shown]
; %bb.52:
	s_or_b32 exec_lo, exec_lo, s1
.LBB1366_53:
	s_delay_alu instid0(SALU_CYCLE_1)
	s_or_b32 exec_lo, exec_lo, s0
.LBB1366_54:
	s_delay_alu instid0(SALU_CYCLE_1)
	s_and_not1_b32 vcc_lo, exec_lo, s7
	s_cbranch_vccnz .LBB1366_62
; %bb.55:
	v_mul_lo_u32 v20, v11, s8
	v_mul_lo_u32 v21, v10, s9
	v_mad_u64_u32 v[16:17], null, v10, s8, 0
	v_lshlrev_b64 v[18:19], 1, v[18:19]
	s_mov_b32 s22, 0
	s_mov_b64 s[20:21], s[8:9]
                                        ; implicit-def: $sgpr19
                                        ; implicit-def: $sgpr23
                                        ; implicit-def: $sgpr25
                                        ; implicit-def: $sgpr24
                                        ; implicit-def: $sgpr26
                                        ; implicit-def: $sgpr27
	s_delay_alu instid0(VALU_DEP_2) | instskip(NEXT) | instid1(VALU_DEP_1)
	v_add3_u32 v17, v17, v21, v20
	v_lshlrev_b64 v[20:21], 1, v[16:17]
	s_delay_alu instid0(VALU_DEP_3) | instskip(SKIP_1) | instid1(VALU_DEP_3)
	v_add_co_u32 v16, vcc_lo, s10, v18
	v_add_co_ci_u32_e32 v17, vcc_lo, s11, v19, vcc_lo
	v_add_co_u32 v18, vcc_lo, s10, v20
	s_delay_alu instid0(VALU_DEP_4)
	v_add_co_ci_u32_e32 v19, vcc_lo, s11, v21, vcc_lo
	s_set_inst_prefetch_distance 0x1
	s_branch .LBB1366_57
	.p2align	6
.LBB1366_56:                            ;   in Loop: Header=BB1366_57 Depth=1
	s_or_b32 exec_lo, exec_lo, s28
	s_delay_alu instid0(SALU_CYCLE_1) | instskip(NEXT) | instid1(SALU_CYCLE_1)
	s_and_b32 s1, exec_lo, s25
	s_or_b32 s22, s1, s22
	s_and_not1_b32 s1, s27, exec_lo
	s_and_b32 s27, s26, exec_lo
	s_and_not1_b32 s23, s23, exec_lo
	s_or_b32 s27, s1, s27
	s_and_b32 s1, s24, exec_lo
	s_and_not1_b32 s19, s19, exec_lo
	s_and_b32 s0, s0, exec_lo
	s_or_b32 s23, s23, s1
	s_or_b32 s19, s19, s0
	s_and_not1_b32 exec_lo, exec_lo, s22
	s_cbranch_execz .LBB1366_59
.LBB1366_57:                            ; =>This Inner Loop Header: Depth=1
	global_load_u16 v20, v[16:17], off
	global_load_u16 v21, v[18:19], off
	s_and_not1_b32 s26, s26, exec_lo
	s_or_b32 s24, s24, exec_lo
	s_or_b32 s25, s25, exec_lo
	s_waitcnt vmcnt(0)
	v_cmp_le_u16_e32 vcc_lo, v20, v21
	v_cmp_lt_u16_e64 s0, v20, v21
	s_and_b32 s28, vcc_lo, s27
	s_delay_alu instid0(VALU_DEP_1) | instid1(SALU_CYCLE_1)
	s_or_b32 s0, s0, s28
	s_mov_b32 s28, exec_lo
	v_cmpx_eq_u16_e64 v20, v21
	s_cbranch_execz .LBB1366_56
; %bb.58:                               ;   in Loop: Header=BB1366_57 Depth=1
	s_add_u32 s20, s20, -1
	s_addc_u32 s21, s21, -1
	v_add_co_u32 v16, vcc_lo, v16, 2
	s_cmp_eq_u64 s[20:21], 0
	v_add_co_ci_u32_e32 v17, vcc_lo, 0, v17, vcc_lo
	v_add_co_u32 v18, vcc_lo, v18, 2
	s_cselect_b32 s1, -1, 0
	v_add_co_ci_u32_e32 v19, vcc_lo, 0, v19, vcc_lo
	s_and_not1_b32 s26, s26, exec_lo
	s_and_b32 s27, s0, exec_lo
	s_and_not1_b32 s25, s25, exec_lo
	s_and_b32 s1, s1, exec_lo
	s_or_b32 s26, s26, s27
	s_and_not1_b32 s24, s24, exec_lo
	s_or_b32 s25, s25, s1
                                        ; implicit-def: $sgpr27
	s_branch .LBB1366_56
.LBB1366_59:
	s_set_inst_prefetch_distance 0x2
	s_or_b32 exec_lo, exec_lo, s22
	s_and_saveexec_b32 s0, s23
	s_delay_alu instid0(SALU_CYCLE_1)
	s_xor_b32 s0, exec_lo, s0
; %bb.60:
	v_cndmask_b32_e64 v5, v5, v11, s19
	v_cndmask_b32_e64 v4, v4, v10, s19
	;; [unrolled: 1-line block ×4, first 2 shown]
; %bb.61:
	s_or_b32 exec_lo, exec_lo, s0
.LBB1366_62:
	s_delay_alu instid0(SALU_CYCLE_1) | instskip(SKIP_4) | instid1(VALU_DEP_2)
	s_or_b32 exec_lo, exec_lo, s12
	v_mbcnt_lo_u32_b32 v11, -1, 0
	v_and_b32_e32 v10, 0xffffff80, v40
	s_mov_b32 s1, 0
	s_mov_b32 s12, exec_lo
	v_lshlrev_b32_e32 v18, 2, v11
	s_delay_alu instid0(VALU_DEP_2) | instskip(SKIP_2) | instid1(VALU_DEP_4)
	v_sub_nc_u32_e64 v17, 0x400, v10 clamp
	v_lshlrev_b32_e32 v16, 3, v10
	v_mov_b32_e32 v10, v2
	v_or_b32_e32 v14, 4, v18
	v_and_b32_e32 v19, 4, v18
	v_and_b32_e32 v22, 0x78, v18
	s_delay_alu instid0(VALU_DEP_3) | instskip(NEXT) | instid1(VALU_DEP_3)
	v_min_u32_e32 v14, v17, v14
	v_min_u32_e32 v23, v17, v19
	v_lshl_or_b32 v19, v11, 5, v16
	v_mov_b32_e32 v11, v3
	ds_store_b128 v19, v[8:11]
	ds_store_b128 v19, v[4:7] offset:16
	v_add_nc_u32_e32 v15, 4, v14
	v_sub_nc_u32_e32 v21, v14, v22
	; wave barrier
	s_delay_alu instid0(VALU_DEP_2) | instskip(NEXT) | instid1(VALU_DEP_2)
	v_min_u32_e32 v15, v17, v15
	v_min_u32_e32 v24, v23, v21
	v_lshl_or_b32 v21, v22, 3, v16
	s_delay_alu instid0(VALU_DEP_3) | instskip(NEXT) | instid1(VALU_DEP_1)
	v_sub_nc_u32_e32 v20, v15, v14
	v_sub_nc_u32_e64 v20, v23, v20 clamp
	s_delay_alu instid0(VALU_DEP_1)
	v_cmpx_lt_u32_e64 v20, v24
	s_cbranch_execz .LBB1366_73
; %bb.63:
	v_lshlrev_b32_e32 v8, 3, v14
	v_lshlrev_b32_e32 v9, 3, v23
	s_lshl_b64 s[20:21], s[8:9], 1
	s_delay_alu instid0(VALU_DEP_1)
	v_add3_u32 v25, v16, v8, v9
	s_branch .LBB1366_66
.LBB1366_64:                            ;   in Loop: Header=BB1366_66 Depth=1
	s_set_inst_prefetch_distance 0x2
	s_or_b32 exec_lo, exec_lo, s19
.LBB1366_65:                            ;   in Loop: Header=BB1366_66 Depth=1
	s_delay_alu instid0(VALU_DEP_1) | instskip(SKIP_1) | instid1(VALU_DEP_2)
	v_add_nc_u32_e32 v8, 1, v40
	v_cndmask_b32_e64 v24, v24, v40, s24
	v_cndmask_b32_e64 v20, v8, v20, s24
	s_delay_alu instid0(VALU_DEP_1) | instskip(SKIP_1) | instid1(SALU_CYCLE_1)
	v_cmp_ge_u32_e32 vcc_lo, v20, v24
	s_or_b32 s1, vcc_lo, s1
	s_and_not1_b32 exec_lo, exec_lo, s1
	s_cbranch_execz .LBB1366_72
.LBB1366_66:                            ; =>This Loop Header: Depth=1
                                        ;     Child Loop BB1366_69 Depth 2
	v_add_nc_u32_e32 v8, v24, v20
	s_and_not1_b32 vcc_lo, exec_lo, s7
	s_delay_alu instid0(VALU_DEP_1)
	v_lshrrev_b32_e32 v40, 1, v8
	s_cbranch_vccnz .LBB1366_71
; %bb.67:                               ;   in Loop: Header=BB1366_66 Depth=1
	s_delay_alu instid0(VALU_DEP_1) | instskip(SKIP_3) | instid1(VALU_DEP_2)
	v_not_b32_e32 v8, v40
	v_lshl_add_u32 v9, v40, 3, v21
	s_mov_b32 s19, 0
	s_mov_b64 s[22:23], s[8:9]
                                        ; implicit-def: $sgpr24
                                        ; implicit-def: $sgpr25
                                        ; implicit-def: $sgpr26
                                        ; implicit-def: $sgpr27
                                        ; implicit-def: $sgpr28
	v_lshl_add_u32 v8, v8, 3, v25
	ds_load_b64 v[10:11], v8
	ds_load_b64 v[41:42], v9
	s_waitcnt lgkmcnt(1)
	v_mul_lo_u32 v43, s20, v11
	v_mul_lo_u32 v44, s21, v10
	v_mad_u64_u32 v[8:9], null, s20, v10, s[10:11]
	s_waitcnt lgkmcnt(0)
	v_mul_lo_u32 v42, s20, v42
	v_mul_lo_u32 v45, s21, v41
	v_mad_u64_u32 v[10:11], null, s20, v41, s[10:11]
	s_delay_alu instid0(VALU_DEP_4) | instskip(NEXT) | instid1(VALU_DEP_2)
	v_add3_u32 v9, v44, v9, v43
	v_add3_u32 v11, v45, v11, v42
	s_set_inst_prefetch_distance 0x1
	s_branch .LBB1366_69
	.p2align	6
.LBB1366_68:                            ;   in Loop: Header=BB1366_69 Depth=2
	s_or_b32 exec_lo, exec_lo, s0
	s_delay_alu instid0(SALU_CYCLE_1) | instskip(NEXT) | instid1(SALU_CYCLE_1)
	s_and_b32 s0, exec_lo, s25
	s_or_b32 s19, s0, s19
	s_and_not1_b32 s0, s28, exec_lo
	s_and_b32 s28, s26, exec_lo
	s_and_not1_b32 s24, s24, exec_lo
	s_and_b32 s29, s27, exec_lo
	s_or_b32 s28, s0, s28
	s_or_b32 s24, s24, s29
	s_and_not1_b32 exec_lo, exec_lo, s19
	s_cbranch_execz .LBB1366_64
.LBB1366_69:                            ;   Parent Loop BB1366_66 Depth=1
                                        ; =>  This Inner Loop Header: Depth=2
	global_load_u16 v41, v[8:9], off
	global_load_u16 v42, v[10:11], off
	s_and_not1_b32 s27, s27, exec_lo
	s_and_not1_b32 s26, s26, exec_lo
	s_or_b32 s25, s25, exec_lo
	s_waitcnt vmcnt(0)
	v_cmp_le_u16_e32 vcc_lo, v41, v42
	v_cmp_lt_u16_e64 s0, v41, v42
	s_and_b32 s29, vcc_lo, s28
	s_delay_alu instid0(VALU_DEP_1) | instid1(SALU_CYCLE_1)
	s_or_b32 s29, s0, s29
	s_delay_alu instid0(SALU_CYCLE_1) | instskip(NEXT) | instid1(SALU_CYCLE_1)
	s_and_b32 s0, s29, exec_lo
	s_or_b32 s27, s27, s0
	s_mov_b32 s0, exec_lo
	v_cmpx_eq_u16_e64 v41, v42
	s_cbranch_execz .LBB1366_68
; %bb.70:                               ;   in Loop: Header=BB1366_69 Depth=2
	s_add_u32 s22, s22, -1
	s_addc_u32 s23, s23, -1
	v_add_co_u32 v8, vcc_lo, v8, 2
	s_cmp_eq_u64 s[22:23], 0
	v_add_co_ci_u32_e32 v9, vcc_lo, 0, v9, vcc_lo
	s_cselect_b32 s28, -1, 0
	v_add_co_u32 v10, vcc_lo, v10, 2
	s_and_not1_b32 s26, s26, exec_lo
	s_and_b32 s29, s29, exec_lo
	s_and_not1_b32 s25, s25, exec_lo
	s_and_b32 s28, s28, exec_lo
	v_add_co_ci_u32_e32 v11, vcc_lo, 0, v11, vcc_lo
	s_and_not1_b32 s27, s27, exec_lo
	s_or_b32 s26, s26, s29
	s_or_b32 s25, s25, s28
                                        ; implicit-def: $sgpr28
	s_branch .LBB1366_68
.LBB1366_71:                            ;   in Loop: Header=BB1366_66 Depth=1
	s_mov_b32 s24, 0
	s_branch .LBB1366_65
.LBB1366_72:
	s_or_b32 exec_lo, exec_lo, s1
.LBB1366_73:
	s_delay_alu instid0(SALU_CYCLE_1) | instskip(SKIP_2) | instid1(VALU_DEP_2)
	s_or_b32 exec_lo, exec_lo, s12
	v_add_nc_u32_e32 v9, v14, v23
	v_add_nc_u32_e32 v8, v20, v22
	v_sub_nc_u32_e32 v9, v9, v20
	s_delay_alu instid0(VALU_DEP_2) | instskip(NEXT) | instid1(VALU_DEP_2)
	v_cmp_le_u32_e32 vcc_lo, v8, v14
	v_cmp_le_u32_e64 s0, v9, v15
	s_delay_alu instid0(VALU_DEP_1) | instskip(NEXT) | instid1(SALU_CYCLE_1)
	s_or_b32 s0, vcc_lo, s0
	s_and_saveexec_b32 s1, s0
	s_cbranch_execz .LBB1366_120
; %bb.74:
	v_cmp_ge_u32_e32 vcc_lo, v8, v14
	s_mov_b32 s12, exec_lo
                                        ; implicit-def: $vgpr0_vgpr1
	v_cmpx_lt_u32_e64 v8, v14
	s_cbranch_execz .LBB1366_76
; %bb.75:
	v_lshl_add_u32 v0, v20, 3, v21
	ds_load_b64 v[0:1], v0
.LBB1366_76:
	s_or_b32 exec_lo, exec_lo, s12
	v_cmp_ge_u32_e64 s12, v9, v15
	s_mov_b32 s19, exec_lo
                                        ; implicit-def: $vgpr2_vgpr3
	v_cmpx_lt_u32_e64 v9, v15
	s_cbranch_execz .LBB1366_78
; %bb.77:
	v_lshl_add_u32 v2, v9, 3, v16
	ds_load_b64 v[2:3], v2
.LBB1366_78:
	s_or_b32 exec_lo, exec_lo, s19
	s_or_b32 s0, vcc_lo, s12
	s_mov_b32 s19, -1
	s_xor_b32 s0, s0, -1
	s_delay_alu instid0(SALU_CYCLE_1)
	s_and_saveexec_b32 s22, s0
	s_cbranch_execz .LBB1366_87
; %bb.79:
	s_and_not1_b32 vcc_lo, exec_lo, s7
	s_cbranch_vccnz .LBB1366_85
; %bb.80:
	s_waitcnt lgkmcnt(0)
	v_mul_lo_u32 v10, v3, s8
	v_mul_lo_u32 v11, v2, s9
	v_mad_u64_u32 v[4:5], null, v2, s8, 0
	v_mul_lo_u32 v20, v1, s8
	v_mul_lo_u32 v21, v0, s9
	v_mad_u64_u32 v[6:7], null, v0, s8, 0
	s_mov_b32 s23, 0
	s_mov_b64 s[20:21], s[8:9]
	s_delay_alu instid0(VALU_DEP_4) | instskip(NEXT) | instid1(VALU_DEP_2)
	v_add3_u32 v5, v5, v11, v10
                                        ; implicit-def: $sgpr24
                                        ; implicit-def: $sgpr25
                                        ; implicit-def: $sgpr26
                                        ; implicit-def: $sgpr27
                                        ; implicit-def: $sgpr28
	v_add3_u32 v7, v7, v21, v20
	s_delay_alu instid0(VALU_DEP_2) | instskip(NEXT) | instid1(VALU_DEP_2)
	v_lshlrev_b64 v[4:5], 1, v[4:5]
	v_lshlrev_b64 v[6:7], 1, v[6:7]
	s_delay_alu instid0(VALU_DEP_2) | instskip(NEXT) | instid1(VALU_DEP_3)
	v_add_co_u32 v4, vcc_lo, s10, v4
	v_add_co_ci_u32_e32 v5, vcc_lo, s11, v5, vcc_lo
	s_delay_alu instid0(VALU_DEP_3) | instskip(NEXT) | instid1(VALU_DEP_4)
	v_add_co_u32 v6, vcc_lo, s10, v6
	v_add_co_ci_u32_e32 v7, vcc_lo, s11, v7, vcc_lo
	s_set_inst_prefetch_distance 0x1
	s_branch .LBB1366_82
	.p2align	6
.LBB1366_81:                            ;   in Loop: Header=BB1366_82 Depth=1
	s_or_b32 exec_lo, exec_lo, s0
	s_delay_alu instid0(SALU_CYCLE_1) | instskip(NEXT) | instid1(SALU_CYCLE_1)
	s_and_b32 s0, exec_lo, s25
	s_or_b32 s23, s0, s23
	s_and_not1_b32 s0, s28, exec_lo
	s_and_b32 s28, s27, exec_lo
	s_and_not1_b32 s24, s24, exec_lo
	s_and_b32 s29, s26, exec_lo
	s_or_b32 s28, s0, s28
	s_or_b32 s24, s24, s29
	s_and_not1_b32 exec_lo, exec_lo, s23
	s_cbranch_execz .LBB1366_84
.LBB1366_82:                            ; =>This Inner Loop Header: Depth=1
	global_load_u16 v10, v[4:5], off
	global_load_u16 v11, v[6:7], off
	s_and_not1_b32 s26, s26, exec_lo
	s_and_not1_b32 s27, s27, exec_lo
	s_or_b32 s25, s25, exec_lo
	s_waitcnt vmcnt(0)
	v_cmp_le_u16_e32 vcc_lo, v10, v11
	v_cmp_lt_u16_e64 s0, v10, v11
	s_and_b32 s29, vcc_lo, s28
	s_delay_alu instid0(VALU_DEP_1) | instid1(SALU_CYCLE_1)
	s_or_b32 s29, s0, s29
	s_delay_alu instid0(SALU_CYCLE_1) | instskip(NEXT) | instid1(SALU_CYCLE_1)
	s_and_b32 s0, s29, exec_lo
	s_or_b32 s26, s26, s0
	s_mov_b32 s0, exec_lo
	v_cmpx_eq_u16_e64 v10, v11
	s_cbranch_execz .LBB1366_81
; %bb.83:                               ;   in Loop: Header=BB1366_82 Depth=1
	s_add_u32 s20, s20, -1
	s_addc_u32 s21, s21, -1
	v_add_co_u32 v4, vcc_lo, v4, 2
	s_cmp_eq_u64 s[20:21], 0
	v_add_co_ci_u32_e32 v5, vcc_lo, 0, v5, vcc_lo
	s_cselect_b32 s28, -1, 0
	s_and_not1_b32 s27, s27, exec_lo
	s_and_b32 s29, s29, exec_lo
	v_add_co_u32 v6, vcc_lo, v6, 2
	s_and_not1_b32 s25, s25, exec_lo
	s_and_b32 s28, s28, exec_lo
	v_add_co_ci_u32_e32 v7, vcc_lo, 0, v7, vcc_lo
	s_or_b32 s27, s27, s29
	s_and_not1_b32 s26, s26, exec_lo
	s_or_b32 s25, s25, s28
                                        ; implicit-def: $sgpr28
	s_branch .LBB1366_81
.LBB1366_84:
	s_set_inst_prefetch_distance 0x2
	s_or_b32 exec_lo, exec_lo, s23
	s_xor_b32 s0, s24, -1
	s_branch .LBB1366_86
.LBB1366_85:
	s_mov_b32 s0, -1
.LBB1366_86:
	s_and_not1_b32 s12, s12, exec_lo
	s_and_b32 s0, s0, exec_lo
	s_delay_alu instid0(SALU_CYCLE_1)
	s_or_b32 s12, s12, s0
.LBB1366_87:
	s_or_b32 exec_lo, exec_lo, s22
	v_cndmask_b32_e64 v4, v9, v8, s12
	v_cndmask_b32_e64 v5, v15, v14, s12
	s_mov_b32 s22, exec_lo
	s_delay_alu instid0(VALU_DEP_2) | instskip(NEXT) | instid1(VALU_DEP_2)
	v_add_nc_u32_e32 v6, 1, v4
	v_add_nc_u32_e32 v4, -1, v5
	s_delay_alu instid0(VALU_DEP_2) | instskip(NEXT) | instid1(VALU_DEP_2)
	v_cndmask_b32_e64 v9, v6, v9, s12
	v_min_u32_e32 v4, v6, v4
	v_cndmask_b32_e64 v8, v8, v6, s12
	s_delay_alu instid0(VALU_DEP_2)
	v_lshl_add_u32 v4, v4, 3, v16
	ds_load_b64 v[4:5], v4
	s_waitcnt lgkmcnt(0)
	v_cndmask_b32_e64 v20, v5, v3, s12
	v_cndmask_b32_e64 v21, v4, v2, s12
	;; [unrolled: 1-line block ×4, first 2 shown]
	v_cmpx_lt_u32_e64 v9, v15
	s_cbranch_execz .LBB1366_98
; %bb.88:
	s_mov_b32 s0, 0
	s_mov_b32 s19, exec_lo
	v_cmpx_lt_u32_e64 v8, v14
	s_cbranch_execz .LBB1366_97
; %bb.89:
	s_and_not1_b32 vcc_lo, exec_lo, s7
	s_cbranch_vccnz .LBB1366_95
; %bb.90:
	v_mul_lo_u32 v10, v20, s8
	v_mul_lo_u32 v11, v21, s9
	v_mad_u64_u32 v[4:5], null, v21, s8, 0
	v_mul_lo_u32 v24, v22, s8
	v_mul_lo_u32 v25, v23, s9
	v_mad_u64_u32 v[6:7], null, v23, s8, 0
	s_mov_b32 s23, 0
	s_mov_b64 s[20:21], s[8:9]
	s_delay_alu instid0(VALU_DEP_4) | instskip(NEXT) | instid1(VALU_DEP_2)
	v_add3_u32 v5, v5, v11, v10
                                        ; implicit-def: $sgpr24
                                        ; implicit-def: $sgpr25
                                        ; implicit-def: $sgpr26
                                        ; implicit-def: $sgpr27
                                        ; implicit-def: $sgpr28
	v_add3_u32 v7, v7, v25, v24
	s_delay_alu instid0(VALU_DEP_2) | instskip(NEXT) | instid1(VALU_DEP_2)
	v_lshlrev_b64 v[4:5], 1, v[4:5]
	v_lshlrev_b64 v[6:7], 1, v[6:7]
	s_delay_alu instid0(VALU_DEP_2) | instskip(NEXT) | instid1(VALU_DEP_3)
	v_add_co_u32 v4, vcc_lo, s10, v4
	v_add_co_ci_u32_e32 v5, vcc_lo, s11, v5, vcc_lo
	s_delay_alu instid0(VALU_DEP_3) | instskip(NEXT) | instid1(VALU_DEP_4)
	v_add_co_u32 v6, vcc_lo, s10, v6
	v_add_co_ci_u32_e32 v7, vcc_lo, s11, v7, vcc_lo
	s_set_inst_prefetch_distance 0x1
	s_branch .LBB1366_92
	.p2align	6
.LBB1366_91:                            ;   in Loop: Header=BB1366_92 Depth=1
	s_or_b32 exec_lo, exec_lo, s0
	s_delay_alu instid0(SALU_CYCLE_1) | instskip(NEXT) | instid1(SALU_CYCLE_1)
	s_and_b32 s0, exec_lo, s25
	s_or_b32 s23, s0, s23
	s_and_not1_b32 s0, s28, exec_lo
	s_and_b32 s28, s27, exec_lo
	s_and_not1_b32 s24, s24, exec_lo
	s_and_b32 s29, s26, exec_lo
	s_or_b32 s28, s0, s28
	s_or_b32 s24, s24, s29
	s_and_not1_b32 exec_lo, exec_lo, s23
	s_cbranch_execz .LBB1366_94
.LBB1366_92:                            ; =>This Inner Loop Header: Depth=1
	global_load_u16 v10, v[4:5], off
	global_load_u16 v11, v[6:7], off
	s_and_not1_b32 s26, s26, exec_lo
	s_and_not1_b32 s27, s27, exec_lo
	s_or_b32 s25, s25, exec_lo
	s_waitcnt vmcnt(0)
	v_cmp_le_u16_e32 vcc_lo, v10, v11
	v_cmp_lt_u16_e64 s0, v10, v11
	s_and_b32 s29, vcc_lo, s28
	s_delay_alu instid0(VALU_DEP_1) | instid1(SALU_CYCLE_1)
	s_or_b32 s29, s0, s29
	s_delay_alu instid0(SALU_CYCLE_1) | instskip(NEXT) | instid1(SALU_CYCLE_1)
	s_and_b32 s0, s29, exec_lo
	s_or_b32 s26, s26, s0
	s_mov_b32 s0, exec_lo
	v_cmpx_eq_u16_e64 v10, v11
	s_cbranch_execz .LBB1366_91
; %bb.93:                               ;   in Loop: Header=BB1366_92 Depth=1
	s_add_u32 s20, s20, -1
	s_addc_u32 s21, s21, -1
	v_add_co_u32 v4, vcc_lo, v4, 2
	s_cmp_eq_u64 s[20:21], 0
	v_add_co_ci_u32_e32 v5, vcc_lo, 0, v5, vcc_lo
	v_add_co_u32 v6, vcc_lo, v6, 2
	s_cselect_b32 s28, -1, 0
	v_add_co_ci_u32_e32 v7, vcc_lo, 0, v7, vcc_lo
	s_and_not1_b32 s27, s27, exec_lo
	s_and_b32 s29, s29, exec_lo
	s_and_not1_b32 s25, s25, exec_lo
	s_and_b32 s28, s28, exec_lo
	s_or_b32 s27, s27, s29
	s_and_not1_b32 s26, s26, exec_lo
	s_or_b32 s25, s25, s28
                                        ; implicit-def: $sgpr28
	s_branch .LBB1366_91
.LBB1366_94:
	s_set_inst_prefetch_distance 0x2
	s_or_b32 exec_lo, exec_lo, s23
	s_xor_b32 s0, s24, -1
	s_branch .LBB1366_96
.LBB1366_95:
	s_mov_b32 s0, -1
.LBB1366_96:
	s_delay_alu instid0(SALU_CYCLE_1)
	s_and_b32 s0, s0, exec_lo
.LBB1366_97:
	s_or_b32 exec_lo, exec_lo, s19
	s_delay_alu instid0(SALU_CYCLE_1)
	s_or_not1_b32 s19, s0, exec_lo
.LBB1366_98:
	s_or_b32 exec_lo, exec_lo, s22
	v_cndmask_b32_e64 v4, v9, v8, s19
	v_cndmask_b32_e64 v5, v15, v14, s19
	s_mov_b32 s22, -1
	s_mov_b32 s23, exec_lo
	s_delay_alu instid0(VALU_DEP_2) | instskip(NEXT) | instid1(VALU_DEP_2)
	v_add_nc_u32_e32 v6, 1, v4
	v_add_nc_u32_e32 v4, -1, v5
	s_delay_alu instid0(VALU_DEP_2) | instskip(NEXT) | instid1(VALU_DEP_2)
	v_cndmask_b32_e64 v9, v6, v9, s19
	v_min_u32_e32 v4, v6, v4
	v_cndmask_b32_e64 v8, v8, v6, s19
	s_delay_alu instid0(VALU_DEP_2)
	v_lshl_add_u32 v4, v4, 3, v16
	ds_load_b64 v[4:5], v4
	s_waitcnt lgkmcnt(0)
	v_cndmask_b32_e64 v24, v5, v20, s19
	v_cndmask_b32_e64 v25, v4, v21, s19
	;; [unrolled: 1-line block ×4, first 2 shown]
	v_cmpx_lt_u32_e64 v9, v15
	s_cbranch_execz .LBB1366_109
; %bb.99:
	s_mov_b32 s0, 0
	s_mov_b32 s22, exec_lo
	v_cmpx_lt_u32_e64 v8, v14
	s_cbranch_execz .LBB1366_108
; %bb.100:
	s_and_not1_b32 vcc_lo, exec_lo, s7
	s_cbranch_vccnz .LBB1366_106
; %bb.101:
	v_mul_lo_u32 v10, v24, s8
	v_mul_lo_u32 v11, v25, s9
	v_mad_u64_u32 v[4:5], null, v25, s8, 0
	v_mul_lo_u32 v42, v40, s8
	v_mul_lo_u32 v43, v41, s9
	v_mad_u64_u32 v[6:7], null, v41, s8, 0
	s_mov_b32 s24, 0
	s_mov_b64 s[20:21], s[8:9]
	s_delay_alu instid0(VALU_DEP_4) | instskip(NEXT) | instid1(VALU_DEP_2)
	v_add3_u32 v5, v5, v11, v10
                                        ; implicit-def: $sgpr25
                                        ; implicit-def: $sgpr26
                                        ; implicit-def: $sgpr27
                                        ; implicit-def: $sgpr28
                                        ; implicit-def: $sgpr29
	v_add3_u32 v7, v7, v43, v42
	s_delay_alu instid0(VALU_DEP_2) | instskip(NEXT) | instid1(VALU_DEP_2)
	v_lshlrev_b64 v[4:5], 1, v[4:5]
	v_lshlrev_b64 v[6:7], 1, v[6:7]
	s_delay_alu instid0(VALU_DEP_2) | instskip(NEXT) | instid1(VALU_DEP_3)
	v_add_co_u32 v4, vcc_lo, s10, v4
	v_add_co_ci_u32_e32 v5, vcc_lo, s11, v5, vcc_lo
	s_delay_alu instid0(VALU_DEP_3) | instskip(NEXT) | instid1(VALU_DEP_4)
	v_add_co_u32 v6, vcc_lo, s10, v6
	v_add_co_ci_u32_e32 v7, vcc_lo, s11, v7, vcc_lo
	s_set_inst_prefetch_distance 0x1
	s_branch .LBB1366_103
	.p2align	6
.LBB1366_102:                           ;   in Loop: Header=BB1366_103 Depth=1
	s_or_b32 exec_lo, exec_lo, s0
	s_delay_alu instid0(SALU_CYCLE_1) | instskip(NEXT) | instid1(SALU_CYCLE_1)
	s_and_b32 s0, exec_lo, s26
	s_or_b32 s24, s0, s24
	s_and_not1_b32 s0, s29, exec_lo
	s_and_b32 s29, s28, exec_lo
	s_and_not1_b32 s25, s25, exec_lo
	s_and_b32 s30, s27, exec_lo
	s_or_b32 s29, s0, s29
	s_or_b32 s25, s25, s30
	s_and_not1_b32 exec_lo, exec_lo, s24
	s_cbranch_execz .LBB1366_105
.LBB1366_103:                           ; =>This Inner Loop Header: Depth=1
	global_load_u16 v10, v[4:5], off
	global_load_u16 v11, v[6:7], off
	s_and_not1_b32 s27, s27, exec_lo
	s_and_not1_b32 s28, s28, exec_lo
	s_or_b32 s26, s26, exec_lo
	s_waitcnt vmcnt(0)
	v_cmp_le_u16_e32 vcc_lo, v10, v11
	v_cmp_lt_u16_e64 s0, v10, v11
	s_and_b32 s30, vcc_lo, s29
	s_delay_alu instid0(VALU_DEP_1) | instid1(SALU_CYCLE_1)
	s_or_b32 s30, s0, s30
	s_delay_alu instid0(SALU_CYCLE_1) | instskip(NEXT) | instid1(SALU_CYCLE_1)
	s_and_b32 s0, s30, exec_lo
	s_or_b32 s27, s27, s0
	s_mov_b32 s0, exec_lo
	v_cmpx_eq_u16_e64 v10, v11
	s_cbranch_execz .LBB1366_102
; %bb.104:                              ;   in Loop: Header=BB1366_103 Depth=1
	s_add_u32 s20, s20, -1
	s_addc_u32 s21, s21, -1
	v_add_co_u32 v4, vcc_lo, v4, 2
	s_cmp_eq_u64 s[20:21], 0
	v_add_co_ci_u32_e32 v5, vcc_lo, 0, v5, vcc_lo
	v_add_co_u32 v6, vcc_lo, v6, 2
	s_cselect_b32 s29, -1, 0
	v_add_co_ci_u32_e32 v7, vcc_lo, 0, v7, vcc_lo
	s_and_not1_b32 s28, s28, exec_lo
	s_and_b32 s30, s30, exec_lo
	s_and_not1_b32 s26, s26, exec_lo
	s_and_b32 s29, s29, exec_lo
	s_or_b32 s28, s28, s30
	s_and_not1_b32 s27, s27, exec_lo
	s_or_b32 s26, s26, s29
                                        ; implicit-def: $sgpr29
	s_branch .LBB1366_102
.LBB1366_105:
	s_set_inst_prefetch_distance 0x2
	s_or_b32 exec_lo, exec_lo, s24
	s_xor_b32 s0, s25, -1
	s_branch .LBB1366_107
.LBB1366_106:
	s_mov_b32 s0, -1
.LBB1366_107:
	s_delay_alu instid0(SALU_CYCLE_1)
	s_and_b32 s0, s0, exec_lo
.LBB1366_108:
	s_or_b32 exec_lo, exec_lo, s22
	s_delay_alu instid0(SALU_CYCLE_1)
	s_or_not1_b32 s22, s0, exec_lo
.LBB1366_109:
	s_or_b32 exec_lo, exec_lo, s23
	v_cndmask_b32_e64 v4, v9, v8, s22
	v_cndmask_b32_e64 v5, v15, v14, s22
	s_mov_b32 s23, exec_lo
	s_delay_alu instid0(VALU_DEP_2) | instskip(NEXT) | instid1(VALU_DEP_2)
	v_add_nc_u32_e32 v10, 1, v4
	v_add_nc_u32_e32 v4, -1, v5
	s_delay_alu instid0(VALU_DEP_2) | instskip(NEXT) | instid1(VALU_DEP_2)
	v_cndmask_b32_e64 v9, v10, v9, s22
	v_min_u32_e32 v4, v10, v4
	s_delay_alu instid0(VALU_DEP_1)
	v_lshl_add_u32 v4, v4, 3, v16
	ds_load_b64 v[4:5], v4
	s_waitcnt lgkmcnt(0)
	v_cndmask_b32_e64 v7, v40, v5, s22
	v_cndmask_b32_e64 v6, v41, v4, s22
	v_cmpx_lt_u32_e64 v9, v15
	s_cbranch_execz .LBB1366_119
; %bb.110:
	v_cndmask_b32_e64 v8, v8, v10, s22
	v_cndmask_b32_e64 v5, v5, v24, s22
	;; [unrolled: 1-line block ×3, first 2 shown]
	s_mov_b32 s24, exec_lo
	s_delay_alu instid0(VALU_DEP_3)
	v_cmpx_lt_u32_e64 v8, v14
	s_cbranch_execz .LBB1366_118
; %bb.111:
	s_and_not1_b32 vcc_lo, exec_lo, s7
	s_cbranch_vccnz .LBB1366_117
; %bb.112:
	v_mul_lo_u32 v14, v5, s8
	v_mul_lo_u32 v15, v4, s9
	v_mad_u64_u32 v[8:9], null, v4, s8, 0
	v_mul_lo_u32 v42, v7, s8
	v_mul_lo_u32 v43, v6, s9
	v_mad_u64_u32 v[10:11], null, v6, s8, 0
	s_mov_b32 s25, 0
	s_mov_b64 s[20:21], s[8:9]
	s_delay_alu instid0(VALU_DEP_4) | instskip(NEXT) | instid1(VALU_DEP_2)
	v_add3_u32 v9, v9, v15, v14
                                        ; implicit-def: $sgpr26
                                        ; implicit-def: $sgpr27
                                        ; implicit-def: $sgpr28
                                        ; implicit-def: $sgpr29
                                        ; implicit-def: $sgpr30
	v_add3_u32 v11, v11, v43, v42
	s_delay_alu instid0(VALU_DEP_2) | instskip(NEXT) | instid1(VALU_DEP_2)
	v_lshlrev_b64 v[8:9], 1, v[8:9]
	v_lshlrev_b64 v[10:11], 1, v[10:11]
	s_delay_alu instid0(VALU_DEP_2) | instskip(NEXT) | instid1(VALU_DEP_3)
	v_add_co_u32 v8, vcc_lo, s10, v8
	v_add_co_ci_u32_e32 v9, vcc_lo, s11, v9, vcc_lo
	s_delay_alu instid0(VALU_DEP_3) | instskip(NEXT) | instid1(VALU_DEP_4)
	v_add_co_u32 v10, vcc_lo, s10, v10
	v_add_co_ci_u32_e32 v11, vcc_lo, s11, v11, vcc_lo
	s_set_inst_prefetch_distance 0x1
	s_branch .LBB1366_114
	.p2align	6
.LBB1366_113:                           ;   in Loop: Header=BB1366_114 Depth=1
	s_or_b32 exec_lo, exec_lo, s0
	s_delay_alu instid0(SALU_CYCLE_1) | instskip(NEXT) | instid1(SALU_CYCLE_1)
	s_and_b32 s0, exec_lo, s27
	s_or_b32 s25, s0, s25
	s_and_not1_b32 s0, s30, exec_lo
	s_and_b32 s30, s29, exec_lo
	s_and_not1_b32 s26, s26, exec_lo
	s_and_b32 s31, s28, exec_lo
	s_or_b32 s30, s0, s30
	s_or_b32 s26, s26, s31
	s_and_not1_b32 exec_lo, exec_lo, s25
	s_cbranch_execz .LBB1366_116
.LBB1366_114:                           ; =>This Inner Loop Header: Depth=1
	global_load_u16 v14, v[8:9], off
	global_load_u16 v15, v[10:11], off
	s_and_not1_b32 s28, s28, exec_lo
	s_and_not1_b32 s29, s29, exec_lo
	s_or_b32 s27, s27, exec_lo
	s_waitcnt vmcnt(0)
	v_cmp_le_u16_e32 vcc_lo, v14, v15
	v_cmp_lt_u16_e64 s0, v14, v15
	s_and_b32 s31, vcc_lo, s30
	s_delay_alu instid0(VALU_DEP_1) | instid1(SALU_CYCLE_1)
	s_or_b32 s31, s0, s31
	s_delay_alu instid0(SALU_CYCLE_1) | instskip(NEXT) | instid1(SALU_CYCLE_1)
	s_and_b32 s0, s31, exec_lo
	s_or_b32 s28, s28, s0
	s_mov_b32 s0, exec_lo
	v_cmpx_eq_u16_e64 v14, v15
	s_cbranch_execz .LBB1366_113
; %bb.115:                              ;   in Loop: Header=BB1366_114 Depth=1
	s_add_u32 s20, s20, -1
	s_addc_u32 s21, s21, -1
	v_add_co_u32 v8, vcc_lo, v8, 2
	s_cmp_eq_u64 s[20:21], 0
	v_add_co_ci_u32_e32 v9, vcc_lo, 0, v9, vcc_lo
	v_add_co_u32 v10, vcc_lo, v10, 2
	s_cselect_b32 s30, -1, 0
	v_add_co_ci_u32_e32 v11, vcc_lo, 0, v11, vcc_lo
	s_and_not1_b32 s29, s29, exec_lo
	s_and_b32 s31, s31, exec_lo
	s_and_not1_b32 s27, s27, exec_lo
	s_and_b32 s30, s30, exec_lo
	s_or_b32 s29, s29, s31
	s_and_not1_b32 s28, s28, exec_lo
	s_or_b32 s27, s27, s30
                                        ; implicit-def: $sgpr30
	s_branch .LBB1366_113
.LBB1366_116:
	s_set_inst_prefetch_distance 0x2
	s_or_b32 exec_lo, exec_lo, s25
	v_cndmask_b32_e64 v7, v7, v5, s26
	v_cndmask_b32_e64 v6, v6, v4, s26
.LBB1366_117:
	s_delay_alu instid0(VALU_DEP_1)
	v_dual_mov_b32 v4, v6 :: v_dual_mov_b32 v5, v7
.LBB1366_118:
	s_or_b32 exec_lo, exec_lo, s24
	s_delay_alu instid0(VALU_DEP_1)
	v_dual_mov_b32 v7, v5 :: v_dual_mov_b32 v6, v4
.LBB1366_119:
	s_or_b32 exec_lo, exec_lo, s23
	v_cndmask_b32_e64 v1, v3, v1, s12
	v_cndmask_b32_e64 v0, v2, v0, s12
	;; [unrolled: 1-line block ×6, first 2 shown]
.LBB1366_120:
	s_or_b32 exec_lo, exec_lo, s1
	v_and_b32_e32 v22, 0x70, v18
	v_and_b32_e32 v9, 12, v18
	s_mov_b32 s1, exec_lo
	; wave barrier
	s_delay_alu instid0(VALU_DEP_2) | instskip(NEXT) | instid1(VALU_DEP_2)
	v_or_b32_e32 v8, 8, v22
	v_min_u32_e32 v23, v17, v9
	v_lshl_add_u32 v21, v22, 3, v16
	ds_store_b128 v19, v[0:3]
	ds_store_b128 v19, v[4:7] offset:16
	v_min_u32_e32 v14, v17, v8
	; wave barrier
	s_delay_alu instid0(VALU_DEP_1) | instskip(SKIP_1) | instid1(VALU_DEP_2)
	v_add_nc_u32_e32 v8, 8, v14
	v_sub_nc_u32_e32 v9, v14, v22
	v_min_u32_e32 v15, v17, v8
	s_delay_alu instid0(VALU_DEP_2) | instskip(NEXT) | instid1(VALU_DEP_2)
	v_min_u32_e32 v24, v23, v9
	v_sub_nc_u32_e32 v8, v15, v14
	s_delay_alu instid0(VALU_DEP_1) | instskip(NEXT) | instid1(VALU_DEP_1)
	v_sub_nc_u32_e64 v20, v23, v8 clamp
	v_cmpx_lt_u32_e64 v20, v24
	s_cbranch_execz .LBB1366_130
; %bb.121:
	v_lshlrev_b32_e32 v8, 3, v14
	v_lshlrev_b32_e32 v9, 3, v23
	s_lshl_b64 s[20:21], s[8:9], 1
	s_mov_b32 s12, 0
	s_delay_alu instid0(VALU_DEP_1)
	v_add3_u32 v25, v16, v8, v9
	s_branch .LBB1366_124
.LBB1366_122:                           ;   in Loop: Header=BB1366_124 Depth=1
	s_set_inst_prefetch_distance 0x2
	s_or_b32 exec_lo, exec_lo, s19
.LBB1366_123:                           ;   in Loop: Header=BB1366_124 Depth=1
	s_delay_alu instid0(VALU_DEP_1) | instskip(SKIP_1) | instid1(VALU_DEP_2)
	v_add_nc_u32_e32 v8, 1, v40
	v_cndmask_b32_e64 v24, v24, v40, s24
	v_cndmask_b32_e64 v20, v8, v20, s24
	s_delay_alu instid0(VALU_DEP_1) | instskip(SKIP_1) | instid1(SALU_CYCLE_1)
	v_cmp_ge_u32_e32 vcc_lo, v20, v24
	s_or_b32 s12, vcc_lo, s12
	s_and_not1_b32 exec_lo, exec_lo, s12
	s_cbranch_execz .LBB1366_129
.LBB1366_124:                           ; =>This Loop Header: Depth=1
                                        ;     Child Loop BB1366_127 Depth 2
	v_add_nc_u32_e32 v8, v24, v20
	s_and_not1_b32 vcc_lo, exec_lo, s7
	s_mov_b32 s24, 0
	s_delay_alu instid0(VALU_DEP_1)
	v_lshrrev_b32_e32 v40, 1, v8
	s_cbranch_vccnz .LBB1366_123
; %bb.125:                              ;   in Loop: Header=BB1366_124 Depth=1
	s_delay_alu instid0(VALU_DEP_1) | instskip(SKIP_3) | instid1(VALU_DEP_2)
	v_not_b32_e32 v8, v40
	v_lshl_add_u32 v9, v40, 3, v21
	s_mov_b32 s19, 0
	s_mov_b64 s[22:23], s[8:9]
                                        ; implicit-def: $sgpr24
                                        ; implicit-def: $sgpr25
                                        ; implicit-def: $sgpr26
                                        ; implicit-def: $sgpr27
                                        ; implicit-def: $sgpr28
	v_lshl_add_u32 v8, v8, 3, v25
	ds_load_b64 v[10:11], v8
	ds_load_b64 v[41:42], v9
	s_waitcnt lgkmcnt(1)
	v_mul_lo_u32 v43, s20, v11
	v_mul_lo_u32 v44, s21, v10
	v_mad_u64_u32 v[8:9], null, s20, v10, s[10:11]
	s_waitcnt lgkmcnt(0)
	v_mul_lo_u32 v42, s20, v42
	v_mul_lo_u32 v45, s21, v41
	v_mad_u64_u32 v[10:11], null, s20, v41, s[10:11]
	s_delay_alu instid0(VALU_DEP_4) | instskip(NEXT) | instid1(VALU_DEP_2)
	v_add3_u32 v9, v44, v9, v43
	v_add3_u32 v11, v45, v11, v42
	s_set_inst_prefetch_distance 0x1
	s_branch .LBB1366_127
	.p2align	6
.LBB1366_126:                           ;   in Loop: Header=BB1366_127 Depth=2
	s_or_b32 exec_lo, exec_lo, s29
	s_delay_alu instid0(SALU_CYCLE_1) | instskip(NEXT) | instid1(SALU_CYCLE_1)
	s_and_b32 s0, exec_lo, s25
	s_or_b32 s19, s0, s19
	s_and_not1_b32 s0, s28, exec_lo
	s_and_b32 s28, s26, exec_lo
	s_and_not1_b32 s24, s24, exec_lo
	s_and_b32 s29, s27, exec_lo
	s_or_b32 s28, s0, s28
	s_or_b32 s24, s24, s29
	s_and_not1_b32 exec_lo, exec_lo, s19
	s_cbranch_execz .LBB1366_122
.LBB1366_127:                           ;   Parent Loop BB1366_124 Depth=1
                                        ; =>  This Inner Loop Header: Depth=2
	global_load_u16 v41, v[8:9], off
	global_load_u16 v42, v[10:11], off
	s_and_not1_b32 s27, s27, exec_lo
	s_and_not1_b32 s26, s26, exec_lo
	s_or_b32 s25, s25, exec_lo
	s_waitcnt vmcnt(0)
	v_cmp_le_u16_e32 vcc_lo, v41, v42
	v_cmp_lt_u16_e64 s0, v41, v42
	s_and_b32 s29, vcc_lo, s28
	s_delay_alu instid0(VALU_DEP_1) | instid1(SALU_CYCLE_1)
	s_or_b32 s0, s0, s29
	s_delay_alu instid0(SALU_CYCLE_1) | instskip(NEXT) | instid1(SALU_CYCLE_1)
	s_and_b32 s29, s0, exec_lo
	s_or_b32 s27, s27, s29
	s_mov_b32 s29, exec_lo
	v_cmpx_eq_u16_e64 v41, v42
	s_cbranch_execz .LBB1366_126
; %bb.128:                              ;   in Loop: Header=BB1366_127 Depth=2
	s_add_u32 s22, s22, -1
	s_addc_u32 s23, s23, -1
	v_add_co_u32 v8, vcc_lo, v8, 2
	v_add_co_ci_u32_e32 v9, vcc_lo, 0, v9, vcc_lo
	s_cmp_eq_u64 s[22:23], 0
	v_add_co_u32 v10, vcc_lo, v10, 2
	s_cselect_b32 s28, -1, 0
	v_add_co_ci_u32_e32 v11, vcc_lo, 0, v11, vcc_lo
	s_and_not1_b32 s26, s26, exec_lo
	s_and_b32 s0, s0, exec_lo
	s_and_not1_b32 s25, s25, exec_lo
	s_and_b32 s28, s28, exec_lo
	s_and_not1_b32 s27, s27, exec_lo
	s_or_b32 s26, s26, s0
	s_or_b32 s25, s25, s28
                                        ; implicit-def: $sgpr28
	s_branch .LBB1366_126
.LBB1366_129:
	s_or_b32 exec_lo, exec_lo, s12
.LBB1366_130:
	s_delay_alu instid0(SALU_CYCLE_1) | instskip(SKIP_2) | instid1(VALU_DEP_2)
	s_or_b32 exec_lo, exec_lo, s1
	v_add_nc_u32_e32 v9, v14, v23
	v_add_nc_u32_e32 v8, v20, v22
	v_sub_nc_u32_e32 v9, v9, v20
	s_delay_alu instid0(VALU_DEP_2) | instskip(NEXT) | instid1(VALU_DEP_2)
	v_cmp_le_u32_e32 vcc_lo, v8, v14
	v_cmp_le_u32_e64 s0, v9, v15
	s_delay_alu instid0(VALU_DEP_1) | instskip(NEXT) | instid1(SALU_CYCLE_1)
	s_or_b32 s0, vcc_lo, s0
	s_and_saveexec_b32 s1, s0
	s_cbranch_execz .LBB1366_177
; %bb.131:
	v_cmp_ge_u32_e32 vcc_lo, v8, v14
	s_mov_b32 s12, exec_lo
                                        ; implicit-def: $vgpr0_vgpr1
	v_cmpx_lt_u32_e64 v8, v14
	s_cbranch_execz .LBB1366_133
; %bb.132:
	v_lshl_add_u32 v0, v20, 3, v21
	ds_load_b64 v[0:1], v0
.LBB1366_133:
	s_or_b32 exec_lo, exec_lo, s12
	v_cmp_ge_u32_e64 s12, v9, v15
	s_mov_b32 s19, exec_lo
                                        ; implicit-def: $vgpr4_vgpr5
	v_cmpx_lt_u32_e64 v9, v15
	s_cbranch_execz .LBB1366_135
; %bb.134:
	v_lshl_add_u32 v2, v9, 3, v16
	ds_load_b64 v[4:5], v2
.LBB1366_135:
	s_or_b32 exec_lo, exec_lo, s19
	s_or_b32 s0, vcc_lo, s12
	s_mov_b32 s19, -1
	s_xor_b32 s0, s0, -1
	s_delay_alu instid0(SALU_CYCLE_1)
	s_and_saveexec_b32 s22, s0
	s_cbranch_execz .LBB1366_144
; %bb.136:
	s_and_not1_b32 vcc_lo, exec_lo, s7
	s_cbranch_vccnz .LBB1366_142
; %bb.137:
	s_waitcnt lgkmcnt(0)
	v_mul_lo_u32 v10, v5, s8
	v_mul_lo_u32 v11, v4, s9
	v_mad_u64_u32 v[2:3], null, v4, s8, 0
	v_mul_lo_u32 v20, v1, s8
	v_mul_lo_u32 v21, v0, s9
	v_mad_u64_u32 v[6:7], null, v0, s8, 0
	s_mov_b32 s23, 0
	s_mov_b64 s[20:21], s[8:9]
	s_delay_alu instid0(VALU_DEP_4) | instskip(NEXT) | instid1(VALU_DEP_2)
	v_add3_u32 v3, v3, v11, v10
                                        ; implicit-def: $sgpr24
                                        ; implicit-def: $sgpr25
                                        ; implicit-def: $sgpr26
                                        ; implicit-def: $sgpr27
                                        ; implicit-def: $sgpr28
	v_add3_u32 v7, v7, v21, v20
	s_delay_alu instid0(VALU_DEP_2) | instskip(NEXT) | instid1(VALU_DEP_2)
	v_lshlrev_b64 v[2:3], 1, v[2:3]
	v_lshlrev_b64 v[6:7], 1, v[6:7]
	s_delay_alu instid0(VALU_DEP_2) | instskip(NEXT) | instid1(VALU_DEP_3)
	v_add_co_u32 v2, vcc_lo, s10, v2
	v_add_co_ci_u32_e32 v3, vcc_lo, s11, v3, vcc_lo
	s_delay_alu instid0(VALU_DEP_3) | instskip(NEXT) | instid1(VALU_DEP_4)
	v_add_co_u32 v6, vcc_lo, s10, v6
	v_add_co_ci_u32_e32 v7, vcc_lo, s11, v7, vcc_lo
	s_set_inst_prefetch_distance 0x1
	s_branch .LBB1366_139
	.p2align	6
.LBB1366_138:                           ;   in Loop: Header=BB1366_139 Depth=1
	s_or_b32 exec_lo, exec_lo, s0
	s_delay_alu instid0(SALU_CYCLE_1) | instskip(NEXT) | instid1(SALU_CYCLE_1)
	s_and_b32 s0, exec_lo, s25
	s_or_b32 s23, s0, s23
	s_and_not1_b32 s0, s28, exec_lo
	s_and_b32 s28, s27, exec_lo
	s_and_not1_b32 s24, s24, exec_lo
	s_and_b32 s29, s26, exec_lo
	s_or_b32 s28, s0, s28
	s_or_b32 s24, s24, s29
	s_and_not1_b32 exec_lo, exec_lo, s23
	s_cbranch_execz .LBB1366_141
.LBB1366_139:                           ; =>This Inner Loop Header: Depth=1
	global_load_u16 v10, v[2:3], off
	global_load_u16 v11, v[6:7], off
	s_and_not1_b32 s26, s26, exec_lo
	s_and_not1_b32 s27, s27, exec_lo
	s_or_b32 s25, s25, exec_lo
	s_waitcnt vmcnt(0)
	v_cmp_le_u16_e32 vcc_lo, v10, v11
	v_cmp_lt_u16_e64 s0, v10, v11
	s_and_b32 s29, vcc_lo, s28
	s_delay_alu instid0(VALU_DEP_1) | instid1(SALU_CYCLE_1)
	s_or_b32 s29, s0, s29
	s_delay_alu instid0(SALU_CYCLE_1) | instskip(NEXT) | instid1(SALU_CYCLE_1)
	s_and_b32 s0, s29, exec_lo
	s_or_b32 s26, s26, s0
	s_mov_b32 s0, exec_lo
	v_cmpx_eq_u16_e64 v10, v11
	s_cbranch_execz .LBB1366_138
; %bb.140:                              ;   in Loop: Header=BB1366_139 Depth=1
	s_add_u32 s20, s20, -1
	s_addc_u32 s21, s21, -1
	v_add_co_u32 v2, vcc_lo, v2, 2
	s_cmp_eq_u64 s[20:21], 0
	v_add_co_ci_u32_e32 v3, vcc_lo, 0, v3, vcc_lo
	v_add_co_u32 v6, vcc_lo, v6, 2
	s_cselect_b32 s28, -1, 0
	v_add_co_ci_u32_e32 v7, vcc_lo, 0, v7, vcc_lo
	s_and_not1_b32 s27, s27, exec_lo
	s_and_b32 s29, s29, exec_lo
	s_and_not1_b32 s25, s25, exec_lo
	s_and_b32 s28, s28, exec_lo
	s_or_b32 s27, s27, s29
	s_and_not1_b32 s26, s26, exec_lo
	s_or_b32 s25, s25, s28
                                        ; implicit-def: $sgpr28
	s_branch .LBB1366_138
.LBB1366_141:
	s_set_inst_prefetch_distance 0x2
	s_or_b32 exec_lo, exec_lo, s23
	s_xor_b32 s0, s24, -1
	s_branch .LBB1366_143
.LBB1366_142:
	s_mov_b32 s0, -1
.LBB1366_143:
	s_and_not1_b32 s12, s12, exec_lo
	s_and_b32 s0, s0, exec_lo
	s_delay_alu instid0(SALU_CYCLE_1)
	s_or_b32 s12, s12, s0
.LBB1366_144:
	s_or_b32 exec_lo, exec_lo, s22
	v_cndmask_b32_e64 v2, v9, v8, s12
	v_cndmask_b32_e64 v3, v15, v14, s12
	s_mov_b32 s22, exec_lo
	s_delay_alu instid0(VALU_DEP_2) | instskip(NEXT) | instid1(VALU_DEP_2)
	v_add_nc_u32_e32 v6, 1, v2
	v_add_nc_u32_e32 v2, -1, v3
	s_delay_alu instid0(VALU_DEP_2) | instskip(NEXT) | instid1(VALU_DEP_2)
	v_cndmask_b32_e64 v9, v6, v9, s12
	v_min_u32_e32 v2, v6, v2
	v_cndmask_b32_e64 v8, v8, v6, s12
	s_delay_alu instid0(VALU_DEP_2)
	v_lshl_add_u32 v2, v2, 3, v16
	ds_load_b64 v[2:3], v2
	s_waitcnt lgkmcnt(0)
	v_cndmask_b32_e64 v10, v3, v5, s12
	v_cndmask_b32_e64 v11, v2, v4, s12
	;; [unrolled: 1-line block ×4, first 2 shown]
	v_cmpx_lt_u32_e64 v9, v15
	s_cbranch_execz .LBB1366_155
; %bb.145:
	s_mov_b32 s0, 0
	s_mov_b32 s19, exec_lo
	v_cmpx_lt_u32_e64 v8, v14
	s_cbranch_execz .LBB1366_154
; %bb.146:
	s_and_not1_b32 vcc_lo, exec_lo, s7
	s_cbranch_vccnz .LBB1366_152
; %bb.147:
	v_mul_lo_u32 v22, v10, s8
	v_mul_lo_u32 v23, v11, s9
	v_mad_u64_u32 v[2:3], null, v11, s8, 0
	v_mul_lo_u32 v24, v20, s8
	v_mul_lo_u32 v25, v21, s9
	v_mad_u64_u32 v[6:7], null, v21, s8, 0
	s_mov_b32 s23, 0
	s_mov_b64 s[20:21], s[8:9]
	s_delay_alu instid0(VALU_DEP_4) | instskip(NEXT) | instid1(VALU_DEP_2)
	v_add3_u32 v3, v3, v23, v22
                                        ; implicit-def: $sgpr24
                                        ; implicit-def: $sgpr25
                                        ; implicit-def: $sgpr26
                                        ; implicit-def: $sgpr27
                                        ; implicit-def: $sgpr28
	v_add3_u32 v7, v7, v25, v24
	s_delay_alu instid0(VALU_DEP_2) | instskip(NEXT) | instid1(VALU_DEP_2)
	v_lshlrev_b64 v[2:3], 1, v[2:3]
	v_lshlrev_b64 v[6:7], 1, v[6:7]
	s_delay_alu instid0(VALU_DEP_2) | instskip(NEXT) | instid1(VALU_DEP_3)
	v_add_co_u32 v2, vcc_lo, s10, v2
	v_add_co_ci_u32_e32 v3, vcc_lo, s11, v3, vcc_lo
	s_delay_alu instid0(VALU_DEP_3) | instskip(NEXT) | instid1(VALU_DEP_4)
	v_add_co_u32 v6, vcc_lo, s10, v6
	v_add_co_ci_u32_e32 v7, vcc_lo, s11, v7, vcc_lo
	s_set_inst_prefetch_distance 0x1
	s_branch .LBB1366_149
	.p2align	6
.LBB1366_148:                           ;   in Loop: Header=BB1366_149 Depth=1
	s_or_b32 exec_lo, exec_lo, s0
	s_delay_alu instid0(SALU_CYCLE_1) | instskip(NEXT) | instid1(SALU_CYCLE_1)
	s_and_b32 s0, exec_lo, s25
	s_or_b32 s23, s0, s23
	s_and_not1_b32 s0, s28, exec_lo
	s_and_b32 s28, s27, exec_lo
	s_and_not1_b32 s24, s24, exec_lo
	s_and_b32 s29, s26, exec_lo
	s_or_b32 s28, s0, s28
	s_or_b32 s24, s24, s29
	s_and_not1_b32 exec_lo, exec_lo, s23
	s_cbranch_execz .LBB1366_151
.LBB1366_149:                           ; =>This Inner Loop Header: Depth=1
	global_load_u16 v22, v[2:3], off
	global_load_u16 v23, v[6:7], off
	s_and_not1_b32 s26, s26, exec_lo
	s_and_not1_b32 s27, s27, exec_lo
	s_or_b32 s25, s25, exec_lo
	s_waitcnt vmcnt(0)
	v_cmp_le_u16_e32 vcc_lo, v22, v23
	v_cmp_lt_u16_e64 s0, v22, v23
	s_and_b32 s29, vcc_lo, s28
	s_delay_alu instid0(VALU_DEP_1) | instid1(SALU_CYCLE_1)
	s_or_b32 s29, s0, s29
	s_delay_alu instid0(SALU_CYCLE_1) | instskip(NEXT) | instid1(SALU_CYCLE_1)
	s_and_b32 s0, s29, exec_lo
	s_or_b32 s26, s26, s0
	s_mov_b32 s0, exec_lo
	v_cmpx_eq_u16_e64 v22, v23
	s_cbranch_execz .LBB1366_148
; %bb.150:                              ;   in Loop: Header=BB1366_149 Depth=1
	s_add_u32 s20, s20, -1
	s_addc_u32 s21, s21, -1
	v_add_co_u32 v2, vcc_lo, v2, 2
	s_cmp_eq_u64 s[20:21], 0
	v_add_co_ci_u32_e32 v3, vcc_lo, 0, v3, vcc_lo
	v_add_co_u32 v6, vcc_lo, v6, 2
	s_cselect_b32 s28, -1, 0
	v_add_co_ci_u32_e32 v7, vcc_lo, 0, v7, vcc_lo
	s_and_not1_b32 s27, s27, exec_lo
	s_and_b32 s29, s29, exec_lo
	s_and_not1_b32 s25, s25, exec_lo
	s_and_b32 s28, s28, exec_lo
	s_or_b32 s27, s27, s29
	s_and_not1_b32 s26, s26, exec_lo
	s_or_b32 s25, s25, s28
                                        ; implicit-def: $sgpr28
	s_branch .LBB1366_148
.LBB1366_151:
	s_set_inst_prefetch_distance 0x2
	s_or_b32 exec_lo, exec_lo, s23
	s_xor_b32 s0, s24, -1
	s_branch .LBB1366_153
.LBB1366_152:
	s_mov_b32 s0, -1
.LBB1366_153:
	s_delay_alu instid0(SALU_CYCLE_1)
	s_and_b32 s0, s0, exec_lo
.LBB1366_154:
	s_or_b32 exec_lo, exec_lo, s19
	s_delay_alu instid0(SALU_CYCLE_1)
	s_or_not1_b32 s19, s0, exec_lo
.LBB1366_155:
	s_or_b32 exec_lo, exec_lo, s22
	v_cndmask_b32_e64 v2, v9, v8, s19
	v_cndmask_b32_e64 v3, v15, v14, s19
	s_mov_b32 s0, -1
	s_mov_b32 s22, exec_lo
	s_delay_alu instid0(VALU_DEP_2) | instskip(NEXT) | instid1(VALU_DEP_2)
	v_add_nc_u32_e32 v6, 1, v2
	v_add_nc_u32_e32 v2, -1, v3
	s_delay_alu instid0(VALU_DEP_2) | instskip(NEXT) | instid1(VALU_DEP_2)
	v_cndmask_b32_e64 v25, v6, v9, s19
	v_min_u32_e32 v2, v6, v2
	v_cndmask_b32_e64 v22, v8, v6, s19
	s_delay_alu instid0(VALU_DEP_2)
	v_lshl_add_u32 v2, v2, 3, v16
	ds_load_b64 v[2:3], v2
	s_waitcnt lgkmcnt(0)
	v_cndmask_b32_e64 v23, v3, v10, s19
	v_cndmask_b32_e64 v24, v2, v11, s19
	;; [unrolled: 1-line block ×4, first 2 shown]
	v_cmpx_lt_u32_e64 v25, v15
	s_cbranch_execz .LBB1366_166
; %bb.156:
	s_mov_b32 s0, 0
	s_mov_b32 s23, exec_lo
	v_cmpx_lt_u32_e64 v22, v14
	s_cbranch_execz .LBB1366_165
; %bb.157:
	s_and_not1_b32 vcc_lo, exec_lo, s7
	s_cbranch_vccnz .LBB1366_163
; %bb.158:
	v_mul_lo_u32 v8, v23, s8
	v_mul_lo_u32 v9, v24, s9
	v_mad_u64_u32 v[2:3], null, v24, s8, 0
	v_mul_lo_u32 v42, v40, s8
	v_mul_lo_u32 v43, v41, s9
	v_mad_u64_u32 v[6:7], null, v41, s8, 0
	s_mov_b32 s24, 0
	s_mov_b64 s[20:21], s[8:9]
	s_delay_alu instid0(VALU_DEP_4) | instskip(NEXT) | instid1(VALU_DEP_2)
	v_add3_u32 v3, v3, v9, v8
                                        ; implicit-def: $sgpr25
                                        ; implicit-def: $sgpr26
                                        ; implicit-def: $sgpr27
                                        ; implicit-def: $sgpr28
                                        ; implicit-def: $sgpr29
	v_add3_u32 v7, v7, v43, v42
	s_delay_alu instid0(VALU_DEP_2) | instskip(NEXT) | instid1(VALU_DEP_2)
	v_lshlrev_b64 v[2:3], 1, v[2:3]
	v_lshlrev_b64 v[6:7], 1, v[6:7]
	s_delay_alu instid0(VALU_DEP_2) | instskip(NEXT) | instid1(VALU_DEP_3)
	v_add_co_u32 v2, vcc_lo, s10, v2
	v_add_co_ci_u32_e32 v3, vcc_lo, s11, v3, vcc_lo
	s_delay_alu instid0(VALU_DEP_3) | instskip(NEXT) | instid1(VALU_DEP_4)
	v_add_co_u32 v6, vcc_lo, s10, v6
	v_add_co_ci_u32_e32 v7, vcc_lo, s11, v7, vcc_lo
	s_set_inst_prefetch_distance 0x1
	s_branch .LBB1366_160
	.p2align	6
.LBB1366_159:                           ;   in Loop: Header=BB1366_160 Depth=1
	s_or_b32 exec_lo, exec_lo, s0
	s_delay_alu instid0(SALU_CYCLE_1) | instskip(NEXT) | instid1(SALU_CYCLE_1)
	s_and_b32 s0, exec_lo, s26
	s_or_b32 s24, s0, s24
	s_and_not1_b32 s0, s29, exec_lo
	s_and_b32 s29, s28, exec_lo
	s_and_not1_b32 s25, s25, exec_lo
	s_and_b32 s30, s27, exec_lo
	s_or_b32 s29, s0, s29
	s_or_b32 s25, s25, s30
	s_and_not1_b32 exec_lo, exec_lo, s24
	s_cbranch_execz .LBB1366_162
.LBB1366_160:                           ; =>This Inner Loop Header: Depth=1
	global_load_u16 v8, v[2:3], off
	global_load_u16 v9, v[6:7], off
	s_and_not1_b32 s27, s27, exec_lo
	s_and_not1_b32 s28, s28, exec_lo
	s_or_b32 s26, s26, exec_lo
	s_waitcnt vmcnt(0)
	v_cmp_le_u16_e32 vcc_lo, v8, v9
	v_cmp_lt_u16_e64 s0, v8, v9
	s_and_b32 s30, vcc_lo, s29
	s_delay_alu instid0(VALU_DEP_1) | instid1(SALU_CYCLE_1)
	s_or_b32 s30, s0, s30
	s_delay_alu instid0(SALU_CYCLE_1) | instskip(NEXT) | instid1(SALU_CYCLE_1)
	s_and_b32 s0, s30, exec_lo
	s_or_b32 s27, s27, s0
	s_mov_b32 s0, exec_lo
	v_cmpx_eq_u16_e64 v8, v9
	s_cbranch_execz .LBB1366_159
; %bb.161:                              ;   in Loop: Header=BB1366_160 Depth=1
	s_add_u32 s20, s20, -1
	s_addc_u32 s21, s21, -1
	v_add_co_u32 v2, vcc_lo, v2, 2
	s_cmp_eq_u64 s[20:21], 0
	v_add_co_ci_u32_e32 v3, vcc_lo, 0, v3, vcc_lo
	v_add_co_u32 v6, vcc_lo, v6, 2
	s_cselect_b32 s29, -1, 0
	v_add_co_ci_u32_e32 v7, vcc_lo, 0, v7, vcc_lo
	s_and_not1_b32 s28, s28, exec_lo
	s_and_b32 s30, s30, exec_lo
	s_and_not1_b32 s26, s26, exec_lo
	s_and_b32 s29, s29, exec_lo
	s_or_b32 s28, s28, s30
	s_and_not1_b32 s27, s27, exec_lo
	s_or_b32 s26, s26, s29
                                        ; implicit-def: $sgpr29
	s_branch .LBB1366_159
.LBB1366_162:
	s_set_inst_prefetch_distance 0x2
	s_or_b32 exec_lo, exec_lo, s24
	s_xor_b32 s0, s25, -1
	s_branch .LBB1366_164
.LBB1366_163:
	s_mov_b32 s0, -1
.LBB1366_164:
	s_delay_alu instid0(SALU_CYCLE_1)
	s_and_b32 s0, s0, exec_lo
.LBB1366_165:
	s_or_b32 exec_lo, exec_lo, s23
	s_delay_alu instid0(SALU_CYCLE_1)
	s_or_not1_b32 s0, s0, exec_lo
.LBB1366_166:
	s_or_b32 exec_lo, exec_lo, s22
	v_cndmask_b32_e64 v2, v25, v22, s0
	v_cndmask_b32_e64 v3, v15, v14, s0
	;; [unrolled: 1-line block ×5, first 2 shown]
	v_add_nc_u32_e32 v42, 1, v2
	v_add_nc_u32_e32 v2, -1, v3
	v_cndmask_b32_e64 v3, v10, v20, s19
	v_cndmask_b32_e64 v4, v24, v41, s0
	s_mov_b32 s12, exec_lo
	v_cndmask_b32_e64 v10, v42, v25, s0
	v_min_u32_e32 v2, v42, v2
	s_delay_alu instid0(VALU_DEP_1)
	v_lshl_add_u32 v2, v2, 3, v16
	ds_load_b64 v[8:9], v2
	v_cndmask_b32_e64 v2, v11, v21, s19
	s_waitcnt lgkmcnt(0)
	v_cndmask_b32_e64 v7, v40, v9, s0
	v_cndmask_b32_e64 v6, v41, v8, s0
	v_cmpx_lt_u32_e64 v10, v15
	s_cbranch_execz .LBB1366_176
; %bb.167:
	v_cndmask_b32_e64 v10, v22, v42, s0
	v_cndmask_b32_e64 v9, v9, v23, s0
	;; [unrolled: 1-line block ×3, first 2 shown]
	s_mov_b32 s19, exec_lo
	s_delay_alu instid0(VALU_DEP_3)
	v_cmpx_lt_u32_e64 v10, v14
	s_cbranch_execz .LBB1366_175
; %bb.168:
	s_and_not1_b32 vcc_lo, exec_lo, s7
	s_cbranch_vccnz .LBB1366_174
; %bb.169:
	v_mul_lo_u32 v20, v9, s8
	v_mul_lo_u32 v21, v8, s9
	v_mad_u64_u32 v[10:11], null, v8, s8, 0
	v_mul_lo_u32 v22, v7, s8
	v_mul_lo_u32 v23, v6, s9
	v_mad_u64_u32 v[14:15], null, v6, s8, 0
	s_mov_b32 s22, 0
	s_mov_b64 s[20:21], s[8:9]
	s_delay_alu instid0(VALU_DEP_4) | instskip(NEXT) | instid1(VALU_DEP_2)
	v_add3_u32 v11, v11, v21, v20
                                        ; implicit-def: $sgpr23
                                        ; implicit-def: $sgpr24
                                        ; implicit-def: $sgpr25
                                        ; implicit-def: $sgpr26
                                        ; implicit-def: $sgpr27
	v_add3_u32 v15, v15, v23, v22
	s_delay_alu instid0(VALU_DEP_2) | instskip(NEXT) | instid1(VALU_DEP_2)
	v_lshlrev_b64 v[10:11], 1, v[10:11]
	v_lshlrev_b64 v[14:15], 1, v[14:15]
	s_delay_alu instid0(VALU_DEP_2) | instskip(NEXT) | instid1(VALU_DEP_3)
	v_add_co_u32 v10, vcc_lo, s10, v10
	v_add_co_ci_u32_e32 v11, vcc_lo, s11, v11, vcc_lo
	s_delay_alu instid0(VALU_DEP_3) | instskip(NEXT) | instid1(VALU_DEP_4)
	v_add_co_u32 v14, vcc_lo, s10, v14
	v_add_co_ci_u32_e32 v15, vcc_lo, s11, v15, vcc_lo
	s_set_inst_prefetch_distance 0x1
	s_branch .LBB1366_171
	.p2align	6
.LBB1366_170:                           ;   in Loop: Header=BB1366_171 Depth=1
	s_or_b32 exec_lo, exec_lo, s0
	s_delay_alu instid0(SALU_CYCLE_1) | instskip(NEXT) | instid1(SALU_CYCLE_1)
	s_and_b32 s0, exec_lo, s24
	s_or_b32 s22, s0, s22
	s_and_not1_b32 s0, s27, exec_lo
	s_and_b32 s27, s26, exec_lo
	s_and_not1_b32 s23, s23, exec_lo
	s_and_b32 s28, s25, exec_lo
	s_or_b32 s27, s0, s27
	s_or_b32 s23, s23, s28
	s_and_not1_b32 exec_lo, exec_lo, s22
	s_cbranch_execz .LBB1366_173
.LBB1366_171:                           ; =>This Inner Loop Header: Depth=1
	global_load_u16 v20, v[10:11], off
	global_load_u16 v21, v[14:15], off
	s_and_not1_b32 s25, s25, exec_lo
	s_and_not1_b32 s26, s26, exec_lo
	s_or_b32 s24, s24, exec_lo
	s_waitcnt vmcnt(0)
	v_cmp_le_u16_e32 vcc_lo, v20, v21
	v_cmp_lt_u16_e64 s0, v20, v21
	s_and_b32 s28, vcc_lo, s27
	s_delay_alu instid0(VALU_DEP_1) | instid1(SALU_CYCLE_1)
	s_or_b32 s28, s0, s28
	s_delay_alu instid0(SALU_CYCLE_1) | instskip(NEXT) | instid1(SALU_CYCLE_1)
	s_and_b32 s0, s28, exec_lo
	s_or_b32 s25, s25, s0
	s_mov_b32 s0, exec_lo
	v_cmpx_eq_u16_e64 v20, v21
	s_cbranch_execz .LBB1366_170
; %bb.172:                              ;   in Loop: Header=BB1366_171 Depth=1
	s_add_u32 s20, s20, -1
	s_addc_u32 s21, s21, -1
	v_add_co_u32 v10, vcc_lo, v10, 2
	s_cmp_eq_u64 s[20:21], 0
	v_add_co_ci_u32_e32 v11, vcc_lo, 0, v11, vcc_lo
	v_add_co_u32 v14, vcc_lo, v14, 2
	s_cselect_b32 s27, -1, 0
	v_add_co_ci_u32_e32 v15, vcc_lo, 0, v15, vcc_lo
	s_and_not1_b32 s26, s26, exec_lo
	s_and_b32 s28, s28, exec_lo
	s_and_not1_b32 s24, s24, exec_lo
	s_and_b32 s27, s27, exec_lo
	s_or_b32 s26, s26, s28
	s_and_not1_b32 s25, s25, exec_lo
	s_or_b32 s24, s24, s27
                                        ; implicit-def: $sgpr27
	s_branch .LBB1366_170
.LBB1366_173:
	s_set_inst_prefetch_distance 0x2
	s_or_b32 exec_lo, exec_lo, s22
	v_cndmask_b32_e64 v7, v7, v9, s23
	v_cndmask_b32_e64 v6, v6, v8, s23
.LBB1366_174:
	s_delay_alu instid0(VALU_DEP_1)
	v_dual_mov_b32 v9, v7 :: v_dual_mov_b32 v8, v6
.LBB1366_175:
	s_or_b32 exec_lo, exec_lo, s19
	s_delay_alu instid0(VALU_DEP_1)
	v_dual_mov_b32 v6, v8 :: v_dual_mov_b32 v7, v9
.LBB1366_176:
	s_or_b32 exec_lo, exec_lo, s12
.LBB1366_177:
	s_delay_alu instid0(SALU_CYCLE_1) | instskip(SKIP_3) | instid1(VALU_DEP_2)
	s_or_b32 exec_lo, exec_lo, s1
	v_and_b32_e32 v22, 0x60, v18
	v_and_b32_e32 v9, 28, v18
	s_mov_b32 s1, exec_lo
	; wave barrier
	v_or_b32_e32 v8, 16, v22
	s_delay_alu instid0(VALU_DEP_2) | instskip(SKIP_4) | instid1(VALU_DEP_1)
	v_min_u32_e32 v23, v17, v9
	v_lshl_add_u32 v21, v22, 3, v16
	ds_store_b128 v19, v[0:3]
	ds_store_b128 v19, v[4:7] offset:16
	v_min_u32_e32 v14, v17, v8
	; wave barrier
	v_add_nc_u32_e32 v8, 16, v14
	v_sub_nc_u32_e32 v9, v14, v22
	s_delay_alu instid0(VALU_DEP_2) | instskip(NEXT) | instid1(VALU_DEP_2)
	v_min_u32_e32 v15, v17, v8
	v_min_u32_e32 v24, v23, v9
	s_delay_alu instid0(VALU_DEP_2) | instskip(NEXT) | instid1(VALU_DEP_1)
	v_sub_nc_u32_e32 v8, v15, v14
	v_sub_nc_u32_e64 v20, v23, v8 clamp
	s_delay_alu instid0(VALU_DEP_1)
	v_cmpx_lt_u32_e64 v20, v24
	s_cbranch_execz .LBB1366_187
; %bb.178:
	v_lshlrev_b32_e32 v8, 3, v14
	v_lshlrev_b32_e32 v9, 3, v23
	s_lshl_b64 s[20:21], s[8:9], 1
	s_mov_b32 s12, 0
	s_delay_alu instid0(VALU_DEP_1)
	v_add3_u32 v25, v16, v8, v9
	s_branch .LBB1366_181
.LBB1366_179:                           ;   in Loop: Header=BB1366_181 Depth=1
	s_set_inst_prefetch_distance 0x2
	s_or_b32 exec_lo, exec_lo, s19
.LBB1366_180:                           ;   in Loop: Header=BB1366_181 Depth=1
	s_delay_alu instid0(VALU_DEP_1) | instskip(SKIP_1) | instid1(VALU_DEP_2)
	v_add_nc_u32_e32 v8, 1, v40
	v_cndmask_b32_e64 v24, v24, v40, s24
	v_cndmask_b32_e64 v20, v8, v20, s24
	s_delay_alu instid0(VALU_DEP_1) | instskip(SKIP_1) | instid1(SALU_CYCLE_1)
	v_cmp_ge_u32_e32 vcc_lo, v20, v24
	s_or_b32 s12, vcc_lo, s12
	s_and_not1_b32 exec_lo, exec_lo, s12
	s_cbranch_execz .LBB1366_186
.LBB1366_181:                           ; =>This Loop Header: Depth=1
                                        ;     Child Loop BB1366_184 Depth 2
	v_add_nc_u32_e32 v8, v24, v20
	s_and_not1_b32 vcc_lo, exec_lo, s7
	s_mov_b32 s24, 0
	s_delay_alu instid0(VALU_DEP_1)
	v_lshrrev_b32_e32 v40, 1, v8
	s_cbranch_vccnz .LBB1366_180
; %bb.182:                              ;   in Loop: Header=BB1366_181 Depth=1
	s_delay_alu instid0(VALU_DEP_1) | instskip(SKIP_3) | instid1(VALU_DEP_2)
	v_not_b32_e32 v8, v40
	v_lshl_add_u32 v9, v40, 3, v21
	s_mov_b32 s19, 0
	s_mov_b64 s[22:23], s[8:9]
                                        ; implicit-def: $sgpr24
                                        ; implicit-def: $sgpr25
                                        ; implicit-def: $sgpr26
                                        ; implicit-def: $sgpr27
                                        ; implicit-def: $sgpr28
	v_lshl_add_u32 v8, v8, 3, v25
	ds_load_b64 v[10:11], v8
	ds_load_b64 v[41:42], v9
	s_waitcnt lgkmcnt(1)
	v_mul_lo_u32 v43, s20, v11
	v_mul_lo_u32 v44, s21, v10
	v_mad_u64_u32 v[8:9], null, s20, v10, s[10:11]
	s_waitcnt lgkmcnt(0)
	v_mul_lo_u32 v42, s20, v42
	v_mul_lo_u32 v45, s21, v41
	v_mad_u64_u32 v[10:11], null, s20, v41, s[10:11]
	s_delay_alu instid0(VALU_DEP_4) | instskip(NEXT) | instid1(VALU_DEP_2)
	v_add3_u32 v9, v44, v9, v43
	v_add3_u32 v11, v45, v11, v42
	s_set_inst_prefetch_distance 0x1
	s_branch .LBB1366_184
	.p2align	6
.LBB1366_183:                           ;   in Loop: Header=BB1366_184 Depth=2
	s_or_b32 exec_lo, exec_lo, s29
	s_delay_alu instid0(SALU_CYCLE_1) | instskip(NEXT) | instid1(SALU_CYCLE_1)
	s_and_b32 s0, exec_lo, s25
	s_or_b32 s19, s0, s19
	s_and_not1_b32 s0, s28, exec_lo
	s_and_b32 s28, s26, exec_lo
	s_and_not1_b32 s24, s24, exec_lo
	s_and_b32 s29, s27, exec_lo
	s_or_b32 s28, s0, s28
	s_or_b32 s24, s24, s29
	s_and_not1_b32 exec_lo, exec_lo, s19
	s_cbranch_execz .LBB1366_179
.LBB1366_184:                           ;   Parent Loop BB1366_181 Depth=1
                                        ; =>  This Inner Loop Header: Depth=2
	global_load_u16 v41, v[8:9], off
	global_load_u16 v42, v[10:11], off
	s_and_not1_b32 s27, s27, exec_lo
	s_and_not1_b32 s26, s26, exec_lo
	s_or_b32 s25, s25, exec_lo
	s_waitcnt vmcnt(0)
	v_cmp_le_u16_e32 vcc_lo, v41, v42
	v_cmp_lt_u16_e64 s0, v41, v42
	s_and_b32 s29, vcc_lo, s28
	s_delay_alu instid0(VALU_DEP_1) | instid1(SALU_CYCLE_1)
	s_or_b32 s0, s0, s29
	s_delay_alu instid0(SALU_CYCLE_1) | instskip(NEXT) | instid1(SALU_CYCLE_1)
	s_and_b32 s29, s0, exec_lo
	s_or_b32 s27, s27, s29
	s_mov_b32 s29, exec_lo
	v_cmpx_eq_u16_e64 v41, v42
	s_cbranch_execz .LBB1366_183
; %bb.185:                              ;   in Loop: Header=BB1366_184 Depth=2
	s_add_u32 s22, s22, -1
	s_addc_u32 s23, s23, -1
	v_add_co_u32 v8, vcc_lo, v8, 2
	v_add_co_ci_u32_e32 v9, vcc_lo, 0, v9, vcc_lo
	s_cmp_eq_u64 s[22:23], 0
	v_add_co_u32 v10, vcc_lo, v10, 2
	s_cselect_b32 s28, -1, 0
	v_add_co_ci_u32_e32 v11, vcc_lo, 0, v11, vcc_lo
	s_and_not1_b32 s26, s26, exec_lo
	s_and_b32 s0, s0, exec_lo
	s_and_not1_b32 s25, s25, exec_lo
	s_and_b32 s28, s28, exec_lo
	s_and_not1_b32 s27, s27, exec_lo
	s_or_b32 s26, s26, s0
	s_or_b32 s25, s25, s28
                                        ; implicit-def: $sgpr28
	s_branch .LBB1366_183
.LBB1366_186:
	s_or_b32 exec_lo, exec_lo, s12
.LBB1366_187:
	s_delay_alu instid0(SALU_CYCLE_1) | instskip(SKIP_2) | instid1(VALU_DEP_2)
	s_or_b32 exec_lo, exec_lo, s1
	v_add_nc_u32_e32 v9, v14, v23
	v_add_nc_u32_e32 v8, v20, v22
	v_sub_nc_u32_e32 v9, v9, v20
	s_delay_alu instid0(VALU_DEP_2) | instskip(NEXT) | instid1(VALU_DEP_2)
	v_cmp_le_u32_e32 vcc_lo, v8, v14
	v_cmp_le_u32_e64 s0, v9, v15
	s_delay_alu instid0(VALU_DEP_1) | instskip(NEXT) | instid1(SALU_CYCLE_1)
	s_or_b32 s0, vcc_lo, s0
	s_and_saveexec_b32 s1, s0
	s_cbranch_execz .LBB1366_234
; %bb.188:
	v_cmp_ge_u32_e32 vcc_lo, v8, v14
	s_mov_b32 s12, exec_lo
                                        ; implicit-def: $vgpr0_vgpr1
	v_cmpx_lt_u32_e64 v8, v14
	s_cbranch_execz .LBB1366_190
; %bb.189:
	v_lshl_add_u32 v0, v20, 3, v21
	ds_load_b64 v[0:1], v0
.LBB1366_190:
	s_or_b32 exec_lo, exec_lo, s12
	v_cmp_ge_u32_e64 s12, v9, v15
	s_mov_b32 s19, exec_lo
                                        ; implicit-def: $vgpr4_vgpr5
	v_cmpx_lt_u32_e64 v9, v15
	s_cbranch_execz .LBB1366_192
; %bb.191:
	v_lshl_add_u32 v2, v9, 3, v16
	ds_load_b64 v[4:5], v2
.LBB1366_192:
	s_or_b32 exec_lo, exec_lo, s19
	s_or_b32 s0, vcc_lo, s12
	s_mov_b32 s19, -1
	s_xor_b32 s0, s0, -1
	s_delay_alu instid0(SALU_CYCLE_1)
	s_and_saveexec_b32 s22, s0
	s_cbranch_execz .LBB1366_201
; %bb.193:
	s_and_not1_b32 vcc_lo, exec_lo, s7
	s_cbranch_vccnz .LBB1366_199
; %bb.194:
	s_waitcnt lgkmcnt(0)
	v_mul_lo_u32 v10, v5, s8
	v_mul_lo_u32 v11, v4, s9
	v_mad_u64_u32 v[2:3], null, v4, s8, 0
	v_mul_lo_u32 v20, v1, s8
	v_mul_lo_u32 v21, v0, s9
	v_mad_u64_u32 v[6:7], null, v0, s8, 0
	s_mov_b32 s23, 0
	s_mov_b64 s[20:21], s[8:9]
	s_delay_alu instid0(VALU_DEP_4) | instskip(NEXT) | instid1(VALU_DEP_2)
	v_add3_u32 v3, v3, v11, v10
                                        ; implicit-def: $sgpr24
                                        ; implicit-def: $sgpr25
                                        ; implicit-def: $sgpr26
                                        ; implicit-def: $sgpr27
                                        ; implicit-def: $sgpr28
	v_add3_u32 v7, v7, v21, v20
	s_delay_alu instid0(VALU_DEP_2) | instskip(NEXT) | instid1(VALU_DEP_2)
	v_lshlrev_b64 v[2:3], 1, v[2:3]
	v_lshlrev_b64 v[6:7], 1, v[6:7]
	s_delay_alu instid0(VALU_DEP_2) | instskip(NEXT) | instid1(VALU_DEP_3)
	v_add_co_u32 v2, vcc_lo, s10, v2
	v_add_co_ci_u32_e32 v3, vcc_lo, s11, v3, vcc_lo
	s_delay_alu instid0(VALU_DEP_3) | instskip(NEXT) | instid1(VALU_DEP_4)
	v_add_co_u32 v6, vcc_lo, s10, v6
	v_add_co_ci_u32_e32 v7, vcc_lo, s11, v7, vcc_lo
	s_set_inst_prefetch_distance 0x1
	s_branch .LBB1366_196
	.p2align	6
.LBB1366_195:                           ;   in Loop: Header=BB1366_196 Depth=1
	s_or_b32 exec_lo, exec_lo, s0
	s_delay_alu instid0(SALU_CYCLE_1) | instskip(NEXT) | instid1(SALU_CYCLE_1)
	s_and_b32 s0, exec_lo, s25
	s_or_b32 s23, s0, s23
	s_and_not1_b32 s0, s28, exec_lo
	s_and_b32 s28, s27, exec_lo
	s_and_not1_b32 s24, s24, exec_lo
	s_and_b32 s29, s26, exec_lo
	s_or_b32 s28, s0, s28
	s_or_b32 s24, s24, s29
	s_and_not1_b32 exec_lo, exec_lo, s23
	s_cbranch_execz .LBB1366_198
.LBB1366_196:                           ; =>This Inner Loop Header: Depth=1
	global_load_u16 v10, v[2:3], off
	global_load_u16 v11, v[6:7], off
	s_and_not1_b32 s26, s26, exec_lo
	s_and_not1_b32 s27, s27, exec_lo
	s_or_b32 s25, s25, exec_lo
	s_waitcnt vmcnt(0)
	v_cmp_le_u16_e32 vcc_lo, v10, v11
	v_cmp_lt_u16_e64 s0, v10, v11
	s_and_b32 s29, vcc_lo, s28
	s_delay_alu instid0(VALU_DEP_1) | instid1(SALU_CYCLE_1)
	s_or_b32 s29, s0, s29
	s_delay_alu instid0(SALU_CYCLE_1) | instskip(NEXT) | instid1(SALU_CYCLE_1)
	s_and_b32 s0, s29, exec_lo
	s_or_b32 s26, s26, s0
	s_mov_b32 s0, exec_lo
	v_cmpx_eq_u16_e64 v10, v11
	s_cbranch_execz .LBB1366_195
; %bb.197:                              ;   in Loop: Header=BB1366_196 Depth=1
	s_add_u32 s20, s20, -1
	s_addc_u32 s21, s21, -1
	v_add_co_u32 v2, vcc_lo, v2, 2
	s_cmp_eq_u64 s[20:21], 0
	v_add_co_ci_u32_e32 v3, vcc_lo, 0, v3, vcc_lo
	v_add_co_u32 v6, vcc_lo, v6, 2
	s_cselect_b32 s28, -1, 0
	v_add_co_ci_u32_e32 v7, vcc_lo, 0, v7, vcc_lo
	s_and_not1_b32 s27, s27, exec_lo
	s_and_b32 s29, s29, exec_lo
	s_and_not1_b32 s25, s25, exec_lo
	s_and_b32 s28, s28, exec_lo
	s_or_b32 s27, s27, s29
	s_and_not1_b32 s26, s26, exec_lo
	s_or_b32 s25, s25, s28
                                        ; implicit-def: $sgpr28
	s_branch .LBB1366_195
.LBB1366_198:
	s_set_inst_prefetch_distance 0x2
	s_or_b32 exec_lo, exec_lo, s23
	s_xor_b32 s0, s24, -1
	s_branch .LBB1366_200
.LBB1366_199:
	s_mov_b32 s0, -1
.LBB1366_200:
	s_and_not1_b32 s12, s12, exec_lo
	s_and_b32 s0, s0, exec_lo
	s_delay_alu instid0(SALU_CYCLE_1)
	s_or_b32 s12, s12, s0
.LBB1366_201:
	s_or_b32 exec_lo, exec_lo, s22
	v_cndmask_b32_e64 v2, v9, v8, s12
	v_cndmask_b32_e64 v3, v15, v14, s12
	s_mov_b32 s22, exec_lo
	s_delay_alu instid0(VALU_DEP_2) | instskip(NEXT) | instid1(VALU_DEP_2)
	v_add_nc_u32_e32 v6, 1, v2
	v_add_nc_u32_e32 v2, -1, v3
	s_delay_alu instid0(VALU_DEP_2) | instskip(NEXT) | instid1(VALU_DEP_2)
	v_cndmask_b32_e64 v9, v6, v9, s12
	v_min_u32_e32 v2, v6, v2
	v_cndmask_b32_e64 v8, v8, v6, s12
	s_delay_alu instid0(VALU_DEP_2)
	v_lshl_add_u32 v2, v2, 3, v16
	ds_load_b64 v[2:3], v2
	s_waitcnt lgkmcnt(0)
	v_cndmask_b32_e64 v10, v3, v5, s12
	v_cndmask_b32_e64 v11, v2, v4, s12
	;; [unrolled: 1-line block ×4, first 2 shown]
	v_cmpx_lt_u32_e64 v9, v15
	s_cbranch_execz .LBB1366_212
; %bb.202:
	s_mov_b32 s0, 0
	s_mov_b32 s19, exec_lo
	v_cmpx_lt_u32_e64 v8, v14
	s_cbranch_execz .LBB1366_211
; %bb.203:
	s_and_not1_b32 vcc_lo, exec_lo, s7
	s_cbranch_vccnz .LBB1366_209
; %bb.204:
	v_mul_lo_u32 v22, v10, s8
	v_mul_lo_u32 v23, v11, s9
	v_mad_u64_u32 v[2:3], null, v11, s8, 0
	v_mul_lo_u32 v24, v20, s8
	v_mul_lo_u32 v25, v21, s9
	v_mad_u64_u32 v[6:7], null, v21, s8, 0
	s_mov_b32 s23, 0
	s_mov_b64 s[20:21], s[8:9]
	s_delay_alu instid0(VALU_DEP_4) | instskip(NEXT) | instid1(VALU_DEP_2)
	v_add3_u32 v3, v3, v23, v22
                                        ; implicit-def: $sgpr24
                                        ; implicit-def: $sgpr25
                                        ; implicit-def: $sgpr26
                                        ; implicit-def: $sgpr27
                                        ; implicit-def: $sgpr28
	v_add3_u32 v7, v7, v25, v24
	s_delay_alu instid0(VALU_DEP_2) | instskip(NEXT) | instid1(VALU_DEP_2)
	v_lshlrev_b64 v[2:3], 1, v[2:3]
	v_lshlrev_b64 v[6:7], 1, v[6:7]
	s_delay_alu instid0(VALU_DEP_2) | instskip(NEXT) | instid1(VALU_DEP_3)
	v_add_co_u32 v2, vcc_lo, s10, v2
	v_add_co_ci_u32_e32 v3, vcc_lo, s11, v3, vcc_lo
	s_delay_alu instid0(VALU_DEP_3) | instskip(NEXT) | instid1(VALU_DEP_4)
	v_add_co_u32 v6, vcc_lo, s10, v6
	v_add_co_ci_u32_e32 v7, vcc_lo, s11, v7, vcc_lo
	s_set_inst_prefetch_distance 0x1
	s_branch .LBB1366_206
	.p2align	6
.LBB1366_205:                           ;   in Loop: Header=BB1366_206 Depth=1
	s_or_b32 exec_lo, exec_lo, s0
	s_delay_alu instid0(SALU_CYCLE_1) | instskip(NEXT) | instid1(SALU_CYCLE_1)
	s_and_b32 s0, exec_lo, s25
	s_or_b32 s23, s0, s23
	s_and_not1_b32 s0, s28, exec_lo
	s_and_b32 s28, s27, exec_lo
	s_and_not1_b32 s24, s24, exec_lo
	s_and_b32 s29, s26, exec_lo
	s_or_b32 s28, s0, s28
	s_or_b32 s24, s24, s29
	s_and_not1_b32 exec_lo, exec_lo, s23
	s_cbranch_execz .LBB1366_208
.LBB1366_206:                           ; =>This Inner Loop Header: Depth=1
	global_load_u16 v22, v[2:3], off
	global_load_u16 v23, v[6:7], off
	s_and_not1_b32 s26, s26, exec_lo
	s_and_not1_b32 s27, s27, exec_lo
	s_or_b32 s25, s25, exec_lo
	s_waitcnt vmcnt(0)
	v_cmp_le_u16_e32 vcc_lo, v22, v23
	v_cmp_lt_u16_e64 s0, v22, v23
	s_and_b32 s29, vcc_lo, s28
	s_delay_alu instid0(VALU_DEP_1) | instid1(SALU_CYCLE_1)
	s_or_b32 s29, s0, s29
	s_delay_alu instid0(SALU_CYCLE_1) | instskip(NEXT) | instid1(SALU_CYCLE_1)
	s_and_b32 s0, s29, exec_lo
	s_or_b32 s26, s26, s0
	s_mov_b32 s0, exec_lo
	v_cmpx_eq_u16_e64 v22, v23
	s_cbranch_execz .LBB1366_205
; %bb.207:                              ;   in Loop: Header=BB1366_206 Depth=1
	s_add_u32 s20, s20, -1
	s_addc_u32 s21, s21, -1
	v_add_co_u32 v2, vcc_lo, v2, 2
	s_cmp_eq_u64 s[20:21], 0
	v_add_co_ci_u32_e32 v3, vcc_lo, 0, v3, vcc_lo
	v_add_co_u32 v6, vcc_lo, v6, 2
	s_cselect_b32 s28, -1, 0
	v_add_co_ci_u32_e32 v7, vcc_lo, 0, v7, vcc_lo
	s_and_not1_b32 s27, s27, exec_lo
	s_and_b32 s29, s29, exec_lo
	s_and_not1_b32 s25, s25, exec_lo
	s_and_b32 s28, s28, exec_lo
	s_or_b32 s27, s27, s29
	s_and_not1_b32 s26, s26, exec_lo
	s_or_b32 s25, s25, s28
                                        ; implicit-def: $sgpr28
	s_branch .LBB1366_205
.LBB1366_208:
	s_set_inst_prefetch_distance 0x2
	s_or_b32 exec_lo, exec_lo, s23
	s_xor_b32 s0, s24, -1
	s_branch .LBB1366_210
.LBB1366_209:
	s_mov_b32 s0, -1
.LBB1366_210:
	s_delay_alu instid0(SALU_CYCLE_1)
	s_and_b32 s0, s0, exec_lo
.LBB1366_211:
	s_or_b32 exec_lo, exec_lo, s19
	s_delay_alu instid0(SALU_CYCLE_1)
	s_or_not1_b32 s19, s0, exec_lo
.LBB1366_212:
	s_or_b32 exec_lo, exec_lo, s22
	v_cndmask_b32_e64 v2, v9, v8, s19
	v_cndmask_b32_e64 v3, v15, v14, s19
	s_mov_b32 s0, -1
	s_mov_b32 s22, exec_lo
	s_delay_alu instid0(VALU_DEP_2) | instskip(NEXT) | instid1(VALU_DEP_2)
	v_add_nc_u32_e32 v6, 1, v2
	v_add_nc_u32_e32 v2, -1, v3
	s_delay_alu instid0(VALU_DEP_2) | instskip(NEXT) | instid1(VALU_DEP_2)
	v_cndmask_b32_e64 v25, v6, v9, s19
	v_min_u32_e32 v2, v6, v2
	v_cndmask_b32_e64 v22, v8, v6, s19
	s_delay_alu instid0(VALU_DEP_2)
	v_lshl_add_u32 v2, v2, 3, v16
	ds_load_b64 v[2:3], v2
	s_waitcnt lgkmcnt(0)
	v_cndmask_b32_e64 v23, v3, v10, s19
	v_cndmask_b32_e64 v24, v2, v11, s19
	;; [unrolled: 1-line block ×4, first 2 shown]
	v_cmpx_lt_u32_e64 v25, v15
	s_cbranch_execz .LBB1366_223
; %bb.213:
	s_mov_b32 s0, 0
	s_mov_b32 s23, exec_lo
	v_cmpx_lt_u32_e64 v22, v14
	s_cbranch_execz .LBB1366_222
; %bb.214:
	s_and_not1_b32 vcc_lo, exec_lo, s7
	s_cbranch_vccnz .LBB1366_220
; %bb.215:
	v_mul_lo_u32 v8, v23, s8
	v_mul_lo_u32 v9, v24, s9
	v_mad_u64_u32 v[2:3], null, v24, s8, 0
	v_mul_lo_u32 v42, v40, s8
	v_mul_lo_u32 v43, v41, s9
	v_mad_u64_u32 v[6:7], null, v41, s8, 0
	s_mov_b32 s24, 0
	s_mov_b64 s[20:21], s[8:9]
	s_delay_alu instid0(VALU_DEP_4) | instskip(NEXT) | instid1(VALU_DEP_2)
	v_add3_u32 v3, v3, v9, v8
                                        ; implicit-def: $sgpr25
                                        ; implicit-def: $sgpr26
                                        ; implicit-def: $sgpr27
                                        ; implicit-def: $sgpr28
                                        ; implicit-def: $sgpr29
	v_add3_u32 v7, v7, v43, v42
	s_delay_alu instid0(VALU_DEP_2) | instskip(NEXT) | instid1(VALU_DEP_2)
	v_lshlrev_b64 v[2:3], 1, v[2:3]
	v_lshlrev_b64 v[6:7], 1, v[6:7]
	s_delay_alu instid0(VALU_DEP_2) | instskip(NEXT) | instid1(VALU_DEP_3)
	v_add_co_u32 v2, vcc_lo, s10, v2
	v_add_co_ci_u32_e32 v3, vcc_lo, s11, v3, vcc_lo
	s_delay_alu instid0(VALU_DEP_3) | instskip(NEXT) | instid1(VALU_DEP_4)
	v_add_co_u32 v6, vcc_lo, s10, v6
	v_add_co_ci_u32_e32 v7, vcc_lo, s11, v7, vcc_lo
	s_set_inst_prefetch_distance 0x1
	s_branch .LBB1366_217
	.p2align	6
.LBB1366_216:                           ;   in Loop: Header=BB1366_217 Depth=1
	s_or_b32 exec_lo, exec_lo, s0
	s_delay_alu instid0(SALU_CYCLE_1) | instskip(NEXT) | instid1(SALU_CYCLE_1)
	s_and_b32 s0, exec_lo, s26
	s_or_b32 s24, s0, s24
	s_and_not1_b32 s0, s29, exec_lo
	s_and_b32 s29, s28, exec_lo
	s_and_not1_b32 s25, s25, exec_lo
	s_and_b32 s30, s27, exec_lo
	s_or_b32 s29, s0, s29
	s_or_b32 s25, s25, s30
	s_and_not1_b32 exec_lo, exec_lo, s24
	s_cbranch_execz .LBB1366_219
.LBB1366_217:                           ; =>This Inner Loop Header: Depth=1
	global_load_u16 v8, v[2:3], off
	global_load_u16 v9, v[6:7], off
	s_and_not1_b32 s27, s27, exec_lo
	s_and_not1_b32 s28, s28, exec_lo
	s_or_b32 s26, s26, exec_lo
	s_waitcnt vmcnt(0)
	v_cmp_le_u16_e32 vcc_lo, v8, v9
	v_cmp_lt_u16_e64 s0, v8, v9
	s_and_b32 s30, vcc_lo, s29
	s_delay_alu instid0(VALU_DEP_1) | instid1(SALU_CYCLE_1)
	s_or_b32 s30, s0, s30
	s_delay_alu instid0(SALU_CYCLE_1) | instskip(NEXT) | instid1(SALU_CYCLE_1)
	s_and_b32 s0, s30, exec_lo
	s_or_b32 s27, s27, s0
	s_mov_b32 s0, exec_lo
	v_cmpx_eq_u16_e64 v8, v9
	s_cbranch_execz .LBB1366_216
; %bb.218:                              ;   in Loop: Header=BB1366_217 Depth=1
	s_add_u32 s20, s20, -1
	s_addc_u32 s21, s21, -1
	v_add_co_u32 v2, vcc_lo, v2, 2
	s_cmp_eq_u64 s[20:21], 0
	v_add_co_ci_u32_e32 v3, vcc_lo, 0, v3, vcc_lo
	v_add_co_u32 v6, vcc_lo, v6, 2
	s_cselect_b32 s29, -1, 0
	v_add_co_ci_u32_e32 v7, vcc_lo, 0, v7, vcc_lo
	s_and_not1_b32 s28, s28, exec_lo
	s_and_b32 s30, s30, exec_lo
	s_and_not1_b32 s26, s26, exec_lo
	s_and_b32 s29, s29, exec_lo
	s_or_b32 s28, s28, s30
	s_and_not1_b32 s27, s27, exec_lo
	s_or_b32 s26, s26, s29
                                        ; implicit-def: $sgpr29
	s_branch .LBB1366_216
.LBB1366_219:
	s_set_inst_prefetch_distance 0x2
	s_or_b32 exec_lo, exec_lo, s24
	s_xor_b32 s0, s25, -1
	s_branch .LBB1366_221
.LBB1366_220:
	s_mov_b32 s0, -1
.LBB1366_221:
	s_delay_alu instid0(SALU_CYCLE_1)
	s_and_b32 s0, s0, exec_lo
.LBB1366_222:
	s_or_b32 exec_lo, exec_lo, s23
	s_delay_alu instid0(SALU_CYCLE_1)
	s_or_not1_b32 s0, s0, exec_lo
.LBB1366_223:
	s_or_b32 exec_lo, exec_lo, s22
	v_cndmask_b32_e64 v2, v25, v22, s0
	v_cndmask_b32_e64 v3, v15, v14, s0
	;; [unrolled: 1-line block ×5, first 2 shown]
	v_add_nc_u32_e32 v42, 1, v2
	v_add_nc_u32_e32 v2, -1, v3
	v_cndmask_b32_e64 v3, v10, v20, s19
	v_cndmask_b32_e64 v4, v24, v41, s0
	s_mov_b32 s12, exec_lo
	v_cndmask_b32_e64 v10, v42, v25, s0
	v_min_u32_e32 v2, v42, v2
	s_delay_alu instid0(VALU_DEP_1)
	v_lshl_add_u32 v2, v2, 3, v16
	ds_load_b64 v[8:9], v2
	v_cndmask_b32_e64 v2, v11, v21, s19
	s_waitcnt lgkmcnt(0)
	v_cndmask_b32_e64 v7, v40, v9, s0
	v_cndmask_b32_e64 v6, v41, v8, s0
	v_cmpx_lt_u32_e64 v10, v15
	s_cbranch_execz .LBB1366_233
; %bb.224:
	v_cndmask_b32_e64 v10, v22, v42, s0
	v_cndmask_b32_e64 v9, v9, v23, s0
	;; [unrolled: 1-line block ×3, first 2 shown]
	s_mov_b32 s19, exec_lo
	s_delay_alu instid0(VALU_DEP_3)
	v_cmpx_lt_u32_e64 v10, v14
	s_cbranch_execz .LBB1366_232
; %bb.225:
	s_and_not1_b32 vcc_lo, exec_lo, s7
	s_cbranch_vccnz .LBB1366_231
; %bb.226:
	v_mul_lo_u32 v20, v9, s8
	v_mul_lo_u32 v21, v8, s9
	v_mad_u64_u32 v[10:11], null, v8, s8, 0
	v_mul_lo_u32 v22, v7, s8
	v_mul_lo_u32 v23, v6, s9
	v_mad_u64_u32 v[14:15], null, v6, s8, 0
	s_mov_b32 s22, 0
	s_mov_b64 s[20:21], s[8:9]
	s_delay_alu instid0(VALU_DEP_4) | instskip(NEXT) | instid1(VALU_DEP_2)
	v_add3_u32 v11, v11, v21, v20
                                        ; implicit-def: $sgpr23
                                        ; implicit-def: $sgpr24
                                        ; implicit-def: $sgpr25
                                        ; implicit-def: $sgpr26
                                        ; implicit-def: $sgpr27
	v_add3_u32 v15, v15, v23, v22
	s_delay_alu instid0(VALU_DEP_2) | instskip(NEXT) | instid1(VALU_DEP_2)
	v_lshlrev_b64 v[10:11], 1, v[10:11]
	v_lshlrev_b64 v[14:15], 1, v[14:15]
	s_delay_alu instid0(VALU_DEP_2) | instskip(NEXT) | instid1(VALU_DEP_3)
	v_add_co_u32 v10, vcc_lo, s10, v10
	v_add_co_ci_u32_e32 v11, vcc_lo, s11, v11, vcc_lo
	s_delay_alu instid0(VALU_DEP_3) | instskip(NEXT) | instid1(VALU_DEP_4)
	v_add_co_u32 v14, vcc_lo, s10, v14
	v_add_co_ci_u32_e32 v15, vcc_lo, s11, v15, vcc_lo
	s_set_inst_prefetch_distance 0x1
	s_branch .LBB1366_228
	.p2align	6
.LBB1366_227:                           ;   in Loop: Header=BB1366_228 Depth=1
	s_or_b32 exec_lo, exec_lo, s0
	s_delay_alu instid0(SALU_CYCLE_1) | instskip(NEXT) | instid1(SALU_CYCLE_1)
	s_and_b32 s0, exec_lo, s24
	s_or_b32 s22, s0, s22
	s_and_not1_b32 s0, s27, exec_lo
	s_and_b32 s27, s26, exec_lo
	s_and_not1_b32 s23, s23, exec_lo
	s_and_b32 s28, s25, exec_lo
	s_or_b32 s27, s0, s27
	s_or_b32 s23, s23, s28
	s_and_not1_b32 exec_lo, exec_lo, s22
	s_cbranch_execz .LBB1366_230
.LBB1366_228:                           ; =>This Inner Loop Header: Depth=1
	global_load_u16 v20, v[10:11], off
	global_load_u16 v21, v[14:15], off
	s_and_not1_b32 s25, s25, exec_lo
	s_and_not1_b32 s26, s26, exec_lo
	s_or_b32 s24, s24, exec_lo
	s_waitcnt vmcnt(0)
	v_cmp_le_u16_e32 vcc_lo, v20, v21
	v_cmp_lt_u16_e64 s0, v20, v21
	s_and_b32 s28, vcc_lo, s27
	s_delay_alu instid0(VALU_DEP_1) | instid1(SALU_CYCLE_1)
	s_or_b32 s28, s0, s28
	s_delay_alu instid0(SALU_CYCLE_1) | instskip(NEXT) | instid1(SALU_CYCLE_1)
	s_and_b32 s0, s28, exec_lo
	s_or_b32 s25, s25, s0
	s_mov_b32 s0, exec_lo
	v_cmpx_eq_u16_e64 v20, v21
	s_cbranch_execz .LBB1366_227
; %bb.229:                              ;   in Loop: Header=BB1366_228 Depth=1
	s_add_u32 s20, s20, -1
	s_addc_u32 s21, s21, -1
	v_add_co_u32 v10, vcc_lo, v10, 2
	s_cmp_eq_u64 s[20:21], 0
	v_add_co_ci_u32_e32 v11, vcc_lo, 0, v11, vcc_lo
	v_add_co_u32 v14, vcc_lo, v14, 2
	s_cselect_b32 s27, -1, 0
	v_add_co_ci_u32_e32 v15, vcc_lo, 0, v15, vcc_lo
	s_and_not1_b32 s26, s26, exec_lo
	s_and_b32 s28, s28, exec_lo
	s_and_not1_b32 s24, s24, exec_lo
	s_and_b32 s27, s27, exec_lo
	s_or_b32 s26, s26, s28
	s_and_not1_b32 s25, s25, exec_lo
	s_or_b32 s24, s24, s27
                                        ; implicit-def: $sgpr27
	s_branch .LBB1366_227
.LBB1366_230:
	s_set_inst_prefetch_distance 0x2
	s_or_b32 exec_lo, exec_lo, s22
	v_cndmask_b32_e64 v7, v7, v9, s23
	v_cndmask_b32_e64 v6, v6, v8, s23
.LBB1366_231:
	s_delay_alu instid0(VALU_DEP_1)
	v_dual_mov_b32 v9, v7 :: v_dual_mov_b32 v8, v6
.LBB1366_232:
	s_or_b32 exec_lo, exec_lo, s19
	s_delay_alu instid0(VALU_DEP_1)
	v_dual_mov_b32 v6, v8 :: v_dual_mov_b32 v7, v9
.LBB1366_233:
	s_or_b32 exec_lo, exec_lo, s12
.LBB1366_234:
	s_delay_alu instid0(SALU_CYCLE_1) | instskip(SKIP_3) | instid1(VALU_DEP_2)
	s_or_b32 exec_lo, exec_lo, s1
	v_and_b32_e32 v20, 64, v18
	v_and_b32_e32 v9, 60, v18
	s_mov_b32 s1, exec_lo
	; wave barrier
	v_or_b32_e32 v8, 32, v20
	s_delay_alu instid0(VALU_DEP_2) | instskip(SKIP_4) | instid1(VALU_DEP_1)
	v_min_u32_e32 v21, v17, v9
	v_lshl_add_u32 v18, v20, 3, v16
	ds_store_b128 v19, v[0:3]
	ds_store_b128 v19, v[4:7] offset:16
	v_min_u32_e32 v14, v17, v8
	; wave barrier
	v_add_nc_u32_e32 v8, 32, v14
	v_sub_nc_u32_e32 v9, v14, v20
	s_delay_alu instid0(VALU_DEP_2) | instskip(NEXT) | instid1(VALU_DEP_2)
	v_min_u32_e32 v15, v17, v8
	v_min_u32_e32 v22, v21, v9
	s_delay_alu instid0(VALU_DEP_2) | instskip(NEXT) | instid1(VALU_DEP_1)
	v_sub_nc_u32_e32 v8, v15, v14
	v_sub_nc_u32_e64 v17, v21, v8 clamp
	s_delay_alu instid0(VALU_DEP_1)
	v_cmpx_lt_u32_e64 v17, v22
	s_cbranch_execz .LBB1366_244
; %bb.235:
	v_lshlrev_b32_e32 v8, 3, v14
	v_lshlrev_b32_e32 v9, 3, v21
	s_lshl_b64 s[20:21], s[8:9], 1
	s_mov_b32 s12, 0
	s_delay_alu instid0(VALU_DEP_1)
	v_add3_u32 v19, v16, v8, v9
	s_branch .LBB1366_238
.LBB1366_236:                           ;   in Loop: Header=BB1366_238 Depth=1
	s_set_inst_prefetch_distance 0x2
	s_or_b32 exec_lo, exec_lo, s19
.LBB1366_237:                           ;   in Loop: Header=BB1366_238 Depth=1
	s_delay_alu instid0(VALU_DEP_1) | instskip(SKIP_1) | instid1(VALU_DEP_2)
	v_add_nc_u32_e32 v8, 1, v23
	v_cndmask_b32_e64 v22, v22, v23, s24
	v_cndmask_b32_e64 v17, v8, v17, s24
	s_delay_alu instid0(VALU_DEP_1) | instskip(SKIP_1) | instid1(SALU_CYCLE_1)
	v_cmp_ge_u32_e32 vcc_lo, v17, v22
	s_or_b32 s12, vcc_lo, s12
	s_and_not1_b32 exec_lo, exec_lo, s12
	s_cbranch_execz .LBB1366_243
.LBB1366_238:                           ; =>This Loop Header: Depth=1
                                        ;     Child Loop BB1366_241 Depth 2
	v_add_nc_u32_e32 v8, v22, v17
	s_and_not1_b32 vcc_lo, exec_lo, s7
	s_mov_b32 s24, 0
	s_delay_alu instid0(VALU_DEP_1)
	v_lshrrev_b32_e32 v23, 1, v8
	s_cbranch_vccnz .LBB1366_237
; %bb.239:                              ;   in Loop: Header=BB1366_238 Depth=1
	s_delay_alu instid0(VALU_DEP_1) | instskip(SKIP_3) | instid1(VALU_DEP_2)
	v_not_b32_e32 v8, v23
	v_lshl_add_u32 v9, v23, 3, v18
	s_mov_b32 s19, 0
	s_mov_b64 s[22:23], s[8:9]
                                        ; implicit-def: $sgpr24
                                        ; implicit-def: $sgpr25
                                        ; implicit-def: $sgpr26
                                        ; implicit-def: $sgpr27
                                        ; implicit-def: $sgpr28
	v_lshl_add_u32 v8, v8, 3, v19
	ds_load_b64 v[10:11], v8
	ds_load_b64 v[24:25], v9
	s_waitcnt lgkmcnt(1)
	v_mul_lo_u32 v40, s20, v11
	v_mul_lo_u32 v41, s21, v10
	v_mad_u64_u32 v[8:9], null, s20, v10, s[10:11]
	s_waitcnt lgkmcnt(0)
	v_mul_lo_u32 v25, s20, v25
	v_mul_lo_u32 v42, s21, v24
	v_mad_u64_u32 v[10:11], null, s20, v24, s[10:11]
	s_delay_alu instid0(VALU_DEP_4) | instskip(NEXT) | instid1(VALU_DEP_2)
	v_add3_u32 v9, v41, v9, v40
	v_add3_u32 v11, v42, v11, v25
	s_set_inst_prefetch_distance 0x1
	s_branch .LBB1366_241
	.p2align	6
.LBB1366_240:                           ;   in Loop: Header=BB1366_241 Depth=2
	s_or_b32 exec_lo, exec_lo, s29
	s_delay_alu instid0(SALU_CYCLE_1) | instskip(NEXT) | instid1(SALU_CYCLE_1)
	s_and_b32 s0, exec_lo, s25
	s_or_b32 s19, s0, s19
	s_and_not1_b32 s0, s28, exec_lo
	s_and_b32 s28, s26, exec_lo
	s_and_not1_b32 s24, s24, exec_lo
	s_and_b32 s29, s27, exec_lo
	s_or_b32 s28, s0, s28
	s_or_b32 s24, s24, s29
	s_and_not1_b32 exec_lo, exec_lo, s19
	s_cbranch_execz .LBB1366_236
.LBB1366_241:                           ;   Parent Loop BB1366_238 Depth=1
                                        ; =>  This Inner Loop Header: Depth=2
	global_load_u16 v24, v[8:9], off
	global_load_u16 v25, v[10:11], off
	s_and_not1_b32 s27, s27, exec_lo
	s_and_not1_b32 s26, s26, exec_lo
	s_or_b32 s25, s25, exec_lo
	s_waitcnt vmcnt(0)
	v_cmp_le_u16_e32 vcc_lo, v24, v25
	v_cmp_lt_u16_e64 s0, v24, v25
	s_and_b32 s29, vcc_lo, s28
	s_delay_alu instid0(VALU_DEP_1) | instid1(SALU_CYCLE_1)
	s_or_b32 s0, s0, s29
	s_delay_alu instid0(SALU_CYCLE_1) | instskip(NEXT) | instid1(SALU_CYCLE_1)
	s_and_b32 s29, s0, exec_lo
	s_or_b32 s27, s27, s29
	s_mov_b32 s29, exec_lo
	v_cmpx_eq_u16_e64 v24, v25
	s_cbranch_execz .LBB1366_240
; %bb.242:                              ;   in Loop: Header=BB1366_241 Depth=2
	s_add_u32 s22, s22, -1
	s_addc_u32 s23, s23, -1
	v_add_co_u32 v8, vcc_lo, v8, 2
	v_add_co_ci_u32_e32 v9, vcc_lo, 0, v9, vcc_lo
	s_cmp_eq_u64 s[22:23], 0
	v_add_co_u32 v10, vcc_lo, v10, 2
	s_cselect_b32 s28, -1, 0
	v_add_co_ci_u32_e32 v11, vcc_lo, 0, v11, vcc_lo
	s_and_not1_b32 s26, s26, exec_lo
	s_and_b32 s0, s0, exec_lo
	s_and_not1_b32 s25, s25, exec_lo
	s_and_b32 s28, s28, exec_lo
	s_and_not1_b32 s27, s27, exec_lo
	s_or_b32 s26, s26, s0
	s_or_b32 s25, s25, s28
                                        ; implicit-def: $sgpr28
	s_branch .LBB1366_240
.LBB1366_243:
	s_or_b32 exec_lo, exec_lo, s12
.LBB1366_244:
	s_delay_alu instid0(SALU_CYCLE_1) | instskip(SKIP_2) | instid1(VALU_DEP_2)
	s_or_b32 exec_lo, exec_lo, s1
	v_add_nc_u32_e32 v9, v14, v21
	v_add_nc_u32_e32 v8, v17, v20
	v_sub_nc_u32_e32 v9, v9, v17
	s_delay_alu instid0(VALU_DEP_2) | instskip(NEXT) | instid1(VALU_DEP_2)
	v_cmp_le_u32_e32 vcc_lo, v8, v14
	v_cmp_le_u32_e64 s0, v9, v15
	s_delay_alu instid0(VALU_DEP_1) | instskip(NEXT) | instid1(SALU_CYCLE_1)
	s_or_b32 s0, vcc_lo, s0
	s_and_saveexec_b32 s1, s0
	s_cbranch_execz .LBB1366_291
; %bb.245:
	v_cmp_ge_u32_e32 vcc_lo, v8, v14
	s_mov_b32 s12, exec_lo
                                        ; implicit-def: $vgpr0_vgpr1
	v_cmpx_lt_u32_e64 v8, v14
	s_cbranch_execz .LBB1366_247
; %bb.246:
	v_lshl_add_u32 v0, v17, 3, v18
	ds_load_b64 v[0:1], v0
.LBB1366_247:
	s_or_b32 exec_lo, exec_lo, s12
	v_cmp_ge_u32_e64 s12, v9, v15
	s_mov_b32 s19, exec_lo
                                        ; implicit-def: $vgpr4_vgpr5
	v_cmpx_lt_u32_e64 v9, v15
	s_cbranch_execz .LBB1366_249
; %bb.248:
	v_lshl_add_u32 v2, v9, 3, v16
	ds_load_b64 v[4:5], v2
.LBB1366_249:
	s_or_b32 exec_lo, exec_lo, s19
	s_or_b32 s0, vcc_lo, s12
	s_mov_b32 s19, -1
	s_xor_b32 s0, s0, -1
	s_delay_alu instid0(SALU_CYCLE_1)
	s_and_saveexec_b32 s22, s0
	s_cbranch_execz .LBB1366_258
; %bb.250:
	s_and_not1_b32 vcc_lo, exec_lo, s7
	s_cbranch_vccnz .LBB1366_256
; %bb.251:
	s_waitcnt lgkmcnt(0)
	v_mul_lo_u32 v10, v5, s8
	v_mul_lo_u32 v11, v4, s9
	v_mad_u64_u32 v[2:3], null, v4, s8, 0
	v_mul_lo_u32 v17, v1, s8
	v_mul_lo_u32 v18, v0, s9
	v_mad_u64_u32 v[6:7], null, v0, s8, 0
	s_mov_b32 s23, 0
	s_mov_b64 s[20:21], s[8:9]
	s_delay_alu instid0(VALU_DEP_4) | instskip(NEXT) | instid1(VALU_DEP_2)
	v_add3_u32 v3, v3, v11, v10
                                        ; implicit-def: $sgpr24
                                        ; implicit-def: $sgpr25
                                        ; implicit-def: $sgpr26
                                        ; implicit-def: $sgpr27
                                        ; implicit-def: $sgpr28
	v_add3_u32 v7, v7, v18, v17
	s_delay_alu instid0(VALU_DEP_2) | instskip(NEXT) | instid1(VALU_DEP_2)
	v_lshlrev_b64 v[2:3], 1, v[2:3]
	v_lshlrev_b64 v[6:7], 1, v[6:7]
	s_delay_alu instid0(VALU_DEP_2) | instskip(NEXT) | instid1(VALU_DEP_3)
	v_add_co_u32 v2, vcc_lo, s10, v2
	v_add_co_ci_u32_e32 v3, vcc_lo, s11, v3, vcc_lo
	s_delay_alu instid0(VALU_DEP_3) | instskip(NEXT) | instid1(VALU_DEP_4)
	v_add_co_u32 v6, vcc_lo, s10, v6
	v_add_co_ci_u32_e32 v7, vcc_lo, s11, v7, vcc_lo
	s_set_inst_prefetch_distance 0x1
	s_branch .LBB1366_253
	.p2align	6
.LBB1366_252:                           ;   in Loop: Header=BB1366_253 Depth=1
	s_or_b32 exec_lo, exec_lo, s0
	s_delay_alu instid0(SALU_CYCLE_1) | instskip(NEXT) | instid1(SALU_CYCLE_1)
	s_and_b32 s0, exec_lo, s25
	s_or_b32 s23, s0, s23
	s_and_not1_b32 s0, s28, exec_lo
	s_and_b32 s28, s27, exec_lo
	s_and_not1_b32 s24, s24, exec_lo
	s_and_b32 s29, s26, exec_lo
	s_or_b32 s28, s0, s28
	s_or_b32 s24, s24, s29
	s_and_not1_b32 exec_lo, exec_lo, s23
	s_cbranch_execz .LBB1366_255
.LBB1366_253:                           ; =>This Inner Loop Header: Depth=1
	global_load_u16 v10, v[2:3], off
	global_load_u16 v11, v[6:7], off
	s_and_not1_b32 s26, s26, exec_lo
	s_and_not1_b32 s27, s27, exec_lo
	s_or_b32 s25, s25, exec_lo
	s_waitcnt vmcnt(0)
	v_cmp_le_u16_e32 vcc_lo, v10, v11
	v_cmp_lt_u16_e64 s0, v10, v11
	s_and_b32 s29, vcc_lo, s28
	s_delay_alu instid0(VALU_DEP_1) | instid1(SALU_CYCLE_1)
	s_or_b32 s29, s0, s29
	s_delay_alu instid0(SALU_CYCLE_1) | instskip(NEXT) | instid1(SALU_CYCLE_1)
	s_and_b32 s0, s29, exec_lo
	s_or_b32 s26, s26, s0
	s_mov_b32 s0, exec_lo
	v_cmpx_eq_u16_e64 v10, v11
	s_cbranch_execz .LBB1366_252
; %bb.254:                              ;   in Loop: Header=BB1366_253 Depth=1
	s_add_u32 s20, s20, -1
	s_addc_u32 s21, s21, -1
	v_add_co_u32 v2, vcc_lo, v2, 2
	s_cmp_eq_u64 s[20:21], 0
	v_add_co_ci_u32_e32 v3, vcc_lo, 0, v3, vcc_lo
	v_add_co_u32 v6, vcc_lo, v6, 2
	s_cselect_b32 s28, -1, 0
	v_add_co_ci_u32_e32 v7, vcc_lo, 0, v7, vcc_lo
	s_and_not1_b32 s27, s27, exec_lo
	s_and_b32 s29, s29, exec_lo
	s_and_not1_b32 s25, s25, exec_lo
	s_and_b32 s28, s28, exec_lo
	s_or_b32 s27, s27, s29
	s_and_not1_b32 s26, s26, exec_lo
	s_or_b32 s25, s25, s28
                                        ; implicit-def: $sgpr28
	s_branch .LBB1366_252
.LBB1366_255:
	s_set_inst_prefetch_distance 0x2
	s_or_b32 exec_lo, exec_lo, s23
	s_xor_b32 s0, s24, -1
	s_branch .LBB1366_257
.LBB1366_256:
	s_mov_b32 s0, -1
.LBB1366_257:
	s_and_not1_b32 s12, s12, exec_lo
	s_and_b32 s0, s0, exec_lo
	s_delay_alu instid0(SALU_CYCLE_1)
	s_or_b32 s12, s12, s0
.LBB1366_258:
	s_or_b32 exec_lo, exec_lo, s22
	v_cndmask_b32_e64 v2, v9, v8, s12
	v_cndmask_b32_e64 v3, v15, v14, s12
	s_mov_b32 s22, exec_lo
	s_delay_alu instid0(VALU_DEP_2) | instskip(NEXT) | instid1(VALU_DEP_2)
	v_add_nc_u32_e32 v6, 1, v2
	v_add_nc_u32_e32 v2, -1, v3
	s_delay_alu instid0(VALU_DEP_2) | instskip(NEXT) | instid1(VALU_DEP_2)
	v_cndmask_b32_e64 v9, v6, v9, s12
	v_min_u32_e32 v2, v6, v2
	v_cndmask_b32_e64 v8, v8, v6, s12
	s_delay_alu instid0(VALU_DEP_2)
	v_lshl_add_u32 v2, v2, 3, v16
	ds_load_b64 v[2:3], v2
	s_waitcnt lgkmcnt(0)
	v_cndmask_b32_e64 v10, v3, v5, s12
	v_cndmask_b32_e64 v11, v2, v4, s12
	;; [unrolled: 1-line block ×4, first 2 shown]
	v_cmpx_lt_u32_e64 v9, v15
	s_cbranch_execz .LBB1366_269
; %bb.259:
	s_mov_b32 s0, 0
	s_mov_b32 s19, exec_lo
	v_cmpx_lt_u32_e64 v8, v14
	s_cbranch_execz .LBB1366_268
; %bb.260:
	s_and_not1_b32 vcc_lo, exec_lo, s7
	s_cbranch_vccnz .LBB1366_266
; %bb.261:
	v_mul_lo_u32 v19, v10, s8
	v_mul_lo_u32 v20, v11, s9
	v_mad_u64_u32 v[2:3], null, v11, s8, 0
	v_mul_lo_u32 v21, v17, s8
	v_mul_lo_u32 v22, v18, s9
	v_mad_u64_u32 v[6:7], null, v18, s8, 0
	s_mov_b32 s23, 0
	s_mov_b64 s[20:21], s[8:9]
	s_delay_alu instid0(VALU_DEP_4) | instskip(NEXT) | instid1(VALU_DEP_2)
	v_add3_u32 v3, v3, v20, v19
                                        ; implicit-def: $sgpr24
                                        ; implicit-def: $sgpr25
                                        ; implicit-def: $sgpr26
                                        ; implicit-def: $sgpr27
                                        ; implicit-def: $sgpr28
	v_add3_u32 v7, v7, v22, v21
	s_delay_alu instid0(VALU_DEP_2) | instskip(NEXT) | instid1(VALU_DEP_2)
	v_lshlrev_b64 v[2:3], 1, v[2:3]
	v_lshlrev_b64 v[6:7], 1, v[6:7]
	s_delay_alu instid0(VALU_DEP_2) | instskip(NEXT) | instid1(VALU_DEP_3)
	v_add_co_u32 v2, vcc_lo, s10, v2
	v_add_co_ci_u32_e32 v3, vcc_lo, s11, v3, vcc_lo
	s_delay_alu instid0(VALU_DEP_3) | instskip(NEXT) | instid1(VALU_DEP_4)
	v_add_co_u32 v6, vcc_lo, s10, v6
	v_add_co_ci_u32_e32 v7, vcc_lo, s11, v7, vcc_lo
	s_set_inst_prefetch_distance 0x1
	s_branch .LBB1366_263
	.p2align	6
.LBB1366_262:                           ;   in Loop: Header=BB1366_263 Depth=1
	s_or_b32 exec_lo, exec_lo, s0
	s_delay_alu instid0(SALU_CYCLE_1) | instskip(NEXT) | instid1(SALU_CYCLE_1)
	s_and_b32 s0, exec_lo, s25
	s_or_b32 s23, s0, s23
	s_and_not1_b32 s0, s28, exec_lo
	s_and_b32 s28, s27, exec_lo
	s_and_not1_b32 s24, s24, exec_lo
	s_and_b32 s29, s26, exec_lo
	s_or_b32 s28, s0, s28
	s_or_b32 s24, s24, s29
	s_and_not1_b32 exec_lo, exec_lo, s23
	s_cbranch_execz .LBB1366_265
.LBB1366_263:                           ; =>This Inner Loop Header: Depth=1
	global_load_u16 v19, v[2:3], off
	global_load_u16 v20, v[6:7], off
	s_and_not1_b32 s26, s26, exec_lo
	s_and_not1_b32 s27, s27, exec_lo
	s_or_b32 s25, s25, exec_lo
	s_waitcnt vmcnt(0)
	v_cmp_le_u16_e32 vcc_lo, v19, v20
	v_cmp_lt_u16_e64 s0, v19, v20
	s_and_b32 s29, vcc_lo, s28
	s_delay_alu instid0(VALU_DEP_1) | instid1(SALU_CYCLE_1)
	s_or_b32 s29, s0, s29
	s_delay_alu instid0(SALU_CYCLE_1) | instskip(NEXT) | instid1(SALU_CYCLE_1)
	s_and_b32 s0, s29, exec_lo
	s_or_b32 s26, s26, s0
	s_mov_b32 s0, exec_lo
	v_cmpx_eq_u16_e64 v19, v20
	s_cbranch_execz .LBB1366_262
; %bb.264:                              ;   in Loop: Header=BB1366_263 Depth=1
	s_add_u32 s20, s20, -1
	s_addc_u32 s21, s21, -1
	v_add_co_u32 v2, vcc_lo, v2, 2
	s_cmp_eq_u64 s[20:21], 0
	v_add_co_ci_u32_e32 v3, vcc_lo, 0, v3, vcc_lo
	v_add_co_u32 v6, vcc_lo, v6, 2
	s_cselect_b32 s28, -1, 0
	v_add_co_ci_u32_e32 v7, vcc_lo, 0, v7, vcc_lo
	s_and_not1_b32 s27, s27, exec_lo
	s_and_b32 s29, s29, exec_lo
	s_and_not1_b32 s25, s25, exec_lo
	s_and_b32 s28, s28, exec_lo
	s_or_b32 s27, s27, s29
	s_and_not1_b32 s26, s26, exec_lo
	s_or_b32 s25, s25, s28
                                        ; implicit-def: $sgpr28
	s_branch .LBB1366_262
.LBB1366_265:
	s_set_inst_prefetch_distance 0x2
	s_or_b32 exec_lo, exec_lo, s23
	s_xor_b32 s0, s24, -1
	s_branch .LBB1366_267
.LBB1366_266:
	s_mov_b32 s0, -1
.LBB1366_267:
	s_delay_alu instid0(SALU_CYCLE_1)
	s_and_b32 s0, s0, exec_lo
.LBB1366_268:
	s_or_b32 exec_lo, exec_lo, s19
	s_delay_alu instid0(SALU_CYCLE_1)
	s_or_not1_b32 s19, s0, exec_lo
.LBB1366_269:
	s_or_b32 exec_lo, exec_lo, s22
	v_cndmask_b32_e64 v2, v9, v8, s19
	v_cndmask_b32_e64 v3, v15, v14, s19
	s_mov_b32 s0, -1
	s_mov_b32 s22, exec_lo
	s_delay_alu instid0(VALU_DEP_2) | instskip(NEXT) | instid1(VALU_DEP_2)
	v_add_nc_u32_e32 v6, 1, v2
	v_add_nc_u32_e32 v2, -1, v3
	s_delay_alu instid0(VALU_DEP_2) | instskip(NEXT) | instid1(VALU_DEP_2)
	v_cndmask_b32_e64 v22, v6, v9, s19
	v_min_u32_e32 v2, v6, v2
	v_cndmask_b32_e64 v19, v8, v6, s19
	s_delay_alu instid0(VALU_DEP_2)
	v_lshl_add_u32 v2, v2, 3, v16
	ds_load_b64 v[2:3], v2
	s_waitcnt lgkmcnt(0)
	v_cndmask_b32_e64 v20, v3, v10, s19
	v_cndmask_b32_e64 v21, v2, v11, s19
	;; [unrolled: 1-line block ×4, first 2 shown]
	v_cmpx_lt_u32_e64 v22, v15
	s_cbranch_execz .LBB1366_280
; %bb.270:
	s_mov_b32 s0, 0
	s_mov_b32 s23, exec_lo
	v_cmpx_lt_u32_e64 v19, v14
	s_cbranch_execz .LBB1366_279
; %bb.271:
	s_and_not1_b32 vcc_lo, exec_lo, s7
	s_cbranch_vccnz .LBB1366_277
; %bb.272:
	v_mul_lo_u32 v8, v20, s8
	v_mul_lo_u32 v9, v21, s9
	v_mad_u64_u32 v[2:3], null, v21, s8, 0
	v_mul_lo_u32 v25, v23, s8
	v_mul_lo_u32 v40, v24, s9
	v_mad_u64_u32 v[6:7], null, v24, s8, 0
	s_mov_b32 s24, 0
	s_mov_b64 s[20:21], s[8:9]
	s_delay_alu instid0(VALU_DEP_4) | instskip(NEXT) | instid1(VALU_DEP_2)
	v_add3_u32 v3, v3, v9, v8
                                        ; implicit-def: $sgpr25
                                        ; implicit-def: $sgpr26
                                        ; implicit-def: $sgpr27
                                        ; implicit-def: $sgpr28
                                        ; implicit-def: $sgpr29
	v_add3_u32 v7, v7, v40, v25
	s_delay_alu instid0(VALU_DEP_2) | instskip(NEXT) | instid1(VALU_DEP_2)
	v_lshlrev_b64 v[2:3], 1, v[2:3]
	v_lshlrev_b64 v[6:7], 1, v[6:7]
	s_delay_alu instid0(VALU_DEP_2) | instskip(NEXT) | instid1(VALU_DEP_3)
	v_add_co_u32 v2, vcc_lo, s10, v2
	v_add_co_ci_u32_e32 v3, vcc_lo, s11, v3, vcc_lo
	s_delay_alu instid0(VALU_DEP_3) | instskip(NEXT) | instid1(VALU_DEP_4)
	v_add_co_u32 v6, vcc_lo, s10, v6
	v_add_co_ci_u32_e32 v7, vcc_lo, s11, v7, vcc_lo
	s_set_inst_prefetch_distance 0x1
	s_branch .LBB1366_274
	.p2align	6
.LBB1366_273:                           ;   in Loop: Header=BB1366_274 Depth=1
	s_or_b32 exec_lo, exec_lo, s0
	s_delay_alu instid0(SALU_CYCLE_1) | instskip(NEXT) | instid1(SALU_CYCLE_1)
	s_and_b32 s0, exec_lo, s26
	s_or_b32 s24, s0, s24
	s_and_not1_b32 s0, s29, exec_lo
	s_and_b32 s29, s28, exec_lo
	s_and_not1_b32 s25, s25, exec_lo
	s_and_b32 s30, s27, exec_lo
	s_or_b32 s29, s0, s29
	s_or_b32 s25, s25, s30
	s_and_not1_b32 exec_lo, exec_lo, s24
	s_cbranch_execz .LBB1366_276
.LBB1366_274:                           ; =>This Inner Loop Header: Depth=1
	global_load_u16 v8, v[2:3], off
	global_load_u16 v9, v[6:7], off
	s_and_not1_b32 s27, s27, exec_lo
	s_and_not1_b32 s28, s28, exec_lo
	s_or_b32 s26, s26, exec_lo
	s_waitcnt vmcnt(0)
	v_cmp_le_u16_e32 vcc_lo, v8, v9
	v_cmp_lt_u16_e64 s0, v8, v9
	s_and_b32 s30, vcc_lo, s29
	s_delay_alu instid0(VALU_DEP_1) | instid1(SALU_CYCLE_1)
	s_or_b32 s30, s0, s30
	s_delay_alu instid0(SALU_CYCLE_1) | instskip(NEXT) | instid1(SALU_CYCLE_1)
	s_and_b32 s0, s30, exec_lo
	s_or_b32 s27, s27, s0
	s_mov_b32 s0, exec_lo
	v_cmpx_eq_u16_e64 v8, v9
	s_cbranch_execz .LBB1366_273
; %bb.275:                              ;   in Loop: Header=BB1366_274 Depth=1
	s_add_u32 s20, s20, -1
	s_addc_u32 s21, s21, -1
	v_add_co_u32 v2, vcc_lo, v2, 2
	s_cmp_eq_u64 s[20:21], 0
	v_add_co_ci_u32_e32 v3, vcc_lo, 0, v3, vcc_lo
	v_add_co_u32 v6, vcc_lo, v6, 2
	s_cselect_b32 s29, -1, 0
	v_add_co_ci_u32_e32 v7, vcc_lo, 0, v7, vcc_lo
	s_and_not1_b32 s28, s28, exec_lo
	s_and_b32 s30, s30, exec_lo
	s_and_not1_b32 s26, s26, exec_lo
	s_and_b32 s29, s29, exec_lo
	s_or_b32 s28, s28, s30
	s_and_not1_b32 s27, s27, exec_lo
	s_or_b32 s26, s26, s29
                                        ; implicit-def: $sgpr29
	s_branch .LBB1366_273
.LBB1366_276:
	s_set_inst_prefetch_distance 0x2
	s_or_b32 exec_lo, exec_lo, s24
	s_xor_b32 s0, s25, -1
	s_branch .LBB1366_278
.LBB1366_277:
	s_mov_b32 s0, -1
.LBB1366_278:
	s_delay_alu instid0(SALU_CYCLE_1)
	s_and_b32 s0, s0, exec_lo
.LBB1366_279:
	s_or_b32 exec_lo, exec_lo, s23
	s_delay_alu instid0(SALU_CYCLE_1)
	s_or_not1_b32 s0, s0, exec_lo
.LBB1366_280:
	s_or_b32 exec_lo, exec_lo, s22
	v_cndmask_b32_e64 v2, v22, v19, s0
	v_cndmask_b32_e64 v3, v15, v14, s0
	;; [unrolled: 1-line block ×5, first 2 shown]
	v_add_nc_u32_e32 v25, 1, v2
	v_add_nc_u32_e32 v2, -1, v3
	v_cndmask_b32_e64 v3, v10, v17, s19
	v_cndmask_b32_e64 v4, v21, v24, s0
	s_mov_b32 s12, exec_lo
	v_cndmask_b32_e64 v10, v25, v22, s0
	v_min_u32_e32 v2, v25, v2
	s_delay_alu instid0(VALU_DEP_1)
	v_lshl_add_u32 v2, v2, 3, v16
	ds_load_b64 v[8:9], v2
	v_cndmask_b32_e64 v2, v11, v18, s19
	s_waitcnt lgkmcnt(0)
	v_cndmask_b32_e64 v7, v23, v9, s0
	v_cndmask_b32_e64 v6, v24, v8, s0
	v_cmpx_lt_u32_e64 v10, v15
	s_cbranch_execz .LBB1366_290
; %bb.281:
	v_cndmask_b32_e64 v10, v19, v25, s0
	v_cndmask_b32_e64 v9, v9, v20, s0
	;; [unrolled: 1-line block ×3, first 2 shown]
	s_mov_b32 s19, exec_lo
	s_delay_alu instid0(VALU_DEP_3)
	v_cmpx_lt_u32_e64 v10, v14
	s_cbranch_execz .LBB1366_289
; %bb.282:
	s_and_not1_b32 vcc_lo, exec_lo, s7
	s_cbranch_vccnz .LBB1366_288
; %bb.283:
	v_mul_lo_u32 v16, v9, s8
	v_mul_lo_u32 v17, v8, s9
	v_mad_u64_u32 v[10:11], null, v8, s8, 0
	v_mul_lo_u32 v18, v7, s8
	v_mul_lo_u32 v19, v6, s9
	v_mad_u64_u32 v[14:15], null, v6, s8, 0
	s_mov_b32 s22, 0
	s_mov_b64 s[20:21], s[8:9]
	s_delay_alu instid0(VALU_DEP_4) | instskip(NEXT) | instid1(VALU_DEP_2)
	v_add3_u32 v11, v11, v17, v16
                                        ; implicit-def: $sgpr23
                                        ; implicit-def: $sgpr24
                                        ; implicit-def: $sgpr25
                                        ; implicit-def: $sgpr26
                                        ; implicit-def: $sgpr27
	v_add3_u32 v15, v15, v19, v18
	s_delay_alu instid0(VALU_DEP_2) | instskip(NEXT) | instid1(VALU_DEP_2)
	v_lshlrev_b64 v[10:11], 1, v[10:11]
	v_lshlrev_b64 v[14:15], 1, v[14:15]
	s_delay_alu instid0(VALU_DEP_2) | instskip(NEXT) | instid1(VALU_DEP_3)
	v_add_co_u32 v10, vcc_lo, s10, v10
	v_add_co_ci_u32_e32 v11, vcc_lo, s11, v11, vcc_lo
	s_delay_alu instid0(VALU_DEP_3) | instskip(NEXT) | instid1(VALU_DEP_4)
	v_add_co_u32 v14, vcc_lo, s10, v14
	v_add_co_ci_u32_e32 v15, vcc_lo, s11, v15, vcc_lo
	s_set_inst_prefetch_distance 0x1
	s_branch .LBB1366_285
	.p2align	6
.LBB1366_284:                           ;   in Loop: Header=BB1366_285 Depth=1
	s_or_b32 exec_lo, exec_lo, s0
	s_delay_alu instid0(SALU_CYCLE_1) | instskip(NEXT) | instid1(SALU_CYCLE_1)
	s_and_b32 s0, exec_lo, s24
	s_or_b32 s22, s0, s22
	s_and_not1_b32 s0, s27, exec_lo
	s_and_b32 s27, s26, exec_lo
	s_and_not1_b32 s23, s23, exec_lo
	s_and_b32 s28, s25, exec_lo
	s_or_b32 s27, s0, s27
	s_or_b32 s23, s23, s28
	s_and_not1_b32 exec_lo, exec_lo, s22
	s_cbranch_execz .LBB1366_287
.LBB1366_285:                           ; =>This Inner Loop Header: Depth=1
	global_load_u16 v16, v[10:11], off
	global_load_u16 v17, v[14:15], off
	s_and_not1_b32 s25, s25, exec_lo
	s_and_not1_b32 s26, s26, exec_lo
	s_or_b32 s24, s24, exec_lo
	s_waitcnt vmcnt(0)
	v_cmp_le_u16_e32 vcc_lo, v16, v17
	v_cmp_lt_u16_e64 s0, v16, v17
	s_and_b32 s28, vcc_lo, s27
	s_delay_alu instid0(VALU_DEP_1) | instid1(SALU_CYCLE_1)
	s_or_b32 s28, s0, s28
	s_delay_alu instid0(SALU_CYCLE_1) | instskip(NEXT) | instid1(SALU_CYCLE_1)
	s_and_b32 s0, s28, exec_lo
	s_or_b32 s25, s25, s0
	s_mov_b32 s0, exec_lo
	v_cmpx_eq_u16_e64 v16, v17
	s_cbranch_execz .LBB1366_284
; %bb.286:                              ;   in Loop: Header=BB1366_285 Depth=1
	s_add_u32 s20, s20, -1
	s_addc_u32 s21, s21, -1
	v_add_co_u32 v10, vcc_lo, v10, 2
	s_cmp_eq_u64 s[20:21], 0
	v_add_co_ci_u32_e32 v11, vcc_lo, 0, v11, vcc_lo
	v_add_co_u32 v14, vcc_lo, v14, 2
	s_cselect_b32 s27, -1, 0
	v_add_co_ci_u32_e32 v15, vcc_lo, 0, v15, vcc_lo
	s_and_not1_b32 s26, s26, exec_lo
	s_and_b32 s28, s28, exec_lo
	s_and_not1_b32 s24, s24, exec_lo
	s_and_b32 s27, s27, exec_lo
	s_or_b32 s26, s26, s28
	s_and_not1_b32 s25, s25, exec_lo
	s_or_b32 s24, s24, s27
                                        ; implicit-def: $sgpr27
	s_branch .LBB1366_284
.LBB1366_287:
	s_set_inst_prefetch_distance 0x2
	s_or_b32 exec_lo, exec_lo, s22
	v_cndmask_b32_e64 v7, v7, v9, s23
	v_cndmask_b32_e64 v6, v6, v8, s23
.LBB1366_288:
	s_delay_alu instid0(VALU_DEP_1)
	v_dual_mov_b32 v9, v7 :: v_dual_mov_b32 v8, v6
.LBB1366_289:
	s_or_b32 exec_lo, exec_lo, s19
	s_delay_alu instid0(VALU_DEP_1)
	v_dual_mov_b32 v6, v8 :: v_dual_mov_b32 v7, v9
.LBB1366_290:
	s_or_b32 exec_lo, exec_lo, s12
.LBB1366_291:
	s_delay_alu instid0(SALU_CYCLE_1) | instskip(SKIP_4) | instid1(VALU_DEP_3)
	s_or_b32 exec_lo, exec_lo, s1
	v_and_b32_e32 v19, 0xf80, v27
	v_and_b32_e32 v20, 0x7c, v27
	v_lshlrev_b32_e32 v16, 3, v27
	s_mov_b32 s1, exec_lo
	v_or_b32_e32 v8, 64, v19
	v_lshlrev_b32_e32 v18, 3, v19
	; wave barrier
	s_waitcnt lgkmcnt(0)
	s_barrier
	s_delay_alu instid0(VALU_DEP_2)
	v_min_u32_e32 v9, 0x3c0, v8
	v_min_u32_e32 v14, 0x400, v8
	buffer_gl0_inv
	ds_store_b128 v16, v[0:3]
	ds_store_b128 v16, v[4:7] offset:16
	s_waitcnt lgkmcnt(0)
	v_add_nc_u32_e32 v15, 64, v9
	v_sub_nc_u32_e32 v8, v14, v19
	s_barrier
	buffer_gl0_inv
	v_sub_nc_u32_e32 v9, v15, v14
	v_min_u32_e32 v21, v20, v8
	s_delay_alu instid0(VALU_DEP_2) | instskip(NEXT) | instid1(VALU_DEP_1)
	v_sub_nc_u32_e64 v17, v20, v9 clamp
	v_cmpx_lt_u32_e64 v17, v21
	s_cbranch_execz .LBB1366_301
; %bb.292:
	v_lshlrev_b32_e32 v8, 3, v20
	s_lshl_b64 s[20:21], s[8:9], 1
	s_mov_b32 s12, 0
	s_delay_alu instid0(VALU_DEP_1)
	v_lshl_add_u32 v22, v14, 3, v8
	s_branch .LBB1366_295
.LBB1366_293:                           ;   in Loop: Header=BB1366_295 Depth=1
	s_set_inst_prefetch_distance 0x2
	s_or_b32 exec_lo, exec_lo, s19
.LBB1366_294:                           ;   in Loop: Header=BB1366_295 Depth=1
	s_delay_alu instid0(VALU_DEP_1) | instskip(SKIP_1) | instid1(VALU_DEP_2)
	v_add_nc_u32_e32 v8, 1, v23
	v_cndmask_b32_e64 v21, v21, v23, s24
	v_cndmask_b32_e64 v17, v8, v17, s24
	s_delay_alu instid0(VALU_DEP_1) | instskip(SKIP_1) | instid1(SALU_CYCLE_1)
	v_cmp_ge_u32_e32 vcc_lo, v17, v21
	s_or_b32 s12, vcc_lo, s12
	s_and_not1_b32 exec_lo, exec_lo, s12
	s_cbranch_execz .LBB1366_300
.LBB1366_295:                           ; =>This Loop Header: Depth=1
                                        ;     Child Loop BB1366_298 Depth 2
	v_add_nc_u32_e32 v8, v21, v17
	s_and_not1_b32 vcc_lo, exec_lo, s7
	s_mov_b32 s24, 0
	s_delay_alu instid0(VALU_DEP_1)
	v_lshrrev_b32_e32 v23, 1, v8
	s_cbranch_vccnz .LBB1366_294
; %bb.296:                              ;   in Loop: Header=BB1366_295 Depth=1
	s_delay_alu instid0(VALU_DEP_1) | instskip(SKIP_3) | instid1(VALU_DEP_2)
	v_not_b32_e32 v8, v23
	v_lshl_add_u32 v9, v23, 3, v18
	s_mov_b32 s19, 0
	s_mov_b64 s[22:23], s[8:9]
                                        ; implicit-def: $sgpr24
                                        ; implicit-def: $sgpr25
                                        ; implicit-def: $sgpr26
                                        ; implicit-def: $sgpr27
                                        ; implicit-def: $sgpr28
	v_lshl_add_u32 v8, v8, 3, v22
	ds_load_b64 v[10:11], v8
	ds_load_b64 v[24:25], v9
	s_waitcnt lgkmcnt(1)
	v_mul_lo_u32 v40, s20, v11
	v_mul_lo_u32 v41, s21, v10
	v_mad_u64_u32 v[8:9], null, s20, v10, s[10:11]
	s_waitcnt lgkmcnt(0)
	v_mul_lo_u32 v25, s20, v25
	v_mul_lo_u32 v42, s21, v24
	v_mad_u64_u32 v[10:11], null, s20, v24, s[10:11]
	s_delay_alu instid0(VALU_DEP_4) | instskip(NEXT) | instid1(VALU_DEP_2)
	v_add3_u32 v9, v41, v9, v40
	v_add3_u32 v11, v42, v11, v25
	s_set_inst_prefetch_distance 0x1
	s_branch .LBB1366_298
	.p2align	6
.LBB1366_297:                           ;   in Loop: Header=BB1366_298 Depth=2
	s_or_b32 exec_lo, exec_lo, s0
	s_delay_alu instid0(SALU_CYCLE_1) | instskip(NEXT) | instid1(SALU_CYCLE_1)
	s_and_b32 s0, exec_lo, s25
	s_or_b32 s19, s0, s19
	s_and_not1_b32 s0, s28, exec_lo
	s_and_b32 s28, s26, exec_lo
	s_and_not1_b32 s24, s24, exec_lo
	s_and_b32 s29, s27, exec_lo
	s_or_b32 s28, s0, s28
	s_or_b32 s24, s24, s29
	s_and_not1_b32 exec_lo, exec_lo, s19
	s_cbranch_execz .LBB1366_293
.LBB1366_298:                           ;   Parent Loop BB1366_295 Depth=1
                                        ; =>  This Inner Loop Header: Depth=2
	global_load_u16 v24, v[8:9], off
	global_load_u16 v25, v[10:11], off
	s_and_not1_b32 s27, s27, exec_lo
	s_and_not1_b32 s26, s26, exec_lo
	s_or_b32 s25, s25, exec_lo
	s_waitcnt vmcnt(0)
	v_cmp_le_u16_e32 vcc_lo, v24, v25
	v_cmp_lt_u16_e64 s0, v24, v25
	s_and_b32 s29, vcc_lo, s28
	s_delay_alu instid0(VALU_DEP_1) | instid1(SALU_CYCLE_1)
	s_or_b32 s29, s0, s29
	s_delay_alu instid0(SALU_CYCLE_1) | instskip(NEXT) | instid1(SALU_CYCLE_1)
	s_and_b32 s0, s29, exec_lo
	s_or_b32 s27, s27, s0
	s_mov_b32 s0, exec_lo
	v_cmpx_eq_u16_e64 v24, v25
	s_cbranch_execz .LBB1366_297
; %bb.299:                              ;   in Loop: Header=BB1366_298 Depth=2
	s_add_u32 s22, s22, -1
	s_addc_u32 s23, s23, -1
	v_add_co_u32 v8, vcc_lo, v8, 2
	v_add_co_ci_u32_e32 v9, vcc_lo, 0, v9, vcc_lo
	s_cmp_eq_u64 s[22:23], 0
	v_add_co_u32 v10, vcc_lo, v10, 2
	s_cselect_b32 s28, -1, 0
	v_add_co_ci_u32_e32 v11, vcc_lo, 0, v11, vcc_lo
	s_and_not1_b32 s26, s26, exec_lo
	s_and_b32 s29, s29, exec_lo
	s_and_not1_b32 s25, s25, exec_lo
	s_and_b32 s28, s28, exec_lo
	s_and_not1_b32 s27, s27, exec_lo
	s_or_b32 s26, s26, s29
	s_or_b32 s25, s25, s28
                                        ; implicit-def: $sgpr28
	s_branch .LBB1366_297
.LBB1366_300:
	s_or_b32 exec_lo, exec_lo, s12
.LBB1366_301:
	s_delay_alu instid0(SALU_CYCLE_1) | instskip(SKIP_2) | instid1(VALU_DEP_2)
	s_or_b32 exec_lo, exec_lo, s1
	v_sub_nc_u32_e32 v9, v20, v17
	v_add_nc_u32_e32 v8, v17, v19
	v_add_nc_u32_e32 v9, v9, v14
	s_delay_alu instid0(VALU_DEP_2) | instskip(NEXT) | instid1(VALU_DEP_2)
	v_cmp_le_u32_e32 vcc_lo, v8, v14
	v_cmp_le_u32_e64 s0, v9, v15
	s_delay_alu instid0(VALU_DEP_1) | instskip(NEXT) | instid1(SALU_CYCLE_1)
	s_or_b32 s0, vcc_lo, s0
	s_and_saveexec_b32 s1, s0
	s_cbranch_execz .LBB1366_348
; %bb.302:
	v_cmp_ge_u32_e32 vcc_lo, v8, v14
	s_mov_b32 s12, exec_lo
                                        ; implicit-def: $vgpr0_vgpr1
	v_cmpx_lt_u32_e64 v8, v14
	s_cbranch_execz .LBB1366_304
; %bb.303:
	v_lshl_add_u32 v0, v17, 3, v18
	ds_load_b64 v[0:1], v0
.LBB1366_304:
	s_or_b32 exec_lo, exec_lo, s12
	v_cmp_ge_u32_e64 s12, v9, v15
	s_mov_b32 s19, exec_lo
                                        ; implicit-def: $vgpr4_vgpr5
	v_cmpx_lt_u32_e64 v9, v15
	s_cbranch_execz .LBB1366_306
; %bb.305:
	v_lshlrev_b32_e32 v2, 3, v9
	ds_load_b64 v[4:5], v2
.LBB1366_306:
	s_or_b32 exec_lo, exec_lo, s19
	s_or_b32 s0, vcc_lo, s12
	s_mov_b32 s19, -1
	s_xor_b32 s0, s0, -1
	s_delay_alu instid0(SALU_CYCLE_1)
	s_and_saveexec_b32 s22, s0
	s_cbranch_execz .LBB1366_315
; %bb.307:
	s_and_not1_b32 vcc_lo, exec_lo, s7
	s_cbranch_vccnz .LBB1366_313
; %bb.308:
	s_waitcnt lgkmcnt(0)
	v_mul_lo_u32 v10, v5, s8
	v_mul_lo_u32 v11, v4, s9
	v_mad_u64_u32 v[2:3], null, v4, s8, 0
	v_mul_lo_u32 v17, v1, s8
	v_mul_lo_u32 v18, v0, s9
	v_mad_u64_u32 v[6:7], null, v0, s8, 0
	s_mov_b32 s23, 0
	s_mov_b64 s[20:21], s[8:9]
	s_delay_alu instid0(VALU_DEP_4) | instskip(NEXT) | instid1(VALU_DEP_2)
	v_add3_u32 v3, v3, v11, v10
                                        ; implicit-def: $sgpr24
                                        ; implicit-def: $sgpr25
                                        ; implicit-def: $sgpr26
                                        ; implicit-def: $sgpr27
                                        ; implicit-def: $sgpr28
	v_add3_u32 v7, v7, v18, v17
	s_delay_alu instid0(VALU_DEP_2) | instskip(NEXT) | instid1(VALU_DEP_2)
	v_lshlrev_b64 v[2:3], 1, v[2:3]
	v_lshlrev_b64 v[6:7], 1, v[6:7]
	s_delay_alu instid0(VALU_DEP_2) | instskip(NEXT) | instid1(VALU_DEP_3)
	v_add_co_u32 v2, vcc_lo, s10, v2
	v_add_co_ci_u32_e32 v3, vcc_lo, s11, v3, vcc_lo
	s_delay_alu instid0(VALU_DEP_3) | instskip(NEXT) | instid1(VALU_DEP_4)
	v_add_co_u32 v6, vcc_lo, s10, v6
	v_add_co_ci_u32_e32 v7, vcc_lo, s11, v7, vcc_lo
	s_set_inst_prefetch_distance 0x1
	s_branch .LBB1366_310
	.p2align	6
.LBB1366_309:                           ;   in Loop: Header=BB1366_310 Depth=1
	s_or_b32 exec_lo, exec_lo, s0
	s_delay_alu instid0(SALU_CYCLE_1) | instskip(NEXT) | instid1(SALU_CYCLE_1)
	s_and_b32 s0, exec_lo, s25
	s_or_b32 s23, s0, s23
	s_and_not1_b32 s0, s28, exec_lo
	s_and_b32 s28, s27, exec_lo
	s_and_not1_b32 s24, s24, exec_lo
	s_and_b32 s29, s26, exec_lo
	s_or_b32 s28, s0, s28
	s_or_b32 s24, s24, s29
	s_and_not1_b32 exec_lo, exec_lo, s23
	s_cbranch_execz .LBB1366_312
.LBB1366_310:                           ; =>This Inner Loop Header: Depth=1
	global_load_u16 v10, v[2:3], off
	global_load_u16 v11, v[6:7], off
	s_and_not1_b32 s26, s26, exec_lo
	s_and_not1_b32 s27, s27, exec_lo
	s_or_b32 s25, s25, exec_lo
	s_waitcnt vmcnt(0)
	v_cmp_le_u16_e32 vcc_lo, v10, v11
	v_cmp_lt_u16_e64 s0, v10, v11
	s_and_b32 s29, vcc_lo, s28
	s_delay_alu instid0(VALU_DEP_1) | instid1(SALU_CYCLE_1)
	s_or_b32 s29, s0, s29
	s_delay_alu instid0(SALU_CYCLE_1) | instskip(NEXT) | instid1(SALU_CYCLE_1)
	s_and_b32 s0, s29, exec_lo
	s_or_b32 s26, s26, s0
	s_mov_b32 s0, exec_lo
	v_cmpx_eq_u16_e64 v10, v11
	s_cbranch_execz .LBB1366_309
; %bb.311:                              ;   in Loop: Header=BB1366_310 Depth=1
	s_add_u32 s20, s20, -1
	s_addc_u32 s21, s21, -1
	v_add_co_u32 v2, vcc_lo, v2, 2
	s_cmp_eq_u64 s[20:21], 0
	v_add_co_ci_u32_e32 v3, vcc_lo, 0, v3, vcc_lo
	s_cselect_b32 s28, -1, 0
	s_and_not1_b32 s27, s27, exec_lo
	s_and_b32 s29, s29, exec_lo
	v_add_co_u32 v6, vcc_lo, v6, 2
	s_and_not1_b32 s25, s25, exec_lo
	s_and_b32 s28, s28, exec_lo
	v_add_co_ci_u32_e32 v7, vcc_lo, 0, v7, vcc_lo
	s_or_b32 s27, s27, s29
	s_and_not1_b32 s26, s26, exec_lo
	s_or_b32 s25, s25, s28
                                        ; implicit-def: $sgpr28
	s_branch .LBB1366_309
.LBB1366_312:
	s_set_inst_prefetch_distance 0x2
	s_or_b32 exec_lo, exec_lo, s23
	s_xor_b32 s0, s24, -1
	s_branch .LBB1366_314
.LBB1366_313:
	s_mov_b32 s0, -1
.LBB1366_314:
	s_and_not1_b32 s12, s12, exec_lo
	s_and_b32 s0, s0, exec_lo
	s_delay_alu instid0(SALU_CYCLE_1)
	s_or_b32 s12, s12, s0
.LBB1366_315:
	s_or_b32 exec_lo, exec_lo, s22
	v_cndmask_b32_e64 v2, v9, v8, s12
	v_cndmask_b32_e64 v3, v15, v14, s12
	s_mov_b32 s22, exec_lo
	s_delay_alu instid0(VALU_DEP_2) | instskip(NEXT) | instid1(VALU_DEP_2)
	v_add_nc_u32_e32 v6, 1, v2
	v_add_nc_u32_e32 v2, -1, v3
	s_delay_alu instid0(VALU_DEP_2) | instskip(NEXT) | instid1(VALU_DEP_2)
	v_cndmask_b32_e64 v9, v6, v9, s12
	v_min_u32_e32 v2, v6, v2
	v_cndmask_b32_e64 v8, v8, v6, s12
	s_delay_alu instid0(VALU_DEP_2)
	v_lshlrev_b32_e32 v2, 3, v2
	ds_load_b64 v[2:3], v2
	s_waitcnt lgkmcnt(0)
	v_cndmask_b32_e64 v10, v3, v5, s12
	v_cndmask_b32_e64 v11, v2, v4, s12
	;; [unrolled: 1-line block ×4, first 2 shown]
	v_cmpx_lt_u32_e64 v9, v15
	s_cbranch_execz .LBB1366_326
; %bb.316:
	s_mov_b32 s0, 0
	s_mov_b32 s19, exec_lo
	v_cmpx_lt_u32_e64 v8, v14
	s_cbranch_execz .LBB1366_325
; %bb.317:
	s_and_not1_b32 vcc_lo, exec_lo, s7
	s_cbranch_vccnz .LBB1366_323
; %bb.318:
	v_mul_lo_u32 v19, v10, s8
	v_mul_lo_u32 v20, v11, s9
	v_mad_u64_u32 v[2:3], null, v11, s8, 0
	v_mul_lo_u32 v21, v17, s8
	v_mul_lo_u32 v22, v18, s9
	v_mad_u64_u32 v[6:7], null, v18, s8, 0
	s_mov_b32 s23, 0
	s_mov_b64 s[20:21], s[8:9]
	s_delay_alu instid0(VALU_DEP_4) | instskip(NEXT) | instid1(VALU_DEP_2)
	v_add3_u32 v3, v3, v20, v19
                                        ; implicit-def: $sgpr24
                                        ; implicit-def: $sgpr25
                                        ; implicit-def: $sgpr26
                                        ; implicit-def: $sgpr27
                                        ; implicit-def: $sgpr28
	v_add3_u32 v7, v7, v22, v21
	s_delay_alu instid0(VALU_DEP_2) | instskip(NEXT) | instid1(VALU_DEP_2)
	v_lshlrev_b64 v[2:3], 1, v[2:3]
	v_lshlrev_b64 v[6:7], 1, v[6:7]
	s_delay_alu instid0(VALU_DEP_2) | instskip(NEXT) | instid1(VALU_DEP_3)
	v_add_co_u32 v2, vcc_lo, s10, v2
	v_add_co_ci_u32_e32 v3, vcc_lo, s11, v3, vcc_lo
	s_delay_alu instid0(VALU_DEP_3) | instskip(NEXT) | instid1(VALU_DEP_4)
	v_add_co_u32 v6, vcc_lo, s10, v6
	v_add_co_ci_u32_e32 v7, vcc_lo, s11, v7, vcc_lo
	s_set_inst_prefetch_distance 0x1
	s_branch .LBB1366_320
	.p2align	6
.LBB1366_319:                           ;   in Loop: Header=BB1366_320 Depth=1
	s_or_b32 exec_lo, exec_lo, s0
	s_delay_alu instid0(SALU_CYCLE_1) | instskip(NEXT) | instid1(SALU_CYCLE_1)
	s_and_b32 s0, exec_lo, s25
	s_or_b32 s23, s0, s23
	s_and_not1_b32 s0, s28, exec_lo
	s_and_b32 s28, s27, exec_lo
	s_and_not1_b32 s24, s24, exec_lo
	s_and_b32 s29, s26, exec_lo
	s_or_b32 s28, s0, s28
	s_or_b32 s24, s24, s29
	s_and_not1_b32 exec_lo, exec_lo, s23
	s_cbranch_execz .LBB1366_322
.LBB1366_320:                           ; =>This Inner Loop Header: Depth=1
	global_load_u16 v19, v[2:3], off
	global_load_u16 v20, v[6:7], off
	s_and_not1_b32 s26, s26, exec_lo
	s_and_not1_b32 s27, s27, exec_lo
	s_or_b32 s25, s25, exec_lo
	s_waitcnt vmcnt(0)
	v_cmp_le_u16_e32 vcc_lo, v19, v20
	v_cmp_lt_u16_e64 s0, v19, v20
	s_and_b32 s29, vcc_lo, s28
	s_delay_alu instid0(VALU_DEP_1) | instid1(SALU_CYCLE_1)
	s_or_b32 s29, s0, s29
	s_delay_alu instid0(SALU_CYCLE_1) | instskip(NEXT) | instid1(SALU_CYCLE_1)
	s_and_b32 s0, s29, exec_lo
	s_or_b32 s26, s26, s0
	s_mov_b32 s0, exec_lo
	v_cmpx_eq_u16_e64 v19, v20
	s_cbranch_execz .LBB1366_319
; %bb.321:                              ;   in Loop: Header=BB1366_320 Depth=1
	s_add_u32 s20, s20, -1
	s_addc_u32 s21, s21, -1
	v_add_co_u32 v2, vcc_lo, v2, 2
	s_cmp_eq_u64 s[20:21], 0
	v_add_co_ci_u32_e32 v3, vcc_lo, 0, v3, vcc_lo
	v_add_co_u32 v6, vcc_lo, v6, 2
	s_cselect_b32 s28, -1, 0
	v_add_co_ci_u32_e32 v7, vcc_lo, 0, v7, vcc_lo
	s_and_not1_b32 s27, s27, exec_lo
	s_and_b32 s29, s29, exec_lo
	s_and_not1_b32 s25, s25, exec_lo
	s_and_b32 s28, s28, exec_lo
	s_or_b32 s27, s27, s29
	s_and_not1_b32 s26, s26, exec_lo
	s_or_b32 s25, s25, s28
                                        ; implicit-def: $sgpr28
	s_branch .LBB1366_319
.LBB1366_322:
	s_set_inst_prefetch_distance 0x2
	s_or_b32 exec_lo, exec_lo, s23
	s_xor_b32 s0, s24, -1
	s_branch .LBB1366_324
.LBB1366_323:
	s_mov_b32 s0, -1
.LBB1366_324:
	s_delay_alu instid0(SALU_CYCLE_1)
	s_and_b32 s0, s0, exec_lo
.LBB1366_325:
	s_or_b32 exec_lo, exec_lo, s19
	s_delay_alu instid0(SALU_CYCLE_1)
	s_or_not1_b32 s19, s0, exec_lo
.LBB1366_326:
	s_or_b32 exec_lo, exec_lo, s22
	v_cndmask_b32_e64 v2, v9, v8, s19
	v_cndmask_b32_e64 v3, v15, v14, s19
	s_mov_b32 s0, -1
	s_mov_b32 s22, exec_lo
	s_delay_alu instid0(VALU_DEP_2) | instskip(NEXT) | instid1(VALU_DEP_2)
	v_add_nc_u32_e32 v6, 1, v2
	v_add_nc_u32_e32 v2, -1, v3
	s_delay_alu instid0(VALU_DEP_2) | instskip(NEXT) | instid1(VALU_DEP_2)
	v_cndmask_b32_e64 v22, v6, v9, s19
	v_min_u32_e32 v2, v6, v2
	v_cndmask_b32_e64 v19, v8, v6, s19
	s_delay_alu instid0(VALU_DEP_2)
	v_lshlrev_b32_e32 v2, 3, v2
	ds_load_b64 v[2:3], v2
	s_waitcnt lgkmcnt(0)
	v_cndmask_b32_e64 v20, v3, v10, s19
	v_cndmask_b32_e64 v21, v2, v11, s19
	;; [unrolled: 1-line block ×4, first 2 shown]
	v_cmpx_lt_u32_e64 v22, v15
	s_cbranch_execz .LBB1366_337
; %bb.327:
	s_mov_b32 s0, 0
	s_mov_b32 s23, exec_lo
	v_cmpx_lt_u32_e64 v19, v14
	s_cbranch_execz .LBB1366_336
; %bb.328:
	s_and_not1_b32 vcc_lo, exec_lo, s7
	s_cbranch_vccnz .LBB1366_334
; %bb.329:
	v_mul_lo_u32 v8, v20, s8
	v_mul_lo_u32 v9, v21, s9
	v_mad_u64_u32 v[2:3], null, v21, s8, 0
	v_mul_lo_u32 v25, v23, s8
	v_mul_lo_u32 v40, v24, s9
	v_mad_u64_u32 v[6:7], null, v24, s8, 0
	s_mov_b32 s24, 0
	s_mov_b64 s[20:21], s[8:9]
	s_delay_alu instid0(VALU_DEP_4) | instskip(NEXT) | instid1(VALU_DEP_2)
	v_add3_u32 v3, v3, v9, v8
                                        ; implicit-def: $sgpr25
                                        ; implicit-def: $sgpr26
                                        ; implicit-def: $sgpr27
                                        ; implicit-def: $sgpr28
                                        ; implicit-def: $sgpr29
	v_add3_u32 v7, v7, v40, v25
	s_delay_alu instid0(VALU_DEP_2) | instskip(NEXT) | instid1(VALU_DEP_2)
	v_lshlrev_b64 v[2:3], 1, v[2:3]
	v_lshlrev_b64 v[6:7], 1, v[6:7]
	s_delay_alu instid0(VALU_DEP_2) | instskip(NEXT) | instid1(VALU_DEP_3)
	v_add_co_u32 v2, vcc_lo, s10, v2
	v_add_co_ci_u32_e32 v3, vcc_lo, s11, v3, vcc_lo
	s_delay_alu instid0(VALU_DEP_3) | instskip(NEXT) | instid1(VALU_DEP_4)
	v_add_co_u32 v6, vcc_lo, s10, v6
	v_add_co_ci_u32_e32 v7, vcc_lo, s11, v7, vcc_lo
	s_set_inst_prefetch_distance 0x1
	s_branch .LBB1366_331
	.p2align	6
.LBB1366_330:                           ;   in Loop: Header=BB1366_331 Depth=1
	s_or_b32 exec_lo, exec_lo, s0
	s_delay_alu instid0(SALU_CYCLE_1) | instskip(NEXT) | instid1(SALU_CYCLE_1)
	s_and_b32 s0, exec_lo, s26
	s_or_b32 s24, s0, s24
	s_and_not1_b32 s0, s29, exec_lo
	s_and_b32 s29, s28, exec_lo
	s_and_not1_b32 s25, s25, exec_lo
	s_and_b32 s30, s27, exec_lo
	s_or_b32 s29, s0, s29
	s_or_b32 s25, s25, s30
	s_and_not1_b32 exec_lo, exec_lo, s24
	s_cbranch_execz .LBB1366_333
.LBB1366_331:                           ; =>This Inner Loop Header: Depth=1
	global_load_u16 v8, v[2:3], off
	global_load_u16 v9, v[6:7], off
	s_and_not1_b32 s27, s27, exec_lo
	s_and_not1_b32 s28, s28, exec_lo
	s_or_b32 s26, s26, exec_lo
	s_waitcnt vmcnt(0)
	v_cmp_le_u16_e32 vcc_lo, v8, v9
	v_cmp_lt_u16_e64 s0, v8, v9
	s_and_b32 s30, vcc_lo, s29
	s_delay_alu instid0(VALU_DEP_1) | instid1(SALU_CYCLE_1)
	s_or_b32 s30, s0, s30
	s_delay_alu instid0(SALU_CYCLE_1) | instskip(NEXT) | instid1(SALU_CYCLE_1)
	s_and_b32 s0, s30, exec_lo
	s_or_b32 s27, s27, s0
	s_mov_b32 s0, exec_lo
	v_cmpx_eq_u16_e64 v8, v9
	s_cbranch_execz .LBB1366_330
; %bb.332:                              ;   in Loop: Header=BB1366_331 Depth=1
	s_add_u32 s20, s20, -1
	s_addc_u32 s21, s21, -1
	v_add_co_u32 v2, vcc_lo, v2, 2
	s_cmp_eq_u64 s[20:21], 0
	v_add_co_ci_u32_e32 v3, vcc_lo, 0, v3, vcc_lo
	v_add_co_u32 v6, vcc_lo, v6, 2
	s_cselect_b32 s29, -1, 0
	v_add_co_ci_u32_e32 v7, vcc_lo, 0, v7, vcc_lo
	s_and_not1_b32 s28, s28, exec_lo
	s_and_b32 s30, s30, exec_lo
	s_and_not1_b32 s26, s26, exec_lo
	s_and_b32 s29, s29, exec_lo
	s_or_b32 s28, s28, s30
	s_and_not1_b32 s27, s27, exec_lo
	s_or_b32 s26, s26, s29
                                        ; implicit-def: $sgpr29
	s_branch .LBB1366_330
.LBB1366_333:
	s_set_inst_prefetch_distance 0x2
	s_or_b32 exec_lo, exec_lo, s24
	s_xor_b32 s0, s25, -1
	s_branch .LBB1366_335
.LBB1366_334:
	s_mov_b32 s0, -1
.LBB1366_335:
	s_delay_alu instid0(SALU_CYCLE_1)
	s_and_b32 s0, s0, exec_lo
.LBB1366_336:
	s_or_b32 exec_lo, exec_lo, s23
	s_delay_alu instid0(SALU_CYCLE_1)
	s_or_not1_b32 s0, s0, exec_lo
.LBB1366_337:
	s_or_b32 exec_lo, exec_lo, s22
	v_cndmask_b32_e64 v2, v22, v19, s0
	v_cndmask_b32_e64 v3, v15, v14, s0
	;; [unrolled: 1-line block ×5, first 2 shown]
	v_add_nc_u32_e32 v25, 1, v2
	v_add_nc_u32_e32 v2, -1, v3
	v_cndmask_b32_e64 v3, v10, v17, s19
	v_cndmask_b32_e64 v4, v21, v24, s0
	s_mov_b32 s12, exec_lo
	v_cndmask_b32_e64 v10, v25, v22, s0
	v_min_u32_e32 v2, v25, v2
	s_delay_alu instid0(VALU_DEP_1)
	v_lshlrev_b32_e32 v2, 3, v2
	ds_load_b64 v[8:9], v2
	v_cndmask_b32_e64 v2, v11, v18, s19
	s_waitcnt lgkmcnt(0)
	v_cndmask_b32_e64 v7, v23, v9, s0
	v_cndmask_b32_e64 v6, v24, v8, s0
	v_cmpx_lt_u32_e64 v10, v15
	s_cbranch_execz .LBB1366_347
; %bb.338:
	v_cndmask_b32_e64 v10, v19, v25, s0
	v_cndmask_b32_e64 v9, v9, v20, s0
	;; [unrolled: 1-line block ×3, first 2 shown]
	s_mov_b32 s19, exec_lo
	s_delay_alu instid0(VALU_DEP_3)
	v_cmpx_lt_u32_e64 v10, v14
	s_cbranch_execz .LBB1366_346
; %bb.339:
	s_and_not1_b32 vcc_lo, exec_lo, s7
	s_cbranch_vccnz .LBB1366_345
; %bb.340:
	v_mul_lo_u32 v17, v9, s8
	v_mul_lo_u32 v18, v8, s9
	v_mad_u64_u32 v[10:11], null, v8, s8, 0
	v_mul_lo_u32 v19, v7, s8
	v_mul_lo_u32 v20, v6, s9
	v_mad_u64_u32 v[14:15], null, v6, s8, 0
	s_mov_b32 s22, 0
	s_mov_b64 s[20:21], s[8:9]
	s_delay_alu instid0(VALU_DEP_4) | instskip(NEXT) | instid1(VALU_DEP_2)
	v_add3_u32 v11, v11, v18, v17
                                        ; implicit-def: $sgpr23
                                        ; implicit-def: $sgpr24
                                        ; implicit-def: $sgpr25
                                        ; implicit-def: $sgpr26
                                        ; implicit-def: $sgpr27
	v_add3_u32 v15, v15, v20, v19
	s_delay_alu instid0(VALU_DEP_2) | instskip(NEXT) | instid1(VALU_DEP_2)
	v_lshlrev_b64 v[10:11], 1, v[10:11]
	v_lshlrev_b64 v[14:15], 1, v[14:15]
	s_delay_alu instid0(VALU_DEP_2) | instskip(NEXT) | instid1(VALU_DEP_3)
	v_add_co_u32 v10, vcc_lo, s10, v10
	v_add_co_ci_u32_e32 v11, vcc_lo, s11, v11, vcc_lo
	s_delay_alu instid0(VALU_DEP_3) | instskip(NEXT) | instid1(VALU_DEP_4)
	v_add_co_u32 v14, vcc_lo, s10, v14
	v_add_co_ci_u32_e32 v15, vcc_lo, s11, v15, vcc_lo
	s_set_inst_prefetch_distance 0x1
	s_branch .LBB1366_342
	.p2align	6
.LBB1366_341:                           ;   in Loop: Header=BB1366_342 Depth=1
	s_or_b32 exec_lo, exec_lo, s0
	s_delay_alu instid0(SALU_CYCLE_1) | instskip(NEXT) | instid1(SALU_CYCLE_1)
	s_and_b32 s0, exec_lo, s24
	s_or_b32 s22, s0, s22
	s_and_not1_b32 s0, s27, exec_lo
	s_and_b32 s27, s26, exec_lo
	s_and_not1_b32 s23, s23, exec_lo
	s_and_b32 s28, s25, exec_lo
	s_or_b32 s27, s0, s27
	s_or_b32 s23, s23, s28
	s_and_not1_b32 exec_lo, exec_lo, s22
	s_cbranch_execz .LBB1366_344
.LBB1366_342:                           ; =>This Inner Loop Header: Depth=1
	global_load_u16 v17, v[10:11], off
	global_load_u16 v18, v[14:15], off
	s_and_not1_b32 s25, s25, exec_lo
	s_and_not1_b32 s26, s26, exec_lo
	s_or_b32 s24, s24, exec_lo
	s_waitcnt vmcnt(0)
	v_cmp_le_u16_e32 vcc_lo, v17, v18
	v_cmp_lt_u16_e64 s0, v17, v18
	s_and_b32 s28, vcc_lo, s27
	s_delay_alu instid0(VALU_DEP_1) | instid1(SALU_CYCLE_1)
	s_or_b32 s28, s0, s28
	s_delay_alu instid0(SALU_CYCLE_1) | instskip(NEXT) | instid1(SALU_CYCLE_1)
	s_and_b32 s0, s28, exec_lo
	s_or_b32 s25, s25, s0
	s_mov_b32 s0, exec_lo
	v_cmpx_eq_u16_e64 v17, v18
	s_cbranch_execz .LBB1366_341
; %bb.343:                              ;   in Loop: Header=BB1366_342 Depth=1
	s_add_u32 s20, s20, -1
	s_addc_u32 s21, s21, -1
	v_add_co_u32 v10, vcc_lo, v10, 2
	s_cmp_eq_u64 s[20:21], 0
	v_add_co_ci_u32_e32 v11, vcc_lo, 0, v11, vcc_lo
	v_add_co_u32 v14, vcc_lo, v14, 2
	s_cselect_b32 s27, -1, 0
	v_add_co_ci_u32_e32 v15, vcc_lo, 0, v15, vcc_lo
	s_and_not1_b32 s26, s26, exec_lo
	s_and_b32 s28, s28, exec_lo
	s_and_not1_b32 s24, s24, exec_lo
	s_and_b32 s27, s27, exec_lo
	s_or_b32 s26, s26, s28
	s_and_not1_b32 s25, s25, exec_lo
	s_or_b32 s24, s24, s27
                                        ; implicit-def: $sgpr27
	s_branch .LBB1366_341
.LBB1366_344:
	s_set_inst_prefetch_distance 0x2
	s_or_b32 exec_lo, exec_lo, s22
	v_cndmask_b32_e64 v7, v7, v9, s23
	v_cndmask_b32_e64 v6, v6, v8, s23
.LBB1366_345:
	s_delay_alu instid0(VALU_DEP_1)
	v_dual_mov_b32 v9, v7 :: v_dual_mov_b32 v8, v6
.LBB1366_346:
	s_or_b32 exec_lo, exec_lo, s19
	s_delay_alu instid0(VALU_DEP_1)
	v_dual_mov_b32 v6, v8 :: v_dual_mov_b32 v7, v9
.LBB1366_347:
	s_or_b32 exec_lo, exec_lo, s12
.LBB1366_348:
	s_delay_alu instid0(SALU_CYCLE_1) | instskip(SKIP_4) | instid1(VALU_DEP_2)
	s_or_b32 exec_lo, exec_lo, s1
	v_and_b32_e32 v19, 0xf00, v27
	v_and_b32_e32 v20, 0xfc, v27
	s_mov_b32 s1, exec_lo
	s_barrier
	v_or_b32_e32 v8, 0x80, v19
	v_lshlrev_b32_e32 v18, 3, v19
	buffer_gl0_inv
	ds_store_b128 v16, v[0:3]
	ds_store_b128 v16, v[4:7] offset:16
	s_waitcnt lgkmcnt(0)
	v_min_u32_e32 v9, 0x380, v8
	v_min_u32_e32 v14, 0x400, v8
	s_barrier
	buffer_gl0_inv
	v_add_nc_u32_e32 v15, 0x80, v9
	v_sub_nc_u32_e32 v8, v14, v19
	s_delay_alu instid0(VALU_DEP_2) | instskip(NEXT) | instid1(VALU_DEP_2)
	v_sub_nc_u32_e32 v9, v15, v14
	v_min_u32_e32 v21, v20, v8
	s_delay_alu instid0(VALU_DEP_2) | instskip(NEXT) | instid1(VALU_DEP_1)
	v_sub_nc_u32_e64 v17, v20, v9 clamp
	v_cmpx_lt_u32_e64 v17, v21
	s_cbranch_execz .LBB1366_358
; %bb.349:
	v_lshlrev_b32_e32 v8, 3, v20
	s_lshl_b64 s[20:21], s[8:9], 1
	s_mov_b32 s12, 0
	s_delay_alu instid0(VALU_DEP_1)
	v_lshl_add_u32 v22, v14, 3, v8
	s_branch .LBB1366_352
.LBB1366_350:                           ;   in Loop: Header=BB1366_352 Depth=1
	s_set_inst_prefetch_distance 0x2
	s_or_b32 exec_lo, exec_lo, s19
.LBB1366_351:                           ;   in Loop: Header=BB1366_352 Depth=1
	s_delay_alu instid0(VALU_DEP_1) | instskip(SKIP_1) | instid1(VALU_DEP_2)
	v_add_nc_u32_e32 v8, 1, v23
	v_cndmask_b32_e64 v21, v21, v23, s24
	v_cndmask_b32_e64 v17, v8, v17, s24
	s_delay_alu instid0(VALU_DEP_1) | instskip(SKIP_1) | instid1(SALU_CYCLE_1)
	v_cmp_ge_u32_e32 vcc_lo, v17, v21
	s_or_b32 s12, vcc_lo, s12
	s_and_not1_b32 exec_lo, exec_lo, s12
	s_cbranch_execz .LBB1366_357
.LBB1366_352:                           ; =>This Loop Header: Depth=1
                                        ;     Child Loop BB1366_355 Depth 2
	v_add_nc_u32_e32 v8, v21, v17
	s_and_not1_b32 vcc_lo, exec_lo, s7
	s_mov_b32 s24, 0
	s_delay_alu instid0(VALU_DEP_1)
	v_lshrrev_b32_e32 v23, 1, v8
	s_cbranch_vccnz .LBB1366_351
; %bb.353:                              ;   in Loop: Header=BB1366_352 Depth=1
	s_delay_alu instid0(VALU_DEP_1) | instskip(SKIP_3) | instid1(VALU_DEP_2)
	v_not_b32_e32 v8, v23
	v_lshl_add_u32 v9, v23, 3, v18
	s_mov_b32 s19, 0
	s_mov_b64 s[22:23], s[8:9]
                                        ; implicit-def: $sgpr24
                                        ; implicit-def: $sgpr25
                                        ; implicit-def: $sgpr26
                                        ; implicit-def: $sgpr27
                                        ; implicit-def: $sgpr28
	v_lshl_add_u32 v8, v8, 3, v22
	ds_load_b64 v[10:11], v8
	ds_load_b64 v[24:25], v9
	s_waitcnt lgkmcnt(1)
	v_mul_lo_u32 v40, s20, v11
	v_mul_lo_u32 v41, s21, v10
	v_mad_u64_u32 v[8:9], null, s20, v10, s[10:11]
	s_waitcnt lgkmcnt(0)
	v_mul_lo_u32 v25, s20, v25
	v_mul_lo_u32 v42, s21, v24
	v_mad_u64_u32 v[10:11], null, s20, v24, s[10:11]
	s_delay_alu instid0(VALU_DEP_4) | instskip(NEXT) | instid1(VALU_DEP_2)
	v_add3_u32 v9, v41, v9, v40
	v_add3_u32 v11, v42, v11, v25
	s_set_inst_prefetch_distance 0x1
	s_branch .LBB1366_355
	.p2align	6
.LBB1366_354:                           ;   in Loop: Header=BB1366_355 Depth=2
	s_or_b32 exec_lo, exec_lo, s29
	s_delay_alu instid0(SALU_CYCLE_1) | instskip(NEXT) | instid1(SALU_CYCLE_1)
	s_and_b32 s0, exec_lo, s25
	s_or_b32 s19, s0, s19
	s_and_not1_b32 s0, s28, exec_lo
	s_and_b32 s28, s26, exec_lo
	s_and_not1_b32 s24, s24, exec_lo
	s_and_b32 s29, s27, exec_lo
	s_or_b32 s28, s0, s28
	s_or_b32 s24, s24, s29
	s_and_not1_b32 exec_lo, exec_lo, s19
	s_cbranch_execz .LBB1366_350
.LBB1366_355:                           ;   Parent Loop BB1366_352 Depth=1
                                        ; =>  This Inner Loop Header: Depth=2
	global_load_u16 v24, v[8:9], off
	global_load_u16 v25, v[10:11], off
	s_and_not1_b32 s27, s27, exec_lo
	s_and_not1_b32 s26, s26, exec_lo
	s_or_b32 s25, s25, exec_lo
	s_waitcnt vmcnt(0)
	v_cmp_le_u16_e32 vcc_lo, v24, v25
	v_cmp_lt_u16_e64 s0, v24, v25
	s_and_b32 s29, vcc_lo, s28
	s_delay_alu instid0(VALU_DEP_1) | instid1(SALU_CYCLE_1)
	s_or_b32 s0, s0, s29
	s_delay_alu instid0(SALU_CYCLE_1) | instskip(NEXT) | instid1(SALU_CYCLE_1)
	s_and_b32 s29, s0, exec_lo
	s_or_b32 s27, s27, s29
	s_mov_b32 s29, exec_lo
	v_cmpx_eq_u16_e64 v24, v25
	s_cbranch_execz .LBB1366_354
; %bb.356:                              ;   in Loop: Header=BB1366_355 Depth=2
	s_add_u32 s22, s22, -1
	s_addc_u32 s23, s23, -1
	v_add_co_u32 v8, vcc_lo, v8, 2
	v_add_co_ci_u32_e32 v9, vcc_lo, 0, v9, vcc_lo
	s_cmp_eq_u64 s[22:23], 0
	v_add_co_u32 v10, vcc_lo, v10, 2
	s_cselect_b32 s28, -1, 0
	v_add_co_ci_u32_e32 v11, vcc_lo, 0, v11, vcc_lo
	s_and_not1_b32 s26, s26, exec_lo
	s_and_b32 s0, s0, exec_lo
	s_and_not1_b32 s25, s25, exec_lo
	s_and_b32 s28, s28, exec_lo
	s_and_not1_b32 s27, s27, exec_lo
	s_or_b32 s26, s26, s0
	s_or_b32 s25, s25, s28
                                        ; implicit-def: $sgpr28
	s_branch .LBB1366_354
.LBB1366_357:
	s_or_b32 exec_lo, exec_lo, s12
.LBB1366_358:
	s_delay_alu instid0(SALU_CYCLE_1) | instskip(SKIP_2) | instid1(VALU_DEP_2)
	s_or_b32 exec_lo, exec_lo, s1
	v_sub_nc_u32_e32 v9, v20, v17
	v_add_nc_u32_e32 v8, v17, v19
	v_add_nc_u32_e32 v9, v9, v14
	s_delay_alu instid0(VALU_DEP_2) | instskip(NEXT) | instid1(VALU_DEP_2)
	v_cmp_le_u32_e32 vcc_lo, v8, v14
	v_cmp_le_u32_e64 s0, v9, v15
	s_delay_alu instid0(VALU_DEP_1) | instskip(NEXT) | instid1(SALU_CYCLE_1)
	s_or_b32 s0, vcc_lo, s0
	s_and_saveexec_b32 s1, s0
	s_cbranch_execz .LBB1366_405
; %bb.359:
	v_cmp_ge_u32_e32 vcc_lo, v8, v14
	s_mov_b32 s12, exec_lo
                                        ; implicit-def: $vgpr0_vgpr1
	v_cmpx_lt_u32_e64 v8, v14
	s_cbranch_execz .LBB1366_361
; %bb.360:
	v_lshl_add_u32 v0, v17, 3, v18
	ds_load_b64 v[0:1], v0
.LBB1366_361:
	s_or_b32 exec_lo, exec_lo, s12
	v_cmp_ge_u32_e64 s12, v9, v15
	s_mov_b32 s19, exec_lo
                                        ; implicit-def: $vgpr4_vgpr5
	v_cmpx_lt_u32_e64 v9, v15
	s_cbranch_execz .LBB1366_363
; %bb.362:
	v_lshlrev_b32_e32 v2, 3, v9
	ds_load_b64 v[4:5], v2
.LBB1366_363:
	s_or_b32 exec_lo, exec_lo, s19
	s_or_b32 s0, vcc_lo, s12
	s_mov_b32 s19, -1
	s_xor_b32 s0, s0, -1
	s_delay_alu instid0(SALU_CYCLE_1)
	s_and_saveexec_b32 s22, s0
	s_cbranch_execz .LBB1366_372
; %bb.364:
	s_and_not1_b32 vcc_lo, exec_lo, s7
	s_cbranch_vccnz .LBB1366_370
; %bb.365:
	s_waitcnt lgkmcnt(0)
	v_mul_lo_u32 v10, v5, s8
	v_mul_lo_u32 v11, v4, s9
	v_mad_u64_u32 v[2:3], null, v4, s8, 0
	v_mul_lo_u32 v17, v1, s8
	v_mul_lo_u32 v18, v0, s9
	v_mad_u64_u32 v[6:7], null, v0, s8, 0
	s_mov_b32 s23, 0
	s_mov_b64 s[20:21], s[8:9]
	s_delay_alu instid0(VALU_DEP_4) | instskip(NEXT) | instid1(VALU_DEP_2)
	v_add3_u32 v3, v3, v11, v10
                                        ; implicit-def: $sgpr24
                                        ; implicit-def: $sgpr25
                                        ; implicit-def: $sgpr26
                                        ; implicit-def: $sgpr27
                                        ; implicit-def: $sgpr28
	v_add3_u32 v7, v7, v18, v17
	s_delay_alu instid0(VALU_DEP_2) | instskip(NEXT) | instid1(VALU_DEP_2)
	v_lshlrev_b64 v[2:3], 1, v[2:3]
	v_lshlrev_b64 v[6:7], 1, v[6:7]
	s_delay_alu instid0(VALU_DEP_2) | instskip(NEXT) | instid1(VALU_DEP_3)
	v_add_co_u32 v2, vcc_lo, s10, v2
	v_add_co_ci_u32_e32 v3, vcc_lo, s11, v3, vcc_lo
	s_delay_alu instid0(VALU_DEP_3) | instskip(NEXT) | instid1(VALU_DEP_4)
	v_add_co_u32 v6, vcc_lo, s10, v6
	v_add_co_ci_u32_e32 v7, vcc_lo, s11, v7, vcc_lo
	s_set_inst_prefetch_distance 0x1
	s_branch .LBB1366_367
	.p2align	6
.LBB1366_366:                           ;   in Loop: Header=BB1366_367 Depth=1
	s_or_b32 exec_lo, exec_lo, s0
	s_delay_alu instid0(SALU_CYCLE_1) | instskip(NEXT) | instid1(SALU_CYCLE_1)
	s_and_b32 s0, exec_lo, s25
	s_or_b32 s23, s0, s23
	s_and_not1_b32 s0, s28, exec_lo
	s_and_b32 s28, s27, exec_lo
	s_and_not1_b32 s24, s24, exec_lo
	s_and_b32 s29, s26, exec_lo
	s_or_b32 s28, s0, s28
	s_or_b32 s24, s24, s29
	s_and_not1_b32 exec_lo, exec_lo, s23
	s_cbranch_execz .LBB1366_369
.LBB1366_367:                           ; =>This Inner Loop Header: Depth=1
	global_load_u16 v10, v[2:3], off
	global_load_u16 v11, v[6:7], off
	s_and_not1_b32 s26, s26, exec_lo
	s_and_not1_b32 s27, s27, exec_lo
	s_or_b32 s25, s25, exec_lo
	s_waitcnt vmcnt(0)
	v_cmp_le_u16_e32 vcc_lo, v10, v11
	v_cmp_lt_u16_e64 s0, v10, v11
	s_and_b32 s29, vcc_lo, s28
	s_delay_alu instid0(VALU_DEP_1) | instid1(SALU_CYCLE_1)
	s_or_b32 s29, s0, s29
	s_delay_alu instid0(SALU_CYCLE_1) | instskip(NEXT) | instid1(SALU_CYCLE_1)
	s_and_b32 s0, s29, exec_lo
	s_or_b32 s26, s26, s0
	s_mov_b32 s0, exec_lo
	v_cmpx_eq_u16_e64 v10, v11
	s_cbranch_execz .LBB1366_366
; %bb.368:                              ;   in Loop: Header=BB1366_367 Depth=1
	s_add_u32 s20, s20, -1
	s_addc_u32 s21, s21, -1
	v_add_co_u32 v2, vcc_lo, v2, 2
	s_cmp_eq_u64 s[20:21], 0
	v_add_co_ci_u32_e32 v3, vcc_lo, 0, v3, vcc_lo
	v_add_co_u32 v6, vcc_lo, v6, 2
	s_cselect_b32 s28, -1, 0
	v_add_co_ci_u32_e32 v7, vcc_lo, 0, v7, vcc_lo
	s_and_not1_b32 s27, s27, exec_lo
	s_and_b32 s29, s29, exec_lo
	s_and_not1_b32 s25, s25, exec_lo
	s_and_b32 s28, s28, exec_lo
	s_or_b32 s27, s27, s29
	s_and_not1_b32 s26, s26, exec_lo
	s_or_b32 s25, s25, s28
                                        ; implicit-def: $sgpr28
	s_branch .LBB1366_366
.LBB1366_369:
	s_set_inst_prefetch_distance 0x2
	s_or_b32 exec_lo, exec_lo, s23
	s_xor_b32 s0, s24, -1
	s_branch .LBB1366_371
.LBB1366_370:
	s_mov_b32 s0, -1
.LBB1366_371:
	s_and_not1_b32 s12, s12, exec_lo
	s_and_b32 s0, s0, exec_lo
	s_delay_alu instid0(SALU_CYCLE_1)
	s_or_b32 s12, s12, s0
.LBB1366_372:
	s_or_b32 exec_lo, exec_lo, s22
	v_cndmask_b32_e64 v2, v9, v8, s12
	v_cndmask_b32_e64 v3, v15, v14, s12
	s_mov_b32 s22, exec_lo
	s_delay_alu instid0(VALU_DEP_2) | instskip(NEXT) | instid1(VALU_DEP_2)
	v_add_nc_u32_e32 v6, 1, v2
	v_add_nc_u32_e32 v2, -1, v3
	s_delay_alu instid0(VALU_DEP_2) | instskip(NEXT) | instid1(VALU_DEP_2)
	v_cndmask_b32_e64 v9, v6, v9, s12
	v_min_u32_e32 v2, v6, v2
	v_cndmask_b32_e64 v8, v8, v6, s12
	s_delay_alu instid0(VALU_DEP_2)
	v_lshlrev_b32_e32 v2, 3, v2
	ds_load_b64 v[2:3], v2
	s_waitcnt lgkmcnt(0)
	v_cndmask_b32_e64 v10, v3, v5, s12
	v_cndmask_b32_e64 v11, v2, v4, s12
	;; [unrolled: 1-line block ×4, first 2 shown]
	v_cmpx_lt_u32_e64 v9, v15
	s_cbranch_execz .LBB1366_383
; %bb.373:
	s_mov_b32 s0, 0
	s_mov_b32 s19, exec_lo
	v_cmpx_lt_u32_e64 v8, v14
	s_cbranch_execz .LBB1366_382
; %bb.374:
	s_and_not1_b32 vcc_lo, exec_lo, s7
	s_cbranch_vccnz .LBB1366_380
; %bb.375:
	v_mul_lo_u32 v19, v10, s8
	v_mul_lo_u32 v20, v11, s9
	v_mad_u64_u32 v[2:3], null, v11, s8, 0
	v_mul_lo_u32 v21, v17, s8
	v_mul_lo_u32 v22, v18, s9
	v_mad_u64_u32 v[6:7], null, v18, s8, 0
	s_mov_b32 s23, 0
	s_mov_b64 s[20:21], s[8:9]
	s_delay_alu instid0(VALU_DEP_4) | instskip(NEXT) | instid1(VALU_DEP_2)
	v_add3_u32 v3, v3, v20, v19
                                        ; implicit-def: $sgpr24
                                        ; implicit-def: $sgpr25
                                        ; implicit-def: $sgpr26
                                        ; implicit-def: $sgpr27
                                        ; implicit-def: $sgpr28
	v_add3_u32 v7, v7, v22, v21
	s_delay_alu instid0(VALU_DEP_2) | instskip(NEXT) | instid1(VALU_DEP_2)
	v_lshlrev_b64 v[2:3], 1, v[2:3]
	v_lshlrev_b64 v[6:7], 1, v[6:7]
	s_delay_alu instid0(VALU_DEP_2) | instskip(NEXT) | instid1(VALU_DEP_3)
	v_add_co_u32 v2, vcc_lo, s10, v2
	v_add_co_ci_u32_e32 v3, vcc_lo, s11, v3, vcc_lo
	s_delay_alu instid0(VALU_DEP_3) | instskip(NEXT) | instid1(VALU_DEP_4)
	v_add_co_u32 v6, vcc_lo, s10, v6
	v_add_co_ci_u32_e32 v7, vcc_lo, s11, v7, vcc_lo
	s_set_inst_prefetch_distance 0x1
	s_branch .LBB1366_377
	.p2align	6
.LBB1366_376:                           ;   in Loop: Header=BB1366_377 Depth=1
	s_or_b32 exec_lo, exec_lo, s0
	s_delay_alu instid0(SALU_CYCLE_1) | instskip(NEXT) | instid1(SALU_CYCLE_1)
	s_and_b32 s0, exec_lo, s25
	s_or_b32 s23, s0, s23
	s_and_not1_b32 s0, s28, exec_lo
	s_and_b32 s28, s27, exec_lo
	s_and_not1_b32 s24, s24, exec_lo
	s_and_b32 s29, s26, exec_lo
	s_or_b32 s28, s0, s28
	s_or_b32 s24, s24, s29
	s_and_not1_b32 exec_lo, exec_lo, s23
	s_cbranch_execz .LBB1366_379
.LBB1366_377:                           ; =>This Inner Loop Header: Depth=1
	global_load_u16 v19, v[2:3], off
	global_load_u16 v20, v[6:7], off
	s_and_not1_b32 s26, s26, exec_lo
	s_and_not1_b32 s27, s27, exec_lo
	s_or_b32 s25, s25, exec_lo
	s_waitcnt vmcnt(0)
	v_cmp_le_u16_e32 vcc_lo, v19, v20
	v_cmp_lt_u16_e64 s0, v19, v20
	s_and_b32 s29, vcc_lo, s28
	s_delay_alu instid0(VALU_DEP_1) | instid1(SALU_CYCLE_1)
	s_or_b32 s29, s0, s29
	s_delay_alu instid0(SALU_CYCLE_1) | instskip(NEXT) | instid1(SALU_CYCLE_1)
	s_and_b32 s0, s29, exec_lo
	s_or_b32 s26, s26, s0
	s_mov_b32 s0, exec_lo
	v_cmpx_eq_u16_e64 v19, v20
	s_cbranch_execz .LBB1366_376
; %bb.378:                              ;   in Loop: Header=BB1366_377 Depth=1
	s_add_u32 s20, s20, -1
	s_addc_u32 s21, s21, -1
	v_add_co_u32 v2, vcc_lo, v2, 2
	s_cmp_eq_u64 s[20:21], 0
	v_add_co_ci_u32_e32 v3, vcc_lo, 0, v3, vcc_lo
	v_add_co_u32 v6, vcc_lo, v6, 2
	s_cselect_b32 s28, -1, 0
	v_add_co_ci_u32_e32 v7, vcc_lo, 0, v7, vcc_lo
	s_and_not1_b32 s27, s27, exec_lo
	s_and_b32 s29, s29, exec_lo
	s_and_not1_b32 s25, s25, exec_lo
	s_and_b32 s28, s28, exec_lo
	s_or_b32 s27, s27, s29
	s_and_not1_b32 s26, s26, exec_lo
	s_or_b32 s25, s25, s28
                                        ; implicit-def: $sgpr28
	s_branch .LBB1366_376
.LBB1366_379:
	s_set_inst_prefetch_distance 0x2
	s_or_b32 exec_lo, exec_lo, s23
	s_xor_b32 s0, s24, -1
	s_branch .LBB1366_381
.LBB1366_380:
	s_mov_b32 s0, -1
.LBB1366_381:
	s_delay_alu instid0(SALU_CYCLE_1)
	s_and_b32 s0, s0, exec_lo
.LBB1366_382:
	s_or_b32 exec_lo, exec_lo, s19
	s_delay_alu instid0(SALU_CYCLE_1)
	s_or_not1_b32 s19, s0, exec_lo
.LBB1366_383:
	s_or_b32 exec_lo, exec_lo, s22
	v_cndmask_b32_e64 v2, v9, v8, s19
	v_cndmask_b32_e64 v3, v15, v14, s19
	s_mov_b32 s0, -1
	s_mov_b32 s22, exec_lo
	s_delay_alu instid0(VALU_DEP_2) | instskip(NEXT) | instid1(VALU_DEP_2)
	v_add_nc_u32_e32 v6, 1, v2
	v_add_nc_u32_e32 v2, -1, v3
	s_delay_alu instid0(VALU_DEP_2) | instskip(NEXT) | instid1(VALU_DEP_2)
	v_cndmask_b32_e64 v22, v6, v9, s19
	v_min_u32_e32 v2, v6, v2
	v_cndmask_b32_e64 v19, v8, v6, s19
	s_delay_alu instid0(VALU_DEP_2)
	v_lshlrev_b32_e32 v2, 3, v2
	ds_load_b64 v[2:3], v2
	s_waitcnt lgkmcnt(0)
	v_cndmask_b32_e64 v20, v3, v10, s19
	v_cndmask_b32_e64 v21, v2, v11, s19
	;; [unrolled: 1-line block ×4, first 2 shown]
	v_cmpx_lt_u32_e64 v22, v15
	s_cbranch_execz .LBB1366_394
; %bb.384:
	s_mov_b32 s0, 0
	s_mov_b32 s23, exec_lo
	v_cmpx_lt_u32_e64 v19, v14
	s_cbranch_execz .LBB1366_393
; %bb.385:
	s_and_not1_b32 vcc_lo, exec_lo, s7
	s_cbranch_vccnz .LBB1366_391
; %bb.386:
	v_mul_lo_u32 v8, v20, s8
	v_mul_lo_u32 v9, v21, s9
	v_mad_u64_u32 v[2:3], null, v21, s8, 0
	v_mul_lo_u32 v25, v23, s8
	v_mul_lo_u32 v40, v24, s9
	v_mad_u64_u32 v[6:7], null, v24, s8, 0
	s_mov_b32 s24, 0
	s_mov_b64 s[20:21], s[8:9]
	s_delay_alu instid0(VALU_DEP_4) | instskip(NEXT) | instid1(VALU_DEP_2)
	v_add3_u32 v3, v3, v9, v8
                                        ; implicit-def: $sgpr25
                                        ; implicit-def: $sgpr26
                                        ; implicit-def: $sgpr27
                                        ; implicit-def: $sgpr28
                                        ; implicit-def: $sgpr29
	v_add3_u32 v7, v7, v40, v25
	s_delay_alu instid0(VALU_DEP_2) | instskip(NEXT) | instid1(VALU_DEP_2)
	v_lshlrev_b64 v[2:3], 1, v[2:3]
	v_lshlrev_b64 v[6:7], 1, v[6:7]
	s_delay_alu instid0(VALU_DEP_2) | instskip(NEXT) | instid1(VALU_DEP_3)
	v_add_co_u32 v2, vcc_lo, s10, v2
	v_add_co_ci_u32_e32 v3, vcc_lo, s11, v3, vcc_lo
	s_delay_alu instid0(VALU_DEP_3) | instskip(NEXT) | instid1(VALU_DEP_4)
	v_add_co_u32 v6, vcc_lo, s10, v6
	v_add_co_ci_u32_e32 v7, vcc_lo, s11, v7, vcc_lo
	s_set_inst_prefetch_distance 0x1
	s_branch .LBB1366_388
	.p2align	6
.LBB1366_387:                           ;   in Loop: Header=BB1366_388 Depth=1
	s_or_b32 exec_lo, exec_lo, s0
	s_delay_alu instid0(SALU_CYCLE_1) | instskip(NEXT) | instid1(SALU_CYCLE_1)
	s_and_b32 s0, exec_lo, s26
	s_or_b32 s24, s0, s24
	s_and_not1_b32 s0, s29, exec_lo
	s_and_b32 s29, s28, exec_lo
	s_and_not1_b32 s25, s25, exec_lo
	s_and_b32 s30, s27, exec_lo
	s_or_b32 s29, s0, s29
	s_or_b32 s25, s25, s30
	s_and_not1_b32 exec_lo, exec_lo, s24
	s_cbranch_execz .LBB1366_390
.LBB1366_388:                           ; =>This Inner Loop Header: Depth=1
	global_load_u16 v8, v[2:3], off
	global_load_u16 v9, v[6:7], off
	s_and_not1_b32 s27, s27, exec_lo
	s_and_not1_b32 s28, s28, exec_lo
	s_or_b32 s26, s26, exec_lo
	s_waitcnt vmcnt(0)
	v_cmp_le_u16_e32 vcc_lo, v8, v9
	v_cmp_lt_u16_e64 s0, v8, v9
	s_and_b32 s30, vcc_lo, s29
	s_delay_alu instid0(VALU_DEP_1) | instid1(SALU_CYCLE_1)
	s_or_b32 s30, s0, s30
	s_delay_alu instid0(SALU_CYCLE_1) | instskip(NEXT) | instid1(SALU_CYCLE_1)
	s_and_b32 s0, s30, exec_lo
	s_or_b32 s27, s27, s0
	s_mov_b32 s0, exec_lo
	v_cmpx_eq_u16_e64 v8, v9
	s_cbranch_execz .LBB1366_387
; %bb.389:                              ;   in Loop: Header=BB1366_388 Depth=1
	s_add_u32 s20, s20, -1
	s_addc_u32 s21, s21, -1
	v_add_co_u32 v2, vcc_lo, v2, 2
	s_cmp_eq_u64 s[20:21], 0
	v_add_co_ci_u32_e32 v3, vcc_lo, 0, v3, vcc_lo
	v_add_co_u32 v6, vcc_lo, v6, 2
	s_cselect_b32 s29, -1, 0
	v_add_co_ci_u32_e32 v7, vcc_lo, 0, v7, vcc_lo
	s_and_not1_b32 s28, s28, exec_lo
	s_and_b32 s30, s30, exec_lo
	s_and_not1_b32 s26, s26, exec_lo
	s_and_b32 s29, s29, exec_lo
	s_or_b32 s28, s28, s30
	s_and_not1_b32 s27, s27, exec_lo
	s_or_b32 s26, s26, s29
                                        ; implicit-def: $sgpr29
	s_branch .LBB1366_387
.LBB1366_390:
	s_set_inst_prefetch_distance 0x2
	s_or_b32 exec_lo, exec_lo, s24
	s_xor_b32 s0, s25, -1
	s_branch .LBB1366_392
.LBB1366_391:
	s_mov_b32 s0, -1
.LBB1366_392:
	s_delay_alu instid0(SALU_CYCLE_1)
	s_and_b32 s0, s0, exec_lo
.LBB1366_393:
	s_or_b32 exec_lo, exec_lo, s23
	s_delay_alu instid0(SALU_CYCLE_1)
	s_or_not1_b32 s0, s0, exec_lo
.LBB1366_394:
	s_or_b32 exec_lo, exec_lo, s22
	v_cndmask_b32_e64 v2, v22, v19, s0
	v_cndmask_b32_e64 v3, v15, v14, s0
	;; [unrolled: 1-line block ×5, first 2 shown]
	v_add_nc_u32_e32 v25, 1, v2
	v_add_nc_u32_e32 v2, -1, v3
	v_cndmask_b32_e64 v3, v10, v17, s19
	v_cndmask_b32_e64 v4, v21, v24, s0
	s_mov_b32 s12, exec_lo
	v_cndmask_b32_e64 v10, v25, v22, s0
	v_min_u32_e32 v2, v25, v2
	s_delay_alu instid0(VALU_DEP_1)
	v_lshlrev_b32_e32 v2, 3, v2
	ds_load_b64 v[8:9], v2
	v_cndmask_b32_e64 v2, v11, v18, s19
	s_waitcnt lgkmcnt(0)
	v_cndmask_b32_e64 v7, v23, v9, s0
	v_cndmask_b32_e64 v6, v24, v8, s0
	v_cmpx_lt_u32_e64 v10, v15
	s_cbranch_execz .LBB1366_404
; %bb.395:
	v_cndmask_b32_e64 v10, v19, v25, s0
	v_cndmask_b32_e64 v9, v9, v20, s0
	v_cndmask_b32_e64 v8, v8, v21, s0
	s_mov_b32 s19, exec_lo
	s_delay_alu instid0(VALU_DEP_3)
	v_cmpx_lt_u32_e64 v10, v14
	s_cbranch_execz .LBB1366_403
; %bb.396:
	s_and_not1_b32 vcc_lo, exec_lo, s7
	s_cbranch_vccnz .LBB1366_402
; %bb.397:
	v_mul_lo_u32 v17, v9, s8
	v_mul_lo_u32 v18, v8, s9
	v_mad_u64_u32 v[10:11], null, v8, s8, 0
	v_mul_lo_u32 v19, v7, s8
	v_mul_lo_u32 v20, v6, s9
	v_mad_u64_u32 v[14:15], null, v6, s8, 0
	s_mov_b32 s22, 0
	s_mov_b64 s[20:21], s[8:9]
	s_delay_alu instid0(VALU_DEP_4) | instskip(NEXT) | instid1(VALU_DEP_2)
	v_add3_u32 v11, v11, v18, v17
                                        ; implicit-def: $sgpr23
                                        ; implicit-def: $sgpr24
                                        ; implicit-def: $sgpr25
                                        ; implicit-def: $sgpr26
                                        ; implicit-def: $sgpr27
	v_add3_u32 v15, v15, v20, v19
	s_delay_alu instid0(VALU_DEP_2) | instskip(NEXT) | instid1(VALU_DEP_2)
	v_lshlrev_b64 v[10:11], 1, v[10:11]
	v_lshlrev_b64 v[14:15], 1, v[14:15]
	s_delay_alu instid0(VALU_DEP_2) | instskip(NEXT) | instid1(VALU_DEP_3)
	v_add_co_u32 v10, vcc_lo, s10, v10
	v_add_co_ci_u32_e32 v11, vcc_lo, s11, v11, vcc_lo
	s_delay_alu instid0(VALU_DEP_3) | instskip(NEXT) | instid1(VALU_DEP_4)
	v_add_co_u32 v14, vcc_lo, s10, v14
	v_add_co_ci_u32_e32 v15, vcc_lo, s11, v15, vcc_lo
	s_set_inst_prefetch_distance 0x1
	s_branch .LBB1366_399
	.p2align	6
.LBB1366_398:                           ;   in Loop: Header=BB1366_399 Depth=1
	s_or_b32 exec_lo, exec_lo, s0
	s_delay_alu instid0(SALU_CYCLE_1) | instskip(NEXT) | instid1(SALU_CYCLE_1)
	s_and_b32 s0, exec_lo, s24
	s_or_b32 s22, s0, s22
	s_and_not1_b32 s0, s27, exec_lo
	s_and_b32 s27, s26, exec_lo
	s_and_not1_b32 s23, s23, exec_lo
	s_and_b32 s28, s25, exec_lo
	s_or_b32 s27, s0, s27
	s_or_b32 s23, s23, s28
	s_and_not1_b32 exec_lo, exec_lo, s22
	s_cbranch_execz .LBB1366_401
.LBB1366_399:                           ; =>This Inner Loop Header: Depth=1
	global_load_u16 v17, v[10:11], off
	global_load_u16 v18, v[14:15], off
	s_and_not1_b32 s25, s25, exec_lo
	s_and_not1_b32 s26, s26, exec_lo
	s_or_b32 s24, s24, exec_lo
	s_waitcnt vmcnt(0)
	v_cmp_le_u16_e32 vcc_lo, v17, v18
	v_cmp_lt_u16_e64 s0, v17, v18
	s_and_b32 s28, vcc_lo, s27
	s_delay_alu instid0(VALU_DEP_1) | instid1(SALU_CYCLE_1)
	s_or_b32 s28, s0, s28
	s_delay_alu instid0(SALU_CYCLE_1) | instskip(NEXT) | instid1(SALU_CYCLE_1)
	s_and_b32 s0, s28, exec_lo
	s_or_b32 s25, s25, s0
	s_mov_b32 s0, exec_lo
	v_cmpx_eq_u16_e64 v17, v18
	s_cbranch_execz .LBB1366_398
; %bb.400:                              ;   in Loop: Header=BB1366_399 Depth=1
	s_add_u32 s20, s20, -1
	s_addc_u32 s21, s21, -1
	v_add_co_u32 v10, vcc_lo, v10, 2
	s_cmp_eq_u64 s[20:21], 0
	v_add_co_ci_u32_e32 v11, vcc_lo, 0, v11, vcc_lo
	v_add_co_u32 v14, vcc_lo, v14, 2
	s_cselect_b32 s27, -1, 0
	v_add_co_ci_u32_e32 v15, vcc_lo, 0, v15, vcc_lo
	s_and_not1_b32 s26, s26, exec_lo
	s_and_b32 s28, s28, exec_lo
	s_and_not1_b32 s24, s24, exec_lo
	s_and_b32 s27, s27, exec_lo
	s_or_b32 s26, s26, s28
	s_and_not1_b32 s25, s25, exec_lo
	s_or_b32 s24, s24, s27
                                        ; implicit-def: $sgpr27
	s_branch .LBB1366_398
.LBB1366_401:
	s_set_inst_prefetch_distance 0x2
	s_or_b32 exec_lo, exec_lo, s22
	v_cndmask_b32_e64 v7, v7, v9, s23
	v_cndmask_b32_e64 v6, v6, v8, s23
.LBB1366_402:
	s_delay_alu instid0(VALU_DEP_1)
	v_dual_mov_b32 v9, v7 :: v_dual_mov_b32 v8, v6
.LBB1366_403:
	s_or_b32 exec_lo, exec_lo, s19
	s_delay_alu instid0(VALU_DEP_1)
	v_dual_mov_b32 v6, v8 :: v_dual_mov_b32 v7, v9
.LBB1366_404:
	s_or_b32 exec_lo, exec_lo, s12
.LBB1366_405:
	s_delay_alu instid0(SALU_CYCLE_1) | instskip(SKIP_4) | instid1(VALU_DEP_2)
	s_or_b32 exec_lo, exec_lo, s1
	v_and_b32_e32 v19, 0xe00, v27
	v_and_b32_e32 v20, 0x1fc, v27
	s_mov_b32 s1, exec_lo
	s_barrier
	v_or_b32_e32 v8, 0x100, v19
	v_lshlrev_b32_e32 v18, 3, v19
	buffer_gl0_inv
	ds_store_b128 v16, v[0:3]
	ds_store_b128 v16, v[4:7] offset:16
	s_waitcnt lgkmcnt(0)
	v_min_u32_e32 v9, 0x300, v8
	v_min_u32_e32 v14, 0x400, v8
	s_barrier
	buffer_gl0_inv
	v_add_nc_u32_e32 v15, 0x100, v9
	v_sub_nc_u32_e32 v8, v14, v19
	s_delay_alu instid0(VALU_DEP_2) | instskip(NEXT) | instid1(VALU_DEP_2)
	v_sub_nc_u32_e32 v9, v15, v14
	v_min_u32_e32 v21, v20, v8
	s_delay_alu instid0(VALU_DEP_2) | instskip(NEXT) | instid1(VALU_DEP_1)
	v_sub_nc_u32_e64 v17, v20, v9 clamp
	v_cmpx_lt_u32_e64 v17, v21
	s_cbranch_execz .LBB1366_415
; %bb.406:
	v_lshlrev_b32_e32 v8, 3, v20
	s_lshl_b64 s[20:21], s[8:9], 1
	s_mov_b32 s12, 0
	s_delay_alu instid0(VALU_DEP_1)
	v_lshl_add_u32 v22, v14, 3, v8
	s_branch .LBB1366_409
.LBB1366_407:                           ;   in Loop: Header=BB1366_409 Depth=1
	s_set_inst_prefetch_distance 0x2
	s_or_b32 exec_lo, exec_lo, s19
.LBB1366_408:                           ;   in Loop: Header=BB1366_409 Depth=1
	s_delay_alu instid0(VALU_DEP_1) | instskip(SKIP_1) | instid1(VALU_DEP_2)
	v_add_nc_u32_e32 v8, 1, v23
	v_cndmask_b32_e64 v21, v21, v23, s24
	v_cndmask_b32_e64 v17, v8, v17, s24
	s_delay_alu instid0(VALU_DEP_1) | instskip(SKIP_1) | instid1(SALU_CYCLE_1)
	v_cmp_ge_u32_e32 vcc_lo, v17, v21
	s_or_b32 s12, vcc_lo, s12
	s_and_not1_b32 exec_lo, exec_lo, s12
	s_cbranch_execz .LBB1366_414
.LBB1366_409:                           ; =>This Loop Header: Depth=1
                                        ;     Child Loop BB1366_412 Depth 2
	v_add_nc_u32_e32 v8, v21, v17
	s_and_not1_b32 vcc_lo, exec_lo, s7
	s_mov_b32 s24, 0
	s_delay_alu instid0(VALU_DEP_1)
	v_lshrrev_b32_e32 v23, 1, v8
	s_cbranch_vccnz .LBB1366_408
; %bb.410:                              ;   in Loop: Header=BB1366_409 Depth=1
	s_delay_alu instid0(VALU_DEP_1) | instskip(SKIP_3) | instid1(VALU_DEP_2)
	v_not_b32_e32 v8, v23
	v_lshl_add_u32 v9, v23, 3, v18
	s_mov_b32 s19, 0
	s_mov_b64 s[22:23], s[8:9]
                                        ; implicit-def: $sgpr24
                                        ; implicit-def: $sgpr25
                                        ; implicit-def: $sgpr26
                                        ; implicit-def: $sgpr27
                                        ; implicit-def: $sgpr28
	v_lshl_add_u32 v8, v8, 3, v22
	ds_load_b64 v[10:11], v8
	ds_load_b64 v[24:25], v9
	s_waitcnt lgkmcnt(1)
	v_mul_lo_u32 v40, s20, v11
	v_mul_lo_u32 v41, s21, v10
	v_mad_u64_u32 v[8:9], null, s20, v10, s[10:11]
	s_waitcnt lgkmcnt(0)
	v_mul_lo_u32 v25, s20, v25
	v_mul_lo_u32 v42, s21, v24
	v_mad_u64_u32 v[10:11], null, s20, v24, s[10:11]
	s_delay_alu instid0(VALU_DEP_4) | instskip(NEXT) | instid1(VALU_DEP_2)
	v_add3_u32 v9, v41, v9, v40
	v_add3_u32 v11, v42, v11, v25
	s_set_inst_prefetch_distance 0x1
	s_branch .LBB1366_412
	.p2align	6
.LBB1366_411:                           ;   in Loop: Header=BB1366_412 Depth=2
	s_or_b32 exec_lo, exec_lo, s29
	s_delay_alu instid0(SALU_CYCLE_1) | instskip(NEXT) | instid1(SALU_CYCLE_1)
	s_and_b32 s0, exec_lo, s25
	s_or_b32 s19, s0, s19
	s_and_not1_b32 s0, s28, exec_lo
	s_and_b32 s28, s26, exec_lo
	s_and_not1_b32 s24, s24, exec_lo
	s_and_b32 s29, s27, exec_lo
	s_or_b32 s28, s0, s28
	s_or_b32 s24, s24, s29
	s_and_not1_b32 exec_lo, exec_lo, s19
	s_cbranch_execz .LBB1366_407
.LBB1366_412:                           ;   Parent Loop BB1366_409 Depth=1
                                        ; =>  This Inner Loop Header: Depth=2
	global_load_u16 v24, v[8:9], off
	global_load_u16 v25, v[10:11], off
	s_and_not1_b32 s27, s27, exec_lo
	s_and_not1_b32 s26, s26, exec_lo
	s_or_b32 s25, s25, exec_lo
	s_waitcnt vmcnt(0)
	v_cmp_le_u16_e32 vcc_lo, v24, v25
	v_cmp_lt_u16_e64 s0, v24, v25
	s_and_b32 s29, vcc_lo, s28
	s_delay_alu instid0(VALU_DEP_1) | instid1(SALU_CYCLE_1)
	s_or_b32 s0, s0, s29
	s_delay_alu instid0(SALU_CYCLE_1) | instskip(NEXT) | instid1(SALU_CYCLE_1)
	s_and_b32 s29, s0, exec_lo
	s_or_b32 s27, s27, s29
	s_mov_b32 s29, exec_lo
	v_cmpx_eq_u16_e64 v24, v25
	s_cbranch_execz .LBB1366_411
; %bb.413:                              ;   in Loop: Header=BB1366_412 Depth=2
	s_add_u32 s22, s22, -1
	s_addc_u32 s23, s23, -1
	v_add_co_u32 v8, vcc_lo, v8, 2
	v_add_co_ci_u32_e32 v9, vcc_lo, 0, v9, vcc_lo
	s_cmp_eq_u64 s[22:23], 0
	v_add_co_u32 v10, vcc_lo, v10, 2
	s_cselect_b32 s28, -1, 0
	v_add_co_ci_u32_e32 v11, vcc_lo, 0, v11, vcc_lo
	s_and_not1_b32 s26, s26, exec_lo
	s_and_b32 s0, s0, exec_lo
	s_and_not1_b32 s25, s25, exec_lo
	s_and_b32 s28, s28, exec_lo
	s_and_not1_b32 s27, s27, exec_lo
	s_or_b32 s26, s26, s0
	s_or_b32 s25, s25, s28
                                        ; implicit-def: $sgpr28
	s_branch .LBB1366_411
.LBB1366_414:
	s_or_b32 exec_lo, exec_lo, s12
.LBB1366_415:
	s_delay_alu instid0(SALU_CYCLE_1) | instskip(SKIP_2) | instid1(VALU_DEP_2)
	s_or_b32 exec_lo, exec_lo, s1
	v_sub_nc_u32_e32 v9, v20, v17
	v_add_nc_u32_e32 v8, v17, v19
	v_add_nc_u32_e32 v9, v9, v14
	s_delay_alu instid0(VALU_DEP_2) | instskip(NEXT) | instid1(VALU_DEP_2)
	v_cmp_le_u32_e32 vcc_lo, v8, v14
	v_cmp_le_u32_e64 s0, v9, v15
	s_delay_alu instid0(VALU_DEP_1) | instskip(NEXT) | instid1(SALU_CYCLE_1)
	s_or_b32 s0, vcc_lo, s0
	s_and_saveexec_b32 s1, s0
	s_cbranch_execz .LBB1366_462
; %bb.416:
	v_cmp_ge_u32_e32 vcc_lo, v8, v14
	s_mov_b32 s12, exec_lo
                                        ; implicit-def: $vgpr0_vgpr1
	v_cmpx_lt_u32_e64 v8, v14
	s_cbranch_execz .LBB1366_418
; %bb.417:
	v_lshl_add_u32 v0, v17, 3, v18
	ds_load_b64 v[0:1], v0
.LBB1366_418:
	s_or_b32 exec_lo, exec_lo, s12
	v_cmp_ge_u32_e64 s12, v9, v15
	s_mov_b32 s19, exec_lo
                                        ; implicit-def: $vgpr4_vgpr5
	v_cmpx_lt_u32_e64 v9, v15
	s_cbranch_execz .LBB1366_420
; %bb.419:
	v_lshlrev_b32_e32 v2, 3, v9
	ds_load_b64 v[4:5], v2
.LBB1366_420:
	s_or_b32 exec_lo, exec_lo, s19
	s_or_b32 s0, vcc_lo, s12
	s_mov_b32 s19, -1
	s_xor_b32 s0, s0, -1
	s_delay_alu instid0(SALU_CYCLE_1)
	s_and_saveexec_b32 s22, s0
	s_cbranch_execz .LBB1366_429
; %bb.421:
	s_and_not1_b32 vcc_lo, exec_lo, s7
	s_cbranch_vccnz .LBB1366_427
; %bb.422:
	s_waitcnt lgkmcnt(0)
	v_mul_lo_u32 v10, v5, s8
	v_mul_lo_u32 v11, v4, s9
	v_mad_u64_u32 v[2:3], null, v4, s8, 0
	v_mul_lo_u32 v17, v1, s8
	v_mul_lo_u32 v18, v0, s9
	v_mad_u64_u32 v[6:7], null, v0, s8, 0
	s_mov_b32 s23, 0
	s_mov_b64 s[20:21], s[8:9]
	s_delay_alu instid0(VALU_DEP_4) | instskip(NEXT) | instid1(VALU_DEP_2)
	v_add3_u32 v3, v3, v11, v10
                                        ; implicit-def: $sgpr24
                                        ; implicit-def: $sgpr25
                                        ; implicit-def: $sgpr26
                                        ; implicit-def: $sgpr27
                                        ; implicit-def: $sgpr28
	v_add3_u32 v7, v7, v18, v17
	s_delay_alu instid0(VALU_DEP_2) | instskip(NEXT) | instid1(VALU_DEP_2)
	v_lshlrev_b64 v[2:3], 1, v[2:3]
	v_lshlrev_b64 v[6:7], 1, v[6:7]
	s_delay_alu instid0(VALU_DEP_2) | instskip(NEXT) | instid1(VALU_DEP_3)
	v_add_co_u32 v2, vcc_lo, s10, v2
	v_add_co_ci_u32_e32 v3, vcc_lo, s11, v3, vcc_lo
	s_delay_alu instid0(VALU_DEP_3) | instskip(NEXT) | instid1(VALU_DEP_4)
	v_add_co_u32 v6, vcc_lo, s10, v6
	v_add_co_ci_u32_e32 v7, vcc_lo, s11, v7, vcc_lo
	s_set_inst_prefetch_distance 0x1
	s_branch .LBB1366_424
	.p2align	6
.LBB1366_423:                           ;   in Loop: Header=BB1366_424 Depth=1
	s_or_b32 exec_lo, exec_lo, s0
	s_delay_alu instid0(SALU_CYCLE_1) | instskip(NEXT) | instid1(SALU_CYCLE_1)
	s_and_b32 s0, exec_lo, s25
	s_or_b32 s23, s0, s23
	s_and_not1_b32 s0, s28, exec_lo
	s_and_b32 s28, s27, exec_lo
	s_and_not1_b32 s24, s24, exec_lo
	s_and_b32 s29, s26, exec_lo
	s_or_b32 s28, s0, s28
	s_or_b32 s24, s24, s29
	s_and_not1_b32 exec_lo, exec_lo, s23
	s_cbranch_execz .LBB1366_426
.LBB1366_424:                           ; =>This Inner Loop Header: Depth=1
	global_load_u16 v10, v[2:3], off
	global_load_u16 v11, v[6:7], off
	s_and_not1_b32 s26, s26, exec_lo
	s_and_not1_b32 s27, s27, exec_lo
	s_or_b32 s25, s25, exec_lo
	s_waitcnt vmcnt(0)
	v_cmp_le_u16_e32 vcc_lo, v10, v11
	v_cmp_lt_u16_e64 s0, v10, v11
	s_and_b32 s29, vcc_lo, s28
	s_delay_alu instid0(VALU_DEP_1) | instid1(SALU_CYCLE_1)
	s_or_b32 s29, s0, s29
	s_delay_alu instid0(SALU_CYCLE_1) | instskip(NEXT) | instid1(SALU_CYCLE_1)
	s_and_b32 s0, s29, exec_lo
	s_or_b32 s26, s26, s0
	s_mov_b32 s0, exec_lo
	v_cmpx_eq_u16_e64 v10, v11
	s_cbranch_execz .LBB1366_423
; %bb.425:                              ;   in Loop: Header=BB1366_424 Depth=1
	s_add_u32 s20, s20, -1
	s_addc_u32 s21, s21, -1
	v_add_co_u32 v2, vcc_lo, v2, 2
	s_cmp_eq_u64 s[20:21], 0
	v_add_co_ci_u32_e32 v3, vcc_lo, 0, v3, vcc_lo
	v_add_co_u32 v6, vcc_lo, v6, 2
	s_cselect_b32 s28, -1, 0
	v_add_co_ci_u32_e32 v7, vcc_lo, 0, v7, vcc_lo
	s_and_not1_b32 s27, s27, exec_lo
	s_and_b32 s29, s29, exec_lo
	s_and_not1_b32 s25, s25, exec_lo
	s_and_b32 s28, s28, exec_lo
	s_or_b32 s27, s27, s29
	s_and_not1_b32 s26, s26, exec_lo
	s_or_b32 s25, s25, s28
                                        ; implicit-def: $sgpr28
	s_branch .LBB1366_423
.LBB1366_426:
	s_set_inst_prefetch_distance 0x2
	s_or_b32 exec_lo, exec_lo, s23
	s_xor_b32 s0, s24, -1
	s_branch .LBB1366_428
.LBB1366_427:
	s_mov_b32 s0, -1
.LBB1366_428:
	s_and_not1_b32 s12, s12, exec_lo
	s_and_b32 s0, s0, exec_lo
	s_delay_alu instid0(SALU_CYCLE_1)
	s_or_b32 s12, s12, s0
.LBB1366_429:
	s_or_b32 exec_lo, exec_lo, s22
	v_cndmask_b32_e64 v2, v9, v8, s12
	v_cndmask_b32_e64 v3, v15, v14, s12
	s_mov_b32 s22, exec_lo
	s_delay_alu instid0(VALU_DEP_2) | instskip(NEXT) | instid1(VALU_DEP_2)
	v_add_nc_u32_e32 v6, 1, v2
	v_add_nc_u32_e32 v2, -1, v3
	s_delay_alu instid0(VALU_DEP_2) | instskip(NEXT) | instid1(VALU_DEP_2)
	v_cndmask_b32_e64 v9, v6, v9, s12
	v_min_u32_e32 v2, v6, v2
	v_cndmask_b32_e64 v8, v8, v6, s12
	s_delay_alu instid0(VALU_DEP_2)
	v_lshlrev_b32_e32 v2, 3, v2
	ds_load_b64 v[2:3], v2
	s_waitcnt lgkmcnt(0)
	v_cndmask_b32_e64 v10, v3, v5, s12
	v_cndmask_b32_e64 v11, v2, v4, s12
	;; [unrolled: 1-line block ×4, first 2 shown]
	v_cmpx_lt_u32_e64 v9, v15
	s_cbranch_execz .LBB1366_440
; %bb.430:
	s_mov_b32 s0, 0
	s_mov_b32 s19, exec_lo
	v_cmpx_lt_u32_e64 v8, v14
	s_cbranch_execz .LBB1366_439
; %bb.431:
	s_and_not1_b32 vcc_lo, exec_lo, s7
	s_cbranch_vccnz .LBB1366_437
; %bb.432:
	v_mul_lo_u32 v19, v10, s8
	v_mul_lo_u32 v20, v11, s9
	v_mad_u64_u32 v[2:3], null, v11, s8, 0
	v_mul_lo_u32 v21, v17, s8
	v_mul_lo_u32 v22, v18, s9
	v_mad_u64_u32 v[6:7], null, v18, s8, 0
	s_mov_b32 s23, 0
	s_mov_b64 s[20:21], s[8:9]
	s_delay_alu instid0(VALU_DEP_4) | instskip(NEXT) | instid1(VALU_DEP_2)
	v_add3_u32 v3, v3, v20, v19
                                        ; implicit-def: $sgpr24
                                        ; implicit-def: $sgpr25
                                        ; implicit-def: $sgpr26
                                        ; implicit-def: $sgpr27
                                        ; implicit-def: $sgpr28
	v_add3_u32 v7, v7, v22, v21
	s_delay_alu instid0(VALU_DEP_2) | instskip(NEXT) | instid1(VALU_DEP_2)
	v_lshlrev_b64 v[2:3], 1, v[2:3]
	v_lshlrev_b64 v[6:7], 1, v[6:7]
	s_delay_alu instid0(VALU_DEP_2) | instskip(NEXT) | instid1(VALU_DEP_3)
	v_add_co_u32 v2, vcc_lo, s10, v2
	v_add_co_ci_u32_e32 v3, vcc_lo, s11, v3, vcc_lo
	s_delay_alu instid0(VALU_DEP_3) | instskip(NEXT) | instid1(VALU_DEP_4)
	v_add_co_u32 v6, vcc_lo, s10, v6
	v_add_co_ci_u32_e32 v7, vcc_lo, s11, v7, vcc_lo
	s_set_inst_prefetch_distance 0x1
	s_branch .LBB1366_434
	.p2align	6
.LBB1366_433:                           ;   in Loop: Header=BB1366_434 Depth=1
	s_or_b32 exec_lo, exec_lo, s0
	s_delay_alu instid0(SALU_CYCLE_1) | instskip(NEXT) | instid1(SALU_CYCLE_1)
	s_and_b32 s0, exec_lo, s25
	s_or_b32 s23, s0, s23
	s_and_not1_b32 s0, s28, exec_lo
	s_and_b32 s28, s27, exec_lo
	s_and_not1_b32 s24, s24, exec_lo
	s_and_b32 s29, s26, exec_lo
	s_or_b32 s28, s0, s28
	s_or_b32 s24, s24, s29
	s_and_not1_b32 exec_lo, exec_lo, s23
	s_cbranch_execz .LBB1366_436
.LBB1366_434:                           ; =>This Inner Loop Header: Depth=1
	global_load_u16 v19, v[2:3], off
	global_load_u16 v20, v[6:7], off
	s_and_not1_b32 s26, s26, exec_lo
	s_and_not1_b32 s27, s27, exec_lo
	s_or_b32 s25, s25, exec_lo
	s_waitcnt vmcnt(0)
	v_cmp_le_u16_e32 vcc_lo, v19, v20
	v_cmp_lt_u16_e64 s0, v19, v20
	s_and_b32 s29, vcc_lo, s28
	s_delay_alu instid0(VALU_DEP_1) | instid1(SALU_CYCLE_1)
	s_or_b32 s29, s0, s29
	s_delay_alu instid0(SALU_CYCLE_1) | instskip(NEXT) | instid1(SALU_CYCLE_1)
	s_and_b32 s0, s29, exec_lo
	s_or_b32 s26, s26, s0
	s_mov_b32 s0, exec_lo
	v_cmpx_eq_u16_e64 v19, v20
	s_cbranch_execz .LBB1366_433
; %bb.435:                              ;   in Loop: Header=BB1366_434 Depth=1
	s_add_u32 s20, s20, -1
	s_addc_u32 s21, s21, -1
	v_add_co_u32 v2, vcc_lo, v2, 2
	s_cmp_eq_u64 s[20:21], 0
	v_add_co_ci_u32_e32 v3, vcc_lo, 0, v3, vcc_lo
	v_add_co_u32 v6, vcc_lo, v6, 2
	s_cselect_b32 s28, -1, 0
	v_add_co_ci_u32_e32 v7, vcc_lo, 0, v7, vcc_lo
	s_and_not1_b32 s27, s27, exec_lo
	s_and_b32 s29, s29, exec_lo
	s_and_not1_b32 s25, s25, exec_lo
	s_and_b32 s28, s28, exec_lo
	s_or_b32 s27, s27, s29
	s_and_not1_b32 s26, s26, exec_lo
	s_or_b32 s25, s25, s28
                                        ; implicit-def: $sgpr28
	s_branch .LBB1366_433
.LBB1366_436:
	s_set_inst_prefetch_distance 0x2
	s_or_b32 exec_lo, exec_lo, s23
	s_xor_b32 s0, s24, -1
	s_branch .LBB1366_438
.LBB1366_437:
	s_mov_b32 s0, -1
.LBB1366_438:
	s_delay_alu instid0(SALU_CYCLE_1)
	s_and_b32 s0, s0, exec_lo
.LBB1366_439:
	s_or_b32 exec_lo, exec_lo, s19
	s_delay_alu instid0(SALU_CYCLE_1)
	s_or_not1_b32 s19, s0, exec_lo
.LBB1366_440:
	s_or_b32 exec_lo, exec_lo, s22
	v_cndmask_b32_e64 v2, v9, v8, s19
	v_cndmask_b32_e64 v3, v15, v14, s19
	s_mov_b32 s0, -1
	s_mov_b32 s22, exec_lo
	s_delay_alu instid0(VALU_DEP_2) | instskip(NEXT) | instid1(VALU_DEP_2)
	v_add_nc_u32_e32 v6, 1, v2
	v_add_nc_u32_e32 v2, -1, v3
	s_delay_alu instid0(VALU_DEP_2) | instskip(NEXT) | instid1(VALU_DEP_2)
	v_cndmask_b32_e64 v22, v6, v9, s19
	v_min_u32_e32 v2, v6, v2
	v_cndmask_b32_e64 v19, v8, v6, s19
	s_delay_alu instid0(VALU_DEP_2)
	v_lshlrev_b32_e32 v2, 3, v2
	ds_load_b64 v[2:3], v2
	s_waitcnt lgkmcnt(0)
	v_cndmask_b32_e64 v20, v3, v10, s19
	v_cndmask_b32_e64 v21, v2, v11, s19
	;; [unrolled: 1-line block ×4, first 2 shown]
	v_cmpx_lt_u32_e64 v22, v15
	s_cbranch_execz .LBB1366_451
; %bb.441:
	s_mov_b32 s0, 0
	s_mov_b32 s23, exec_lo
	v_cmpx_lt_u32_e64 v19, v14
	s_cbranch_execz .LBB1366_450
; %bb.442:
	s_and_not1_b32 vcc_lo, exec_lo, s7
	s_cbranch_vccnz .LBB1366_448
; %bb.443:
	v_mul_lo_u32 v8, v20, s8
	v_mul_lo_u32 v9, v21, s9
	v_mad_u64_u32 v[2:3], null, v21, s8, 0
	v_mul_lo_u32 v25, v23, s8
	v_mul_lo_u32 v40, v24, s9
	v_mad_u64_u32 v[6:7], null, v24, s8, 0
	s_mov_b32 s24, 0
	s_mov_b64 s[20:21], s[8:9]
	s_delay_alu instid0(VALU_DEP_4) | instskip(NEXT) | instid1(VALU_DEP_2)
	v_add3_u32 v3, v3, v9, v8
                                        ; implicit-def: $sgpr25
                                        ; implicit-def: $sgpr26
                                        ; implicit-def: $sgpr27
                                        ; implicit-def: $sgpr28
                                        ; implicit-def: $sgpr29
	v_add3_u32 v7, v7, v40, v25
	s_delay_alu instid0(VALU_DEP_2) | instskip(NEXT) | instid1(VALU_DEP_2)
	v_lshlrev_b64 v[2:3], 1, v[2:3]
	v_lshlrev_b64 v[6:7], 1, v[6:7]
	s_delay_alu instid0(VALU_DEP_2) | instskip(NEXT) | instid1(VALU_DEP_3)
	v_add_co_u32 v2, vcc_lo, s10, v2
	v_add_co_ci_u32_e32 v3, vcc_lo, s11, v3, vcc_lo
	s_delay_alu instid0(VALU_DEP_3) | instskip(NEXT) | instid1(VALU_DEP_4)
	v_add_co_u32 v6, vcc_lo, s10, v6
	v_add_co_ci_u32_e32 v7, vcc_lo, s11, v7, vcc_lo
	s_set_inst_prefetch_distance 0x1
	s_branch .LBB1366_445
	.p2align	6
.LBB1366_444:                           ;   in Loop: Header=BB1366_445 Depth=1
	s_or_b32 exec_lo, exec_lo, s0
	s_delay_alu instid0(SALU_CYCLE_1) | instskip(NEXT) | instid1(SALU_CYCLE_1)
	s_and_b32 s0, exec_lo, s26
	s_or_b32 s24, s0, s24
	s_and_not1_b32 s0, s29, exec_lo
	s_and_b32 s29, s28, exec_lo
	s_and_not1_b32 s25, s25, exec_lo
	s_and_b32 s30, s27, exec_lo
	s_or_b32 s29, s0, s29
	s_or_b32 s25, s25, s30
	s_and_not1_b32 exec_lo, exec_lo, s24
	s_cbranch_execz .LBB1366_447
.LBB1366_445:                           ; =>This Inner Loop Header: Depth=1
	global_load_u16 v8, v[2:3], off
	global_load_u16 v9, v[6:7], off
	s_and_not1_b32 s27, s27, exec_lo
	s_and_not1_b32 s28, s28, exec_lo
	s_or_b32 s26, s26, exec_lo
	s_waitcnt vmcnt(0)
	v_cmp_le_u16_e32 vcc_lo, v8, v9
	v_cmp_lt_u16_e64 s0, v8, v9
	s_and_b32 s30, vcc_lo, s29
	s_delay_alu instid0(VALU_DEP_1) | instid1(SALU_CYCLE_1)
	s_or_b32 s30, s0, s30
	s_delay_alu instid0(SALU_CYCLE_1) | instskip(NEXT) | instid1(SALU_CYCLE_1)
	s_and_b32 s0, s30, exec_lo
	s_or_b32 s27, s27, s0
	s_mov_b32 s0, exec_lo
	v_cmpx_eq_u16_e64 v8, v9
	s_cbranch_execz .LBB1366_444
; %bb.446:                              ;   in Loop: Header=BB1366_445 Depth=1
	s_add_u32 s20, s20, -1
	s_addc_u32 s21, s21, -1
	v_add_co_u32 v2, vcc_lo, v2, 2
	s_cmp_eq_u64 s[20:21], 0
	v_add_co_ci_u32_e32 v3, vcc_lo, 0, v3, vcc_lo
	v_add_co_u32 v6, vcc_lo, v6, 2
	s_cselect_b32 s29, -1, 0
	v_add_co_ci_u32_e32 v7, vcc_lo, 0, v7, vcc_lo
	s_and_not1_b32 s28, s28, exec_lo
	s_and_b32 s30, s30, exec_lo
	s_and_not1_b32 s26, s26, exec_lo
	s_and_b32 s29, s29, exec_lo
	s_or_b32 s28, s28, s30
	s_and_not1_b32 s27, s27, exec_lo
	s_or_b32 s26, s26, s29
                                        ; implicit-def: $sgpr29
	s_branch .LBB1366_444
.LBB1366_447:
	s_set_inst_prefetch_distance 0x2
	s_or_b32 exec_lo, exec_lo, s24
	s_xor_b32 s0, s25, -1
	s_branch .LBB1366_449
.LBB1366_448:
	s_mov_b32 s0, -1
.LBB1366_449:
	s_delay_alu instid0(SALU_CYCLE_1)
	s_and_b32 s0, s0, exec_lo
.LBB1366_450:
	s_or_b32 exec_lo, exec_lo, s23
	s_delay_alu instid0(SALU_CYCLE_1)
	s_or_not1_b32 s0, s0, exec_lo
.LBB1366_451:
	s_or_b32 exec_lo, exec_lo, s22
	v_cndmask_b32_e64 v2, v22, v19, s0
	v_cndmask_b32_e64 v3, v15, v14, s0
	;; [unrolled: 1-line block ×5, first 2 shown]
	v_add_nc_u32_e32 v25, 1, v2
	v_add_nc_u32_e32 v2, -1, v3
	v_cndmask_b32_e64 v3, v10, v17, s19
	v_cndmask_b32_e64 v4, v21, v24, s0
	s_mov_b32 s12, exec_lo
	v_cndmask_b32_e64 v10, v25, v22, s0
	v_min_u32_e32 v2, v25, v2
	s_delay_alu instid0(VALU_DEP_1)
	v_lshlrev_b32_e32 v2, 3, v2
	ds_load_b64 v[8:9], v2
	v_cndmask_b32_e64 v2, v11, v18, s19
	s_waitcnt lgkmcnt(0)
	v_cndmask_b32_e64 v7, v23, v9, s0
	v_cndmask_b32_e64 v6, v24, v8, s0
	v_cmpx_lt_u32_e64 v10, v15
	s_cbranch_execz .LBB1366_461
; %bb.452:
	v_cndmask_b32_e64 v10, v19, v25, s0
	v_cndmask_b32_e64 v9, v9, v20, s0
	;; [unrolled: 1-line block ×3, first 2 shown]
	s_mov_b32 s19, exec_lo
	s_delay_alu instid0(VALU_DEP_3)
	v_cmpx_lt_u32_e64 v10, v14
	s_cbranch_execz .LBB1366_460
; %bb.453:
	s_and_not1_b32 vcc_lo, exec_lo, s7
	s_cbranch_vccnz .LBB1366_459
; %bb.454:
	v_mul_lo_u32 v17, v9, s8
	v_mul_lo_u32 v18, v8, s9
	v_mad_u64_u32 v[10:11], null, v8, s8, 0
	v_mul_lo_u32 v19, v7, s8
	v_mul_lo_u32 v20, v6, s9
	v_mad_u64_u32 v[14:15], null, v6, s8, 0
	s_mov_b32 s22, 0
	s_mov_b64 s[20:21], s[8:9]
	s_delay_alu instid0(VALU_DEP_4) | instskip(NEXT) | instid1(VALU_DEP_2)
	v_add3_u32 v11, v11, v18, v17
                                        ; implicit-def: $sgpr23
                                        ; implicit-def: $sgpr24
                                        ; implicit-def: $sgpr25
                                        ; implicit-def: $sgpr26
                                        ; implicit-def: $sgpr27
	v_add3_u32 v15, v15, v20, v19
	s_delay_alu instid0(VALU_DEP_2) | instskip(NEXT) | instid1(VALU_DEP_2)
	v_lshlrev_b64 v[10:11], 1, v[10:11]
	v_lshlrev_b64 v[14:15], 1, v[14:15]
	s_delay_alu instid0(VALU_DEP_2) | instskip(NEXT) | instid1(VALU_DEP_3)
	v_add_co_u32 v10, vcc_lo, s10, v10
	v_add_co_ci_u32_e32 v11, vcc_lo, s11, v11, vcc_lo
	s_delay_alu instid0(VALU_DEP_3) | instskip(NEXT) | instid1(VALU_DEP_4)
	v_add_co_u32 v14, vcc_lo, s10, v14
	v_add_co_ci_u32_e32 v15, vcc_lo, s11, v15, vcc_lo
	s_set_inst_prefetch_distance 0x1
	s_branch .LBB1366_456
	.p2align	6
.LBB1366_455:                           ;   in Loop: Header=BB1366_456 Depth=1
	s_or_b32 exec_lo, exec_lo, s0
	s_delay_alu instid0(SALU_CYCLE_1) | instskip(NEXT) | instid1(SALU_CYCLE_1)
	s_and_b32 s0, exec_lo, s24
	s_or_b32 s22, s0, s22
	s_and_not1_b32 s0, s27, exec_lo
	s_and_b32 s27, s26, exec_lo
	s_and_not1_b32 s23, s23, exec_lo
	s_and_b32 s28, s25, exec_lo
	s_or_b32 s27, s0, s27
	s_or_b32 s23, s23, s28
	s_and_not1_b32 exec_lo, exec_lo, s22
	s_cbranch_execz .LBB1366_458
.LBB1366_456:                           ; =>This Inner Loop Header: Depth=1
	global_load_u16 v17, v[10:11], off
	global_load_u16 v18, v[14:15], off
	s_and_not1_b32 s25, s25, exec_lo
	s_and_not1_b32 s26, s26, exec_lo
	s_or_b32 s24, s24, exec_lo
	s_waitcnt vmcnt(0)
	v_cmp_le_u16_e32 vcc_lo, v17, v18
	v_cmp_lt_u16_e64 s0, v17, v18
	s_and_b32 s28, vcc_lo, s27
	s_delay_alu instid0(VALU_DEP_1) | instid1(SALU_CYCLE_1)
	s_or_b32 s28, s0, s28
	s_delay_alu instid0(SALU_CYCLE_1) | instskip(NEXT) | instid1(SALU_CYCLE_1)
	s_and_b32 s0, s28, exec_lo
	s_or_b32 s25, s25, s0
	s_mov_b32 s0, exec_lo
	v_cmpx_eq_u16_e64 v17, v18
	s_cbranch_execz .LBB1366_455
; %bb.457:                              ;   in Loop: Header=BB1366_456 Depth=1
	s_add_u32 s20, s20, -1
	s_addc_u32 s21, s21, -1
	v_add_co_u32 v10, vcc_lo, v10, 2
	s_cmp_eq_u64 s[20:21], 0
	v_add_co_ci_u32_e32 v11, vcc_lo, 0, v11, vcc_lo
	v_add_co_u32 v14, vcc_lo, v14, 2
	s_cselect_b32 s27, -1, 0
	v_add_co_ci_u32_e32 v15, vcc_lo, 0, v15, vcc_lo
	s_and_not1_b32 s26, s26, exec_lo
	s_and_b32 s28, s28, exec_lo
	s_and_not1_b32 s24, s24, exec_lo
	s_and_b32 s27, s27, exec_lo
	s_or_b32 s26, s26, s28
	s_and_not1_b32 s25, s25, exec_lo
	s_or_b32 s24, s24, s27
                                        ; implicit-def: $sgpr27
	s_branch .LBB1366_455
.LBB1366_458:
	s_set_inst_prefetch_distance 0x2
	s_or_b32 exec_lo, exec_lo, s22
	v_cndmask_b32_e64 v7, v7, v9, s23
	v_cndmask_b32_e64 v6, v6, v8, s23
.LBB1366_459:
	s_delay_alu instid0(VALU_DEP_1)
	v_dual_mov_b32 v9, v7 :: v_dual_mov_b32 v8, v6
.LBB1366_460:
	s_or_b32 exec_lo, exec_lo, s19
	s_delay_alu instid0(VALU_DEP_1)
	v_dual_mov_b32 v6, v8 :: v_dual_mov_b32 v7, v9
.LBB1366_461:
	s_or_b32 exec_lo, exec_lo, s12
.LBB1366_462:
	s_delay_alu instid0(SALU_CYCLE_1) | instskip(SKIP_4) | instid1(VALU_DEP_2)
	s_or_b32 exec_lo, exec_lo, s1
	v_and_b32_e32 v18, 0xc00, v27
	v_and_b32_e32 v19, 0x3fc, v27
	s_mov_b32 s1, exec_lo
	s_barrier
	v_or_b32_e32 v8, 0x200, v18
	v_lshlrev_b32_e32 v17, 3, v18
	buffer_gl0_inv
	ds_store_b128 v16, v[0:3]
	ds_store_b128 v16, v[4:7] offset:16
	s_waitcnt lgkmcnt(0)
	v_min_u32_e32 v14, 0x400, v8
	s_barrier
	buffer_gl0_inv
	v_sub_nc_u32_e32 v8, 0x400, v14
	v_sub_nc_u32_e32 v9, v14, v18
	s_delay_alu instid0(VALU_DEP_2) | instskip(NEXT) | instid1(VALU_DEP_2)
	v_sub_nc_u32_e64 v15, v19, v8 clamp
	v_min_u32_e32 v20, v19, v9
	s_delay_alu instid0(VALU_DEP_1)
	v_cmpx_lt_u32_e64 v15, v20
	s_cbranch_execz .LBB1366_472
; %bb.463:
	v_lshlrev_b32_e32 v8, 3, v19
	s_lshl_b64 s[20:21], s[8:9], 1
	s_mov_b32 s12, 0
	s_delay_alu instid0(VALU_DEP_1)
	v_lshl_add_u32 v16, v14, 3, v8
	s_branch .LBB1366_466
.LBB1366_464:                           ;   in Loop: Header=BB1366_466 Depth=1
	s_set_inst_prefetch_distance 0x2
	s_or_b32 exec_lo, exec_lo, s19
.LBB1366_465:                           ;   in Loop: Header=BB1366_466 Depth=1
	s_delay_alu instid0(VALU_DEP_1) | instskip(SKIP_1) | instid1(VALU_DEP_2)
	v_add_nc_u32_e32 v8, 1, v21
	v_cndmask_b32_e64 v20, v20, v21, s24
	v_cndmask_b32_e64 v15, v8, v15, s24
	s_delay_alu instid0(VALU_DEP_1) | instskip(SKIP_1) | instid1(SALU_CYCLE_1)
	v_cmp_ge_u32_e32 vcc_lo, v15, v20
	s_or_b32 s12, vcc_lo, s12
	s_and_not1_b32 exec_lo, exec_lo, s12
	s_cbranch_execz .LBB1366_471
.LBB1366_466:                           ; =>This Loop Header: Depth=1
                                        ;     Child Loop BB1366_469 Depth 2
	v_add_nc_u32_e32 v8, v20, v15
	s_and_not1_b32 vcc_lo, exec_lo, s7
	s_mov_b32 s24, 0
	s_delay_alu instid0(VALU_DEP_1)
	v_lshrrev_b32_e32 v21, 1, v8
	s_cbranch_vccnz .LBB1366_465
; %bb.467:                              ;   in Loop: Header=BB1366_466 Depth=1
	s_delay_alu instid0(VALU_DEP_1) | instskip(SKIP_3) | instid1(VALU_DEP_2)
	v_not_b32_e32 v8, v21
	v_lshl_add_u32 v9, v21, 3, v17
	s_mov_b32 s19, 0
	s_mov_b64 s[22:23], s[8:9]
                                        ; implicit-def: $sgpr24
                                        ; implicit-def: $sgpr25
                                        ; implicit-def: $sgpr26
                                        ; implicit-def: $sgpr27
                                        ; implicit-def: $sgpr28
	v_lshl_add_u32 v8, v8, 3, v16
	ds_load_b64 v[10:11], v8
	ds_load_b64 v[22:23], v9
	s_waitcnt lgkmcnt(1)
	v_mul_lo_u32 v24, s20, v11
	v_mul_lo_u32 v25, s21, v10
	v_mad_u64_u32 v[8:9], null, s20, v10, s[10:11]
	s_waitcnt lgkmcnt(0)
	v_mul_lo_u32 v23, s20, v23
	v_mul_lo_u32 v40, s21, v22
	v_mad_u64_u32 v[10:11], null, s20, v22, s[10:11]
	s_delay_alu instid0(VALU_DEP_4) | instskip(NEXT) | instid1(VALU_DEP_2)
	v_add3_u32 v9, v25, v9, v24
	v_add3_u32 v11, v40, v11, v23
	s_set_inst_prefetch_distance 0x1
	s_branch .LBB1366_469
	.p2align	6
.LBB1366_468:                           ;   in Loop: Header=BB1366_469 Depth=2
	s_or_b32 exec_lo, exec_lo, s29
	s_delay_alu instid0(SALU_CYCLE_1) | instskip(NEXT) | instid1(SALU_CYCLE_1)
	s_and_b32 s0, exec_lo, s25
	s_or_b32 s19, s0, s19
	s_and_not1_b32 s0, s28, exec_lo
	s_and_b32 s28, s26, exec_lo
	s_and_not1_b32 s24, s24, exec_lo
	s_and_b32 s29, s27, exec_lo
	s_or_b32 s28, s0, s28
	s_or_b32 s24, s24, s29
	s_and_not1_b32 exec_lo, exec_lo, s19
	s_cbranch_execz .LBB1366_464
.LBB1366_469:                           ;   Parent Loop BB1366_466 Depth=1
                                        ; =>  This Inner Loop Header: Depth=2
	global_load_u16 v22, v[8:9], off
	global_load_u16 v23, v[10:11], off
	s_and_not1_b32 s27, s27, exec_lo
	s_and_not1_b32 s26, s26, exec_lo
	s_or_b32 s25, s25, exec_lo
	s_waitcnt vmcnt(0)
	v_cmp_le_u16_e32 vcc_lo, v22, v23
	v_cmp_lt_u16_e64 s0, v22, v23
	s_and_b32 s29, vcc_lo, s28
	s_delay_alu instid0(VALU_DEP_1) | instid1(SALU_CYCLE_1)
	s_or_b32 s0, s0, s29
	s_delay_alu instid0(SALU_CYCLE_1) | instskip(NEXT) | instid1(SALU_CYCLE_1)
	s_and_b32 s29, s0, exec_lo
	s_or_b32 s27, s27, s29
	s_mov_b32 s29, exec_lo
	v_cmpx_eq_u16_e64 v22, v23
	s_cbranch_execz .LBB1366_468
; %bb.470:                              ;   in Loop: Header=BB1366_469 Depth=2
	s_add_u32 s22, s22, -1
	s_addc_u32 s23, s23, -1
	v_add_co_u32 v8, vcc_lo, v8, 2
	v_add_co_ci_u32_e32 v9, vcc_lo, 0, v9, vcc_lo
	s_cmp_eq_u64 s[22:23], 0
	v_add_co_u32 v10, vcc_lo, v10, 2
	s_cselect_b32 s28, -1, 0
	v_add_co_ci_u32_e32 v11, vcc_lo, 0, v11, vcc_lo
	s_and_not1_b32 s26, s26, exec_lo
	s_and_b32 s0, s0, exec_lo
	s_and_not1_b32 s25, s25, exec_lo
	s_and_b32 s28, s28, exec_lo
	s_and_not1_b32 s27, s27, exec_lo
	s_or_b32 s26, s26, s0
	s_or_b32 s25, s25, s28
                                        ; implicit-def: $sgpr28
	s_branch .LBB1366_468
.LBB1366_471:
	s_or_b32 exec_lo, exec_lo, s12
.LBB1366_472:
	s_delay_alu instid0(SALU_CYCLE_1) | instskip(SKIP_2) | instid1(VALU_DEP_2)
	s_or_b32 exec_lo, exec_lo, s1
	v_sub_nc_u32_e32 v8, v19, v15
	v_add_nc_u32_e32 v9, v15, v18
	v_add_nc_u32_e32 v10, v8, v14
	s_delay_alu instid0(VALU_DEP_2) | instskip(NEXT) | instid1(VALU_DEP_2)
	v_cmp_le_u32_e32 vcc_lo, v9, v14
	v_cmp_gt_u32_e64 s0, 0x401, v10
	s_delay_alu instid0(VALU_DEP_1) | instskip(NEXT) | instid1(SALU_CYCLE_1)
	s_or_b32 s0, vcc_lo, s0
	s_and_saveexec_b32 s1, s0
	s_cbranch_execz .LBB1366_519
; %bb.473:
	v_cmp_ge_u32_e32 vcc_lo, v9, v14
	s_mov_b32 s12, exec_lo
                                        ; implicit-def: $vgpr0_vgpr1
	v_cmpx_lt_u32_e64 v9, v14
	s_cbranch_execz .LBB1366_475
; %bb.474:
	v_lshl_add_u32 v0, v15, 3, v17
	ds_load_b64 v[0:1], v0
.LBB1366_475:
	s_or_b32 exec_lo, exec_lo, s12
	v_cmp_lt_u32_e64 s12, 0x3ff, v10
	s_mov_b32 s19, exec_lo
                                        ; implicit-def: $vgpr4_vgpr5
	v_cmpx_gt_u32_e32 0x400, v10
	s_cbranch_execz .LBB1366_477
; %bb.476:
	v_lshlrev_b32_e32 v2, 3, v10
	ds_load_b64 v[4:5], v2
.LBB1366_477:
	s_or_b32 exec_lo, exec_lo, s19
	s_or_b32 s0, vcc_lo, s12
	s_mov_b32 s19, -1
	s_xor_b32 s0, s0, -1
	s_delay_alu instid0(SALU_CYCLE_1)
	s_and_saveexec_b32 s22, s0
	s_cbranch_execz .LBB1366_486
; %bb.478:
	s_and_not1_b32 vcc_lo, exec_lo, s7
	s_cbranch_vccnz .LBB1366_484
; %bb.479:
	s_waitcnt lgkmcnt(0)
	v_mul_lo_u32 v8, v5, s8
	v_mul_lo_u32 v11, v4, s9
	v_mad_u64_u32 v[2:3], null, v4, s8, 0
	v_mul_lo_u32 v15, v1, s8
	v_mul_lo_u32 v16, v0, s9
	v_mad_u64_u32 v[6:7], null, v0, s8, 0
	s_mov_b32 s23, 0
	s_mov_b64 s[20:21], s[8:9]
	s_delay_alu instid0(VALU_DEP_4) | instskip(NEXT) | instid1(VALU_DEP_2)
	v_add3_u32 v3, v3, v11, v8
                                        ; implicit-def: $sgpr24
                                        ; implicit-def: $sgpr25
                                        ; implicit-def: $sgpr26
                                        ; implicit-def: $sgpr27
                                        ; implicit-def: $sgpr28
	v_add3_u32 v7, v7, v16, v15
	s_delay_alu instid0(VALU_DEP_2) | instskip(NEXT) | instid1(VALU_DEP_2)
	v_lshlrev_b64 v[2:3], 1, v[2:3]
	v_lshlrev_b64 v[6:7], 1, v[6:7]
	s_delay_alu instid0(VALU_DEP_2) | instskip(NEXT) | instid1(VALU_DEP_3)
	v_add_co_u32 v2, vcc_lo, s10, v2
	v_add_co_ci_u32_e32 v3, vcc_lo, s11, v3, vcc_lo
	s_delay_alu instid0(VALU_DEP_3) | instskip(NEXT) | instid1(VALU_DEP_4)
	v_add_co_u32 v6, vcc_lo, s10, v6
	v_add_co_ci_u32_e32 v7, vcc_lo, s11, v7, vcc_lo
	s_set_inst_prefetch_distance 0x1
	s_branch .LBB1366_481
	.p2align	6
.LBB1366_480:                           ;   in Loop: Header=BB1366_481 Depth=1
	s_or_b32 exec_lo, exec_lo, s0
	s_delay_alu instid0(SALU_CYCLE_1) | instskip(NEXT) | instid1(SALU_CYCLE_1)
	s_and_b32 s0, exec_lo, s25
	s_or_b32 s23, s0, s23
	s_and_not1_b32 s0, s28, exec_lo
	s_and_b32 s28, s27, exec_lo
	s_and_not1_b32 s24, s24, exec_lo
	s_and_b32 s29, s26, exec_lo
	s_or_b32 s28, s0, s28
	s_or_b32 s24, s24, s29
	s_and_not1_b32 exec_lo, exec_lo, s23
	s_cbranch_execz .LBB1366_483
.LBB1366_481:                           ; =>This Inner Loop Header: Depth=1
	global_load_u16 v8, v[2:3], off
	global_load_u16 v11, v[6:7], off
	s_and_not1_b32 s26, s26, exec_lo
	s_and_not1_b32 s27, s27, exec_lo
	s_or_b32 s25, s25, exec_lo
	s_waitcnt vmcnt(0)
	v_cmp_le_u16_e32 vcc_lo, v8, v11
	v_cmp_lt_u16_e64 s0, v8, v11
	s_and_b32 s29, vcc_lo, s28
	s_delay_alu instid0(VALU_DEP_1) | instid1(SALU_CYCLE_1)
	s_or_b32 s29, s0, s29
	s_delay_alu instid0(SALU_CYCLE_1) | instskip(NEXT) | instid1(SALU_CYCLE_1)
	s_and_b32 s0, s29, exec_lo
	s_or_b32 s26, s26, s0
	s_mov_b32 s0, exec_lo
	v_cmpx_eq_u16_e64 v8, v11
	s_cbranch_execz .LBB1366_480
; %bb.482:                              ;   in Loop: Header=BB1366_481 Depth=1
	s_add_u32 s20, s20, -1
	s_addc_u32 s21, s21, -1
	v_add_co_u32 v2, vcc_lo, v2, 2
	s_cmp_eq_u64 s[20:21], 0
	v_add_co_ci_u32_e32 v3, vcc_lo, 0, v3, vcc_lo
	v_add_co_u32 v6, vcc_lo, v6, 2
	s_cselect_b32 s28, -1, 0
	v_add_co_ci_u32_e32 v7, vcc_lo, 0, v7, vcc_lo
	s_and_not1_b32 s27, s27, exec_lo
	s_and_b32 s29, s29, exec_lo
	s_and_not1_b32 s25, s25, exec_lo
	s_and_b32 s28, s28, exec_lo
	s_or_b32 s27, s27, s29
	s_and_not1_b32 s26, s26, exec_lo
	s_or_b32 s25, s25, s28
                                        ; implicit-def: $sgpr28
	s_branch .LBB1366_480
.LBB1366_483:
	s_set_inst_prefetch_distance 0x2
	s_or_b32 exec_lo, exec_lo, s23
	s_xor_b32 s0, s24, -1
	s_branch .LBB1366_485
.LBB1366_484:
	s_mov_b32 s0, -1
.LBB1366_485:
	s_and_not1_b32 s12, s12, exec_lo
	s_and_b32 s0, s0, exec_lo
	s_delay_alu instid0(SALU_CYCLE_1)
	s_or_b32 s12, s12, s0
.LBB1366_486:
	s_or_b32 exec_lo, exec_lo, s22
	v_cndmask_b32_e64 v2, v10, v9, s12
	v_add_nc_u32_e32 v8, -1, v14
	s_mov_b32 s22, exec_lo
	s_delay_alu instid0(VALU_DEP_2) | instskip(NEXT) | instid1(VALU_DEP_2)
	v_add_nc_u32_e32 v6, 1, v2
	v_cndmask_b32_e64 v2, 0x3ff, v8, s12
	s_delay_alu instid0(VALU_DEP_2) | instskip(NEXT) | instid1(VALU_DEP_2)
	v_cndmask_b32_e64 v17, v6, v10, s12
	v_min_u32_e32 v2, v6, v2
	v_cndmask_b32_e64 v9, v9, v6, s12
	s_delay_alu instid0(VALU_DEP_2)
	v_lshlrev_b32_e32 v2, 3, v2
	ds_load_b64 v[2:3], v2
	s_waitcnt lgkmcnt(0)
	v_cndmask_b32_e64 v10, v3, v5, s12
	v_cndmask_b32_e64 v11, v2, v4, s12
	;; [unrolled: 1-line block ×4, first 2 shown]
	v_cmpx_gt_u32_e32 0x400, v17
	s_cbranch_execz .LBB1366_497
; %bb.487:
	s_mov_b32 s0, 0
	s_mov_b32 s19, exec_lo
	v_cmpx_lt_u32_e64 v9, v14
	s_cbranch_execz .LBB1366_496
; %bb.488:
	s_and_not1_b32 vcc_lo, exec_lo, s7
	s_cbranch_vccnz .LBB1366_494
; %bb.489:
	v_mul_lo_u32 v18, v10, s8
	v_mul_lo_u32 v19, v11, s9
	v_mad_u64_u32 v[2:3], null, v11, s8, 0
	v_mul_lo_u32 v20, v15, s8
	v_mul_lo_u32 v21, v16, s9
	v_mad_u64_u32 v[6:7], null, v16, s8, 0
	s_mov_b32 s23, 0
	s_mov_b64 s[20:21], s[8:9]
	s_delay_alu instid0(VALU_DEP_4) | instskip(NEXT) | instid1(VALU_DEP_2)
	v_add3_u32 v3, v3, v19, v18
                                        ; implicit-def: $sgpr24
                                        ; implicit-def: $sgpr25
                                        ; implicit-def: $sgpr26
                                        ; implicit-def: $sgpr27
                                        ; implicit-def: $sgpr28
	v_add3_u32 v7, v7, v21, v20
	s_delay_alu instid0(VALU_DEP_2) | instskip(NEXT) | instid1(VALU_DEP_2)
	v_lshlrev_b64 v[2:3], 1, v[2:3]
	v_lshlrev_b64 v[6:7], 1, v[6:7]
	s_delay_alu instid0(VALU_DEP_2) | instskip(NEXT) | instid1(VALU_DEP_3)
	v_add_co_u32 v2, vcc_lo, s10, v2
	v_add_co_ci_u32_e32 v3, vcc_lo, s11, v3, vcc_lo
	s_delay_alu instid0(VALU_DEP_3) | instskip(NEXT) | instid1(VALU_DEP_4)
	v_add_co_u32 v6, vcc_lo, s10, v6
	v_add_co_ci_u32_e32 v7, vcc_lo, s11, v7, vcc_lo
	s_set_inst_prefetch_distance 0x1
	s_branch .LBB1366_491
	.p2align	6
.LBB1366_490:                           ;   in Loop: Header=BB1366_491 Depth=1
	s_or_b32 exec_lo, exec_lo, s0
	s_delay_alu instid0(SALU_CYCLE_1) | instskip(NEXT) | instid1(SALU_CYCLE_1)
	s_and_b32 s0, exec_lo, s25
	s_or_b32 s23, s0, s23
	s_and_not1_b32 s0, s28, exec_lo
	s_and_b32 s28, s27, exec_lo
	s_and_not1_b32 s24, s24, exec_lo
	s_and_b32 s29, s26, exec_lo
	s_or_b32 s28, s0, s28
	s_or_b32 s24, s24, s29
	s_and_not1_b32 exec_lo, exec_lo, s23
	s_cbranch_execz .LBB1366_493
.LBB1366_491:                           ; =>This Inner Loop Header: Depth=1
	global_load_u16 v18, v[2:3], off
	global_load_u16 v19, v[6:7], off
	s_and_not1_b32 s26, s26, exec_lo
	s_and_not1_b32 s27, s27, exec_lo
	s_or_b32 s25, s25, exec_lo
	s_waitcnt vmcnt(0)
	v_cmp_le_u16_e32 vcc_lo, v18, v19
	v_cmp_lt_u16_e64 s0, v18, v19
	s_and_b32 s29, vcc_lo, s28
	s_delay_alu instid0(VALU_DEP_1) | instid1(SALU_CYCLE_1)
	s_or_b32 s29, s0, s29
	s_delay_alu instid0(SALU_CYCLE_1) | instskip(NEXT) | instid1(SALU_CYCLE_1)
	s_and_b32 s0, s29, exec_lo
	s_or_b32 s26, s26, s0
	s_mov_b32 s0, exec_lo
	v_cmpx_eq_u16_e64 v18, v19
	s_cbranch_execz .LBB1366_490
; %bb.492:                              ;   in Loop: Header=BB1366_491 Depth=1
	s_add_u32 s20, s20, -1
	s_addc_u32 s21, s21, -1
	v_add_co_u32 v2, vcc_lo, v2, 2
	s_cmp_eq_u64 s[20:21], 0
	v_add_co_ci_u32_e32 v3, vcc_lo, 0, v3, vcc_lo
	v_add_co_u32 v6, vcc_lo, v6, 2
	s_cselect_b32 s28, -1, 0
	v_add_co_ci_u32_e32 v7, vcc_lo, 0, v7, vcc_lo
	s_and_not1_b32 s27, s27, exec_lo
	s_and_b32 s29, s29, exec_lo
	s_and_not1_b32 s25, s25, exec_lo
	s_and_b32 s28, s28, exec_lo
	s_or_b32 s27, s27, s29
	s_and_not1_b32 s26, s26, exec_lo
	s_or_b32 s25, s25, s28
                                        ; implicit-def: $sgpr28
	s_branch .LBB1366_490
.LBB1366_493:
	s_set_inst_prefetch_distance 0x2
	s_or_b32 exec_lo, exec_lo, s23
	s_xor_b32 s0, s24, -1
	s_branch .LBB1366_495
.LBB1366_494:
	s_mov_b32 s0, -1
.LBB1366_495:
	s_delay_alu instid0(SALU_CYCLE_1)
	s_and_b32 s0, s0, exec_lo
.LBB1366_496:
	s_or_b32 exec_lo, exec_lo, s19
	s_delay_alu instid0(SALU_CYCLE_1)
	s_or_not1_b32 s19, s0, exec_lo
.LBB1366_497:
	s_or_b32 exec_lo, exec_lo, s22
	v_cndmask_b32_e64 v2, v17, v9, s19
	v_cndmask_b32_e64 v3, 0x3ff, v8, s19
	s_mov_b32 s0, -1
	s_mov_b32 s22, exec_lo
	s_delay_alu instid0(VALU_DEP_2) | instskip(NEXT) | instid1(VALU_DEP_1)
	v_add_nc_u32_e32 v6, 1, v2
	v_min_u32_e32 v2, v6, v3
	v_cndmask_b32_e64 v20, v6, v17, s19
	v_cndmask_b32_e64 v17, v9, v6, s19
	s_delay_alu instid0(VALU_DEP_3)
	v_lshlrev_b32_e32 v2, 3, v2
	ds_load_b64 v[2:3], v2
	s_waitcnt lgkmcnt(0)
	v_cndmask_b32_e64 v18, v3, v10, s19
	v_cndmask_b32_e64 v19, v2, v11, s19
	;; [unrolled: 1-line block ×4, first 2 shown]
	v_cmpx_gt_u32_e32 0x400, v20
	s_cbranch_execz .LBB1366_508
; %bb.498:
	s_mov_b32 s0, 0
	s_mov_b32 s23, exec_lo
	v_cmpx_lt_u32_e64 v17, v14
	s_cbranch_execz .LBB1366_507
; %bb.499:
	s_and_not1_b32 vcc_lo, exec_lo, s7
	s_cbranch_vccnz .LBB1366_505
; %bb.500:
	v_mul_lo_u32 v9, v18, s8
	v_mul_lo_u32 v23, v19, s9
	v_mad_u64_u32 v[2:3], null, v19, s8, 0
	v_mul_lo_u32 v24, v21, s8
	v_mul_lo_u32 v25, v22, s9
	v_mad_u64_u32 v[6:7], null, v22, s8, 0
	s_mov_b32 s24, 0
	s_mov_b64 s[20:21], s[8:9]
	s_delay_alu instid0(VALU_DEP_4) | instskip(NEXT) | instid1(VALU_DEP_2)
	v_add3_u32 v3, v3, v23, v9
                                        ; implicit-def: $sgpr25
                                        ; implicit-def: $sgpr26
                                        ; implicit-def: $sgpr27
                                        ; implicit-def: $sgpr28
                                        ; implicit-def: $sgpr29
	v_add3_u32 v7, v7, v25, v24
	s_delay_alu instid0(VALU_DEP_2) | instskip(NEXT) | instid1(VALU_DEP_2)
	v_lshlrev_b64 v[2:3], 1, v[2:3]
	v_lshlrev_b64 v[6:7], 1, v[6:7]
	s_delay_alu instid0(VALU_DEP_2) | instskip(NEXT) | instid1(VALU_DEP_3)
	v_add_co_u32 v2, vcc_lo, s10, v2
	v_add_co_ci_u32_e32 v3, vcc_lo, s11, v3, vcc_lo
	s_delay_alu instid0(VALU_DEP_3) | instskip(NEXT) | instid1(VALU_DEP_4)
	v_add_co_u32 v6, vcc_lo, s10, v6
	v_add_co_ci_u32_e32 v7, vcc_lo, s11, v7, vcc_lo
	s_set_inst_prefetch_distance 0x1
	s_branch .LBB1366_502
	.p2align	6
.LBB1366_501:                           ;   in Loop: Header=BB1366_502 Depth=1
	s_or_b32 exec_lo, exec_lo, s0
	s_delay_alu instid0(SALU_CYCLE_1) | instskip(NEXT) | instid1(SALU_CYCLE_1)
	s_and_b32 s0, exec_lo, s26
	s_or_b32 s24, s0, s24
	s_and_not1_b32 s0, s29, exec_lo
	s_and_b32 s29, s28, exec_lo
	s_and_not1_b32 s25, s25, exec_lo
	s_and_b32 s30, s27, exec_lo
	s_or_b32 s29, s0, s29
	s_or_b32 s25, s25, s30
	s_and_not1_b32 exec_lo, exec_lo, s24
	s_cbranch_execz .LBB1366_504
.LBB1366_502:                           ; =>This Inner Loop Header: Depth=1
	global_load_u16 v9, v[2:3], off
	global_load_u16 v23, v[6:7], off
	s_and_not1_b32 s27, s27, exec_lo
	s_and_not1_b32 s28, s28, exec_lo
	s_or_b32 s26, s26, exec_lo
	s_waitcnt vmcnt(0)
	v_cmp_le_u16_e32 vcc_lo, v9, v23
	v_cmp_lt_u16_e64 s0, v9, v23
	s_and_b32 s30, vcc_lo, s29
	s_delay_alu instid0(VALU_DEP_1) | instid1(SALU_CYCLE_1)
	s_or_b32 s30, s0, s30
	s_delay_alu instid0(SALU_CYCLE_1) | instskip(NEXT) | instid1(SALU_CYCLE_1)
	s_and_b32 s0, s30, exec_lo
	s_or_b32 s27, s27, s0
	s_mov_b32 s0, exec_lo
	v_cmpx_eq_u16_e64 v9, v23
	s_cbranch_execz .LBB1366_501
; %bb.503:                              ;   in Loop: Header=BB1366_502 Depth=1
	s_add_u32 s20, s20, -1
	s_addc_u32 s21, s21, -1
	v_add_co_u32 v2, vcc_lo, v2, 2
	s_cmp_eq_u64 s[20:21], 0
	v_add_co_ci_u32_e32 v3, vcc_lo, 0, v3, vcc_lo
	v_add_co_u32 v6, vcc_lo, v6, 2
	s_cselect_b32 s29, -1, 0
	v_add_co_ci_u32_e32 v7, vcc_lo, 0, v7, vcc_lo
	s_and_not1_b32 s28, s28, exec_lo
	s_and_b32 s30, s30, exec_lo
	s_and_not1_b32 s26, s26, exec_lo
	s_and_b32 s29, s29, exec_lo
	s_or_b32 s28, s28, s30
	s_and_not1_b32 s27, s27, exec_lo
	s_or_b32 s26, s26, s29
                                        ; implicit-def: $sgpr29
	s_branch .LBB1366_501
.LBB1366_504:
	s_set_inst_prefetch_distance 0x2
	s_or_b32 exec_lo, exec_lo, s24
	s_xor_b32 s0, s25, -1
	s_branch .LBB1366_506
.LBB1366_505:
	s_mov_b32 s0, -1
.LBB1366_506:
	s_delay_alu instid0(SALU_CYCLE_1)
	s_and_b32 s0, s0, exec_lo
.LBB1366_507:
	s_or_b32 exec_lo, exec_lo, s23
	s_delay_alu instid0(SALU_CYCLE_1)
	s_or_not1_b32 s0, s0, exec_lo
.LBB1366_508:
	s_or_b32 exec_lo, exec_lo, s22
	v_cndmask_b32_e64 v2, v20, v17, s0
	v_cndmask_b32_e64 v3, 0x3ff, v8, s0
	;; [unrolled: 1-line block ×5, first 2 shown]
	v_add_nc_u32_e32 v23, 1, v2
	v_cndmask_b32_e64 v4, v19, v22, s0
	s_mov_b32 s12, exec_lo
	s_delay_alu instid0(VALU_DEP_2) | instskip(SKIP_2) | instid1(VALU_DEP_3)
	v_min_u32_e32 v2, v23, v3
	v_cndmask_b32_e64 v3, v10, v15, s19
	v_cndmask_b32_e64 v10, v23, v20, s0
	v_lshlrev_b32_e32 v2, 3, v2
	ds_load_b64 v[8:9], v2
	v_cndmask_b32_e64 v2, v11, v16, s19
	s_waitcnt lgkmcnt(0)
	v_cndmask_b32_e64 v7, v21, v9, s0
	v_cndmask_b32_e64 v6, v22, v8, s0
	v_cmpx_gt_u32_e32 0x400, v10
	s_cbranch_execz .LBB1366_518
; %bb.509:
	v_cndmask_b32_e64 v10, v17, v23, s0
	v_cndmask_b32_e64 v9, v9, v18, s0
	;; [unrolled: 1-line block ×3, first 2 shown]
	s_mov_b32 s19, exec_lo
	s_delay_alu instid0(VALU_DEP_3)
	v_cmpx_lt_u32_e64 v10, v14
	s_cbranch_execz .LBB1366_517
; %bb.510:
	s_and_not1_b32 vcc_lo, exec_lo, s7
	s_cbranch_vccnz .LBB1366_516
; %bb.511:
	v_mul_lo_u32 v16, v9, s8
	v_mul_lo_u32 v17, v8, s9
	v_mad_u64_u32 v[10:11], null, v8, s8, 0
	v_mul_lo_u32 v18, v7, s8
	v_mul_lo_u32 v19, v6, s9
	v_mad_u64_u32 v[14:15], null, v6, s8, 0
	s_mov_b32 s7, 0
	s_mov_b64 s[20:21], s[8:9]
	s_delay_alu instid0(VALU_DEP_4) | instskip(NEXT) | instid1(VALU_DEP_2)
	v_add3_u32 v11, v11, v17, v16
                                        ; implicit-def: $sgpr22
                                        ; implicit-def: $sgpr23
                                        ; implicit-def: $sgpr24
                                        ; implicit-def: $sgpr25
                                        ; implicit-def: $sgpr26
	v_add3_u32 v15, v15, v19, v18
	s_delay_alu instid0(VALU_DEP_2) | instskip(NEXT) | instid1(VALU_DEP_2)
	v_lshlrev_b64 v[10:11], 1, v[10:11]
	v_lshlrev_b64 v[14:15], 1, v[14:15]
	s_delay_alu instid0(VALU_DEP_2) | instskip(NEXT) | instid1(VALU_DEP_3)
	v_add_co_u32 v10, vcc_lo, s10, v10
	v_add_co_ci_u32_e32 v11, vcc_lo, s11, v11, vcc_lo
	s_delay_alu instid0(VALU_DEP_3) | instskip(NEXT) | instid1(VALU_DEP_4)
	v_add_co_u32 v14, vcc_lo, s10, v14
	v_add_co_ci_u32_e32 v15, vcc_lo, s11, v15, vcc_lo
	s_set_inst_prefetch_distance 0x1
	s_branch .LBB1366_513
	.p2align	6
.LBB1366_512:                           ;   in Loop: Header=BB1366_513 Depth=1
	s_or_b32 exec_lo, exec_lo, s0
	s_delay_alu instid0(SALU_CYCLE_1) | instskip(NEXT) | instid1(SALU_CYCLE_1)
	s_and_b32 s0, exec_lo, s23
	s_or_b32 s7, s0, s7
	s_and_not1_b32 s0, s26, exec_lo
	s_and_b32 s26, s25, exec_lo
	s_and_not1_b32 s22, s22, exec_lo
	s_and_b32 s27, s24, exec_lo
	s_or_b32 s26, s0, s26
	s_or_b32 s22, s22, s27
	s_and_not1_b32 exec_lo, exec_lo, s7
	s_cbranch_execz .LBB1366_515
.LBB1366_513:                           ; =>This Inner Loop Header: Depth=1
	global_load_u16 v16, v[10:11], off
	global_load_u16 v17, v[14:15], off
	s_and_not1_b32 s24, s24, exec_lo
	s_and_not1_b32 s25, s25, exec_lo
	s_or_b32 s23, s23, exec_lo
	s_waitcnt vmcnt(0)
	v_cmp_le_u16_e32 vcc_lo, v16, v17
	v_cmp_lt_u16_e64 s0, v16, v17
	s_and_b32 s27, vcc_lo, s26
	s_delay_alu instid0(VALU_DEP_1) | instid1(SALU_CYCLE_1)
	s_or_b32 s27, s0, s27
	s_delay_alu instid0(SALU_CYCLE_1) | instskip(NEXT) | instid1(SALU_CYCLE_1)
	s_and_b32 s0, s27, exec_lo
	s_or_b32 s24, s24, s0
	s_mov_b32 s0, exec_lo
	v_cmpx_eq_u16_e64 v16, v17
	s_cbranch_execz .LBB1366_512
; %bb.514:                              ;   in Loop: Header=BB1366_513 Depth=1
	s_add_u32 s20, s20, -1
	s_addc_u32 s21, s21, -1
	v_add_co_u32 v10, vcc_lo, v10, 2
	s_cmp_eq_u64 s[20:21], 0
	v_add_co_ci_u32_e32 v11, vcc_lo, 0, v11, vcc_lo
	v_add_co_u32 v14, vcc_lo, v14, 2
	s_cselect_b32 s26, -1, 0
	v_add_co_ci_u32_e32 v15, vcc_lo, 0, v15, vcc_lo
	s_and_not1_b32 s25, s25, exec_lo
	s_and_b32 s27, s27, exec_lo
	s_and_not1_b32 s23, s23, exec_lo
	s_and_b32 s26, s26, exec_lo
	s_or_b32 s25, s25, s27
	s_and_not1_b32 s24, s24, exec_lo
	s_or_b32 s23, s23, s26
                                        ; implicit-def: $sgpr26
	s_branch .LBB1366_512
.LBB1366_515:
	s_set_inst_prefetch_distance 0x2
	s_or_b32 exec_lo, exec_lo, s7
	v_cndmask_b32_e64 v7, v7, v9, s22
	v_cndmask_b32_e64 v6, v6, v8, s22
.LBB1366_516:
	s_delay_alu instid0(VALU_DEP_1)
	v_dual_mov_b32 v9, v7 :: v_dual_mov_b32 v8, v6
.LBB1366_517:
	s_or_b32 exec_lo, exec_lo, s19
	s_delay_alu instid0(VALU_DEP_1)
	v_dual_mov_b32 v6, v8 :: v_dual_mov_b32 v7, v9
.LBB1366_518:
	s_or_b32 exec_lo, exec_lo, s12
.LBB1366_519:
	s_delay_alu instid0(SALU_CYCLE_1)
	s_or_b32 exec_lo, exec_lo, s1
	s_barrier
	buffer_gl0_inv
	s_barrier
	buffer_gl0_inv
	ds_store_2addr_b64 v39, v[0:1], v[2:3] offset1:1
	ds_store_2addr_b64 v39, v[4:5], v[6:7] offset0:2 offset1:3
	s_waitcnt lgkmcnt(0)
	s_barrier
	buffer_gl0_inv
	ds_load_b64 v[2:3], v38 offset:2048
	ds_load_b64 v[4:5], v35
	ds_load_b64 v[6:7], v36 offset:4096
	ds_load_b64 v[0:1], v37 offset:6144
	v_add_co_u32 v8, s0, s14, v26
	s_delay_alu instid0(VALU_DEP_1) | instskip(NEXT) | instid1(VALU_DEP_2)
	v_add_co_ci_u32_e64 v9, null, s15, 0, s0
	v_add_co_u32 v8, vcc_lo, 0x1000, v8
	s_delay_alu instid0(VALU_DEP_2)
	v_add_co_ci_u32_e32 v9, vcc_lo, 0, v9, vcc_lo
	s_mov_b32 s19, -1
	s_waitcnt lgkmcnt(3)
	global_store_b64 v26, v[2:3], s[14:15] offset:2048
	s_waitcnt lgkmcnt(2)
	global_store_b64 v26, v[4:5], s[14:15]
	s_waitcnt lgkmcnt(1)
	global_store_b64 v[8:9], v[6:7], off
	s_branch .LBB1366_876
.LBB1366_520:
	s_lshl_b64 s[0:1], s[2:3], 10
                                        ; implicit-def: $vgpr0_vgpr1_vgpr2_vgpr3_vgpr4_vgpr5_vgpr6_vgpr7
	s_delay_alu instid0(SALU_CYCLE_1) | instskip(NEXT) | instid1(SALU_CYCLE_1)
	s_sub_i32 s18, s18, s0
	v_cmp_gt_u32_e64 s0, s18, v12
	s_delay_alu instid0(VALU_DEP_1)
	s_and_saveexec_b32 s1, s0
	s_cbranch_execnz .LBB1366_531
; %bb.521:
	s_or_b32 exec_lo, exec_lo, s1
	v_cmp_gt_u32_e64 s1, s18, v34
	s_delay_alu instid0(VALU_DEP_1)
	s_and_saveexec_b32 s2, s1
	s_cbranch_execnz .LBB1366_532
.LBB1366_522:
	s_or_b32 exec_lo, exec_lo, s2
	v_cmp_gt_u32_e64 s2, s18, v33
	s_delay_alu instid0(VALU_DEP_1)
	s_and_saveexec_b32 s3, s2
	s_cbranch_execnz .LBB1366_533
.LBB1366_523:
	s_or_b32 exec_lo, exec_lo, s3
	v_cmp_gt_u32_e64 s19, s18, v32
	s_delay_alu instid0(VALU_DEP_1)
	s_and_saveexec_b32 s3, s19
	s_cbranch_execz .LBB1366_525
.LBB1366_524:
	v_lshlrev_b32_e32 v6, 3, v32
	global_load_b64 v[6:7], v6, s[16:17]
.LBB1366_525:
	s_or_b32 exec_lo, exec_lo, s3
	v_lshrrev_b32_e32 v8, 2, v34
	v_lshrrev_b32_e32 v9, 2, v33
	;; [unrolled: 1-line block ×3, first 2 shown]
	v_and_b32_e32 v11, 0xf8, v31
	v_add_lshl_u32 v17, v30, v27, 3
	v_and_b32_e32 v8, 0x1f8, v8
	v_and_b32_e32 v9, 0x1f8, v9
	;; [unrolled: 1-line block ×3, first 2 shown]
	v_cmp_gt_i64_e64 s16, s[8:9], 0
	s_delay_alu instid0(VALU_DEP_4)
	v_dual_mov_b32 v8, 0 :: v_dual_add_nc_u32 v13, v8, v26
	v_add_nc_u32_e32 v14, v11, v26
	v_add_nc_u32_e32 v15, v9, v26
	;; [unrolled: 1-line block ×3, first 2 shown]
	s_waitcnt vmcnt(0) lgkmcnt(0)
	ds_store_b64 v14, v[0:1]
	ds_store_b64 v13, v[2:3] offset:2048
	ds_store_b64 v15, v[4:5] offset:4096
	;; [unrolled: 1-line block ×3, first 2 shown]
	s_waitcnt lgkmcnt(0)
	s_waitcnt_vscnt null, 0x0
	s_barrier
	buffer_gl0_inv
	ds_load_2addr_b64 v[0:3], v17 offset1:1
	ds_load_2addr_b64 v[4:7], v17 offset0:2 offset1:3
	s_waitcnt lgkmcnt(0)
	s_barrier
	buffer_gl0_inv
	s_load_b32 s3, s[4:5], 0xc
	s_waitcnt lgkmcnt(0)
	s_lshr_b32 s3, s3, 16
	s_cmp_lt_u32 s13, s6
	v_mad_u32_u24 v9, v29, s3, v28
	s_cselect_b32 s6, 12, 18
	s_delay_alu instid0(SALU_CYCLE_1) | instskip(SKIP_4) | instid1(VALU_DEP_1)
	s_add_u32 s4, s4, s6
	s_addc_u32 s5, s5, 0
	global_load_u16 v8, v8, s[4:5]
	s_waitcnt vmcnt(0)
	v_mul_lo_u32 v8, v9, v8
	v_add_lshl_u32 v18, v8, v12, 2
	s_delay_alu instid0(VALU_DEP_1) | instskip(NEXT) | instid1(VALU_DEP_1)
	v_sub_nc_u32_e64 v19, s18, v18 clamp
	v_cmp_lt_u32_e64 s3, 1, v19
	s_delay_alu instid0(VALU_DEP_1)
	s_and_saveexec_b32 s12, s3
	s_cbranch_execz .LBB1366_537
; %bb.526:
	s_and_not1_b32 vcc_lo, exec_lo, s16
	s_cbranch_vccnz .LBB1366_537
; %bb.527:
	v_mul_lo_u32 v20, v3, s8
	v_mul_lo_u32 v21, v2, s9
	v_mad_u64_u32 v[8:9], null, v2, s8, 0
	v_mul_lo_u32 v22, v1, s8
	v_mul_lo_u32 v23, v0, s9
	v_mad_u64_u32 v[10:11], null, v0, s8, 0
	s_mov_b32 s13, 0
	s_mov_b64 s[6:7], s[8:9]
	s_delay_alu instid0(VALU_DEP_4) | instskip(NEXT) | instid1(VALU_DEP_2)
	v_add3_u32 v9, v9, v21, v20
                                        ; implicit-def: $sgpr17
                                        ; implicit-def: $sgpr20
                                        ; implicit-def: $sgpr22
                                        ; implicit-def: $sgpr21
                                        ; implicit-def: $sgpr23
                                        ; implicit-def: $sgpr24
	v_add3_u32 v11, v11, v23, v22
	s_delay_alu instid0(VALU_DEP_2) | instskip(NEXT) | instid1(VALU_DEP_2)
	v_lshlrev_b64 v[8:9], 1, v[8:9]
	v_lshlrev_b64 v[10:11], 1, v[10:11]
	s_delay_alu instid0(VALU_DEP_2) | instskip(NEXT) | instid1(VALU_DEP_3)
	v_add_co_u32 v8, vcc_lo, s10, v8
	v_add_co_ci_u32_e32 v9, vcc_lo, s11, v9, vcc_lo
	s_delay_alu instid0(VALU_DEP_3) | instskip(NEXT) | instid1(VALU_DEP_4)
	v_add_co_u32 v10, vcc_lo, s10, v10
	v_add_co_ci_u32_e32 v11, vcc_lo, s11, v11, vcc_lo
	s_set_inst_prefetch_distance 0x1
	s_branch .LBB1366_529
	.p2align	6
.LBB1366_528:                           ;   in Loop: Header=BB1366_529 Depth=1
	s_or_b32 exec_lo, exec_lo, s25
	s_delay_alu instid0(SALU_CYCLE_1) | instskip(NEXT) | instid1(SALU_CYCLE_1)
	s_and_b32 s5, exec_lo, s22
	s_or_b32 s13, s5, s13
	s_and_not1_b32 s5, s24, exec_lo
	s_and_b32 s24, s23, exec_lo
	s_and_not1_b32 s20, s20, exec_lo
	s_or_b32 s24, s5, s24
	s_and_b32 s5, s21, exec_lo
	s_and_not1_b32 s17, s17, exec_lo
	s_and_b32 s4, s4, exec_lo
	s_or_b32 s20, s20, s5
	s_or_b32 s17, s17, s4
	s_and_not1_b32 exec_lo, exec_lo, s13
	s_cbranch_execz .LBB1366_534
.LBB1366_529:                           ; =>This Inner Loop Header: Depth=1
	global_load_u16 v20, v[8:9], off
	global_load_u16 v21, v[10:11], off
	s_and_not1_b32 s23, s23, exec_lo
	s_or_b32 s21, s21, exec_lo
	s_or_b32 s22, s22, exec_lo
	s_waitcnt vmcnt(0)
	v_cmp_le_u16_e32 vcc_lo, v20, v21
	v_cmp_lt_u16_e64 s4, v20, v21
	s_and_b32 s25, vcc_lo, s24
	s_delay_alu instid0(VALU_DEP_1) | instid1(SALU_CYCLE_1)
	s_or_b32 s4, s4, s25
	s_mov_b32 s25, exec_lo
	v_cmpx_eq_u16_e64 v20, v21
	s_cbranch_execz .LBB1366_528
; %bb.530:                              ;   in Loop: Header=BB1366_529 Depth=1
	s_add_u32 s6, s6, -1
	s_addc_u32 s7, s7, -1
	v_add_co_u32 v8, vcc_lo, v8, 2
	s_cmp_eq_u64 s[6:7], 0
	v_add_co_ci_u32_e32 v9, vcc_lo, 0, v9, vcc_lo
	v_add_co_u32 v10, vcc_lo, v10, 2
	s_cselect_b32 s5, -1, 0
	v_add_co_ci_u32_e32 v11, vcc_lo, 0, v11, vcc_lo
	s_and_not1_b32 s23, s23, exec_lo
	s_and_b32 s24, s4, exec_lo
	s_and_not1_b32 s22, s22, exec_lo
	s_and_b32 s5, s5, exec_lo
	s_or_b32 s23, s23, s24
	s_and_not1_b32 s21, s21, exec_lo
	s_or_b32 s22, s22, s5
                                        ; implicit-def: $sgpr24
	s_branch .LBB1366_528
.LBB1366_531:
	s_waitcnt lgkmcnt(0)
	global_load_b64 v[0:1], v26, s[16:17]
	s_or_b32 exec_lo, exec_lo, s1
	v_cmp_gt_u32_e64 s1, s18, v34
	s_delay_alu instid0(VALU_DEP_1)
	s_and_saveexec_b32 s2, s1
	s_cbranch_execz .LBB1366_522
.LBB1366_532:
	global_load_b64 v[2:3], v26, s[16:17] offset:2048
	s_or_b32 exec_lo, exec_lo, s2
	v_cmp_gt_u32_e64 s2, s18, v33
	s_delay_alu instid0(VALU_DEP_1)
	s_and_saveexec_b32 s3, s2
	s_cbranch_execz .LBB1366_523
.LBB1366_533:
	v_lshlrev_b32_e32 v4, 3, v33
	global_load_b64 v[4:5], v4, s[16:17]
	s_or_b32 exec_lo, exec_lo, s3
	v_cmp_gt_u32_e64 s19, s18, v32
	s_delay_alu instid0(VALU_DEP_1)
	s_and_saveexec_b32 s3, s19
	s_cbranch_execnz .LBB1366_524
	s_branch .LBB1366_525
.LBB1366_534:
	s_set_inst_prefetch_distance 0x2
	s_or_b32 exec_lo, exec_lo, s13
	s_and_saveexec_b32 s4, s20
	s_delay_alu instid0(SALU_CYCLE_1)
	s_xor_b32 s4, exec_lo, s4
; %bb.535:
	v_cndmask_b32_e64 v28, v0, v2, s17
	v_cndmask_b32_e64 v31, v3, v1, s17
	;; [unrolled: 1-line block ×4, first 2 shown]
	v_dual_mov_b32 v32, v4 :: v_dual_mov_b32 v33, v5
	v_dual_mov_b32 v34, v6 :: v_dual_mov_b32 v35, v7
	s_delay_alu instid0(VALU_DEP_3) | instskip(SKIP_1) | instid1(VALU_DEP_4)
	v_dual_mov_b32 v0, v28 :: v_dual_mov_b32 v1, v29
	v_dual_mov_b32 v2, v30 :: v_dual_mov_b32 v3, v31
	;; [unrolled: 1-line block ×3, first 2 shown]
	s_delay_alu instid0(VALU_DEP_4)
	v_dual_mov_b32 v6, v34 :: v_dual_mov_b32 v7, v35
; %bb.536:
	s_or_b32 exec_lo, exec_lo, s4
.LBB1366_537:
	s_delay_alu instid0(SALU_CYCLE_1) | instskip(SKIP_1) | instid1(VALU_DEP_1)
	s_or_b32 exec_lo, exec_lo, s12
	v_cmp_lt_u32_e64 s4, 3, v19
	s_and_saveexec_b32 s7, s4
	s_cbranch_execz .LBB1366_546
; %bb.538:
	s_and_not1_b32 vcc_lo, exec_lo, s16
	s_cbranch_vccnz .LBB1366_546
; %bb.539:
	v_mul_lo_u32 v20, v7, s8
	v_mul_lo_u32 v21, v6, s9
	v_mad_u64_u32 v[8:9], null, v6, s8, 0
	v_mul_lo_u32 v22, v5, s8
	v_mul_lo_u32 v23, v4, s9
	v_mad_u64_u32 v[10:11], null, v4, s8, 0
	s_mov_b32 s20, 0
	s_mov_b64 s[12:13], s[8:9]
	s_delay_alu instid0(VALU_DEP_4) | instskip(NEXT) | instid1(VALU_DEP_2)
	v_add3_u32 v9, v9, v21, v20
                                        ; implicit-def: $sgpr17
                                        ; implicit-def: $sgpr21
                                        ; implicit-def: $sgpr23
                                        ; implicit-def: $sgpr22
                                        ; implicit-def: $sgpr24
                                        ; implicit-def: $sgpr25
	v_add3_u32 v11, v11, v23, v22
	s_delay_alu instid0(VALU_DEP_2) | instskip(NEXT) | instid1(VALU_DEP_2)
	v_lshlrev_b64 v[8:9], 1, v[8:9]
	v_lshlrev_b64 v[10:11], 1, v[10:11]
	s_delay_alu instid0(VALU_DEP_2) | instskip(NEXT) | instid1(VALU_DEP_3)
	v_add_co_u32 v8, vcc_lo, s10, v8
	v_add_co_ci_u32_e32 v9, vcc_lo, s11, v9, vcc_lo
	s_delay_alu instid0(VALU_DEP_3) | instskip(NEXT) | instid1(VALU_DEP_4)
	v_add_co_u32 v10, vcc_lo, s10, v10
	v_add_co_ci_u32_e32 v11, vcc_lo, s11, v11, vcc_lo
	s_set_inst_prefetch_distance 0x1
	s_branch .LBB1366_541
	.p2align	6
.LBB1366_540:                           ;   in Loop: Header=BB1366_541 Depth=1
	s_or_b32 exec_lo, exec_lo, s26
	s_delay_alu instid0(SALU_CYCLE_1) | instskip(NEXT) | instid1(SALU_CYCLE_1)
	s_and_b32 s6, exec_lo, s23
	s_or_b32 s20, s6, s20
	s_and_not1_b32 s6, s25, exec_lo
	s_and_b32 s25, s24, exec_lo
	s_and_not1_b32 s21, s21, exec_lo
	s_or_b32 s25, s6, s25
	s_and_b32 s6, s22, exec_lo
	s_and_not1_b32 s17, s17, exec_lo
	s_and_b32 s5, s5, exec_lo
	s_or_b32 s21, s21, s6
	s_or_b32 s17, s17, s5
	s_and_not1_b32 exec_lo, exec_lo, s20
	s_cbranch_execz .LBB1366_543
.LBB1366_541:                           ; =>This Inner Loop Header: Depth=1
	global_load_u16 v20, v[8:9], off
	global_load_u16 v21, v[10:11], off
	s_and_not1_b32 s24, s24, exec_lo
	s_or_b32 s22, s22, exec_lo
	s_or_b32 s23, s23, exec_lo
	s_waitcnt vmcnt(0)
	v_cmp_le_u16_e32 vcc_lo, v20, v21
	v_cmp_lt_u16_e64 s5, v20, v21
	s_and_b32 s26, vcc_lo, s25
	s_delay_alu instid0(VALU_DEP_1) | instid1(SALU_CYCLE_1)
	s_or_b32 s5, s5, s26
	s_mov_b32 s26, exec_lo
	v_cmpx_eq_u16_e64 v20, v21
	s_cbranch_execz .LBB1366_540
; %bb.542:                              ;   in Loop: Header=BB1366_541 Depth=1
	s_add_u32 s12, s12, -1
	s_addc_u32 s13, s13, -1
	v_add_co_u32 v8, vcc_lo, v8, 2
	s_cmp_eq_u64 s[12:13], 0
	v_add_co_ci_u32_e32 v9, vcc_lo, 0, v9, vcc_lo
	v_add_co_u32 v10, vcc_lo, v10, 2
	s_cselect_b32 s6, -1, 0
	v_add_co_ci_u32_e32 v11, vcc_lo, 0, v11, vcc_lo
	s_and_not1_b32 s24, s24, exec_lo
	s_and_b32 s25, s5, exec_lo
	s_and_not1_b32 s23, s23, exec_lo
	s_and_b32 s6, s6, exec_lo
	s_or_b32 s24, s24, s25
	s_and_not1_b32 s22, s22, exec_lo
	s_or_b32 s23, s23, s6
                                        ; implicit-def: $sgpr25
	s_branch .LBB1366_540
.LBB1366_543:
	s_set_inst_prefetch_distance 0x2
	s_or_b32 exec_lo, exec_lo, s20
	s_and_saveexec_b32 s5, s21
	s_delay_alu instid0(SALU_CYCLE_1)
	s_xor_b32 s5, exec_lo, s5
; %bb.544:
	v_cndmask_b32_e64 v8, v6, v4, s17
	v_cndmask_b32_e64 v9, v7, v5, s17
	v_cndmask_b32_e64 v5, v5, v7, s17
	v_cndmask_b32_e64 v4, v4, v6, s17
	s_delay_alu instid0(VALU_DEP_3)
	v_dual_mov_b32 v6, v8 :: v_dual_mov_b32 v7, v9
; %bb.545:
	s_or_b32 exec_lo, exec_lo, s5
.LBB1366_546:
	s_delay_alu instid0(SALU_CYCLE_1) | instskip(SKIP_1) | instid1(VALU_DEP_1)
	s_or_b32 exec_lo, exec_lo, s7
	v_cmp_lt_u32_e64 s5, 2, v19
	s_and_saveexec_b32 s6, s5
	s_delay_alu instid0(SALU_CYCLE_1)
	s_xor_b32 s17, exec_lo, s6
	s_cbranch_execz .LBB1366_555
; %bb.547:
	s_and_not1_b32 vcc_lo, exec_lo, s16
	s_cbranch_vccnz .LBB1366_555
; %bb.548:
	v_mul_lo_u32 v19, v5, s8
	v_mul_lo_u32 v20, v4, s9
	v_mad_u64_u32 v[8:9], null, v4, s8, 0
	v_mul_lo_u32 v21, v3, s8
	v_mul_lo_u32 v22, v2, s9
	v_mad_u64_u32 v[10:11], null, v2, s8, 0
	s_mov_b32 s21, 0
	s_mov_b64 s[12:13], s[8:9]
	s_delay_alu instid0(VALU_DEP_4) | instskip(NEXT) | instid1(VALU_DEP_2)
	v_add3_u32 v9, v9, v20, v19
                                        ; implicit-def: $sgpr20
                                        ; implicit-def: $sgpr22
                                        ; implicit-def: $sgpr24
                                        ; implicit-def: $sgpr23
                                        ; implicit-def: $sgpr25
                                        ; implicit-def: $sgpr26
	v_add3_u32 v11, v11, v22, v21
	s_delay_alu instid0(VALU_DEP_2) | instskip(NEXT) | instid1(VALU_DEP_2)
	v_lshlrev_b64 v[8:9], 1, v[8:9]
	v_lshlrev_b64 v[10:11], 1, v[10:11]
	s_delay_alu instid0(VALU_DEP_2) | instskip(NEXT) | instid1(VALU_DEP_3)
	v_add_co_u32 v8, vcc_lo, s10, v8
	v_add_co_ci_u32_e32 v9, vcc_lo, s11, v9, vcc_lo
	s_delay_alu instid0(VALU_DEP_3) | instskip(NEXT) | instid1(VALU_DEP_4)
	v_add_co_u32 v10, vcc_lo, s10, v10
	v_add_co_ci_u32_e32 v11, vcc_lo, s11, v11, vcc_lo
	s_set_inst_prefetch_distance 0x1
	s_branch .LBB1366_550
	.p2align	6
.LBB1366_549:                           ;   in Loop: Header=BB1366_550 Depth=1
	s_or_b32 exec_lo, exec_lo, s27
	s_delay_alu instid0(SALU_CYCLE_1) | instskip(NEXT) | instid1(SALU_CYCLE_1)
	s_and_b32 s7, exec_lo, s24
	s_or_b32 s21, s7, s21
	s_and_not1_b32 s7, s26, exec_lo
	s_and_b32 s26, s25, exec_lo
	s_and_not1_b32 s22, s22, exec_lo
	s_or_b32 s26, s7, s26
	s_and_b32 s7, s23, exec_lo
	s_and_not1_b32 s20, s20, exec_lo
	s_and_b32 s6, s6, exec_lo
	s_or_b32 s22, s22, s7
	s_or_b32 s20, s20, s6
	s_and_not1_b32 exec_lo, exec_lo, s21
	s_cbranch_execz .LBB1366_552
.LBB1366_550:                           ; =>This Inner Loop Header: Depth=1
	global_load_u16 v19, v[8:9], off
	global_load_u16 v20, v[10:11], off
	s_and_not1_b32 s25, s25, exec_lo
	s_or_b32 s23, s23, exec_lo
	s_or_b32 s24, s24, exec_lo
	s_waitcnt vmcnt(0)
	v_cmp_le_u16_e32 vcc_lo, v19, v20
	v_cmp_lt_u16_e64 s6, v19, v20
	s_and_b32 s27, vcc_lo, s26
	s_delay_alu instid0(VALU_DEP_1) | instid1(SALU_CYCLE_1)
	s_or_b32 s6, s6, s27
	s_mov_b32 s27, exec_lo
	v_cmpx_eq_u16_e64 v19, v20
	s_cbranch_execz .LBB1366_549
; %bb.551:                              ;   in Loop: Header=BB1366_550 Depth=1
	s_add_u32 s12, s12, -1
	s_addc_u32 s13, s13, -1
	v_add_co_u32 v8, vcc_lo, v8, 2
	s_cmp_eq_u64 s[12:13], 0
	v_add_co_ci_u32_e32 v9, vcc_lo, 0, v9, vcc_lo
	v_add_co_u32 v10, vcc_lo, v10, 2
	s_cselect_b32 s7, -1, 0
	v_add_co_ci_u32_e32 v11, vcc_lo, 0, v11, vcc_lo
	s_and_not1_b32 s25, s25, exec_lo
	s_and_b32 s26, s6, exec_lo
	s_and_not1_b32 s24, s24, exec_lo
	s_and_b32 s7, s7, exec_lo
	s_or_b32 s25, s25, s26
	s_and_not1_b32 s23, s23, exec_lo
	s_or_b32 s24, s24, s7
                                        ; implicit-def: $sgpr26
	s_branch .LBB1366_549
.LBB1366_552:
	s_set_inst_prefetch_distance 0x2
	s_or_b32 exec_lo, exec_lo, s21
	s_and_saveexec_b32 s6, s22
	s_delay_alu instid0(SALU_CYCLE_1)
	s_xor_b32 s6, exec_lo, s6
; %bb.553:
	v_cndmask_b32_e64 v8, v4, v2, s20
	v_cndmask_b32_e64 v9, v5, v3, s20
	;; [unrolled: 1-line block ×4, first 2 shown]
	s_delay_alu instid0(VALU_DEP_3)
	v_dual_mov_b32 v4, v8 :: v_dual_mov_b32 v5, v9
; %bb.554:
	s_or_b32 exec_lo, exec_lo, s6
.LBB1366_555:
	s_delay_alu instid0(SALU_CYCLE_1)
	s_or_b32 exec_lo, exec_lo, s17
	s_and_saveexec_b32 s7, s3
	s_cbranch_execz .LBB1366_564
; %bb.556:
	s_and_not1_b32 vcc_lo, exec_lo, s16
	s_cbranch_vccnz .LBB1366_564
; %bb.557:
	v_mul_lo_u32 v19, v3, s8
	v_mul_lo_u32 v20, v2, s9
	v_mad_u64_u32 v[8:9], null, v2, s8, 0
	v_mul_lo_u32 v21, v1, s8
	v_mul_lo_u32 v22, v0, s9
	v_mad_u64_u32 v[10:11], null, v0, s8, 0
	s_mov_b32 s17, 0
	s_mov_b64 s[12:13], s[8:9]
	s_delay_alu instid0(VALU_DEP_4) | instskip(NEXT) | instid1(VALU_DEP_2)
	v_add3_u32 v9, v9, v20, v19
                                        ; implicit-def: $sgpr20
                                        ; implicit-def: $sgpr21
                                        ; implicit-def: $sgpr23
                                        ; implicit-def: $sgpr22
                                        ; implicit-def: $sgpr24
                                        ; implicit-def: $sgpr25
	v_add3_u32 v11, v11, v22, v21
	s_delay_alu instid0(VALU_DEP_2) | instskip(NEXT) | instid1(VALU_DEP_2)
	v_lshlrev_b64 v[8:9], 1, v[8:9]
	v_lshlrev_b64 v[10:11], 1, v[10:11]
	s_delay_alu instid0(VALU_DEP_2) | instskip(NEXT) | instid1(VALU_DEP_3)
	v_add_co_u32 v8, vcc_lo, s10, v8
	v_add_co_ci_u32_e32 v9, vcc_lo, s11, v9, vcc_lo
	s_delay_alu instid0(VALU_DEP_3) | instskip(NEXT) | instid1(VALU_DEP_4)
	v_add_co_u32 v10, vcc_lo, s10, v10
	v_add_co_ci_u32_e32 v11, vcc_lo, s11, v11, vcc_lo
	s_set_inst_prefetch_distance 0x1
	s_branch .LBB1366_559
	.p2align	6
.LBB1366_558:                           ;   in Loop: Header=BB1366_559 Depth=1
	s_or_b32 exec_lo, exec_lo, s26
	s_delay_alu instid0(SALU_CYCLE_1) | instskip(NEXT) | instid1(SALU_CYCLE_1)
	s_and_b32 s6, exec_lo, s23
	s_or_b32 s17, s6, s17
	s_and_not1_b32 s6, s25, exec_lo
	s_and_b32 s25, s24, exec_lo
	s_and_not1_b32 s21, s21, exec_lo
	s_or_b32 s25, s6, s25
	s_and_b32 s6, s22, exec_lo
	s_and_not1_b32 s20, s20, exec_lo
	s_and_b32 s3, s3, exec_lo
	s_or_b32 s21, s21, s6
	s_or_b32 s20, s20, s3
	s_and_not1_b32 exec_lo, exec_lo, s17
	s_cbranch_execz .LBB1366_561
.LBB1366_559:                           ; =>This Inner Loop Header: Depth=1
	global_load_u16 v19, v[8:9], off
	global_load_u16 v20, v[10:11], off
	s_and_not1_b32 s24, s24, exec_lo
	s_or_b32 s22, s22, exec_lo
	s_or_b32 s23, s23, exec_lo
	s_waitcnt vmcnt(0)
	v_cmp_le_u16_e32 vcc_lo, v19, v20
	v_cmp_lt_u16_e64 s3, v19, v20
	s_and_b32 s26, vcc_lo, s25
	s_delay_alu instid0(VALU_DEP_1) | instid1(SALU_CYCLE_1)
	s_or_b32 s3, s3, s26
	s_mov_b32 s26, exec_lo
	v_cmpx_eq_u16_e64 v19, v20
	s_cbranch_execz .LBB1366_558
; %bb.560:                              ;   in Loop: Header=BB1366_559 Depth=1
	s_add_u32 s12, s12, -1
	s_addc_u32 s13, s13, -1
	v_add_co_u32 v8, vcc_lo, v8, 2
	s_cmp_eq_u64 s[12:13], 0
	v_add_co_ci_u32_e32 v9, vcc_lo, 0, v9, vcc_lo
	v_add_co_u32 v10, vcc_lo, v10, 2
	s_cselect_b32 s6, -1, 0
	v_add_co_ci_u32_e32 v11, vcc_lo, 0, v11, vcc_lo
	s_and_not1_b32 s24, s24, exec_lo
	s_and_b32 s25, s3, exec_lo
	s_and_not1_b32 s23, s23, exec_lo
	s_and_b32 s6, s6, exec_lo
	s_or_b32 s24, s24, s25
	s_and_not1_b32 s22, s22, exec_lo
	s_or_b32 s23, s23, s6
                                        ; implicit-def: $sgpr25
	s_branch .LBB1366_558
.LBB1366_561:
	s_set_inst_prefetch_distance 0x2
	s_or_b32 exec_lo, exec_lo, s17
	s_and_saveexec_b32 s3, s21
	s_delay_alu instid0(SALU_CYCLE_1)
	s_xor_b32 s3, exec_lo, s3
; %bb.562:
	v_cndmask_b32_e64 v28, v0, v2, s20
	v_cndmask_b32_e64 v31, v3, v1, s20
	;; [unrolled: 1-line block ×4, first 2 shown]
	v_dual_mov_b32 v32, v4 :: v_dual_mov_b32 v33, v5
	v_dual_mov_b32 v34, v6 :: v_dual_mov_b32 v35, v7
	s_delay_alu instid0(VALU_DEP_3) | instskip(SKIP_1) | instid1(VALU_DEP_4)
	v_dual_mov_b32 v0, v28 :: v_dual_mov_b32 v1, v29
	v_dual_mov_b32 v2, v30 :: v_dual_mov_b32 v3, v31
	;; [unrolled: 1-line block ×3, first 2 shown]
	s_delay_alu instid0(VALU_DEP_4)
	v_dual_mov_b32 v6, v34 :: v_dual_mov_b32 v7, v35
; %bb.563:
	s_or_b32 exec_lo, exec_lo, s3
.LBB1366_564:
	s_delay_alu instid0(SALU_CYCLE_1)
	s_or_b32 exec_lo, exec_lo, s7
	s_and_saveexec_b32 s12, s4
	s_cbranch_execz .LBB1366_573
; %bb.565:
	s_and_not1_b32 vcc_lo, exec_lo, s16
	s_cbranch_vccnz .LBB1366_573
; %bb.566:
	v_mul_lo_u32 v19, v7, s8
	v_mul_lo_u32 v20, v6, s9
	v_mad_u64_u32 v[8:9], null, v6, s8, 0
	v_mul_lo_u32 v21, v5, s8
	v_mul_lo_u32 v22, v4, s9
	v_mad_u64_u32 v[10:11], null, v4, s8, 0
	s_mov_b32 s17, 0
	s_mov_b64 s[6:7], s[8:9]
	s_delay_alu instid0(VALU_DEP_4) | instskip(NEXT) | instid1(VALU_DEP_2)
	v_add3_u32 v9, v9, v20, v19
                                        ; implicit-def: $sgpr13
                                        ; implicit-def: $sgpr20
                                        ; implicit-def: $sgpr22
                                        ; implicit-def: $sgpr21
                                        ; implicit-def: $sgpr23
                                        ; implicit-def: $sgpr24
	v_add3_u32 v11, v11, v22, v21
	s_delay_alu instid0(VALU_DEP_2) | instskip(NEXT) | instid1(VALU_DEP_2)
	v_lshlrev_b64 v[8:9], 1, v[8:9]
	v_lshlrev_b64 v[10:11], 1, v[10:11]
	s_delay_alu instid0(VALU_DEP_2) | instskip(NEXT) | instid1(VALU_DEP_3)
	v_add_co_u32 v8, vcc_lo, s10, v8
	v_add_co_ci_u32_e32 v9, vcc_lo, s11, v9, vcc_lo
	s_delay_alu instid0(VALU_DEP_3) | instskip(NEXT) | instid1(VALU_DEP_4)
	v_add_co_u32 v10, vcc_lo, s10, v10
	v_add_co_ci_u32_e32 v11, vcc_lo, s11, v11, vcc_lo
	s_set_inst_prefetch_distance 0x1
	s_branch .LBB1366_568
	.p2align	6
.LBB1366_567:                           ;   in Loop: Header=BB1366_568 Depth=1
	s_or_b32 exec_lo, exec_lo, s25
	s_delay_alu instid0(SALU_CYCLE_1) | instskip(NEXT) | instid1(SALU_CYCLE_1)
	s_and_b32 s4, exec_lo, s22
	s_or_b32 s17, s4, s17
	s_and_not1_b32 s4, s24, exec_lo
	s_and_b32 s24, s23, exec_lo
	s_and_not1_b32 s20, s20, exec_lo
	s_or_b32 s24, s4, s24
	s_and_b32 s4, s21, exec_lo
	s_and_not1_b32 s13, s13, exec_lo
	s_and_b32 s3, s3, exec_lo
	s_or_b32 s20, s20, s4
	s_or_b32 s13, s13, s3
	s_and_not1_b32 exec_lo, exec_lo, s17
	s_cbranch_execz .LBB1366_570
.LBB1366_568:                           ; =>This Inner Loop Header: Depth=1
	global_load_u16 v19, v[8:9], off
	global_load_u16 v20, v[10:11], off
	s_and_not1_b32 s23, s23, exec_lo
	s_or_b32 s21, s21, exec_lo
	s_or_b32 s22, s22, exec_lo
	s_waitcnt vmcnt(0)
	v_cmp_le_u16_e32 vcc_lo, v19, v20
	v_cmp_lt_u16_e64 s3, v19, v20
	s_and_b32 s25, vcc_lo, s24
	s_delay_alu instid0(VALU_DEP_1) | instid1(SALU_CYCLE_1)
	s_or_b32 s3, s3, s25
	s_mov_b32 s25, exec_lo
	v_cmpx_eq_u16_e64 v19, v20
	s_cbranch_execz .LBB1366_567
; %bb.569:                              ;   in Loop: Header=BB1366_568 Depth=1
	s_add_u32 s6, s6, -1
	s_addc_u32 s7, s7, -1
	v_add_co_u32 v8, vcc_lo, v8, 2
	s_cmp_eq_u64 s[6:7], 0
	v_add_co_ci_u32_e32 v9, vcc_lo, 0, v9, vcc_lo
	v_add_co_u32 v10, vcc_lo, v10, 2
	s_cselect_b32 s4, -1, 0
	v_add_co_ci_u32_e32 v11, vcc_lo, 0, v11, vcc_lo
	s_and_not1_b32 s23, s23, exec_lo
	s_and_b32 s24, s3, exec_lo
	s_and_not1_b32 s22, s22, exec_lo
	s_and_b32 s4, s4, exec_lo
	s_or_b32 s23, s23, s24
	s_and_not1_b32 s21, s21, exec_lo
	s_or_b32 s22, s22, s4
                                        ; implicit-def: $sgpr24
	s_branch .LBB1366_567
.LBB1366_570:
	s_set_inst_prefetch_distance 0x2
	s_or_b32 exec_lo, exec_lo, s17
	s_and_saveexec_b32 s3, s20
	s_delay_alu instid0(SALU_CYCLE_1)
	s_xor_b32 s3, exec_lo, s3
; %bb.571:
	v_cndmask_b32_e64 v8, v6, v4, s13
	v_cndmask_b32_e64 v9, v7, v5, s13
	v_cndmask_b32_e64 v5, v5, v7, s13
	v_cndmask_b32_e64 v4, v4, v6, s13
	s_delay_alu instid0(VALU_DEP_3)
	v_dual_mov_b32 v6, v8 :: v_dual_mov_b32 v7, v9
; %bb.572:
	s_or_b32 exec_lo, exec_lo, s3
.LBB1366_573:
	s_delay_alu instid0(SALU_CYCLE_1)
	s_or_b32 exec_lo, exec_lo, s12
	s_and_saveexec_b32 s12, s5
	s_cbranch_execz .LBB1366_582
; %bb.574:
	s_and_not1_b32 vcc_lo, exec_lo, s16
	s_cbranch_vccnz .LBB1366_582
; %bb.575:
	v_mul_lo_u32 v19, v5, s8
	v_mul_lo_u32 v20, v4, s9
	v_mad_u64_u32 v[8:9], null, v4, s8, 0
	v_mul_lo_u32 v21, v3, s8
	v_mul_lo_u32 v22, v2, s9
	v_mad_u64_u32 v[10:11], null, v2, s8, 0
	s_mov_b32 s13, 0
	s_mov_b64 s[6:7], s[8:9]
	s_delay_alu instid0(VALU_DEP_4) | instskip(NEXT) | instid1(VALU_DEP_2)
	v_add3_u32 v9, v9, v20, v19
                                        ; implicit-def: $sgpr5
                                        ; implicit-def: $sgpr17
                                        ; implicit-def: $sgpr21
                                        ; implicit-def: $sgpr20
                                        ; implicit-def: $sgpr22
                                        ; implicit-def: $sgpr23
	v_add3_u32 v11, v11, v22, v21
	s_delay_alu instid0(VALU_DEP_2) | instskip(NEXT) | instid1(VALU_DEP_2)
	v_lshlrev_b64 v[8:9], 1, v[8:9]
	v_lshlrev_b64 v[10:11], 1, v[10:11]
	s_delay_alu instid0(VALU_DEP_2) | instskip(NEXT) | instid1(VALU_DEP_3)
	v_add_co_u32 v8, vcc_lo, s10, v8
	v_add_co_ci_u32_e32 v9, vcc_lo, s11, v9, vcc_lo
	s_delay_alu instid0(VALU_DEP_3) | instskip(NEXT) | instid1(VALU_DEP_4)
	v_add_co_u32 v10, vcc_lo, s10, v10
	v_add_co_ci_u32_e32 v11, vcc_lo, s11, v11, vcc_lo
	s_set_inst_prefetch_distance 0x1
	s_branch .LBB1366_577
	.p2align	6
.LBB1366_576:                           ;   in Loop: Header=BB1366_577 Depth=1
	s_or_b32 exec_lo, exec_lo, s24
	s_delay_alu instid0(SALU_CYCLE_1) | instskip(NEXT) | instid1(SALU_CYCLE_1)
	s_and_b32 s4, exec_lo, s21
	s_or_b32 s13, s4, s13
	s_and_not1_b32 s4, s23, exec_lo
	s_and_b32 s23, s22, exec_lo
	s_and_not1_b32 s17, s17, exec_lo
	s_or_b32 s23, s4, s23
	s_and_b32 s4, s20, exec_lo
	s_and_not1_b32 s5, s5, exec_lo
	s_and_b32 s3, s3, exec_lo
	s_or_b32 s17, s17, s4
	s_or_b32 s5, s5, s3
	s_and_not1_b32 exec_lo, exec_lo, s13
	s_cbranch_execz .LBB1366_579
.LBB1366_577:                           ; =>This Inner Loop Header: Depth=1
	global_load_u16 v19, v[8:9], off
	global_load_u16 v20, v[10:11], off
	s_and_not1_b32 s22, s22, exec_lo
	s_or_b32 s20, s20, exec_lo
	s_or_b32 s21, s21, exec_lo
	s_waitcnt vmcnt(0)
	v_cmp_le_u16_e32 vcc_lo, v19, v20
	v_cmp_lt_u16_e64 s3, v19, v20
	s_and_b32 s24, vcc_lo, s23
	s_delay_alu instid0(VALU_DEP_1) | instid1(SALU_CYCLE_1)
	s_or_b32 s3, s3, s24
	s_mov_b32 s24, exec_lo
	v_cmpx_eq_u16_e64 v19, v20
	s_cbranch_execz .LBB1366_576
; %bb.578:                              ;   in Loop: Header=BB1366_577 Depth=1
	s_add_u32 s6, s6, -1
	s_addc_u32 s7, s7, -1
	v_add_co_u32 v8, vcc_lo, v8, 2
	s_cmp_eq_u64 s[6:7], 0
	v_add_co_ci_u32_e32 v9, vcc_lo, 0, v9, vcc_lo
	v_add_co_u32 v10, vcc_lo, v10, 2
	s_cselect_b32 s4, -1, 0
	v_add_co_ci_u32_e32 v11, vcc_lo, 0, v11, vcc_lo
	s_and_not1_b32 s22, s22, exec_lo
	s_and_b32 s23, s3, exec_lo
	s_and_not1_b32 s21, s21, exec_lo
	s_and_b32 s4, s4, exec_lo
	s_or_b32 s22, s22, s23
	s_and_not1_b32 s20, s20, exec_lo
	s_or_b32 s21, s21, s4
                                        ; implicit-def: $sgpr23
	s_branch .LBB1366_576
.LBB1366_579:
	s_set_inst_prefetch_distance 0x2
	s_or_b32 exec_lo, exec_lo, s13
	s_and_saveexec_b32 s3, s17
	s_delay_alu instid0(SALU_CYCLE_1)
	s_xor_b32 s3, exec_lo, s3
; %bb.580:
	v_cndmask_b32_e64 v8, v4, v2, s5
	v_cndmask_b32_e64 v9, v5, v3, s5
	;; [unrolled: 1-line block ×4, first 2 shown]
	s_delay_alu instid0(VALU_DEP_3)
	v_dual_mov_b32 v4, v8 :: v_dual_mov_b32 v5, v9
; %bb.581:
	s_or_b32 exec_lo, exec_lo, s3
.LBB1366_582:
	s_delay_alu instid0(SALU_CYCLE_1) | instskip(SKIP_4) | instid1(VALU_DEP_2)
	s_or_b32 exec_lo, exec_lo, s12
	v_mbcnt_lo_u32_b32 v8, -1, 0
	v_and_b32_e32 v9, 0xffffff80, v18
	s_mov_b32 s12, 0
	s_mov_b32 s13, exec_lo
	v_lshlrev_b32_e32 v20, 2, v8
	s_delay_alu instid0(VALU_DEP_2) | instskip(SKIP_1) | instid1(VALU_DEP_3)
	v_sub_nc_u32_e64 v19, s18, v9 clamp
	v_lshlrev_b32_e32 v18, 3, v9
	v_or_b32_e32 v10, 4, v20
	v_and_b32_e32 v11, 4, v20
	v_and_b32_e32 v28, 0x78, v20
	s_delay_alu instid0(VALU_DEP_4)
	v_lshl_or_b32 v21, v8, 5, v18
	ds_store_b128 v21, v[0:3]
	ds_store_b128 v21, v[4:7] offset:16
	v_min_u32_e32 v22, v19, v10
	v_min_u32_e32 v29, v19, v11
	v_lshl_or_b32 v25, v28, 3, v18
	; wave barrier
	s_delay_alu instid0(VALU_DEP_3) | instskip(SKIP_1) | instid1(VALU_DEP_2)
	v_add_nc_u32_e32 v10, 4, v22
	v_sub_nc_u32_e32 v11, v22, v28
	v_min_u32_e32 v23, v19, v10
	s_delay_alu instid0(VALU_DEP_2) | instskip(NEXT) | instid1(VALU_DEP_2)
	v_min_u32_e32 v30, v29, v11
	v_sub_nc_u32_e32 v10, v23, v22
	s_delay_alu instid0(VALU_DEP_1) | instskip(NEXT) | instid1(VALU_DEP_1)
	v_sub_nc_u32_e64 v24, v29, v10 clamp
	v_cmpx_lt_u32_e64 v24, v30
	s_cbranch_execz .LBB1366_593
; %bb.583:
	v_lshlrev_b32_e32 v8, 3, v22
	v_lshlrev_b32_e32 v9, 3, v29
	s_lshl_b64 s[4:5], s[8:9], 1
	s_delay_alu instid0(VALU_DEP_1)
	v_add3_u32 v31, v18, v8, v9
	s_branch .LBB1366_586
.LBB1366_584:                           ;   in Loop: Header=BB1366_586 Depth=1
	s_set_inst_prefetch_distance 0x2
	s_or_b32 exec_lo, exec_lo, s17
.LBB1366_585:                           ;   in Loop: Header=BB1366_586 Depth=1
	s_delay_alu instid0(VALU_DEP_1) | instskip(SKIP_1) | instid1(VALU_DEP_2)
	v_add_nc_u32_e32 v8, 1, v32
	v_cndmask_b32_e64 v30, v30, v32, s20
	v_cndmask_b32_e64 v24, v8, v24, s20
	s_delay_alu instid0(VALU_DEP_1) | instskip(SKIP_1) | instid1(SALU_CYCLE_1)
	v_cmp_ge_u32_e32 vcc_lo, v24, v30
	s_or_b32 s12, vcc_lo, s12
	s_and_not1_b32 exec_lo, exec_lo, s12
	s_cbranch_execz .LBB1366_592
.LBB1366_586:                           ; =>This Loop Header: Depth=1
                                        ;     Child Loop BB1366_589 Depth 2
	v_add_nc_u32_e32 v8, v30, v24
	s_and_not1_b32 vcc_lo, exec_lo, s16
	s_delay_alu instid0(VALU_DEP_1)
	v_lshrrev_b32_e32 v32, 1, v8
	s_cbranch_vccnz .LBB1366_591
; %bb.587:                              ;   in Loop: Header=BB1366_586 Depth=1
	s_delay_alu instid0(VALU_DEP_1) | instskip(SKIP_3) | instid1(VALU_DEP_2)
	v_not_b32_e32 v8, v32
	v_lshl_add_u32 v9, v32, 3, v25
	s_mov_b32 s17, 0
	s_mov_b64 s[6:7], s[8:9]
                                        ; implicit-def: $sgpr20
                                        ; implicit-def: $sgpr21
                                        ; implicit-def: $sgpr22
                                        ; implicit-def: $sgpr23
                                        ; implicit-def: $sgpr24
	v_lshl_add_u32 v8, v8, 3, v31
	ds_load_b64 v[10:11], v8
	ds_load_b64 v[33:34], v9
	s_waitcnt lgkmcnt(1)
	v_mul_lo_u32 v35, s4, v11
	v_mul_lo_u32 v36, s5, v10
	v_mad_u64_u32 v[8:9], null, s4, v10, s[10:11]
	s_waitcnt lgkmcnt(0)
	v_mul_lo_u32 v34, s4, v34
	v_mul_lo_u32 v37, s5, v33
	v_mad_u64_u32 v[10:11], null, s4, v33, s[10:11]
	s_delay_alu instid0(VALU_DEP_4) | instskip(NEXT) | instid1(VALU_DEP_2)
	v_add3_u32 v9, v36, v9, v35
	v_add3_u32 v11, v37, v11, v34
	s_set_inst_prefetch_distance 0x1
	s_branch .LBB1366_589
	.p2align	6
.LBB1366_588:                           ;   in Loop: Header=BB1366_589 Depth=2
	s_or_b32 exec_lo, exec_lo, s3
	s_delay_alu instid0(SALU_CYCLE_1) | instskip(NEXT) | instid1(SALU_CYCLE_1)
	s_and_b32 s3, exec_lo, s21
	s_or_b32 s17, s3, s17
	s_and_not1_b32 s3, s24, exec_lo
	s_and_b32 s24, s22, exec_lo
	s_and_not1_b32 s20, s20, exec_lo
	s_and_b32 s25, s23, exec_lo
	s_or_b32 s24, s3, s24
	s_or_b32 s20, s20, s25
	s_and_not1_b32 exec_lo, exec_lo, s17
	s_cbranch_execz .LBB1366_584
.LBB1366_589:                           ;   Parent Loop BB1366_586 Depth=1
                                        ; =>  This Inner Loop Header: Depth=2
	global_load_u16 v33, v[8:9], off
	global_load_u16 v34, v[10:11], off
	s_and_not1_b32 s23, s23, exec_lo
	s_and_not1_b32 s22, s22, exec_lo
	s_or_b32 s21, s21, exec_lo
	s_waitcnt vmcnt(0)
	v_cmp_le_u16_e32 vcc_lo, v33, v34
	v_cmp_lt_u16_e64 s3, v33, v34
	s_and_b32 s25, vcc_lo, s24
	s_delay_alu instid0(VALU_DEP_1) | instid1(SALU_CYCLE_1)
	s_or_b32 s25, s3, s25
	s_delay_alu instid0(SALU_CYCLE_1) | instskip(NEXT) | instid1(SALU_CYCLE_1)
	s_and_b32 s3, s25, exec_lo
	s_or_b32 s23, s23, s3
	s_mov_b32 s3, exec_lo
	v_cmpx_eq_u16_e64 v33, v34
	s_cbranch_execz .LBB1366_588
; %bb.590:                              ;   in Loop: Header=BB1366_589 Depth=2
	s_add_u32 s6, s6, -1
	s_addc_u32 s7, s7, -1
	v_add_co_u32 v8, vcc_lo, v8, 2
	s_cmp_eq_u64 s[6:7], 0
	v_add_co_ci_u32_e32 v9, vcc_lo, 0, v9, vcc_lo
	s_cselect_b32 s24, -1, 0
	v_add_co_u32 v10, vcc_lo, v10, 2
	s_and_not1_b32 s22, s22, exec_lo
	s_and_b32 s25, s25, exec_lo
	s_and_not1_b32 s21, s21, exec_lo
	s_and_b32 s24, s24, exec_lo
	v_add_co_ci_u32_e32 v11, vcc_lo, 0, v11, vcc_lo
	s_and_not1_b32 s23, s23, exec_lo
	s_or_b32 s22, s22, s25
	s_or_b32 s21, s21, s24
                                        ; implicit-def: $sgpr24
	s_branch .LBB1366_588
.LBB1366_591:                           ;   in Loop: Header=BB1366_586 Depth=1
	s_mov_b32 s20, 0
	s_branch .LBB1366_585
.LBB1366_592:
	s_or_b32 exec_lo, exec_lo, s12
.LBB1366_593:
	s_delay_alu instid0(SALU_CYCLE_1) | instskip(SKIP_2) | instid1(VALU_DEP_2)
	s_or_b32 exec_lo, exec_lo, s13
	v_add_nc_u32_e32 v9, v22, v29
	v_add_nc_u32_e32 v8, v24, v28
	v_sub_nc_u32_e32 v9, v9, v24
	s_delay_alu instid0(VALU_DEP_2) | instskip(NEXT) | instid1(VALU_DEP_2)
	v_cmp_le_u32_e32 vcc_lo, v8, v22
	v_cmp_le_u32_e64 s3, v9, v23
	s_delay_alu instid0(VALU_DEP_1) | instskip(NEXT) | instid1(SALU_CYCLE_1)
	s_or_b32 s3, vcc_lo, s3
	s_and_saveexec_b32 s6, s3
	s_cbranch_execz .LBB1366_640
; %bb.594:
	v_cmp_ge_u32_e32 vcc_lo, v8, v22
	s_mov_b32 s4, exec_lo
                                        ; implicit-def: $vgpr0_vgpr1
	v_cmpx_lt_u32_e64 v8, v22
	s_cbranch_execz .LBB1366_596
; %bb.595:
	v_lshl_add_u32 v0, v24, 3, v25
	ds_load_b64 v[0:1], v0
.LBB1366_596:
	s_or_b32 exec_lo, exec_lo, s4
	v_cmp_ge_u32_e64 s7, v9, v23
	s_mov_b32 s4, exec_lo
                                        ; implicit-def: $vgpr2_vgpr3
	v_cmpx_lt_u32_e64 v9, v23
	s_cbranch_execz .LBB1366_598
; %bb.597:
	v_lshl_add_u32 v2, v9, 3, v18
	ds_load_b64 v[2:3], v2
.LBB1366_598:
	s_or_b32 exec_lo, exec_lo, s4
	s_or_b32 s3, vcc_lo, s7
	s_mov_b32 s12, -1
	s_xor_b32 s3, s3, -1
	s_delay_alu instid0(SALU_CYCLE_1)
	s_and_saveexec_b32 s13, s3
	s_cbranch_execz .LBB1366_607
; %bb.599:
	s_and_not1_b32 vcc_lo, exec_lo, s16
	s_cbranch_vccnz .LBB1366_605
; %bb.600:
	s_waitcnt lgkmcnt(0)
	v_mul_lo_u32 v10, v3, s8
	v_mul_lo_u32 v11, v2, s9
	v_mad_u64_u32 v[4:5], null, v2, s8, 0
	v_mul_lo_u32 v24, v1, s8
	v_mul_lo_u32 v25, v0, s9
	v_mad_u64_u32 v[6:7], null, v0, s8, 0
	s_mov_b32 s17, 0
	s_mov_b64 s[4:5], s[8:9]
	s_delay_alu instid0(VALU_DEP_4) | instskip(NEXT) | instid1(VALU_DEP_2)
	v_add3_u32 v5, v5, v11, v10
                                        ; implicit-def: $sgpr20
                                        ; implicit-def: $sgpr21
                                        ; implicit-def: $sgpr22
                                        ; implicit-def: $sgpr23
                                        ; implicit-def: $sgpr24
	v_add3_u32 v7, v7, v25, v24
	s_delay_alu instid0(VALU_DEP_2) | instskip(NEXT) | instid1(VALU_DEP_2)
	v_lshlrev_b64 v[4:5], 1, v[4:5]
	v_lshlrev_b64 v[6:7], 1, v[6:7]
	s_delay_alu instid0(VALU_DEP_2) | instskip(NEXT) | instid1(VALU_DEP_3)
	v_add_co_u32 v4, vcc_lo, s10, v4
	v_add_co_ci_u32_e32 v5, vcc_lo, s11, v5, vcc_lo
	s_delay_alu instid0(VALU_DEP_3) | instskip(NEXT) | instid1(VALU_DEP_4)
	v_add_co_u32 v6, vcc_lo, s10, v6
	v_add_co_ci_u32_e32 v7, vcc_lo, s11, v7, vcc_lo
	s_set_inst_prefetch_distance 0x1
	s_branch .LBB1366_602
	.p2align	6
.LBB1366_601:                           ;   in Loop: Header=BB1366_602 Depth=1
	s_or_b32 exec_lo, exec_lo, s3
	s_delay_alu instid0(SALU_CYCLE_1) | instskip(NEXT) | instid1(SALU_CYCLE_1)
	s_and_b32 s3, exec_lo, s21
	s_or_b32 s17, s3, s17
	s_and_not1_b32 s3, s24, exec_lo
	s_and_b32 s24, s23, exec_lo
	s_and_not1_b32 s20, s20, exec_lo
	s_and_b32 s25, s22, exec_lo
	s_or_b32 s24, s3, s24
	s_or_b32 s20, s20, s25
	s_and_not1_b32 exec_lo, exec_lo, s17
	s_cbranch_execz .LBB1366_604
.LBB1366_602:                           ; =>This Inner Loop Header: Depth=1
	global_load_u16 v10, v[4:5], off
	global_load_u16 v11, v[6:7], off
	s_and_not1_b32 s22, s22, exec_lo
	s_and_not1_b32 s23, s23, exec_lo
	s_or_b32 s21, s21, exec_lo
	s_waitcnt vmcnt(0)
	v_cmp_le_u16_e32 vcc_lo, v10, v11
	v_cmp_lt_u16_e64 s3, v10, v11
	s_and_b32 s25, vcc_lo, s24
	s_delay_alu instid0(VALU_DEP_1) | instid1(SALU_CYCLE_1)
	s_or_b32 s25, s3, s25
	s_delay_alu instid0(SALU_CYCLE_1) | instskip(NEXT) | instid1(SALU_CYCLE_1)
	s_and_b32 s3, s25, exec_lo
	s_or_b32 s22, s22, s3
	s_mov_b32 s3, exec_lo
	v_cmpx_eq_u16_e64 v10, v11
	s_cbranch_execz .LBB1366_601
; %bb.603:                              ;   in Loop: Header=BB1366_602 Depth=1
	s_add_u32 s4, s4, -1
	s_addc_u32 s5, s5, -1
	v_add_co_u32 v4, vcc_lo, v4, 2
	s_cmp_eq_u64 s[4:5], 0
	v_add_co_ci_u32_e32 v5, vcc_lo, 0, v5, vcc_lo
	s_cselect_b32 s24, -1, 0
	s_and_not1_b32 s23, s23, exec_lo
	s_and_b32 s25, s25, exec_lo
	v_add_co_u32 v6, vcc_lo, v6, 2
	s_and_not1_b32 s21, s21, exec_lo
	s_and_b32 s24, s24, exec_lo
	v_add_co_ci_u32_e32 v7, vcc_lo, 0, v7, vcc_lo
	s_or_b32 s23, s23, s25
	s_and_not1_b32 s22, s22, exec_lo
	s_or_b32 s21, s21, s24
                                        ; implicit-def: $sgpr24
	s_branch .LBB1366_601
.LBB1366_604:
	s_set_inst_prefetch_distance 0x2
	s_or_b32 exec_lo, exec_lo, s17
	s_xor_b32 s3, s20, -1
	s_branch .LBB1366_606
.LBB1366_605:
	s_mov_b32 s3, -1
.LBB1366_606:
	s_and_not1_b32 s4, s7, exec_lo
	s_and_b32 s3, s3, exec_lo
	s_delay_alu instid0(SALU_CYCLE_1)
	s_or_b32 s7, s4, s3
.LBB1366_607:
	s_or_b32 exec_lo, exec_lo, s13
	v_cndmask_b32_e64 v4, v9, v8, s7
	v_cndmask_b32_e64 v5, v23, v22, s7
	s_mov_b32 s13, exec_lo
	s_delay_alu instid0(VALU_DEP_2) | instskip(NEXT) | instid1(VALU_DEP_2)
	v_add_nc_u32_e32 v6, 1, v4
	v_add_nc_u32_e32 v4, -1, v5
	s_delay_alu instid0(VALU_DEP_2) | instskip(NEXT) | instid1(VALU_DEP_2)
	v_cndmask_b32_e64 v9, v6, v9, s7
	v_min_u32_e32 v4, v6, v4
	v_cndmask_b32_e64 v8, v8, v6, s7
	s_delay_alu instid0(VALU_DEP_2)
	v_lshl_add_u32 v4, v4, 3, v18
	ds_load_b64 v[4:5], v4
	s_waitcnt lgkmcnt(0)
	v_cndmask_b32_e64 v24, v5, v3, s7
	v_cndmask_b32_e64 v25, v4, v2, s7
	;; [unrolled: 1-line block ×4, first 2 shown]
	v_cmpx_lt_u32_e64 v9, v23
	s_cbranch_execz .LBB1366_618
; %bb.608:
	s_mov_b32 s3, 0
	s_mov_b32 s12, exec_lo
	v_cmpx_lt_u32_e64 v8, v22
	s_cbranch_execz .LBB1366_617
; %bb.609:
	s_and_not1_b32 vcc_lo, exec_lo, s16
	s_cbranch_vccnz .LBB1366_615
; %bb.610:
	v_mul_lo_u32 v10, v24, s8
	v_mul_lo_u32 v11, v25, s9
	v_mad_u64_u32 v[4:5], null, v25, s8, 0
	v_mul_lo_u32 v30, v28, s8
	v_mul_lo_u32 v31, v29, s9
	v_mad_u64_u32 v[6:7], null, v29, s8, 0
	s_mov_b32 s17, 0
	s_mov_b64 s[4:5], s[8:9]
	s_delay_alu instid0(VALU_DEP_4) | instskip(NEXT) | instid1(VALU_DEP_2)
	v_add3_u32 v5, v5, v11, v10
                                        ; implicit-def: $sgpr20
                                        ; implicit-def: $sgpr21
                                        ; implicit-def: $sgpr22
                                        ; implicit-def: $sgpr23
                                        ; implicit-def: $sgpr24
	v_add3_u32 v7, v7, v31, v30
	s_delay_alu instid0(VALU_DEP_2) | instskip(NEXT) | instid1(VALU_DEP_2)
	v_lshlrev_b64 v[4:5], 1, v[4:5]
	v_lshlrev_b64 v[6:7], 1, v[6:7]
	s_delay_alu instid0(VALU_DEP_2) | instskip(NEXT) | instid1(VALU_DEP_3)
	v_add_co_u32 v4, vcc_lo, s10, v4
	v_add_co_ci_u32_e32 v5, vcc_lo, s11, v5, vcc_lo
	s_delay_alu instid0(VALU_DEP_3) | instskip(NEXT) | instid1(VALU_DEP_4)
	v_add_co_u32 v6, vcc_lo, s10, v6
	v_add_co_ci_u32_e32 v7, vcc_lo, s11, v7, vcc_lo
	s_set_inst_prefetch_distance 0x1
	s_branch .LBB1366_612
	.p2align	6
.LBB1366_611:                           ;   in Loop: Header=BB1366_612 Depth=1
	s_or_b32 exec_lo, exec_lo, s3
	s_delay_alu instid0(SALU_CYCLE_1) | instskip(NEXT) | instid1(SALU_CYCLE_1)
	s_and_b32 s3, exec_lo, s21
	s_or_b32 s17, s3, s17
	s_and_not1_b32 s3, s24, exec_lo
	s_and_b32 s24, s23, exec_lo
	s_and_not1_b32 s20, s20, exec_lo
	s_and_b32 s25, s22, exec_lo
	s_or_b32 s24, s3, s24
	s_or_b32 s20, s20, s25
	s_and_not1_b32 exec_lo, exec_lo, s17
	s_cbranch_execz .LBB1366_614
.LBB1366_612:                           ; =>This Inner Loop Header: Depth=1
	global_load_u16 v10, v[4:5], off
	global_load_u16 v11, v[6:7], off
	s_and_not1_b32 s22, s22, exec_lo
	s_and_not1_b32 s23, s23, exec_lo
	s_or_b32 s21, s21, exec_lo
	s_waitcnt vmcnt(0)
	v_cmp_le_u16_e32 vcc_lo, v10, v11
	v_cmp_lt_u16_e64 s3, v10, v11
	s_and_b32 s25, vcc_lo, s24
	s_delay_alu instid0(VALU_DEP_1) | instid1(SALU_CYCLE_1)
	s_or_b32 s25, s3, s25
	s_delay_alu instid0(SALU_CYCLE_1) | instskip(NEXT) | instid1(SALU_CYCLE_1)
	s_and_b32 s3, s25, exec_lo
	s_or_b32 s22, s22, s3
	s_mov_b32 s3, exec_lo
	v_cmpx_eq_u16_e64 v10, v11
	s_cbranch_execz .LBB1366_611
; %bb.613:                              ;   in Loop: Header=BB1366_612 Depth=1
	s_add_u32 s4, s4, -1
	s_addc_u32 s5, s5, -1
	v_add_co_u32 v4, vcc_lo, v4, 2
	s_cmp_eq_u64 s[4:5], 0
	v_add_co_ci_u32_e32 v5, vcc_lo, 0, v5, vcc_lo
	v_add_co_u32 v6, vcc_lo, v6, 2
	s_cselect_b32 s24, -1, 0
	v_add_co_ci_u32_e32 v7, vcc_lo, 0, v7, vcc_lo
	s_and_not1_b32 s23, s23, exec_lo
	s_and_b32 s25, s25, exec_lo
	s_and_not1_b32 s21, s21, exec_lo
	s_and_b32 s24, s24, exec_lo
	s_or_b32 s23, s23, s25
	s_and_not1_b32 s22, s22, exec_lo
	s_or_b32 s21, s21, s24
                                        ; implicit-def: $sgpr24
	s_branch .LBB1366_611
.LBB1366_614:
	s_set_inst_prefetch_distance 0x2
	s_or_b32 exec_lo, exec_lo, s17
	s_xor_b32 s3, s20, -1
	s_branch .LBB1366_616
.LBB1366_615:
	s_mov_b32 s3, -1
.LBB1366_616:
	s_delay_alu instid0(SALU_CYCLE_1)
	s_and_b32 s3, s3, exec_lo
.LBB1366_617:
	s_or_b32 exec_lo, exec_lo, s12
	s_delay_alu instid0(SALU_CYCLE_1)
	s_or_not1_b32 s12, s3, exec_lo
.LBB1366_618:
	s_or_b32 exec_lo, exec_lo, s13
	v_cndmask_b32_e64 v4, v9, v8, s12
	v_cndmask_b32_e64 v5, v23, v22, s12
	s_mov_b32 s13, -1
	s_mov_b32 s17, exec_lo
	s_delay_alu instid0(VALU_DEP_2) | instskip(NEXT) | instid1(VALU_DEP_2)
	v_add_nc_u32_e32 v6, 1, v4
	v_add_nc_u32_e32 v4, -1, v5
	s_delay_alu instid0(VALU_DEP_2) | instskip(NEXT) | instid1(VALU_DEP_2)
	v_cndmask_b32_e64 v9, v6, v9, s12
	v_min_u32_e32 v4, v6, v4
	v_cndmask_b32_e64 v8, v8, v6, s12
	s_delay_alu instid0(VALU_DEP_2)
	v_lshl_add_u32 v4, v4, 3, v18
	ds_load_b64 v[4:5], v4
	s_waitcnt lgkmcnt(0)
	v_cndmask_b32_e64 v30, v5, v24, s12
	v_cndmask_b32_e64 v31, v4, v25, s12
	v_cndmask_b32_e64 v32, v28, v5, s12
	v_cndmask_b32_e64 v33, v29, v4, s12
	v_cmpx_lt_u32_e64 v9, v23
	s_cbranch_execz .LBB1366_629
; %bb.619:
	s_mov_b32 s3, 0
	s_mov_b32 s13, exec_lo
	v_cmpx_lt_u32_e64 v8, v22
	s_cbranch_execz .LBB1366_628
; %bb.620:
	s_and_not1_b32 vcc_lo, exec_lo, s16
	s_cbranch_vccnz .LBB1366_626
; %bb.621:
	v_mul_lo_u32 v10, v30, s8
	v_mul_lo_u32 v11, v31, s9
	v_mad_u64_u32 v[4:5], null, v31, s8, 0
	v_mul_lo_u32 v34, v32, s8
	v_mul_lo_u32 v35, v33, s9
	v_mad_u64_u32 v[6:7], null, v33, s8, 0
	s_mov_b32 s20, 0
	s_mov_b64 s[4:5], s[8:9]
	s_delay_alu instid0(VALU_DEP_4) | instskip(NEXT) | instid1(VALU_DEP_2)
	v_add3_u32 v5, v5, v11, v10
                                        ; implicit-def: $sgpr21
                                        ; implicit-def: $sgpr22
                                        ; implicit-def: $sgpr23
                                        ; implicit-def: $sgpr24
                                        ; implicit-def: $sgpr25
	v_add3_u32 v7, v7, v35, v34
	s_delay_alu instid0(VALU_DEP_2) | instskip(NEXT) | instid1(VALU_DEP_2)
	v_lshlrev_b64 v[4:5], 1, v[4:5]
	v_lshlrev_b64 v[6:7], 1, v[6:7]
	s_delay_alu instid0(VALU_DEP_2) | instskip(NEXT) | instid1(VALU_DEP_3)
	v_add_co_u32 v4, vcc_lo, s10, v4
	v_add_co_ci_u32_e32 v5, vcc_lo, s11, v5, vcc_lo
	s_delay_alu instid0(VALU_DEP_3) | instskip(NEXT) | instid1(VALU_DEP_4)
	v_add_co_u32 v6, vcc_lo, s10, v6
	v_add_co_ci_u32_e32 v7, vcc_lo, s11, v7, vcc_lo
	s_set_inst_prefetch_distance 0x1
	s_branch .LBB1366_623
	.p2align	6
.LBB1366_622:                           ;   in Loop: Header=BB1366_623 Depth=1
	s_or_b32 exec_lo, exec_lo, s3
	s_delay_alu instid0(SALU_CYCLE_1) | instskip(NEXT) | instid1(SALU_CYCLE_1)
	s_and_b32 s3, exec_lo, s22
	s_or_b32 s20, s3, s20
	s_and_not1_b32 s3, s25, exec_lo
	s_and_b32 s25, s24, exec_lo
	s_and_not1_b32 s21, s21, exec_lo
	s_and_b32 s26, s23, exec_lo
	s_or_b32 s25, s3, s25
	s_or_b32 s21, s21, s26
	s_and_not1_b32 exec_lo, exec_lo, s20
	s_cbranch_execz .LBB1366_625
.LBB1366_623:                           ; =>This Inner Loop Header: Depth=1
	global_load_u16 v10, v[4:5], off
	global_load_u16 v11, v[6:7], off
	s_and_not1_b32 s23, s23, exec_lo
	s_and_not1_b32 s24, s24, exec_lo
	s_or_b32 s22, s22, exec_lo
	s_waitcnt vmcnt(0)
	v_cmp_le_u16_e32 vcc_lo, v10, v11
	v_cmp_lt_u16_e64 s3, v10, v11
	s_and_b32 s26, vcc_lo, s25
	s_delay_alu instid0(VALU_DEP_1) | instid1(SALU_CYCLE_1)
	s_or_b32 s26, s3, s26
	s_delay_alu instid0(SALU_CYCLE_1) | instskip(NEXT) | instid1(SALU_CYCLE_1)
	s_and_b32 s3, s26, exec_lo
	s_or_b32 s23, s23, s3
	s_mov_b32 s3, exec_lo
	v_cmpx_eq_u16_e64 v10, v11
	s_cbranch_execz .LBB1366_622
; %bb.624:                              ;   in Loop: Header=BB1366_623 Depth=1
	s_add_u32 s4, s4, -1
	s_addc_u32 s5, s5, -1
	v_add_co_u32 v4, vcc_lo, v4, 2
	s_cmp_eq_u64 s[4:5], 0
	v_add_co_ci_u32_e32 v5, vcc_lo, 0, v5, vcc_lo
	v_add_co_u32 v6, vcc_lo, v6, 2
	s_cselect_b32 s25, -1, 0
	v_add_co_ci_u32_e32 v7, vcc_lo, 0, v7, vcc_lo
	s_and_not1_b32 s24, s24, exec_lo
	s_and_b32 s26, s26, exec_lo
	s_and_not1_b32 s22, s22, exec_lo
	s_and_b32 s25, s25, exec_lo
	s_or_b32 s24, s24, s26
	s_and_not1_b32 s23, s23, exec_lo
	s_or_b32 s22, s22, s25
                                        ; implicit-def: $sgpr25
	s_branch .LBB1366_622
.LBB1366_625:
	s_set_inst_prefetch_distance 0x2
	s_or_b32 exec_lo, exec_lo, s20
	s_xor_b32 s3, s21, -1
	s_branch .LBB1366_627
.LBB1366_626:
	s_mov_b32 s3, -1
.LBB1366_627:
	s_delay_alu instid0(SALU_CYCLE_1)
	s_and_b32 s3, s3, exec_lo
.LBB1366_628:
	s_or_b32 exec_lo, exec_lo, s13
	s_delay_alu instid0(SALU_CYCLE_1)
	s_or_not1_b32 s13, s3, exec_lo
.LBB1366_629:
	s_or_b32 exec_lo, exec_lo, s17
	v_cndmask_b32_e64 v4, v9, v8, s13
	v_cndmask_b32_e64 v5, v23, v22, s13
	s_mov_b32 s17, exec_lo
	s_delay_alu instid0(VALU_DEP_2) | instskip(NEXT) | instid1(VALU_DEP_2)
	v_add_nc_u32_e32 v10, 1, v4
	v_add_nc_u32_e32 v4, -1, v5
	s_delay_alu instid0(VALU_DEP_2) | instskip(NEXT) | instid1(VALU_DEP_2)
	v_cndmask_b32_e64 v9, v10, v9, s13
	v_min_u32_e32 v4, v10, v4
	s_delay_alu instid0(VALU_DEP_1)
	v_lshl_add_u32 v4, v4, 3, v18
	ds_load_b64 v[4:5], v4
	s_waitcnt lgkmcnt(0)
	v_cndmask_b32_e64 v7, v32, v5, s13
	v_cndmask_b32_e64 v6, v33, v4, s13
	v_cmpx_lt_u32_e64 v9, v23
	s_cbranch_execz .LBB1366_639
; %bb.630:
	v_cndmask_b32_e64 v8, v8, v10, s13
	v_cndmask_b32_e64 v5, v5, v30, s13
	;; [unrolled: 1-line block ×3, first 2 shown]
	s_mov_b32 s20, exec_lo
	s_delay_alu instid0(VALU_DEP_3)
	v_cmpx_lt_u32_e64 v8, v22
	s_cbranch_execz .LBB1366_638
; %bb.631:
	s_and_not1_b32 vcc_lo, exec_lo, s16
	s_cbranch_vccnz .LBB1366_637
; %bb.632:
	v_mul_lo_u32 v22, v5, s8
	v_mul_lo_u32 v23, v4, s9
	v_mad_u64_u32 v[8:9], null, v4, s8, 0
	v_mul_lo_u32 v34, v7, s8
	v_mul_lo_u32 v35, v6, s9
	v_mad_u64_u32 v[10:11], null, v6, s8, 0
	s_mov_b32 s21, 0
	s_mov_b64 s[4:5], s[8:9]
	s_delay_alu instid0(VALU_DEP_4) | instskip(NEXT) | instid1(VALU_DEP_2)
	v_add3_u32 v9, v9, v23, v22
                                        ; implicit-def: $sgpr22
                                        ; implicit-def: $sgpr23
                                        ; implicit-def: $sgpr24
                                        ; implicit-def: $sgpr25
                                        ; implicit-def: $sgpr26
	v_add3_u32 v11, v11, v35, v34
	s_delay_alu instid0(VALU_DEP_2) | instskip(NEXT) | instid1(VALU_DEP_2)
	v_lshlrev_b64 v[8:9], 1, v[8:9]
	v_lshlrev_b64 v[10:11], 1, v[10:11]
	s_delay_alu instid0(VALU_DEP_2) | instskip(NEXT) | instid1(VALU_DEP_3)
	v_add_co_u32 v8, vcc_lo, s10, v8
	v_add_co_ci_u32_e32 v9, vcc_lo, s11, v9, vcc_lo
	s_delay_alu instid0(VALU_DEP_3) | instskip(NEXT) | instid1(VALU_DEP_4)
	v_add_co_u32 v10, vcc_lo, s10, v10
	v_add_co_ci_u32_e32 v11, vcc_lo, s11, v11, vcc_lo
	s_set_inst_prefetch_distance 0x1
	s_branch .LBB1366_634
	.p2align	6
.LBB1366_633:                           ;   in Loop: Header=BB1366_634 Depth=1
	s_or_b32 exec_lo, exec_lo, s3
	s_delay_alu instid0(SALU_CYCLE_1) | instskip(NEXT) | instid1(SALU_CYCLE_1)
	s_and_b32 s3, exec_lo, s23
	s_or_b32 s21, s3, s21
	s_and_not1_b32 s3, s26, exec_lo
	s_and_b32 s26, s25, exec_lo
	s_and_not1_b32 s22, s22, exec_lo
	s_and_b32 s27, s24, exec_lo
	s_or_b32 s26, s3, s26
	s_or_b32 s22, s22, s27
	s_and_not1_b32 exec_lo, exec_lo, s21
	s_cbranch_execz .LBB1366_636
.LBB1366_634:                           ; =>This Inner Loop Header: Depth=1
	global_load_u16 v22, v[8:9], off
	global_load_u16 v23, v[10:11], off
	s_and_not1_b32 s24, s24, exec_lo
	s_and_not1_b32 s25, s25, exec_lo
	s_or_b32 s23, s23, exec_lo
	s_waitcnt vmcnt(0)
	v_cmp_le_u16_e32 vcc_lo, v22, v23
	v_cmp_lt_u16_e64 s3, v22, v23
	s_and_b32 s27, vcc_lo, s26
	s_delay_alu instid0(VALU_DEP_1) | instid1(SALU_CYCLE_1)
	s_or_b32 s27, s3, s27
	s_delay_alu instid0(SALU_CYCLE_1) | instskip(NEXT) | instid1(SALU_CYCLE_1)
	s_and_b32 s3, s27, exec_lo
	s_or_b32 s24, s24, s3
	s_mov_b32 s3, exec_lo
	v_cmpx_eq_u16_e64 v22, v23
	s_cbranch_execz .LBB1366_633
; %bb.635:                              ;   in Loop: Header=BB1366_634 Depth=1
	s_add_u32 s4, s4, -1
	s_addc_u32 s5, s5, -1
	v_add_co_u32 v8, vcc_lo, v8, 2
	s_cmp_eq_u64 s[4:5], 0
	v_add_co_ci_u32_e32 v9, vcc_lo, 0, v9, vcc_lo
	v_add_co_u32 v10, vcc_lo, v10, 2
	s_cselect_b32 s26, -1, 0
	v_add_co_ci_u32_e32 v11, vcc_lo, 0, v11, vcc_lo
	s_and_not1_b32 s25, s25, exec_lo
	s_and_b32 s27, s27, exec_lo
	s_and_not1_b32 s23, s23, exec_lo
	s_and_b32 s26, s26, exec_lo
	s_or_b32 s25, s25, s27
	s_and_not1_b32 s24, s24, exec_lo
	s_or_b32 s23, s23, s26
                                        ; implicit-def: $sgpr26
	s_branch .LBB1366_633
.LBB1366_636:
	s_set_inst_prefetch_distance 0x2
	s_or_b32 exec_lo, exec_lo, s21
	v_cndmask_b32_e64 v7, v7, v5, s22
	v_cndmask_b32_e64 v6, v6, v4, s22
.LBB1366_637:
	s_delay_alu instid0(VALU_DEP_1)
	v_dual_mov_b32 v4, v6 :: v_dual_mov_b32 v5, v7
.LBB1366_638:
	s_or_b32 exec_lo, exec_lo, s20
	s_delay_alu instid0(VALU_DEP_1)
	v_dual_mov_b32 v7, v5 :: v_dual_mov_b32 v6, v4
.LBB1366_639:
	s_or_b32 exec_lo, exec_lo, s17
	v_cndmask_b32_e64 v1, v3, v1, s7
	v_cndmask_b32_e64 v0, v2, v0, s7
	v_cndmask_b32_e64 v3, v24, v28, s12
	v_cndmask_b32_e64 v2, v25, v29, s12
	v_cndmask_b32_e64 v5, v30, v32, s13
	v_cndmask_b32_e64 v4, v31, v33, s13
.LBB1366_640:
	s_or_b32 exec_lo, exec_lo, s6
	v_and_b32_e32 v28, 0x70, v20
	v_and_b32_e32 v9, 12, v20
	s_mov_b32 s12, exec_lo
	; wave barrier
	s_delay_alu instid0(VALU_DEP_2) | instskip(NEXT) | instid1(VALU_DEP_2)
	v_or_b32_e32 v8, 8, v28
	v_min_u32_e32 v29, v19, v9
	v_lshl_add_u32 v25, v28, 3, v18
	ds_store_b128 v21, v[0:3]
	ds_store_b128 v21, v[4:7] offset:16
	v_min_u32_e32 v22, v19, v8
	; wave barrier
	s_delay_alu instid0(VALU_DEP_1) | instskip(SKIP_1) | instid1(VALU_DEP_2)
	v_add_nc_u32_e32 v8, 8, v22
	v_sub_nc_u32_e32 v9, v22, v28
	v_min_u32_e32 v23, v19, v8
	s_delay_alu instid0(VALU_DEP_2) | instskip(NEXT) | instid1(VALU_DEP_2)
	v_min_u32_e32 v30, v29, v9
	v_sub_nc_u32_e32 v8, v23, v22
	s_delay_alu instid0(VALU_DEP_1) | instskip(NEXT) | instid1(VALU_DEP_1)
	v_sub_nc_u32_e64 v24, v29, v8 clamp
	v_cmpx_lt_u32_e64 v24, v30
	s_cbranch_execz .LBB1366_650
; %bb.641:
	v_lshlrev_b32_e32 v8, 3, v22
	v_lshlrev_b32_e32 v9, 3, v29
	s_lshl_b64 s[4:5], s[8:9], 1
	s_mov_b32 s13, 0
	s_delay_alu instid0(VALU_DEP_1)
	v_add3_u32 v31, v18, v8, v9
	s_branch .LBB1366_644
.LBB1366_642:                           ;   in Loop: Header=BB1366_644 Depth=1
	s_set_inst_prefetch_distance 0x2
	s_or_b32 exec_lo, exec_lo, s17
.LBB1366_643:                           ;   in Loop: Header=BB1366_644 Depth=1
	s_delay_alu instid0(VALU_DEP_1) | instskip(SKIP_1) | instid1(VALU_DEP_2)
	v_add_nc_u32_e32 v8, 1, v32
	v_cndmask_b32_e64 v30, v30, v32, s20
	v_cndmask_b32_e64 v24, v8, v24, s20
	s_delay_alu instid0(VALU_DEP_1) | instskip(SKIP_1) | instid1(SALU_CYCLE_1)
	v_cmp_ge_u32_e32 vcc_lo, v24, v30
	s_or_b32 s13, vcc_lo, s13
	s_and_not1_b32 exec_lo, exec_lo, s13
	s_cbranch_execz .LBB1366_649
.LBB1366_644:                           ; =>This Loop Header: Depth=1
                                        ;     Child Loop BB1366_647 Depth 2
	v_add_nc_u32_e32 v8, v30, v24
	s_and_not1_b32 vcc_lo, exec_lo, s16
	s_mov_b32 s20, 0
	s_delay_alu instid0(VALU_DEP_1)
	v_lshrrev_b32_e32 v32, 1, v8
	s_cbranch_vccnz .LBB1366_643
; %bb.645:                              ;   in Loop: Header=BB1366_644 Depth=1
	s_delay_alu instid0(VALU_DEP_1) | instskip(SKIP_3) | instid1(VALU_DEP_2)
	v_not_b32_e32 v8, v32
	v_lshl_add_u32 v9, v32, 3, v25
	s_mov_b32 s17, 0
	s_mov_b64 s[6:7], s[8:9]
                                        ; implicit-def: $sgpr20
                                        ; implicit-def: $sgpr21
                                        ; implicit-def: $sgpr22
                                        ; implicit-def: $sgpr23
                                        ; implicit-def: $sgpr24
	v_lshl_add_u32 v8, v8, 3, v31
	ds_load_b64 v[10:11], v8
	ds_load_b64 v[33:34], v9
	s_waitcnt lgkmcnt(1)
	v_mul_lo_u32 v35, s4, v11
	v_mul_lo_u32 v36, s5, v10
	v_mad_u64_u32 v[8:9], null, s4, v10, s[10:11]
	s_waitcnt lgkmcnt(0)
	v_mul_lo_u32 v34, s4, v34
	v_mul_lo_u32 v37, s5, v33
	v_mad_u64_u32 v[10:11], null, s4, v33, s[10:11]
	s_delay_alu instid0(VALU_DEP_4) | instskip(NEXT) | instid1(VALU_DEP_2)
	v_add3_u32 v9, v36, v9, v35
	v_add3_u32 v11, v37, v11, v34
	s_set_inst_prefetch_distance 0x1
	s_branch .LBB1366_647
	.p2align	6
.LBB1366_646:                           ;   in Loop: Header=BB1366_647 Depth=2
	s_or_b32 exec_lo, exec_lo, s25
	s_delay_alu instid0(SALU_CYCLE_1) | instskip(NEXT) | instid1(SALU_CYCLE_1)
	s_and_b32 s3, exec_lo, s21
	s_or_b32 s17, s3, s17
	s_and_not1_b32 s3, s24, exec_lo
	s_and_b32 s24, s22, exec_lo
	s_and_not1_b32 s20, s20, exec_lo
	s_and_b32 s25, s23, exec_lo
	s_or_b32 s24, s3, s24
	s_or_b32 s20, s20, s25
	s_and_not1_b32 exec_lo, exec_lo, s17
	s_cbranch_execz .LBB1366_642
.LBB1366_647:                           ;   Parent Loop BB1366_644 Depth=1
                                        ; =>  This Inner Loop Header: Depth=2
	global_load_u16 v33, v[8:9], off
	global_load_u16 v34, v[10:11], off
	s_and_not1_b32 s23, s23, exec_lo
	s_and_not1_b32 s22, s22, exec_lo
	s_or_b32 s21, s21, exec_lo
	s_waitcnt vmcnt(0)
	v_cmp_le_u16_e32 vcc_lo, v33, v34
	v_cmp_lt_u16_e64 s3, v33, v34
	s_and_b32 s25, vcc_lo, s24
	s_delay_alu instid0(VALU_DEP_1) | instid1(SALU_CYCLE_1)
	s_or_b32 s3, s3, s25
	s_delay_alu instid0(SALU_CYCLE_1) | instskip(NEXT) | instid1(SALU_CYCLE_1)
	s_and_b32 s25, s3, exec_lo
	s_or_b32 s23, s23, s25
	s_mov_b32 s25, exec_lo
	v_cmpx_eq_u16_e64 v33, v34
	s_cbranch_execz .LBB1366_646
; %bb.648:                              ;   in Loop: Header=BB1366_647 Depth=2
	s_add_u32 s6, s6, -1
	s_addc_u32 s7, s7, -1
	v_add_co_u32 v8, vcc_lo, v8, 2
	v_add_co_ci_u32_e32 v9, vcc_lo, 0, v9, vcc_lo
	s_cmp_eq_u64 s[6:7], 0
	v_add_co_u32 v10, vcc_lo, v10, 2
	s_cselect_b32 s24, -1, 0
	v_add_co_ci_u32_e32 v11, vcc_lo, 0, v11, vcc_lo
	s_and_not1_b32 s22, s22, exec_lo
	s_and_b32 s3, s3, exec_lo
	s_and_not1_b32 s21, s21, exec_lo
	s_and_b32 s24, s24, exec_lo
	s_and_not1_b32 s23, s23, exec_lo
	s_or_b32 s22, s22, s3
	s_or_b32 s21, s21, s24
                                        ; implicit-def: $sgpr24
	s_branch .LBB1366_646
.LBB1366_649:
	s_or_b32 exec_lo, exec_lo, s13
.LBB1366_650:
	s_delay_alu instid0(SALU_CYCLE_1) | instskip(SKIP_2) | instid1(VALU_DEP_2)
	s_or_b32 exec_lo, exec_lo, s12
	v_add_nc_u32_e32 v9, v22, v29
	v_add_nc_u32_e32 v8, v24, v28
	v_sub_nc_u32_e32 v9, v9, v24
	s_delay_alu instid0(VALU_DEP_2) | instskip(NEXT) | instid1(VALU_DEP_2)
	v_cmp_le_u32_e32 vcc_lo, v8, v22
	v_cmp_le_u32_e64 s3, v9, v23
	s_delay_alu instid0(VALU_DEP_1) | instskip(NEXT) | instid1(SALU_CYCLE_1)
	s_or_b32 s3, vcc_lo, s3
	s_and_saveexec_b32 s6, s3
	s_cbranch_execz .LBB1366_697
; %bb.651:
	v_cmp_ge_u32_e32 vcc_lo, v8, v22
	s_mov_b32 s4, exec_lo
                                        ; implicit-def: $vgpr0_vgpr1
	v_cmpx_lt_u32_e64 v8, v22
	s_cbranch_execz .LBB1366_653
; %bb.652:
	v_lshl_add_u32 v0, v24, 3, v25
	ds_load_b64 v[0:1], v0
.LBB1366_653:
	s_or_b32 exec_lo, exec_lo, s4
	v_cmp_ge_u32_e64 s7, v9, v23
	s_mov_b32 s4, exec_lo
                                        ; implicit-def: $vgpr2_vgpr3
	v_cmpx_lt_u32_e64 v9, v23
	s_cbranch_execz .LBB1366_655
; %bb.654:
	v_lshl_add_u32 v2, v9, 3, v18
	ds_load_b64 v[2:3], v2
.LBB1366_655:
	s_or_b32 exec_lo, exec_lo, s4
	s_or_b32 s3, vcc_lo, s7
	s_mov_b32 s12, -1
	s_xor_b32 s3, s3, -1
	s_delay_alu instid0(SALU_CYCLE_1)
	s_and_saveexec_b32 s13, s3
	s_cbranch_execz .LBB1366_664
; %bb.656:
	s_and_not1_b32 vcc_lo, exec_lo, s16
	s_cbranch_vccnz .LBB1366_662
; %bb.657:
	s_waitcnt lgkmcnt(0)
	v_mul_lo_u32 v10, v3, s8
	v_mul_lo_u32 v11, v2, s9
	v_mad_u64_u32 v[4:5], null, v2, s8, 0
	v_mul_lo_u32 v24, v1, s8
	v_mul_lo_u32 v25, v0, s9
	v_mad_u64_u32 v[6:7], null, v0, s8, 0
	s_mov_b32 s17, 0
	s_mov_b64 s[4:5], s[8:9]
	s_delay_alu instid0(VALU_DEP_4) | instskip(NEXT) | instid1(VALU_DEP_2)
	v_add3_u32 v5, v5, v11, v10
                                        ; implicit-def: $sgpr20
                                        ; implicit-def: $sgpr21
                                        ; implicit-def: $sgpr22
                                        ; implicit-def: $sgpr23
                                        ; implicit-def: $sgpr24
	v_add3_u32 v7, v7, v25, v24
	s_delay_alu instid0(VALU_DEP_2) | instskip(NEXT) | instid1(VALU_DEP_2)
	v_lshlrev_b64 v[4:5], 1, v[4:5]
	v_lshlrev_b64 v[6:7], 1, v[6:7]
	s_delay_alu instid0(VALU_DEP_2) | instskip(NEXT) | instid1(VALU_DEP_3)
	v_add_co_u32 v4, vcc_lo, s10, v4
	v_add_co_ci_u32_e32 v5, vcc_lo, s11, v5, vcc_lo
	s_delay_alu instid0(VALU_DEP_3) | instskip(NEXT) | instid1(VALU_DEP_4)
	v_add_co_u32 v6, vcc_lo, s10, v6
	v_add_co_ci_u32_e32 v7, vcc_lo, s11, v7, vcc_lo
	s_set_inst_prefetch_distance 0x1
	s_branch .LBB1366_659
	.p2align	6
.LBB1366_658:                           ;   in Loop: Header=BB1366_659 Depth=1
	s_or_b32 exec_lo, exec_lo, s3
	s_delay_alu instid0(SALU_CYCLE_1) | instskip(NEXT) | instid1(SALU_CYCLE_1)
	s_and_b32 s3, exec_lo, s21
	s_or_b32 s17, s3, s17
	s_and_not1_b32 s3, s24, exec_lo
	s_and_b32 s24, s23, exec_lo
	s_and_not1_b32 s20, s20, exec_lo
	s_and_b32 s25, s22, exec_lo
	s_or_b32 s24, s3, s24
	s_or_b32 s20, s20, s25
	s_and_not1_b32 exec_lo, exec_lo, s17
	s_cbranch_execz .LBB1366_661
.LBB1366_659:                           ; =>This Inner Loop Header: Depth=1
	global_load_u16 v10, v[4:5], off
	global_load_u16 v11, v[6:7], off
	s_and_not1_b32 s22, s22, exec_lo
	s_and_not1_b32 s23, s23, exec_lo
	s_or_b32 s21, s21, exec_lo
	s_waitcnt vmcnt(0)
	v_cmp_le_u16_e32 vcc_lo, v10, v11
	v_cmp_lt_u16_e64 s3, v10, v11
	s_and_b32 s25, vcc_lo, s24
	s_delay_alu instid0(VALU_DEP_1) | instid1(SALU_CYCLE_1)
	s_or_b32 s25, s3, s25
	s_delay_alu instid0(SALU_CYCLE_1) | instskip(NEXT) | instid1(SALU_CYCLE_1)
	s_and_b32 s3, s25, exec_lo
	s_or_b32 s22, s22, s3
	s_mov_b32 s3, exec_lo
	v_cmpx_eq_u16_e64 v10, v11
	s_cbranch_execz .LBB1366_658
; %bb.660:                              ;   in Loop: Header=BB1366_659 Depth=1
	s_add_u32 s4, s4, -1
	s_addc_u32 s5, s5, -1
	v_add_co_u32 v4, vcc_lo, v4, 2
	s_cmp_eq_u64 s[4:5], 0
	v_add_co_ci_u32_e32 v5, vcc_lo, 0, v5, vcc_lo
	v_add_co_u32 v6, vcc_lo, v6, 2
	s_cselect_b32 s24, -1, 0
	v_add_co_ci_u32_e32 v7, vcc_lo, 0, v7, vcc_lo
	s_and_not1_b32 s23, s23, exec_lo
	s_and_b32 s25, s25, exec_lo
	s_and_not1_b32 s21, s21, exec_lo
	s_and_b32 s24, s24, exec_lo
	s_or_b32 s23, s23, s25
	s_and_not1_b32 s22, s22, exec_lo
	s_or_b32 s21, s21, s24
                                        ; implicit-def: $sgpr24
	s_branch .LBB1366_658
.LBB1366_661:
	s_set_inst_prefetch_distance 0x2
	s_or_b32 exec_lo, exec_lo, s17
	s_xor_b32 s3, s20, -1
	s_branch .LBB1366_663
.LBB1366_662:
	s_mov_b32 s3, -1
.LBB1366_663:
	s_and_not1_b32 s4, s7, exec_lo
	s_and_b32 s3, s3, exec_lo
	s_delay_alu instid0(SALU_CYCLE_1)
	s_or_b32 s7, s4, s3
.LBB1366_664:
	s_or_b32 exec_lo, exec_lo, s13
	v_cndmask_b32_e64 v4, v9, v8, s7
	v_cndmask_b32_e64 v5, v23, v22, s7
	s_mov_b32 s13, exec_lo
	s_delay_alu instid0(VALU_DEP_2) | instskip(NEXT) | instid1(VALU_DEP_2)
	v_add_nc_u32_e32 v6, 1, v4
	v_add_nc_u32_e32 v4, -1, v5
	s_delay_alu instid0(VALU_DEP_2) | instskip(NEXT) | instid1(VALU_DEP_2)
	v_cndmask_b32_e64 v9, v6, v9, s7
	v_min_u32_e32 v4, v6, v4
	v_cndmask_b32_e64 v8, v8, v6, s7
	s_delay_alu instid0(VALU_DEP_2)
	v_lshl_add_u32 v4, v4, 3, v18
	ds_load_b64 v[4:5], v4
	s_waitcnt lgkmcnt(0)
	v_cndmask_b32_e64 v24, v5, v3, s7
	v_cndmask_b32_e64 v25, v4, v2, s7
	;; [unrolled: 1-line block ×4, first 2 shown]
	v_cmpx_lt_u32_e64 v9, v23
	s_cbranch_execz .LBB1366_675
; %bb.665:
	s_mov_b32 s3, 0
	s_mov_b32 s12, exec_lo
	v_cmpx_lt_u32_e64 v8, v22
	s_cbranch_execz .LBB1366_674
; %bb.666:
	s_and_not1_b32 vcc_lo, exec_lo, s16
	s_cbranch_vccnz .LBB1366_672
; %bb.667:
	v_mul_lo_u32 v10, v24, s8
	v_mul_lo_u32 v11, v25, s9
	v_mad_u64_u32 v[4:5], null, v25, s8, 0
	v_mul_lo_u32 v30, v28, s8
	v_mul_lo_u32 v31, v29, s9
	v_mad_u64_u32 v[6:7], null, v29, s8, 0
	s_mov_b32 s17, 0
	s_mov_b64 s[4:5], s[8:9]
	s_delay_alu instid0(VALU_DEP_4) | instskip(NEXT) | instid1(VALU_DEP_2)
	v_add3_u32 v5, v5, v11, v10
                                        ; implicit-def: $sgpr20
                                        ; implicit-def: $sgpr21
                                        ; implicit-def: $sgpr22
                                        ; implicit-def: $sgpr23
                                        ; implicit-def: $sgpr24
	v_add3_u32 v7, v7, v31, v30
	s_delay_alu instid0(VALU_DEP_2) | instskip(NEXT) | instid1(VALU_DEP_2)
	v_lshlrev_b64 v[4:5], 1, v[4:5]
	v_lshlrev_b64 v[6:7], 1, v[6:7]
	s_delay_alu instid0(VALU_DEP_2) | instskip(NEXT) | instid1(VALU_DEP_3)
	v_add_co_u32 v4, vcc_lo, s10, v4
	v_add_co_ci_u32_e32 v5, vcc_lo, s11, v5, vcc_lo
	s_delay_alu instid0(VALU_DEP_3) | instskip(NEXT) | instid1(VALU_DEP_4)
	v_add_co_u32 v6, vcc_lo, s10, v6
	v_add_co_ci_u32_e32 v7, vcc_lo, s11, v7, vcc_lo
	s_set_inst_prefetch_distance 0x1
	s_branch .LBB1366_669
	.p2align	6
.LBB1366_668:                           ;   in Loop: Header=BB1366_669 Depth=1
	s_or_b32 exec_lo, exec_lo, s3
	s_delay_alu instid0(SALU_CYCLE_1) | instskip(NEXT) | instid1(SALU_CYCLE_1)
	s_and_b32 s3, exec_lo, s21
	s_or_b32 s17, s3, s17
	s_and_not1_b32 s3, s24, exec_lo
	s_and_b32 s24, s23, exec_lo
	s_and_not1_b32 s20, s20, exec_lo
	s_and_b32 s25, s22, exec_lo
	s_or_b32 s24, s3, s24
	s_or_b32 s20, s20, s25
	s_and_not1_b32 exec_lo, exec_lo, s17
	s_cbranch_execz .LBB1366_671
.LBB1366_669:                           ; =>This Inner Loop Header: Depth=1
	global_load_u16 v10, v[4:5], off
	global_load_u16 v11, v[6:7], off
	s_and_not1_b32 s22, s22, exec_lo
	s_and_not1_b32 s23, s23, exec_lo
	s_or_b32 s21, s21, exec_lo
	s_waitcnt vmcnt(0)
	v_cmp_le_u16_e32 vcc_lo, v10, v11
	v_cmp_lt_u16_e64 s3, v10, v11
	s_and_b32 s25, vcc_lo, s24
	s_delay_alu instid0(VALU_DEP_1) | instid1(SALU_CYCLE_1)
	s_or_b32 s25, s3, s25
	s_delay_alu instid0(SALU_CYCLE_1) | instskip(NEXT) | instid1(SALU_CYCLE_1)
	s_and_b32 s3, s25, exec_lo
	s_or_b32 s22, s22, s3
	s_mov_b32 s3, exec_lo
	v_cmpx_eq_u16_e64 v10, v11
	s_cbranch_execz .LBB1366_668
; %bb.670:                              ;   in Loop: Header=BB1366_669 Depth=1
	s_add_u32 s4, s4, -1
	s_addc_u32 s5, s5, -1
	v_add_co_u32 v4, vcc_lo, v4, 2
	s_cmp_eq_u64 s[4:5], 0
	v_add_co_ci_u32_e32 v5, vcc_lo, 0, v5, vcc_lo
	v_add_co_u32 v6, vcc_lo, v6, 2
	s_cselect_b32 s24, -1, 0
	v_add_co_ci_u32_e32 v7, vcc_lo, 0, v7, vcc_lo
	s_and_not1_b32 s23, s23, exec_lo
	s_and_b32 s25, s25, exec_lo
	s_and_not1_b32 s21, s21, exec_lo
	s_and_b32 s24, s24, exec_lo
	s_or_b32 s23, s23, s25
	s_and_not1_b32 s22, s22, exec_lo
	s_or_b32 s21, s21, s24
                                        ; implicit-def: $sgpr24
	s_branch .LBB1366_668
.LBB1366_671:
	s_set_inst_prefetch_distance 0x2
	s_or_b32 exec_lo, exec_lo, s17
	s_xor_b32 s3, s20, -1
	s_branch .LBB1366_673
.LBB1366_672:
	s_mov_b32 s3, -1
.LBB1366_673:
	s_delay_alu instid0(SALU_CYCLE_1)
	s_and_b32 s3, s3, exec_lo
.LBB1366_674:
	s_or_b32 exec_lo, exec_lo, s12
	s_delay_alu instid0(SALU_CYCLE_1)
	s_or_not1_b32 s12, s3, exec_lo
.LBB1366_675:
	s_or_b32 exec_lo, exec_lo, s13
	v_cndmask_b32_e64 v4, v9, v8, s12
	v_cndmask_b32_e64 v5, v23, v22, s12
	s_mov_b32 s13, -1
	s_mov_b32 s17, exec_lo
	s_delay_alu instid0(VALU_DEP_2) | instskip(NEXT) | instid1(VALU_DEP_2)
	v_add_nc_u32_e32 v6, 1, v4
	v_add_nc_u32_e32 v4, -1, v5
	s_delay_alu instid0(VALU_DEP_2) | instskip(NEXT) | instid1(VALU_DEP_2)
	v_cndmask_b32_e64 v9, v6, v9, s12
	v_min_u32_e32 v4, v6, v4
	v_cndmask_b32_e64 v8, v8, v6, s12
	s_delay_alu instid0(VALU_DEP_2)
	v_lshl_add_u32 v4, v4, 3, v18
	ds_load_b64 v[4:5], v4
	s_waitcnt lgkmcnt(0)
	v_cndmask_b32_e64 v30, v5, v24, s12
	v_cndmask_b32_e64 v31, v4, v25, s12
	;; [unrolled: 1-line block ×4, first 2 shown]
	v_cmpx_lt_u32_e64 v9, v23
	s_cbranch_execz .LBB1366_686
; %bb.676:
	s_mov_b32 s3, 0
	s_mov_b32 s13, exec_lo
	v_cmpx_lt_u32_e64 v8, v22
	s_cbranch_execz .LBB1366_685
; %bb.677:
	s_and_not1_b32 vcc_lo, exec_lo, s16
	s_cbranch_vccnz .LBB1366_683
; %bb.678:
	v_mul_lo_u32 v10, v30, s8
	v_mul_lo_u32 v11, v31, s9
	v_mad_u64_u32 v[4:5], null, v31, s8, 0
	v_mul_lo_u32 v34, v32, s8
	v_mul_lo_u32 v35, v33, s9
	v_mad_u64_u32 v[6:7], null, v33, s8, 0
	s_mov_b32 s20, 0
	s_mov_b64 s[4:5], s[8:9]
	s_delay_alu instid0(VALU_DEP_4) | instskip(NEXT) | instid1(VALU_DEP_2)
	v_add3_u32 v5, v5, v11, v10
                                        ; implicit-def: $sgpr21
                                        ; implicit-def: $sgpr22
                                        ; implicit-def: $sgpr23
                                        ; implicit-def: $sgpr24
                                        ; implicit-def: $sgpr25
	v_add3_u32 v7, v7, v35, v34
	s_delay_alu instid0(VALU_DEP_2) | instskip(NEXT) | instid1(VALU_DEP_2)
	v_lshlrev_b64 v[4:5], 1, v[4:5]
	v_lshlrev_b64 v[6:7], 1, v[6:7]
	s_delay_alu instid0(VALU_DEP_2) | instskip(NEXT) | instid1(VALU_DEP_3)
	v_add_co_u32 v4, vcc_lo, s10, v4
	v_add_co_ci_u32_e32 v5, vcc_lo, s11, v5, vcc_lo
	s_delay_alu instid0(VALU_DEP_3) | instskip(NEXT) | instid1(VALU_DEP_4)
	v_add_co_u32 v6, vcc_lo, s10, v6
	v_add_co_ci_u32_e32 v7, vcc_lo, s11, v7, vcc_lo
	s_set_inst_prefetch_distance 0x1
	s_branch .LBB1366_680
	.p2align	6
.LBB1366_679:                           ;   in Loop: Header=BB1366_680 Depth=1
	s_or_b32 exec_lo, exec_lo, s3
	s_delay_alu instid0(SALU_CYCLE_1) | instskip(NEXT) | instid1(SALU_CYCLE_1)
	s_and_b32 s3, exec_lo, s22
	s_or_b32 s20, s3, s20
	s_and_not1_b32 s3, s25, exec_lo
	s_and_b32 s25, s24, exec_lo
	s_and_not1_b32 s21, s21, exec_lo
	s_and_b32 s26, s23, exec_lo
	s_or_b32 s25, s3, s25
	s_or_b32 s21, s21, s26
	s_and_not1_b32 exec_lo, exec_lo, s20
	s_cbranch_execz .LBB1366_682
.LBB1366_680:                           ; =>This Inner Loop Header: Depth=1
	global_load_u16 v10, v[4:5], off
	global_load_u16 v11, v[6:7], off
	s_and_not1_b32 s23, s23, exec_lo
	s_and_not1_b32 s24, s24, exec_lo
	s_or_b32 s22, s22, exec_lo
	s_waitcnt vmcnt(0)
	v_cmp_le_u16_e32 vcc_lo, v10, v11
	v_cmp_lt_u16_e64 s3, v10, v11
	s_and_b32 s26, vcc_lo, s25
	s_delay_alu instid0(VALU_DEP_1) | instid1(SALU_CYCLE_1)
	s_or_b32 s26, s3, s26
	s_delay_alu instid0(SALU_CYCLE_1) | instskip(NEXT) | instid1(SALU_CYCLE_1)
	s_and_b32 s3, s26, exec_lo
	s_or_b32 s23, s23, s3
	s_mov_b32 s3, exec_lo
	v_cmpx_eq_u16_e64 v10, v11
	s_cbranch_execz .LBB1366_679
; %bb.681:                              ;   in Loop: Header=BB1366_680 Depth=1
	s_add_u32 s4, s4, -1
	s_addc_u32 s5, s5, -1
	v_add_co_u32 v4, vcc_lo, v4, 2
	s_cmp_eq_u64 s[4:5], 0
	v_add_co_ci_u32_e32 v5, vcc_lo, 0, v5, vcc_lo
	v_add_co_u32 v6, vcc_lo, v6, 2
	s_cselect_b32 s25, -1, 0
	v_add_co_ci_u32_e32 v7, vcc_lo, 0, v7, vcc_lo
	s_and_not1_b32 s24, s24, exec_lo
	s_and_b32 s26, s26, exec_lo
	s_and_not1_b32 s22, s22, exec_lo
	s_and_b32 s25, s25, exec_lo
	s_or_b32 s24, s24, s26
	s_and_not1_b32 s23, s23, exec_lo
	s_or_b32 s22, s22, s25
                                        ; implicit-def: $sgpr25
	s_branch .LBB1366_679
.LBB1366_682:
	s_set_inst_prefetch_distance 0x2
	s_or_b32 exec_lo, exec_lo, s20
	s_xor_b32 s3, s21, -1
	s_branch .LBB1366_684
.LBB1366_683:
	s_mov_b32 s3, -1
.LBB1366_684:
	s_delay_alu instid0(SALU_CYCLE_1)
	s_and_b32 s3, s3, exec_lo
.LBB1366_685:
	s_or_b32 exec_lo, exec_lo, s13
	s_delay_alu instid0(SALU_CYCLE_1)
	s_or_not1_b32 s13, s3, exec_lo
.LBB1366_686:
	s_or_b32 exec_lo, exec_lo, s17
	v_cndmask_b32_e64 v4, v9, v8, s13
	v_cndmask_b32_e64 v5, v23, v22, s13
	s_mov_b32 s17, exec_lo
	s_delay_alu instid0(VALU_DEP_2) | instskip(NEXT) | instid1(VALU_DEP_2)
	v_add_nc_u32_e32 v10, 1, v4
	v_add_nc_u32_e32 v4, -1, v5
	s_delay_alu instid0(VALU_DEP_2) | instskip(NEXT) | instid1(VALU_DEP_2)
	v_cndmask_b32_e64 v9, v10, v9, s13
	v_min_u32_e32 v4, v10, v4
	s_delay_alu instid0(VALU_DEP_1)
	v_lshl_add_u32 v4, v4, 3, v18
	ds_load_b64 v[4:5], v4
	s_waitcnt lgkmcnt(0)
	v_cndmask_b32_e64 v7, v32, v5, s13
	v_cndmask_b32_e64 v6, v33, v4, s13
	v_cmpx_lt_u32_e64 v9, v23
	s_cbranch_execz .LBB1366_696
; %bb.687:
	v_cndmask_b32_e64 v8, v8, v10, s13
	v_cndmask_b32_e64 v5, v5, v30, s13
	;; [unrolled: 1-line block ×3, first 2 shown]
	s_mov_b32 s20, exec_lo
	s_delay_alu instid0(VALU_DEP_3)
	v_cmpx_lt_u32_e64 v8, v22
	s_cbranch_execz .LBB1366_695
; %bb.688:
	s_and_not1_b32 vcc_lo, exec_lo, s16
	s_cbranch_vccnz .LBB1366_694
; %bb.689:
	v_mul_lo_u32 v22, v5, s8
	v_mul_lo_u32 v23, v4, s9
	v_mad_u64_u32 v[8:9], null, v4, s8, 0
	v_mul_lo_u32 v34, v7, s8
	v_mul_lo_u32 v35, v6, s9
	v_mad_u64_u32 v[10:11], null, v6, s8, 0
	s_mov_b32 s21, 0
	s_mov_b64 s[4:5], s[8:9]
	s_delay_alu instid0(VALU_DEP_4) | instskip(NEXT) | instid1(VALU_DEP_2)
	v_add3_u32 v9, v9, v23, v22
                                        ; implicit-def: $sgpr22
                                        ; implicit-def: $sgpr23
                                        ; implicit-def: $sgpr24
                                        ; implicit-def: $sgpr25
                                        ; implicit-def: $sgpr26
	v_add3_u32 v11, v11, v35, v34
	s_delay_alu instid0(VALU_DEP_2) | instskip(NEXT) | instid1(VALU_DEP_2)
	v_lshlrev_b64 v[8:9], 1, v[8:9]
	v_lshlrev_b64 v[10:11], 1, v[10:11]
	s_delay_alu instid0(VALU_DEP_2) | instskip(NEXT) | instid1(VALU_DEP_3)
	v_add_co_u32 v8, vcc_lo, s10, v8
	v_add_co_ci_u32_e32 v9, vcc_lo, s11, v9, vcc_lo
	s_delay_alu instid0(VALU_DEP_3) | instskip(NEXT) | instid1(VALU_DEP_4)
	v_add_co_u32 v10, vcc_lo, s10, v10
	v_add_co_ci_u32_e32 v11, vcc_lo, s11, v11, vcc_lo
	s_set_inst_prefetch_distance 0x1
	s_branch .LBB1366_691
	.p2align	6
.LBB1366_690:                           ;   in Loop: Header=BB1366_691 Depth=1
	s_or_b32 exec_lo, exec_lo, s3
	s_delay_alu instid0(SALU_CYCLE_1) | instskip(NEXT) | instid1(SALU_CYCLE_1)
	s_and_b32 s3, exec_lo, s23
	s_or_b32 s21, s3, s21
	s_and_not1_b32 s3, s26, exec_lo
	s_and_b32 s26, s25, exec_lo
	s_and_not1_b32 s22, s22, exec_lo
	s_and_b32 s27, s24, exec_lo
	s_or_b32 s26, s3, s26
	s_or_b32 s22, s22, s27
	s_and_not1_b32 exec_lo, exec_lo, s21
	s_cbranch_execz .LBB1366_693
.LBB1366_691:                           ; =>This Inner Loop Header: Depth=1
	global_load_u16 v22, v[8:9], off
	global_load_u16 v23, v[10:11], off
	s_and_not1_b32 s24, s24, exec_lo
	s_and_not1_b32 s25, s25, exec_lo
	s_or_b32 s23, s23, exec_lo
	s_waitcnt vmcnt(0)
	v_cmp_le_u16_e32 vcc_lo, v22, v23
	v_cmp_lt_u16_e64 s3, v22, v23
	s_and_b32 s27, vcc_lo, s26
	s_delay_alu instid0(VALU_DEP_1) | instid1(SALU_CYCLE_1)
	s_or_b32 s27, s3, s27
	s_delay_alu instid0(SALU_CYCLE_1) | instskip(NEXT) | instid1(SALU_CYCLE_1)
	s_and_b32 s3, s27, exec_lo
	s_or_b32 s24, s24, s3
	s_mov_b32 s3, exec_lo
	v_cmpx_eq_u16_e64 v22, v23
	s_cbranch_execz .LBB1366_690
; %bb.692:                              ;   in Loop: Header=BB1366_691 Depth=1
	s_add_u32 s4, s4, -1
	s_addc_u32 s5, s5, -1
	v_add_co_u32 v8, vcc_lo, v8, 2
	s_cmp_eq_u64 s[4:5], 0
	v_add_co_ci_u32_e32 v9, vcc_lo, 0, v9, vcc_lo
	v_add_co_u32 v10, vcc_lo, v10, 2
	s_cselect_b32 s26, -1, 0
	v_add_co_ci_u32_e32 v11, vcc_lo, 0, v11, vcc_lo
	s_and_not1_b32 s25, s25, exec_lo
	s_and_b32 s27, s27, exec_lo
	s_and_not1_b32 s23, s23, exec_lo
	s_and_b32 s26, s26, exec_lo
	s_or_b32 s25, s25, s27
	s_and_not1_b32 s24, s24, exec_lo
	s_or_b32 s23, s23, s26
                                        ; implicit-def: $sgpr26
	s_branch .LBB1366_690
.LBB1366_693:
	s_set_inst_prefetch_distance 0x2
	s_or_b32 exec_lo, exec_lo, s21
	v_cndmask_b32_e64 v7, v7, v5, s22
	v_cndmask_b32_e64 v6, v6, v4, s22
.LBB1366_694:
	s_delay_alu instid0(VALU_DEP_1)
	v_dual_mov_b32 v4, v6 :: v_dual_mov_b32 v5, v7
.LBB1366_695:
	s_or_b32 exec_lo, exec_lo, s20
	s_delay_alu instid0(VALU_DEP_1)
	v_dual_mov_b32 v7, v5 :: v_dual_mov_b32 v6, v4
.LBB1366_696:
	s_or_b32 exec_lo, exec_lo, s17
	v_cndmask_b32_e64 v1, v3, v1, s7
	v_cndmask_b32_e64 v0, v2, v0, s7
	v_cndmask_b32_e64 v3, v24, v28, s12
	v_cndmask_b32_e64 v2, v25, v29, s12
	v_cndmask_b32_e64 v5, v30, v32, s13
	v_cndmask_b32_e64 v4, v31, v33, s13
.LBB1366_697:
	s_or_b32 exec_lo, exec_lo, s6
	v_and_b32_e32 v28, 0x60, v20
	v_and_b32_e32 v9, 28, v20
	s_mov_b32 s12, exec_lo
	; wave barrier
	s_delay_alu instid0(VALU_DEP_2) | instskip(NEXT) | instid1(VALU_DEP_2)
	v_or_b32_e32 v8, 16, v28
	v_min_u32_e32 v29, v19, v9
	v_lshl_add_u32 v25, v28, 3, v18
	ds_store_b128 v21, v[0:3]
	ds_store_b128 v21, v[4:7] offset:16
	v_min_u32_e32 v22, v19, v8
	; wave barrier
	s_delay_alu instid0(VALU_DEP_1) | instskip(SKIP_1) | instid1(VALU_DEP_2)
	v_add_nc_u32_e32 v8, 16, v22
	v_sub_nc_u32_e32 v9, v22, v28
	v_min_u32_e32 v23, v19, v8
	s_delay_alu instid0(VALU_DEP_2) | instskip(NEXT) | instid1(VALU_DEP_2)
	v_min_u32_e32 v30, v29, v9
	v_sub_nc_u32_e32 v8, v23, v22
	s_delay_alu instid0(VALU_DEP_1) | instskip(NEXT) | instid1(VALU_DEP_1)
	v_sub_nc_u32_e64 v24, v29, v8 clamp
	v_cmpx_lt_u32_e64 v24, v30
	s_cbranch_execz .LBB1366_707
; %bb.698:
	v_lshlrev_b32_e32 v8, 3, v22
	v_lshlrev_b32_e32 v9, 3, v29
	s_lshl_b64 s[4:5], s[8:9], 1
	s_mov_b32 s13, 0
	s_delay_alu instid0(VALU_DEP_1)
	v_add3_u32 v31, v18, v8, v9
	s_branch .LBB1366_701
.LBB1366_699:                           ;   in Loop: Header=BB1366_701 Depth=1
	s_set_inst_prefetch_distance 0x2
	s_or_b32 exec_lo, exec_lo, s17
.LBB1366_700:                           ;   in Loop: Header=BB1366_701 Depth=1
	s_delay_alu instid0(VALU_DEP_1) | instskip(SKIP_1) | instid1(VALU_DEP_2)
	v_add_nc_u32_e32 v8, 1, v32
	v_cndmask_b32_e64 v30, v30, v32, s20
	v_cndmask_b32_e64 v24, v8, v24, s20
	s_delay_alu instid0(VALU_DEP_1) | instskip(SKIP_1) | instid1(SALU_CYCLE_1)
	v_cmp_ge_u32_e32 vcc_lo, v24, v30
	s_or_b32 s13, vcc_lo, s13
	s_and_not1_b32 exec_lo, exec_lo, s13
	s_cbranch_execz .LBB1366_706
.LBB1366_701:                           ; =>This Loop Header: Depth=1
                                        ;     Child Loop BB1366_704 Depth 2
	v_add_nc_u32_e32 v8, v30, v24
	s_and_not1_b32 vcc_lo, exec_lo, s16
	s_mov_b32 s20, 0
	s_delay_alu instid0(VALU_DEP_1)
	v_lshrrev_b32_e32 v32, 1, v8
	s_cbranch_vccnz .LBB1366_700
; %bb.702:                              ;   in Loop: Header=BB1366_701 Depth=1
	s_delay_alu instid0(VALU_DEP_1) | instskip(SKIP_3) | instid1(VALU_DEP_2)
	v_not_b32_e32 v8, v32
	v_lshl_add_u32 v9, v32, 3, v25
	s_mov_b32 s17, 0
	s_mov_b64 s[6:7], s[8:9]
                                        ; implicit-def: $sgpr20
                                        ; implicit-def: $sgpr21
                                        ; implicit-def: $sgpr22
                                        ; implicit-def: $sgpr23
                                        ; implicit-def: $sgpr24
	v_lshl_add_u32 v8, v8, 3, v31
	ds_load_b64 v[10:11], v8
	ds_load_b64 v[33:34], v9
	s_waitcnt lgkmcnt(1)
	v_mul_lo_u32 v35, s4, v11
	v_mul_lo_u32 v36, s5, v10
	v_mad_u64_u32 v[8:9], null, s4, v10, s[10:11]
	s_waitcnt lgkmcnt(0)
	v_mul_lo_u32 v34, s4, v34
	v_mul_lo_u32 v37, s5, v33
	v_mad_u64_u32 v[10:11], null, s4, v33, s[10:11]
	s_delay_alu instid0(VALU_DEP_4) | instskip(NEXT) | instid1(VALU_DEP_2)
	v_add3_u32 v9, v36, v9, v35
	v_add3_u32 v11, v37, v11, v34
	s_set_inst_prefetch_distance 0x1
	s_branch .LBB1366_704
	.p2align	6
.LBB1366_703:                           ;   in Loop: Header=BB1366_704 Depth=2
	s_or_b32 exec_lo, exec_lo, s25
	s_delay_alu instid0(SALU_CYCLE_1) | instskip(NEXT) | instid1(SALU_CYCLE_1)
	s_and_b32 s3, exec_lo, s21
	s_or_b32 s17, s3, s17
	s_and_not1_b32 s3, s24, exec_lo
	s_and_b32 s24, s22, exec_lo
	s_and_not1_b32 s20, s20, exec_lo
	s_and_b32 s25, s23, exec_lo
	s_or_b32 s24, s3, s24
	s_or_b32 s20, s20, s25
	s_and_not1_b32 exec_lo, exec_lo, s17
	s_cbranch_execz .LBB1366_699
.LBB1366_704:                           ;   Parent Loop BB1366_701 Depth=1
                                        ; =>  This Inner Loop Header: Depth=2
	global_load_u16 v33, v[8:9], off
	global_load_u16 v34, v[10:11], off
	s_and_not1_b32 s23, s23, exec_lo
	s_and_not1_b32 s22, s22, exec_lo
	s_or_b32 s21, s21, exec_lo
	s_waitcnt vmcnt(0)
	v_cmp_le_u16_e32 vcc_lo, v33, v34
	v_cmp_lt_u16_e64 s3, v33, v34
	s_and_b32 s25, vcc_lo, s24
	s_delay_alu instid0(VALU_DEP_1) | instid1(SALU_CYCLE_1)
	s_or_b32 s3, s3, s25
	s_delay_alu instid0(SALU_CYCLE_1) | instskip(NEXT) | instid1(SALU_CYCLE_1)
	s_and_b32 s25, s3, exec_lo
	s_or_b32 s23, s23, s25
	s_mov_b32 s25, exec_lo
	v_cmpx_eq_u16_e64 v33, v34
	s_cbranch_execz .LBB1366_703
; %bb.705:                              ;   in Loop: Header=BB1366_704 Depth=2
	s_add_u32 s6, s6, -1
	s_addc_u32 s7, s7, -1
	v_add_co_u32 v8, vcc_lo, v8, 2
	v_add_co_ci_u32_e32 v9, vcc_lo, 0, v9, vcc_lo
	s_cmp_eq_u64 s[6:7], 0
	v_add_co_u32 v10, vcc_lo, v10, 2
	s_cselect_b32 s24, -1, 0
	v_add_co_ci_u32_e32 v11, vcc_lo, 0, v11, vcc_lo
	s_and_not1_b32 s22, s22, exec_lo
	s_and_b32 s3, s3, exec_lo
	s_and_not1_b32 s21, s21, exec_lo
	s_and_b32 s24, s24, exec_lo
	s_and_not1_b32 s23, s23, exec_lo
	s_or_b32 s22, s22, s3
	s_or_b32 s21, s21, s24
                                        ; implicit-def: $sgpr24
	s_branch .LBB1366_703
.LBB1366_706:
	s_or_b32 exec_lo, exec_lo, s13
.LBB1366_707:
	s_delay_alu instid0(SALU_CYCLE_1) | instskip(SKIP_2) | instid1(VALU_DEP_2)
	s_or_b32 exec_lo, exec_lo, s12
	v_add_nc_u32_e32 v9, v22, v29
	v_add_nc_u32_e32 v8, v24, v28
	v_sub_nc_u32_e32 v9, v9, v24
	s_delay_alu instid0(VALU_DEP_2) | instskip(NEXT) | instid1(VALU_DEP_2)
	v_cmp_le_u32_e32 vcc_lo, v8, v22
	v_cmp_le_u32_e64 s3, v9, v23
	s_delay_alu instid0(VALU_DEP_1) | instskip(NEXT) | instid1(SALU_CYCLE_1)
	s_or_b32 s3, vcc_lo, s3
	s_and_saveexec_b32 s6, s3
	s_cbranch_execz .LBB1366_754
; %bb.708:
	v_cmp_ge_u32_e32 vcc_lo, v8, v22
	s_mov_b32 s4, exec_lo
                                        ; implicit-def: $vgpr0_vgpr1
	v_cmpx_lt_u32_e64 v8, v22
	s_cbranch_execz .LBB1366_710
; %bb.709:
	v_lshl_add_u32 v0, v24, 3, v25
	ds_load_b64 v[0:1], v0
.LBB1366_710:
	s_or_b32 exec_lo, exec_lo, s4
	v_cmp_ge_u32_e64 s7, v9, v23
	s_mov_b32 s4, exec_lo
                                        ; implicit-def: $vgpr2_vgpr3
	v_cmpx_lt_u32_e64 v9, v23
	s_cbranch_execz .LBB1366_712
; %bb.711:
	v_lshl_add_u32 v2, v9, 3, v18
	ds_load_b64 v[2:3], v2
.LBB1366_712:
	s_or_b32 exec_lo, exec_lo, s4
	s_or_b32 s3, vcc_lo, s7
	s_mov_b32 s12, -1
	s_xor_b32 s3, s3, -1
	s_delay_alu instid0(SALU_CYCLE_1)
	s_and_saveexec_b32 s13, s3
	s_cbranch_execz .LBB1366_721
; %bb.713:
	s_and_not1_b32 vcc_lo, exec_lo, s16
	s_cbranch_vccnz .LBB1366_719
; %bb.714:
	s_waitcnt lgkmcnt(0)
	v_mul_lo_u32 v10, v3, s8
	v_mul_lo_u32 v11, v2, s9
	v_mad_u64_u32 v[4:5], null, v2, s8, 0
	v_mul_lo_u32 v24, v1, s8
	v_mul_lo_u32 v25, v0, s9
	v_mad_u64_u32 v[6:7], null, v0, s8, 0
	s_mov_b32 s17, 0
	s_mov_b64 s[4:5], s[8:9]
	s_delay_alu instid0(VALU_DEP_4) | instskip(NEXT) | instid1(VALU_DEP_2)
	v_add3_u32 v5, v5, v11, v10
                                        ; implicit-def: $sgpr20
                                        ; implicit-def: $sgpr21
                                        ; implicit-def: $sgpr22
                                        ; implicit-def: $sgpr23
                                        ; implicit-def: $sgpr24
	v_add3_u32 v7, v7, v25, v24
	s_delay_alu instid0(VALU_DEP_2) | instskip(NEXT) | instid1(VALU_DEP_2)
	v_lshlrev_b64 v[4:5], 1, v[4:5]
	v_lshlrev_b64 v[6:7], 1, v[6:7]
	s_delay_alu instid0(VALU_DEP_2) | instskip(NEXT) | instid1(VALU_DEP_3)
	v_add_co_u32 v4, vcc_lo, s10, v4
	v_add_co_ci_u32_e32 v5, vcc_lo, s11, v5, vcc_lo
	s_delay_alu instid0(VALU_DEP_3) | instskip(NEXT) | instid1(VALU_DEP_4)
	v_add_co_u32 v6, vcc_lo, s10, v6
	v_add_co_ci_u32_e32 v7, vcc_lo, s11, v7, vcc_lo
	s_set_inst_prefetch_distance 0x1
	s_branch .LBB1366_716
	.p2align	6
.LBB1366_715:                           ;   in Loop: Header=BB1366_716 Depth=1
	s_or_b32 exec_lo, exec_lo, s3
	s_delay_alu instid0(SALU_CYCLE_1) | instskip(NEXT) | instid1(SALU_CYCLE_1)
	s_and_b32 s3, exec_lo, s21
	s_or_b32 s17, s3, s17
	s_and_not1_b32 s3, s24, exec_lo
	s_and_b32 s24, s23, exec_lo
	s_and_not1_b32 s20, s20, exec_lo
	s_and_b32 s25, s22, exec_lo
	s_or_b32 s24, s3, s24
	s_or_b32 s20, s20, s25
	s_and_not1_b32 exec_lo, exec_lo, s17
	s_cbranch_execz .LBB1366_718
.LBB1366_716:                           ; =>This Inner Loop Header: Depth=1
	global_load_u16 v10, v[4:5], off
	global_load_u16 v11, v[6:7], off
	s_and_not1_b32 s22, s22, exec_lo
	s_and_not1_b32 s23, s23, exec_lo
	s_or_b32 s21, s21, exec_lo
	s_waitcnt vmcnt(0)
	v_cmp_le_u16_e32 vcc_lo, v10, v11
	v_cmp_lt_u16_e64 s3, v10, v11
	s_and_b32 s25, vcc_lo, s24
	s_delay_alu instid0(VALU_DEP_1) | instid1(SALU_CYCLE_1)
	s_or_b32 s25, s3, s25
	s_delay_alu instid0(SALU_CYCLE_1) | instskip(NEXT) | instid1(SALU_CYCLE_1)
	s_and_b32 s3, s25, exec_lo
	s_or_b32 s22, s22, s3
	s_mov_b32 s3, exec_lo
	v_cmpx_eq_u16_e64 v10, v11
	s_cbranch_execz .LBB1366_715
; %bb.717:                              ;   in Loop: Header=BB1366_716 Depth=1
	s_add_u32 s4, s4, -1
	s_addc_u32 s5, s5, -1
	v_add_co_u32 v4, vcc_lo, v4, 2
	s_cmp_eq_u64 s[4:5], 0
	v_add_co_ci_u32_e32 v5, vcc_lo, 0, v5, vcc_lo
	v_add_co_u32 v6, vcc_lo, v6, 2
	s_cselect_b32 s24, -1, 0
	v_add_co_ci_u32_e32 v7, vcc_lo, 0, v7, vcc_lo
	s_and_not1_b32 s23, s23, exec_lo
	s_and_b32 s25, s25, exec_lo
	s_and_not1_b32 s21, s21, exec_lo
	s_and_b32 s24, s24, exec_lo
	s_or_b32 s23, s23, s25
	s_and_not1_b32 s22, s22, exec_lo
	s_or_b32 s21, s21, s24
                                        ; implicit-def: $sgpr24
	s_branch .LBB1366_715
.LBB1366_718:
	s_set_inst_prefetch_distance 0x2
	s_or_b32 exec_lo, exec_lo, s17
	s_xor_b32 s3, s20, -1
	s_branch .LBB1366_720
.LBB1366_719:
	s_mov_b32 s3, -1
.LBB1366_720:
	s_and_not1_b32 s4, s7, exec_lo
	s_and_b32 s3, s3, exec_lo
	s_delay_alu instid0(SALU_CYCLE_1)
	s_or_b32 s7, s4, s3
.LBB1366_721:
	s_or_b32 exec_lo, exec_lo, s13
	v_cndmask_b32_e64 v4, v9, v8, s7
	v_cndmask_b32_e64 v5, v23, v22, s7
	s_mov_b32 s13, exec_lo
	s_delay_alu instid0(VALU_DEP_2) | instskip(NEXT) | instid1(VALU_DEP_2)
	v_add_nc_u32_e32 v6, 1, v4
	v_add_nc_u32_e32 v4, -1, v5
	s_delay_alu instid0(VALU_DEP_2) | instskip(NEXT) | instid1(VALU_DEP_2)
	v_cndmask_b32_e64 v9, v6, v9, s7
	v_min_u32_e32 v4, v6, v4
	v_cndmask_b32_e64 v8, v8, v6, s7
	s_delay_alu instid0(VALU_DEP_2)
	v_lshl_add_u32 v4, v4, 3, v18
	ds_load_b64 v[4:5], v4
	s_waitcnt lgkmcnt(0)
	v_cndmask_b32_e64 v24, v5, v3, s7
	v_cndmask_b32_e64 v25, v4, v2, s7
	;; [unrolled: 1-line block ×4, first 2 shown]
	v_cmpx_lt_u32_e64 v9, v23
	s_cbranch_execz .LBB1366_732
; %bb.722:
	s_mov_b32 s3, 0
	s_mov_b32 s12, exec_lo
	v_cmpx_lt_u32_e64 v8, v22
	s_cbranch_execz .LBB1366_731
; %bb.723:
	s_and_not1_b32 vcc_lo, exec_lo, s16
	s_cbranch_vccnz .LBB1366_729
; %bb.724:
	v_mul_lo_u32 v10, v24, s8
	v_mul_lo_u32 v11, v25, s9
	v_mad_u64_u32 v[4:5], null, v25, s8, 0
	v_mul_lo_u32 v30, v28, s8
	v_mul_lo_u32 v31, v29, s9
	v_mad_u64_u32 v[6:7], null, v29, s8, 0
	s_mov_b32 s17, 0
	s_mov_b64 s[4:5], s[8:9]
	s_delay_alu instid0(VALU_DEP_4) | instskip(NEXT) | instid1(VALU_DEP_2)
	v_add3_u32 v5, v5, v11, v10
                                        ; implicit-def: $sgpr20
                                        ; implicit-def: $sgpr21
                                        ; implicit-def: $sgpr22
                                        ; implicit-def: $sgpr23
                                        ; implicit-def: $sgpr24
	v_add3_u32 v7, v7, v31, v30
	s_delay_alu instid0(VALU_DEP_2) | instskip(NEXT) | instid1(VALU_DEP_2)
	v_lshlrev_b64 v[4:5], 1, v[4:5]
	v_lshlrev_b64 v[6:7], 1, v[6:7]
	s_delay_alu instid0(VALU_DEP_2) | instskip(NEXT) | instid1(VALU_DEP_3)
	v_add_co_u32 v4, vcc_lo, s10, v4
	v_add_co_ci_u32_e32 v5, vcc_lo, s11, v5, vcc_lo
	s_delay_alu instid0(VALU_DEP_3) | instskip(NEXT) | instid1(VALU_DEP_4)
	v_add_co_u32 v6, vcc_lo, s10, v6
	v_add_co_ci_u32_e32 v7, vcc_lo, s11, v7, vcc_lo
	s_set_inst_prefetch_distance 0x1
	s_branch .LBB1366_726
	.p2align	6
.LBB1366_725:                           ;   in Loop: Header=BB1366_726 Depth=1
	s_or_b32 exec_lo, exec_lo, s3
	s_delay_alu instid0(SALU_CYCLE_1) | instskip(NEXT) | instid1(SALU_CYCLE_1)
	s_and_b32 s3, exec_lo, s21
	s_or_b32 s17, s3, s17
	s_and_not1_b32 s3, s24, exec_lo
	s_and_b32 s24, s23, exec_lo
	s_and_not1_b32 s20, s20, exec_lo
	s_and_b32 s25, s22, exec_lo
	s_or_b32 s24, s3, s24
	s_or_b32 s20, s20, s25
	s_and_not1_b32 exec_lo, exec_lo, s17
	s_cbranch_execz .LBB1366_728
.LBB1366_726:                           ; =>This Inner Loop Header: Depth=1
	global_load_u16 v10, v[4:5], off
	global_load_u16 v11, v[6:7], off
	s_and_not1_b32 s22, s22, exec_lo
	s_and_not1_b32 s23, s23, exec_lo
	s_or_b32 s21, s21, exec_lo
	s_waitcnt vmcnt(0)
	v_cmp_le_u16_e32 vcc_lo, v10, v11
	v_cmp_lt_u16_e64 s3, v10, v11
	s_and_b32 s25, vcc_lo, s24
	s_delay_alu instid0(VALU_DEP_1) | instid1(SALU_CYCLE_1)
	s_or_b32 s25, s3, s25
	s_delay_alu instid0(SALU_CYCLE_1) | instskip(NEXT) | instid1(SALU_CYCLE_1)
	s_and_b32 s3, s25, exec_lo
	s_or_b32 s22, s22, s3
	s_mov_b32 s3, exec_lo
	v_cmpx_eq_u16_e64 v10, v11
	s_cbranch_execz .LBB1366_725
; %bb.727:                              ;   in Loop: Header=BB1366_726 Depth=1
	s_add_u32 s4, s4, -1
	s_addc_u32 s5, s5, -1
	v_add_co_u32 v4, vcc_lo, v4, 2
	s_cmp_eq_u64 s[4:5], 0
	v_add_co_ci_u32_e32 v5, vcc_lo, 0, v5, vcc_lo
	v_add_co_u32 v6, vcc_lo, v6, 2
	s_cselect_b32 s24, -1, 0
	v_add_co_ci_u32_e32 v7, vcc_lo, 0, v7, vcc_lo
	s_and_not1_b32 s23, s23, exec_lo
	s_and_b32 s25, s25, exec_lo
	s_and_not1_b32 s21, s21, exec_lo
	s_and_b32 s24, s24, exec_lo
	s_or_b32 s23, s23, s25
	s_and_not1_b32 s22, s22, exec_lo
	s_or_b32 s21, s21, s24
                                        ; implicit-def: $sgpr24
	s_branch .LBB1366_725
.LBB1366_728:
	s_set_inst_prefetch_distance 0x2
	s_or_b32 exec_lo, exec_lo, s17
	s_xor_b32 s3, s20, -1
	s_branch .LBB1366_730
.LBB1366_729:
	s_mov_b32 s3, -1
.LBB1366_730:
	s_delay_alu instid0(SALU_CYCLE_1)
	s_and_b32 s3, s3, exec_lo
.LBB1366_731:
	s_or_b32 exec_lo, exec_lo, s12
	s_delay_alu instid0(SALU_CYCLE_1)
	s_or_not1_b32 s12, s3, exec_lo
.LBB1366_732:
	s_or_b32 exec_lo, exec_lo, s13
	v_cndmask_b32_e64 v4, v9, v8, s12
	v_cndmask_b32_e64 v5, v23, v22, s12
	s_mov_b32 s13, -1
	s_mov_b32 s17, exec_lo
	s_delay_alu instid0(VALU_DEP_2) | instskip(NEXT) | instid1(VALU_DEP_2)
	v_add_nc_u32_e32 v6, 1, v4
	v_add_nc_u32_e32 v4, -1, v5
	s_delay_alu instid0(VALU_DEP_2) | instskip(NEXT) | instid1(VALU_DEP_2)
	v_cndmask_b32_e64 v9, v6, v9, s12
	v_min_u32_e32 v4, v6, v4
	v_cndmask_b32_e64 v8, v8, v6, s12
	s_delay_alu instid0(VALU_DEP_2)
	v_lshl_add_u32 v4, v4, 3, v18
	ds_load_b64 v[4:5], v4
	s_waitcnt lgkmcnt(0)
	v_cndmask_b32_e64 v30, v5, v24, s12
	v_cndmask_b32_e64 v31, v4, v25, s12
	;; [unrolled: 1-line block ×4, first 2 shown]
	v_cmpx_lt_u32_e64 v9, v23
	s_cbranch_execz .LBB1366_743
; %bb.733:
	s_mov_b32 s3, 0
	s_mov_b32 s13, exec_lo
	v_cmpx_lt_u32_e64 v8, v22
	s_cbranch_execz .LBB1366_742
; %bb.734:
	s_and_not1_b32 vcc_lo, exec_lo, s16
	s_cbranch_vccnz .LBB1366_740
; %bb.735:
	v_mul_lo_u32 v10, v30, s8
	v_mul_lo_u32 v11, v31, s9
	v_mad_u64_u32 v[4:5], null, v31, s8, 0
	v_mul_lo_u32 v34, v32, s8
	v_mul_lo_u32 v35, v33, s9
	v_mad_u64_u32 v[6:7], null, v33, s8, 0
	s_mov_b32 s20, 0
	s_mov_b64 s[4:5], s[8:9]
	s_delay_alu instid0(VALU_DEP_4) | instskip(NEXT) | instid1(VALU_DEP_2)
	v_add3_u32 v5, v5, v11, v10
                                        ; implicit-def: $sgpr21
                                        ; implicit-def: $sgpr22
                                        ; implicit-def: $sgpr23
                                        ; implicit-def: $sgpr24
                                        ; implicit-def: $sgpr25
	v_add3_u32 v7, v7, v35, v34
	s_delay_alu instid0(VALU_DEP_2) | instskip(NEXT) | instid1(VALU_DEP_2)
	v_lshlrev_b64 v[4:5], 1, v[4:5]
	v_lshlrev_b64 v[6:7], 1, v[6:7]
	s_delay_alu instid0(VALU_DEP_2) | instskip(NEXT) | instid1(VALU_DEP_3)
	v_add_co_u32 v4, vcc_lo, s10, v4
	v_add_co_ci_u32_e32 v5, vcc_lo, s11, v5, vcc_lo
	s_delay_alu instid0(VALU_DEP_3) | instskip(NEXT) | instid1(VALU_DEP_4)
	v_add_co_u32 v6, vcc_lo, s10, v6
	v_add_co_ci_u32_e32 v7, vcc_lo, s11, v7, vcc_lo
	s_set_inst_prefetch_distance 0x1
	s_branch .LBB1366_737
	.p2align	6
.LBB1366_736:                           ;   in Loop: Header=BB1366_737 Depth=1
	s_or_b32 exec_lo, exec_lo, s3
	s_delay_alu instid0(SALU_CYCLE_1) | instskip(NEXT) | instid1(SALU_CYCLE_1)
	s_and_b32 s3, exec_lo, s22
	s_or_b32 s20, s3, s20
	s_and_not1_b32 s3, s25, exec_lo
	s_and_b32 s25, s24, exec_lo
	s_and_not1_b32 s21, s21, exec_lo
	s_and_b32 s26, s23, exec_lo
	s_or_b32 s25, s3, s25
	s_or_b32 s21, s21, s26
	s_and_not1_b32 exec_lo, exec_lo, s20
	s_cbranch_execz .LBB1366_739
.LBB1366_737:                           ; =>This Inner Loop Header: Depth=1
	global_load_u16 v10, v[4:5], off
	global_load_u16 v11, v[6:7], off
	s_and_not1_b32 s23, s23, exec_lo
	s_and_not1_b32 s24, s24, exec_lo
	s_or_b32 s22, s22, exec_lo
	s_waitcnt vmcnt(0)
	v_cmp_le_u16_e32 vcc_lo, v10, v11
	v_cmp_lt_u16_e64 s3, v10, v11
	s_and_b32 s26, vcc_lo, s25
	s_delay_alu instid0(VALU_DEP_1) | instid1(SALU_CYCLE_1)
	s_or_b32 s26, s3, s26
	s_delay_alu instid0(SALU_CYCLE_1) | instskip(NEXT) | instid1(SALU_CYCLE_1)
	s_and_b32 s3, s26, exec_lo
	s_or_b32 s23, s23, s3
	s_mov_b32 s3, exec_lo
	v_cmpx_eq_u16_e64 v10, v11
	s_cbranch_execz .LBB1366_736
; %bb.738:                              ;   in Loop: Header=BB1366_737 Depth=1
	s_add_u32 s4, s4, -1
	s_addc_u32 s5, s5, -1
	v_add_co_u32 v4, vcc_lo, v4, 2
	s_cmp_eq_u64 s[4:5], 0
	v_add_co_ci_u32_e32 v5, vcc_lo, 0, v5, vcc_lo
	v_add_co_u32 v6, vcc_lo, v6, 2
	s_cselect_b32 s25, -1, 0
	v_add_co_ci_u32_e32 v7, vcc_lo, 0, v7, vcc_lo
	s_and_not1_b32 s24, s24, exec_lo
	s_and_b32 s26, s26, exec_lo
	s_and_not1_b32 s22, s22, exec_lo
	s_and_b32 s25, s25, exec_lo
	s_or_b32 s24, s24, s26
	s_and_not1_b32 s23, s23, exec_lo
	s_or_b32 s22, s22, s25
                                        ; implicit-def: $sgpr25
	s_branch .LBB1366_736
.LBB1366_739:
	s_set_inst_prefetch_distance 0x2
	s_or_b32 exec_lo, exec_lo, s20
	s_xor_b32 s3, s21, -1
	s_branch .LBB1366_741
.LBB1366_740:
	s_mov_b32 s3, -1
.LBB1366_741:
	s_delay_alu instid0(SALU_CYCLE_1)
	s_and_b32 s3, s3, exec_lo
.LBB1366_742:
	s_or_b32 exec_lo, exec_lo, s13
	s_delay_alu instid0(SALU_CYCLE_1)
	s_or_not1_b32 s13, s3, exec_lo
.LBB1366_743:
	s_or_b32 exec_lo, exec_lo, s17
	v_cndmask_b32_e64 v4, v9, v8, s13
	v_cndmask_b32_e64 v5, v23, v22, s13
	s_mov_b32 s17, exec_lo
	s_delay_alu instid0(VALU_DEP_2) | instskip(NEXT) | instid1(VALU_DEP_2)
	v_add_nc_u32_e32 v10, 1, v4
	v_add_nc_u32_e32 v4, -1, v5
	s_delay_alu instid0(VALU_DEP_2) | instskip(NEXT) | instid1(VALU_DEP_2)
	v_cndmask_b32_e64 v9, v10, v9, s13
	v_min_u32_e32 v4, v10, v4
	s_delay_alu instid0(VALU_DEP_1)
	v_lshl_add_u32 v4, v4, 3, v18
	ds_load_b64 v[4:5], v4
	s_waitcnt lgkmcnt(0)
	v_cndmask_b32_e64 v7, v32, v5, s13
	v_cndmask_b32_e64 v6, v33, v4, s13
	v_cmpx_lt_u32_e64 v9, v23
	s_cbranch_execz .LBB1366_753
; %bb.744:
	v_cndmask_b32_e64 v8, v8, v10, s13
	v_cndmask_b32_e64 v5, v5, v30, s13
	;; [unrolled: 1-line block ×3, first 2 shown]
	s_mov_b32 s20, exec_lo
	s_delay_alu instid0(VALU_DEP_3)
	v_cmpx_lt_u32_e64 v8, v22
	s_cbranch_execz .LBB1366_752
; %bb.745:
	s_and_not1_b32 vcc_lo, exec_lo, s16
	s_cbranch_vccnz .LBB1366_751
; %bb.746:
	v_mul_lo_u32 v22, v5, s8
	v_mul_lo_u32 v23, v4, s9
	v_mad_u64_u32 v[8:9], null, v4, s8, 0
	v_mul_lo_u32 v34, v7, s8
	v_mul_lo_u32 v35, v6, s9
	v_mad_u64_u32 v[10:11], null, v6, s8, 0
	s_mov_b32 s21, 0
	s_mov_b64 s[4:5], s[8:9]
	s_delay_alu instid0(VALU_DEP_4) | instskip(NEXT) | instid1(VALU_DEP_2)
	v_add3_u32 v9, v9, v23, v22
                                        ; implicit-def: $sgpr22
                                        ; implicit-def: $sgpr23
                                        ; implicit-def: $sgpr24
                                        ; implicit-def: $sgpr25
                                        ; implicit-def: $sgpr26
	v_add3_u32 v11, v11, v35, v34
	s_delay_alu instid0(VALU_DEP_2) | instskip(NEXT) | instid1(VALU_DEP_2)
	v_lshlrev_b64 v[8:9], 1, v[8:9]
	v_lshlrev_b64 v[10:11], 1, v[10:11]
	s_delay_alu instid0(VALU_DEP_2) | instskip(NEXT) | instid1(VALU_DEP_3)
	v_add_co_u32 v8, vcc_lo, s10, v8
	v_add_co_ci_u32_e32 v9, vcc_lo, s11, v9, vcc_lo
	s_delay_alu instid0(VALU_DEP_3) | instskip(NEXT) | instid1(VALU_DEP_4)
	v_add_co_u32 v10, vcc_lo, s10, v10
	v_add_co_ci_u32_e32 v11, vcc_lo, s11, v11, vcc_lo
	s_set_inst_prefetch_distance 0x1
	s_branch .LBB1366_748
	.p2align	6
.LBB1366_747:                           ;   in Loop: Header=BB1366_748 Depth=1
	s_or_b32 exec_lo, exec_lo, s3
	s_delay_alu instid0(SALU_CYCLE_1) | instskip(NEXT) | instid1(SALU_CYCLE_1)
	s_and_b32 s3, exec_lo, s23
	s_or_b32 s21, s3, s21
	s_and_not1_b32 s3, s26, exec_lo
	s_and_b32 s26, s25, exec_lo
	s_and_not1_b32 s22, s22, exec_lo
	s_and_b32 s27, s24, exec_lo
	s_or_b32 s26, s3, s26
	s_or_b32 s22, s22, s27
	s_and_not1_b32 exec_lo, exec_lo, s21
	s_cbranch_execz .LBB1366_750
.LBB1366_748:                           ; =>This Inner Loop Header: Depth=1
	global_load_u16 v22, v[8:9], off
	global_load_u16 v23, v[10:11], off
	s_and_not1_b32 s24, s24, exec_lo
	s_and_not1_b32 s25, s25, exec_lo
	s_or_b32 s23, s23, exec_lo
	s_waitcnt vmcnt(0)
	v_cmp_le_u16_e32 vcc_lo, v22, v23
	v_cmp_lt_u16_e64 s3, v22, v23
	s_and_b32 s27, vcc_lo, s26
	s_delay_alu instid0(VALU_DEP_1) | instid1(SALU_CYCLE_1)
	s_or_b32 s27, s3, s27
	s_delay_alu instid0(SALU_CYCLE_1) | instskip(NEXT) | instid1(SALU_CYCLE_1)
	s_and_b32 s3, s27, exec_lo
	s_or_b32 s24, s24, s3
	s_mov_b32 s3, exec_lo
	v_cmpx_eq_u16_e64 v22, v23
	s_cbranch_execz .LBB1366_747
; %bb.749:                              ;   in Loop: Header=BB1366_748 Depth=1
	s_add_u32 s4, s4, -1
	s_addc_u32 s5, s5, -1
	v_add_co_u32 v8, vcc_lo, v8, 2
	s_cmp_eq_u64 s[4:5], 0
	v_add_co_ci_u32_e32 v9, vcc_lo, 0, v9, vcc_lo
	v_add_co_u32 v10, vcc_lo, v10, 2
	s_cselect_b32 s26, -1, 0
	v_add_co_ci_u32_e32 v11, vcc_lo, 0, v11, vcc_lo
	s_and_not1_b32 s25, s25, exec_lo
	s_and_b32 s27, s27, exec_lo
	s_and_not1_b32 s23, s23, exec_lo
	s_and_b32 s26, s26, exec_lo
	s_or_b32 s25, s25, s27
	s_and_not1_b32 s24, s24, exec_lo
	s_or_b32 s23, s23, s26
                                        ; implicit-def: $sgpr26
	s_branch .LBB1366_747
.LBB1366_750:
	s_set_inst_prefetch_distance 0x2
	s_or_b32 exec_lo, exec_lo, s21
	v_cndmask_b32_e64 v7, v7, v5, s22
	v_cndmask_b32_e64 v6, v6, v4, s22
.LBB1366_751:
	s_delay_alu instid0(VALU_DEP_1)
	v_dual_mov_b32 v4, v6 :: v_dual_mov_b32 v5, v7
.LBB1366_752:
	s_or_b32 exec_lo, exec_lo, s20
	s_delay_alu instid0(VALU_DEP_1)
	v_dual_mov_b32 v7, v5 :: v_dual_mov_b32 v6, v4
.LBB1366_753:
	s_or_b32 exec_lo, exec_lo, s17
	v_cndmask_b32_e64 v1, v3, v1, s7
	v_cndmask_b32_e64 v0, v2, v0, s7
	;; [unrolled: 1-line block ×6, first 2 shown]
.LBB1366_754:
	s_or_b32 exec_lo, exec_lo, s6
	v_and_b32_e32 v24, 64, v20
	v_and_b32_e32 v9, 60, v20
	s_mov_b32 s12, exec_lo
	; wave barrier
	s_delay_alu instid0(VALU_DEP_2) | instskip(NEXT) | instid1(VALU_DEP_2)
	v_or_b32_e32 v8, 32, v24
	v_min_u32_e32 v25, v19, v9
	v_lshl_add_u32 v23, v24, 3, v18
	ds_store_b128 v21, v[0:3]
	ds_store_b128 v21, v[4:7] offset:16
	v_min_u32_e32 v22, v19, v8
	; wave barrier
	s_delay_alu instid0(VALU_DEP_1) | instskip(SKIP_1) | instid1(VALU_DEP_2)
	v_add_nc_u32_e32 v8, 32, v22
	v_sub_nc_u32_e32 v9, v22, v24
	v_min_u32_e32 v20, v19, v8
	s_delay_alu instid0(VALU_DEP_2) | instskip(NEXT) | instid1(VALU_DEP_2)
	v_min_u32_e32 v28, v25, v9
	v_sub_nc_u32_e32 v8, v20, v22
	s_delay_alu instid0(VALU_DEP_1) | instskip(NEXT) | instid1(VALU_DEP_1)
	v_sub_nc_u32_e64 v19, v25, v8 clamp
	v_cmpx_lt_u32_e64 v19, v28
	s_cbranch_execz .LBB1366_764
; %bb.755:
	v_lshlrev_b32_e32 v8, 3, v22
	v_lshlrev_b32_e32 v9, 3, v25
	s_lshl_b64 s[4:5], s[8:9], 1
	s_mov_b32 s13, 0
	s_delay_alu instid0(VALU_DEP_1)
	v_add3_u32 v21, v18, v8, v9
	s_branch .LBB1366_758
.LBB1366_756:                           ;   in Loop: Header=BB1366_758 Depth=1
	s_set_inst_prefetch_distance 0x2
	s_or_b32 exec_lo, exec_lo, s17
.LBB1366_757:                           ;   in Loop: Header=BB1366_758 Depth=1
	s_delay_alu instid0(VALU_DEP_1) | instskip(SKIP_1) | instid1(VALU_DEP_2)
	v_add_nc_u32_e32 v8, 1, v29
	v_cndmask_b32_e64 v28, v28, v29, s20
	v_cndmask_b32_e64 v19, v8, v19, s20
	s_delay_alu instid0(VALU_DEP_1) | instskip(SKIP_1) | instid1(SALU_CYCLE_1)
	v_cmp_ge_u32_e32 vcc_lo, v19, v28
	s_or_b32 s13, vcc_lo, s13
	s_and_not1_b32 exec_lo, exec_lo, s13
	s_cbranch_execz .LBB1366_763
.LBB1366_758:                           ; =>This Loop Header: Depth=1
                                        ;     Child Loop BB1366_761 Depth 2
	v_add_nc_u32_e32 v8, v28, v19
	s_and_not1_b32 vcc_lo, exec_lo, s16
	s_mov_b32 s20, 0
	s_delay_alu instid0(VALU_DEP_1)
	v_lshrrev_b32_e32 v29, 1, v8
	s_cbranch_vccnz .LBB1366_757
; %bb.759:                              ;   in Loop: Header=BB1366_758 Depth=1
	s_delay_alu instid0(VALU_DEP_1) | instskip(SKIP_3) | instid1(VALU_DEP_2)
	v_not_b32_e32 v8, v29
	v_lshl_add_u32 v9, v29, 3, v23
	s_mov_b32 s17, 0
	s_mov_b64 s[6:7], s[8:9]
                                        ; implicit-def: $sgpr20
                                        ; implicit-def: $sgpr21
                                        ; implicit-def: $sgpr22
                                        ; implicit-def: $sgpr23
                                        ; implicit-def: $sgpr24
	v_lshl_add_u32 v8, v8, 3, v21
	ds_load_b64 v[10:11], v8
	ds_load_b64 v[30:31], v9
	s_waitcnt lgkmcnt(1)
	v_mul_lo_u32 v32, s4, v11
	v_mul_lo_u32 v33, s5, v10
	v_mad_u64_u32 v[8:9], null, s4, v10, s[10:11]
	s_waitcnt lgkmcnt(0)
	v_mul_lo_u32 v31, s4, v31
	v_mul_lo_u32 v34, s5, v30
	v_mad_u64_u32 v[10:11], null, s4, v30, s[10:11]
	s_delay_alu instid0(VALU_DEP_4) | instskip(NEXT) | instid1(VALU_DEP_2)
	v_add3_u32 v9, v33, v9, v32
	v_add3_u32 v11, v34, v11, v31
	s_set_inst_prefetch_distance 0x1
	s_branch .LBB1366_761
	.p2align	6
.LBB1366_760:                           ;   in Loop: Header=BB1366_761 Depth=2
	s_or_b32 exec_lo, exec_lo, s25
	s_delay_alu instid0(SALU_CYCLE_1) | instskip(NEXT) | instid1(SALU_CYCLE_1)
	s_and_b32 s3, exec_lo, s21
	s_or_b32 s17, s3, s17
	s_and_not1_b32 s3, s24, exec_lo
	s_and_b32 s24, s22, exec_lo
	s_and_not1_b32 s20, s20, exec_lo
	s_and_b32 s25, s23, exec_lo
	s_or_b32 s24, s3, s24
	s_or_b32 s20, s20, s25
	s_and_not1_b32 exec_lo, exec_lo, s17
	s_cbranch_execz .LBB1366_756
.LBB1366_761:                           ;   Parent Loop BB1366_758 Depth=1
                                        ; =>  This Inner Loop Header: Depth=2
	global_load_u16 v30, v[8:9], off
	global_load_u16 v31, v[10:11], off
	s_and_not1_b32 s23, s23, exec_lo
	s_and_not1_b32 s22, s22, exec_lo
	s_or_b32 s21, s21, exec_lo
	s_waitcnt vmcnt(0)
	v_cmp_le_u16_e32 vcc_lo, v30, v31
	v_cmp_lt_u16_e64 s3, v30, v31
	s_and_b32 s25, vcc_lo, s24
	s_delay_alu instid0(VALU_DEP_1) | instid1(SALU_CYCLE_1)
	s_or_b32 s3, s3, s25
	s_delay_alu instid0(SALU_CYCLE_1) | instskip(NEXT) | instid1(SALU_CYCLE_1)
	s_and_b32 s25, s3, exec_lo
	s_or_b32 s23, s23, s25
	s_mov_b32 s25, exec_lo
	v_cmpx_eq_u16_e64 v30, v31
	s_cbranch_execz .LBB1366_760
; %bb.762:                              ;   in Loop: Header=BB1366_761 Depth=2
	s_add_u32 s6, s6, -1
	s_addc_u32 s7, s7, -1
	v_add_co_u32 v8, vcc_lo, v8, 2
	v_add_co_ci_u32_e32 v9, vcc_lo, 0, v9, vcc_lo
	s_cmp_eq_u64 s[6:7], 0
	v_add_co_u32 v10, vcc_lo, v10, 2
	s_cselect_b32 s24, -1, 0
	v_add_co_ci_u32_e32 v11, vcc_lo, 0, v11, vcc_lo
	s_and_not1_b32 s22, s22, exec_lo
	s_and_b32 s3, s3, exec_lo
	s_and_not1_b32 s21, s21, exec_lo
	s_and_b32 s24, s24, exec_lo
	s_and_not1_b32 s23, s23, exec_lo
	s_or_b32 s22, s22, s3
	s_or_b32 s21, s21, s24
                                        ; implicit-def: $sgpr24
	s_branch .LBB1366_760
.LBB1366_763:
	s_or_b32 exec_lo, exec_lo, s13
.LBB1366_764:
	s_delay_alu instid0(SALU_CYCLE_1) | instskip(SKIP_2) | instid1(VALU_DEP_2)
	s_or_b32 exec_lo, exec_lo, s12
	v_add_nc_u32_e32 v9, v22, v25
	v_add_nc_u32_e32 v8, v19, v24
	v_sub_nc_u32_e32 v9, v9, v19
	s_delay_alu instid0(VALU_DEP_2) | instskip(NEXT) | instid1(VALU_DEP_2)
	v_cmp_le_u32_e32 vcc_lo, v8, v22
	v_cmp_le_u32_e64 s3, v9, v20
	s_delay_alu instid0(VALU_DEP_1) | instskip(NEXT) | instid1(SALU_CYCLE_1)
	s_or_b32 s3, vcc_lo, s3
	s_and_saveexec_b32 s6, s3
	s_cbranch_execz .LBB1366_811
; %bb.765:
	v_cmp_ge_u32_e32 vcc_lo, v8, v22
	s_mov_b32 s4, exec_lo
                                        ; implicit-def: $vgpr0_vgpr1
	v_cmpx_lt_u32_e64 v8, v22
	s_cbranch_execz .LBB1366_767
; %bb.766:
	v_lshl_add_u32 v0, v19, 3, v23
	ds_load_b64 v[0:1], v0
.LBB1366_767:
	s_or_b32 exec_lo, exec_lo, s4
	v_cmp_ge_u32_e64 s7, v9, v20
	s_mov_b32 s4, exec_lo
                                        ; implicit-def: $vgpr2_vgpr3
	v_cmpx_lt_u32_e64 v9, v20
	s_cbranch_execz .LBB1366_769
; %bb.768:
	v_lshl_add_u32 v2, v9, 3, v18
	ds_load_b64 v[2:3], v2
.LBB1366_769:
	s_or_b32 exec_lo, exec_lo, s4
	s_or_b32 s3, vcc_lo, s7
	s_mov_b32 s12, -1
	s_xor_b32 s3, s3, -1
	s_delay_alu instid0(SALU_CYCLE_1)
	s_and_saveexec_b32 s13, s3
	s_cbranch_execz .LBB1366_778
; %bb.770:
	s_and_not1_b32 vcc_lo, exec_lo, s16
	s_cbranch_vccnz .LBB1366_776
; %bb.771:
	s_waitcnt lgkmcnt(0)
	v_mul_lo_u32 v10, v3, s8
	v_mul_lo_u32 v11, v2, s9
	v_mad_u64_u32 v[4:5], null, v2, s8, 0
	v_mul_lo_u32 v19, v1, s8
	v_mul_lo_u32 v21, v0, s9
	v_mad_u64_u32 v[6:7], null, v0, s8, 0
	s_mov_b32 s17, 0
	s_mov_b64 s[4:5], s[8:9]
	s_delay_alu instid0(VALU_DEP_4) | instskip(NEXT) | instid1(VALU_DEP_2)
	v_add3_u32 v5, v5, v11, v10
                                        ; implicit-def: $sgpr20
                                        ; implicit-def: $sgpr21
                                        ; implicit-def: $sgpr22
                                        ; implicit-def: $sgpr23
                                        ; implicit-def: $sgpr24
	v_add3_u32 v7, v7, v21, v19
	s_delay_alu instid0(VALU_DEP_2) | instskip(NEXT) | instid1(VALU_DEP_2)
	v_lshlrev_b64 v[4:5], 1, v[4:5]
	v_lshlrev_b64 v[6:7], 1, v[6:7]
	s_delay_alu instid0(VALU_DEP_2) | instskip(NEXT) | instid1(VALU_DEP_3)
	v_add_co_u32 v4, vcc_lo, s10, v4
	v_add_co_ci_u32_e32 v5, vcc_lo, s11, v5, vcc_lo
	s_delay_alu instid0(VALU_DEP_3) | instskip(NEXT) | instid1(VALU_DEP_4)
	v_add_co_u32 v6, vcc_lo, s10, v6
	v_add_co_ci_u32_e32 v7, vcc_lo, s11, v7, vcc_lo
	s_set_inst_prefetch_distance 0x1
	s_branch .LBB1366_773
	.p2align	6
.LBB1366_772:                           ;   in Loop: Header=BB1366_773 Depth=1
	s_or_b32 exec_lo, exec_lo, s3
	s_delay_alu instid0(SALU_CYCLE_1) | instskip(NEXT) | instid1(SALU_CYCLE_1)
	s_and_b32 s3, exec_lo, s21
	s_or_b32 s17, s3, s17
	s_and_not1_b32 s3, s24, exec_lo
	s_and_b32 s24, s23, exec_lo
	s_and_not1_b32 s20, s20, exec_lo
	s_and_b32 s25, s22, exec_lo
	s_or_b32 s24, s3, s24
	s_or_b32 s20, s20, s25
	s_and_not1_b32 exec_lo, exec_lo, s17
	s_cbranch_execz .LBB1366_775
.LBB1366_773:                           ; =>This Inner Loop Header: Depth=1
	global_load_u16 v10, v[4:5], off
	global_load_u16 v11, v[6:7], off
	s_and_not1_b32 s22, s22, exec_lo
	s_and_not1_b32 s23, s23, exec_lo
	s_or_b32 s21, s21, exec_lo
	s_waitcnt vmcnt(0)
	v_cmp_le_u16_e32 vcc_lo, v10, v11
	v_cmp_lt_u16_e64 s3, v10, v11
	s_and_b32 s25, vcc_lo, s24
	s_delay_alu instid0(VALU_DEP_1) | instid1(SALU_CYCLE_1)
	s_or_b32 s25, s3, s25
	s_delay_alu instid0(SALU_CYCLE_1) | instskip(NEXT) | instid1(SALU_CYCLE_1)
	s_and_b32 s3, s25, exec_lo
	s_or_b32 s22, s22, s3
	s_mov_b32 s3, exec_lo
	v_cmpx_eq_u16_e64 v10, v11
	s_cbranch_execz .LBB1366_772
; %bb.774:                              ;   in Loop: Header=BB1366_773 Depth=1
	s_add_u32 s4, s4, -1
	s_addc_u32 s5, s5, -1
	v_add_co_u32 v4, vcc_lo, v4, 2
	s_cmp_eq_u64 s[4:5], 0
	v_add_co_ci_u32_e32 v5, vcc_lo, 0, v5, vcc_lo
	v_add_co_u32 v6, vcc_lo, v6, 2
	s_cselect_b32 s24, -1, 0
	v_add_co_ci_u32_e32 v7, vcc_lo, 0, v7, vcc_lo
	s_and_not1_b32 s23, s23, exec_lo
	s_and_b32 s25, s25, exec_lo
	s_and_not1_b32 s21, s21, exec_lo
	s_and_b32 s24, s24, exec_lo
	s_or_b32 s23, s23, s25
	s_and_not1_b32 s22, s22, exec_lo
	s_or_b32 s21, s21, s24
                                        ; implicit-def: $sgpr24
	s_branch .LBB1366_772
.LBB1366_775:
	s_set_inst_prefetch_distance 0x2
	s_or_b32 exec_lo, exec_lo, s17
	s_xor_b32 s3, s20, -1
	s_branch .LBB1366_777
.LBB1366_776:
	s_mov_b32 s3, -1
.LBB1366_777:
	s_and_not1_b32 s4, s7, exec_lo
	s_and_b32 s3, s3, exec_lo
	s_delay_alu instid0(SALU_CYCLE_1)
	s_or_b32 s7, s4, s3
.LBB1366_778:
	s_or_b32 exec_lo, exec_lo, s13
	v_cndmask_b32_e64 v4, v9, v8, s7
	v_cndmask_b32_e64 v5, v20, v22, s7
	s_mov_b32 s13, exec_lo
	s_delay_alu instid0(VALU_DEP_2) | instskip(NEXT) | instid1(VALU_DEP_2)
	v_add_nc_u32_e32 v6, 1, v4
	v_add_nc_u32_e32 v4, -1, v5
	s_delay_alu instid0(VALU_DEP_2) | instskip(NEXT) | instid1(VALU_DEP_2)
	v_cndmask_b32_e64 v9, v6, v9, s7
	v_min_u32_e32 v4, v6, v4
	v_cndmask_b32_e64 v8, v8, v6, s7
	s_delay_alu instid0(VALU_DEP_2)
	v_lshl_add_u32 v4, v4, 3, v18
	ds_load_b64 v[4:5], v4
	s_waitcnt lgkmcnt(0)
	v_cndmask_b32_e64 v19, v5, v3, s7
	v_cndmask_b32_e64 v21, v4, v2, s7
	;; [unrolled: 1-line block ×4, first 2 shown]
	v_cmpx_lt_u32_e64 v9, v20
	s_cbranch_execz .LBB1366_789
; %bb.779:
	s_mov_b32 s3, 0
	s_mov_b32 s12, exec_lo
	v_cmpx_lt_u32_e64 v8, v22
	s_cbranch_execz .LBB1366_788
; %bb.780:
	s_and_not1_b32 vcc_lo, exec_lo, s16
	s_cbranch_vccnz .LBB1366_786
; %bb.781:
	v_mul_lo_u32 v10, v19, s8
	v_mul_lo_u32 v11, v21, s9
	v_mad_u64_u32 v[4:5], null, v21, s8, 0
	v_mul_lo_u32 v25, v23, s8
	v_mul_lo_u32 v28, v24, s9
	v_mad_u64_u32 v[6:7], null, v24, s8, 0
	s_mov_b32 s17, 0
	s_mov_b64 s[4:5], s[8:9]
	s_delay_alu instid0(VALU_DEP_4) | instskip(NEXT) | instid1(VALU_DEP_2)
	v_add3_u32 v5, v5, v11, v10
                                        ; implicit-def: $sgpr20
                                        ; implicit-def: $sgpr21
                                        ; implicit-def: $sgpr22
                                        ; implicit-def: $sgpr23
                                        ; implicit-def: $sgpr24
	v_add3_u32 v7, v7, v28, v25
	s_delay_alu instid0(VALU_DEP_2) | instskip(NEXT) | instid1(VALU_DEP_2)
	v_lshlrev_b64 v[4:5], 1, v[4:5]
	v_lshlrev_b64 v[6:7], 1, v[6:7]
	s_delay_alu instid0(VALU_DEP_2) | instskip(NEXT) | instid1(VALU_DEP_3)
	v_add_co_u32 v4, vcc_lo, s10, v4
	v_add_co_ci_u32_e32 v5, vcc_lo, s11, v5, vcc_lo
	s_delay_alu instid0(VALU_DEP_3) | instskip(NEXT) | instid1(VALU_DEP_4)
	v_add_co_u32 v6, vcc_lo, s10, v6
	v_add_co_ci_u32_e32 v7, vcc_lo, s11, v7, vcc_lo
	s_set_inst_prefetch_distance 0x1
	s_branch .LBB1366_783
	.p2align	6
.LBB1366_782:                           ;   in Loop: Header=BB1366_783 Depth=1
	s_or_b32 exec_lo, exec_lo, s3
	s_delay_alu instid0(SALU_CYCLE_1) | instskip(NEXT) | instid1(SALU_CYCLE_1)
	s_and_b32 s3, exec_lo, s21
	s_or_b32 s17, s3, s17
	s_and_not1_b32 s3, s24, exec_lo
	s_and_b32 s24, s23, exec_lo
	s_and_not1_b32 s20, s20, exec_lo
	s_and_b32 s25, s22, exec_lo
	s_or_b32 s24, s3, s24
	s_or_b32 s20, s20, s25
	s_and_not1_b32 exec_lo, exec_lo, s17
	s_cbranch_execz .LBB1366_785
.LBB1366_783:                           ; =>This Inner Loop Header: Depth=1
	global_load_u16 v10, v[4:5], off
	global_load_u16 v11, v[6:7], off
	s_and_not1_b32 s22, s22, exec_lo
	s_and_not1_b32 s23, s23, exec_lo
	s_or_b32 s21, s21, exec_lo
	s_waitcnt vmcnt(0)
	v_cmp_le_u16_e32 vcc_lo, v10, v11
	v_cmp_lt_u16_e64 s3, v10, v11
	s_and_b32 s25, vcc_lo, s24
	s_delay_alu instid0(VALU_DEP_1) | instid1(SALU_CYCLE_1)
	s_or_b32 s25, s3, s25
	s_delay_alu instid0(SALU_CYCLE_1) | instskip(NEXT) | instid1(SALU_CYCLE_1)
	s_and_b32 s3, s25, exec_lo
	s_or_b32 s22, s22, s3
	s_mov_b32 s3, exec_lo
	v_cmpx_eq_u16_e64 v10, v11
	s_cbranch_execz .LBB1366_782
; %bb.784:                              ;   in Loop: Header=BB1366_783 Depth=1
	s_add_u32 s4, s4, -1
	s_addc_u32 s5, s5, -1
	v_add_co_u32 v4, vcc_lo, v4, 2
	s_cmp_eq_u64 s[4:5], 0
	v_add_co_ci_u32_e32 v5, vcc_lo, 0, v5, vcc_lo
	v_add_co_u32 v6, vcc_lo, v6, 2
	s_cselect_b32 s24, -1, 0
	v_add_co_ci_u32_e32 v7, vcc_lo, 0, v7, vcc_lo
	s_and_not1_b32 s23, s23, exec_lo
	s_and_b32 s25, s25, exec_lo
	s_and_not1_b32 s21, s21, exec_lo
	s_and_b32 s24, s24, exec_lo
	s_or_b32 s23, s23, s25
	s_and_not1_b32 s22, s22, exec_lo
	s_or_b32 s21, s21, s24
                                        ; implicit-def: $sgpr24
	s_branch .LBB1366_782
.LBB1366_785:
	s_set_inst_prefetch_distance 0x2
	s_or_b32 exec_lo, exec_lo, s17
	s_xor_b32 s3, s20, -1
	s_branch .LBB1366_787
.LBB1366_786:
	s_mov_b32 s3, -1
.LBB1366_787:
	s_delay_alu instid0(SALU_CYCLE_1)
	s_and_b32 s3, s3, exec_lo
.LBB1366_788:
	s_or_b32 exec_lo, exec_lo, s12
	s_delay_alu instid0(SALU_CYCLE_1)
	s_or_not1_b32 s12, s3, exec_lo
.LBB1366_789:
	s_or_b32 exec_lo, exec_lo, s13
	v_cndmask_b32_e64 v4, v9, v8, s12
	v_cndmask_b32_e64 v5, v20, v22, s12
	s_mov_b32 s13, -1
	s_mov_b32 s17, exec_lo
	s_delay_alu instid0(VALU_DEP_2) | instskip(NEXT) | instid1(VALU_DEP_2)
	v_add_nc_u32_e32 v6, 1, v4
	v_add_nc_u32_e32 v4, -1, v5
	s_delay_alu instid0(VALU_DEP_2) | instskip(NEXT) | instid1(VALU_DEP_2)
	v_cndmask_b32_e64 v9, v6, v9, s12
	v_min_u32_e32 v4, v6, v4
	v_cndmask_b32_e64 v8, v8, v6, s12
	s_delay_alu instid0(VALU_DEP_2)
	v_lshl_add_u32 v4, v4, 3, v18
	ds_load_b64 v[4:5], v4
	s_waitcnt lgkmcnt(0)
	v_cndmask_b32_e64 v25, v5, v19, s12
	v_cndmask_b32_e64 v28, v4, v21, s12
	;; [unrolled: 1-line block ×4, first 2 shown]
	v_cmpx_lt_u32_e64 v9, v20
	s_cbranch_execz .LBB1366_800
; %bb.790:
	s_mov_b32 s3, 0
	s_mov_b32 s13, exec_lo
	v_cmpx_lt_u32_e64 v8, v22
	s_cbranch_execz .LBB1366_799
; %bb.791:
	s_and_not1_b32 vcc_lo, exec_lo, s16
	s_cbranch_vccnz .LBB1366_797
; %bb.792:
	v_mul_lo_u32 v10, v25, s8
	v_mul_lo_u32 v11, v28, s9
	v_mad_u64_u32 v[4:5], null, v28, s8, 0
	v_mul_lo_u32 v31, v29, s8
	v_mul_lo_u32 v32, v30, s9
	v_mad_u64_u32 v[6:7], null, v30, s8, 0
	s_mov_b32 s20, 0
	s_mov_b64 s[4:5], s[8:9]
	s_delay_alu instid0(VALU_DEP_4) | instskip(NEXT) | instid1(VALU_DEP_2)
	v_add3_u32 v5, v5, v11, v10
                                        ; implicit-def: $sgpr21
                                        ; implicit-def: $sgpr22
                                        ; implicit-def: $sgpr23
                                        ; implicit-def: $sgpr24
                                        ; implicit-def: $sgpr25
	v_add3_u32 v7, v7, v32, v31
	s_delay_alu instid0(VALU_DEP_2) | instskip(NEXT) | instid1(VALU_DEP_2)
	v_lshlrev_b64 v[4:5], 1, v[4:5]
	v_lshlrev_b64 v[6:7], 1, v[6:7]
	s_delay_alu instid0(VALU_DEP_2) | instskip(NEXT) | instid1(VALU_DEP_3)
	v_add_co_u32 v4, vcc_lo, s10, v4
	v_add_co_ci_u32_e32 v5, vcc_lo, s11, v5, vcc_lo
	s_delay_alu instid0(VALU_DEP_3) | instskip(NEXT) | instid1(VALU_DEP_4)
	v_add_co_u32 v6, vcc_lo, s10, v6
	v_add_co_ci_u32_e32 v7, vcc_lo, s11, v7, vcc_lo
	s_set_inst_prefetch_distance 0x1
	s_branch .LBB1366_794
	.p2align	6
.LBB1366_793:                           ;   in Loop: Header=BB1366_794 Depth=1
	s_or_b32 exec_lo, exec_lo, s3
	s_delay_alu instid0(SALU_CYCLE_1) | instskip(NEXT) | instid1(SALU_CYCLE_1)
	s_and_b32 s3, exec_lo, s22
	s_or_b32 s20, s3, s20
	s_and_not1_b32 s3, s25, exec_lo
	s_and_b32 s25, s24, exec_lo
	s_and_not1_b32 s21, s21, exec_lo
	s_and_b32 s26, s23, exec_lo
	s_or_b32 s25, s3, s25
	s_or_b32 s21, s21, s26
	s_and_not1_b32 exec_lo, exec_lo, s20
	s_cbranch_execz .LBB1366_796
.LBB1366_794:                           ; =>This Inner Loop Header: Depth=1
	global_load_u16 v10, v[4:5], off
	global_load_u16 v11, v[6:7], off
	s_and_not1_b32 s23, s23, exec_lo
	s_and_not1_b32 s24, s24, exec_lo
	s_or_b32 s22, s22, exec_lo
	s_waitcnt vmcnt(0)
	v_cmp_le_u16_e32 vcc_lo, v10, v11
	v_cmp_lt_u16_e64 s3, v10, v11
	s_and_b32 s26, vcc_lo, s25
	s_delay_alu instid0(VALU_DEP_1) | instid1(SALU_CYCLE_1)
	s_or_b32 s26, s3, s26
	s_delay_alu instid0(SALU_CYCLE_1) | instskip(NEXT) | instid1(SALU_CYCLE_1)
	s_and_b32 s3, s26, exec_lo
	s_or_b32 s23, s23, s3
	s_mov_b32 s3, exec_lo
	v_cmpx_eq_u16_e64 v10, v11
	s_cbranch_execz .LBB1366_793
; %bb.795:                              ;   in Loop: Header=BB1366_794 Depth=1
	s_add_u32 s4, s4, -1
	s_addc_u32 s5, s5, -1
	v_add_co_u32 v4, vcc_lo, v4, 2
	s_cmp_eq_u64 s[4:5], 0
	v_add_co_ci_u32_e32 v5, vcc_lo, 0, v5, vcc_lo
	v_add_co_u32 v6, vcc_lo, v6, 2
	s_cselect_b32 s25, -1, 0
	v_add_co_ci_u32_e32 v7, vcc_lo, 0, v7, vcc_lo
	s_and_not1_b32 s24, s24, exec_lo
	s_and_b32 s26, s26, exec_lo
	s_and_not1_b32 s22, s22, exec_lo
	s_and_b32 s25, s25, exec_lo
	s_or_b32 s24, s24, s26
	s_and_not1_b32 s23, s23, exec_lo
	s_or_b32 s22, s22, s25
                                        ; implicit-def: $sgpr25
	s_branch .LBB1366_793
.LBB1366_796:
	s_set_inst_prefetch_distance 0x2
	s_or_b32 exec_lo, exec_lo, s20
	s_xor_b32 s3, s21, -1
	s_branch .LBB1366_798
.LBB1366_797:
	s_mov_b32 s3, -1
.LBB1366_798:
	s_delay_alu instid0(SALU_CYCLE_1)
	s_and_b32 s3, s3, exec_lo
.LBB1366_799:
	s_or_b32 exec_lo, exec_lo, s13
	s_delay_alu instid0(SALU_CYCLE_1)
	s_or_not1_b32 s13, s3, exec_lo
.LBB1366_800:
	s_or_b32 exec_lo, exec_lo, s17
	v_cndmask_b32_e64 v4, v9, v8, s13
	v_cndmask_b32_e64 v5, v20, v22, s13
	s_mov_b32 s17, exec_lo
	s_delay_alu instid0(VALU_DEP_2) | instskip(NEXT) | instid1(VALU_DEP_2)
	v_add_nc_u32_e32 v10, 1, v4
	v_add_nc_u32_e32 v4, -1, v5
	s_delay_alu instid0(VALU_DEP_2) | instskip(NEXT) | instid1(VALU_DEP_2)
	v_cndmask_b32_e64 v9, v10, v9, s13
	v_min_u32_e32 v4, v10, v4
	s_delay_alu instid0(VALU_DEP_1)
	v_lshl_add_u32 v4, v4, 3, v18
	ds_load_b64 v[4:5], v4
	s_waitcnt lgkmcnt(0)
	v_cndmask_b32_e64 v7, v29, v5, s13
	v_cndmask_b32_e64 v6, v30, v4, s13
	v_cmpx_lt_u32_e64 v9, v20
	s_cbranch_execz .LBB1366_810
; %bb.801:
	v_cndmask_b32_e64 v8, v8, v10, s13
	v_cndmask_b32_e64 v5, v5, v25, s13
	v_cndmask_b32_e64 v4, v4, v28, s13
	s_mov_b32 s20, exec_lo
	s_delay_alu instid0(VALU_DEP_3)
	v_cmpx_lt_u32_e64 v8, v22
	s_cbranch_execz .LBB1366_809
; %bb.802:
	s_and_not1_b32 vcc_lo, exec_lo, s16
	s_cbranch_vccnz .LBB1366_808
; %bb.803:
	v_mul_lo_u32 v18, v5, s8
	v_mul_lo_u32 v20, v4, s9
	v_mad_u64_u32 v[8:9], null, v4, s8, 0
	v_mul_lo_u32 v22, v7, s8
	v_mul_lo_u32 v31, v6, s9
	v_mad_u64_u32 v[10:11], null, v6, s8, 0
	s_mov_b32 s21, 0
	s_mov_b64 s[4:5], s[8:9]
	s_delay_alu instid0(VALU_DEP_4) | instskip(NEXT) | instid1(VALU_DEP_2)
	v_add3_u32 v9, v9, v20, v18
                                        ; implicit-def: $sgpr22
                                        ; implicit-def: $sgpr23
                                        ; implicit-def: $sgpr24
                                        ; implicit-def: $sgpr25
                                        ; implicit-def: $sgpr26
	v_add3_u32 v11, v11, v31, v22
	s_delay_alu instid0(VALU_DEP_2) | instskip(NEXT) | instid1(VALU_DEP_2)
	v_lshlrev_b64 v[8:9], 1, v[8:9]
	v_lshlrev_b64 v[10:11], 1, v[10:11]
	s_delay_alu instid0(VALU_DEP_2) | instskip(NEXT) | instid1(VALU_DEP_3)
	v_add_co_u32 v8, vcc_lo, s10, v8
	v_add_co_ci_u32_e32 v9, vcc_lo, s11, v9, vcc_lo
	s_delay_alu instid0(VALU_DEP_3) | instskip(NEXT) | instid1(VALU_DEP_4)
	v_add_co_u32 v10, vcc_lo, s10, v10
	v_add_co_ci_u32_e32 v11, vcc_lo, s11, v11, vcc_lo
	s_set_inst_prefetch_distance 0x1
	s_branch .LBB1366_805
	.p2align	6
.LBB1366_804:                           ;   in Loop: Header=BB1366_805 Depth=1
	s_or_b32 exec_lo, exec_lo, s3
	s_delay_alu instid0(SALU_CYCLE_1) | instskip(NEXT) | instid1(SALU_CYCLE_1)
	s_and_b32 s3, exec_lo, s23
	s_or_b32 s21, s3, s21
	s_and_not1_b32 s3, s26, exec_lo
	s_and_b32 s26, s25, exec_lo
	s_and_not1_b32 s22, s22, exec_lo
	s_and_b32 s27, s24, exec_lo
	s_or_b32 s26, s3, s26
	s_or_b32 s22, s22, s27
	s_and_not1_b32 exec_lo, exec_lo, s21
	s_cbranch_execz .LBB1366_807
.LBB1366_805:                           ; =>This Inner Loop Header: Depth=1
	global_load_u16 v18, v[8:9], off
	global_load_u16 v20, v[10:11], off
	s_and_not1_b32 s24, s24, exec_lo
	s_and_not1_b32 s25, s25, exec_lo
	s_or_b32 s23, s23, exec_lo
	s_waitcnt vmcnt(0)
	v_cmp_le_u16_e32 vcc_lo, v18, v20
	v_cmp_lt_u16_e64 s3, v18, v20
	s_and_b32 s27, vcc_lo, s26
	s_delay_alu instid0(VALU_DEP_1) | instid1(SALU_CYCLE_1)
	s_or_b32 s27, s3, s27
	s_delay_alu instid0(SALU_CYCLE_1) | instskip(NEXT) | instid1(SALU_CYCLE_1)
	s_and_b32 s3, s27, exec_lo
	s_or_b32 s24, s24, s3
	s_mov_b32 s3, exec_lo
	v_cmpx_eq_u16_e64 v18, v20
	s_cbranch_execz .LBB1366_804
; %bb.806:                              ;   in Loop: Header=BB1366_805 Depth=1
	s_add_u32 s4, s4, -1
	s_addc_u32 s5, s5, -1
	v_add_co_u32 v8, vcc_lo, v8, 2
	s_cmp_eq_u64 s[4:5], 0
	v_add_co_ci_u32_e32 v9, vcc_lo, 0, v9, vcc_lo
	v_add_co_u32 v10, vcc_lo, v10, 2
	s_cselect_b32 s26, -1, 0
	v_add_co_ci_u32_e32 v11, vcc_lo, 0, v11, vcc_lo
	s_and_not1_b32 s25, s25, exec_lo
	s_and_b32 s27, s27, exec_lo
	s_and_not1_b32 s23, s23, exec_lo
	s_and_b32 s26, s26, exec_lo
	s_or_b32 s25, s25, s27
	s_and_not1_b32 s24, s24, exec_lo
	s_or_b32 s23, s23, s26
                                        ; implicit-def: $sgpr26
	s_branch .LBB1366_804
.LBB1366_807:
	s_set_inst_prefetch_distance 0x2
	s_or_b32 exec_lo, exec_lo, s21
	v_cndmask_b32_e64 v7, v7, v5, s22
	v_cndmask_b32_e64 v6, v6, v4, s22
.LBB1366_808:
	s_delay_alu instid0(VALU_DEP_1)
	v_dual_mov_b32 v4, v6 :: v_dual_mov_b32 v5, v7
.LBB1366_809:
	s_or_b32 exec_lo, exec_lo, s20
	s_delay_alu instid0(VALU_DEP_1)
	v_dual_mov_b32 v7, v5 :: v_dual_mov_b32 v6, v4
.LBB1366_810:
	s_or_b32 exec_lo, exec_lo, s17
	v_cndmask_b32_e64 v1, v3, v1, s7
	v_cndmask_b32_e64 v0, v2, v0, s7
	;; [unrolled: 1-line block ×6, first 2 shown]
.LBB1366_811:
	s_or_b32 exec_lo, exec_lo, s6
	s_cmpk_lt_u32 s18, 0x41
	; wave barrier
	s_waitcnt lgkmcnt(0)
	s_barrier
	buffer_gl0_inv
	s_cbranch_scc1 .LBB1366_871
; %bb.812:
	v_lshlrev_b32_e32 v18, 3, v27
	s_lshl_b64 s[4:5], s[8:9], 1
	s_mov_b32 s12, 64
	s_branch .LBB1366_818
.LBB1366_813:                           ;   in Loop: Header=BB1366_818 Depth=1
	s_set_inst_prefetch_distance 0x2
	s_or_b32 exec_lo, exec_lo, s24
	v_cndmask_b32_e64 v7, v7, v5, s25
	v_cndmask_b32_e64 v6, v6, v4, s25
.LBB1366_814:                           ;   in Loop: Header=BB1366_818 Depth=1
	s_delay_alu instid0(VALU_DEP_1)
	v_dual_mov_b32 v4, v6 :: v_dual_mov_b32 v5, v7
.LBB1366_815:                           ;   in Loop: Header=BB1366_818 Depth=1
	s_or_b32 exec_lo, exec_lo, s23
	s_delay_alu instid0(VALU_DEP_1)
	v_dual_mov_b32 v7, v5 :: v_dual_mov_b32 v6, v4
.LBB1366_816:                           ;   in Loop: Header=BB1366_818 Depth=1
	s_or_b32 exec_lo, exec_lo, s22
	v_cndmask_b32_e64 v1, v3, v1, s17
	v_cndmask_b32_e64 v0, v2, v0, s17
	;; [unrolled: 1-line block ×6, first 2 shown]
.LBB1366_817:                           ;   in Loop: Header=BB1366_818 Depth=1
	s_or_b32 exec_lo, exec_lo, s13
	s_cmp_lt_u32 s12, s18
	s_barrier
	buffer_gl0_inv
	s_cbranch_scc0 .LBB1366_871
.LBB1366_818:                           ; =>This Loop Header: Depth=1
                                        ;     Child Loop BB1366_822 Depth 2
                                        ;       Child Loop BB1366_825 Depth 3
                                        ;     Child Loop BB1366_837 Depth 2
                                        ;     Child Loop BB1366_847 Depth 2
	;; [unrolled: 1-line block ×4, first 2 shown]
	s_mov_b32 s3, s12
	s_lshl_b32 s12, s12, 1
	s_mov_b32 s13, exec_lo
	s_sub_i32 s6, 0, s12
	ds_store_b128 v18, v[0:3]
	ds_store_b128 v18, v[4:7] offset:16
	v_and_b32_e32 v23, s6, v27
	s_waitcnt lgkmcnt(0)
	s_barrier
	buffer_gl0_inv
	v_add_nc_u32_e32 v8, s3, v23
	v_lshlrev_b32_e32 v22, 3, v23
	s_delay_alu instid0(VALU_DEP_2) | instskip(NEXT) | instid1(VALU_DEP_1)
	v_min_u32_e32 v19, s18, v8
	v_add_nc_u32_e32 v8, s3, v19
	s_add_i32 s3, s12, -1
	s_delay_alu instid0(SALU_CYCLE_1) | instskip(NEXT) | instid1(VALU_DEP_2)
	v_and_b32_e32 v9, s3, v27
	v_min_u32_e32 v20, s18, v8
	v_sub_nc_u32_e32 v8, v19, v23
	s_delay_alu instid0(VALU_DEP_3) | instskip(NEXT) | instid1(VALU_DEP_3)
	v_min_u32_e32 v24, s18, v9
	v_sub_nc_u32_e32 v9, v20, v19
	s_delay_alu instid0(VALU_DEP_2) | instskip(NEXT) | instid1(VALU_DEP_2)
	v_min_u32_e32 v25, v24, v8
	v_sub_nc_u32_e64 v21, v24, v9 clamp
	s_delay_alu instid0(VALU_DEP_1)
	v_cmpx_lt_u32_e64 v21, v25
	s_cbranch_execz .LBB1366_828
; %bb.819:                              ;   in Loop: Header=BB1366_818 Depth=1
	v_lshlrev_b32_e32 v8, 3, v24
	s_mov_b32 s17, 0
	s_delay_alu instid0(VALU_DEP_1)
	v_lshl_add_u32 v28, v19, 3, v8
	s_branch .LBB1366_822
.LBB1366_820:                           ;   in Loop: Header=BB1366_822 Depth=2
	s_set_inst_prefetch_distance 0x2
	s_or_b32 exec_lo, exec_lo, s20
.LBB1366_821:                           ;   in Loop: Header=BB1366_822 Depth=2
	s_delay_alu instid0(VALU_DEP_1) | instskip(SKIP_1) | instid1(VALU_DEP_2)
	v_add_nc_u32_e32 v8, 1, v29
	v_cndmask_b32_e64 v25, v25, v29, s21
	v_cndmask_b32_e64 v21, v8, v21, s21
	s_delay_alu instid0(VALU_DEP_1) | instskip(SKIP_1) | instid1(SALU_CYCLE_1)
	v_cmp_ge_u32_e32 vcc_lo, v21, v25
	s_or_b32 s17, vcc_lo, s17
	s_and_not1_b32 exec_lo, exec_lo, s17
	s_cbranch_execz .LBB1366_827
.LBB1366_822:                           ;   Parent Loop BB1366_818 Depth=1
                                        ; =>  This Loop Header: Depth=2
                                        ;       Child Loop BB1366_825 Depth 3
	v_add_nc_u32_e32 v8, v25, v21
	s_and_not1_b32 vcc_lo, exec_lo, s16
	s_mov_b32 s21, 0
	s_delay_alu instid0(VALU_DEP_1)
	v_lshrrev_b32_e32 v29, 1, v8
	s_cbranch_vccnz .LBB1366_821
; %bb.823:                              ;   in Loop: Header=BB1366_822 Depth=2
	s_delay_alu instid0(VALU_DEP_1) | instskip(SKIP_3) | instid1(VALU_DEP_2)
	v_not_b32_e32 v8, v29
	v_lshl_add_u32 v9, v29, 3, v22
	s_mov_b32 s20, 0
	s_mov_b64 s[6:7], s[8:9]
                                        ; implicit-def: $sgpr21
                                        ; implicit-def: $sgpr22
                                        ; implicit-def: $sgpr23
                                        ; implicit-def: $sgpr24
                                        ; implicit-def: $sgpr25
	v_lshl_add_u32 v8, v8, 3, v28
	ds_load_b64 v[10:11], v8
	ds_load_b64 v[30:31], v9
	s_waitcnt lgkmcnt(1)
	v_mul_lo_u32 v32, s4, v11
	v_mul_lo_u32 v33, s5, v10
	v_mad_u64_u32 v[8:9], null, s4, v10, s[10:11]
	s_waitcnt lgkmcnt(0)
	v_mul_lo_u32 v31, s4, v31
	v_mul_lo_u32 v34, s5, v30
	v_mad_u64_u32 v[10:11], null, s4, v30, s[10:11]
	s_delay_alu instid0(VALU_DEP_4) | instskip(NEXT) | instid1(VALU_DEP_2)
	v_add3_u32 v9, v33, v9, v32
	v_add3_u32 v11, v34, v11, v31
	s_set_inst_prefetch_distance 0x1
	s_branch .LBB1366_825
	.p2align	6
.LBB1366_824:                           ;   in Loop: Header=BB1366_825 Depth=3
	s_or_b32 exec_lo, exec_lo, s3
	s_delay_alu instid0(SALU_CYCLE_1) | instskip(NEXT) | instid1(SALU_CYCLE_1)
	s_and_b32 s3, exec_lo, s22
	s_or_b32 s20, s3, s20
	s_and_not1_b32 s3, s25, exec_lo
	s_and_b32 s25, s23, exec_lo
	s_and_not1_b32 s21, s21, exec_lo
	s_and_b32 s26, s24, exec_lo
	s_or_b32 s25, s3, s25
	s_or_b32 s21, s21, s26
	s_and_not1_b32 exec_lo, exec_lo, s20
	s_cbranch_execz .LBB1366_820
.LBB1366_825:                           ;   Parent Loop BB1366_818 Depth=1
                                        ;     Parent Loop BB1366_822 Depth=2
                                        ; =>    This Inner Loop Header: Depth=3
	global_load_u16 v30, v[8:9], off
	global_load_u16 v31, v[10:11], off
	s_and_not1_b32 s24, s24, exec_lo
	s_and_not1_b32 s23, s23, exec_lo
	s_or_b32 s22, s22, exec_lo
	s_waitcnt vmcnt(0)
	v_cmp_le_u16_e32 vcc_lo, v30, v31
	v_cmp_lt_u16_e64 s3, v30, v31
	s_and_b32 s26, vcc_lo, s25
	s_delay_alu instid0(VALU_DEP_1) | instid1(SALU_CYCLE_1)
	s_or_b32 s26, s3, s26
	s_delay_alu instid0(SALU_CYCLE_1) | instskip(NEXT) | instid1(SALU_CYCLE_1)
	s_and_b32 s3, s26, exec_lo
	s_or_b32 s24, s24, s3
	s_mov_b32 s3, exec_lo
	v_cmpx_eq_u16_e64 v30, v31
	s_cbranch_execz .LBB1366_824
; %bb.826:                              ;   in Loop: Header=BB1366_825 Depth=3
	s_add_u32 s6, s6, -1
	s_addc_u32 s7, s7, -1
	v_add_co_u32 v8, vcc_lo, v8, 2
	v_add_co_ci_u32_e32 v9, vcc_lo, 0, v9, vcc_lo
	s_cmp_eq_u64 s[6:7], 0
	v_add_co_u32 v10, vcc_lo, v10, 2
	s_cselect_b32 s25, -1, 0
	v_add_co_ci_u32_e32 v11, vcc_lo, 0, v11, vcc_lo
	s_and_not1_b32 s23, s23, exec_lo
	s_and_b32 s26, s26, exec_lo
	s_and_not1_b32 s22, s22, exec_lo
	s_and_b32 s25, s25, exec_lo
	s_and_not1_b32 s24, s24, exec_lo
	s_or_b32 s23, s23, s26
	s_or_b32 s22, s22, s25
                                        ; implicit-def: $sgpr25
	s_branch .LBB1366_824
.LBB1366_827:                           ;   in Loop: Header=BB1366_818 Depth=1
	s_or_b32 exec_lo, exec_lo, s17
.LBB1366_828:                           ;   in Loop: Header=BB1366_818 Depth=1
	s_delay_alu instid0(SALU_CYCLE_1) | instskip(SKIP_2) | instid1(VALU_DEP_2)
	s_or_b32 exec_lo, exec_lo, s13
	v_sub_nc_u32_e32 v9, v24, v21
	v_add_nc_u32_e32 v8, v21, v23
	v_add_nc_u32_e32 v9, v9, v19
	s_delay_alu instid0(VALU_DEP_2) | instskip(NEXT) | instid1(VALU_DEP_2)
	v_cmp_le_u32_e32 vcc_lo, v8, v19
	v_cmp_le_u32_e64 s3, v9, v20
	s_delay_alu instid0(VALU_DEP_1) | instskip(NEXT) | instid1(SALU_CYCLE_1)
	s_or_b32 s3, vcc_lo, s3
	s_and_saveexec_b32 s13, s3
	s_cbranch_execz .LBB1366_817
; %bb.829:                              ;   in Loop: Header=BB1366_818 Depth=1
	v_cmp_ge_u32_e32 vcc_lo, v8, v19
	s_mov_b32 s6, exec_lo
                                        ; implicit-def: $vgpr0_vgpr1
	v_cmpx_lt_u32_e64 v8, v19
	s_cbranch_execz .LBB1366_831
; %bb.830:                              ;   in Loop: Header=BB1366_818 Depth=1
	v_lshl_add_u32 v0, v21, 3, v22
	ds_load_b64 v[0:1], v0
.LBB1366_831:                           ;   in Loop: Header=BB1366_818 Depth=1
	s_or_b32 exec_lo, exec_lo, s6
	v_cmp_ge_u32_e64 s17, v9, v20
	s_mov_b32 s6, exec_lo
                                        ; implicit-def: $vgpr2_vgpr3
	v_cmpx_lt_u32_e64 v9, v20
	s_cbranch_execz .LBB1366_833
; %bb.832:                              ;   in Loop: Header=BB1366_818 Depth=1
	v_lshlrev_b32_e32 v2, 3, v9
	ds_load_b64 v[2:3], v2
.LBB1366_833:                           ;   in Loop: Header=BB1366_818 Depth=1
	s_or_b32 exec_lo, exec_lo, s6
	s_or_b32 s3, vcc_lo, s17
	s_delay_alu instid0(SALU_CYCLE_1) | instskip(NEXT) | instid1(SALU_CYCLE_1)
	s_xor_b32 s3, s3, -1
	s_and_saveexec_b32 s20, s3
	s_cbranch_execz .LBB1366_842
; %bb.834:                              ;   in Loop: Header=BB1366_818 Depth=1
	s_and_not1_b32 vcc_lo, exec_lo, s16
	s_cbranch_vccnz .LBB1366_840
; %bb.835:                              ;   in Loop: Header=BB1366_818 Depth=1
	s_waitcnt lgkmcnt(0)
	v_mad_u64_u32 v[4:5], null, s4, v2, s[10:11]
	v_mul_lo_u32 v10, s4, v3
	v_mul_lo_u32 v11, s5, v2
	v_mad_u64_u32 v[6:7], null, s4, v0, s[10:11]
	v_mul_lo_u32 v21, s4, v1
	v_mul_lo_u32 v22, s5, v0
	s_mov_b32 s21, 0
	s_mov_b64 s[6:7], s[8:9]
                                        ; implicit-def: $sgpr22
                                        ; implicit-def: $sgpr23
                                        ; implicit-def: $sgpr24
                                        ; implicit-def: $sgpr25
                                        ; implicit-def: $sgpr26
	s_delay_alu instid0(VALU_DEP_4) | instskip(NEXT) | instid1(VALU_DEP_2)
	v_add3_u32 v5, v11, v5, v10
	v_add3_u32 v7, v22, v7, v21
	s_set_inst_prefetch_distance 0x1
	s_branch .LBB1366_837
	.p2align	6
.LBB1366_836:                           ;   in Loop: Header=BB1366_837 Depth=2
	s_or_b32 exec_lo, exec_lo, s3
	s_delay_alu instid0(SALU_CYCLE_1) | instskip(NEXT) | instid1(SALU_CYCLE_1)
	s_and_b32 s3, exec_lo, s23
	s_or_b32 s21, s3, s21
	s_and_not1_b32 s3, s26, exec_lo
	s_and_b32 s26, s25, exec_lo
	s_and_not1_b32 s22, s22, exec_lo
	s_and_b32 s27, s24, exec_lo
	s_or_b32 s26, s3, s26
	s_or_b32 s22, s22, s27
	s_and_not1_b32 exec_lo, exec_lo, s21
	s_cbranch_execz .LBB1366_839
.LBB1366_837:                           ;   Parent Loop BB1366_818 Depth=1
                                        ; =>  This Inner Loop Header: Depth=2
	global_load_u16 v10, v[4:5], off
	global_load_u16 v11, v[6:7], off
	s_and_not1_b32 s24, s24, exec_lo
	s_and_not1_b32 s25, s25, exec_lo
	s_or_b32 s23, s23, exec_lo
	s_waitcnt vmcnt(0)
	v_cmp_le_u16_e32 vcc_lo, v10, v11
	v_cmp_lt_u16_e64 s3, v10, v11
	s_and_b32 s27, vcc_lo, s26
	s_delay_alu instid0(VALU_DEP_1) | instid1(SALU_CYCLE_1)
	s_or_b32 s27, s3, s27
	s_delay_alu instid0(SALU_CYCLE_1) | instskip(NEXT) | instid1(SALU_CYCLE_1)
	s_and_b32 s3, s27, exec_lo
	s_or_b32 s24, s24, s3
	s_mov_b32 s3, exec_lo
	v_cmpx_eq_u16_e64 v10, v11
	s_cbranch_execz .LBB1366_836
; %bb.838:                              ;   in Loop: Header=BB1366_837 Depth=2
	s_add_u32 s6, s6, -1
	s_addc_u32 s7, s7, -1
	v_add_co_u32 v4, vcc_lo, v4, 2
	s_cmp_eq_u64 s[6:7], 0
	v_add_co_ci_u32_e32 v5, vcc_lo, 0, v5, vcc_lo
	s_cselect_b32 s26, -1, 0
	s_and_not1_b32 s25, s25, exec_lo
	s_and_b32 s27, s27, exec_lo
	v_add_co_u32 v6, vcc_lo, v6, 2
	s_and_not1_b32 s23, s23, exec_lo
	s_and_b32 s26, s26, exec_lo
	v_add_co_ci_u32_e32 v7, vcc_lo, 0, v7, vcc_lo
	s_or_b32 s25, s25, s27
	s_and_not1_b32 s24, s24, exec_lo
	s_or_b32 s23, s23, s26
                                        ; implicit-def: $sgpr26
	s_branch .LBB1366_836
.LBB1366_839:                           ;   in Loop: Header=BB1366_818 Depth=1
	s_set_inst_prefetch_distance 0x2
	s_or_b32 exec_lo, exec_lo, s21
	s_xor_b32 s3, s22, -1
	s_branch .LBB1366_841
.LBB1366_840:                           ;   in Loop: Header=BB1366_818 Depth=1
	s_mov_b32 s3, -1
.LBB1366_841:                           ;   in Loop: Header=BB1366_818 Depth=1
	s_and_not1_b32 s6, s17, exec_lo
	s_and_b32 s3, s3, exec_lo
	s_delay_alu instid0(SALU_CYCLE_1)
	s_or_b32 s17, s6, s3
.LBB1366_842:                           ;   in Loop: Header=BB1366_818 Depth=1
	s_or_b32 exec_lo, exec_lo, s20
	v_cndmask_b32_e64 v4, v9, v8, s17
	v_cndmask_b32_e64 v5, v20, v19, s17
	s_mov_b32 s20, -1
	s_mov_b32 s21, -1
	s_mov_b32 s22, exec_lo
	v_add_nc_u32_e32 v6, 1, v4
	v_add_nc_u32_e32 v4, -1, v5
	s_delay_alu instid0(VALU_DEP_2) | instskip(NEXT) | instid1(VALU_DEP_2)
	v_cndmask_b32_e64 v9, v6, v9, s17
	v_min_u32_e32 v4, v6, v4
	v_cndmask_b32_e64 v8, v8, v6, s17
	s_delay_alu instid0(VALU_DEP_2)
	v_lshlrev_b32_e32 v4, 3, v4
	ds_load_b64 v[4:5], v4
	s_waitcnt lgkmcnt(0)
	v_cndmask_b32_e64 v21, v5, v3, s17
	v_cndmask_b32_e64 v22, v4, v2, s17
	;; [unrolled: 1-line block ×4, first 2 shown]
	v_cmpx_lt_u32_e64 v9, v20
	s_cbranch_execz .LBB1366_853
; %bb.843:                              ;   in Loop: Header=BB1366_818 Depth=1
	s_mov_b32 s3, 0
	s_mov_b32 s21, exec_lo
	v_cmpx_lt_u32_e64 v8, v19
	s_cbranch_execz .LBB1366_852
; %bb.844:                              ;   in Loop: Header=BB1366_818 Depth=1
	s_and_not1_b32 vcc_lo, exec_lo, s16
	s_cbranch_vccnz .LBB1366_850
; %bb.845:                              ;   in Loop: Header=BB1366_818 Depth=1
	v_mad_u64_u32 v[4:5], null, s4, v22, s[10:11]
	v_mul_lo_u32 v10, s4, v21
	v_mul_lo_u32 v11, s5, v22
	v_mad_u64_u32 v[6:7], null, s4, v24, s[10:11]
	v_mul_lo_u32 v25, s4, v23
	v_mul_lo_u32 v28, s5, v24
	s_mov_b32 s23, 0
	s_mov_b64 s[6:7], s[8:9]
                                        ; implicit-def: $sgpr24
                                        ; implicit-def: $sgpr25
                                        ; implicit-def: $sgpr26
                                        ; implicit-def: $sgpr27
                                        ; implicit-def: $sgpr28
	s_delay_alu instid0(VALU_DEP_4) | instskip(NEXT) | instid1(VALU_DEP_2)
	v_add3_u32 v5, v11, v5, v10
	v_add3_u32 v7, v28, v7, v25
	s_set_inst_prefetch_distance 0x1
	s_branch .LBB1366_847
	.p2align	6
.LBB1366_846:                           ;   in Loop: Header=BB1366_847 Depth=2
	s_or_b32 exec_lo, exec_lo, s3
	s_delay_alu instid0(SALU_CYCLE_1) | instskip(NEXT) | instid1(SALU_CYCLE_1)
	s_and_b32 s3, exec_lo, s25
	s_or_b32 s23, s3, s23
	s_and_not1_b32 s3, s28, exec_lo
	s_and_b32 s28, s27, exec_lo
	s_and_not1_b32 s24, s24, exec_lo
	s_and_b32 s29, s26, exec_lo
	s_or_b32 s28, s3, s28
	s_or_b32 s24, s24, s29
	s_and_not1_b32 exec_lo, exec_lo, s23
	s_cbranch_execz .LBB1366_849
.LBB1366_847:                           ;   Parent Loop BB1366_818 Depth=1
                                        ; =>  This Inner Loop Header: Depth=2
	global_load_u16 v10, v[4:5], off
	global_load_u16 v11, v[6:7], off
	s_and_not1_b32 s26, s26, exec_lo
	s_and_not1_b32 s27, s27, exec_lo
	s_or_b32 s25, s25, exec_lo
	s_waitcnt vmcnt(0)
	v_cmp_le_u16_e32 vcc_lo, v10, v11
	v_cmp_lt_u16_e64 s3, v10, v11
	s_and_b32 s29, vcc_lo, s28
	s_delay_alu instid0(VALU_DEP_1) | instid1(SALU_CYCLE_1)
	s_or_b32 s29, s3, s29
	s_delay_alu instid0(SALU_CYCLE_1) | instskip(NEXT) | instid1(SALU_CYCLE_1)
	s_and_b32 s3, s29, exec_lo
	s_or_b32 s26, s26, s3
	s_mov_b32 s3, exec_lo
	v_cmpx_eq_u16_e64 v10, v11
	s_cbranch_execz .LBB1366_846
; %bb.848:                              ;   in Loop: Header=BB1366_847 Depth=2
	s_add_u32 s6, s6, -1
	s_addc_u32 s7, s7, -1
	v_add_co_u32 v4, vcc_lo, v4, 2
	s_cmp_eq_u64 s[6:7], 0
	v_add_co_ci_u32_e32 v5, vcc_lo, 0, v5, vcc_lo
	v_add_co_u32 v6, vcc_lo, v6, 2
	s_cselect_b32 s28, -1, 0
	v_add_co_ci_u32_e32 v7, vcc_lo, 0, v7, vcc_lo
	s_and_not1_b32 s27, s27, exec_lo
	s_and_b32 s29, s29, exec_lo
	s_and_not1_b32 s25, s25, exec_lo
	s_and_b32 s28, s28, exec_lo
	s_or_b32 s27, s27, s29
	s_and_not1_b32 s26, s26, exec_lo
	s_or_b32 s25, s25, s28
                                        ; implicit-def: $sgpr28
	s_branch .LBB1366_846
.LBB1366_849:                           ;   in Loop: Header=BB1366_818 Depth=1
	s_set_inst_prefetch_distance 0x2
	s_or_b32 exec_lo, exec_lo, s23
	s_xor_b32 s3, s24, -1
	s_branch .LBB1366_851
.LBB1366_850:                           ;   in Loop: Header=BB1366_818 Depth=1
	s_mov_b32 s3, -1
.LBB1366_851:                           ;   in Loop: Header=BB1366_818 Depth=1
	s_delay_alu instid0(SALU_CYCLE_1)
	s_and_b32 s3, s3, exec_lo
.LBB1366_852:                           ;   in Loop: Header=BB1366_818 Depth=1
	s_or_b32 exec_lo, exec_lo, s21
	s_delay_alu instid0(SALU_CYCLE_1)
	s_or_not1_b32 s21, s3, exec_lo
.LBB1366_853:                           ;   in Loop: Header=BB1366_818 Depth=1
	s_or_b32 exec_lo, exec_lo, s22
	v_cndmask_b32_e64 v4, v9, v8, s21
	v_cndmask_b32_e64 v5, v20, v19, s21
	s_mov_b32 s22, exec_lo
	s_delay_alu instid0(VALU_DEP_2) | instskip(NEXT) | instid1(VALU_DEP_2)
	v_add_nc_u32_e32 v6, 1, v4
	v_add_nc_u32_e32 v4, -1, v5
	s_delay_alu instid0(VALU_DEP_2) | instskip(NEXT) | instid1(VALU_DEP_2)
	v_cndmask_b32_e64 v9, v6, v9, s21
	v_min_u32_e32 v4, v6, v4
	v_cndmask_b32_e64 v8, v8, v6, s21
	s_delay_alu instid0(VALU_DEP_2)
	v_lshlrev_b32_e32 v4, 3, v4
	ds_load_b64 v[4:5], v4
	s_waitcnt lgkmcnt(0)
	v_cndmask_b32_e64 v25, v5, v21, s21
	v_cndmask_b32_e64 v28, v4, v22, s21
	;; [unrolled: 1-line block ×4, first 2 shown]
	v_cmpx_lt_u32_e64 v9, v20
	s_cbranch_execz .LBB1366_864
; %bb.854:                              ;   in Loop: Header=BB1366_818 Depth=1
	s_mov_b32 s3, 0
	s_mov_b32 s20, exec_lo
	v_cmpx_lt_u32_e64 v8, v19
	s_cbranch_execz .LBB1366_863
; %bb.855:                              ;   in Loop: Header=BB1366_818 Depth=1
	s_and_not1_b32 vcc_lo, exec_lo, s16
	s_cbranch_vccnz .LBB1366_861
; %bb.856:                              ;   in Loop: Header=BB1366_818 Depth=1
	v_mad_u64_u32 v[4:5], null, s4, v28, s[10:11]
	v_mul_lo_u32 v10, s4, v25
	v_mul_lo_u32 v11, s5, v28
	v_mad_u64_u32 v[6:7], null, s4, v30, s[10:11]
	v_mul_lo_u32 v31, s4, v29
	v_mul_lo_u32 v32, s5, v30
	s_mov_b32 s23, 0
	s_mov_b64 s[6:7], s[8:9]
                                        ; implicit-def: $sgpr24
                                        ; implicit-def: $sgpr25
                                        ; implicit-def: $sgpr26
                                        ; implicit-def: $sgpr27
                                        ; implicit-def: $sgpr28
	s_delay_alu instid0(VALU_DEP_4) | instskip(NEXT) | instid1(VALU_DEP_2)
	v_add3_u32 v5, v11, v5, v10
	v_add3_u32 v7, v32, v7, v31
	s_set_inst_prefetch_distance 0x1
	s_branch .LBB1366_858
	.p2align	6
.LBB1366_857:                           ;   in Loop: Header=BB1366_858 Depth=2
	s_or_b32 exec_lo, exec_lo, s3
	s_delay_alu instid0(SALU_CYCLE_1) | instskip(NEXT) | instid1(SALU_CYCLE_1)
	s_and_b32 s3, exec_lo, s25
	s_or_b32 s23, s3, s23
	s_and_not1_b32 s3, s28, exec_lo
	s_and_b32 s28, s27, exec_lo
	s_and_not1_b32 s24, s24, exec_lo
	s_and_b32 s29, s26, exec_lo
	s_or_b32 s28, s3, s28
	s_or_b32 s24, s24, s29
	s_and_not1_b32 exec_lo, exec_lo, s23
	s_cbranch_execz .LBB1366_860
.LBB1366_858:                           ;   Parent Loop BB1366_818 Depth=1
                                        ; =>  This Inner Loop Header: Depth=2
	global_load_u16 v10, v[4:5], off
	global_load_u16 v11, v[6:7], off
	s_and_not1_b32 s26, s26, exec_lo
	s_and_not1_b32 s27, s27, exec_lo
	s_or_b32 s25, s25, exec_lo
	s_waitcnt vmcnt(0)
	v_cmp_le_u16_e32 vcc_lo, v10, v11
	v_cmp_lt_u16_e64 s3, v10, v11
	s_and_b32 s29, vcc_lo, s28
	s_delay_alu instid0(VALU_DEP_1) | instid1(SALU_CYCLE_1)
	s_or_b32 s29, s3, s29
	s_delay_alu instid0(SALU_CYCLE_1) | instskip(NEXT) | instid1(SALU_CYCLE_1)
	s_and_b32 s3, s29, exec_lo
	s_or_b32 s26, s26, s3
	s_mov_b32 s3, exec_lo
	v_cmpx_eq_u16_e64 v10, v11
	s_cbranch_execz .LBB1366_857
; %bb.859:                              ;   in Loop: Header=BB1366_858 Depth=2
	s_add_u32 s6, s6, -1
	s_addc_u32 s7, s7, -1
	v_add_co_u32 v4, vcc_lo, v4, 2
	s_cmp_eq_u64 s[6:7], 0
	v_add_co_ci_u32_e32 v5, vcc_lo, 0, v5, vcc_lo
	v_add_co_u32 v6, vcc_lo, v6, 2
	s_cselect_b32 s28, -1, 0
	v_add_co_ci_u32_e32 v7, vcc_lo, 0, v7, vcc_lo
	s_and_not1_b32 s27, s27, exec_lo
	s_and_b32 s29, s29, exec_lo
	s_and_not1_b32 s25, s25, exec_lo
	s_and_b32 s28, s28, exec_lo
	s_or_b32 s27, s27, s29
	s_and_not1_b32 s26, s26, exec_lo
	s_or_b32 s25, s25, s28
                                        ; implicit-def: $sgpr28
	s_branch .LBB1366_857
.LBB1366_860:                           ;   in Loop: Header=BB1366_818 Depth=1
	s_set_inst_prefetch_distance 0x2
	s_or_b32 exec_lo, exec_lo, s23
	s_xor_b32 s3, s24, -1
	s_branch .LBB1366_862
.LBB1366_861:                           ;   in Loop: Header=BB1366_818 Depth=1
	s_mov_b32 s3, -1
.LBB1366_862:                           ;   in Loop: Header=BB1366_818 Depth=1
	s_delay_alu instid0(SALU_CYCLE_1)
	s_and_b32 s3, s3, exec_lo
.LBB1366_863:                           ;   in Loop: Header=BB1366_818 Depth=1
	s_or_b32 exec_lo, exec_lo, s20
	s_delay_alu instid0(SALU_CYCLE_1)
	s_or_not1_b32 s20, s3, exec_lo
.LBB1366_864:                           ;   in Loop: Header=BB1366_818 Depth=1
	s_or_b32 exec_lo, exec_lo, s22
	v_cndmask_b32_e64 v4, v9, v8, s20
	v_cndmask_b32_e64 v5, v20, v19, s20
	s_mov_b32 s22, exec_lo
	s_delay_alu instid0(VALU_DEP_2) | instskip(NEXT) | instid1(VALU_DEP_2)
	v_add_nc_u32_e32 v10, 1, v4
	v_add_nc_u32_e32 v4, -1, v5
	s_delay_alu instid0(VALU_DEP_2) | instskip(NEXT) | instid1(VALU_DEP_2)
	v_cndmask_b32_e64 v9, v10, v9, s20
	v_min_u32_e32 v4, v10, v4
	s_delay_alu instid0(VALU_DEP_1)
	v_lshlrev_b32_e32 v4, 3, v4
	ds_load_b64 v[4:5], v4
	s_waitcnt lgkmcnt(0)
	v_cndmask_b32_e64 v7, v29, v5, s20
	v_cndmask_b32_e64 v6, v30, v4, s20
	v_cmpx_lt_u32_e64 v9, v20
	s_cbranch_execz .LBB1366_816
; %bb.865:                              ;   in Loop: Header=BB1366_818 Depth=1
	v_cndmask_b32_e64 v8, v8, v10, s20
	v_cndmask_b32_e64 v5, v5, v25, s20
	;; [unrolled: 1-line block ×3, first 2 shown]
	s_mov_b32 s23, exec_lo
	s_delay_alu instid0(VALU_DEP_3)
	v_cmpx_lt_u32_e64 v8, v19
	s_cbranch_execz .LBB1366_815
; %bb.866:                              ;   in Loop: Header=BB1366_818 Depth=1
	s_and_not1_b32 vcc_lo, exec_lo, s16
	s_cbranch_vccnz .LBB1366_814
; %bb.867:                              ;   in Loop: Header=BB1366_818 Depth=1
	v_mad_u64_u32 v[8:9], null, s4, v4, s[10:11]
	v_mul_lo_u32 v19, s4, v5
	v_mul_lo_u32 v20, s5, v4
	v_mad_u64_u32 v[10:11], null, s4, v6, s[10:11]
	v_mul_lo_u32 v31, s4, v7
	v_mul_lo_u32 v32, s5, v6
	s_mov_b32 s24, 0
	s_mov_b64 s[6:7], s[8:9]
                                        ; implicit-def: $sgpr25
                                        ; implicit-def: $sgpr26
                                        ; implicit-def: $sgpr27
                                        ; implicit-def: $sgpr28
                                        ; implicit-def: $sgpr29
	s_delay_alu instid0(VALU_DEP_4) | instskip(NEXT) | instid1(VALU_DEP_2)
	v_add3_u32 v9, v20, v9, v19
	v_add3_u32 v11, v32, v11, v31
	s_set_inst_prefetch_distance 0x1
	s_branch .LBB1366_869
	.p2align	6
.LBB1366_868:                           ;   in Loop: Header=BB1366_869 Depth=2
	s_or_b32 exec_lo, exec_lo, s3
	s_delay_alu instid0(SALU_CYCLE_1) | instskip(NEXT) | instid1(SALU_CYCLE_1)
	s_and_b32 s3, exec_lo, s26
	s_or_b32 s24, s3, s24
	s_and_not1_b32 s3, s29, exec_lo
	s_and_b32 s29, s28, exec_lo
	s_and_not1_b32 s25, s25, exec_lo
	s_and_b32 s30, s27, exec_lo
	s_or_b32 s29, s3, s29
	s_or_b32 s25, s25, s30
	s_and_not1_b32 exec_lo, exec_lo, s24
	s_cbranch_execz .LBB1366_813
.LBB1366_869:                           ;   Parent Loop BB1366_818 Depth=1
                                        ; =>  This Inner Loop Header: Depth=2
	global_load_u16 v19, v[8:9], off
	global_load_u16 v20, v[10:11], off
	s_and_not1_b32 s27, s27, exec_lo
	s_and_not1_b32 s28, s28, exec_lo
	s_or_b32 s26, s26, exec_lo
	s_waitcnt vmcnt(0)
	v_cmp_le_u16_e32 vcc_lo, v19, v20
	v_cmp_lt_u16_e64 s3, v19, v20
	s_and_b32 s30, vcc_lo, s29
	s_delay_alu instid0(VALU_DEP_1) | instid1(SALU_CYCLE_1)
	s_or_b32 s30, s3, s30
	s_delay_alu instid0(SALU_CYCLE_1) | instskip(NEXT) | instid1(SALU_CYCLE_1)
	s_and_b32 s3, s30, exec_lo
	s_or_b32 s27, s27, s3
	s_mov_b32 s3, exec_lo
	v_cmpx_eq_u16_e64 v19, v20
	s_cbranch_execz .LBB1366_868
; %bb.870:                              ;   in Loop: Header=BB1366_869 Depth=2
	s_add_u32 s6, s6, -1
	s_addc_u32 s7, s7, -1
	v_add_co_u32 v8, vcc_lo, v8, 2
	s_cmp_eq_u64 s[6:7], 0
	v_add_co_ci_u32_e32 v9, vcc_lo, 0, v9, vcc_lo
	v_add_co_u32 v10, vcc_lo, v10, 2
	s_cselect_b32 s29, -1, 0
	v_add_co_ci_u32_e32 v11, vcc_lo, 0, v11, vcc_lo
	s_and_not1_b32 s28, s28, exec_lo
	s_and_b32 s30, s30, exec_lo
	s_and_not1_b32 s26, s26, exec_lo
	s_and_b32 s29, s29, exec_lo
	s_or_b32 s28, s28, s30
	s_and_not1_b32 s27, s27, exec_lo
	s_or_b32 s26, s26, s29
                                        ; implicit-def: $sgpr29
	s_branch .LBB1366_868
.LBB1366_871:
	s_barrier
	buffer_gl0_inv
	ds_store_2addr_b64 v17, v[0:1], v[2:3] offset1:1
	ds_store_2addr_b64 v17, v[4:5], v[6:7] offset0:2 offset1:3
	s_waitcnt lgkmcnt(0)
	s_barrier
	buffer_gl0_inv
	ds_load_b64 v[6:7], v13 offset:2048
	ds_load_b64 v[2:3], v15 offset:4096
	;; [unrolled: 1-line block ×3, first 2 shown]
	v_add_co_u32 v4, s3, s14, v26
	v_mov_b32_e32 v13, 0
	v_add_co_ci_u32_e64 v5, null, s15, 0, s3
	s_and_saveexec_b32 s3, s0
	s_cbranch_execnz .LBB1366_879
; %bb.872:
	s_or_b32 exec_lo, exec_lo, s3
	s_and_saveexec_b32 s0, s1
	s_cbranch_execnz .LBB1366_880
.LBB1366_873:
	s_or_b32 exec_lo, exec_lo, s0
	s_and_saveexec_b32 s0, s2
	s_cbranch_execz .LBB1366_875
.LBB1366_874:
	v_add_co_u32 v4, vcc_lo, 0x1000, v4
	v_add_co_ci_u32_e32 v5, vcc_lo, 0, v5, vcc_lo
	s_waitcnt lgkmcnt(1)
	global_store_b64 v[4:5], v[2:3], off
.LBB1366_875:
	s_or_b32 exec_lo, exec_lo, s0
.LBB1366_876:
	s_and_saveexec_b32 s0, s19
	s_cbranch_execz .LBB1366_878
; %bb.877:
	s_waitcnt lgkmcnt(1)
	v_lshlrev_b64 v[2:3], 3, v[12:13]
	s_delay_alu instid0(VALU_DEP_1) | instskip(NEXT) | instid1(VALU_DEP_2)
	v_add_co_u32 v2, vcc_lo, s14, v2
	v_add_co_ci_u32_e32 v3, vcc_lo, s15, v3, vcc_lo
	s_delay_alu instid0(VALU_DEP_2) | instskip(NEXT) | instid1(VALU_DEP_2)
	v_add_co_u32 v2, vcc_lo, 0x1000, v2
	v_add_co_ci_u32_e32 v3, vcc_lo, 0, v3, vcc_lo
	s_waitcnt lgkmcnt(0)
	global_store_b64 v[2:3], v[0:1], off offset:2048
.LBB1366_878:
	s_nop 0
	s_sendmsg sendmsg(MSG_DEALLOC_VGPRS)
	s_endpgm
.LBB1366_879:
	ds_load_b64 v[8:9], v14
	s_waitcnt lgkmcnt(0)
	global_store_b64 v[4:5], v[8:9], off
	s_or_b32 exec_lo, exec_lo, s3
	s_and_saveexec_b32 s0, s1
	s_cbranch_execz .LBB1366_873
.LBB1366_880:
	s_waitcnt lgkmcnt(2)
	global_store_b64 v[4:5], v[6:7], off offset:2048
	s_or_b32 exec_lo, exec_lo, s0
	s_and_saveexec_b32 s0, s2
	s_cbranch_execnz .LBB1366_874
	s_branch .LBB1366_875
	.section	.rodata,"a",@progbits
	.p2align	6, 0x0
	.amdhsa_kernel _ZN7rocprim17ROCPRIM_400000_NS6detail17trampoline_kernelINS0_14default_configENS1_37merge_sort_block_sort_config_selectorIlNS0_10empty_typeEEEZNS1_21merge_sort_block_sortIS3_PlS8_PS5_S9_ZN2at6native12_GLOBAL__N_124unique_dim_cuda_templateItEESt5tupleIJNSA_6TensorESF_SF_EERKSF_lbbbEUlllE_EE10hipError_tT0_T1_T2_T3_mRjT4_P12ihipStream_tbNS1_7vsmem_tEEUlT_E_NS1_11comp_targetILNS1_3genE9ELNS1_11target_archE1100ELNS1_3gpuE3ELNS1_3repE0EEENS1_30default_config_static_selectorELNS0_4arch9wavefront6targetE0EEEvSM_
		.amdhsa_group_segment_fixed_size 8448
		.amdhsa_private_segment_fixed_size 0
		.amdhsa_kernarg_size 328
		.amdhsa_user_sgpr_count 13
		.amdhsa_user_sgpr_dispatch_ptr 0
		.amdhsa_user_sgpr_queue_ptr 0
		.amdhsa_user_sgpr_kernarg_segment_ptr 1
		.amdhsa_user_sgpr_dispatch_id 0
		.amdhsa_user_sgpr_private_segment_size 0
		.amdhsa_wavefront_size32 1
		.amdhsa_uses_dynamic_stack 0
		.amdhsa_enable_private_segment 0
		.amdhsa_system_sgpr_workgroup_id_x 1
		.amdhsa_system_sgpr_workgroup_id_y 1
		.amdhsa_system_sgpr_workgroup_id_z 1
		.amdhsa_system_sgpr_workgroup_info 0
		.amdhsa_system_vgpr_workitem_id 2
		.amdhsa_next_free_vgpr 49
		.amdhsa_next_free_sgpr 32
		.amdhsa_reserve_vcc 1
		.amdhsa_float_round_mode_32 0
		.amdhsa_float_round_mode_16_64 0
		.amdhsa_float_denorm_mode_32 3
		.amdhsa_float_denorm_mode_16_64 3
		.amdhsa_dx10_clamp 1
		.amdhsa_ieee_mode 1
		.amdhsa_fp16_overflow 0
		.amdhsa_workgroup_processor_mode 1
		.amdhsa_memory_ordered 1
		.amdhsa_forward_progress 0
		.amdhsa_shared_vgpr_count 0
		.amdhsa_exception_fp_ieee_invalid_op 0
		.amdhsa_exception_fp_denorm_src 0
		.amdhsa_exception_fp_ieee_div_zero 0
		.amdhsa_exception_fp_ieee_overflow 0
		.amdhsa_exception_fp_ieee_underflow 0
		.amdhsa_exception_fp_ieee_inexact 0
		.amdhsa_exception_int_div_zero 0
	.end_amdhsa_kernel
	.section	.text._ZN7rocprim17ROCPRIM_400000_NS6detail17trampoline_kernelINS0_14default_configENS1_37merge_sort_block_sort_config_selectorIlNS0_10empty_typeEEEZNS1_21merge_sort_block_sortIS3_PlS8_PS5_S9_ZN2at6native12_GLOBAL__N_124unique_dim_cuda_templateItEESt5tupleIJNSA_6TensorESF_SF_EERKSF_lbbbEUlllE_EE10hipError_tT0_T1_T2_T3_mRjT4_P12ihipStream_tbNS1_7vsmem_tEEUlT_E_NS1_11comp_targetILNS1_3genE9ELNS1_11target_archE1100ELNS1_3gpuE3ELNS1_3repE0EEENS1_30default_config_static_selectorELNS0_4arch9wavefront6targetE0EEEvSM_,"axG",@progbits,_ZN7rocprim17ROCPRIM_400000_NS6detail17trampoline_kernelINS0_14default_configENS1_37merge_sort_block_sort_config_selectorIlNS0_10empty_typeEEEZNS1_21merge_sort_block_sortIS3_PlS8_PS5_S9_ZN2at6native12_GLOBAL__N_124unique_dim_cuda_templateItEESt5tupleIJNSA_6TensorESF_SF_EERKSF_lbbbEUlllE_EE10hipError_tT0_T1_T2_T3_mRjT4_P12ihipStream_tbNS1_7vsmem_tEEUlT_E_NS1_11comp_targetILNS1_3genE9ELNS1_11target_archE1100ELNS1_3gpuE3ELNS1_3repE0EEENS1_30default_config_static_selectorELNS0_4arch9wavefront6targetE0EEEvSM_,comdat
.Lfunc_end1366:
	.size	_ZN7rocprim17ROCPRIM_400000_NS6detail17trampoline_kernelINS0_14default_configENS1_37merge_sort_block_sort_config_selectorIlNS0_10empty_typeEEEZNS1_21merge_sort_block_sortIS3_PlS8_PS5_S9_ZN2at6native12_GLOBAL__N_124unique_dim_cuda_templateItEESt5tupleIJNSA_6TensorESF_SF_EERKSF_lbbbEUlllE_EE10hipError_tT0_T1_T2_T3_mRjT4_P12ihipStream_tbNS1_7vsmem_tEEUlT_E_NS1_11comp_targetILNS1_3genE9ELNS1_11target_archE1100ELNS1_3gpuE3ELNS1_3repE0EEENS1_30default_config_static_selectorELNS0_4arch9wavefront6targetE0EEEvSM_, .Lfunc_end1366-_ZN7rocprim17ROCPRIM_400000_NS6detail17trampoline_kernelINS0_14default_configENS1_37merge_sort_block_sort_config_selectorIlNS0_10empty_typeEEEZNS1_21merge_sort_block_sortIS3_PlS8_PS5_S9_ZN2at6native12_GLOBAL__N_124unique_dim_cuda_templateItEESt5tupleIJNSA_6TensorESF_SF_EERKSF_lbbbEUlllE_EE10hipError_tT0_T1_T2_T3_mRjT4_P12ihipStream_tbNS1_7vsmem_tEEUlT_E_NS1_11comp_targetILNS1_3genE9ELNS1_11target_archE1100ELNS1_3gpuE3ELNS1_3repE0EEENS1_30default_config_static_selectorELNS0_4arch9wavefront6targetE0EEEvSM_
                                        ; -- End function
	.section	.AMDGPU.csdata,"",@progbits
; Kernel info:
; codeLenInByte = 42940
; NumSgprs: 34
; NumVgprs: 49
; ScratchSize: 0
; MemoryBound: 0
; FloatMode: 240
; IeeeMode: 1
; LDSByteSize: 8448 bytes/workgroup (compile time only)
; SGPRBlocks: 4
; VGPRBlocks: 6
; NumSGPRsForWavesPerEU: 34
; NumVGPRsForWavesPerEU: 49
; Occupancy: 16
; WaveLimiterHint : 1
; COMPUTE_PGM_RSRC2:SCRATCH_EN: 0
; COMPUTE_PGM_RSRC2:USER_SGPR: 13
; COMPUTE_PGM_RSRC2:TRAP_HANDLER: 0
; COMPUTE_PGM_RSRC2:TGID_X_EN: 1
; COMPUTE_PGM_RSRC2:TGID_Y_EN: 1
; COMPUTE_PGM_RSRC2:TGID_Z_EN: 1
; COMPUTE_PGM_RSRC2:TIDIG_COMP_CNT: 2
	.section	.text._ZN7rocprim17ROCPRIM_400000_NS6detail17trampoline_kernelINS0_14default_configENS1_37merge_sort_block_sort_config_selectorIlNS0_10empty_typeEEEZNS1_21merge_sort_block_sortIS3_PlS8_PS5_S9_ZN2at6native12_GLOBAL__N_124unique_dim_cuda_templateItEESt5tupleIJNSA_6TensorESF_SF_EERKSF_lbbbEUlllE_EE10hipError_tT0_T1_T2_T3_mRjT4_P12ihipStream_tbNS1_7vsmem_tEEUlT_E_NS1_11comp_targetILNS1_3genE8ELNS1_11target_archE1030ELNS1_3gpuE2ELNS1_3repE0EEENS1_30default_config_static_selectorELNS0_4arch9wavefront6targetE0EEEvSM_,"axG",@progbits,_ZN7rocprim17ROCPRIM_400000_NS6detail17trampoline_kernelINS0_14default_configENS1_37merge_sort_block_sort_config_selectorIlNS0_10empty_typeEEEZNS1_21merge_sort_block_sortIS3_PlS8_PS5_S9_ZN2at6native12_GLOBAL__N_124unique_dim_cuda_templateItEESt5tupleIJNSA_6TensorESF_SF_EERKSF_lbbbEUlllE_EE10hipError_tT0_T1_T2_T3_mRjT4_P12ihipStream_tbNS1_7vsmem_tEEUlT_E_NS1_11comp_targetILNS1_3genE8ELNS1_11target_archE1030ELNS1_3gpuE2ELNS1_3repE0EEENS1_30default_config_static_selectorELNS0_4arch9wavefront6targetE0EEEvSM_,comdat
	.globl	_ZN7rocprim17ROCPRIM_400000_NS6detail17trampoline_kernelINS0_14default_configENS1_37merge_sort_block_sort_config_selectorIlNS0_10empty_typeEEEZNS1_21merge_sort_block_sortIS3_PlS8_PS5_S9_ZN2at6native12_GLOBAL__N_124unique_dim_cuda_templateItEESt5tupleIJNSA_6TensorESF_SF_EERKSF_lbbbEUlllE_EE10hipError_tT0_T1_T2_T3_mRjT4_P12ihipStream_tbNS1_7vsmem_tEEUlT_E_NS1_11comp_targetILNS1_3genE8ELNS1_11target_archE1030ELNS1_3gpuE2ELNS1_3repE0EEENS1_30default_config_static_selectorELNS0_4arch9wavefront6targetE0EEEvSM_ ; -- Begin function _ZN7rocprim17ROCPRIM_400000_NS6detail17trampoline_kernelINS0_14default_configENS1_37merge_sort_block_sort_config_selectorIlNS0_10empty_typeEEEZNS1_21merge_sort_block_sortIS3_PlS8_PS5_S9_ZN2at6native12_GLOBAL__N_124unique_dim_cuda_templateItEESt5tupleIJNSA_6TensorESF_SF_EERKSF_lbbbEUlllE_EE10hipError_tT0_T1_T2_T3_mRjT4_P12ihipStream_tbNS1_7vsmem_tEEUlT_E_NS1_11comp_targetILNS1_3genE8ELNS1_11target_archE1030ELNS1_3gpuE2ELNS1_3repE0EEENS1_30default_config_static_selectorELNS0_4arch9wavefront6targetE0EEEvSM_
	.p2align	8
	.type	_ZN7rocprim17ROCPRIM_400000_NS6detail17trampoline_kernelINS0_14default_configENS1_37merge_sort_block_sort_config_selectorIlNS0_10empty_typeEEEZNS1_21merge_sort_block_sortIS3_PlS8_PS5_S9_ZN2at6native12_GLOBAL__N_124unique_dim_cuda_templateItEESt5tupleIJNSA_6TensorESF_SF_EERKSF_lbbbEUlllE_EE10hipError_tT0_T1_T2_T3_mRjT4_P12ihipStream_tbNS1_7vsmem_tEEUlT_E_NS1_11comp_targetILNS1_3genE8ELNS1_11target_archE1030ELNS1_3gpuE2ELNS1_3repE0EEENS1_30default_config_static_selectorELNS0_4arch9wavefront6targetE0EEEvSM_,@function
_ZN7rocprim17ROCPRIM_400000_NS6detail17trampoline_kernelINS0_14default_configENS1_37merge_sort_block_sort_config_selectorIlNS0_10empty_typeEEEZNS1_21merge_sort_block_sortIS3_PlS8_PS5_S9_ZN2at6native12_GLOBAL__N_124unique_dim_cuda_templateItEESt5tupleIJNSA_6TensorESF_SF_EERKSF_lbbbEUlllE_EE10hipError_tT0_T1_T2_T3_mRjT4_P12ihipStream_tbNS1_7vsmem_tEEUlT_E_NS1_11comp_targetILNS1_3genE8ELNS1_11target_archE1030ELNS1_3gpuE2ELNS1_3repE0EEENS1_30default_config_static_selectorELNS0_4arch9wavefront6targetE0EEEvSM_: ; @_ZN7rocprim17ROCPRIM_400000_NS6detail17trampoline_kernelINS0_14default_configENS1_37merge_sort_block_sort_config_selectorIlNS0_10empty_typeEEEZNS1_21merge_sort_block_sortIS3_PlS8_PS5_S9_ZN2at6native12_GLOBAL__N_124unique_dim_cuda_templateItEESt5tupleIJNSA_6TensorESF_SF_EERKSF_lbbbEUlllE_EE10hipError_tT0_T1_T2_T3_mRjT4_P12ihipStream_tbNS1_7vsmem_tEEUlT_E_NS1_11comp_targetILNS1_3genE8ELNS1_11target_archE1030ELNS1_3gpuE2ELNS1_3repE0EEENS1_30default_config_static_selectorELNS0_4arch9wavefront6targetE0EEEvSM_
; %bb.0:
	.section	.rodata,"a",@progbits
	.p2align	6, 0x0
	.amdhsa_kernel _ZN7rocprim17ROCPRIM_400000_NS6detail17trampoline_kernelINS0_14default_configENS1_37merge_sort_block_sort_config_selectorIlNS0_10empty_typeEEEZNS1_21merge_sort_block_sortIS3_PlS8_PS5_S9_ZN2at6native12_GLOBAL__N_124unique_dim_cuda_templateItEESt5tupleIJNSA_6TensorESF_SF_EERKSF_lbbbEUlllE_EE10hipError_tT0_T1_T2_T3_mRjT4_P12ihipStream_tbNS1_7vsmem_tEEUlT_E_NS1_11comp_targetILNS1_3genE8ELNS1_11target_archE1030ELNS1_3gpuE2ELNS1_3repE0EEENS1_30default_config_static_selectorELNS0_4arch9wavefront6targetE0EEEvSM_
		.amdhsa_group_segment_fixed_size 0
		.amdhsa_private_segment_fixed_size 0
		.amdhsa_kernarg_size 72
		.amdhsa_user_sgpr_count 15
		.amdhsa_user_sgpr_dispatch_ptr 0
		.amdhsa_user_sgpr_queue_ptr 0
		.amdhsa_user_sgpr_kernarg_segment_ptr 1
		.amdhsa_user_sgpr_dispatch_id 0
		.amdhsa_user_sgpr_private_segment_size 0
		.amdhsa_wavefront_size32 1
		.amdhsa_uses_dynamic_stack 0
		.amdhsa_enable_private_segment 0
		.amdhsa_system_sgpr_workgroup_id_x 1
		.amdhsa_system_sgpr_workgroup_id_y 0
		.amdhsa_system_sgpr_workgroup_id_z 0
		.amdhsa_system_sgpr_workgroup_info 0
		.amdhsa_system_vgpr_workitem_id 0
		.amdhsa_next_free_vgpr 1
		.amdhsa_next_free_sgpr 1
		.amdhsa_reserve_vcc 0
		.amdhsa_float_round_mode_32 0
		.amdhsa_float_round_mode_16_64 0
		.amdhsa_float_denorm_mode_32 3
		.amdhsa_float_denorm_mode_16_64 3
		.amdhsa_dx10_clamp 1
		.amdhsa_ieee_mode 1
		.amdhsa_fp16_overflow 0
		.amdhsa_workgroup_processor_mode 1
		.amdhsa_memory_ordered 1
		.amdhsa_forward_progress 0
		.amdhsa_shared_vgpr_count 0
		.amdhsa_exception_fp_ieee_invalid_op 0
		.amdhsa_exception_fp_denorm_src 0
		.amdhsa_exception_fp_ieee_div_zero 0
		.amdhsa_exception_fp_ieee_overflow 0
		.amdhsa_exception_fp_ieee_underflow 0
		.amdhsa_exception_fp_ieee_inexact 0
		.amdhsa_exception_int_div_zero 0
	.end_amdhsa_kernel
	.section	.text._ZN7rocprim17ROCPRIM_400000_NS6detail17trampoline_kernelINS0_14default_configENS1_37merge_sort_block_sort_config_selectorIlNS0_10empty_typeEEEZNS1_21merge_sort_block_sortIS3_PlS8_PS5_S9_ZN2at6native12_GLOBAL__N_124unique_dim_cuda_templateItEESt5tupleIJNSA_6TensorESF_SF_EERKSF_lbbbEUlllE_EE10hipError_tT0_T1_T2_T3_mRjT4_P12ihipStream_tbNS1_7vsmem_tEEUlT_E_NS1_11comp_targetILNS1_3genE8ELNS1_11target_archE1030ELNS1_3gpuE2ELNS1_3repE0EEENS1_30default_config_static_selectorELNS0_4arch9wavefront6targetE0EEEvSM_,"axG",@progbits,_ZN7rocprim17ROCPRIM_400000_NS6detail17trampoline_kernelINS0_14default_configENS1_37merge_sort_block_sort_config_selectorIlNS0_10empty_typeEEEZNS1_21merge_sort_block_sortIS3_PlS8_PS5_S9_ZN2at6native12_GLOBAL__N_124unique_dim_cuda_templateItEESt5tupleIJNSA_6TensorESF_SF_EERKSF_lbbbEUlllE_EE10hipError_tT0_T1_T2_T3_mRjT4_P12ihipStream_tbNS1_7vsmem_tEEUlT_E_NS1_11comp_targetILNS1_3genE8ELNS1_11target_archE1030ELNS1_3gpuE2ELNS1_3repE0EEENS1_30default_config_static_selectorELNS0_4arch9wavefront6targetE0EEEvSM_,comdat
.Lfunc_end1367:
	.size	_ZN7rocprim17ROCPRIM_400000_NS6detail17trampoline_kernelINS0_14default_configENS1_37merge_sort_block_sort_config_selectorIlNS0_10empty_typeEEEZNS1_21merge_sort_block_sortIS3_PlS8_PS5_S9_ZN2at6native12_GLOBAL__N_124unique_dim_cuda_templateItEESt5tupleIJNSA_6TensorESF_SF_EERKSF_lbbbEUlllE_EE10hipError_tT0_T1_T2_T3_mRjT4_P12ihipStream_tbNS1_7vsmem_tEEUlT_E_NS1_11comp_targetILNS1_3genE8ELNS1_11target_archE1030ELNS1_3gpuE2ELNS1_3repE0EEENS1_30default_config_static_selectorELNS0_4arch9wavefront6targetE0EEEvSM_, .Lfunc_end1367-_ZN7rocprim17ROCPRIM_400000_NS6detail17trampoline_kernelINS0_14default_configENS1_37merge_sort_block_sort_config_selectorIlNS0_10empty_typeEEEZNS1_21merge_sort_block_sortIS3_PlS8_PS5_S9_ZN2at6native12_GLOBAL__N_124unique_dim_cuda_templateItEESt5tupleIJNSA_6TensorESF_SF_EERKSF_lbbbEUlllE_EE10hipError_tT0_T1_T2_T3_mRjT4_P12ihipStream_tbNS1_7vsmem_tEEUlT_E_NS1_11comp_targetILNS1_3genE8ELNS1_11target_archE1030ELNS1_3gpuE2ELNS1_3repE0EEENS1_30default_config_static_selectorELNS0_4arch9wavefront6targetE0EEEvSM_
                                        ; -- End function
	.section	.AMDGPU.csdata,"",@progbits
; Kernel info:
; codeLenInByte = 0
; NumSgprs: 0
; NumVgprs: 0
; ScratchSize: 0
; MemoryBound: 0
; FloatMode: 240
; IeeeMode: 1
; LDSByteSize: 0 bytes/workgroup (compile time only)
; SGPRBlocks: 0
; VGPRBlocks: 0
; NumSGPRsForWavesPerEU: 1
; NumVGPRsForWavesPerEU: 1
; Occupancy: 16
; WaveLimiterHint : 0
; COMPUTE_PGM_RSRC2:SCRATCH_EN: 0
; COMPUTE_PGM_RSRC2:USER_SGPR: 15
; COMPUTE_PGM_RSRC2:TRAP_HANDLER: 0
; COMPUTE_PGM_RSRC2:TGID_X_EN: 1
; COMPUTE_PGM_RSRC2:TGID_Y_EN: 0
; COMPUTE_PGM_RSRC2:TGID_Z_EN: 0
; COMPUTE_PGM_RSRC2:TIDIG_COMP_CNT: 0
	.section	.text._ZN7rocprim17ROCPRIM_400000_NS6detail17trampoline_kernelINS0_14default_configENS1_38merge_sort_block_merge_config_selectorIlNS0_10empty_typeEEEZZNS1_27merge_sort_block_merge_implIS3_PlPS5_mZN2at6native12_GLOBAL__N_124unique_dim_cuda_templateItEESt5tupleIJNSA_6TensorESF_SF_EERKSF_lbbbEUlllE_EE10hipError_tT0_T1_T2_jT3_P12ihipStream_tbPNSt15iterator_traitsISL_E10value_typeEPNSR_ISM_E10value_typeEPSN_NS1_7vsmem_tEENKUlT_SL_SM_SN_E_clIS8_S8_S9_S9_EESK_S10_SL_SM_SN_EUlS10_E_NS1_11comp_targetILNS1_3genE0ELNS1_11target_archE4294967295ELNS1_3gpuE0ELNS1_3repE0EEENS1_48merge_mergepath_partition_config_static_selectorELNS0_4arch9wavefront6targetE0EEEvSM_,"axG",@progbits,_ZN7rocprim17ROCPRIM_400000_NS6detail17trampoline_kernelINS0_14default_configENS1_38merge_sort_block_merge_config_selectorIlNS0_10empty_typeEEEZZNS1_27merge_sort_block_merge_implIS3_PlPS5_mZN2at6native12_GLOBAL__N_124unique_dim_cuda_templateItEESt5tupleIJNSA_6TensorESF_SF_EERKSF_lbbbEUlllE_EE10hipError_tT0_T1_T2_jT3_P12ihipStream_tbPNSt15iterator_traitsISL_E10value_typeEPNSR_ISM_E10value_typeEPSN_NS1_7vsmem_tEENKUlT_SL_SM_SN_E_clIS8_S8_S9_S9_EESK_S10_SL_SM_SN_EUlS10_E_NS1_11comp_targetILNS1_3genE0ELNS1_11target_archE4294967295ELNS1_3gpuE0ELNS1_3repE0EEENS1_48merge_mergepath_partition_config_static_selectorELNS0_4arch9wavefront6targetE0EEEvSM_,comdat
	.globl	_ZN7rocprim17ROCPRIM_400000_NS6detail17trampoline_kernelINS0_14default_configENS1_38merge_sort_block_merge_config_selectorIlNS0_10empty_typeEEEZZNS1_27merge_sort_block_merge_implIS3_PlPS5_mZN2at6native12_GLOBAL__N_124unique_dim_cuda_templateItEESt5tupleIJNSA_6TensorESF_SF_EERKSF_lbbbEUlllE_EE10hipError_tT0_T1_T2_jT3_P12ihipStream_tbPNSt15iterator_traitsISL_E10value_typeEPNSR_ISM_E10value_typeEPSN_NS1_7vsmem_tEENKUlT_SL_SM_SN_E_clIS8_S8_S9_S9_EESK_S10_SL_SM_SN_EUlS10_E_NS1_11comp_targetILNS1_3genE0ELNS1_11target_archE4294967295ELNS1_3gpuE0ELNS1_3repE0EEENS1_48merge_mergepath_partition_config_static_selectorELNS0_4arch9wavefront6targetE0EEEvSM_ ; -- Begin function _ZN7rocprim17ROCPRIM_400000_NS6detail17trampoline_kernelINS0_14default_configENS1_38merge_sort_block_merge_config_selectorIlNS0_10empty_typeEEEZZNS1_27merge_sort_block_merge_implIS3_PlPS5_mZN2at6native12_GLOBAL__N_124unique_dim_cuda_templateItEESt5tupleIJNSA_6TensorESF_SF_EERKSF_lbbbEUlllE_EE10hipError_tT0_T1_T2_jT3_P12ihipStream_tbPNSt15iterator_traitsISL_E10value_typeEPNSR_ISM_E10value_typeEPSN_NS1_7vsmem_tEENKUlT_SL_SM_SN_E_clIS8_S8_S9_S9_EESK_S10_SL_SM_SN_EUlS10_E_NS1_11comp_targetILNS1_3genE0ELNS1_11target_archE4294967295ELNS1_3gpuE0ELNS1_3repE0EEENS1_48merge_mergepath_partition_config_static_selectorELNS0_4arch9wavefront6targetE0EEEvSM_
	.p2align	8
	.type	_ZN7rocprim17ROCPRIM_400000_NS6detail17trampoline_kernelINS0_14default_configENS1_38merge_sort_block_merge_config_selectorIlNS0_10empty_typeEEEZZNS1_27merge_sort_block_merge_implIS3_PlPS5_mZN2at6native12_GLOBAL__N_124unique_dim_cuda_templateItEESt5tupleIJNSA_6TensorESF_SF_EERKSF_lbbbEUlllE_EE10hipError_tT0_T1_T2_jT3_P12ihipStream_tbPNSt15iterator_traitsISL_E10value_typeEPNSR_ISM_E10value_typeEPSN_NS1_7vsmem_tEENKUlT_SL_SM_SN_E_clIS8_S8_S9_S9_EESK_S10_SL_SM_SN_EUlS10_E_NS1_11comp_targetILNS1_3genE0ELNS1_11target_archE4294967295ELNS1_3gpuE0ELNS1_3repE0EEENS1_48merge_mergepath_partition_config_static_selectorELNS0_4arch9wavefront6targetE0EEEvSM_,@function
_ZN7rocprim17ROCPRIM_400000_NS6detail17trampoline_kernelINS0_14default_configENS1_38merge_sort_block_merge_config_selectorIlNS0_10empty_typeEEEZZNS1_27merge_sort_block_merge_implIS3_PlPS5_mZN2at6native12_GLOBAL__N_124unique_dim_cuda_templateItEESt5tupleIJNSA_6TensorESF_SF_EERKSF_lbbbEUlllE_EE10hipError_tT0_T1_T2_jT3_P12ihipStream_tbPNSt15iterator_traitsISL_E10value_typeEPNSR_ISM_E10value_typeEPSN_NS1_7vsmem_tEENKUlT_SL_SM_SN_E_clIS8_S8_S9_S9_EESK_S10_SL_SM_SN_EUlS10_E_NS1_11comp_targetILNS1_3genE0ELNS1_11target_archE4294967295ELNS1_3gpuE0ELNS1_3repE0EEENS1_48merge_mergepath_partition_config_static_selectorELNS0_4arch9wavefront6targetE0EEEvSM_: ; @_ZN7rocprim17ROCPRIM_400000_NS6detail17trampoline_kernelINS0_14default_configENS1_38merge_sort_block_merge_config_selectorIlNS0_10empty_typeEEEZZNS1_27merge_sort_block_merge_implIS3_PlPS5_mZN2at6native12_GLOBAL__N_124unique_dim_cuda_templateItEESt5tupleIJNSA_6TensorESF_SF_EERKSF_lbbbEUlllE_EE10hipError_tT0_T1_T2_jT3_P12ihipStream_tbPNSt15iterator_traitsISL_E10value_typeEPNSR_ISM_E10value_typeEPSN_NS1_7vsmem_tEENKUlT_SL_SM_SN_E_clIS8_S8_S9_S9_EESK_S10_SL_SM_SN_EUlS10_E_NS1_11comp_targetILNS1_3genE0ELNS1_11target_archE4294967295ELNS1_3gpuE0ELNS1_3repE0EEENS1_48merge_mergepath_partition_config_static_selectorELNS0_4arch9wavefront6targetE0EEEvSM_
; %bb.0:
	.section	.rodata,"a",@progbits
	.p2align	6, 0x0
	.amdhsa_kernel _ZN7rocprim17ROCPRIM_400000_NS6detail17trampoline_kernelINS0_14default_configENS1_38merge_sort_block_merge_config_selectorIlNS0_10empty_typeEEEZZNS1_27merge_sort_block_merge_implIS3_PlPS5_mZN2at6native12_GLOBAL__N_124unique_dim_cuda_templateItEESt5tupleIJNSA_6TensorESF_SF_EERKSF_lbbbEUlllE_EE10hipError_tT0_T1_T2_jT3_P12ihipStream_tbPNSt15iterator_traitsISL_E10value_typeEPNSR_ISM_E10value_typeEPSN_NS1_7vsmem_tEENKUlT_SL_SM_SN_E_clIS8_S8_S9_S9_EESK_S10_SL_SM_SN_EUlS10_E_NS1_11comp_targetILNS1_3genE0ELNS1_11target_archE4294967295ELNS1_3gpuE0ELNS1_3repE0EEENS1_48merge_mergepath_partition_config_static_selectorELNS0_4arch9wavefront6targetE0EEEvSM_
		.amdhsa_group_segment_fixed_size 0
		.amdhsa_private_segment_fixed_size 0
		.amdhsa_kernarg_size 56
		.amdhsa_user_sgpr_count 15
		.amdhsa_user_sgpr_dispatch_ptr 0
		.amdhsa_user_sgpr_queue_ptr 0
		.amdhsa_user_sgpr_kernarg_segment_ptr 1
		.amdhsa_user_sgpr_dispatch_id 0
		.amdhsa_user_sgpr_private_segment_size 0
		.amdhsa_wavefront_size32 1
		.amdhsa_uses_dynamic_stack 0
		.amdhsa_enable_private_segment 0
		.amdhsa_system_sgpr_workgroup_id_x 1
		.amdhsa_system_sgpr_workgroup_id_y 0
		.amdhsa_system_sgpr_workgroup_id_z 0
		.amdhsa_system_sgpr_workgroup_info 0
		.amdhsa_system_vgpr_workitem_id 0
		.amdhsa_next_free_vgpr 1
		.amdhsa_next_free_sgpr 1
		.amdhsa_reserve_vcc 0
		.amdhsa_float_round_mode_32 0
		.amdhsa_float_round_mode_16_64 0
		.amdhsa_float_denorm_mode_32 3
		.amdhsa_float_denorm_mode_16_64 3
		.amdhsa_dx10_clamp 1
		.amdhsa_ieee_mode 1
		.amdhsa_fp16_overflow 0
		.amdhsa_workgroup_processor_mode 1
		.amdhsa_memory_ordered 1
		.amdhsa_forward_progress 0
		.amdhsa_shared_vgpr_count 0
		.amdhsa_exception_fp_ieee_invalid_op 0
		.amdhsa_exception_fp_denorm_src 0
		.amdhsa_exception_fp_ieee_div_zero 0
		.amdhsa_exception_fp_ieee_overflow 0
		.amdhsa_exception_fp_ieee_underflow 0
		.amdhsa_exception_fp_ieee_inexact 0
		.amdhsa_exception_int_div_zero 0
	.end_amdhsa_kernel
	.section	.text._ZN7rocprim17ROCPRIM_400000_NS6detail17trampoline_kernelINS0_14default_configENS1_38merge_sort_block_merge_config_selectorIlNS0_10empty_typeEEEZZNS1_27merge_sort_block_merge_implIS3_PlPS5_mZN2at6native12_GLOBAL__N_124unique_dim_cuda_templateItEESt5tupleIJNSA_6TensorESF_SF_EERKSF_lbbbEUlllE_EE10hipError_tT0_T1_T2_jT3_P12ihipStream_tbPNSt15iterator_traitsISL_E10value_typeEPNSR_ISM_E10value_typeEPSN_NS1_7vsmem_tEENKUlT_SL_SM_SN_E_clIS8_S8_S9_S9_EESK_S10_SL_SM_SN_EUlS10_E_NS1_11comp_targetILNS1_3genE0ELNS1_11target_archE4294967295ELNS1_3gpuE0ELNS1_3repE0EEENS1_48merge_mergepath_partition_config_static_selectorELNS0_4arch9wavefront6targetE0EEEvSM_,"axG",@progbits,_ZN7rocprim17ROCPRIM_400000_NS6detail17trampoline_kernelINS0_14default_configENS1_38merge_sort_block_merge_config_selectorIlNS0_10empty_typeEEEZZNS1_27merge_sort_block_merge_implIS3_PlPS5_mZN2at6native12_GLOBAL__N_124unique_dim_cuda_templateItEESt5tupleIJNSA_6TensorESF_SF_EERKSF_lbbbEUlllE_EE10hipError_tT0_T1_T2_jT3_P12ihipStream_tbPNSt15iterator_traitsISL_E10value_typeEPNSR_ISM_E10value_typeEPSN_NS1_7vsmem_tEENKUlT_SL_SM_SN_E_clIS8_S8_S9_S9_EESK_S10_SL_SM_SN_EUlS10_E_NS1_11comp_targetILNS1_3genE0ELNS1_11target_archE4294967295ELNS1_3gpuE0ELNS1_3repE0EEENS1_48merge_mergepath_partition_config_static_selectorELNS0_4arch9wavefront6targetE0EEEvSM_,comdat
.Lfunc_end1368:
	.size	_ZN7rocprim17ROCPRIM_400000_NS6detail17trampoline_kernelINS0_14default_configENS1_38merge_sort_block_merge_config_selectorIlNS0_10empty_typeEEEZZNS1_27merge_sort_block_merge_implIS3_PlPS5_mZN2at6native12_GLOBAL__N_124unique_dim_cuda_templateItEESt5tupleIJNSA_6TensorESF_SF_EERKSF_lbbbEUlllE_EE10hipError_tT0_T1_T2_jT3_P12ihipStream_tbPNSt15iterator_traitsISL_E10value_typeEPNSR_ISM_E10value_typeEPSN_NS1_7vsmem_tEENKUlT_SL_SM_SN_E_clIS8_S8_S9_S9_EESK_S10_SL_SM_SN_EUlS10_E_NS1_11comp_targetILNS1_3genE0ELNS1_11target_archE4294967295ELNS1_3gpuE0ELNS1_3repE0EEENS1_48merge_mergepath_partition_config_static_selectorELNS0_4arch9wavefront6targetE0EEEvSM_, .Lfunc_end1368-_ZN7rocprim17ROCPRIM_400000_NS6detail17trampoline_kernelINS0_14default_configENS1_38merge_sort_block_merge_config_selectorIlNS0_10empty_typeEEEZZNS1_27merge_sort_block_merge_implIS3_PlPS5_mZN2at6native12_GLOBAL__N_124unique_dim_cuda_templateItEESt5tupleIJNSA_6TensorESF_SF_EERKSF_lbbbEUlllE_EE10hipError_tT0_T1_T2_jT3_P12ihipStream_tbPNSt15iterator_traitsISL_E10value_typeEPNSR_ISM_E10value_typeEPSN_NS1_7vsmem_tEENKUlT_SL_SM_SN_E_clIS8_S8_S9_S9_EESK_S10_SL_SM_SN_EUlS10_E_NS1_11comp_targetILNS1_3genE0ELNS1_11target_archE4294967295ELNS1_3gpuE0ELNS1_3repE0EEENS1_48merge_mergepath_partition_config_static_selectorELNS0_4arch9wavefront6targetE0EEEvSM_
                                        ; -- End function
	.section	.AMDGPU.csdata,"",@progbits
; Kernel info:
; codeLenInByte = 0
; NumSgprs: 0
; NumVgprs: 0
; ScratchSize: 0
; MemoryBound: 0
; FloatMode: 240
; IeeeMode: 1
; LDSByteSize: 0 bytes/workgroup (compile time only)
; SGPRBlocks: 0
; VGPRBlocks: 0
; NumSGPRsForWavesPerEU: 1
; NumVGPRsForWavesPerEU: 1
; Occupancy: 16
; WaveLimiterHint : 0
; COMPUTE_PGM_RSRC2:SCRATCH_EN: 0
; COMPUTE_PGM_RSRC2:USER_SGPR: 15
; COMPUTE_PGM_RSRC2:TRAP_HANDLER: 0
; COMPUTE_PGM_RSRC2:TGID_X_EN: 1
; COMPUTE_PGM_RSRC2:TGID_Y_EN: 0
; COMPUTE_PGM_RSRC2:TGID_Z_EN: 0
; COMPUTE_PGM_RSRC2:TIDIG_COMP_CNT: 0
	.section	.text._ZN7rocprim17ROCPRIM_400000_NS6detail17trampoline_kernelINS0_14default_configENS1_38merge_sort_block_merge_config_selectorIlNS0_10empty_typeEEEZZNS1_27merge_sort_block_merge_implIS3_PlPS5_mZN2at6native12_GLOBAL__N_124unique_dim_cuda_templateItEESt5tupleIJNSA_6TensorESF_SF_EERKSF_lbbbEUlllE_EE10hipError_tT0_T1_T2_jT3_P12ihipStream_tbPNSt15iterator_traitsISL_E10value_typeEPNSR_ISM_E10value_typeEPSN_NS1_7vsmem_tEENKUlT_SL_SM_SN_E_clIS8_S8_S9_S9_EESK_S10_SL_SM_SN_EUlS10_E_NS1_11comp_targetILNS1_3genE10ELNS1_11target_archE1201ELNS1_3gpuE5ELNS1_3repE0EEENS1_48merge_mergepath_partition_config_static_selectorELNS0_4arch9wavefront6targetE0EEEvSM_,"axG",@progbits,_ZN7rocprim17ROCPRIM_400000_NS6detail17trampoline_kernelINS0_14default_configENS1_38merge_sort_block_merge_config_selectorIlNS0_10empty_typeEEEZZNS1_27merge_sort_block_merge_implIS3_PlPS5_mZN2at6native12_GLOBAL__N_124unique_dim_cuda_templateItEESt5tupleIJNSA_6TensorESF_SF_EERKSF_lbbbEUlllE_EE10hipError_tT0_T1_T2_jT3_P12ihipStream_tbPNSt15iterator_traitsISL_E10value_typeEPNSR_ISM_E10value_typeEPSN_NS1_7vsmem_tEENKUlT_SL_SM_SN_E_clIS8_S8_S9_S9_EESK_S10_SL_SM_SN_EUlS10_E_NS1_11comp_targetILNS1_3genE10ELNS1_11target_archE1201ELNS1_3gpuE5ELNS1_3repE0EEENS1_48merge_mergepath_partition_config_static_selectorELNS0_4arch9wavefront6targetE0EEEvSM_,comdat
	.globl	_ZN7rocprim17ROCPRIM_400000_NS6detail17trampoline_kernelINS0_14default_configENS1_38merge_sort_block_merge_config_selectorIlNS0_10empty_typeEEEZZNS1_27merge_sort_block_merge_implIS3_PlPS5_mZN2at6native12_GLOBAL__N_124unique_dim_cuda_templateItEESt5tupleIJNSA_6TensorESF_SF_EERKSF_lbbbEUlllE_EE10hipError_tT0_T1_T2_jT3_P12ihipStream_tbPNSt15iterator_traitsISL_E10value_typeEPNSR_ISM_E10value_typeEPSN_NS1_7vsmem_tEENKUlT_SL_SM_SN_E_clIS8_S8_S9_S9_EESK_S10_SL_SM_SN_EUlS10_E_NS1_11comp_targetILNS1_3genE10ELNS1_11target_archE1201ELNS1_3gpuE5ELNS1_3repE0EEENS1_48merge_mergepath_partition_config_static_selectorELNS0_4arch9wavefront6targetE0EEEvSM_ ; -- Begin function _ZN7rocprim17ROCPRIM_400000_NS6detail17trampoline_kernelINS0_14default_configENS1_38merge_sort_block_merge_config_selectorIlNS0_10empty_typeEEEZZNS1_27merge_sort_block_merge_implIS3_PlPS5_mZN2at6native12_GLOBAL__N_124unique_dim_cuda_templateItEESt5tupleIJNSA_6TensorESF_SF_EERKSF_lbbbEUlllE_EE10hipError_tT0_T1_T2_jT3_P12ihipStream_tbPNSt15iterator_traitsISL_E10value_typeEPNSR_ISM_E10value_typeEPSN_NS1_7vsmem_tEENKUlT_SL_SM_SN_E_clIS8_S8_S9_S9_EESK_S10_SL_SM_SN_EUlS10_E_NS1_11comp_targetILNS1_3genE10ELNS1_11target_archE1201ELNS1_3gpuE5ELNS1_3repE0EEENS1_48merge_mergepath_partition_config_static_selectorELNS0_4arch9wavefront6targetE0EEEvSM_
	.p2align	8
	.type	_ZN7rocprim17ROCPRIM_400000_NS6detail17trampoline_kernelINS0_14default_configENS1_38merge_sort_block_merge_config_selectorIlNS0_10empty_typeEEEZZNS1_27merge_sort_block_merge_implIS3_PlPS5_mZN2at6native12_GLOBAL__N_124unique_dim_cuda_templateItEESt5tupleIJNSA_6TensorESF_SF_EERKSF_lbbbEUlllE_EE10hipError_tT0_T1_T2_jT3_P12ihipStream_tbPNSt15iterator_traitsISL_E10value_typeEPNSR_ISM_E10value_typeEPSN_NS1_7vsmem_tEENKUlT_SL_SM_SN_E_clIS8_S8_S9_S9_EESK_S10_SL_SM_SN_EUlS10_E_NS1_11comp_targetILNS1_3genE10ELNS1_11target_archE1201ELNS1_3gpuE5ELNS1_3repE0EEENS1_48merge_mergepath_partition_config_static_selectorELNS0_4arch9wavefront6targetE0EEEvSM_,@function
_ZN7rocprim17ROCPRIM_400000_NS6detail17trampoline_kernelINS0_14default_configENS1_38merge_sort_block_merge_config_selectorIlNS0_10empty_typeEEEZZNS1_27merge_sort_block_merge_implIS3_PlPS5_mZN2at6native12_GLOBAL__N_124unique_dim_cuda_templateItEESt5tupleIJNSA_6TensorESF_SF_EERKSF_lbbbEUlllE_EE10hipError_tT0_T1_T2_jT3_P12ihipStream_tbPNSt15iterator_traitsISL_E10value_typeEPNSR_ISM_E10value_typeEPSN_NS1_7vsmem_tEENKUlT_SL_SM_SN_E_clIS8_S8_S9_S9_EESK_S10_SL_SM_SN_EUlS10_E_NS1_11comp_targetILNS1_3genE10ELNS1_11target_archE1201ELNS1_3gpuE5ELNS1_3repE0EEENS1_48merge_mergepath_partition_config_static_selectorELNS0_4arch9wavefront6targetE0EEEvSM_: ; @_ZN7rocprim17ROCPRIM_400000_NS6detail17trampoline_kernelINS0_14default_configENS1_38merge_sort_block_merge_config_selectorIlNS0_10empty_typeEEEZZNS1_27merge_sort_block_merge_implIS3_PlPS5_mZN2at6native12_GLOBAL__N_124unique_dim_cuda_templateItEESt5tupleIJNSA_6TensorESF_SF_EERKSF_lbbbEUlllE_EE10hipError_tT0_T1_T2_jT3_P12ihipStream_tbPNSt15iterator_traitsISL_E10value_typeEPNSR_ISM_E10value_typeEPSN_NS1_7vsmem_tEENKUlT_SL_SM_SN_E_clIS8_S8_S9_S9_EESK_S10_SL_SM_SN_EUlS10_E_NS1_11comp_targetILNS1_3genE10ELNS1_11target_archE1201ELNS1_3gpuE5ELNS1_3repE0EEENS1_48merge_mergepath_partition_config_static_selectorELNS0_4arch9wavefront6targetE0EEEvSM_
; %bb.0:
	.section	.rodata,"a",@progbits
	.p2align	6, 0x0
	.amdhsa_kernel _ZN7rocprim17ROCPRIM_400000_NS6detail17trampoline_kernelINS0_14default_configENS1_38merge_sort_block_merge_config_selectorIlNS0_10empty_typeEEEZZNS1_27merge_sort_block_merge_implIS3_PlPS5_mZN2at6native12_GLOBAL__N_124unique_dim_cuda_templateItEESt5tupleIJNSA_6TensorESF_SF_EERKSF_lbbbEUlllE_EE10hipError_tT0_T1_T2_jT3_P12ihipStream_tbPNSt15iterator_traitsISL_E10value_typeEPNSR_ISM_E10value_typeEPSN_NS1_7vsmem_tEENKUlT_SL_SM_SN_E_clIS8_S8_S9_S9_EESK_S10_SL_SM_SN_EUlS10_E_NS1_11comp_targetILNS1_3genE10ELNS1_11target_archE1201ELNS1_3gpuE5ELNS1_3repE0EEENS1_48merge_mergepath_partition_config_static_selectorELNS0_4arch9wavefront6targetE0EEEvSM_
		.amdhsa_group_segment_fixed_size 0
		.amdhsa_private_segment_fixed_size 0
		.amdhsa_kernarg_size 56
		.amdhsa_user_sgpr_count 15
		.amdhsa_user_sgpr_dispatch_ptr 0
		.amdhsa_user_sgpr_queue_ptr 0
		.amdhsa_user_sgpr_kernarg_segment_ptr 1
		.amdhsa_user_sgpr_dispatch_id 0
		.amdhsa_user_sgpr_private_segment_size 0
		.amdhsa_wavefront_size32 1
		.amdhsa_uses_dynamic_stack 0
		.amdhsa_enable_private_segment 0
		.amdhsa_system_sgpr_workgroup_id_x 1
		.amdhsa_system_sgpr_workgroup_id_y 0
		.amdhsa_system_sgpr_workgroup_id_z 0
		.amdhsa_system_sgpr_workgroup_info 0
		.amdhsa_system_vgpr_workitem_id 0
		.amdhsa_next_free_vgpr 1
		.amdhsa_next_free_sgpr 1
		.amdhsa_reserve_vcc 0
		.amdhsa_float_round_mode_32 0
		.amdhsa_float_round_mode_16_64 0
		.amdhsa_float_denorm_mode_32 3
		.amdhsa_float_denorm_mode_16_64 3
		.amdhsa_dx10_clamp 1
		.amdhsa_ieee_mode 1
		.amdhsa_fp16_overflow 0
		.amdhsa_workgroup_processor_mode 1
		.amdhsa_memory_ordered 1
		.amdhsa_forward_progress 0
		.amdhsa_shared_vgpr_count 0
		.amdhsa_exception_fp_ieee_invalid_op 0
		.amdhsa_exception_fp_denorm_src 0
		.amdhsa_exception_fp_ieee_div_zero 0
		.amdhsa_exception_fp_ieee_overflow 0
		.amdhsa_exception_fp_ieee_underflow 0
		.amdhsa_exception_fp_ieee_inexact 0
		.amdhsa_exception_int_div_zero 0
	.end_amdhsa_kernel
	.section	.text._ZN7rocprim17ROCPRIM_400000_NS6detail17trampoline_kernelINS0_14default_configENS1_38merge_sort_block_merge_config_selectorIlNS0_10empty_typeEEEZZNS1_27merge_sort_block_merge_implIS3_PlPS5_mZN2at6native12_GLOBAL__N_124unique_dim_cuda_templateItEESt5tupleIJNSA_6TensorESF_SF_EERKSF_lbbbEUlllE_EE10hipError_tT0_T1_T2_jT3_P12ihipStream_tbPNSt15iterator_traitsISL_E10value_typeEPNSR_ISM_E10value_typeEPSN_NS1_7vsmem_tEENKUlT_SL_SM_SN_E_clIS8_S8_S9_S9_EESK_S10_SL_SM_SN_EUlS10_E_NS1_11comp_targetILNS1_3genE10ELNS1_11target_archE1201ELNS1_3gpuE5ELNS1_3repE0EEENS1_48merge_mergepath_partition_config_static_selectorELNS0_4arch9wavefront6targetE0EEEvSM_,"axG",@progbits,_ZN7rocprim17ROCPRIM_400000_NS6detail17trampoline_kernelINS0_14default_configENS1_38merge_sort_block_merge_config_selectorIlNS0_10empty_typeEEEZZNS1_27merge_sort_block_merge_implIS3_PlPS5_mZN2at6native12_GLOBAL__N_124unique_dim_cuda_templateItEESt5tupleIJNSA_6TensorESF_SF_EERKSF_lbbbEUlllE_EE10hipError_tT0_T1_T2_jT3_P12ihipStream_tbPNSt15iterator_traitsISL_E10value_typeEPNSR_ISM_E10value_typeEPSN_NS1_7vsmem_tEENKUlT_SL_SM_SN_E_clIS8_S8_S9_S9_EESK_S10_SL_SM_SN_EUlS10_E_NS1_11comp_targetILNS1_3genE10ELNS1_11target_archE1201ELNS1_3gpuE5ELNS1_3repE0EEENS1_48merge_mergepath_partition_config_static_selectorELNS0_4arch9wavefront6targetE0EEEvSM_,comdat
.Lfunc_end1369:
	.size	_ZN7rocprim17ROCPRIM_400000_NS6detail17trampoline_kernelINS0_14default_configENS1_38merge_sort_block_merge_config_selectorIlNS0_10empty_typeEEEZZNS1_27merge_sort_block_merge_implIS3_PlPS5_mZN2at6native12_GLOBAL__N_124unique_dim_cuda_templateItEESt5tupleIJNSA_6TensorESF_SF_EERKSF_lbbbEUlllE_EE10hipError_tT0_T1_T2_jT3_P12ihipStream_tbPNSt15iterator_traitsISL_E10value_typeEPNSR_ISM_E10value_typeEPSN_NS1_7vsmem_tEENKUlT_SL_SM_SN_E_clIS8_S8_S9_S9_EESK_S10_SL_SM_SN_EUlS10_E_NS1_11comp_targetILNS1_3genE10ELNS1_11target_archE1201ELNS1_3gpuE5ELNS1_3repE0EEENS1_48merge_mergepath_partition_config_static_selectorELNS0_4arch9wavefront6targetE0EEEvSM_, .Lfunc_end1369-_ZN7rocprim17ROCPRIM_400000_NS6detail17trampoline_kernelINS0_14default_configENS1_38merge_sort_block_merge_config_selectorIlNS0_10empty_typeEEEZZNS1_27merge_sort_block_merge_implIS3_PlPS5_mZN2at6native12_GLOBAL__N_124unique_dim_cuda_templateItEESt5tupleIJNSA_6TensorESF_SF_EERKSF_lbbbEUlllE_EE10hipError_tT0_T1_T2_jT3_P12ihipStream_tbPNSt15iterator_traitsISL_E10value_typeEPNSR_ISM_E10value_typeEPSN_NS1_7vsmem_tEENKUlT_SL_SM_SN_E_clIS8_S8_S9_S9_EESK_S10_SL_SM_SN_EUlS10_E_NS1_11comp_targetILNS1_3genE10ELNS1_11target_archE1201ELNS1_3gpuE5ELNS1_3repE0EEENS1_48merge_mergepath_partition_config_static_selectorELNS0_4arch9wavefront6targetE0EEEvSM_
                                        ; -- End function
	.section	.AMDGPU.csdata,"",@progbits
; Kernel info:
; codeLenInByte = 0
; NumSgprs: 0
; NumVgprs: 0
; ScratchSize: 0
; MemoryBound: 0
; FloatMode: 240
; IeeeMode: 1
; LDSByteSize: 0 bytes/workgroup (compile time only)
; SGPRBlocks: 0
; VGPRBlocks: 0
; NumSGPRsForWavesPerEU: 1
; NumVGPRsForWavesPerEU: 1
; Occupancy: 16
; WaveLimiterHint : 0
; COMPUTE_PGM_RSRC2:SCRATCH_EN: 0
; COMPUTE_PGM_RSRC2:USER_SGPR: 15
; COMPUTE_PGM_RSRC2:TRAP_HANDLER: 0
; COMPUTE_PGM_RSRC2:TGID_X_EN: 1
; COMPUTE_PGM_RSRC2:TGID_Y_EN: 0
; COMPUTE_PGM_RSRC2:TGID_Z_EN: 0
; COMPUTE_PGM_RSRC2:TIDIG_COMP_CNT: 0
	.section	.text._ZN7rocprim17ROCPRIM_400000_NS6detail17trampoline_kernelINS0_14default_configENS1_38merge_sort_block_merge_config_selectorIlNS0_10empty_typeEEEZZNS1_27merge_sort_block_merge_implIS3_PlPS5_mZN2at6native12_GLOBAL__N_124unique_dim_cuda_templateItEESt5tupleIJNSA_6TensorESF_SF_EERKSF_lbbbEUlllE_EE10hipError_tT0_T1_T2_jT3_P12ihipStream_tbPNSt15iterator_traitsISL_E10value_typeEPNSR_ISM_E10value_typeEPSN_NS1_7vsmem_tEENKUlT_SL_SM_SN_E_clIS8_S8_S9_S9_EESK_S10_SL_SM_SN_EUlS10_E_NS1_11comp_targetILNS1_3genE5ELNS1_11target_archE942ELNS1_3gpuE9ELNS1_3repE0EEENS1_48merge_mergepath_partition_config_static_selectorELNS0_4arch9wavefront6targetE0EEEvSM_,"axG",@progbits,_ZN7rocprim17ROCPRIM_400000_NS6detail17trampoline_kernelINS0_14default_configENS1_38merge_sort_block_merge_config_selectorIlNS0_10empty_typeEEEZZNS1_27merge_sort_block_merge_implIS3_PlPS5_mZN2at6native12_GLOBAL__N_124unique_dim_cuda_templateItEESt5tupleIJNSA_6TensorESF_SF_EERKSF_lbbbEUlllE_EE10hipError_tT0_T1_T2_jT3_P12ihipStream_tbPNSt15iterator_traitsISL_E10value_typeEPNSR_ISM_E10value_typeEPSN_NS1_7vsmem_tEENKUlT_SL_SM_SN_E_clIS8_S8_S9_S9_EESK_S10_SL_SM_SN_EUlS10_E_NS1_11comp_targetILNS1_3genE5ELNS1_11target_archE942ELNS1_3gpuE9ELNS1_3repE0EEENS1_48merge_mergepath_partition_config_static_selectorELNS0_4arch9wavefront6targetE0EEEvSM_,comdat
	.globl	_ZN7rocprim17ROCPRIM_400000_NS6detail17trampoline_kernelINS0_14default_configENS1_38merge_sort_block_merge_config_selectorIlNS0_10empty_typeEEEZZNS1_27merge_sort_block_merge_implIS3_PlPS5_mZN2at6native12_GLOBAL__N_124unique_dim_cuda_templateItEESt5tupleIJNSA_6TensorESF_SF_EERKSF_lbbbEUlllE_EE10hipError_tT0_T1_T2_jT3_P12ihipStream_tbPNSt15iterator_traitsISL_E10value_typeEPNSR_ISM_E10value_typeEPSN_NS1_7vsmem_tEENKUlT_SL_SM_SN_E_clIS8_S8_S9_S9_EESK_S10_SL_SM_SN_EUlS10_E_NS1_11comp_targetILNS1_3genE5ELNS1_11target_archE942ELNS1_3gpuE9ELNS1_3repE0EEENS1_48merge_mergepath_partition_config_static_selectorELNS0_4arch9wavefront6targetE0EEEvSM_ ; -- Begin function _ZN7rocprim17ROCPRIM_400000_NS6detail17trampoline_kernelINS0_14default_configENS1_38merge_sort_block_merge_config_selectorIlNS0_10empty_typeEEEZZNS1_27merge_sort_block_merge_implIS3_PlPS5_mZN2at6native12_GLOBAL__N_124unique_dim_cuda_templateItEESt5tupleIJNSA_6TensorESF_SF_EERKSF_lbbbEUlllE_EE10hipError_tT0_T1_T2_jT3_P12ihipStream_tbPNSt15iterator_traitsISL_E10value_typeEPNSR_ISM_E10value_typeEPSN_NS1_7vsmem_tEENKUlT_SL_SM_SN_E_clIS8_S8_S9_S9_EESK_S10_SL_SM_SN_EUlS10_E_NS1_11comp_targetILNS1_3genE5ELNS1_11target_archE942ELNS1_3gpuE9ELNS1_3repE0EEENS1_48merge_mergepath_partition_config_static_selectorELNS0_4arch9wavefront6targetE0EEEvSM_
	.p2align	8
	.type	_ZN7rocprim17ROCPRIM_400000_NS6detail17trampoline_kernelINS0_14default_configENS1_38merge_sort_block_merge_config_selectorIlNS0_10empty_typeEEEZZNS1_27merge_sort_block_merge_implIS3_PlPS5_mZN2at6native12_GLOBAL__N_124unique_dim_cuda_templateItEESt5tupleIJNSA_6TensorESF_SF_EERKSF_lbbbEUlllE_EE10hipError_tT0_T1_T2_jT3_P12ihipStream_tbPNSt15iterator_traitsISL_E10value_typeEPNSR_ISM_E10value_typeEPSN_NS1_7vsmem_tEENKUlT_SL_SM_SN_E_clIS8_S8_S9_S9_EESK_S10_SL_SM_SN_EUlS10_E_NS1_11comp_targetILNS1_3genE5ELNS1_11target_archE942ELNS1_3gpuE9ELNS1_3repE0EEENS1_48merge_mergepath_partition_config_static_selectorELNS0_4arch9wavefront6targetE0EEEvSM_,@function
_ZN7rocprim17ROCPRIM_400000_NS6detail17trampoline_kernelINS0_14default_configENS1_38merge_sort_block_merge_config_selectorIlNS0_10empty_typeEEEZZNS1_27merge_sort_block_merge_implIS3_PlPS5_mZN2at6native12_GLOBAL__N_124unique_dim_cuda_templateItEESt5tupleIJNSA_6TensorESF_SF_EERKSF_lbbbEUlllE_EE10hipError_tT0_T1_T2_jT3_P12ihipStream_tbPNSt15iterator_traitsISL_E10value_typeEPNSR_ISM_E10value_typeEPSN_NS1_7vsmem_tEENKUlT_SL_SM_SN_E_clIS8_S8_S9_S9_EESK_S10_SL_SM_SN_EUlS10_E_NS1_11comp_targetILNS1_3genE5ELNS1_11target_archE942ELNS1_3gpuE9ELNS1_3repE0EEENS1_48merge_mergepath_partition_config_static_selectorELNS0_4arch9wavefront6targetE0EEEvSM_: ; @_ZN7rocprim17ROCPRIM_400000_NS6detail17trampoline_kernelINS0_14default_configENS1_38merge_sort_block_merge_config_selectorIlNS0_10empty_typeEEEZZNS1_27merge_sort_block_merge_implIS3_PlPS5_mZN2at6native12_GLOBAL__N_124unique_dim_cuda_templateItEESt5tupleIJNSA_6TensorESF_SF_EERKSF_lbbbEUlllE_EE10hipError_tT0_T1_T2_jT3_P12ihipStream_tbPNSt15iterator_traitsISL_E10value_typeEPNSR_ISM_E10value_typeEPSN_NS1_7vsmem_tEENKUlT_SL_SM_SN_E_clIS8_S8_S9_S9_EESK_S10_SL_SM_SN_EUlS10_E_NS1_11comp_targetILNS1_3genE5ELNS1_11target_archE942ELNS1_3gpuE9ELNS1_3repE0EEENS1_48merge_mergepath_partition_config_static_selectorELNS0_4arch9wavefront6targetE0EEEvSM_
; %bb.0:
	.section	.rodata,"a",@progbits
	.p2align	6, 0x0
	.amdhsa_kernel _ZN7rocprim17ROCPRIM_400000_NS6detail17trampoline_kernelINS0_14default_configENS1_38merge_sort_block_merge_config_selectorIlNS0_10empty_typeEEEZZNS1_27merge_sort_block_merge_implIS3_PlPS5_mZN2at6native12_GLOBAL__N_124unique_dim_cuda_templateItEESt5tupleIJNSA_6TensorESF_SF_EERKSF_lbbbEUlllE_EE10hipError_tT0_T1_T2_jT3_P12ihipStream_tbPNSt15iterator_traitsISL_E10value_typeEPNSR_ISM_E10value_typeEPSN_NS1_7vsmem_tEENKUlT_SL_SM_SN_E_clIS8_S8_S9_S9_EESK_S10_SL_SM_SN_EUlS10_E_NS1_11comp_targetILNS1_3genE5ELNS1_11target_archE942ELNS1_3gpuE9ELNS1_3repE0EEENS1_48merge_mergepath_partition_config_static_selectorELNS0_4arch9wavefront6targetE0EEEvSM_
		.amdhsa_group_segment_fixed_size 0
		.amdhsa_private_segment_fixed_size 0
		.amdhsa_kernarg_size 56
		.amdhsa_user_sgpr_count 15
		.amdhsa_user_sgpr_dispatch_ptr 0
		.amdhsa_user_sgpr_queue_ptr 0
		.amdhsa_user_sgpr_kernarg_segment_ptr 1
		.amdhsa_user_sgpr_dispatch_id 0
		.amdhsa_user_sgpr_private_segment_size 0
		.amdhsa_wavefront_size32 1
		.amdhsa_uses_dynamic_stack 0
		.amdhsa_enable_private_segment 0
		.amdhsa_system_sgpr_workgroup_id_x 1
		.amdhsa_system_sgpr_workgroup_id_y 0
		.amdhsa_system_sgpr_workgroup_id_z 0
		.amdhsa_system_sgpr_workgroup_info 0
		.amdhsa_system_vgpr_workitem_id 0
		.amdhsa_next_free_vgpr 1
		.amdhsa_next_free_sgpr 1
		.amdhsa_reserve_vcc 0
		.amdhsa_float_round_mode_32 0
		.amdhsa_float_round_mode_16_64 0
		.amdhsa_float_denorm_mode_32 3
		.amdhsa_float_denorm_mode_16_64 3
		.amdhsa_dx10_clamp 1
		.amdhsa_ieee_mode 1
		.amdhsa_fp16_overflow 0
		.amdhsa_workgroup_processor_mode 1
		.amdhsa_memory_ordered 1
		.amdhsa_forward_progress 0
		.amdhsa_shared_vgpr_count 0
		.amdhsa_exception_fp_ieee_invalid_op 0
		.amdhsa_exception_fp_denorm_src 0
		.amdhsa_exception_fp_ieee_div_zero 0
		.amdhsa_exception_fp_ieee_overflow 0
		.amdhsa_exception_fp_ieee_underflow 0
		.amdhsa_exception_fp_ieee_inexact 0
		.amdhsa_exception_int_div_zero 0
	.end_amdhsa_kernel
	.section	.text._ZN7rocprim17ROCPRIM_400000_NS6detail17trampoline_kernelINS0_14default_configENS1_38merge_sort_block_merge_config_selectorIlNS0_10empty_typeEEEZZNS1_27merge_sort_block_merge_implIS3_PlPS5_mZN2at6native12_GLOBAL__N_124unique_dim_cuda_templateItEESt5tupleIJNSA_6TensorESF_SF_EERKSF_lbbbEUlllE_EE10hipError_tT0_T1_T2_jT3_P12ihipStream_tbPNSt15iterator_traitsISL_E10value_typeEPNSR_ISM_E10value_typeEPSN_NS1_7vsmem_tEENKUlT_SL_SM_SN_E_clIS8_S8_S9_S9_EESK_S10_SL_SM_SN_EUlS10_E_NS1_11comp_targetILNS1_3genE5ELNS1_11target_archE942ELNS1_3gpuE9ELNS1_3repE0EEENS1_48merge_mergepath_partition_config_static_selectorELNS0_4arch9wavefront6targetE0EEEvSM_,"axG",@progbits,_ZN7rocprim17ROCPRIM_400000_NS6detail17trampoline_kernelINS0_14default_configENS1_38merge_sort_block_merge_config_selectorIlNS0_10empty_typeEEEZZNS1_27merge_sort_block_merge_implIS3_PlPS5_mZN2at6native12_GLOBAL__N_124unique_dim_cuda_templateItEESt5tupleIJNSA_6TensorESF_SF_EERKSF_lbbbEUlllE_EE10hipError_tT0_T1_T2_jT3_P12ihipStream_tbPNSt15iterator_traitsISL_E10value_typeEPNSR_ISM_E10value_typeEPSN_NS1_7vsmem_tEENKUlT_SL_SM_SN_E_clIS8_S8_S9_S9_EESK_S10_SL_SM_SN_EUlS10_E_NS1_11comp_targetILNS1_3genE5ELNS1_11target_archE942ELNS1_3gpuE9ELNS1_3repE0EEENS1_48merge_mergepath_partition_config_static_selectorELNS0_4arch9wavefront6targetE0EEEvSM_,comdat
.Lfunc_end1370:
	.size	_ZN7rocprim17ROCPRIM_400000_NS6detail17trampoline_kernelINS0_14default_configENS1_38merge_sort_block_merge_config_selectorIlNS0_10empty_typeEEEZZNS1_27merge_sort_block_merge_implIS3_PlPS5_mZN2at6native12_GLOBAL__N_124unique_dim_cuda_templateItEESt5tupleIJNSA_6TensorESF_SF_EERKSF_lbbbEUlllE_EE10hipError_tT0_T1_T2_jT3_P12ihipStream_tbPNSt15iterator_traitsISL_E10value_typeEPNSR_ISM_E10value_typeEPSN_NS1_7vsmem_tEENKUlT_SL_SM_SN_E_clIS8_S8_S9_S9_EESK_S10_SL_SM_SN_EUlS10_E_NS1_11comp_targetILNS1_3genE5ELNS1_11target_archE942ELNS1_3gpuE9ELNS1_3repE0EEENS1_48merge_mergepath_partition_config_static_selectorELNS0_4arch9wavefront6targetE0EEEvSM_, .Lfunc_end1370-_ZN7rocprim17ROCPRIM_400000_NS6detail17trampoline_kernelINS0_14default_configENS1_38merge_sort_block_merge_config_selectorIlNS0_10empty_typeEEEZZNS1_27merge_sort_block_merge_implIS3_PlPS5_mZN2at6native12_GLOBAL__N_124unique_dim_cuda_templateItEESt5tupleIJNSA_6TensorESF_SF_EERKSF_lbbbEUlllE_EE10hipError_tT0_T1_T2_jT3_P12ihipStream_tbPNSt15iterator_traitsISL_E10value_typeEPNSR_ISM_E10value_typeEPSN_NS1_7vsmem_tEENKUlT_SL_SM_SN_E_clIS8_S8_S9_S9_EESK_S10_SL_SM_SN_EUlS10_E_NS1_11comp_targetILNS1_3genE5ELNS1_11target_archE942ELNS1_3gpuE9ELNS1_3repE0EEENS1_48merge_mergepath_partition_config_static_selectorELNS0_4arch9wavefront6targetE0EEEvSM_
                                        ; -- End function
	.section	.AMDGPU.csdata,"",@progbits
; Kernel info:
; codeLenInByte = 0
; NumSgprs: 0
; NumVgprs: 0
; ScratchSize: 0
; MemoryBound: 0
; FloatMode: 240
; IeeeMode: 1
; LDSByteSize: 0 bytes/workgroup (compile time only)
; SGPRBlocks: 0
; VGPRBlocks: 0
; NumSGPRsForWavesPerEU: 1
; NumVGPRsForWavesPerEU: 1
; Occupancy: 16
; WaveLimiterHint : 0
; COMPUTE_PGM_RSRC2:SCRATCH_EN: 0
; COMPUTE_PGM_RSRC2:USER_SGPR: 15
; COMPUTE_PGM_RSRC2:TRAP_HANDLER: 0
; COMPUTE_PGM_RSRC2:TGID_X_EN: 1
; COMPUTE_PGM_RSRC2:TGID_Y_EN: 0
; COMPUTE_PGM_RSRC2:TGID_Z_EN: 0
; COMPUTE_PGM_RSRC2:TIDIG_COMP_CNT: 0
	.section	.text._ZN7rocprim17ROCPRIM_400000_NS6detail17trampoline_kernelINS0_14default_configENS1_38merge_sort_block_merge_config_selectorIlNS0_10empty_typeEEEZZNS1_27merge_sort_block_merge_implIS3_PlPS5_mZN2at6native12_GLOBAL__N_124unique_dim_cuda_templateItEESt5tupleIJNSA_6TensorESF_SF_EERKSF_lbbbEUlllE_EE10hipError_tT0_T1_T2_jT3_P12ihipStream_tbPNSt15iterator_traitsISL_E10value_typeEPNSR_ISM_E10value_typeEPSN_NS1_7vsmem_tEENKUlT_SL_SM_SN_E_clIS8_S8_S9_S9_EESK_S10_SL_SM_SN_EUlS10_E_NS1_11comp_targetILNS1_3genE4ELNS1_11target_archE910ELNS1_3gpuE8ELNS1_3repE0EEENS1_48merge_mergepath_partition_config_static_selectorELNS0_4arch9wavefront6targetE0EEEvSM_,"axG",@progbits,_ZN7rocprim17ROCPRIM_400000_NS6detail17trampoline_kernelINS0_14default_configENS1_38merge_sort_block_merge_config_selectorIlNS0_10empty_typeEEEZZNS1_27merge_sort_block_merge_implIS3_PlPS5_mZN2at6native12_GLOBAL__N_124unique_dim_cuda_templateItEESt5tupleIJNSA_6TensorESF_SF_EERKSF_lbbbEUlllE_EE10hipError_tT0_T1_T2_jT3_P12ihipStream_tbPNSt15iterator_traitsISL_E10value_typeEPNSR_ISM_E10value_typeEPSN_NS1_7vsmem_tEENKUlT_SL_SM_SN_E_clIS8_S8_S9_S9_EESK_S10_SL_SM_SN_EUlS10_E_NS1_11comp_targetILNS1_3genE4ELNS1_11target_archE910ELNS1_3gpuE8ELNS1_3repE0EEENS1_48merge_mergepath_partition_config_static_selectorELNS0_4arch9wavefront6targetE0EEEvSM_,comdat
	.globl	_ZN7rocprim17ROCPRIM_400000_NS6detail17trampoline_kernelINS0_14default_configENS1_38merge_sort_block_merge_config_selectorIlNS0_10empty_typeEEEZZNS1_27merge_sort_block_merge_implIS3_PlPS5_mZN2at6native12_GLOBAL__N_124unique_dim_cuda_templateItEESt5tupleIJNSA_6TensorESF_SF_EERKSF_lbbbEUlllE_EE10hipError_tT0_T1_T2_jT3_P12ihipStream_tbPNSt15iterator_traitsISL_E10value_typeEPNSR_ISM_E10value_typeEPSN_NS1_7vsmem_tEENKUlT_SL_SM_SN_E_clIS8_S8_S9_S9_EESK_S10_SL_SM_SN_EUlS10_E_NS1_11comp_targetILNS1_3genE4ELNS1_11target_archE910ELNS1_3gpuE8ELNS1_3repE0EEENS1_48merge_mergepath_partition_config_static_selectorELNS0_4arch9wavefront6targetE0EEEvSM_ ; -- Begin function _ZN7rocprim17ROCPRIM_400000_NS6detail17trampoline_kernelINS0_14default_configENS1_38merge_sort_block_merge_config_selectorIlNS0_10empty_typeEEEZZNS1_27merge_sort_block_merge_implIS3_PlPS5_mZN2at6native12_GLOBAL__N_124unique_dim_cuda_templateItEESt5tupleIJNSA_6TensorESF_SF_EERKSF_lbbbEUlllE_EE10hipError_tT0_T1_T2_jT3_P12ihipStream_tbPNSt15iterator_traitsISL_E10value_typeEPNSR_ISM_E10value_typeEPSN_NS1_7vsmem_tEENKUlT_SL_SM_SN_E_clIS8_S8_S9_S9_EESK_S10_SL_SM_SN_EUlS10_E_NS1_11comp_targetILNS1_3genE4ELNS1_11target_archE910ELNS1_3gpuE8ELNS1_3repE0EEENS1_48merge_mergepath_partition_config_static_selectorELNS0_4arch9wavefront6targetE0EEEvSM_
	.p2align	8
	.type	_ZN7rocprim17ROCPRIM_400000_NS6detail17trampoline_kernelINS0_14default_configENS1_38merge_sort_block_merge_config_selectorIlNS0_10empty_typeEEEZZNS1_27merge_sort_block_merge_implIS3_PlPS5_mZN2at6native12_GLOBAL__N_124unique_dim_cuda_templateItEESt5tupleIJNSA_6TensorESF_SF_EERKSF_lbbbEUlllE_EE10hipError_tT0_T1_T2_jT3_P12ihipStream_tbPNSt15iterator_traitsISL_E10value_typeEPNSR_ISM_E10value_typeEPSN_NS1_7vsmem_tEENKUlT_SL_SM_SN_E_clIS8_S8_S9_S9_EESK_S10_SL_SM_SN_EUlS10_E_NS1_11comp_targetILNS1_3genE4ELNS1_11target_archE910ELNS1_3gpuE8ELNS1_3repE0EEENS1_48merge_mergepath_partition_config_static_selectorELNS0_4arch9wavefront6targetE0EEEvSM_,@function
_ZN7rocprim17ROCPRIM_400000_NS6detail17trampoline_kernelINS0_14default_configENS1_38merge_sort_block_merge_config_selectorIlNS0_10empty_typeEEEZZNS1_27merge_sort_block_merge_implIS3_PlPS5_mZN2at6native12_GLOBAL__N_124unique_dim_cuda_templateItEESt5tupleIJNSA_6TensorESF_SF_EERKSF_lbbbEUlllE_EE10hipError_tT0_T1_T2_jT3_P12ihipStream_tbPNSt15iterator_traitsISL_E10value_typeEPNSR_ISM_E10value_typeEPSN_NS1_7vsmem_tEENKUlT_SL_SM_SN_E_clIS8_S8_S9_S9_EESK_S10_SL_SM_SN_EUlS10_E_NS1_11comp_targetILNS1_3genE4ELNS1_11target_archE910ELNS1_3gpuE8ELNS1_3repE0EEENS1_48merge_mergepath_partition_config_static_selectorELNS0_4arch9wavefront6targetE0EEEvSM_: ; @_ZN7rocprim17ROCPRIM_400000_NS6detail17trampoline_kernelINS0_14default_configENS1_38merge_sort_block_merge_config_selectorIlNS0_10empty_typeEEEZZNS1_27merge_sort_block_merge_implIS3_PlPS5_mZN2at6native12_GLOBAL__N_124unique_dim_cuda_templateItEESt5tupleIJNSA_6TensorESF_SF_EERKSF_lbbbEUlllE_EE10hipError_tT0_T1_T2_jT3_P12ihipStream_tbPNSt15iterator_traitsISL_E10value_typeEPNSR_ISM_E10value_typeEPSN_NS1_7vsmem_tEENKUlT_SL_SM_SN_E_clIS8_S8_S9_S9_EESK_S10_SL_SM_SN_EUlS10_E_NS1_11comp_targetILNS1_3genE4ELNS1_11target_archE910ELNS1_3gpuE8ELNS1_3repE0EEENS1_48merge_mergepath_partition_config_static_selectorELNS0_4arch9wavefront6targetE0EEEvSM_
; %bb.0:
	.section	.rodata,"a",@progbits
	.p2align	6, 0x0
	.amdhsa_kernel _ZN7rocprim17ROCPRIM_400000_NS6detail17trampoline_kernelINS0_14default_configENS1_38merge_sort_block_merge_config_selectorIlNS0_10empty_typeEEEZZNS1_27merge_sort_block_merge_implIS3_PlPS5_mZN2at6native12_GLOBAL__N_124unique_dim_cuda_templateItEESt5tupleIJNSA_6TensorESF_SF_EERKSF_lbbbEUlllE_EE10hipError_tT0_T1_T2_jT3_P12ihipStream_tbPNSt15iterator_traitsISL_E10value_typeEPNSR_ISM_E10value_typeEPSN_NS1_7vsmem_tEENKUlT_SL_SM_SN_E_clIS8_S8_S9_S9_EESK_S10_SL_SM_SN_EUlS10_E_NS1_11comp_targetILNS1_3genE4ELNS1_11target_archE910ELNS1_3gpuE8ELNS1_3repE0EEENS1_48merge_mergepath_partition_config_static_selectorELNS0_4arch9wavefront6targetE0EEEvSM_
		.amdhsa_group_segment_fixed_size 0
		.amdhsa_private_segment_fixed_size 0
		.amdhsa_kernarg_size 56
		.amdhsa_user_sgpr_count 15
		.amdhsa_user_sgpr_dispatch_ptr 0
		.amdhsa_user_sgpr_queue_ptr 0
		.amdhsa_user_sgpr_kernarg_segment_ptr 1
		.amdhsa_user_sgpr_dispatch_id 0
		.amdhsa_user_sgpr_private_segment_size 0
		.amdhsa_wavefront_size32 1
		.amdhsa_uses_dynamic_stack 0
		.amdhsa_enable_private_segment 0
		.amdhsa_system_sgpr_workgroup_id_x 1
		.amdhsa_system_sgpr_workgroup_id_y 0
		.amdhsa_system_sgpr_workgroup_id_z 0
		.amdhsa_system_sgpr_workgroup_info 0
		.amdhsa_system_vgpr_workitem_id 0
		.amdhsa_next_free_vgpr 1
		.amdhsa_next_free_sgpr 1
		.amdhsa_reserve_vcc 0
		.amdhsa_float_round_mode_32 0
		.amdhsa_float_round_mode_16_64 0
		.amdhsa_float_denorm_mode_32 3
		.amdhsa_float_denorm_mode_16_64 3
		.amdhsa_dx10_clamp 1
		.amdhsa_ieee_mode 1
		.amdhsa_fp16_overflow 0
		.amdhsa_workgroup_processor_mode 1
		.amdhsa_memory_ordered 1
		.amdhsa_forward_progress 0
		.amdhsa_shared_vgpr_count 0
		.amdhsa_exception_fp_ieee_invalid_op 0
		.amdhsa_exception_fp_denorm_src 0
		.amdhsa_exception_fp_ieee_div_zero 0
		.amdhsa_exception_fp_ieee_overflow 0
		.amdhsa_exception_fp_ieee_underflow 0
		.amdhsa_exception_fp_ieee_inexact 0
		.amdhsa_exception_int_div_zero 0
	.end_amdhsa_kernel
	.section	.text._ZN7rocprim17ROCPRIM_400000_NS6detail17trampoline_kernelINS0_14default_configENS1_38merge_sort_block_merge_config_selectorIlNS0_10empty_typeEEEZZNS1_27merge_sort_block_merge_implIS3_PlPS5_mZN2at6native12_GLOBAL__N_124unique_dim_cuda_templateItEESt5tupleIJNSA_6TensorESF_SF_EERKSF_lbbbEUlllE_EE10hipError_tT0_T1_T2_jT3_P12ihipStream_tbPNSt15iterator_traitsISL_E10value_typeEPNSR_ISM_E10value_typeEPSN_NS1_7vsmem_tEENKUlT_SL_SM_SN_E_clIS8_S8_S9_S9_EESK_S10_SL_SM_SN_EUlS10_E_NS1_11comp_targetILNS1_3genE4ELNS1_11target_archE910ELNS1_3gpuE8ELNS1_3repE0EEENS1_48merge_mergepath_partition_config_static_selectorELNS0_4arch9wavefront6targetE0EEEvSM_,"axG",@progbits,_ZN7rocprim17ROCPRIM_400000_NS6detail17trampoline_kernelINS0_14default_configENS1_38merge_sort_block_merge_config_selectorIlNS0_10empty_typeEEEZZNS1_27merge_sort_block_merge_implIS3_PlPS5_mZN2at6native12_GLOBAL__N_124unique_dim_cuda_templateItEESt5tupleIJNSA_6TensorESF_SF_EERKSF_lbbbEUlllE_EE10hipError_tT0_T1_T2_jT3_P12ihipStream_tbPNSt15iterator_traitsISL_E10value_typeEPNSR_ISM_E10value_typeEPSN_NS1_7vsmem_tEENKUlT_SL_SM_SN_E_clIS8_S8_S9_S9_EESK_S10_SL_SM_SN_EUlS10_E_NS1_11comp_targetILNS1_3genE4ELNS1_11target_archE910ELNS1_3gpuE8ELNS1_3repE0EEENS1_48merge_mergepath_partition_config_static_selectorELNS0_4arch9wavefront6targetE0EEEvSM_,comdat
.Lfunc_end1371:
	.size	_ZN7rocprim17ROCPRIM_400000_NS6detail17trampoline_kernelINS0_14default_configENS1_38merge_sort_block_merge_config_selectorIlNS0_10empty_typeEEEZZNS1_27merge_sort_block_merge_implIS3_PlPS5_mZN2at6native12_GLOBAL__N_124unique_dim_cuda_templateItEESt5tupleIJNSA_6TensorESF_SF_EERKSF_lbbbEUlllE_EE10hipError_tT0_T1_T2_jT3_P12ihipStream_tbPNSt15iterator_traitsISL_E10value_typeEPNSR_ISM_E10value_typeEPSN_NS1_7vsmem_tEENKUlT_SL_SM_SN_E_clIS8_S8_S9_S9_EESK_S10_SL_SM_SN_EUlS10_E_NS1_11comp_targetILNS1_3genE4ELNS1_11target_archE910ELNS1_3gpuE8ELNS1_3repE0EEENS1_48merge_mergepath_partition_config_static_selectorELNS0_4arch9wavefront6targetE0EEEvSM_, .Lfunc_end1371-_ZN7rocprim17ROCPRIM_400000_NS6detail17trampoline_kernelINS0_14default_configENS1_38merge_sort_block_merge_config_selectorIlNS0_10empty_typeEEEZZNS1_27merge_sort_block_merge_implIS3_PlPS5_mZN2at6native12_GLOBAL__N_124unique_dim_cuda_templateItEESt5tupleIJNSA_6TensorESF_SF_EERKSF_lbbbEUlllE_EE10hipError_tT0_T1_T2_jT3_P12ihipStream_tbPNSt15iterator_traitsISL_E10value_typeEPNSR_ISM_E10value_typeEPSN_NS1_7vsmem_tEENKUlT_SL_SM_SN_E_clIS8_S8_S9_S9_EESK_S10_SL_SM_SN_EUlS10_E_NS1_11comp_targetILNS1_3genE4ELNS1_11target_archE910ELNS1_3gpuE8ELNS1_3repE0EEENS1_48merge_mergepath_partition_config_static_selectorELNS0_4arch9wavefront6targetE0EEEvSM_
                                        ; -- End function
	.section	.AMDGPU.csdata,"",@progbits
; Kernel info:
; codeLenInByte = 0
; NumSgprs: 0
; NumVgprs: 0
; ScratchSize: 0
; MemoryBound: 0
; FloatMode: 240
; IeeeMode: 1
; LDSByteSize: 0 bytes/workgroup (compile time only)
; SGPRBlocks: 0
; VGPRBlocks: 0
; NumSGPRsForWavesPerEU: 1
; NumVGPRsForWavesPerEU: 1
; Occupancy: 16
; WaveLimiterHint : 0
; COMPUTE_PGM_RSRC2:SCRATCH_EN: 0
; COMPUTE_PGM_RSRC2:USER_SGPR: 15
; COMPUTE_PGM_RSRC2:TRAP_HANDLER: 0
; COMPUTE_PGM_RSRC2:TGID_X_EN: 1
; COMPUTE_PGM_RSRC2:TGID_Y_EN: 0
; COMPUTE_PGM_RSRC2:TGID_Z_EN: 0
; COMPUTE_PGM_RSRC2:TIDIG_COMP_CNT: 0
	.section	.text._ZN7rocprim17ROCPRIM_400000_NS6detail17trampoline_kernelINS0_14default_configENS1_38merge_sort_block_merge_config_selectorIlNS0_10empty_typeEEEZZNS1_27merge_sort_block_merge_implIS3_PlPS5_mZN2at6native12_GLOBAL__N_124unique_dim_cuda_templateItEESt5tupleIJNSA_6TensorESF_SF_EERKSF_lbbbEUlllE_EE10hipError_tT0_T1_T2_jT3_P12ihipStream_tbPNSt15iterator_traitsISL_E10value_typeEPNSR_ISM_E10value_typeEPSN_NS1_7vsmem_tEENKUlT_SL_SM_SN_E_clIS8_S8_S9_S9_EESK_S10_SL_SM_SN_EUlS10_E_NS1_11comp_targetILNS1_3genE3ELNS1_11target_archE908ELNS1_3gpuE7ELNS1_3repE0EEENS1_48merge_mergepath_partition_config_static_selectorELNS0_4arch9wavefront6targetE0EEEvSM_,"axG",@progbits,_ZN7rocprim17ROCPRIM_400000_NS6detail17trampoline_kernelINS0_14default_configENS1_38merge_sort_block_merge_config_selectorIlNS0_10empty_typeEEEZZNS1_27merge_sort_block_merge_implIS3_PlPS5_mZN2at6native12_GLOBAL__N_124unique_dim_cuda_templateItEESt5tupleIJNSA_6TensorESF_SF_EERKSF_lbbbEUlllE_EE10hipError_tT0_T1_T2_jT3_P12ihipStream_tbPNSt15iterator_traitsISL_E10value_typeEPNSR_ISM_E10value_typeEPSN_NS1_7vsmem_tEENKUlT_SL_SM_SN_E_clIS8_S8_S9_S9_EESK_S10_SL_SM_SN_EUlS10_E_NS1_11comp_targetILNS1_3genE3ELNS1_11target_archE908ELNS1_3gpuE7ELNS1_3repE0EEENS1_48merge_mergepath_partition_config_static_selectorELNS0_4arch9wavefront6targetE0EEEvSM_,comdat
	.globl	_ZN7rocprim17ROCPRIM_400000_NS6detail17trampoline_kernelINS0_14default_configENS1_38merge_sort_block_merge_config_selectorIlNS0_10empty_typeEEEZZNS1_27merge_sort_block_merge_implIS3_PlPS5_mZN2at6native12_GLOBAL__N_124unique_dim_cuda_templateItEESt5tupleIJNSA_6TensorESF_SF_EERKSF_lbbbEUlllE_EE10hipError_tT0_T1_T2_jT3_P12ihipStream_tbPNSt15iterator_traitsISL_E10value_typeEPNSR_ISM_E10value_typeEPSN_NS1_7vsmem_tEENKUlT_SL_SM_SN_E_clIS8_S8_S9_S9_EESK_S10_SL_SM_SN_EUlS10_E_NS1_11comp_targetILNS1_3genE3ELNS1_11target_archE908ELNS1_3gpuE7ELNS1_3repE0EEENS1_48merge_mergepath_partition_config_static_selectorELNS0_4arch9wavefront6targetE0EEEvSM_ ; -- Begin function _ZN7rocprim17ROCPRIM_400000_NS6detail17trampoline_kernelINS0_14default_configENS1_38merge_sort_block_merge_config_selectorIlNS0_10empty_typeEEEZZNS1_27merge_sort_block_merge_implIS3_PlPS5_mZN2at6native12_GLOBAL__N_124unique_dim_cuda_templateItEESt5tupleIJNSA_6TensorESF_SF_EERKSF_lbbbEUlllE_EE10hipError_tT0_T1_T2_jT3_P12ihipStream_tbPNSt15iterator_traitsISL_E10value_typeEPNSR_ISM_E10value_typeEPSN_NS1_7vsmem_tEENKUlT_SL_SM_SN_E_clIS8_S8_S9_S9_EESK_S10_SL_SM_SN_EUlS10_E_NS1_11comp_targetILNS1_3genE3ELNS1_11target_archE908ELNS1_3gpuE7ELNS1_3repE0EEENS1_48merge_mergepath_partition_config_static_selectorELNS0_4arch9wavefront6targetE0EEEvSM_
	.p2align	8
	.type	_ZN7rocprim17ROCPRIM_400000_NS6detail17trampoline_kernelINS0_14default_configENS1_38merge_sort_block_merge_config_selectorIlNS0_10empty_typeEEEZZNS1_27merge_sort_block_merge_implIS3_PlPS5_mZN2at6native12_GLOBAL__N_124unique_dim_cuda_templateItEESt5tupleIJNSA_6TensorESF_SF_EERKSF_lbbbEUlllE_EE10hipError_tT0_T1_T2_jT3_P12ihipStream_tbPNSt15iterator_traitsISL_E10value_typeEPNSR_ISM_E10value_typeEPSN_NS1_7vsmem_tEENKUlT_SL_SM_SN_E_clIS8_S8_S9_S9_EESK_S10_SL_SM_SN_EUlS10_E_NS1_11comp_targetILNS1_3genE3ELNS1_11target_archE908ELNS1_3gpuE7ELNS1_3repE0EEENS1_48merge_mergepath_partition_config_static_selectorELNS0_4arch9wavefront6targetE0EEEvSM_,@function
_ZN7rocprim17ROCPRIM_400000_NS6detail17trampoline_kernelINS0_14default_configENS1_38merge_sort_block_merge_config_selectorIlNS0_10empty_typeEEEZZNS1_27merge_sort_block_merge_implIS3_PlPS5_mZN2at6native12_GLOBAL__N_124unique_dim_cuda_templateItEESt5tupleIJNSA_6TensorESF_SF_EERKSF_lbbbEUlllE_EE10hipError_tT0_T1_T2_jT3_P12ihipStream_tbPNSt15iterator_traitsISL_E10value_typeEPNSR_ISM_E10value_typeEPSN_NS1_7vsmem_tEENKUlT_SL_SM_SN_E_clIS8_S8_S9_S9_EESK_S10_SL_SM_SN_EUlS10_E_NS1_11comp_targetILNS1_3genE3ELNS1_11target_archE908ELNS1_3gpuE7ELNS1_3repE0EEENS1_48merge_mergepath_partition_config_static_selectorELNS0_4arch9wavefront6targetE0EEEvSM_: ; @_ZN7rocprim17ROCPRIM_400000_NS6detail17trampoline_kernelINS0_14default_configENS1_38merge_sort_block_merge_config_selectorIlNS0_10empty_typeEEEZZNS1_27merge_sort_block_merge_implIS3_PlPS5_mZN2at6native12_GLOBAL__N_124unique_dim_cuda_templateItEESt5tupleIJNSA_6TensorESF_SF_EERKSF_lbbbEUlllE_EE10hipError_tT0_T1_T2_jT3_P12ihipStream_tbPNSt15iterator_traitsISL_E10value_typeEPNSR_ISM_E10value_typeEPSN_NS1_7vsmem_tEENKUlT_SL_SM_SN_E_clIS8_S8_S9_S9_EESK_S10_SL_SM_SN_EUlS10_E_NS1_11comp_targetILNS1_3genE3ELNS1_11target_archE908ELNS1_3gpuE7ELNS1_3repE0EEENS1_48merge_mergepath_partition_config_static_selectorELNS0_4arch9wavefront6targetE0EEEvSM_
; %bb.0:
	.section	.rodata,"a",@progbits
	.p2align	6, 0x0
	.amdhsa_kernel _ZN7rocprim17ROCPRIM_400000_NS6detail17trampoline_kernelINS0_14default_configENS1_38merge_sort_block_merge_config_selectorIlNS0_10empty_typeEEEZZNS1_27merge_sort_block_merge_implIS3_PlPS5_mZN2at6native12_GLOBAL__N_124unique_dim_cuda_templateItEESt5tupleIJNSA_6TensorESF_SF_EERKSF_lbbbEUlllE_EE10hipError_tT0_T1_T2_jT3_P12ihipStream_tbPNSt15iterator_traitsISL_E10value_typeEPNSR_ISM_E10value_typeEPSN_NS1_7vsmem_tEENKUlT_SL_SM_SN_E_clIS8_S8_S9_S9_EESK_S10_SL_SM_SN_EUlS10_E_NS1_11comp_targetILNS1_3genE3ELNS1_11target_archE908ELNS1_3gpuE7ELNS1_3repE0EEENS1_48merge_mergepath_partition_config_static_selectorELNS0_4arch9wavefront6targetE0EEEvSM_
		.amdhsa_group_segment_fixed_size 0
		.amdhsa_private_segment_fixed_size 0
		.amdhsa_kernarg_size 56
		.amdhsa_user_sgpr_count 15
		.amdhsa_user_sgpr_dispatch_ptr 0
		.amdhsa_user_sgpr_queue_ptr 0
		.amdhsa_user_sgpr_kernarg_segment_ptr 1
		.amdhsa_user_sgpr_dispatch_id 0
		.amdhsa_user_sgpr_private_segment_size 0
		.amdhsa_wavefront_size32 1
		.amdhsa_uses_dynamic_stack 0
		.amdhsa_enable_private_segment 0
		.amdhsa_system_sgpr_workgroup_id_x 1
		.amdhsa_system_sgpr_workgroup_id_y 0
		.amdhsa_system_sgpr_workgroup_id_z 0
		.amdhsa_system_sgpr_workgroup_info 0
		.amdhsa_system_vgpr_workitem_id 0
		.amdhsa_next_free_vgpr 1
		.amdhsa_next_free_sgpr 1
		.amdhsa_reserve_vcc 0
		.amdhsa_float_round_mode_32 0
		.amdhsa_float_round_mode_16_64 0
		.amdhsa_float_denorm_mode_32 3
		.amdhsa_float_denorm_mode_16_64 3
		.amdhsa_dx10_clamp 1
		.amdhsa_ieee_mode 1
		.amdhsa_fp16_overflow 0
		.amdhsa_workgroup_processor_mode 1
		.amdhsa_memory_ordered 1
		.amdhsa_forward_progress 0
		.amdhsa_shared_vgpr_count 0
		.amdhsa_exception_fp_ieee_invalid_op 0
		.amdhsa_exception_fp_denorm_src 0
		.amdhsa_exception_fp_ieee_div_zero 0
		.amdhsa_exception_fp_ieee_overflow 0
		.amdhsa_exception_fp_ieee_underflow 0
		.amdhsa_exception_fp_ieee_inexact 0
		.amdhsa_exception_int_div_zero 0
	.end_amdhsa_kernel
	.section	.text._ZN7rocprim17ROCPRIM_400000_NS6detail17trampoline_kernelINS0_14default_configENS1_38merge_sort_block_merge_config_selectorIlNS0_10empty_typeEEEZZNS1_27merge_sort_block_merge_implIS3_PlPS5_mZN2at6native12_GLOBAL__N_124unique_dim_cuda_templateItEESt5tupleIJNSA_6TensorESF_SF_EERKSF_lbbbEUlllE_EE10hipError_tT0_T1_T2_jT3_P12ihipStream_tbPNSt15iterator_traitsISL_E10value_typeEPNSR_ISM_E10value_typeEPSN_NS1_7vsmem_tEENKUlT_SL_SM_SN_E_clIS8_S8_S9_S9_EESK_S10_SL_SM_SN_EUlS10_E_NS1_11comp_targetILNS1_3genE3ELNS1_11target_archE908ELNS1_3gpuE7ELNS1_3repE0EEENS1_48merge_mergepath_partition_config_static_selectorELNS0_4arch9wavefront6targetE0EEEvSM_,"axG",@progbits,_ZN7rocprim17ROCPRIM_400000_NS6detail17trampoline_kernelINS0_14default_configENS1_38merge_sort_block_merge_config_selectorIlNS0_10empty_typeEEEZZNS1_27merge_sort_block_merge_implIS3_PlPS5_mZN2at6native12_GLOBAL__N_124unique_dim_cuda_templateItEESt5tupleIJNSA_6TensorESF_SF_EERKSF_lbbbEUlllE_EE10hipError_tT0_T1_T2_jT3_P12ihipStream_tbPNSt15iterator_traitsISL_E10value_typeEPNSR_ISM_E10value_typeEPSN_NS1_7vsmem_tEENKUlT_SL_SM_SN_E_clIS8_S8_S9_S9_EESK_S10_SL_SM_SN_EUlS10_E_NS1_11comp_targetILNS1_3genE3ELNS1_11target_archE908ELNS1_3gpuE7ELNS1_3repE0EEENS1_48merge_mergepath_partition_config_static_selectorELNS0_4arch9wavefront6targetE0EEEvSM_,comdat
.Lfunc_end1372:
	.size	_ZN7rocprim17ROCPRIM_400000_NS6detail17trampoline_kernelINS0_14default_configENS1_38merge_sort_block_merge_config_selectorIlNS0_10empty_typeEEEZZNS1_27merge_sort_block_merge_implIS3_PlPS5_mZN2at6native12_GLOBAL__N_124unique_dim_cuda_templateItEESt5tupleIJNSA_6TensorESF_SF_EERKSF_lbbbEUlllE_EE10hipError_tT0_T1_T2_jT3_P12ihipStream_tbPNSt15iterator_traitsISL_E10value_typeEPNSR_ISM_E10value_typeEPSN_NS1_7vsmem_tEENKUlT_SL_SM_SN_E_clIS8_S8_S9_S9_EESK_S10_SL_SM_SN_EUlS10_E_NS1_11comp_targetILNS1_3genE3ELNS1_11target_archE908ELNS1_3gpuE7ELNS1_3repE0EEENS1_48merge_mergepath_partition_config_static_selectorELNS0_4arch9wavefront6targetE0EEEvSM_, .Lfunc_end1372-_ZN7rocprim17ROCPRIM_400000_NS6detail17trampoline_kernelINS0_14default_configENS1_38merge_sort_block_merge_config_selectorIlNS0_10empty_typeEEEZZNS1_27merge_sort_block_merge_implIS3_PlPS5_mZN2at6native12_GLOBAL__N_124unique_dim_cuda_templateItEESt5tupleIJNSA_6TensorESF_SF_EERKSF_lbbbEUlllE_EE10hipError_tT0_T1_T2_jT3_P12ihipStream_tbPNSt15iterator_traitsISL_E10value_typeEPNSR_ISM_E10value_typeEPSN_NS1_7vsmem_tEENKUlT_SL_SM_SN_E_clIS8_S8_S9_S9_EESK_S10_SL_SM_SN_EUlS10_E_NS1_11comp_targetILNS1_3genE3ELNS1_11target_archE908ELNS1_3gpuE7ELNS1_3repE0EEENS1_48merge_mergepath_partition_config_static_selectorELNS0_4arch9wavefront6targetE0EEEvSM_
                                        ; -- End function
	.section	.AMDGPU.csdata,"",@progbits
; Kernel info:
; codeLenInByte = 0
; NumSgprs: 0
; NumVgprs: 0
; ScratchSize: 0
; MemoryBound: 0
; FloatMode: 240
; IeeeMode: 1
; LDSByteSize: 0 bytes/workgroup (compile time only)
; SGPRBlocks: 0
; VGPRBlocks: 0
; NumSGPRsForWavesPerEU: 1
; NumVGPRsForWavesPerEU: 1
; Occupancy: 16
; WaveLimiterHint : 0
; COMPUTE_PGM_RSRC2:SCRATCH_EN: 0
; COMPUTE_PGM_RSRC2:USER_SGPR: 15
; COMPUTE_PGM_RSRC2:TRAP_HANDLER: 0
; COMPUTE_PGM_RSRC2:TGID_X_EN: 1
; COMPUTE_PGM_RSRC2:TGID_Y_EN: 0
; COMPUTE_PGM_RSRC2:TGID_Z_EN: 0
; COMPUTE_PGM_RSRC2:TIDIG_COMP_CNT: 0
	.section	.text._ZN7rocprim17ROCPRIM_400000_NS6detail17trampoline_kernelINS0_14default_configENS1_38merge_sort_block_merge_config_selectorIlNS0_10empty_typeEEEZZNS1_27merge_sort_block_merge_implIS3_PlPS5_mZN2at6native12_GLOBAL__N_124unique_dim_cuda_templateItEESt5tupleIJNSA_6TensorESF_SF_EERKSF_lbbbEUlllE_EE10hipError_tT0_T1_T2_jT3_P12ihipStream_tbPNSt15iterator_traitsISL_E10value_typeEPNSR_ISM_E10value_typeEPSN_NS1_7vsmem_tEENKUlT_SL_SM_SN_E_clIS8_S8_S9_S9_EESK_S10_SL_SM_SN_EUlS10_E_NS1_11comp_targetILNS1_3genE2ELNS1_11target_archE906ELNS1_3gpuE6ELNS1_3repE0EEENS1_48merge_mergepath_partition_config_static_selectorELNS0_4arch9wavefront6targetE0EEEvSM_,"axG",@progbits,_ZN7rocprim17ROCPRIM_400000_NS6detail17trampoline_kernelINS0_14default_configENS1_38merge_sort_block_merge_config_selectorIlNS0_10empty_typeEEEZZNS1_27merge_sort_block_merge_implIS3_PlPS5_mZN2at6native12_GLOBAL__N_124unique_dim_cuda_templateItEESt5tupleIJNSA_6TensorESF_SF_EERKSF_lbbbEUlllE_EE10hipError_tT0_T1_T2_jT3_P12ihipStream_tbPNSt15iterator_traitsISL_E10value_typeEPNSR_ISM_E10value_typeEPSN_NS1_7vsmem_tEENKUlT_SL_SM_SN_E_clIS8_S8_S9_S9_EESK_S10_SL_SM_SN_EUlS10_E_NS1_11comp_targetILNS1_3genE2ELNS1_11target_archE906ELNS1_3gpuE6ELNS1_3repE0EEENS1_48merge_mergepath_partition_config_static_selectorELNS0_4arch9wavefront6targetE0EEEvSM_,comdat
	.globl	_ZN7rocprim17ROCPRIM_400000_NS6detail17trampoline_kernelINS0_14default_configENS1_38merge_sort_block_merge_config_selectorIlNS0_10empty_typeEEEZZNS1_27merge_sort_block_merge_implIS3_PlPS5_mZN2at6native12_GLOBAL__N_124unique_dim_cuda_templateItEESt5tupleIJNSA_6TensorESF_SF_EERKSF_lbbbEUlllE_EE10hipError_tT0_T1_T2_jT3_P12ihipStream_tbPNSt15iterator_traitsISL_E10value_typeEPNSR_ISM_E10value_typeEPSN_NS1_7vsmem_tEENKUlT_SL_SM_SN_E_clIS8_S8_S9_S9_EESK_S10_SL_SM_SN_EUlS10_E_NS1_11comp_targetILNS1_3genE2ELNS1_11target_archE906ELNS1_3gpuE6ELNS1_3repE0EEENS1_48merge_mergepath_partition_config_static_selectorELNS0_4arch9wavefront6targetE0EEEvSM_ ; -- Begin function _ZN7rocprim17ROCPRIM_400000_NS6detail17trampoline_kernelINS0_14default_configENS1_38merge_sort_block_merge_config_selectorIlNS0_10empty_typeEEEZZNS1_27merge_sort_block_merge_implIS3_PlPS5_mZN2at6native12_GLOBAL__N_124unique_dim_cuda_templateItEESt5tupleIJNSA_6TensorESF_SF_EERKSF_lbbbEUlllE_EE10hipError_tT0_T1_T2_jT3_P12ihipStream_tbPNSt15iterator_traitsISL_E10value_typeEPNSR_ISM_E10value_typeEPSN_NS1_7vsmem_tEENKUlT_SL_SM_SN_E_clIS8_S8_S9_S9_EESK_S10_SL_SM_SN_EUlS10_E_NS1_11comp_targetILNS1_3genE2ELNS1_11target_archE906ELNS1_3gpuE6ELNS1_3repE0EEENS1_48merge_mergepath_partition_config_static_selectorELNS0_4arch9wavefront6targetE0EEEvSM_
	.p2align	8
	.type	_ZN7rocprim17ROCPRIM_400000_NS6detail17trampoline_kernelINS0_14default_configENS1_38merge_sort_block_merge_config_selectorIlNS0_10empty_typeEEEZZNS1_27merge_sort_block_merge_implIS3_PlPS5_mZN2at6native12_GLOBAL__N_124unique_dim_cuda_templateItEESt5tupleIJNSA_6TensorESF_SF_EERKSF_lbbbEUlllE_EE10hipError_tT0_T1_T2_jT3_P12ihipStream_tbPNSt15iterator_traitsISL_E10value_typeEPNSR_ISM_E10value_typeEPSN_NS1_7vsmem_tEENKUlT_SL_SM_SN_E_clIS8_S8_S9_S9_EESK_S10_SL_SM_SN_EUlS10_E_NS1_11comp_targetILNS1_3genE2ELNS1_11target_archE906ELNS1_3gpuE6ELNS1_3repE0EEENS1_48merge_mergepath_partition_config_static_selectorELNS0_4arch9wavefront6targetE0EEEvSM_,@function
_ZN7rocprim17ROCPRIM_400000_NS6detail17trampoline_kernelINS0_14default_configENS1_38merge_sort_block_merge_config_selectorIlNS0_10empty_typeEEEZZNS1_27merge_sort_block_merge_implIS3_PlPS5_mZN2at6native12_GLOBAL__N_124unique_dim_cuda_templateItEESt5tupleIJNSA_6TensorESF_SF_EERKSF_lbbbEUlllE_EE10hipError_tT0_T1_T2_jT3_P12ihipStream_tbPNSt15iterator_traitsISL_E10value_typeEPNSR_ISM_E10value_typeEPSN_NS1_7vsmem_tEENKUlT_SL_SM_SN_E_clIS8_S8_S9_S9_EESK_S10_SL_SM_SN_EUlS10_E_NS1_11comp_targetILNS1_3genE2ELNS1_11target_archE906ELNS1_3gpuE6ELNS1_3repE0EEENS1_48merge_mergepath_partition_config_static_selectorELNS0_4arch9wavefront6targetE0EEEvSM_: ; @_ZN7rocprim17ROCPRIM_400000_NS6detail17trampoline_kernelINS0_14default_configENS1_38merge_sort_block_merge_config_selectorIlNS0_10empty_typeEEEZZNS1_27merge_sort_block_merge_implIS3_PlPS5_mZN2at6native12_GLOBAL__N_124unique_dim_cuda_templateItEESt5tupleIJNSA_6TensorESF_SF_EERKSF_lbbbEUlllE_EE10hipError_tT0_T1_T2_jT3_P12ihipStream_tbPNSt15iterator_traitsISL_E10value_typeEPNSR_ISM_E10value_typeEPSN_NS1_7vsmem_tEENKUlT_SL_SM_SN_E_clIS8_S8_S9_S9_EESK_S10_SL_SM_SN_EUlS10_E_NS1_11comp_targetILNS1_3genE2ELNS1_11target_archE906ELNS1_3gpuE6ELNS1_3repE0EEENS1_48merge_mergepath_partition_config_static_selectorELNS0_4arch9wavefront6targetE0EEEvSM_
; %bb.0:
	.section	.rodata,"a",@progbits
	.p2align	6, 0x0
	.amdhsa_kernel _ZN7rocprim17ROCPRIM_400000_NS6detail17trampoline_kernelINS0_14default_configENS1_38merge_sort_block_merge_config_selectorIlNS0_10empty_typeEEEZZNS1_27merge_sort_block_merge_implIS3_PlPS5_mZN2at6native12_GLOBAL__N_124unique_dim_cuda_templateItEESt5tupleIJNSA_6TensorESF_SF_EERKSF_lbbbEUlllE_EE10hipError_tT0_T1_T2_jT3_P12ihipStream_tbPNSt15iterator_traitsISL_E10value_typeEPNSR_ISM_E10value_typeEPSN_NS1_7vsmem_tEENKUlT_SL_SM_SN_E_clIS8_S8_S9_S9_EESK_S10_SL_SM_SN_EUlS10_E_NS1_11comp_targetILNS1_3genE2ELNS1_11target_archE906ELNS1_3gpuE6ELNS1_3repE0EEENS1_48merge_mergepath_partition_config_static_selectorELNS0_4arch9wavefront6targetE0EEEvSM_
		.amdhsa_group_segment_fixed_size 0
		.amdhsa_private_segment_fixed_size 0
		.amdhsa_kernarg_size 56
		.amdhsa_user_sgpr_count 15
		.amdhsa_user_sgpr_dispatch_ptr 0
		.amdhsa_user_sgpr_queue_ptr 0
		.amdhsa_user_sgpr_kernarg_segment_ptr 1
		.amdhsa_user_sgpr_dispatch_id 0
		.amdhsa_user_sgpr_private_segment_size 0
		.amdhsa_wavefront_size32 1
		.amdhsa_uses_dynamic_stack 0
		.amdhsa_enable_private_segment 0
		.amdhsa_system_sgpr_workgroup_id_x 1
		.amdhsa_system_sgpr_workgroup_id_y 0
		.amdhsa_system_sgpr_workgroup_id_z 0
		.amdhsa_system_sgpr_workgroup_info 0
		.amdhsa_system_vgpr_workitem_id 0
		.amdhsa_next_free_vgpr 1
		.amdhsa_next_free_sgpr 1
		.amdhsa_reserve_vcc 0
		.amdhsa_float_round_mode_32 0
		.amdhsa_float_round_mode_16_64 0
		.amdhsa_float_denorm_mode_32 3
		.amdhsa_float_denorm_mode_16_64 3
		.amdhsa_dx10_clamp 1
		.amdhsa_ieee_mode 1
		.amdhsa_fp16_overflow 0
		.amdhsa_workgroup_processor_mode 1
		.amdhsa_memory_ordered 1
		.amdhsa_forward_progress 0
		.amdhsa_shared_vgpr_count 0
		.amdhsa_exception_fp_ieee_invalid_op 0
		.amdhsa_exception_fp_denorm_src 0
		.amdhsa_exception_fp_ieee_div_zero 0
		.amdhsa_exception_fp_ieee_overflow 0
		.amdhsa_exception_fp_ieee_underflow 0
		.amdhsa_exception_fp_ieee_inexact 0
		.amdhsa_exception_int_div_zero 0
	.end_amdhsa_kernel
	.section	.text._ZN7rocprim17ROCPRIM_400000_NS6detail17trampoline_kernelINS0_14default_configENS1_38merge_sort_block_merge_config_selectorIlNS0_10empty_typeEEEZZNS1_27merge_sort_block_merge_implIS3_PlPS5_mZN2at6native12_GLOBAL__N_124unique_dim_cuda_templateItEESt5tupleIJNSA_6TensorESF_SF_EERKSF_lbbbEUlllE_EE10hipError_tT0_T1_T2_jT3_P12ihipStream_tbPNSt15iterator_traitsISL_E10value_typeEPNSR_ISM_E10value_typeEPSN_NS1_7vsmem_tEENKUlT_SL_SM_SN_E_clIS8_S8_S9_S9_EESK_S10_SL_SM_SN_EUlS10_E_NS1_11comp_targetILNS1_3genE2ELNS1_11target_archE906ELNS1_3gpuE6ELNS1_3repE0EEENS1_48merge_mergepath_partition_config_static_selectorELNS0_4arch9wavefront6targetE0EEEvSM_,"axG",@progbits,_ZN7rocprim17ROCPRIM_400000_NS6detail17trampoline_kernelINS0_14default_configENS1_38merge_sort_block_merge_config_selectorIlNS0_10empty_typeEEEZZNS1_27merge_sort_block_merge_implIS3_PlPS5_mZN2at6native12_GLOBAL__N_124unique_dim_cuda_templateItEESt5tupleIJNSA_6TensorESF_SF_EERKSF_lbbbEUlllE_EE10hipError_tT0_T1_T2_jT3_P12ihipStream_tbPNSt15iterator_traitsISL_E10value_typeEPNSR_ISM_E10value_typeEPSN_NS1_7vsmem_tEENKUlT_SL_SM_SN_E_clIS8_S8_S9_S9_EESK_S10_SL_SM_SN_EUlS10_E_NS1_11comp_targetILNS1_3genE2ELNS1_11target_archE906ELNS1_3gpuE6ELNS1_3repE0EEENS1_48merge_mergepath_partition_config_static_selectorELNS0_4arch9wavefront6targetE0EEEvSM_,comdat
.Lfunc_end1373:
	.size	_ZN7rocprim17ROCPRIM_400000_NS6detail17trampoline_kernelINS0_14default_configENS1_38merge_sort_block_merge_config_selectorIlNS0_10empty_typeEEEZZNS1_27merge_sort_block_merge_implIS3_PlPS5_mZN2at6native12_GLOBAL__N_124unique_dim_cuda_templateItEESt5tupleIJNSA_6TensorESF_SF_EERKSF_lbbbEUlllE_EE10hipError_tT0_T1_T2_jT3_P12ihipStream_tbPNSt15iterator_traitsISL_E10value_typeEPNSR_ISM_E10value_typeEPSN_NS1_7vsmem_tEENKUlT_SL_SM_SN_E_clIS8_S8_S9_S9_EESK_S10_SL_SM_SN_EUlS10_E_NS1_11comp_targetILNS1_3genE2ELNS1_11target_archE906ELNS1_3gpuE6ELNS1_3repE0EEENS1_48merge_mergepath_partition_config_static_selectorELNS0_4arch9wavefront6targetE0EEEvSM_, .Lfunc_end1373-_ZN7rocprim17ROCPRIM_400000_NS6detail17trampoline_kernelINS0_14default_configENS1_38merge_sort_block_merge_config_selectorIlNS0_10empty_typeEEEZZNS1_27merge_sort_block_merge_implIS3_PlPS5_mZN2at6native12_GLOBAL__N_124unique_dim_cuda_templateItEESt5tupleIJNSA_6TensorESF_SF_EERKSF_lbbbEUlllE_EE10hipError_tT0_T1_T2_jT3_P12ihipStream_tbPNSt15iterator_traitsISL_E10value_typeEPNSR_ISM_E10value_typeEPSN_NS1_7vsmem_tEENKUlT_SL_SM_SN_E_clIS8_S8_S9_S9_EESK_S10_SL_SM_SN_EUlS10_E_NS1_11comp_targetILNS1_3genE2ELNS1_11target_archE906ELNS1_3gpuE6ELNS1_3repE0EEENS1_48merge_mergepath_partition_config_static_selectorELNS0_4arch9wavefront6targetE0EEEvSM_
                                        ; -- End function
	.section	.AMDGPU.csdata,"",@progbits
; Kernel info:
; codeLenInByte = 0
; NumSgprs: 0
; NumVgprs: 0
; ScratchSize: 0
; MemoryBound: 0
; FloatMode: 240
; IeeeMode: 1
; LDSByteSize: 0 bytes/workgroup (compile time only)
; SGPRBlocks: 0
; VGPRBlocks: 0
; NumSGPRsForWavesPerEU: 1
; NumVGPRsForWavesPerEU: 1
; Occupancy: 16
; WaveLimiterHint : 0
; COMPUTE_PGM_RSRC2:SCRATCH_EN: 0
; COMPUTE_PGM_RSRC2:USER_SGPR: 15
; COMPUTE_PGM_RSRC2:TRAP_HANDLER: 0
; COMPUTE_PGM_RSRC2:TGID_X_EN: 1
; COMPUTE_PGM_RSRC2:TGID_Y_EN: 0
; COMPUTE_PGM_RSRC2:TGID_Z_EN: 0
; COMPUTE_PGM_RSRC2:TIDIG_COMP_CNT: 0
	.section	.text._ZN7rocprim17ROCPRIM_400000_NS6detail17trampoline_kernelINS0_14default_configENS1_38merge_sort_block_merge_config_selectorIlNS0_10empty_typeEEEZZNS1_27merge_sort_block_merge_implIS3_PlPS5_mZN2at6native12_GLOBAL__N_124unique_dim_cuda_templateItEESt5tupleIJNSA_6TensorESF_SF_EERKSF_lbbbEUlllE_EE10hipError_tT0_T1_T2_jT3_P12ihipStream_tbPNSt15iterator_traitsISL_E10value_typeEPNSR_ISM_E10value_typeEPSN_NS1_7vsmem_tEENKUlT_SL_SM_SN_E_clIS8_S8_S9_S9_EESK_S10_SL_SM_SN_EUlS10_E_NS1_11comp_targetILNS1_3genE9ELNS1_11target_archE1100ELNS1_3gpuE3ELNS1_3repE0EEENS1_48merge_mergepath_partition_config_static_selectorELNS0_4arch9wavefront6targetE0EEEvSM_,"axG",@progbits,_ZN7rocprim17ROCPRIM_400000_NS6detail17trampoline_kernelINS0_14default_configENS1_38merge_sort_block_merge_config_selectorIlNS0_10empty_typeEEEZZNS1_27merge_sort_block_merge_implIS3_PlPS5_mZN2at6native12_GLOBAL__N_124unique_dim_cuda_templateItEESt5tupleIJNSA_6TensorESF_SF_EERKSF_lbbbEUlllE_EE10hipError_tT0_T1_T2_jT3_P12ihipStream_tbPNSt15iterator_traitsISL_E10value_typeEPNSR_ISM_E10value_typeEPSN_NS1_7vsmem_tEENKUlT_SL_SM_SN_E_clIS8_S8_S9_S9_EESK_S10_SL_SM_SN_EUlS10_E_NS1_11comp_targetILNS1_3genE9ELNS1_11target_archE1100ELNS1_3gpuE3ELNS1_3repE0EEENS1_48merge_mergepath_partition_config_static_selectorELNS0_4arch9wavefront6targetE0EEEvSM_,comdat
	.globl	_ZN7rocprim17ROCPRIM_400000_NS6detail17trampoline_kernelINS0_14default_configENS1_38merge_sort_block_merge_config_selectorIlNS0_10empty_typeEEEZZNS1_27merge_sort_block_merge_implIS3_PlPS5_mZN2at6native12_GLOBAL__N_124unique_dim_cuda_templateItEESt5tupleIJNSA_6TensorESF_SF_EERKSF_lbbbEUlllE_EE10hipError_tT0_T1_T2_jT3_P12ihipStream_tbPNSt15iterator_traitsISL_E10value_typeEPNSR_ISM_E10value_typeEPSN_NS1_7vsmem_tEENKUlT_SL_SM_SN_E_clIS8_S8_S9_S9_EESK_S10_SL_SM_SN_EUlS10_E_NS1_11comp_targetILNS1_3genE9ELNS1_11target_archE1100ELNS1_3gpuE3ELNS1_3repE0EEENS1_48merge_mergepath_partition_config_static_selectorELNS0_4arch9wavefront6targetE0EEEvSM_ ; -- Begin function _ZN7rocprim17ROCPRIM_400000_NS6detail17trampoline_kernelINS0_14default_configENS1_38merge_sort_block_merge_config_selectorIlNS0_10empty_typeEEEZZNS1_27merge_sort_block_merge_implIS3_PlPS5_mZN2at6native12_GLOBAL__N_124unique_dim_cuda_templateItEESt5tupleIJNSA_6TensorESF_SF_EERKSF_lbbbEUlllE_EE10hipError_tT0_T1_T2_jT3_P12ihipStream_tbPNSt15iterator_traitsISL_E10value_typeEPNSR_ISM_E10value_typeEPSN_NS1_7vsmem_tEENKUlT_SL_SM_SN_E_clIS8_S8_S9_S9_EESK_S10_SL_SM_SN_EUlS10_E_NS1_11comp_targetILNS1_3genE9ELNS1_11target_archE1100ELNS1_3gpuE3ELNS1_3repE0EEENS1_48merge_mergepath_partition_config_static_selectorELNS0_4arch9wavefront6targetE0EEEvSM_
	.p2align	8
	.type	_ZN7rocprim17ROCPRIM_400000_NS6detail17trampoline_kernelINS0_14default_configENS1_38merge_sort_block_merge_config_selectorIlNS0_10empty_typeEEEZZNS1_27merge_sort_block_merge_implIS3_PlPS5_mZN2at6native12_GLOBAL__N_124unique_dim_cuda_templateItEESt5tupleIJNSA_6TensorESF_SF_EERKSF_lbbbEUlllE_EE10hipError_tT0_T1_T2_jT3_P12ihipStream_tbPNSt15iterator_traitsISL_E10value_typeEPNSR_ISM_E10value_typeEPSN_NS1_7vsmem_tEENKUlT_SL_SM_SN_E_clIS8_S8_S9_S9_EESK_S10_SL_SM_SN_EUlS10_E_NS1_11comp_targetILNS1_3genE9ELNS1_11target_archE1100ELNS1_3gpuE3ELNS1_3repE0EEENS1_48merge_mergepath_partition_config_static_selectorELNS0_4arch9wavefront6targetE0EEEvSM_,@function
_ZN7rocprim17ROCPRIM_400000_NS6detail17trampoline_kernelINS0_14default_configENS1_38merge_sort_block_merge_config_selectorIlNS0_10empty_typeEEEZZNS1_27merge_sort_block_merge_implIS3_PlPS5_mZN2at6native12_GLOBAL__N_124unique_dim_cuda_templateItEESt5tupleIJNSA_6TensorESF_SF_EERKSF_lbbbEUlllE_EE10hipError_tT0_T1_T2_jT3_P12ihipStream_tbPNSt15iterator_traitsISL_E10value_typeEPNSR_ISM_E10value_typeEPSN_NS1_7vsmem_tEENKUlT_SL_SM_SN_E_clIS8_S8_S9_S9_EESK_S10_SL_SM_SN_EUlS10_E_NS1_11comp_targetILNS1_3genE9ELNS1_11target_archE1100ELNS1_3gpuE3ELNS1_3repE0EEENS1_48merge_mergepath_partition_config_static_selectorELNS0_4arch9wavefront6targetE0EEEvSM_: ; @_ZN7rocprim17ROCPRIM_400000_NS6detail17trampoline_kernelINS0_14default_configENS1_38merge_sort_block_merge_config_selectorIlNS0_10empty_typeEEEZZNS1_27merge_sort_block_merge_implIS3_PlPS5_mZN2at6native12_GLOBAL__N_124unique_dim_cuda_templateItEESt5tupleIJNSA_6TensorESF_SF_EERKSF_lbbbEUlllE_EE10hipError_tT0_T1_T2_jT3_P12ihipStream_tbPNSt15iterator_traitsISL_E10value_typeEPNSR_ISM_E10value_typeEPSN_NS1_7vsmem_tEENKUlT_SL_SM_SN_E_clIS8_S8_S9_S9_EESK_S10_SL_SM_SN_EUlS10_E_NS1_11comp_targetILNS1_3genE9ELNS1_11target_archE1100ELNS1_3gpuE3ELNS1_3repE0EEENS1_48merge_mergepath_partition_config_static_selectorELNS0_4arch9wavefront6targetE0EEEvSM_
; %bb.0:
	s_load_b32 s2, s[0:1], 0x0
	v_lshl_or_b32 v0, s15, 7, v0
	s_waitcnt lgkmcnt(0)
	s_delay_alu instid0(VALU_DEP_1)
	v_cmp_gt_u32_e32 vcc_lo, s2, v0
	s_and_saveexec_b32 s2, vcc_lo
	s_cbranch_execz .LBB1374_13
; %bb.1:
	s_load_b128 s[4:7], s[0:1], 0x8
	s_mov_b32 s12, 0
	v_mov_b32_e32 v2, 0
	s_waitcnt lgkmcnt(0)
	v_alignbit_b32 v1, s5, s4, 9
	s_delay_alu instid0(VALU_DEP_1) | instskip(NEXT) | instid1(VALU_DEP_1)
	v_and_b32_e32 v3, -2, v1
	v_sub_nc_u32_e32 v1, 0, v3
	s_delay_alu instid0(VALU_DEP_1) | instskip(NEXT) | instid1(VALU_DEP_1)
	v_and_b32_e32 v1, v0, v1
	v_lshlrev_b64 v[4:5], 10, v[1:2]
	v_add_nc_u32_e32 v1, -1, v3
	s_delay_alu instid0(VALU_DEP_1) | instskip(NEXT) | instid1(VALU_DEP_3)
	v_dual_mov_b32 v11, v2 :: v_dual_and_b32 v10, v1, v0
	v_add_co_u32 v6, vcc_lo, v4, s4
	s_delay_alu instid0(VALU_DEP_4) | instskip(NEXT) | instid1(VALU_DEP_1)
	v_add_co_ci_u32_e32 v7, vcc_lo, s5, v5, vcc_lo
	v_cmp_lt_u64_e32 vcc_lo, s[6:7], v[6:7]
	v_cndmask_b32_e64 v8, v6, s6, vcc_lo
	v_cndmask_b32_e64 v9, v7, s7, vcc_lo
	s_delay_alu instid0(VALU_DEP_2) | instskip(NEXT) | instid1(VALU_DEP_2)
	v_add_co_u32 v6, vcc_lo, v8, s4
	v_add_co_ci_u32_e32 v7, vcc_lo, s5, v9, vcc_lo
	v_cmp_lt_u64_e32 vcc_lo, s[6:7], v[4:5]
	s_delay_alu instid0(VALU_DEP_2) | instskip(SKIP_3) | instid1(VALU_DEP_4)
	v_cmp_lt_u64_e64 s2, s[6:7], v[6:7]
	v_cndmask_b32_e64 v2, v4, s6, vcc_lo
	v_cndmask_b32_e64 v3, v5, s7, vcc_lo
	v_lshlrev_b64 v[4:5], 10, v[10:11]
	v_cndmask_b32_e64 v12, v6, s6, s2
	v_cndmask_b32_e64 v1, v7, s7, s2
	s_load_b256 s[4:11], s[0:1], 0x18
	s_mov_b32 s1, exec_lo
	s_delay_alu instid0(VALU_DEP_2) | instskip(NEXT) | instid1(VALU_DEP_2)
	v_sub_co_u32 v6, vcc_lo, v12, v2
	v_sub_co_ci_u32_e32 v7, vcc_lo, v1, v3, vcc_lo
	s_delay_alu instid0(VALU_DEP_1) | instskip(SKIP_3) | instid1(VALU_DEP_2)
	v_cmp_lt_u64_e32 vcc_lo, v[6:7], v[4:5]
	v_dual_cndmask_b32 v11, v5, v7 :: v_dual_cndmask_b32 v10, v4, v6
	v_sub_co_u32 v4, vcc_lo, v8, v12
	v_sub_co_ci_u32_e32 v1, vcc_lo, v9, v1, vcc_lo
	v_add_co_u32 v4, vcc_lo, v10, v4
	s_delay_alu instid0(VALU_DEP_2) | instskip(SKIP_2) | instid1(VALU_DEP_3)
	v_add_co_ci_u32_e32 v5, vcc_lo, v11, v1, vcc_lo
	v_sub_co_u32 v6, vcc_lo, v8, v2
	v_sub_co_ci_u32_e32 v7, vcc_lo, v9, v3, vcc_lo
	v_cmp_gt_u64_e32 vcc_lo, v[4:5], v[10:11]
	s_delay_alu instid0(VALU_DEP_2) | instskip(SKIP_2) | instid1(VALU_DEP_3)
	v_cmp_lt_u64_e64 s0, v[10:11], v[6:7]
	v_cndmask_b32_e64 v5, v5, 0, vcc_lo
	v_cndmask_b32_e64 v4, v4, 0, vcc_lo
	v_cndmask_b32_e64 v7, v7, v11, s0
	v_cndmask_b32_e64 v6, v6, v10, s0
	s_delay_alu instid0(VALU_DEP_1)
	v_cmpx_lt_u64_e64 v[4:5], v[6:7]
	s_cbranch_execz .LBB1374_12
; %bb.2:
	v_lshlrev_b64 v[8:9], 3, v[8:9]
	v_lshlrev_b64 v[12:13], 3, v[2:3]
	;; [unrolled: 1-line block ×3, first 2 shown]
	s_waitcnt lgkmcnt(0)
	v_cmp_gt_i64_e64 s13, s[6:7], 0
	s_lshl_b64 s[2:3], s[6:7], 1
	v_add_co_u32 v8, vcc_lo, s4, v8
	v_add_co_ci_u32_e32 v9, vcc_lo, s5, v9, vcc_lo
	v_add_co_u32 v1, vcc_lo, s4, v12
	v_add_co_ci_u32_e32 v14, vcc_lo, s5, v13, vcc_lo
	s_delay_alu instid0(VALU_DEP_4) | instskip(NEXT) | instid1(VALU_DEP_4)
	v_add_co_u32 v15, vcc_lo, v8, v10
	v_add_co_ci_u32_e32 v16, vcc_lo, v9, v11, vcc_lo
	s_branch .LBB1374_5
.LBB1374_3:                             ;   in Loop: Header=BB1374_5 Depth=1
	s_set_inst_prefetch_distance 0x2
	s_or_b32 exec_lo, exec_lo, s15
.LBB1374_4:                             ;   in Loop: Header=BB1374_5 Depth=1
	s_delay_alu instid0(VALU_DEP_1) | instskip(NEXT) | instid1(VALU_DEP_2)
	v_add_co_u32 v10, vcc_lo, v8, 1
	v_add_co_ci_u32_e32 v11, vcc_lo, 0, v9, vcc_lo
	v_cndmask_b32_e64 v7, v7, v9, s14
	v_cndmask_b32_e64 v6, v6, v8, s14
	s_delay_alu instid0(VALU_DEP_4) | instskip(NEXT) | instid1(VALU_DEP_4)
	v_cndmask_b32_e64 v4, v10, v4, s14
	v_cndmask_b32_e64 v5, v11, v5, s14
	s_delay_alu instid0(VALU_DEP_1) | instskip(SKIP_1) | instid1(SALU_CYCLE_1)
	v_cmp_ge_u64_e32 vcc_lo, v[4:5], v[6:7]
	s_or_b32 s12, vcc_lo, s12
	s_and_not1_b32 exec_lo, exec_lo, s12
	s_cbranch_execz .LBB1374_11
.LBB1374_5:                             ; =>This Loop Header: Depth=1
                                        ;     Child Loop BB1374_8 Depth 2
	v_add_co_u32 v8, vcc_lo, v6, v4
	v_add_co_ci_u32_e32 v9, vcc_lo, v7, v5, vcc_lo
	s_and_not1_b32 vcc_lo, exec_lo, s13
	s_delay_alu instid0(VALU_DEP_1)
	v_lshrrev_b64 v[8:9], 1, v[8:9]
	s_cbranch_vccnz .LBB1374_10
; %bb.6:                                ;   in Loop: Header=BB1374_5 Depth=1
	s_delay_alu instid0(VALU_DEP_1) | instskip(NEXT) | instid1(VALU_DEP_2)
	v_not_b32_e32 v11, v9
	v_not_b32_e32 v10, v8
	v_lshlrev_b64 v[12:13], 3, v[8:9]
	s_mov_b32 s15, 0
	s_mov_b64 s[4:5], s[6:7]
                                        ; implicit-def: $sgpr14
                                        ; implicit-def: $sgpr16
                                        ; implicit-def: $sgpr17
                                        ; implicit-def: $sgpr18
                                        ; implicit-def: $sgpr19
	s_delay_alu instid0(VALU_DEP_2) | instskip(NEXT) | instid1(VALU_DEP_1)
	v_lshlrev_b64 v[10:11], 3, v[10:11]
	v_add_co_u32 v10, vcc_lo, v15, v10
	s_delay_alu instid0(VALU_DEP_2)
	v_add_co_ci_u32_e32 v11, vcc_lo, v16, v11, vcc_lo
	v_add_co_u32 v12, vcc_lo, v1, v12
	v_add_co_ci_u32_e32 v13, vcc_lo, v14, v13, vcc_lo
	s_clause 0x1
	global_load_b64 v[17:18], v[10:11], off
	global_load_b64 v[19:20], v[12:13], off
	s_waitcnt vmcnt(1)
	v_mul_lo_u32 v18, s2, v18
	v_mul_lo_u32 v21, s3, v17
	v_mad_u64_u32 v[10:11], null, s2, v17, s[8:9]
	s_waitcnt vmcnt(0)
	v_mul_lo_u32 v17, s2, v20
	v_mul_lo_u32 v20, s3, v19
	v_mad_u64_u32 v[12:13], null, s2, v19, s[8:9]
	s_delay_alu instid0(VALU_DEP_4) | instskip(NEXT) | instid1(VALU_DEP_2)
	v_add3_u32 v11, v21, v11, v18
	v_add3_u32 v13, v20, v13, v17
	s_set_inst_prefetch_distance 0x1
	s_branch .LBB1374_8
	.p2align	6
.LBB1374_7:                             ;   in Loop: Header=BB1374_8 Depth=2
	s_or_b32 exec_lo, exec_lo, s0
	s_delay_alu instid0(SALU_CYCLE_1) | instskip(NEXT) | instid1(SALU_CYCLE_1)
	s_and_b32 s0, exec_lo, s16
	s_or_b32 s15, s0, s15
	s_and_not1_b32 s0, s19, exec_lo
	s_and_b32 s19, s17, exec_lo
	s_and_not1_b32 s14, s14, exec_lo
	s_and_b32 s20, s18, exec_lo
	s_or_b32 s19, s0, s19
	s_or_b32 s14, s14, s20
	s_and_not1_b32 exec_lo, exec_lo, s15
	s_cbranch_execz .LBB1374_3
.LBB1374_8:                             ;   Parent Loop BB1374_5 Depth=1
                                        ; =>  This Inner Loop Header: Depth=2
	global_load_u16 v17, v[10:11], off
	global_load_u16 v18, v[12:13], off
	s_and_not1_b32 s18, s18, exec_lo
	s_and_not1_b32 s17, s17, exec_lo
	s_or_b32 s16, s16, exec_lo
	s_waitcnt vmcnt(0)
	v_cmp_le_u16_e32 vcc_lo, v17, v18
	v_cmp_lt_u16_e64 s0, v17, v18
	s_and_b32 s20, vcc_lo, s19
	s_delay_alu instid0(VALU_DEP_1) | instid1(SALU_CYCLE_1)
	s_or_b32 s20, s0, s20
	s_delay_alu instid0(SALU_CYCLE_1) | instskip(NEXT) | instid1(SALU_CYCLE_1)
	s_and_b32 s0, s20, exec_lo
	s_or_b32 s18, s18, s0
	s_mov_b32 s0, exec_lo
	v_cmpx_eq_u16_e64 v17, v18
	s_cbranch_execz .LBB1374_7
; %bb.9:                                ;   in Loop: Header=BB1374_8 Depth=2
	s_add_u32 s4, s4, -1
	s_addc_u32 s5, s5, -1
	v_add_co_u32 v10, vcc_lo, v10, 2
	s_cmp_eq_u64 s[4:5], 0
	v_add_co_ci_u32_e32 v11, vcc_lo, 0, v11, vcc_lo
	s_cselect_b32 s19, -1, 0
	v_add_co_u32 v12, vcc_lo, v12, 2
	s_and_not1_b32 s17, s17, exec_lo
	s_and_b32 s20, s20, exec_lo
	s_and_not1_b32 s16, s16, exec_lo
	s_and_b32 s19, s19, exec_lo
	v_add_co_ci_u32_e32 v13, vcc_lo, 0, v13, vcc_lo
	s_and_not1_b32 s18, s18, exec_lo
	s_or_b32 s17, s17, s20
	s_or_b32 s16, s16, s19
                                        ; implicit-def: $sgpr19
	s_branch .LBB1374_7
.LBB1374_10:                            ;   in Loop: Header=BB1374_5 Depth=1
	s_mov_b32 s14, 0
	s_branch .LBB1374_4
.LBB1374_11:
	s_or_b32 exec_lo, exec_lo, s12
.LBB1374_12:
	s_delay_alu instid0(SALU_CYCLE_1) | instskip(SKIP_3) | instid1(VALU_DEP_3)
	s_or_b32 exec_lo, exec_lo, s1
	v_mov_b32_e32 v1, 0
	v_add_co_u32 v2, vcc_lo, v4, v2
	v_add_co_ci_u32_e32 v3, vcc_lo, v5, v3, vcc_lo
	v_lshlrev_b64 v[0:1], 3, v[0:1]
	s_waitcnt lgkmcnt(0)
	s_delay_alu instid0(VALU_DEP_1) | instskip(NEXT) | instid1(VALU_DEP_2)
	v_add_co_u32 v0, vcc_lo, s10, v0
	v_add_co_ci_u32_e32 v1, vcc_lo, s11, v1, vcc_lo
	global_store_b64 v[0:1], v[2:3], off
.LBB1374_13:
	s_nop 0
	s_sendmsg sendmsg(MSG_DEALLOC_VGPRS)
	s_endpgm
	.section	.rodata,"a",@progbits
	.p2align	6, 0x0
	.amdhsa_kernel _ZN7rocprim17ROCPRIM_400000_NS6detail17trampoline_kernelINS0_14default_configENS1_38merge_sort_block_merge_config_selectorIlNS0_10empty_typeEEEZZNS1_27merge_sort_block_merge_implIS3_PlPS5_mZN2at6native12_GLOBAL__N_124unique_dim_cuda_templateItEESt5tupleIJNSA_6TensorESF_SF_EERKSF_lbbbEUlllE_EE10hipError_tT0_T1_T2_jT3_P12ihipStream_tbPNSt15iterator_traitsISL_E10value_typeEPNSR_ISM_E10value_typeEPSN_NS1_7vsmem_tEENKUlT_SL_SM_SN_E_clIS8_S8_S9_S9_EESK_S10_SL_SM_SN_EUlS10_E_NS1_11comp_targetILNS1_3genE9ELNS1_11target_archE1100ELNS1_3gpuE3ELNS1_3repE0EEENS1_48merge_mergepath_partition_config_static_selectorELNS0_4arch9wavefront6targetE0EEEvSM_
		.amdhsa_group_segment_fixed_size 0
		.amdhsa_private_segment_fixed_size 0
		.amdhsa_kernarg_size 56
		.amdhsa_user_sgpr_count 15
		.amdhsa_user_sgpr_dispatch_ptr 0
		.amdhsa_user_sgpr_queue_ptr 0
		.amdhsa_user_sgpr_kernarg_segment_ptr 1
		.amdhsa_user_sgpr_dispatch_id 0
		.amdhsa_user_sgpr_private_segment_size 0
		.amdhsa_wavefront_size32 1
		.amdhsa_uses_dynamic_stack 0
		.amdhsa_enable_private_segment 0
		.amdhsa_system_sgpr_workgroup_id_x 1
		.amdhsa_system_sgpr_workgroup_id_y 0
		.amdhsa_system_sgpr_workgroup_id_z 0
		.amdhsa_system_sgpr_workgroup_info 0
		.amdhsa_system_vgpr_workitem_id 0
		.amdhsa_next_free_vgpr 22
		.amdhsa_next_free_sgpr 21
		.amdhsa_reserve_vcc 1
		.amdhsa_float_round_mode_32 0
		.amdhsa_float_round_mode_16_64 0
		.amdhsa_float_denorm_mode_32 3
		.amdhsa_float_denorm_mode_16_64 3
		.amdhsa_dx10_clamp 1
		.amdhsa_ieee_mode 1
		.amdhsa_fp16_overflow 0
		.amdhsa_workgroup_processor_mode 1
		.amdhsa_memory_ordered 1
		.amdhsa_forward_progress 0
		.amdhsa_shared_vgpr_count 0
		.amdhsa_exception_fp_ieee_invalid_op 0
		.amdhsa_exception_fp_denorm_src 0
		.amdhsa_exception_fp_ieee_div_zero 0
		.amdhsa_exception_fp_ieee_overflow 0
		.amdhsa_exception_fp_ieee_underflow 0
		.amdhsa_exception_fp_ieee_inexact 0
		.amdhsa_exception_int_div_zero 0
	.end_amdhsa_kernel
	.section	.text._ZN7rocprim17ROCPRIM_400000_NS6detail17trampoline_kernelINS0_14default_configENS1_38merge_sort_block_merge_config_selectorIlNS0_10empty_typeEEEZZNS1_27merge_sort_block_merge_implIS3_PlPS5_mZN2at6native12_GLOBAL__N_124unique_dim_cuda_templateItEESt5tupleIJNSA_6TensorESF_SF_EERKSF_lbbbEUlllE_EE10hipError_tT0_T1_T2_jT3_P12ihipStream_tbPNSt15iterator_traitsISL_E10value_typeEPNSR_ISM_E10value_typeEPSN_NS1_7vsmem_tEENKUlT_SL_SM_SN_E_clIS8_S8_S9_S9_EESK_S10_SL_SM_SN_EUlS10_E_NS1_11comp_targetILNS1_3genE9ELNS1_11target_archE1100ELNS1_3gpuE3ELNS1_3repE0EEENS1_48merge_mergepath_partition_config_static_selectorELNS0_4arch9wavefront6targetE0EEEvSM_,"axG",@progbits,_ZN7rocprim17ROCPRIM_400000_NS6detail17trampoline_kernelINS0_14default_configENS1_38merge_sort_block_merge_config_selectorIlNS0_10empty_typeEEEZZNS1_27merge_sort_block_merge_implIS3_PlPS5_mZN2at6native12_GLOBAL__N_124unique_dim_cuda_templateItEESt5tupleIJNSA_6TensorESF_SF_EERKSF_lbbbEUlllE_EE10hipError_tT0_T1_T2_jT3_P12ihipStream_tbPNSt15iterator_traitsISL_E10value_typeEPNSR_ISM_E10value_typeEPSN_NS1_7vsmem_tEENKUlT_SL_SM_SN_E_clIS8_S8_S9_S9_EESK_S10_SL_SM_SN_EUlS10_E_NS1_11comp_targetILNS1_3genE9ELNS1_11target_archE1100ELNS1_3gpuE3ELNS1_3repE0EEENS1_48merge_mergepath_partition_config_static_selectorELNS0_4arch9wavefront6targetE0EEEvSM_,comdat
.Lfunc_end1374:
	.size	_ZN7rocprim17ROCPRIM_400000_NS6detail17trampoline_kernelINS0_14default_configENS1_38merge_sort_block_merge_config_selectorIlNS0_10empty_typeEEEZZNS1_27merge_sort_block_merge_implIS3_PlPS5_mZN2at6native12_GLOBAL__N_124unique_dim_cuda_templateItEESt5tupleIJNSA_6TensorESF_SF_EERKSF_lbbbEUlllE_EE10hipError_tT0_T1_T2_jT3_P12ihipStream_tbPNSt15iterator_traitsISL_E10value_typeEPNSR_ISM_E10value_typeEPSN_NS1_7vsmem_tEENKUlT_SL_SM_SN_E_clIS8_S8_S9_S9_EESK_S10_SL_SM_SN_EUlS10_E_NS1_11comp_targetILNS1_3genE9ELNS1_11target_archE1100ELNS1_3gpuE3ELNS1_3repE0EEENS1_48merge_mergepath_partition_config_static_selectorELNS0_4arch9wavefront6targetE0EEEvSM_, .Lfunc_end1374-_ZN7rocprim17ROCPRIM_400000_NS6detail17trampoline_kernelINS0_14default_configENS1_38merge_sort_block_merge_config_selectorIlNS0_10empty_typeEEEZZNS1_27merge_sort_block_merge_implIS3_PlPS5_mZN2at6native12_GLOBAL__N_124unique_dim_cuda_templateItEESt5tupleIJNSA_6TensorESF_SF_EERKSF_lbbbEUlllE_EE10hipError_tT0_T1_T2_jT3_P12ihipStream_tbPNSt15iterator_traitsISL_E10value_typeEPNSR_ISM_E10value_typeEPSN_NS1_7vsmem_tEENKUlT_SL_SM_SN_E_clIS8_S8_S9_S9_EESK_S10_SL_SM_SN_EUlS10_E_NS1_11comp_targetILNS1_3genE9ELNS1_11target_archE1100ELNS1_3gpuE3ELNS1_3repE0EEENS1_48merge_mergepath_partition_config_static_selectorELNS0_4arch9wavefront6targetE0EEEvSM_
                                        ; -- End function
	.section	.AMDGPU.csdata,"",@progbits
; Kernel info:
; codeLenInByte = 1020
; NumSgprs: 23
; NumVgprs: 22
; ScratchSize: 0
; MemoryBound: 0
; FloatMode: 240
; IeeeMode: 1
; LDSByteSize: 0 bytes/workgroup (compile time only)
; SGPRBlocks: 2
; VGPRBlocks: 2
; NumSGPRsForWavesPerEU: 23
; NumVGPRsForWavesPerEU: 22
; Occupancy: 16
; WaveLimiterHint : 0
; COMPUTE_PGM_RSRC2:SCRATCH_EN: 0
; COMPUTE_PGM_RSRC2:USER_SGPR: 15
; COMPUTE_PGM_RSRC2:TRAP_HANDLER: 0
; COMPUTE_PGM_RSRC2:TGID_X_EN: 1
; COMPUTE_PGM_RSRC2:TGID_Y_EN: 0
; COMPUTE_PGM_RSRC2:TGID_Z_EN: 0
; COMPUTE_PGM_RSRC2:TIDIG_COMP_CNT: 0
	.section	.text._ZN7rocprim17ROCPRIM_400000_NS6detail17trampoline_kernelINS0_14default_configENS1_38merge_sort_block_merge_config_selectorIlNS0_10empty_typeEEEZZNS1_27merge_sort_block_merge_implIS3_PlPS5_mZN2at6native12_GLOBAL__N_124unique_dim_cuda_templateItEESt5tupleIJNSA_6TensorESF_SF_EERKSF_lbbbEUlllE_EE10hipError_tT0_T1_T2_jT3_P12ihipStream_tbPNSt15iterator_traitsISL_E10value_typeEPNSR_ISM_E10value_typeEPSN_NS1_7vsmem_tEENKUlT_SL_SM_SN_E_clIS8_S8_S9_S9_EESK_S10_SL_SM_SN_EUlS10_E_NS1_11comp_targetILNS1_3genE8ELNS1_11target_archE1030ELNS1_3gpuE2ELNS1_3repE0EEENS1_48merge_mergepath_partition_config_static_selectorELNS0_4arch9wavefront6targetE0EEEvSM_,"axG",@progbits,_ZN7rocprim17ROCPRIM_400000_NS6detail17trampoline_kernelINS0_14default_configENS1_38merge_sort_block_merge_config_selectorIlNS0_10empty_typeEEEZZNS1_27merge_sort_block_merge_implIS3_PlPS5_mZN2at6native12_GLOBAL__N_124unique_dim_cuda_templateItEESt5tupleIJNSA_6TensorESF_SF_EERKSF_lbbbEUlllE_EE10hipError_tT0_T1_T2_jT3_P12ihipStream_tbPNSt15iterator_traitsISL_E10value_typeEPNSR_ISM_E10value_typeEPSN_NS1_7vsmem_tEENKUlT_SL_SM_SN_E_clIS8_S8_S9_S9_EESK_S10_SL_SM_SN_EUlS10_E_NS1_11comp_targetILNS1_3genE8ELNS1_11target_archE1030ELNS1_3gpuE2ELNS1_3repE0EEENS1_48merge_mergepath_partition_config_static_selectorELNS0_4arch9wavefront6targetE0EEEvSM_,comdat
	.globl	_ZN7rocprim17ROCPRIM_400000_NS6detail17trampoline_kernelINS0_14default_configENS1_38merge_sort_block_merge_config_selectorIlNS0_10empty_typeEEEZZNS1_27merge_sort_block_merge_implIS3_PlPS5_mZN2at6native12_GLOBAL__N_124unique_dim_cuda_templateItEESt5tupleIJNSA_6TensorESF_SF_EERKSF_lbbbEUlllE_EE10hipError_tT0_T1_T2_jT3_P12ihipStream_tbPNSt15iterator_traitsISL_E10value_typeEPNSR_ISM_E10value_typeEPSN_NS1_7vsmem_tEENKUlT_SL_SM_SN_E_clIS8_S8_S9_S9_EESK_S10_SL_SM_SN_EUlS10_E_NS1_11comp_targetILNS1_3genE8ELNS1_11target_archE1030ELNS1_3gpuE2ELNS1_3repE0EEENS1_48merge_mergepath_partition_config_static_selectorELNS0_4arch9wavefront6targetE0EEEvSM_ ; -- Begin function _ZN7rocprim17ROCPRIM_400000_NS6detail17trampoline_kernelINS0_14default_configENS1_38merge_sort_block_merge_config_selectorIlNS0_10empty_typeEEEZZNS1_27merge_sort_block_merge_implIS3_PlPS5_mZN2at6native12_GLOBAL__N_124unique_dim_cuda_templateItEESt5tupleIJNSA_6TensorESF_SF_EERKSF_lbbbEUlllE_EE10hipError_tT0_T1_T2_jT3_P12ihipStream_tbPNSt15iterator_traitsISL_E10value_typeEPNSR_ISM_E10value_typeEPSN_NS1_7vsmem_tEENKUlT_SL_SM_SN_E_clIS8_S8_S9_S9_EESK_S10_SL_SM_SN_EUlS10_E_NS1_11comp_targetILNS1_3genE8ELNS1_11target_archE1030ELNS1_3gpuE2ELNS1_3repE0EEENS1_48merge_mergepath_partition_config_static_selectorELNS0_4arch9wavefront6targetE0EEEvSM_
	.p2align	8
	.type	_ZN7rocprim17ROCPRIM_400000_NS6detail17trampoline_kernelINS0_14default_configENS1_38merge_sort_block_merge_config_selectorIlNS0_10empty_typeEEEZZNS1_27merge_sort_block_merge_implIS3_PlPS5_mZN2at6native12_GLOBAL__N_124unique_dim_cuda_templateItEESt5tupleIJNSA_6TensorESF_SF_EERKSF_lbbbEUlllE_EE10hipError_tT0_T1_T2_jT3_P12ihipStream_tbPNSt15iterator_traitsISL_E10value_typeEPNSR_ISM_E10value_typeEPSN_NS1_7vsmem_tEENKUlT_SL_SM_SN_E_clIS8_S8_S9_S9_EESK_S10_SL_SM_SN_EUlS10_E_NS1_11comp_targetILNS1_3genE8ELNS1_11target_archE1030ELNS1_3gpuE2ELNS1_3repE0EEENS1_48merge_mergepath_partition_config_static_selectorELNS0_4arch9wavefront6targetE0EEEvSM_,@function
_ZN7rocprim17ROCPRIM_400000_NS6detail17trampoline_kernelINS0_14default_configENS1_38merge_sort_block_merge_config_selectorIlNS0_10empty_typeEEEZZNS1_27merge_sort_block_merge_implIS3_PlPS5_mZN2at6native12_GLOBAL__N_124unique_dim_cuda_templateItEESt5tupleIJNSA_6TensorESF_SF_EERKSF_lbbbEUlllE_EE10hipError_tT0_T1_T2_jT3_P12ihipStream_tbPNSt15iterator_traitsISL_E10value_typeEPNSR_ISM_E10value_typeEPSN_NS1_7vsmem_tEENKUlT_SL_SM_SN_E_clIS8_S8_S9_S9_EESK_S10_SL_SM_SN_EUlS10_E_NS1_11comp_targetILNS1_3genE8ELNS1_11target_archE1030ELNS1_3gpuE2ELNS1_3repE0EEENS1_48merge_mergepath_partition_config_static_selectorELNS0_4arch9wavefront6targetE0EEEvSM_: ; @_ZN7rocprim17ROCPRIM_400000_NS6detail17trampoline_kernelINS0_14default_configENS1_38merge_sort_block_merge_config_selectorIlNS0_10empty_typeEEEZZNS1_27merge_sort_block_merge_implIS3_PlPS5_mZN2at6native12_GLOBAL__N_124unique_dim_cuda_templateItEESt5tupleIJNSA_6TensorESF_SF_EERKSF_lbbbEUlllE_EE10hipError_tT0_T1_T2_jT3_P12ihipStream_tbPNSt15iterator_traitsISL_E10value_typeEPNSR_ISM_E10value_typeEPSN_NS1_7vsmem_tEENKUlT_SL_SM_SN_E_clIS8_S8_S9_S9_EESK_S10_SL_SM_SN_EUlS10_E_NS1_11comp_targetILNS1_3genE8ELNS1_11target_archE1030ELNS1_3gpuE2ELNS1_3repE0EEENS1_48merge_mergepath_partition_config_static_selectorELNS0_4arch9wavefront6targetE0EEEvSM_
; %bb.0:
	.section	.rodata,"a",@progbits
	.p2align	6, 0x0
	.amdhsa_kernel _ZN7rocprim17ROCPRIM_400000_NS6detail17trampoline_kernelINS0_14default_configENS1_38merge_sort_block_merge_config_selectorIlNS0_10empty_typeEEEZZNS1_27merge_sort_block_merge_implIS3_PlPS5_mZN2at6native12_GLOBAL__N_124unique_dim_cuda_templateItEESt5tupleIJNSA_6TensorESF_SF_EERKSF_lbbbEUlllE_EE10hipError_tT0_T1_T2_jT3_P12ihipStream_tbPNSt15iterator_traitsISL_E10value_typeEPNSR_ISM_E10value_typeEPSN_NS1_7vsmem_tEENKUlT_SL_SM_SN_E_clIS8_S8_S9_S9_EESK_S10_SL_SM_SN_EUlS10_E_NS1_11comp_targetILNS1_3genE8ELNS1_11target_archE1030ELNS1_3gpuE2ELNS1_3repE0EEENS1_48merge_mergepath_partition_config_static_selectorELNS0_4arch9wavefront6targetE0EEEvSM_
		.amdhsa_group_segment_fixed_size 0
		.amdhsa_private_segment_fixed_size 0
		.amdhsa_kernarg_size 56
		.amdhsa_user_sgpr_count 15
		.amdhsa_user_sgpr_dispatch_ptr 0
		.amdhsa_user_sgpr_queue_ptr 0
		.amdhsa_user_sgpr_kernarg_segment_ptr 1
		.amdhsa_user_sgpr_dispatch_id 0
		.amdhsa_user_sgpr_private_segment_size 0
		.amdhsa_wavefront_size32 1
		.amdhsa_uses_dynamic_stack 0
		.amdhsa_enable_private_segment 0
		.amdhsa_system_sgpr_workgroup_id_x 1
		.amdhsa_system_sgpr_workgroup_id_y 0
		.amdhsa_system_sgpr_workgroup_id_z 0
		.amdhsa_system_sgpr_workgroup_info 0
		.amdhsa_system_vgpr_workitem_id 0
		.amdhsa_next_free_vgpr 1
		.amdhsa_next_free_sgpr 1
		.amdhsa_reserve_vcc 0
		.amdhsa_float_round_mode_32 0
		.amdhsa_float_round_mode_16_64 0
		.amdhsa_float_denorm_mode_32 3
		.amdhsa_float_denorm_mode_16_64 3
		.amdhsa_dx10_clamp 1
		.amdhsa_ieee_mode 1
		.amdhsa_fp16_overflow 0
		.amdhsa_workgroup_processor_mode 1
		.amdhsa_memory_ordered 1
		.amdhsa_forward_progress 0
		.amdhsa_shared_vgpr_count 0
		.amdhsa_exception_fp_ieee_invalid_op 0
		.amdhsa_exception_fp_denorm_src 0
		.amdhsa_exception_fp_ieee_div_zero 0
		.amdhsa_exception_fp_ieee_overflow 0
		.amdhsa_exception_fp_ieee_underflow 0
		.amdhsa_exception_fp_ieee_inexact 0
		.amdhsa_exception_int_div_zero 0
	.end_amdhsa_kernel
	.section	.text._ZN7rocprim17ROCPRIM_400000_NS6detail17trampoline_kernelINS0_14default_configENS1_38merge_sort_block_merge_config_selectorIlNS0_10empty_typeEEEZZNS1_27merge_sort_block_merge_implIS3_PlPS5_mZN2at6native12_GLOBAL__N_124unique_dim_cuda_templateItEESt5tupleIJNSA_6TensorESF_SF_EERKSF_lbbbEUlllE_EE10hipError_tT0_T1_T2_jT3_P12ihipStream_tbPNSt15iterator_traitsISL_E10value_typeEPNSR_ISM_E10value_typeEPSN_NS1_7vsmem_tEENKUlT_SL_SM_SN_E_clIS8_S8_S9_S9_EESK_S10_SL_SM_SN_EUlS10_E_NS1_11comp_targetILNS1_3genE8ELNS1_11target_archE1030ELNS1_3gpuE2ELNS1_3repE0EEENS1_48merge_mergepath_partition_config_static_selectorELNS0_4arch9wavefront6targetE0EEEvSM_,"axG",@progbits,_ZN7rocprim17ROCPRIM_400000_NS6detail17trampoline_kernelINS0_14default_configENS1_38merge_sort_block_merge_config_selectorIlNS0_10empty_typeEEEZZNS1_27merge_sort_block_merge_implIS3_PlPS5_mZN2at6native12_GLOBAL__N_124unique_dim_cuda_templateItEESt5tupleIJNSA_6TensorESF_SF_EERKSF_lbbbEUlllE_EE10hipError_tT0_T1_T2_jT3_P12ihipStream_tbPNSt15iterator_traitsISL_E10value_typeEPNSR_ISM_E10value_typeEPSN_NS1_7vsmem_tEENKUlT_SL_SM_SN_E_clIS8_S8_S9_S9_EESK_S10_SL_SM_SN_EUlS10_E_NS1_11comp_targetILNS1_3genE8ELNS1_11target_archE1030ELNS1_3gpuE2ELNS1_3repE0EEENS1_48merge_mergepath_partition_config_static_selectorELNS0_4arch9wavefront6targetE0EEEvSM_,comdat
.Lfunc_end1375:
	.size	_ZN7rocprim17ROCPRIM_400000_NS6detail17trampoline_kernelINS0_14default_configENS1_38merge_sort_block_merge_config_selectorIlNS0_10empty_typeEEEZZNS1_27merge_sort_block_merge_implIS3_PlPS5_mZN2at6native12_GLOBAL__N_124unique_dim_cuda_templateItEESt5tupleIJNSA_6TensorESF_SF_EERKSF_lbbbEUlllE_EE10hipError_tT0_T1_T2_jT3_P12ihipStream_tbPNSt15iterator_traitsISL_E10value_typeEPNSR_ISM_E10value_typeEPSN_NS1_7vsmem_tEENKUlT_SL_SM_SN_E_clIS8_S8_S9_S9_EESK_S10_SL_SM_SN_EUlS10_E_NS1_11comp_targetILNS1_3genE8ELNS1_11target_archE1030ELNS1_3gpuE2ELNS1_3repE0EEENS1_48merge_mergepath_partition_config_static_selectorELNS0_4arch9wavefront6targetE0EEEvSM_, .Lfunc_end1375-_ZN7rocprim17ROCPRIM_400000_NS6detail17trampoline_kernelINS0_14default_configENS1_38merge_sort_block_merge_config_selectorIlNS0_10empty_typeEEEZZNS1_27merge_sort_block_merge_implIS3_PlPS5_mZN2at6native12_GLOBAL__N_124unique_dim_cuda_templateItEESt5tupleIJNSA_6TensorESF_SF_EERKSF_lbbbEUlllE_EE10hipError_tT0_T1_T2_jT3_P12ihipStream_tbPNSt15iterator_traitsISL_E10value_typeEPNSR_ISM_E10value_typeEPSN_NS1_7vsmem_tEENKUlT_SL_SM_SN_E_clIS8_S8_S9_S9_EESK_S10_SL_SM_SN_EUlS10_E_NS1_11comp_targetILNS1_3genE8ELNS1_11target_archE1030ELNS1_3gpuE2ELNS1_3repE0EEENS1_48merge_mergepath_partition_config_static_selectorELNS0_4arch9wavefront6targetE0EEEvSM_
                                        ; -- End function
	.section	.AMDGPU.csdata,"",@progbits
; Kernel info:
; codeLenInByte = 0
; NumSgprs: 0
; NumVgprs: 0
; ScratchSize: 0
; MemoryBound: 0
; FloatMode: 240
; IeeeMode: 1
; LDSByteSize: 0 bytes/workgroup (compile time only)
; SGPRBlocks: 0
; VGPRBlocks: 0
; NumSGPRsForWavesPerEU: 1
; NumVGPRsForWavesPerEU: 1
; Occupancy: 16
; WaveLimiterHint : 0
; COMPUTE_PGM_RSRC2:SCRATCH_EN: 0
; COMPUTE_PGM_RSRC2:USER_SGPR: 15
; COMPUTE_PGM_RSRC2:TRAP_HANDLER: 0
; COMPUTE_PGM_RSRC2:TGID_X_EN: 1
; COMPUTE_PGM_RSRC2:TGID_Y_EN: 0
; COMPUTE_PGM_RSRC2:TGID_Z_EN: 0
; COMPUTE_PGM_RSRC2:TIDIG_COMP_CNT: 0
	.section	.text._ZN7rocprim17ROCPRIM_400000_NS6detail17trampoline_kernelINS0_14default_configENS1_38merge_sort_block_merge_config_selectorIlNS0_10empty_typeEEEZZNS1_27merge_sort_block_merge_implIS3_PlPS5_mZN2at6native12_GLOBAL__N_124unique_dim_cuda_templateItEESt5tupleIJNSA_6TensorESF_SF_EERKSF_lbbbEUlllE_EE10hipError_tT0_T1_T2_jT3_P12ihipStream_tbPNSt15iterator_traitsISL_E10value_typeEPNSR_ISM_E10value_typeEPSN_NS1_7vsmem_tEENKUlT_SL_SM_SN_E_clIS8_S8_S9_S9_EESK_S10_SL_SM_SN_EUlS10_E0_NS1_11comp_targetILNS1_3genE0ELNS1_11target_archE4294967295ELNS1_3gpuE0ELNS1_3repE0EEENS1_38merge_mergepath_config_static_selectorELNS0_4arch9wavefront6targetE0EEEvSM_,"axG",@progbits,_ZN7rocprim17ROCPRIM_400000_NS6detail17trampoline_kernelINS0_14default_configENS1_38merge_sort_block_merge_config_selectorIlNS0_10empty_typeEEEZZNS1_27merge_sort_block_merge_implIS3_PlPS5_mZN2at6native12_GLOBAL__N_124unique_dim_cuda_templateItEESt5tupleIJNSA_6TensorESF_SF_EERKSF_lbbbEUlllE_EE10hipError_tT0_T1_T2_jT3_P12ihipStream_tbPNSt15iterator_traitsISL_E10value_typeEPNSR_ISM_E10value_typeEPSN_NS1_7vsmem_tEENKUlT_SL_SM_SN_E_clIS8_S8_S9_S9_EESK_S10_SL_SM_SN_EUlS10_E0_NS1_11comp_targetILNS1_3genE0ELNS1_11target_archE4294967295ELNS1_3gpuE0ELNS1_3repE0EEENS1_38merge_mergepath_config_static_selectorELNS0_4arch9wavefront6targetE0EEEvSM_,comdat
	.globl	_ZN7rocprim17ROCPRIM_400000_NS6detail17trampoline_kernelINS0_14default_configENS1_38merge_sort_block_merge_config_selectorIlNS0_10empty_typeEEEZZNS1_27merge_sort_block_merge_implIS3_PlPS5_mZN2at6native12_GLOBAL__N_124unique_dim_cuda_templateItEESt5tupleIJNSA_6TensorESF_SF_EERKSF_lbbbEUlllE_EE10hipError_tT0_T1_T2_jT3_P12ihipStream_tbPNSt15iterator_traitsISL_E10value_typeEPNSR_ISM_E10value_typeEPSN_NS1_7vsmem_tEENKUlT_SL_SM_SN_E_clIS8_S8_S9_S9_EESK_S10_SL_SM_SN_EUlS10_E0_NS1_11comp_targetILNS1_3genE0ELNS1_11target_archE4294967295ELNS1_3gpuE0ELNS1_3repE0EEENS1_38merge_mergepath_config_static_selectorELNS0_4arch9wavefront6targetE0EEEvSM_ ; -- Begin function _ZN7rocprim17ROCPRIM_400000_NS6detail17trampoline_kernelINS0_14default_configENS1_38merge_sort_block_merge_config_selectorIlNS0_10empty_typeEEEZZNS1_27merge_sort_block_merge_implIS3_PlPS5_mZN2at6native12_GLOBAL__N_124unique_dim_cuda_templateItEESt5tupleIJNSA_6TensorESF_SF_EERKSF_lbbbEUlllE_EE10hipError_tT0_T1_T2_jT3_P12ihipStream_tbPNSt15iterator_traitsISL_E10value_typeEPNSR_ISM_E10value_typeEPSN_NS1_7vsmem_tEENKUlT_SL_SM_SN_E_clIS8_S8_S9_S9_EESK_S10_SL_SM_SN_EUlS10_E0_NS1_11comp_targetILNS1_3genE0ELNS1_11target_archE4294967295ELNS1_3gpuE0ELNS1_3repE0EEENS1_38merge_mergepath_config_static_selectorELNS0_4arch9wavefront6targetE0EEEvSM_
	.p2align	8
	.type	_ZN7rocprim17ROCPRIM_400000_NS6detail17trampoline_kernelINS0_14default_configENS1_38merge_sort_block_merge_config_selectorIlNS0_10empty_typeEEEZZNS1_27merge_sort_block_merge_implIS3_PlPS5_mZN2at6native12_GLOBAL__N_124unique_dim_cuda_templateItEESt5tupleIJNSA_6TensorESF_SF_EERKSF_lbbbEUlllE_EE10hipError_tT0_T1_T2_jT3_P12ihipStream_tbPNSt15iterator_traitsISL_E10value_typeEPNSR_ISM_E10value_typeEPSN_NS1_7vsmem_tEENKUlT_SL_SM_SN_E_clIS8_S8_S9_S9_EESK_S10_SL_SM_SN_EUlS10_E0_NS1_11comp_targetILNS1_3genE0ELNS1_11target_archE4294967295ELNS1_3gpuE0ELNS1_3repE0EEENS1_38merge_mergepath_config_static_selectorELNS0_4arch9wavefront6targetE0EEEvSM_,@function
_ZN7rocprim17ROCPRIM_400000_NS6detail17trampoline_kernelINS0_14default_configENS1_38merge_sort_block_merge_config_selectorIlNS0_10empty_typeEEEZZNS1_27merge_sort_block_merge_implIS3_PlPS5_mZN2at6native12_GLOBAL__N_124unique_dim_cuda_templateItEESt5tupleIJNSA_6TensorESF_SF_EERKSF_lbbbEUlllE_EE10hipError_tT0_T1_T2_jT3_P12ihipStream_tbPNSt15iterator_traitsISL_E10value_typeEPNSR_ISM_E10value_typeEPSN_NS1_7vsmem_tEENKUlT_SL_SM_SN_E_clIS8_S8_S9_S9_EESK_S10_SL_SM_SN_EUlS10_E0_NS1_11comp_targetILNS1_3genE0ELNS1_11target_archE4294967295ELNS1_3gpuE0ELNS1_3repE0EEENS1_38merge_mergepath_config_static_selectorELNS0_4arch9wavefront6targetE0EEEvSM_: ; @_ZN7rocprim17ROCPRIM_400000_NS6detail17trampoline_kernelINS0_14default_configENS1_38merge_sort_block_merge_config_selectorIlNS0_10empty_typeEEEZZNS1_27merge_sort_block_merge_implIS3_PlPS5_mZN2at6native12_GLOBAL__N_124unique_dim_cuda_templateItEESt5tupleIJNSA_6TensorESF_SF_EERKSF_lbbbEUlllE_EE10hipError_tT0_T1_T2_jT3_P12ihipStream_tbPNSt15iterator_traitsISL_E10value_typeEPNSR_ISM_E10value_typeEPSN_NS1_7vsmem_tEENKUlT_SL_SM_SN_E_clIS8_S8_S9_S9_EESK_S10_SL_SM_SN_EUlS10_E0_NS1_11comp_targetILNS1_3genE0ELNS1_11target_archE4294967295ELNS1_3gpuE0ELNS1_3repE0EEENS1_38merge_mergepath_config_static_selectorELNS0_4arch9wavefront6targetE0EEEvSM_
; %bb.0:
	.section	.rodata,"a",@progbits
	.p2align	6, 0x0
	.amdhsa_kernel _ZN7rocprim17ROCPRIM_400000_NS6detail17trampoline_kernelINS0_14default_configENS1_38merge_sort_block_merge_config_selectorIlNS0_10empty_typeEEEZZNS1_27merge_sort_block_merge_implIS3_PlPS5_mZN2at6native12_GLOBAL__N_124unique_dim_cuda_templateItEESt5tupleIJNSA_6TensorESF_SF_EERKSF_lbbbEUlllE_EE10hipError_tT0_T1_T2_jT3_P12ihipStream_tbPNSt15iterator_traitsISL_E10value_typeEPNSR_ISM_E10value_typeEPSN_NS1_7vsmem_tEENKUlT_SL_SM_SN_E_clIS8_S8_S9_S9_EESK_S10_SL_SM_SN_EUlS10_E0_NS1_11comp_targetILNS1_3genE0ELNS1_11target_archE4294967295ELNS1_3gpuE0ELNS1_3repE0EEENS1_38merge_mergepath_config_static_selectorELNS0_4arch9wavefront6targetE0EEEvSM_
		.amdhsa_group_segment_fixed_size 0
		.amdhsa_private_segment_fixed_size 0
		.amdhsa_kernarg_size 88
		.amdhsa_user_sgpr_count 15
		.amdhsa_user_sgpr_dispatch_ptr 0
		.amdhsa_user_sgpr_queue_ptr 0
		.amdhsa_user_sgpr_kernarg_segment_ptr 1
		.amdhsa_user_sgpr_dispatch_id 0
		.amdhsa_user_sgpr_private_segment_size 0
		.amdhsa_wavefront_size32 1
		.amdhsa_uses_dynamic_stack 0
		.amdhsa_enable_private_segment 0
		.amdhsa_system_sgpr_workgroup_id_x 1
		.amdhsa_system_sgpr_workgroup_id_y 0
		.amdhsa_system_sgpr_workgroup_id_z 0
		.amdhsa_system_sgpr_workgroup_info 0
		.amdhsa_system_vgpr_workitem_id 0
		.amdhsa_next_free_vgpr 1
		.amdhsa_next_free_sgpr 1
		.amdhsa_reserve_vcc 0
		.amdhsa_float_round_mode_32 0
		.amdhsa_float_round_mode_16_64 0
		.amdhsa_float_denorm_mode_32 3
		.amdhsa_float_denorm_mode_16_64 3
		.amdhsa_dx10_clamp 1
		.amdhsa_ieee_mode 1
		.amdhsa_fp16_overflow 0
		.amdhsa_workgroup_processor_mode 1
		.amdhsa_memory_ordered 1
		.amdhsa_forward_progress 0
		.amdhsa_shared_vgpr_count 0
		.amdhsa_exception_fp_ieee_invalid_op 0
		.amdhsa_exception_fp_denorm_src 0
		.amdhsa_exception_fp_ieee_div_zero 0
		.amdhsa_exception_fp_ieee_overflow 0
		.amdhsa_exception_fp_ieee_underflow 0
		.amdhsa_exception_fp_ieee_inexact 0
		.amdhsa_exception_int_div_zero 0
	.end_amdhsa_kernel
	.section	.text._ZN7rocprim17ROCPRIM_400000_NS6detail17trampoline_kernelINS0_14default_configENS1_38merge_sort_block_merge_config_selectorIlNS0_10empty_typeEEEZZNS1_27merge_sort_block_merge_implIS3_PlPS5_mZN2at6native12_GLOBAL__N_124unique_dim_cuda_templateItEESt5tupleIJNSA_6TensorESF_SF_EERKSF_lbbbEUlllE_EE10hipError_tT0_T1_T2_jT3_P12ihipStream_tbPNSt15iterator_traitsISL_E10value_typeEPNSR_ISM_E10value_typeEPSN_NS1_7vsmem_tEENKUlT_SL_SM_SN_E_clIS8_S8_S9_S9_EESK_S10_SL_SM_SN_EUlS10_E0_NS1_11comp_targetILNS1_3genE0ELNS1_11target_archE4294967295ELNS1_3gpuE0ELNS1_3repE0EEENS1_38merge_mergepath_config_static_selectorELNS0_4arch9wavefront6targetE0EEEvSM_,"axG",@progbits,_ZN7rocprim17ROCPRIM_400000_NS6detail17trampoline_kernelINS0_14default_configENS1_38merge_sort_block_merge_config_selectorIlNS0_10empty_typeEEEZZNS1_27merge_sort_block_merge_implIS3_PlPS5_mZN2at6native12_GLOBAL__N_124unique_dim_cuda_templateItEESt5tupleIJNSA_6TensorESF_SF_EERKSF_lbbbEUlllE_EE10hipError_tT0_T1_T2_jT3_P12ihipStream_tbPNSt15iterator_traitsISL_E10value_typeEPNSR_ISM_E10value_typeEPSN_NS1_7vsmem_tEENKUlT_SL_SM_SN_E_clIS8_S8_S9_S9_EESK_S10_SL_SM_SN_EUlS10_E0_NS1_11comp_targetILNS1_3genE0ELNS1_11target_archE4294967295ELNS1_3gpuE0ELNS1_3repE0EEENS1_38merge_mergepath_config_static_selectorELNS0_4arch9wavefront6targetE0EEEvSM_,comdat
.Lfunc_end1376:
	.size	_ZN7rocprim17ROCPRIM_400000_NS6detail17trampoline_kernelINS0_14default_configENS1_38merge_sort_block_merge_config_selectorIlNS0_10empty_typeEEEZZNS1_27merge_sort_block_merge_implIS3_PlPS5_mZN2at6native12_GLOBAL__N_124unique_dim_cuda_templateItEESt5tupleIJNSA_6TensorESF_SF_EERKSF_lbbbEUlllE_EE10hipError_tT0_T1_T2_jT3_P12ihipStream_tbPNSt15iterator_traitsISL_E10value_typeEPNSR_ISM_E10value_typeEPSN_NS1_7vsmem_tEENKUlT_SL_SM_SN_E_clIS8_S8_S9_S9_EESK_S10_SL_SM_SN_EUlS10_E0_NS1_11comp_targetILNS1_3genE0ELNS1_11target_archE4294967295ELNS1_3gpuE0ELNS1_3repE0EEENS1_38merge_mergepath_config_static_selectorELNS0_4arch9wavefront6targetE0EEEvSM_, .Lfunc_end1376-_ZN7rocprim17ROCPRIM_400000_NS6detail17trampoline_kernelINS0_14default_configENS1_38merge_sort_block_merge_config_selectorIlNS0_10empty_typeEEEZZNS1_27merge_sort_block_merge_implIS3_PlPS5_mZN2at6native12_GLOBAL__N_124unique_dim_cuda_templateItEESt5tupleIJNSA_6TensorESF_SF_EERKSF_lbbbEUlllE_EE10hipError_tT0_T1_T2_jT3_P12ihipStream_tbPNSt15iterator_traitsISL_E10value_typeEPNSR_ISM_E10value_typeEPSN_NS1_7vsmem_tEENKUlT_SL_SM_SN_E_clIS8_S8_S9_S9_EESK_S10_SL_SM_SN_EUlS10_E0_NS1_11comp_targetILNS1_3genE0ELNS1_11target_archE4294967295ELNS1_3gpuE0ELNS1_3repE0EEENS1_38merge_mergepath_config_static_selectorELNS0_4arch9wavefront6targetE0EEEvSM_
                                        ; -- End function
	.section	.AMDGPU.csdata,"",@progbits
; Kernel info:
; codeLenInByte = 0
; NumSgprs: 0
; NumVgprs: 0
; ScratchSize: 0
; MemoryBound: 0
; FloatMode: 240
; IeeeMode: 1
; LDSByteSize: 0 bytes/workgroup (compile time only)
; SGPRBlocks: 0
; VGPRBlocks: 0
; NumSGPRsForWavesPerEU: 1
; NumVGPRsForWavesPerEU: 1
; Occupancy: 16
; WaveLimiterHint : 0
; COMPUTE_PGM_RSRC2:SCRATCH_EN: 0
; COMPUTE_PGM_RSRC2:USER_SGPR: 15
; COMPUTE_PGM_RSRC2:TRAP_HANDLER: 0
; COMPUTE_PGM_RSRC2:TGID_X_EN: 1
; COMPUTE_PGM_RSRC2:TGID_Y_EN: 0
; COMPUTE_PGM_RSRC2:TGID_Z_EN: 0
; COMPUTE_PGM_RSRC2:TIDIG_COMP_CNT: 0
	.section	.text._ZN7rocprim17ROCPRIM_400000_NS6detail17trampoline_kernelINS0_14default_configENS1_38merge_sort_block_merge_config_selectorIlNS0_10empty_typeEEEZZNS1_27merge_sort_block_merge_implIS3_PlPS5_mZN2at6native12_GLOBAL__N_124unique_dim_cuda_templateItEESt5tupleIJNSA_6TensorESF_SF_EERKSF_lbbbEUlllE_EE10hipError_tT0_T1_T2_jT3_P12ihipStream_tbPNSt15iterator_traitsISL_E10value_typeEPNSR_ISM_E10value_typeEPSN_NS1_7vsmem_tEENKUlT_SL_SM_SN_E_clIS8_S8_S9_S9_EESK_S10_SL_SM_SN_EUlS10_E0_NS1_11comp_targetILNS1_3genE10ELNS1_11target_archE1201ELNS1_3gpuE5ELNS1_3repE0EEENS1_38merge_mergepath_config_static_selectorELNS0_4arch9wavefront6targetE0EEEvSM_,"axG",@progbits,_ZN7rocprim17ROCPRIM_400000_NS6detail17trampoline_kernelINS0_14default_configENS1_38merge_sort_block_merge_config_selectorIlNS0_10empty_typeEEEZZNS1_27merge_sort_block_merge_implIS3_PlPS5_mZN2at6native12_GLOBAL__N_124unique_dim_cuda_templateItEESt5tupleIJNSA_6TensorESF_SF_EERKSF_lbbbEUlllE_EE10hipError_tT0_T1_T2_jT3_P12ihipStream_tbPNSt15iterator_traitsISL_E10value_typeEPNSR_ISM_E10value_typeEPSN_NS1_7vsmem_tEENKUlT_SL_SM_SN_E_clIS8_S8_S9_S9_EESK_S10_SL_SM_SN_EUlS10_E0_NS1_11comp_targetILNS1_3genE10ELNS1_11target_archE1201ELNS1_3gpuE5ELNS1_3repE0EEENS1_38merge_mergepath_config_static_selectorELNS0_4arch9wavefront6targetE0EEEvSM_,comdat
	.globl	_ZN7rocprim17ROCPRIM_400000_NS6detail17trampoline_kernelINS0_14default_configENS1_38merge_sort_block_merge_config_selectorIlNS0_10empty_typeEEEZZNS1_27merge_sort_block_merge_implIS3_PlPS5_mZN2at6native12_GLOBAL__N_124unique_dim_cuda_templateItEESt5tupleIJNSA_6TensorESF_SF_EERKSF_lbbbEUlllE_EE10hipError_tT0_T1_T2_jT3_P12ihipStream_tbPNSt15iterator_traitsISL_E10value_typeEPNSR_ISM_E10value_typeEPSN_NS1_7vsmem_tEENKUlT_SL_SM_SN_E_clIS8_S8_S9_S9_EESK_S10_SL_SM_SN_EUlS10_E0_NS1_11comp_targetILNS1_3genE10ELNS1_11target_archE1201ELNS1_3gpuE5ELNS1_3repE0EEENS1_38merge_mergepath_config_static_selectorELNS0_4arch9wavefront6targetE0EEEvSM_ ; -- Begin function _ZN7rocprim17ROCPRIM_400000_NS6detail17trampoline_kernelINS0_14default_configENS1_38merge_sort_block_merge_config_selectorIlNS0_10empty_typeEEEZZNS1_27merge_sort_block_merge_implIS3_PlPS5_mZN2at6native12_GLOBAL__N_124unique_dim_cuda_templateItEESt5tupleIJNSA_6TensorESF_SF_EERKSF_lbbbEUlllE_EE10hipError_tT0_T1_T2_jT3_P12ihipStream_tbPNSt15iterator_traitsISL_E10value_typeEPNSR_ISM_E10value_typeEPSN_NS1_7vsmem_tEENKUlT_SL_SM_SN_E_clIS8_S8_S9_S9_EESK_S10_SL_SM_SN_EUlS10_E0_NS1_11comp_targetILNS1_3genE10ELNS1_11target_archE1201ELNS1_3gpuE5ELNS1_3repE0EEENS1_38merge_mergepath_config_static_selectorELNS0_4arch9wavefront6targetE0EEEvSM_
	.p2align	8
	.type	_ZN7rocprim17ROCPRIM_400000_NS6detail17trampoline_kernelINS0_14default_configENS1_38merge_sort_block_merge_config_selectorIlNS0_10empty_typeEEEZZNS1_27merge_sort_block_merge_implIS3_PlPS5_mZN2at6native12_GLOBAL__N_124unique_dim_cuda_templateItEESt5tupleIJNSA_6TensorESF_SF_EERKSF_lbbbEUlllE_EE10hipError_tT0_T1_T2_jT3_P12ihipStream_tbPNSt15iterator_traitsISL_E10value_typeEPNSR_ISM_E10value_typeEPSN_NS1_7vsmem_tEENKUlT_SL_SM_SN_E_clIS8_S8_S9_S9_EESK_S10_SL_SM_SN_EUlS10_E0_NS1_11comp_targetILNS1_3genE10ELNS1_11target_archE1201ELNS1_3gpuE5ELNS1_3repE0EEENS1_38merge_mergepath_config_static_selectorELNS0_4arch9wavefront6targetE0EEEvSM_,@function
_ZN7rocprim17ROCPRIM_400000_NS6detail17trampoline_kernelINS0_14default_configENS1_38merge_sort_block_merge_config_selectorIlNS0_10empty_typeEEEZZNS1_27merge_sort_block_merge_implIS3_PlPS5_mZN2at6native12_GLOBAL__N_124unique_dim_cuda_templateItEESt5tupleIJNSA_6TensorESF_SF_EERKSF_lbbbEUlllE_EE10hipError_tT0_T1_T2_jT3_P12ihipStream_tbPNSt15iterator_traitsISL_E10value_typeEPNSR_ISM_E10value_typeEPSN_NS1_7vsmem_tEENKUlT_SL_SM_SN_E_clIS8_S8_S9_S9_EESK_S10_SL_SM_SN_EUlS10_E0_NS1_11comp_targetILNS1_3genE10ELNS1_11target_archE1201ELNS1_3gpuE5ELNS1_3repE0EEENS1_38merge_mergepath_config_static_selectorELNS0_4arch9wavefront6targetE0EEEvSM_: ; @_ZN7rocprim17ROCPRIM_400000_NS6detail17trampoline_kernelINS0_14default_configENS1_38merge_sort_block_merge_config_selectorIlNS0_10empty_typeEEEZZNS1_27merge_sort_block_merge_implIS3_PlPS5_mZN2at6native12_GLOBAL__N_124unique_dim_cuda_templateItEESt5tupleIJNSA_6TensorESF_SF_EERKSF_lbbbEUlllE_EE10hipError_tT0_T1_T2_jT3_P12ihipStream_tbPNSt15iterator_traitsISL_E10value_typeEPNSR_ISM_E10value_typeEPSN_NS1_7vsmem_tEENKUlT_SL_SM_SN_E_clIS8_S8_S9_S9_EESK_S10_SL_SM_SN_EUlS10_E0_NS1_11comp_targetILNS1_3genE10ELNS1_11target_archE1201ELNS1_3gpuE5ELNS1_3repE0EEENS1_38merge_mergepath_config_static_selectorELNS0_4arch9wavefront6targetE0EEEvSM_
; %bb.0:
	.section	.rodata,"a",@progbits
	.p2align	6, 0x0
	.amdhsa_kernel _ZN7rocprim17ROCPRIM_400000_NS6detail17trampoline_kernelINS0_14default_configENS1_38merge_sort_block_merge_config_selectorIlNS0_10empty_typeEEEZZNS1_27merge_sort_block_merge_implIS3_PlPS5_mZN2at6native12_GLOBAL__N_124unique_dim_cuda_templateItEESt5tupleIJNSA_6TensorESF_SF_EERKSF_lbbbEUlllE_EE10hipError_tT0_T1_T2_jT3_P12ihipStream_tbPNSt15iterator_traitsISL_E10value_typeEPNSR_ISM_E10value_typeEPSN_NS1_7vsmem_tEENKUlT_SL_SM_SN_E_clIS8_S8_S9_S9_EESK_S10_SL_SM_SN_EUlS10_E0_NS1_11comp_targetILNS1_3genE10ELNS1_11target_archE1201ELNS1_3gpuE5ELNS1_3repE0EEENS1_38merge_mergepath_config_static_selectorELNS0_4arch9wavefront6targetE0EEEvSM_
		.amdhsa_group_segment_fixed_size 0
		.amdhsa_private_segment_fixed_size 0
		.amdhsa_kernarg_size 88
		.amdhsa_user_sgpr_count 15
		.amdhsa_user_sgpr_dispatch_ptr 0
		.amdhsa_user_sgpr_queue_ptr 0
		.amdhsa_user_sgpr_kernarg_segment_ptr 1
		.amdhsa_user_sgpr_dispatch_id 0
		.amdhsa_user_sgpr_private_segment_size 0
		.amdhsa_wavefront_size32 1
		.amdhsa_uses_dynamic_stack 0
		.amdhsa_enable_private_segment 0
		.amdhsa_system_sgpr_workgroup_id_x 1
		.amdhsa_system_sgpr_workgroup_id_y 0
		.amdhsa_system_sgpr_workgroup_id_z 0
		.amdhsa_system_sgpr_workgroup_info 0
		.amdhsa_system_vgpr_workitem_id 0
		.amdhsa_next_free_vgpr 1
		.amdhsa_next_free_sgpr 1
		.amdhsa_reserve_vcc 0
		.amdhsa_float_round_mode_32 0
		.amdhsa_float_round_mode_16_64 0
		.amdhsa_float_denorm_mode_32 3
		.amdhsa_float_denorm_mode_16_64 3
		.amdhsa_dx10_clamp 1
		.amdhsa_ieee_mode 1
		.amdhsa_fp16_overflow 0
		.amdhsa_workgroup_processor_mode 1
		.amdhsa_memory_ordered 1
		.amdhsa_forward_progress 0
		.amdhsa_shared_vgpr_count 0
		.amdhsa_exception_fp_ieee_invalid_op 0
		.amdhsa_exception_fp_denorm_src 0
		.amdhsa_exception_fp_ieee_div_zero 0
		.amdhsa_exception_fp_ieee_overflow 0
		.amdhsa_exception_fp_ieee_underflow 0
		.amdhsa_exception_fp_ieee_inexact 0
		.amdhsa_exception_int_div_zero 0
	.end_amdhsa_kernel
	.section	.text._ZN7rocprim17ROCPRIM_400000_NS6detail17trampoline_kernelINS0_14default_configENS1_38merge_sort_block_merge_config_selectorIlNS0_10empty_typeEEEZZNS1_27merge_sort_block_merge_implIS3_PlPS5_mZN2at6native12_GLOBAL__N_124unique_dim_cuda_templateItEESt5tupleIJNSA_6TensorESF_SF_EERKSF_lbbbEUlllE_EE10hipError_tT0_T1_T2_jT3_P12ihipStream_tbPNSt15iterator_traitsISL_E10value_typeEPNSR_ISM_E10value_typeEPSN_NS1_7vsmem_tEENKUlT_SL_SM_SN_E_clIS8_S8_S9_S9_EESK_S10_SL_SM_SN_EUlS10_E0_NS1_11comp_targetILNS1_3genE10ELNS1_11target_archE1201ELNS1_3gpuE5ELNS1_3repE0EEENS1_38merge_mergepath_config_static_selectorELNS0_4arch9wavefront6targetE0EEEvSM_,"axG",@progbits,_ZN7rocprim17ROCPRIM_400000_NS6detail17trampoline_kernelINS0_14default_configENS1_38merge_sort_block_merge_config_selectorIlNS0_10empty_typeEEEZZNS1_27merge_sort_block_merge_implIS3_PlPS5_mZN2at6native12_GLOBAL__N_124unique_dim_cuda_templateItEESt5tupleIJNSA_6TensorESF_SF_EERKSF_lbbbEUlllE_EE10hipError_tT0_T1_T2_jT3_P12ihipStream_tbPNSt15iterator_traitsISL_E10value_typeEPNSR_ISM_E10value_typeEPSN_NS1_7vsmem_tEENKUlT_SL_SM_SN_E_clIS8_S8_S9_S9_EESK_S10_SL_SM_SN_EUlS10_E0_NS1_11comp_targetILNS1_3genE10ELNS1_11target_archE1201ELNS1_3gpuE5ELNS1_3repE0EEENS1_38merge_mergepath_config_static_selectorELNS0_4arch9wavefront6targetE0EEEvSM_,comdat
.Lfunc_end1377:
	.size	_ZN7rocprim17ROCPRIM_400000_NS6detail17trampoline_kernelINS0_14default_configENS1_38merge_sort_block_merge_config_selectorIlNS0_10empty_typeEEEZZNS1_27merge_sort_block_merge_implIS3_PlPS5_mZN2at6native12_GLOBAL__N_124unique_dim_cuda_templateItEESt5tupleIJNSA_6TensorESF_SF_EERKSF_lbbbEUlllE_EE10hipError_tT0_T1_T2_jT3_P12ihipStream_tbPNSt15iterator_traitsISL_E10value_typeEPNSR_ISM_E10value_typeEPSN_NS1_7vsmem_tEENKUlT_SL_SM_SN_E_clIS8_S8_S9_S9_EESK_S10_SL_SM_SN_EUlS10_E0_NS1_11comp_targetILNS1_3genE10ELNS1_11target_archE1201ELNS1_3gpuE5ELNS1_3repE0EEENS1_38merge_mergepath_config_static_selectorELNS0_4arch9wavefront6targetE0EEEvSM_, .Lfunc_end1377-_ZN7rocprim17ROCPRIM_400000_NS6detail17trampoline_kernelINS0_14default_configENS1_38merge_sort_block_merge_config_selectorIlNS0_10empty_typeEEEZZNS1_27merge_sort_block_merge_implIS3_PlPS5_mZN2at6native12_GLOBAL__N_124unique_dim_cuda_templateItEESt5tupleIJNSA_6TensorESF_SF_EERKSF_lbbbEUlllE_EE10hipError_tT0_T1_T2_jT3_P12ihipStream_tbPNSt15iterator_traitsISL_E10value_typeEPNSR_ISM_E10value_typeEPSN_NS1_7vsmem_tEENKUlT_SL_SM_SN_E_clIS8_S8_S9_S9_EESK_S10_SL_SM_SN_EUlS10_E0_NS1_11comp_targetILNS1_3genE10ELNS1_11target_archE1201ELNS1_3gpuE5ELNS1_3repE0EEENS1_38merge_mergepath_config_static_selectorELNS0_4arch9wavefront6targetE0EEEvSM_
                                        ; -- End function
	.section	.AMDGPU.csdata,"",@progbits
; Kernel info:
; codeLenInByte = 0
; NumSgprs: 0
; NumVgprs: 0
; ScratchSize: 0
; MemoryBound: 0
; FloatMode: 240
; IeeeMode: 1
; LDSByteSize: 0 bytes/workgroup (compile time only)
; SGPRBlocks: 0
; VGPRBlocks: 0
; NumSGPRsForWavesPerEU: 1
; NumVGPRsForWavesPerEU: 1
; Occupancy: 16
; WaveLimiterHint : 0
; COMPUTE_PGM_RSRC2:SCRATCH_EN: 0
; COMPUTE_PGM_RSRC2:USER_SGPR: 15
; COMPUTE_PGM_RSRC2:TRAP_HANDLER: 0
; COMPUTE_PGM_RSRC2:TGID_X_EN: 1
; COMPUTE_PGM_RSRC2:TGID_Y_EN: 0
; COMPUTE_PGM_RSRC2:TGID_Z_EN: 0
; COMPUTE_PGM_RSRC2:TIDIG_COMP_CNT: 0
	.section	.text._ZN7rocprim17ROCPRIM_400000_NS6detail17trampoline_kernelINS0_14default_configENS1_38merge_sort_block_merge_config_selectorIlNS0_10empty_typeEEEZZNS1_27merge_sort_block_merge_implIS3_PlPS5_mZN2at6native12_GLOBAL__N_124unique_dim_cuda_templateItEESt5tupleIJNSA_6TensorESF_SF_EERKSF_lbbbEUlllE_EE10hipError_tT0_T1_T2_jT3_P12ihipStream_tbPNSt15iterator_traitsISL_E10value_typeEPNSR_ISM_E10value_typeEPSN_NS1_7vsmem_tEENKUlT_SL_SM_SN_E_clIS8_S8_S9_S9_EESK_S10_SL_SM_SN_EUlS10_E0_NS1_11comp_targetILNS1_3genE5ELNS1_11target_archE942ELNS1_3gpuE9ELNS1_3repE0EEENS1_38merge_mergepath_config_static_selectorELNS0_4arch9wavefront6targetE0EEEvSM_,"axG",@progbits,_ZN7rocprim17ROCPRIM_400000_NS6detail17trampoline_kernelINS0_14default_configENS1_38merge_sort_block_merge_config_selectorIlNS0_10empty_typeEEEZZNS1_27merge_sort_block_merge_implIS3_PlPS5_mZN2at6native12_GLOBAL__N_124unique_dim_cuda_templateItEESt5tupleIJNSA_6TensorESF_SF_EERKSF_lbbbEUlllE_EE10hipError_tT0_T1_T2_jT3_P12ihipStream_tbPNSt15iterator_traitsISL_E10value_typeEPNSR_ISM_E10value_typeEPSN_NS1_7vsmem_tEENKUlT_SL_SM_SN_E_clIS8_S8_S9_S9_EESK_S10_SL_SM_SN_EUlS10_E0_NS1_11comp_targetILNS1_3genE5ELNS1_11target_archE942ELNS1_3gpuE9ELNS1_3repE0EEENS1_38merge_mergepath_config_static_selectorELNS0_4arch9wavefront6targetE0EEEvSM_,comdat
	.globl	_ZN7rocprim17ROCPRIM_400000_NS6detail17trampoline_kernelINS0_14default_configENS1_38merge_sort_block_merge_config_selectorIlNS0_10empty_typeEEEZZNS1_27merge_sort_block_merge_implIS3_PlPS5_mZN2at6native12_GLOBAL__N_124unique_dim_cuda_templateItEESt5tupleIJNSA_6TensorESF_SF_EERKSF_lbbbEUlllE_EE10hipError_tT0_T1_T2_jT3_P12ihipStream_tbPNSt15iterator_traitsISL_E10value_typeEPNSR_ISM_E10value_typeEPSN_NS1_7vsmem_tEENKUlT_SL_SM_SN_E_clIS8_S8_S9_S9_EESK_S10_SL_SM_SN_EUlS10_E0_NS1_11comp_targetILNS1_3genE5ELNS1_11target_archE942ELNS1_3gpuE9ELNS1_3repE0EEENS1_38merge_mergepath_config_static_selectorELNS0_4arch9wavefront6targetE0EEEvSM_ ; -- Begin function _ZN7rocprim17ROCPRIM_400000_NS6detail17trampoline_kernelINS0_14default_configENS1_38merge_sort_block_merge_config_selectorIlNS0_10empty_typeEEEZZNS1_27merge_sort_block_merge_implIS3_PlPS5_mZN2at6native12_GLOBAL__N_124unique_dim_cuda_templateItEESt5tupleIJNSA_6TensorESF_SF_EERKSF_lbbbEUlllE_EE10hipError_tT0_T1_T2_jT3_P12ihipStream_tbPNSt15iterator_traitsISL_E10value_typeEPNSR_ISM_E10value_typeEPSN_NS1_7vsmem_tEENKUlT_SL_SM_SN_E_clIS8_S8_S9_S9_EESK_S10_SL_SM_SN_EUlS10_E0_NS1_11comp_targetILNS1_3genE5ELNS1_11target_archE942ELNS1_3gpuE9ELNS1_3repE0EEENS1_38merge_mergepath_config_static_selectorELNS0_4arch9wavefront6targetE0EEEvSM_
	.p2align	8
	.type	_ZN7rocprim17ROCPRIM_400000_NS6detail17trampoline_kernelINS0_14default_configENS1_38merge_sort_block_merge_config_selectorIlNS0_10empty_typeEEEZZNS1_27merge_sort_block_merge_implIS3_PlPS5_mZN2at6native12_GLOBAL__N_124unique_dim_cuda_templateItEESt5tupleIJNSA_6TensorESF_SF_EERKSF_lbbbEUlllE_EE10hipError_tT0_T1_T2_jT3_P12ihipStream_tbPNSt15iterator_traitsISL_E10value_typeEPNSR_ISM_E10value_typeEPSN_NS1_7vsmem_tEENKUlT_SL_SM_SN_E_clIS8_S8_S9_S9_EESK_S10_SL_SM_SN_EUlS10_E0_NS1_11comp_targetILNS1_3genE5ELNS1_11target_archE942ELNS1_3gpuE9ELNS1_3repE0EEENS1_38merge_mergepath_config_static_selectorELNS0_4arch9wavefront6targetE0EEEvSM_,@function
_ZN7rocprim17ROCPRIM_400000_NS6detail17trampoline_kernelINS0_14default_configENS1_38merge_sort_block_merge_config_selectorIlNS0_10empty_typeEEEZZNS1_27merge_sort_block_merge_implIS3_PlPS5_mZN2at6native12_GLOBAL__N_124unique_dim_cuda_templateItEESt5tupleIJNSA_6TensorESF_SF_EERKSF_lbbbEUlllE_EE10hipError_tT0_T1_T2_jT3_P12ihipStream_tbPNSt15iterator_traitsISL_E10value_typeEPNSR_ISM_E10value_typeEPSN_NS1_7vsmem_tEENKUlT_SL_SM_SN_E_clIS8_S8_S9_S9_EESK_S10_SL_SM_SN_EUlS10_E0_NS1_11comp_targetILNS1_3genE5ELNS1_11target_archE942ELNS1_3gpuE9ELNS1_3repE0EEENS1_38merge_mergepath_config_static_selectorELNS0_4arch9wavefront6targetE0EEEvSM_: ; @_ZN7rocprim17ROCPRIM_400000_NS6detail17trampoline_kernelINS0_14default_configENS1_38merge_sort_block_merge_config_selectorIlNS0_10empty_typeEEEZZNS1_27merge_sort_block_merge_implIS3_PlPS5_mZN2at6native12_GLOBAL__N_124unique_dim_cuda_templateItEESt5tupleIJNSA_6TensorESF_SF_EERKSF_lbbbEUlllE_EE10hipError_tT0_T1_T2_jT3_P12ihipStream_tbPNSt15iterator_traitsISL_E10value_typeEPNSR_ISM_E10value_typeEPSN_NS1_7vsmem_tEENKUlT_SL_SM_SN_E_clIS8_S8_S9_S9_EESK_S10_SL_SM_SN_EUlS10_E0_NS1_11comp_targetILNS1_3genE5ELNS1_11target_archE942ELNS1_3gpuE9ELNS1_3repE0EEENS1_38merge_mergepath_config_static_selectorELNS0_4arch9wavefront6targetE0EEEvSM_
; %bb.0:
	.section	.rodata,"a",@progbits
	.p2align	6, 0x0
	.amdhsa_kernel _ZN7rocprim17ROCPRIM_400000_NS6detail17trampoline_kernelINS0_14default_configENS1_38merge_sort_block_merge_config_selectorIlNS0_10empty_typeEEEZZNS1_27merge_sort_block_merge_implIS3_PlPS5_mZN2at6native12_GLOBAL__N_124unique_dim_cuda_templateItEESt5tupleIJNSA_6TensorESF_SF_EERKSF_lbbbEUlllE_EE10hipError_tT0_T1_T2_jT3_P12ihipStream_tbPNSt15iterator_traitsISL_E10value_typeEPNSR_ISM_E10value_typeEPSN_NS1_7vsmem_tEENKUlT_SL_SM_SN_E_clIS8_S8_S9_S9_EESK_S10_SL_SM_SN_EUlS10_E0_NS1_11comp_targetILNS1_3genE5ELNS1_11target_archE942ELNS1_3gpuE9ELNS1_3repE0EEENS1_38merge_mergepath_config_static_selectorELNS0_4arch9wavefront6targetE0EEEvSM_
		.amdhsa_group_segment_fixed_size 0
		.amdhsa_private_segment_fixed_size 0
		.amdhsa_kernarg_size 88
		.amdhsa_user_sgpr_count 15
		.amdhsa_user_sgpr_dispatch_ptr 0
		.amdhsa_user_sgpr_queue_ptr 0
		.amdhsa_user_sgpr_kernarg_segment_ptr 1
		.amdhsa_user_sgpr_dispatch_id 0
		.amdhsa_user_sgpr_private_segment_size 0
		.amdhsa_wavefront_size32 1
		.amdhsa_uses_dynamic_stack 0
		.amdhsa_enable_private_segment 0
		.amdhsa_system_sgpr_workgroup_id_x 1
		.amdhsa_system_sgpr_workgroup_id_y 0
		.amdhsa_system_sgpr_workgroup_id_z 0
		.amdhsa_system_sgpr_workgroup_info 0
		.amdhsa_system_vgpr_workitem_id 0
		.amdhsa_next_free_vgpr 1
		.amdhsa_next_free_sgpr 1
		.amdhsa_reserve_vcc 0
		.amdhsa_float_round_mode_32 0
		.amdhsa_float_round_mode_16_64 0
		.amdhsa_float_denorm_mode_32 3
		.amdhsa_float_denorm_mode_16_64 3
		.amdhsa_dx10_clamp 1
		.amdhsa_ieee_mode 1
		.amdhsa_fp16_overflow 0
		.amdhsa_workgroup_processor_mode 1
		.amdhsa_memory_ordered 1
		.amdhsa_forward_progress 0
		.amdhsa_shared_vgpr_count 0
		.amdhsa_exception_fp_ieee_invalid_op 0
		.amdhsa_exception_fp_denorm_src 0
		.amdhsa_exception_fp_ieee_div_zero 0
		.amdhsa_exception_fp_ieee_overflow 0
		.amdhsa_exception_fp_ieee_underflow 0
		.amdhsa_exception_fp_ieee_inexact 0
		.amdhsa_exception_int_div_zero 0
	.end_amdhsa_kernel
	.section	.text._ZN7rocprim17ROCPRIM_400000_NS6detail17trampoline_kernelINS0_14default_configENS1_38merge_sort_block_merge_config_selectorIlNS0_10empty_typeEEEZZNS1_27merge_sort_block_merge_implIS3_PlPS5_mZN2at6native12_GLOBAL__N_124unique_dim_cuda_templateItEESt5tupleIJNSA_6TensorESF_SF_EERKSF_lbbbEUlllE_EE10hipError_tT0_T1_T2_jT3_P12ihipStream_tbPNSt15iterator_traitsISL_E10value_typeEPNSR_ISM_E10value_typeEPSN_NS1_7vsmem_tEENKUlT_SL_SM_SN_E_clIS8_S8_S9_S9_EESK_S10_SL_SM_SN_EUlS10_E0_NS1_11comp_targetILNS1_3genE5ELNS1_11target_archE942ELNS1_3gpuE9ELNS1_3repE0EEENS1_38merge_mergepath_config_static_selectorELNS0_4arch9wavefront6targetE0EEEvSM_,"axG",@progbits,_ZN7rocprim17ROCPRIM_400000_NS6detail17trampoline_kernelINS0_14default_configENS1_38merge_sort_block_merge_config_selectorIlNS0_10empty_typeEEEZZNS1_27merge_sort_block_merge_implIS3_PlPS5_mZN2at6native12_GLOBAL__N_124unique_dim_cuda_templateItEESt5tupleIJNSA_6TensorESF_SF_EERKSF_lbbbEUlllE_EE10hipError_tT0_T1_T2_jT3_P12ihipStream_tbPNSt15iterator_traitsISL_E10value_typeEPNSR_ISM_E10value_typeEPSN_NS1_7vsmem_tEENKUlT_SL_SM_SN_E_clIS8_S8_S9_S9_EESK_S10_SL_SM_SN_EUlS10_E0_NS1_11comp_targetILNS1_3genE5ELNS1_11target_archE942ELNS1_3gpuE9ELNS1_3repE0EEENS1_38merge_mergepath_config_static_selectorELNS0_4arch9wavefront6targetE0EEEvSM_,comdat
.Lfunc_end1378:
	.size	_ZN7rocprim17ROCPRIM_400000_NS6detail17trampoline_kernelINS0_14default_configENS1_38merge_sort_block_merge_config_selectorIlNS0_10empty_typeEEEZZNS1_27merge_sort_block_merge_implIS3_PlPS5_mZN2at6native12_GLOBAL__N_124unique_dim_cuda_templateItEESt5tupleIJNSA_6TensorESF_SF_EERKSF_lbbbEUlllE_EE10hipError_tT0_T1_T2_jT3_P12ihipStream_tbPNSt15iterator_traitsISL_E10value_typeEPNSR_ISM_E10value_typeEPSN_NS1_7vsmem_tEENKUlT_SL_SM_SN_E_clIS8_S8_S9_S9_EESK_S10_SL_SM_SN_EUlS10_E0_NS1_11comp_targetILNS1_3genE5ELNS1_11target_archE942ELNS1_3gpuE9ELNS1_3repE0EEENS1_38merge_mergepath_config_static_selectorELNS0_4arch9wavefront6targetE0EEEvSM_, .Lfunc_end1378-_ZN7rocprim17ROCPRIM_400000_NS6detail17trampoline_kernelINS0_14default_configENS1_38merge_sort_block_merge_config_selectorIlNS0_10empty_typeEEEZZNS1_27merge_sort_block_merge_implIS3_PlPS5_mZN2at6native12_GLOBAL__N_124unique_dim_cuda_templateItEESt5tupleIJNSA_6TensorESF_SF_EERKSF_lbbbEUlllE_EE10hipError_tT0_T1_T2_jT3_P12ihipStream_tbPNSt15iterator_traitsISL_E10value_typeEPNSR_ISM_E10value_typeEPSN_NS1_7vsmem_tEENKUlT_SL_SM_SN_E_clIS8_S8_S9_S9_EESK_S10_SL_SM_SN_EUlS10_E0_NS1_11comp_targetILNS1_3genE5ELNS1_11target_archE942ELNS1_3gpuE9ELNS1_3repE0EEENS1_38merge_mergepath_config_static_selectorELNS0_4arch9wavefront6targetE0EEEvSM_
                                        ; -- End function
	.section	.AMDGPU.csdata,"",@progbits
; Kernel info:
; codeLenInByte = 0
; NumSgprs: 0
; NumVgprs: 0
; ScratchSize: 0
; MemoryBound: 0
; FloatMode: 240
; IeeeMode: 1
; LDSByteSize: 0 bytes/workgroup (compile time only)
; SGPRBlocks: 0
; VGPRBlocks: 0
; NumSGPRsForWavesPerEU: 1
; NumVGPRsForWavesPerEU: 1
; Occupancy: 16
; WaveLimiterHint : 0
; COMPUTE_PGM_RSRC2:SCRATCH_EN: 0
; COMPUTE_PGM_RSRC2:USER_SGPR: 15
; COMPUTE_PGM_RSRC2:TRAP_HANDLER: 0
; COMPUTE_PGM_RSRC2:TGID_X_EN: 1
; COMPUTE_PGM_RSRC2:TGID_Y_EN: 0
; COMPUTE_PGM_RSRC2:TGID_Z_EN: 0
; COMPUTE_PGM_RSRC2:TIDIG_COMP_CNT: 0
	.section	.text._ZN7rocprim17ROCPRIM_400000_NS6detail17trampoline_kernelINS0_14default_configENS1_38merge_sort_block_merge_config_selectorIlNS0_10empty_typeEEEZZNS1_27merge_sort_block_merge_implIS3_PlPS5_mZN2at6native12_GLOBAL__N_124unique_dim_cuda_templateItEESt5tupleIJNSA_6TensorESF_SF_EERKSF_lbbbEUlllE_EE10hipError_tT0_T1_T2_jT3_P12ihipStream_tbPNSt15iterator_traitsISL_E10value_typeEPNSR_ISM_E10value_typeEPSN_NS1_7vsmem_tEENKUlT_SL_SM_SN_E_clIS8_S8_S9_S9_EESK_S10_SL_SM_SN_EUlS10_E0_NS1_11comp_targetILNS1_3genE4ELNS1_11target_archE910ELNS1_3gpuE8ELNS1_3repE0EEENS1_38merge_mergepath_config_static_selectorELNS0_4arch9wavefront6targetE0EEEvSM_,"axG",@progbits,_ZN7rocprim17ROCPRIM_400000_NS6detail17trampoline_kernelINS0_14default_configENS1_38merge_sort_block_merge_config_selectorIlNS0_10empty_typeEEEZZNS1_27merge_sort_block_merge_implIS3_PlPS5_mZN2at6native12_GLOBAL__N_124unique_dim_cuda_templateItEESt5tupleIJNSA_6TensorESF_SF_EERKSF_lbbbEUlllE_EE10hipError_tT0_T1_T2_jT3_P12ihipStream_tbPNSt15iterator_traitsISL_E10value_typeEPNSR_ISM_E10value_typeEPSN_NS1_7vsmem_tEENKUlT_SL_SM_SN_E_clIS8_S8_S9_S9_EESK_S10_SL_SM_SN_EUlS10_E0_NS1_11comp_targetILNS1_3genE4ELNS1_11target_archE910ELNS1_3gpuE8ELNS1_3repE0EEENS1_38merge_mergepath_config_static_selectorELNS0_4arch9wavefront6targetE0EEEvSM_,comdat
	.globl	_ZN7rocprim17ROCPRIM_400000_NS6detail17trampoline_kernelINS0_14default_configENS1_38merge_sort_block_merge_config_selectorIlNS0_10empty_typeEEEZZNS1_27merge_sort_block_merge_implIS3_PlPS5_mZN2at6native12_GLOBAL__N_124unique_dim_cuda_templateItEESt5tupleIJNSA_6TensorESF_SF_EERKSF_lbbbEUlllE_EE10hipError_tT0_T1_T2_jT3_P12ihipStream_tbPNSt15iterator_traitsISL_E10value_typeEPNSR_ISM_E10value_typeEPSN_NS1_7vsmem_tEENKUlT_SL_SM_SN_E_clIS8_S8_S9_S9_EESK_S10_SL_SM_SN_EUlS10_E0_NS1_11comp_targetILNS1_3genE4ELNS1_11target_archE910ELNS1_3gpuE8ELNS1_3repE0EEENS1_38merge_mergepath_config_static_selectorELNS0_4arch9wavefront6targetE0EEEvSM_ ; -- Begin function _ZN7rocprim17ROCPRIM_400000_NS6detail17trampoline_kernelINS0_14default_configENS1_38merge_sort_block_merge_config_selectorIlNS0_10empty_typeEEEZZNS1_27merge_sort_block_merge_implIS3_PlPS5_mZN2at6native12_GLOBAL__N_124unique_dim_cuda_templateItEESt5tupleIJNSA_6TensorESF_SF_EERKSF_lbbbEUlllE_EE10hipError_tT0_T1_T2_jT3_P12ihipStream_tbPNSt15iterator_traitsISL_E10value_typeEPNSR_ISM_E10value_typeEPSN_NS1_7vsmem_tEENKUlT_SL_SM_SN_E_clIS8_S8_S9_S9_EESK_S10_SL_SM_SN_EUlS10_E0_NS1_11comp_targetILNS1_3genE4ELNS1_11target_archE910ELNS1_3gpuE8ELNS1_3repE0EEENS1_38merge_mergepath_config_static_selectorELNS0_4arch9wavefront6targetE0EEEvSM_
	.p2align	8
	.type	_ZN7rocprim17ROCPRIM_400000_NS6detail17trampoline_kernelINS0_14default_configENS1_38merge_sort_block_merge_config_selectorIlNS0_10empty_typeEEEZZNS1_27merge_sort_block_merge_implIS3_PlPS5_mZN2at6native12_GLOBAL__N_124unique_dim_cuda_templateItEESt5tupleIJNSA_6TensorESF_SF_EERKSF_lbbbEUlllE_EE10hipError_tT0_T1_T2_jT3_P12ihipStream_tbPNSt15iterator_traitsISL_E10value_typeEPNSR_ISM_E10value_typeEPSN_NS1_7vsmem_tEENKUlT_SL_SM_SN_E_clIS8_S8_S9_S9_EESK_S10_SL_SM_SN_EUlS10_E0_NS1_11comp_targetILNS1_3genE4ELNS1_11target_archE910ELNS1_3gpuE8ELNS1_3repE0EEENS1_38merge_mergepath_config_static_selectorELNS0_4arch9wavefront6targetE0EEEvSM_,@function
_ZN7rocprim17ROCPRIM_400000_NS6detail17trampoline_kernelINS0_14default_configENS1_38merge_sort_block_merge_config_selectorIlNS0_10empty_typeEEEZZNS1_27merge_sort_block_merge_implIS3_PlPS5_mZN2at6native12_GLOBAL__N_124unique_dim_cuda_templateItEESt5tupleIJNSA_6TensorESF_SF_EERKSF_lbbbEUlllE_EE10hipError_tT0_T1_T2_jT3_P12ihipStream_tbPNSt15iterator_traitsISL_E10value_typeEPNSR_ISM_E10value_typeEPSN_NS1_7vsmem_tEENKUlT_SL_SM_SN_E_clIS8_S8_S9_S9_EESK_S10_SL_SM_SN_EUlS10_E0_NS1_11comp_targetILNS1_3genE4ELNS1_11target_archE910ELNS1_3gpuE8ELNS1_3repE0EEENS1_38merge_mergepath_config_static_selectorELNS0_4arch9wavefront6targetE0EEEvSM_: ; @_ZN7rocprim17ROCPRIM_400000_NS6detail17trampoline_kernelINS0_14default_configENS1_38merge_sort_block_merge_config_selectorIlNS0_10empty_typeEEEZZNS1_27merge_sort_block_merge_implIS3_PlPS5_mZN2at6native12_GLOBAL__N_124unique_dim_cuda_templateItEESt5tupleIJNSA_6TensorESF_SF_EERKSF_lbbbEUlllE_EE10hipError_tT0_T1_T2_jT3_P12ihipStream_tbPNSt15iterator_traitsISL_E10value_typeEPNSR_ISM_E10value_typeEPSN_NS1_7vsmem_tEENKUlT_SL_SM_SN_E_clIS8_S8_S9_S9_EESK_S10_SL_SM_SN_EUlS10_E0_NS1_11comp_targetILNS1_3genE4ELNS1_11target_archE910ELNS1_3gpuE8ELNS1_3repE0EEENS1_38merge_mergepath_config_static_selectorELNS0_4arch9wavefront6targetE0EEEvSM_
; %bb.0:
	.section	.rodata,"a",@progbits
	.p2align	6, 0x0
	.amdhsa_kernel _ZN7rocprim17ROCPRIM_400000_NS6detail17trampoline_kernelINS0_14default_configENS1_38merge_sort_block_merge_config_selectorIlNS0_10empty_typeEEEZZNS1_27merge_sort_block_merge_implIS3_PlPS5_mZN2at6native12_GLOBAL__N_124unique_dim_cuda_templateItEESt5tupleIJNSA_6TensorESF_SF_EERKSF_lbbbEUlllE_EE10hipError_tT0_T1_T2_jT3_P12ihipStream_tbPNSt15iterator_traitsISL_E10value_typeEPNSR_ISM_E10value_typeEPSN_NS1_7vsmem_tEENKUlT_SL_SM_SN_E_clIS8_S8_S9_S9_EESK_S10_SL_SM_SN_EUlS10_E0_NS1_11comp_targetILNS1_3genE4ELNS1_11target_archE910ELNS1_3gpuE8ELNS1_3repE0EEENS1_38merge_mergepath_config_static_selectorELNS0_4arch9wavefront6targetE0EEEvSM_
		.amdhsa_group_segment_fixed_size 0
		.amdhsa_private_segment_fixed_size 0
		.amdhsa_kernarg_size 88
		.amdhsa_user_sgpr_count 15
		.amdhsa_user_sgpr_dispatch_ptr 0
		.amdhsa_user_sgpr_queue_ptr 0
		.amdhsa_user_sgpr_kernarg_segment_ptr 1
		.amdhsa_user_sgpr_dispatch_id 0
		.amdhsa_user_sgpr_private_segment_size 0
		.amdhsa_wavefront_size32 1
		.amdhsa_uses_dynamic_stack 0
		.amdhsa_enable_private_segment 0
		.amdhsa_system_sgpr_workgroup_id_x 1
		.amdhsa_system_sgpr_workgroup_id_y 0
		.amdhsa_system_sgpr_workgroup_id_z 0
		.amdhsa_system_sgpr_workgroup_info 0
		.amdhsa_system_vgpr_workitem_id 0
		.amdhsa_next_free_vgpr 1
		.amdhsa_next_free_sgpr 1
		.amdhsa_reserve_vcc 0
		.amdhsa_float_round_mode_32 0
		.amdhsa_float_round_mode_16_64 0
		.amdhsa_float_denorm_mode_32 3
		.amdhsa_float_denorm_mode_16_64 3
		.amdhsa_dx10_clamp 1
		.amdhsa_ieee_mode 1
		.amdhsa_fp16_overflow 0
		.amdhsa_workgroup_processor_mode 1
		.amdhsa_memory_ordered 1
		.amdhsa_forward_progress 0
		.amdhsa_shared_vgpr_count 0
		.amdhsa_exception_fp_ieee_invalid_op 0
		.amdhsa_exception_fp_denorm_src 0
		.amdhsa_exception_fp_ieee_div_zero 0
		.amdhsa_exception_fp_ieee_overflow 0
		.amdhsa_exception_fp_ieee_underflow 0
		.amdhsa_exception_fp_ieee_inexact 0
		.amdhsa_exception_int_div_zero 0
	.end_amdhsa_kernel
	.section	.text._ZN7rocprim17ROCPRIM_400000_NS6detail17trampoline_kernelINS0_14default_configENS1_38merge_sort_block_merge_config_selectorIlNS0_10empty_typeEEEZZNS1_27merge_sort_block_merge_implIS3_PlPS5_mZN2at6native12_GLOBAL__N_124unique_dim_cuda_templateItEESt5tupleIJNSA_6TensorESF_SF_EERKSF_lbbbEUlllE_EE10hipError_tT0_T1_T2_jT3_P12ihipStream_tbPNSt15iterator_traitsISL_E10value_typeEPNSR_ISM_E10value_typeEPSN_NS1_7vsmem_tEENKUlT_SL_SM_SN_E_clIS8_S8_S9_S9_EESK_S10_SL_SM_SN_EUlS10_E0_NS1_11comp_targetILNS1_3genE4ELNS1_11target_archE910ELNS1_3gpuE8ELNS1_3repE0EEENS1_38merge_mergepath_config_static_selectorELNS0_4arch9wavefront6targetE0EEEvSM_,"axG",@progbits,_ZN7rocprim17ROCPRIM_400000_NS6detail17trampoline_kernelINS0_14default_configENS1_38merge_sort_block_merge_config_selectorIlNS0_10empty_typeEEEZZNS1_27merge_sort_block_merge_implIS3_PlPS5_mZN2at6native12_GLOBAL__N_124unique_dim_cuda_templateItEESt5tupleIJNSA_6TensorESF_SF_EERKSF_lbbbEUlllE_EE10hipError_tT0_T1_T2_jT3_P12ihipStream_tbPNSt15iterator_traitsISL_E10value_typeEPNSR_ISM_E10value_typeEPSN_NS1_7vsmem_tEENKUlT_SL_SM_SN_E_clIS8_S8_S9_S9_EESK_S10_SL_SM_SN_EUlS10_E0_NS1_11comp_targetILNS1_3genE4ELNS1_11target_archE910ELNS1_3gpuE8ELNS1_3repE0EEENS1_38merge_mergepath_config_static_selectorELNS0_4arch9wavefront6targetE0EEEvSM_,comdat
.Lfunc_end1379:
	.size	_ZN7rocprim17ROCPRIM_400000_NS6detail17trampoline_kernelINS0_14default_configENS1_38merge_sort_block_merge_config_selectorIlNS0_10empty_typeEEEZZNS1_27merge_sort_block_merge_implIS3_PlPS5_mZN2at6native12_GLOBAL__N_124unique_dim_cuda_templateItEESt5tupleIJNSA_6TensorESF_SF_EERKSF_lbbbEUlllE_EE10hipError_tT0_T1_T2_jT3_P12ihipStream_tbPNSt15iterator_traitsISL_E10value_typeEPNSR_ISM_E10value_typeEPSN_NS1_7vsmem_tEENKUlT_SL_SM_SN_E_clIS8_S8_S9_S9_EESK_S10_SL_SM_SN_EUlS10_E0_NS1_11comp_targetILNS1_3genE4ELNS1_11target_archE910ELNS1_3gpuE8ELNS1_3repE0EEENS1_38merge_mergepath_config_static_selectorELNS0_4arch9wavefront6targetE0EEEvSM_, .Lfunc_end1379-_ZN7rocprim17ROCPRIM_400000_NS6detail17trampoline_kernelINS0_14default_configENS1_38merge_sort_block_merge_config_selectorIlNS0_10empty_typeEEEZZNS1_27merge_sort_block_merge_implIS3_PlPS5_mZN2at6native12_GLOBAL__N_124unique_dim_cuda_templateItEESt5tupleIJNSA_6TensorESF_SF_EERKSF_lbbbEUlllE_EE10hipError_tT0_T1_T2_jT3_P12ihipStream_tbPNSt15iterator_traitsISL_E10value_typeEPNSR_ISM_E10value_typeEPSN_NS1_7vsmem_tEENKUlT_SL_SM_SN_E_clIS8_S8_S9_S9_EESK_S10_SL_SM_SN_EUlS10_E0_NS1_11comp_targetILNS1_3genE4ELNS1_11target_archE910ELNS1_3gpuE8ELNS1_3repE0EEENS1_38merge_mergepath_config_static_selectorELNS0_4arch9wavefront6targetE0EEEvSM_
                                        ; -- End function
	.section	.AMDGPU.csdata,"",@progbits
; Kernel info:
; codeLenInByte = 0
; NumSgprs: 0
; NumVgprs: 0
; ScratchSize: 0
; MemoryBound: 0
; FloatMode: 240
; IeeeMode: 1
; LDSByteSize: 0 bytes/workgroup (compile time only)
; SGPRBlocks: 0
; VGPRBlocks: 0
; NumSGPRsForWavesPerEU: 1
; NumVGPRsForWavesPerEU: 1
; Occupancy: 16
; WaveLimiterHint : 0
; COMPUTE_PGM_RSRC2:SCRATCH_EN: 0
; COMPUTE_PGM_RSRC2:USER_SGPR: 15
; COMPUTE_PGM_RSRC2:TRAP_HANDLER: 0
; COMPUTE_PGM_RSRC2:TGID_X_EN: 1
; COMPUTE_PGM_RSRC2:TGID_Y_EN: 0
; COMPUTE_PGM_RSRC2:TGID_Z_EN: 0
; COMPUTE_PGM_RSRC2:TIDIG_COMP_CNT: 0
	.section	.text._ZN7rocprim17ROCPRIM_400000_NS6detail17trampoline_kernelINS0_14default_configENS1_38merge_sort_block_merge_config_selectorIlNS0_10empty_typeEEEZZNS1_27merge_sort_block_merge_implIS3_PlPS5_mZN2at6native12_GLOBAL__N_124unique_dim_cuda_templateItEESt5tupleIJNSA_6TensorESF_SF_EERKSF_lbbbEUlllE_EE10hipError_tT0_T1_T2_jT3_P12ihipStream_tbPNSt15iterator_traitsISL_E10value_typeEPNSR_ISM_E10value_typeEPSN_NS1_7vsmem_tEENKUlT_SL_SM_SN_E_clIS8_S8_S9_S9_EESK_S10_SL_SM_SN_EUlS10_E0_NS1_11comp_targetILNS1_3genE3ELNS1_11target_archE908ELNS1_3gpuE7ELNS1_3repE0EEENS1_38merge_mergepath_config_static_selectorELNS0_4arch9wavefront6targetE0EEEvSM_,"axG",@progbits,_ZN7rocprim17ROCPRIM_400000_NS6detail17trampoline_kernelINS0_14default_configENS1_38merge_sort_block_merge_config_selectorIlNS0_10empty_typeEEEZZNS1_27merge_sort_block_merge_implIS3_PlPS5_mZN2at6native12_GLOBAL__N_124unique_dim_cuda_templateItEESt5tupleIJNSA_6TensorESF_SF_EERKSF_lbbbEUlllE_EE10hipError_tT0_T1_T2_jT3_P12ihipStream_tbPNSt15iterator_traitsISL_E10value_typeEPNSR_ISM_E10value_typeEPSN_NS1_7vsmem_tEENKUlT_SL_SM_SN_E_clIS8_S8_S9_S9_EESK_S10_SL_SM_SN_EUlS10_E0_NS1_11comp_targetILNS1_3genE3ELNS1_11target_archE908ELNS1_3gpuE7ELNS1_3repE0EEENS1_38merge_mergepath_config_static_selectorELNS0_4arch9wavefront6targetE0EEEvSM_,comdat
	.globl	_ZN7rocprim17ROCPRIM_400000_NS6detail17trampoline_kernelINS0_14default_configENS1_38merge_sort_block_merge_config_selectorIlNS0_10empty_typeEEEZZNS1_27merge_sort_block_merge_implIS3_PlPS5_mZN2at6native12_GLOBAL__N_124unique_dim_cuda_templateItEESt5tupleIJNSA_6TensorESF_SF_EERKSF_lbbbEUlllE_EE10hipError_tT0_T1_T2_jT3_P12ihipStream_tbPNSt15iterator_traitsISL_E10value_typeEPNSR_ISM_E10value_typeEPSN_NS1_7vsmem_tEENKUlT_SL_SM_SN_E_clIS8_S8_S9_S9_EESK_S10_SL_SM_SN_EUlS10_E0_NS1_11comp_targetILNS1_3genE3ELNS1_11target_archE908ELNS1_3gpuE7ELNS1_3repE0EEENS1_38merge_mergepath_config_static_selectorELNS0_4arch9wavefront6targetE0EEEvSM_ ; -- Begin function _ZN7rocprim17ROCPRIM_400000_NS6detail17trampoline_kernelINS0_14default_configENS1_38merge_sort_block_merge_config_selectorIlNS0_10empty_typeEEEZZNS1_27merge_sort_block_merge_implIS3_PlPS5_mZN2at6native12_GLOBAL__N_124unique_dim_cuda_templateItEESt5tupleIJNSA_6TensorESF_SF_EERKSF_lbbbEUlllE_EE10hipError_tT0_T1_T2_jT3_P12ihipStream_tbPNSt15iterator_traitsISL_E10value_typeEPNSR_ISM_E10value_typeEPSN_NS1_7vsmem_tEENKUlT_SL_SM_SN_E_clIS8_S8_S9_S9_EESK_S10_SL_SM_SN_EUlS10_E0_NS1_11comp_targetILNS1_3genE3ELNS1_11target_archE908ELNS1_3gpuE7ELNS1_3repE0EEENS1_38merge_mergepath_config_static_selectorELNS0_4arch9wavefront6targetE0EEEvSM_
	.p2align	8
	.type	_ZN7rocprim17ROCPRIM_400000_NS6detail17trampoline_kernelINS0_14default_configENS1_38merge_sort_block_merge_config_selectorIlNS0_10empty_typeEEEZZNS1_27merge_sort_block_merge_implIS3_PlPS5_mZN2at6native12_GLOBAL__N_124unique_dim_cuda_templateItEESt5tupleIJNSA_6TensorESF_SF_EERKSF_lbbbEUlllE_EE10hipError_tT0_T1_T2_jT3_P12ihipStream_tbPNSt15iterator_traitsISL_E10value_typeEPNSR_ISM_E10value_typeEPSN_NS1_7vsmem_tEENKUlT_SL_SM_SN_E_clIS8_S8_S9_S9_EESK_S10_SL_SM_SN_EUlS10_E0_NS1_11comp_targetILNS1_3genE3ELNS1_11target_archE908ELNS1_3gpuE7ELNS1_3repE0EEENS1_38merge_mergepath_config_static_selectorELNS0_4arch9wavefront6targetE0EEEvSM_,@function
_ZN7rocprim17ROCPRIM_400000_NS6detail17trampoline_kernelINS0_14default_configENS1_38merge_sort_block_merge_config_selectorIlNS0_10empty_typeEEEZZNS1_27merge_sort_block_merge_implIS3_PlPS5_mZN2at6native12_GLOBAL__N_124unique_dim_cuda_templateItEESt5tupleIJNSA_6TensorESF_SF_EERKSF_lbbbEUlllE_EE10hipError_tT0_T1_T2_jT3_P12ihipStream_tbPNSt15iterator_traitsISL_E10value_typeEPNSR_ISM_E10value_typeEPSN_NS1_7vsmem_tEENKUlT_SL_SM_SN_E_clIS8_S8_S9_S9_EESK_S10_SL_SM_SN_EUlS10_E0_NS1_11comp_targetILNS1_3genE3ELNS1_11target_archE908ELNS1_3gpuE7ELNS1_3repE0EEENS1_38merge_mergepath_config_static_selectorELNS0_4arch9wavefront6targetE0EEEvSM_: ; @_ZN7rocprim17ROCPRIM_400000_NS6detail17trampoline_kernelINS0_14default_configENS1_38merge_sort_block_merge_config_selectorIlNS0_10empty_typeEEEZZNS1_27merge_sort_block_merge_implIS3_PlPS5_mZN2at6native12_GLOBAL__N_124unique_dim_cuda_templateItEESt5tupleIJNSA_6TensorESF_SF_EERKSF_lbbbEUlllE_EE10hipError_tT0_T1_T2_jT3_P12ihipStream_tbPNSt15iterator_traitsISL_E10value_typeEPNSR_ISM_E10value_typeEPSN_NS1_7vsmem_tEENKUlT_SL_SM_SN_E_clIS8_S8_S9_S9_EESK_S10_SL_SM_SN_EUlS10_E0_NS1_11comp_targetILNS1_3genE3ELNS1_11target_archE908ELNS1_3gpuE7ELNS1_3repE0EEENS1_38merge_mergepath_config_static_selectorELNS0_4arch9wavefront6targetE0EEEvSM_
; %bb.0:
	.section	.rodata,"a",@progbits
	.p2align	6, 0x0
	.amdhsa_kernel _ZN7rocprim17ROCPRIM_400000_NS6detail17trampoline_kernelINS0_14default_configENS1_38merge_sort_block_merge_config_selectorIlNS0_10empty_typeEEEZZNS1_27merge_sort_block_merge_implIS3_PlPS5_mZN2at6native12_GLOBAL__N_124unique_dim_cuda_templateItEESt5tupleIJNSA_6TensorESF_SF_EERKSF_lbbbEUlllE_EE10hipError_tT0_T1_T2_jT3_P12ihipStream_tbPNSt15iterator_traitsISL_E10value_typeEPNSR_ISM_E10value_typeEPSN_NS1_7vsmem_tEENKUlT_SL_SM_SN_E_clIS8_S8_S9_S9_EESK_S10_SL_SM_SN_EUlS10_E0_NS1_11comp_targetILNS1_3genE3ELNS1_11target_archE908ELNS1_3gpuE7ELNS1_3repE0EEENS1_38merge_mergepath_config_static_selectorELNS0_4arch9wavefront6targetE0EEEvSM_
		.amdhsa_group_segment_fixed_size 0
		.amdhsa_private_segment_fixed_size 0
		.amdhsa_kernarg_size 88
		.amdhsa_user_sgpr_count 15
		.amdhsa_user_sgpr_dispatch_ptr 0
		.amdhsa_user_sgpr_queue_ptr 0
		.amdhsa_user_sgpr_kernarg_segment_ptr 1
		.amdhsa_user_sgpr_dispatch_id 0
		.amdhsa_user_sgpr_private_segment_size 0
		.amdhsa_wavefront_size32 1
		.amdhsa_uses_dynamic_stack 0
		.amdhsa_enable_private_segment 0
		.amdhsa_system_sgpr_workgroup_id_x 1
		.amdhsa_system_sgpr_workgroup_id_y 0
		.amdhsa_system_sgpr_workgroup_id_z 0
		.amdhsa_system_sgpr_workgroup_info 0
		.amdhsa_system_vgpr_workitem_id 0
		.amdhsa_next_free_vgpr 1
		.amdhsa_next_free_sgpr 1
		.amdhsa_reserve_vcc 0
		.amdhsa_float_round_mode_32 0
		.amdhsa_float_round_mode_16_64 0
		.amdhsa_float_denorm_mode_32 3
		.amdhsa_float_denorm_mode_16_64 3
		.amdhsa_dx10_clamp 1
		.amdhsa_ieee_mode 1
		.amdhsa_fp16_overflow 0
		.amdhsa_workgroup_processor_mode 1
		.amdhsa_memory_ordered 1
		.amdhsa_forward_progress 0
		.amdhsa_shared_vgpr_count 0
		.amdhsa_exception_fp_ieee_invalid_op 0
		.amdhsa_exception_fp_denorm_src 0
		.amdhsa_exception_fp_ieee_div_zero 0
		.amdhsa_exception_fp_ieee_overflow 0
		.amdhsa_exception_fp_ieee_underflow 0
		.amdhsa_exception_fp_ieee_inexact 0
		.amdhsa_exception_int_div_zero 0
	.end_amdhsa_kernel
	.section	.text._ZN7rocprim17ROCPRIM_400000_NS6detail17trampoline_kernelINS0_14default_configENS1_38merge_sort_block_merge_config_selectorIlNS0_10empty_typeEEEZZNS1_27merge_sort_block_merge_implIS3_PlPS5_mZN2at6native12_GLOBAL__N_124unique_dim_cuda_templateItEESt5tupleIJNSA_6TensorESF_SF_EERKSF_lbbbEUlllE_EE10hipError_tT0_T1_T2_jT3_P12ihipStream_tbPNSt15iterator_traitsISL_E10value_typeEPNSR_ISM_E10value_typeEPSN_NS1_7vsmem_tEENKUlT_SL_SM_SN_E_clIS8_S8_S9_S9_EESK_S10_SL_SM_SN_EUlS10_E0_NS1_11comp_targetILNS1_3genE3ELNS1_11target_archE908ELNS1_3gpuE7ELNS1_3repE0EEENS1_38merge_mergepath_config_static_selectorELNS0_4arch9wavefront6targetE0EEEvSM_,"axG",@progbits,_ZN7rocprim17ROCPRIM_400000_NS6detail17trampoline_kernelINS0_14default_configENS1_38merge_sort_block_merge_config_selectorIlNS0_10empty_typeEEEZZNS1_27merge_sort_block_merge_implIS3_PlPS5_mZN2at6native12_GLOBAL__N_124unique_dim_cuda_templateItEESt5tupleIJNSA_6TensorESF_SF_EERKSF_lbbbEUlllE_EE10hipError_tT0_T1_T2_jT3_P12ihipStream_tbPNSt15iterator_traitsISL_E10value_typeEPNSR_ISM_E10value_typeEPSN_NS1_7vsmem_tEENKUlT_SL_SM_SN_E_clIS8_S8_S9_S9_EESK_S10_SL_SM_SN_EUlS10_E0_NS1_11comp_targetILNS1_3genE3ELNS1_11target_archE908ELNS1_3gpuE7ELNS1_3repE0EEENS1_38merge_mergepath_config_static_selectorELNS0_4arch9wavefront6targetE0EEEvSM_,comdat
.Lfunc_end1380:
	.size	_ZN7rocprim17ROCPRIM_400000_NS6detail17trampoline_kernelINS0_14default_configENS1_38merge_sort_block_merge_config_selectorIlNS0_10empty_typeEEEZZNS1_27merge_sort_block_merge_implIS3_PlPS5_mZN2at6native12_GLOBAL__N_124unique_dim_cuda_templateItEESt5tupleIJNSA_6TensorESF_SF_EERKSF_lbbbEUlllE_EE10hipError_tT0_T1_T2_jT3_P12ihipStream_tbPNSt15iterator_traitsISL_E10value_typeEPNSR_ISM_E10value_typeEPSN_NS1_7vsmem_tEENKUlT_SL_SM_SN_E_clIS8_S8_S9_S9_EESK_S10_SL_SM_SN_EUlS10_E0_NS1_11comp_targetILNS1_3genE3ELNS1_11target_archE908ELNS1_3gpuE7ELNS1_3repE0EEENS1_38merge_mergepath_config_static_selectorELNS0_4arch9wavefront6targetE0EEEvSM_, .Lfunc_end1380-_ZN7rocprim17ROCPRIM_400000_NS6detail17trampoline_kernelINS0_14default_configENS1_38merge_sort_block_merge_config_selectorIlNS0_10empty_typeEEEZZNS1_27merge_sort_block_merge_implIS3_PlPS5_mZN2at6native12_GLOBAL__N_124unique_dim_cuda_templateItEESt5tupleIJNSA_6TensorESF_SF_EERKSF_lbbbEUlllE_EE10hipError_tT0_T1_T2_jT3_P12ihipStream_tbPNSt15iterator_traitsISL_E10value_typeEPNSR_ISM_E10value_typeEPSN_NS1_7vsmem_tEENKUlT_SL_SM_SN_E_clIS8_S8_S9_S9_EESK_S10_SL_SM_SN_EUlS10_E0_NS1_11comp_targetILNS1_3genE3ELNS1_11target_archE908ELNS1_3gpuE7ELNS1_3repE0EEENS1_38merge_mergepath_config_static_selectorELNS0_4arch9wavefront6targetE0EEEvSM_
                                        ; -- End function
	.section	.AMDGPU.csdata,"",@progbits
; Kernel info:
; codeLenInByte = 0
; NumSgprs: 0
; NumVgprs: 0
; ScratchSize: 0
; MemoryBound: 0
; FloatMode: 240
; IeeeMode: 1
; LDSByteSize: 0 bytes/workgroup (compile time only)
; SGPRBlocks: 0
; VGPRBlocks: 0
; NumSGPRsForWavesPerEU: 1
; NumVGPRsForWavesPerEU: 1
; Occupancy: 16
; WaveLimiterHint : 0
; COMPUTE_PGM_RSRC2:SCRATCH_EN: 0
; COMPUTE_PGM_RSRC2:USER_SGPR: 15
; COMPUTE_PGM_RSRC2:TRAP_HANDLER: 0
; COMPUTE_PGM_RSRC2:TGID_X_EN: 1
; COMPUTE_PGM_RSRC2:TGID_Y_EN: 0
; COMPUTE_PGM_RSRC2:TGID_Z_EN: 0
; COMPUTE_PGM_RSRC2:TIDIG_COMP_CNT: 0
	.section	.text._ZN7rocprim17ROCPRIM_400000_NS6detail17trampoline_kernelINS0_14default_configENS1_38merge_sort_block_merge_config_selectorIlNS0_10empty_typeEEEZZNS1_27merge_sort_block_merge_implIS3_PlPS5_mZN2at6native12_GLOBAL__N_124unique_dim_cuda_templateItEESt5tupleIJNSA_6TensorESF_SF_EERKSF_lbbbEUlllE_EE10hipError_tT0_T1_T2_jT3_P12ihipStream_tbPNSt15iterator_traitsISL_E10value_typeEPNSR_ISM_E10value_typeEPSN_NS1_7vsmem_tEENKUlT_SL_SM_SN_E_clIS8_S8_S9_S9_EESK_S10_SL_SM_SN_EUlS10_E0_NS1_11comp_targetILNS1_3genE2ELNS1_11target_archE906ELNS1_3gpuE6ELNS1_3repE0EEENS1_38merge_mergepath_config_static_selectorELNS0_4arch9wavefront6targetE0EEEvSM_,"axG",@progbits,_ZN7rocprim17ROCPRIM_400000_NS6detail17trampoline_kernelINS0_14default_configENS1_38merge_sort_block_merge_config_selectorIlNS0_10empty_typeEEEZZNS1_27merge_sort_block_merge_implIS3_PlPS5_mZN2at6native12_GLOBAL__N_124unique_dim_cuda_templateItEESt5tupleIJNSA_6TensorESF_SF_EERKSF_lbbbEUlllE_EE10hipError_tT0_T1_T2_jT3_P12ihipStream_tbPNSt15iterator_traitsISL_E10value_typeEPNSR_ISM_E10value_typeEPSN_NS1_7vsmem_tEENKUlT_SL_SM_SN_E_clIS8_S8_S9_S9_EESK_S10_SL_SM_SN_EUlS10_E0_NS1_11comp_targetILNS1_3genE2ELNS1_11target_archE906ELNS1_3gpuE6ELNS1_3repE0EEENS1_38merge_mergepath_config_static_selectorELNS0_4arch9wavefront6targetE0EEEvSM_,comdat
	.globl	_ZN7rocprim17ROCPRIM_400000_NS6detail17trampoline_kernelINS0_14default_configENS1_38merge_sort_block_merge_config_selectorIlNS0_10empty_typeEEEZZNS1_27merge_sort_block_merge_implIS3_PlPS5_mZN2at6native12_GLOBAL__N_124unique_dim_cuda_templateItEESt5tupleIJNSA_6TensorESF_SF_EERKSF_lbbbEUlllE_EE10hipError_tT0_T1_T2_jT3_P12ihipStream_tbPNSt15iterator_traitsISL_E10value_typeEPNSR_ISM_E10value_typeEPSN_NS1_7vsmem_tEENKUlT_SL_SM_SN_E_clIS8_S8_S9_S9_EESK_S10_SL_SM_SN_EUlS10_E0_NS1_11comp_targetILNS1_3genE2ELNS1_11target_archE906ELNS1_3gpuE6ELNS1_3repE0EEENS1_38merge_mergepath_config_static_selectorELNS0_4arch9wavefront6targetE0EEEvSM_ ; -- Begin function _ZN7rocprim17ROCPRIM_400000_NS6detail17trampoline_kernelINS0_14default_configENS1_38merge_sort_block_merge_config_selectorIlNS0_10empty_typeEEEZZNS1_27merge_sort_block_merge_implIS3_PlPS5_mZN2at6native12_GLOBAL__N_124unique_dim_cuda_templateItEESt5tupleIJNSA_6TensorESF_SF_EERKSF_lbbbEUlllE_EE10hipError_tT0_T1_T2_jT3_P12ihipStream_tbPNSt15iterator_traitsISL_E10value_typeEPNSR_ISM_E10value_typeEPSN_NS1_7vsmem_tEENKUlT_SL_SM_SN_E_clIS8_S8_S9_S9_EESK_S10_SL_SM_SN_EUlS10_E0_NS1_11comp_targetILNS1_3genE2ELNS1_11target_archE906ELNS1_3gpuE6ELNS1_3repE0EEENS1_38merge_mergepath_config_static_selectorELNS0_4arch9wavefront6targetE0EEEvSM_
	.p2align	8
	.type	_ZN7rocprim17ROCPRIM_400000_NS6detail17trampoline_kernelINS0_14default_configENS1_38merge_sort_block_merge_config_selectorIlNS0_10empty_typeEEEZZNS1_27merge_sort_block_merge_implIS3_PlPS5_mZN2at6native12_GLOBAL__N_124unique_dim_cuda_templateItEESt5tupleIJNSA_6TensorESF_SF_EERKSF_lbbbEUlllE_EE10hipError_tT0_T1_T2_jT3_P12ihipStream_tbPNSt15iterator_traitsISL_E10value_typeEPNSR_ISM_E10value_typeEPSN_NS1_7vsmem_tEENKUlT_SL_SM_SN_E_clIS8_S8_S9_S9_EESK_S10_SL_SM_SN_EUlS10_E0_NS1_11comp_targetILNS1_3genE2ELNS1_11target_archE906ELNS1_3gpuE6ELNS1_3repE0EEENS1_38merge_mergepath_config_static_selectorELNS0_4arch9wavefront6targetE0EEEvSM_,@function
_ZN7rocprim17ROCPRIM_400000_NS6detail17trampoline_kernelINS0_14default_configENS1_38merge_sort_block_merge_config_selectorIlNS0_10empty_typeEEEZZNS1_27merge_sort_block_merge_implIS3_PlPS5_mZN2at6native12_GLOBAL__N_124unique_dim_cuda_templateItEESt5tupleIJNSA_6TensorESF_SF_EERKSF_lbbbEUlllE_EE10hipError_tT0_T1_T2_jT3_P12ihipStream_tbPNSt15iterator_traitsISL_E10value_typeEPNSR_ISM_E10value_typeEPSN_NS1_7vsmem_tEENKUlT_SL_SM_SN_E_clIS8_S8_S9_S9_EESK_S10_SL_SM_SN_EUlS10_E0_NS1_11comp_targetILNS1_3genE2ELNS1_11target_archE906ELNS1_3gpuE6ELNS1_3repE0EEENS1_38merge_mergepath_config_static_selectorELNS0_4arch9wavefront6targetE0EEEvSM_: ; @_ZN7rocprim17ROCPRIM_400000_NS6detail17trampoline_kernelINS0_14default_configENS1_38merge_sort_block_merge_config_selectorIlNS0_10empty_typeEEEZZNS1_27merge_sort_block_merge_implIS3_PlPS5_mZN2at6native12_GLOBAL__N_124unique_dim_cuda_templateItEESt5tupleIJNSA_6TensorESF_SF_EERKSF_lbbbEUlllE_EE10hipError_tT0_T1_T2_jT3_P12ihipStream_tbPNSt15iterator_traitsISL_E10value_typeEPNSR_ISM_E10value_typeEPSN_NS1_7vsmem_tEENKUlT_SL_SM_SN_E_clIS8_S8_S9_S9_EESK_S10_SL_SM_SN_EUlS10_E0_NS1_11comp_targetILNS1_3genE2ELNS1_11target_archE906ELNS1_3gpuE6ELNS1_3repE0EEENS1_38merge_mergepath_config_static_selectorELNS0_4arch9wavefront6targetE0EEEvSM_
; %bb.0:
	.section	.rodata,"a",@progbits
	.p2align	6, 0x0
	.amdhsa_kernel _ZN7rocprim17ROCPRIM_400000_NS6detail17trampoline_kernelINS0_14default_configENS1_38merge_sort_block_merge_config_selectorIlNS0_10empty_typeEEEZZNS1_27merge_sort_block_merge_implIS3_PlPS5_mZN2at6native12_GLOBAL__N_124unique_dim_cuda_templateItEESt5tupleIJNSA_6TensorESF_SF_EERKSF_lbbbEUlllE_EE10hipError_tT0_T1_T2_jT3_P12ihipStream_tbPNSt15iterator_traitsISL_E10value_typeEPNSR_ISM_E10value_typeEPSN_NS1_7vsmem_tEENKUlT_SL_SM_SN_E_clIS8_S8_S9_S9_EESK_S10_SL_SM_SN_EUlS10_E0_NS1_11comp_targetILNS1_3genE2ELNS1_11target_archE906ELNS1_3gpuE6ELNS1_3repE0EEENS1_38merge_mergepath_config_static_selectorELNS0_4arch9wavefront6targetE0EEEvSM_
		.amdhsa_group_segment_fixed_size 0
		.amdhsa_private_segment_fixed_size 0
		.amdhsa_kernarg_size 88
		.amdhsa_user_sgpr_count 15
		.amdhsa_user_sgpr_dispatch_ptr 0
		.amdhsa_user_sgpr_queue_ptr 0
		.amdhsa_user_sgpr_kernarg_segment_ptr 1
		.amdhsa_user_sgpr_dispatch_id 0
		.amdhsa_user_sgpr_private_segment_size 0
		.amdhsa_wavefront_size32 1
		.amdhsa_uses_dynamic_stack 0
		.amdhsa_enable_private_segment 0
		.amdhsa_system_sgpr_workgroup_id_x 1
		.amdhsa_system_sgpr_workgroup_id_y 0
		.amdhsa_system_sgpr_workgroup_id_z 0
		.amdhsa_system_sgpr_workgroup_info 0
		.amdhsa_system_vgpr_workitem_id 0
		.amdhsa_next_free_vgpr 1
		.amdhsa_next_free_sgpr 1
		.amdhsa_reserve_vcc 0
		.amdhsa_float_round_mode_32 0
		.amdhsa_float_round_mode_16_64 0
		.amdhsa_float_denorm_mode_32 3
		.amdhsa_float_denorm_mode_16_64 3
		.amdhsa_dx10_clamp 1
		.amdhsa_ieee_mode 1
		.amdhsa_fp16_overflow 0
		.amdhsa_workgroup_processor_mode 1
		.amdhsa_memory_ordered 1
		.amdhsa_forward_progress 0
		.amdhsa_shared_vgpr_count 0
		.amdhsa_exception_fp_ieee_invalid_op 0
		.amdhsa_exception_fp_denorm_src 0
		.amdhsa_exception_fp_ieee_div_zero 0
		.amdhsa_exception_fp_ieee_overflow 0
		.amdhsa_exception_fp_ieee_underflow 0
		.amdhsa_exception_fp_ieee_inexact 0
		.amdhsa_exception_int_div_zero 0
	.end_amdhsa_kernel
	.section	.text._ZN7rocprim17ROCPRIM_400000_NS6detail17trampoline_kernelINS0_14default_configENS1_38merge_sort_block_merge_config_selectorIlNS0_10empty_typeEEEZZNS1_27merge_sort_block_merge_implIS3_PlPS5_mZN2at6native12_GLOBAL__N_124unique_dim_cuda_templateItEESt5tupleIJNSA_6TensorESF_SF_EERKSF_lbbbEUlllE_EE10hipError_tT0_T1_T2_jT3_P12ihipStream_tbPNSt15iterator_traitsISL_E10value_typeEPNSR_ISM_E10value_typeEPSN_NS1_7vsmem_tEENKUlT_SL_SM_SN_E_clIS8_S8_S9_S9_EESK_S10_SL_SM_SN_EUlS10_E0_NS1_11comp_targetILNS1_3genE2ELNS1_11target_archE906ELNS1_3gpuE6ELNS1_3repE0EEENS1_38merge_mergepath_config_static_selectorELNS0_4arch9wavefront6targetE0EEEvSM_,"axG",@progbits,_ZN7rocprim17ROCPRIM_400000_NS6detail17trampoline_kernelINS0_14default_configENS1_38merge_sort_block_merge_config_selectorIlNS0_10empty_typeEEEZZNS1_27merge_sort_block_merge_implIS3_PlPS5_mZN2at6native12_GLOBAL__N_124unique_dim_cuda_templateItEESt5tupleIJNSA_6TensorESF_SF_EERKSF_lbbbEUlllE_EE10hipError_tT0_T1_T2_jT3_P12ihipStream_tbPNSt15iterator_traitsISL_E10value_typeEPNSR_ISM_E10value_typeEPSN_NS1_7vsmem_tEENKUlT_SL_SM_SN_E_clIS8_S8_S9_S9_EESK_S10_SL_SM_SN_EUlS10_E0_NS1_11comp_targetILNS1_3genE2ELNS1_11target_archE906ELNS1_3gpuE6ELNS1_3repE0EEENS1_38merge_mergepath_config_static_selectorELNS0_4arch9wavefront6targetE0EEEvSM_,comdat
.Lfunc_end1381:
	.size	_ZN7rocprim17ROCPRIM_400000_NS6detail17trampoline_kernelINS0_14default_configENS1_38merge_sort_block_merge_config_selectorIlNS0_10empty_typeEEEZZNS1_27merge_sort_block_merge_implIS3_PlPS5_mZN2at6native12_GLOBAL__N_124unique_dim_cuda_templateItEESt5tupleIJNSA_6TensorESF_SF_EERKSF_lbbbEUlllE_EE10hipError_tT0_T1_T2_jT3_P12ihipStream_tbPNSt15iterator_traitsISL_E10value_typeEPNSR_ISM_E10value_typeEPSN_NS1_7vsmem_tEENKUlT_SL_SM_SN_E_clIS8_S8_S9_S9_EESK_S10_SL_SM_SN_EUlS10_E0_NS1_11comp_targetILNS1_3genE2ELNS1_11target_archE906ELNS1_3gpuE6ELNS1_3repE0EEENS1_38merge_mergepath_config_static_selectorELNS0_4arch9wavefront6targetE0EEEvSM_, .Lfunc_end1381-_ZN7rocprim17ROCPRIM_400000_NS6detail17trampoline_kernelINS0_14default_configENS1_38merge_sort_block_merge_config_selectorIlNS0_10empty_typeEEEZZNS1_27merge_sort_block_merge_implIS3_PlPS5_mZN2at6native12_GLOBAL__N_124unique_dim_cuda_templateItEESt5tupleIJNSA_6TensorESF_SF_EERKSF_lbbbEUlllE_EE10hipError_tT0_T1_T2_jT3_P12ihipStream_tbPNSt15iterator_traitsISL_E10value_typeEPNSR_ISM_E10value_typeEPSN_NS1_7vsmem_tEENKUlT_SL_SM_SN_E_clIS8_S8_S9_S9_EESK_S10_SL_SM_SN_EUlS10_E0_NS1_11comp_targetILNS1_3genE2ELNS1_11target_archE906ELNS1_3gpuE6ELNS1_3repE0EEENS1_38merge_mergepath_config_static_selectorELNS0_4arch9wavefront6targetE0EEEvSM_
                                        ; -- End function
	.section	.AMDGPU.csdata,"",@progbits
; Kernel info:
; codeLenInByte = 0
; NumSgprs: 0
; NumVgprs: 0
; ScratchSize: 0
; MemoryBound: 0
; FloatMode: 240
; IeeeMode: 1
; LDSByteSize: 0 bytes/workgroup (compile time only)
; SGPRBlocks: 0
; VGPRBlocks: 0
; NumSGPRsForWavesPerEU: 1
; NumVGPRsForWavesPerEU: 1
; Occupancy: 16
; WaveLimiterHint : 0
; COMPUTE_PGM_RSRC2:SCRATCH_EN: 0
; COMPUTE_PGM_RSRC2:USER_SGPR: 15
; COMPUTE_PGM_RSRC2:TRAP_HANDLER: 0
; COMPUTE_PGM_RSRC2:TGID_X_EN: 1
; COMPUTE_PGM_RSRC2:TGID_Y_EN: 0
; COMPUTE_PGM_RSRC2:TGID_Z_EN: 0
; COMPUTE_PGM_RSRC2:TIDIG_COMP_CNT: 0
	.section	.text._ZN7rocprim17ROCPRIM_400000_NS6detail17trampoline_kernelINS0_14default_configENS1_38merge_sort_block_merge_config_selectorIlNS0_10empty_typeEEEZZNS1_27merge_sort_block_merge_implIS3_PlPS5_mZN2at6native12_GLOBAL__N_124unique_dim_cuda_templateItEESt5tupleIJNSA_6TensorESF_SF_EERKSF_lbbbEUlllE_EE10hipError_tT0_T1_T2_jT3_P12ihipStream_tbPNSt15iterator_traitsISL_E10value_typeEPNSR_ISM_E10value_typeEPSN_NS1_7vsmem_tEENKUlT_SL_SM_SN_E_clIS8_S8_S9_S9_EESK_S10_SL_SM_SN_EUlS10_E0_NS1_11comp_targetILNS1_3genE9ELNS1_11target_archE1100ELNS1_3gpuE3ELNS1_3repE0EEENS1_38merge_mergepath_config_static_selectorELNS0_4arch9wavefront6targetE0EEEvSM_,"axG",@progbits,_ZN7rocprim17ROCPRIM_400000_NS6detail17trampoline_kernelINS0_14default_configENS1_38merge_sort_block_merge_config_selectorIlNS0_10empty_typeEEEZZNS1_27merge_sort_block_merge_implIS3_PlPS5_mZN2at6native12_GLOBAL__N_124unique_dim_cuda_templateItEESt5tupleIJNSA_6TensorESF_SF_EERKSF_lbbbEUlllE_EE10hipError_tT0_T1_T2_jT3_P12ihipStream_tbPNSt15iterator_traitsISL_E10value_typeEPNSR_ISM_E10value_typeEPSN_NS1_7vsmem_tEENKUlT_SL_SM_SN_E_clIS8_S8_S9_S9_EESK_S10_SL_SM_SN_EUlS10_E0_NS1_11comp_targetILNS1_3genE9ELNS1_11target_archE1100ELNS1_3gpuE3ELNS1_3repE0EEENS1_38merge_mergepath_config_static_selectorELNS0_4arch9wavefront6targetE0EEEvSM_,comdat
	.globl	_ZN7rocprim17ROCPRIM_400000_NS6detail17trampoline_kernelINS0_14default_configENS1_38merge_sort_block_merge_config_selectorIlNS0_10empty_typeEEEZZNS1_27merge_sort_block_merge_implIS3_PlPS5_mZN2at6native12_GLOBAL__N_124unique_dim_cuda_templateItEESt5tupleIJNSA_6TensorESF_SF_EERKSF_lbbbEUlllE_EE10hipError_tT0_T1_T2_jT3_P12ihipStream_tbPNSt15iterator_traitsISL_E10value_typeEPNSR_ISM_E10value_typeEPSN_NS1_7vsmem_tEENKUlT_SL_SM_SN_E_clIS8_S8_S9_S9_EESK_S10_SL_SM_SN_EUlS10_E0_NS1_11comp_targetILNS1_3genE9ELNS1_11target_archE1100ELNS1_3gpuE3ELNS1_3repE0EEENS1_38merge_mergepath_config_static_selectorELNS0_4arch9wavefront6targetE0EEEvSM_ ; -- Begin function _ZN7rocprim17ROCPRIM_400000_NS6detail17trampoline_kernelINS0_14default_configENS1_38merge_sort_block_merge_config_selectorIlNS0_10empty_typeEEEZZNS1_27merge_sort_block_merge_implIS3_PlPS5_mZN2at6native12_GLOBAL__N_124unique_dim_cuda_templateItEESt5tupleIJNSA_6TensorESF_SF_EERKSF_lbbbEUlllE_EE10hipError_tT0_T1_T2_jT3_P12ihipStream_tbPNSt15iterator_traitsISL_E10value_typeEPNSR_ISM_E10value_typeEPSN_NS1_7vsmem_tEENKUlT_SL_SM_SN_E_clIS8_S8_S9_S9_EESK_S10_SL_SM_SN_EUlS10_E0_NS1_11comp_targetILNS1_3genE9ELNS1_11target_archE1100ELNS1_3gpuE3ELNS1_3repE0EEENS1_38merge_mergepath_config_static_selectorELNS0_4arch9wavefront6targetE0EEEvSM_
	.p2align	8
	.type	_ZN7rocprim17ROCPRIM_400000_NS6detail17trampoline_kernelINS0_14default_configENS1_38merge_sort_block_merge_config_selectorIlNS0_10empty_typeEEEZZNS1_27merge_sort_block_merge_implIS3_PlPS5_mZN2at6native12_GLOBAL__N_124unique_dim_cuda_templateItEESt5tupleIJNSA_6TensorESF_SF_EERKSF_lbbbEUlllE_EE10hipError_tT0_T1_T2_jT3_P12ihipStream_tbPNSt15iterator_traitsISL_E10value_typeEPNSR_ISM_E10value_typeEPSN_NS1_7vsmem_tEENKUlT_SL_SM_SN_E_clIS8_S8_S9_S9_EESK_S10_SL_SM_SN_EUlS10_E0_NS1_11comp_targetILNS1_3genE9ELNS1_11target_archE1100ELNS1_3gpuE3ELNS1_3repE0EEENS1_38merge_mergepath_config_static_selectorELNS0_4arch9wavefront6targetE0EEEvSM_,@function
_ZN7rocprim17ROCPRIM_400000_NS6detail17trampoline_kernelINS0_14default_configENS1_38merge_sort_block_merge_config_selectorIlNS0_10empty_typeEEEZZNS1_27merge_sort_block_merge_implIS3_PlPS5_mZN2at6native12_GLOBAL__N_124unique_dim_cuda_templateItEESt5tupleIJNSA_6TensorESF_SF_EERKSF_lbbbEUlllE_EE10hipError_tT0_T1_T2_jT3_P12ihipStream_tbPNSt15iterator_traitsISL_E10value_typeEPNSR_ISM_E10value_typeEPSN_NS1_7vsmem_tEENKUlT_SL_SM_SN_E_clIS8_S8_S9_S9_EESK_S10_SL_SM_SN_EUlS10_E0_NS1_11comp_targetILNS1_3genE9ELNS1_11target_archE1100ELNS1_3gpuE3ELNS1_3repE0EEENS1_38merge_mergepath_config_static_selectorELNS0_4arch9wavefront6targetE0EEEvSM_: ; @_ZN7rocprim17ROCPRIM_400000_NS6detail17trampoline_kernelINS0_14default_configENS1_38merge_sort_block_merge_config_selectorIlNS0_10empty_typeEEEZZNS1_27merge_sort_block_merge_implIS3_PlPS5_mZN2at6native12_GLOBAL__N_124unique_dim_cuda_templateItEESt5tupleIJNSA_6TensorESF_SF_EERKSF_lbbbEUlllE_EE10hipError_tT0_T1_T2_jT3_P12ihipStream_tbPNSt15iterator_traitsISL_E10value_typeEPNSR_ISM_E10value_typeEPSN_NS1_7vsmem_tEENKUlT_SL_SM_SN_E_clIS8_S8_S9_S9_EESK_S10_SL_SM_SN_EUlS10_E0_NS1_11comp_targetILNS1_3genE9ELNS1_11target_archE1100ELNS1_3gpuE3ELNS1_3repE0EEENS1_38merge_mergepath_config_static_selectorELNS0_4arch9wavefront6targetE0EEEvSM_
; %bb.0:
	s_clause 0x1
	s_load_b64 s[24:25], s[0:1], 0x58
	s_load_b32 s3, s[0:1], 0x38
	s_add_u32 s22, s0, 0x58
	s_addc_u32 s23, s1, 0
	s_waitcnt lgkmcnt(0)
	s_mul_i32 s2, s25, s15
	s_delay_alu instid0(SALU_CYCLE_1) | instskip(NEXT) | instid1(SALU_CYCLE_1)
	s_add_i32 s2, s2, s14
	s_mul_i32 s2, s2, s24
	s_delay_alu instid0(SALU_CYCLE_1) | instskip(NEXT) | instid1(SALU_CYCLE_1)
	s_add_i32 s2, s2, s13
	s_cmp_ge_u32 s2, s3
	s_cbranch_scc1 .LBB1382_53
; %bb.1:
	s_clause 0x1
	s_load_b128 s[4:7], s[0:1], 0x28
	s_load_b64 s[8:9], s[0:1], 0x50
	s_mov_b32 s3, 0
	s_delay_alu instid0(SALU_CYCLE_1)
	s_lshl_b64 s[10:11], s[2:3], 3
	s_waitcnt lgkmcnt(0)
	v_alignbit_b32 v1, s7, s6, 9
	s_add_u32 s8, s8, s10
	s_addc_u32 s9, s9, s11
	s_lshl_b64 s[20:21], s[2:3], 10
	s_load_b128 s[16:19], s[8:9], 0x0
	v_readfirstlane_b32 s10, v1
	s_mov_b32 s9, s3
	s_delay_alu instid0(VALU_DEP_1) | instskip(NEXT) | instid1(SALU_CYCLE_1)
	s_and_b32 s8, s10, -2
	s_sub_i32 s25, 0, s8
	s_delay_alu instid0(SALU_CYCLE_1) | instskip(NEXT) | instid1(SALU_CYCLE_1)
	s_and_b32 s8, s2, s25
	s_lshl_b64 s[14:15], s[8:9], 10
	s_delay_alu instid0(SALU_CYCLE_1)
	s_sub_u32 s12, s20, s14
	s_subb_u32 s30, s21, s15
	s_lshl_b64 s[26:27], s[8:9], 11
	s_load_b128 s[8:11], s[0:1], 0x8
	s_add_u32 s28, s26, s6
	s_addc_u32 s29, s27, s7
	s_add_u32 s12, s28, s12
	s_addc_u32 s26, s29, s30
	s_waitcnt lgkmcnt(0)
	s_sub_u32 s27, s12, s18
	s_subb_u32 s19, s26, s19
	s_add_u32 s30, s27, 0x400
	s_addc_u32 s31, s19, 0
	s_delay_alu instid0(SALU_CYCLE_1) | instskip(NEXT) | instid1(VALU_DEP_1)
	v_cmp_lt_u64_e64 s19, s[4:5], s[30:31]
	s_and_b32 s19, s19, exec_lo
	s_cselect_b32 s27, s4, s30
	s_or_b32 s19, s2, s25
	s_mov_b32 s25, -1
	s_cmp_lg_u32 s19, -1
	s_cbranch_scc1 .LBB1382_3
; %bb.2:
	s_sub_u32 s14, s28, s14
	s_subb_u32 s15, s29, s15
	s_delay_alu instid0(SALU_CYCLE_1) | instskip(NEXT) | instid1(VALU_DEP_1)
	v_cmp_lt_u64_e64 s18, s[4:5], s[14:15]
	s_and_b32 s18, s18, exec_lo
	s_cselect_b32 s18, s4, s14
	s_add_u32 s6, s14, s6
	s_addc_u32 s7, s15, s7
	s_delay_alu instid0(SALU_CYCLE_1) | instskip(NEXT) | instid1(VALU_DEP_1)
	v_cmp_lt_u64_e64 s7, s[4:5], s[6:7]
	s_and_b32 s7, s7, exec_lo
	s_cselect_b32 s27, s4, s6
.LBB1382_3:
	s_lshr_b64 s[28:29], s[4:5], 10
	v_mov_b32_e32 v2, 0
	s_cmp_lg_u64 s[28:29], s[2:3]
	v_lshlrev_b32_e32 v11, 3, v0
	s_cselect_b32 s19, -1, 0
	s_sub_u32 s6, s12, s16
	s_subb_u32 s7, s26, s17
	global_load_b32 v1, v2, s[22:23] offset:14
	v_cmp_lt_u64_e64 s12, s[4:5], s[6:7]
	s_delay_alu instid0(VALU_DEP_1)
	s_and_b32 s12, s12, exec_lo
	s_cselect_b32 s30, s4, s6
	s_cselect_b32 s31, s5, s7
	s_lshl_b64 s[14:15], s[16:17], 3
	s_sub_i32 s5, s18, s16
	s_sub_i32 s6, s27, s30
	s_add_u32 s12, s8, s14
	s_addc_u32 s14, s9, s15
	s_lshl_b64 s[16:17], s[30:31], 3
	s_delay_alu instid0(SALU_CYCLE_1) | instskip(SKIP_3) | instid1(SALU_CYCLE_1)
	s_add_u32 s7, s8, s16
	s_addc_u32 s9, s9, s17
	s_cmp_lt_u32 s13, s24
	s_cselect_b32 s8, 12, 18
	s_add_u32 s16, s22, s8
	s_addc_u32 s17, s23, 0
	s_cmp_eq_u64 s[28:29], s[2:3]
	global_load_u16 v3, v2, s[16:17]
	s_waitcnt vmcnt(1)
	v_lshrrev_b32_e32 v4, 16, v1
	v_and_b32_e32 v1, 0xffff, v1
	s_delay_alu instid0(VALU_DEP_1) | instskip(SKIP_1) | instid1(VALU_DEP_1)
	v_mul_lo_u32 v1, v1, v4
	s_waitcnt vmcnt(0)
	v_mul_lo_u32 v7, v1, v3
	s_cbranch_scc1 .LBB1382_5
; %bb.4:
	v_subrev_nc_u32_e32 v1, s5, v0
	v_add_co_u32 v8, s2, s12, v11
	s_delay_alu instid0(VALU_DEP_1) | instskip(NEXT) | instid1(VALU_DEP_3)
	v_add_co_ci_u32_e64 v9, null, s14, 0, s2
	v_lshlrev_b64 v[3:4], 3, v[1:2]
	v_add_nc_u32_e32 v1, v7, v0
	s_add_i32 s8, s5, s6
	s_delay_alu instid0(VALU_DEP_1) | instskip(NEXT) | instid1(VALU_DEP_3)
	v_lshlrev_b64 v[5:6], 3, v[1:2]
	v_add_co_u32 v3, s2, s7, v3
	s_delay_alu instid0(VALU_DEP_1) | instskip(SKIP_1) | instid1(VALU_DEP_4)
	v_add_co_ci_u32_e64 v4, s2, s9, v4, s2
	v_cmp_gt_u32_e64 s2, s5, v0
	v_add_co_u32 v5, vcc_lo, s12, v5
	v_add_co_ci_u32_e32 v6, vcc_lo, s14, v6, vcc_lo
	v_cmp_gt_u32_e32 vcc_lo, s5, v1
	v_subrev_nc_u32_e32 v1, s5, v1
	s_delay_alu instid0(VALU_DEP_1) | instskip(NEXT) | instid1(VALU_DEP_1)
	v_lshlrev_b64 v[1:2], 3, v[1:2]
	v_add_co_u32 v10, s3, s7, v1
	s_delay_alu instid0(VALU_DEP_1) | instskip(SKIP_2) | instid1(VALU_DEP_3)
	v_add_co_ci_u32_e64 v12, s3, s9, v2, s3
	v_cndmask_b32_e64 v2, v4, v9, s2
	v_cndmask_b32_e64 v1, v3, v8, s2
	v_dual_cndmask_b32 v3, v10, v5 :: v_dual_cndmask_b32 v4, v12, v6
	global_load_b64 v[1:2], v[1:2], off
	global_load_b64 v[5:6], v[3:4], off
	s_cbranch_execz .LBB1382_6
	s_branch .LBB1382_11
.LBB1382_5:
                                        ; implicit-def: $vgpr5_vgpr6
                                        ; implicit-def: $sgpr8
                                        ; implicit-def: $vgpr1_vgpr2_vgpr3_vgpr4
	s_and_not1_b32 vcc_lo, exec_lo, s25
	s_cbranch_vccnz .LBB1382_11
.LBB1382_6:
	s_add_i32 s8, s5, s6
	s_mov_b32 s2, exec_lo
                                        ; implicit-def: $vgpr1_vgpr2
	v_cmpx_gt_u32_e64 s8, v0
	s_cbranch_execz .LBB1382_8
; %bb.7:
	s_waitcnt vmcnt(1)
	v_subrev_nc_u32_e32 v1, s5, v0
	v_add_co_u32 v3, s3, s12, v11
	v_mov_b32_e32 v2, 0
	v_add_co_ci_u32_e64 v4, null, s14, 0, s3
	s_delay_alu instid0(VALU_DEP_2) | instskip(NEXT) | instid1(VALU_DEP_1)
	v_lshlrev_b64 v[1:2], 3, v[1:2]
	v_add_co_u32 v1, vcc_lo, s7, v1
	s_delay_alu instid0(VALU_DEP_2) | instskip(SKIP_1) | instid1(VALU_DEP_2)
	v_add_co_ci_u32_e32 v2, vcc_lo, s9, v2, vcc_lo
	v_cmp_gt_u32_e32 vcc_lo, s5, v0
	v_dual_cndmask_b32 v1, v1, v3 :: v_dual_cndmask_b32 v2, v2, v4
	global_load_b64 v[1:2], v[1:2], off
.LBB1382_8:
	s_or_b32 exec_lo, exec_lo, s2
	v_add_nc_u32_e32 v7, v7, v0
	s_mov_b32 s3, exec_lo
	s_delay_alu instid0(VALU_DEP_1)
	v_cmpx_gt_u32_e64 s8, v7
                                        ; implicit-def: $vgpr3_vgpr4_vgpr5_vgpr6
	s_cbranch_execz .LBB1382_10
; %bb.9:
	v_mov_b32_e32 v8, 0
	s_delay_alu instid0(VALU_DEP_1) | instskip(SKIP_1) | instid1(VALU_DEP_1)
	v_lshlrev_b64 v[3:4], 3, v[7:8]
	s_waitcnt vmcnt(0)
	v_add_co_u32 v5, vcc_lo, s12, v3
	s_delay_alu instid0(VALU_DEP_2) | instskip(SKIP_2) | instid1(VALU_DEP_1)
	v_add_co_ci_u32_e32 v6, vcc_lo, s14, v4, vcc_lo
	v_cmp_gt_u32_e32 vcc_lo, s5, v7
	v_subrev_nc_u32_e32 v7, s5, v7
	v_lshlrev_b64 v[3:4], 3, v[7:8]
	s_delay_alu instid0(VALU_DEP_1) | instskip(NEXT) | instid1(VALU_DEP_1)
	v_add_co_u32 v3, s2, s7, v3
	v_add_co_ci_u32_e64 v4, s2, s9, v4, s2
	s_delay_alu instid0(VALU_DEP_1)
	v_dual_cndmask_b32 v3, v3, v5 :: v_dual_cndmask_b32 v4, v4, v6
	global_load_b64 v[5:6], v[3:4], off
.LBB1382_10:
	s_or_b32 exec_lo, exec_lo, s3
.LBB1382_11:
	s_load_b128 s[12:15], s[0:1], 0x40
	v_lshlrev_b32_e32 v12, 1, v0
	s_mov_b32 s1, exec_lo
	s_waitcnt vmcnt(0)
	ds_store_2addr_stride64_b64 v11, v[1:2], v[5:6] offset1:8
	s_waitcnt lgkmcnt(0)
	s_barrier
	v_min_u32_e32 v9, s8, v12
	buffer_gl0_inv
	v_sub_nc_u32_e64 v13, v9, s6 clamp
	v_min_u32_e32 v10, s5, v9
	s_delay_alu instid0(VALU_DEP_1)
	v_cmpx_lt_u32_e64 v13, v10
	s_cbranch_execz .LBB1382_21
; %bb.12:
	v_lshlrev_b32_e32 v3, 3, v9
	v_cmp_gt_i64_e64 s9, s[12:13], 0
	s_lshl_b64 s[2:3], s[12:13], 1
	s_mov_b32 s16, 0
	s_delay_alu instid0(VALU_DEP_2)
	v_lshl_add_u32 v14, s5, 3, v3
	s_branch .LBB1382_15
.LBB1382_13:                            ;   in Loop: Header=BB1382_15 Depth=1
	s_set_inst_prefetch_distance 0x2
	s_or_b32 exec_lo, exec_lo, s17
.LBB1382_14:                            ;   in Loop: Header=BB1382_15 Depth=1
	s_delay_alu instid0(VALU_DEP_1) | instskip(SKIP_1) | instid1(VALU_DEP_2)
	v_add_nc_u32_e32 v3, 1, v15
	v_cndmask_b32_e64 v10, v10, v15, s18
	v_cndmask_b32_e64 v13, v3, v13, s18
	s_delay_alu instid0(VALU_DEP_1) | instskip(SKIP_1) | instid1(SALU_CYCLE_1)
	v_cmp_ge_u32_e32 vcc_lo, v13, v10
	s_or_b32 s16, vcc_lo, s16
	s_and_not1_b32 exec_lo, exec_lo, s16
	s_cbranch_execz .LBB1382_20
.LBB1382_15:                            ; =>This Loop Header: Depth=1
                                        ;     Child Loop BB1382_18 Depth 2
	v_add_nc_u32_e32 v3, v10, v13
	s_and_not1_b32 vcc_lo, exec_lo, s9
	s_mov_b32 s18, 0
	s_delay_alu instid0(VALU_DEP_1)
	v_lshrrev_b32_e32 v15, 1, v3
	s_cbranch_vccnz .LBB1382_14
; %bb.16:                               ;   in Loop: Header=BB1382_15 Depth=1
	s_delay_alu instid0(VALU_DEP_1) | instskip(SKIP_3) | instid1(VALU_DEP_2)
	v_not_b32_e32 v3, v15
	v_lshlrev_b32_e32 v4, 3, v15
	s_mov_b32 s17, 0
	s_mov_b64 s[6:7], s[12:13]
                                        ; implicit-def: $sgpr18
                                        ; implicit-def: $sgpr22
                                        ; implicit-def: $sgpr23
                                        ; implicit-def: $sgpr24
                                        ; implicit-def: $sgpr25
	v_lshl_add_u32 v3, v3, 3, v14
	ds_load_b64 v[7:8], v3
	ds_load_b64 v[16:17], v4
	s_waitcnt lgkmcnt(1)
	v_mul_lo_u32 v18, s2, v8
	v_mul_lo_u32 v19, s3, v7
	v_mad_u64_u32 v[3:4], null, s2, v7, s[14:15]
	s_waitcnt lgkmcnt(0)
	v_mul_lo_u32 v17, s2, v17
	v_mul_lo_u32 v20, s3, v16
	v_mad_u64_u32 v[7:8], null, s2, v16, s[14:15]
	s_delay_alu instid0(VALU_DEP_4) | instskip(NEXT) | instid1(VALU_DEP_2)
	v_add3_u32 v4, v19, v4, v18
	v_add3_u32 v8, v20, v8, v17
	s_set_inst_prefetch_distance 0x1
	s_branch .LBB1382_18
	.p2align	6
.LBB1382_17:                            ;   in Loop: Header=BB1382_18 Depth=2
	s_or_b32 exec_lo, exec_lo, s0
	s_delay_alu instid0(SALU_CYCLE_1) | instskip(NEXT) | instid1(SALU_CYCLE_1)
	s_and_b32 s0, exec_lo, s22
	s_or_b32 s17, s0, s17
	s_and_not1_b32 s0, s25, exec_lo
	s_and_b32 s25, s23, exec_lo
	s_and_not1_b32 s18, s18, exec_lo
	s_and_b32 s26, s24, exec_lo
	s_or_b32 s25, s0, s25
	s_or_b32 s18, s18, s26
	s_and_not1_b32 exec_lo, exec_lo, s17
	s_cbranch_execz .LBB1382_13
.LBB1382_18:                            ;   Parent Loop BB1382_15 Depth=1
                                        ; =>  This Inner Loop Header: Depth=2
	global_load_u16 v16, v[3:4], off
	global_load_u16 v17, v[7:8], off
	s_and_not1_b32 s24, s24, exec_lo
	s_and_not1_b32 s23, s23, exec_lo
	s_or_b32 s22, s22, exec_lo
	s_waitcnt vmcnt(0)
	v_cmp_le_u16_e32 vcc_lo, v16, v17
	v_cmp_lt_u16_e64 s0, v16, v17
	s_and_b32 s26, vcc_lo, s25
	s_delay_alu instid0(VALU_DEP_1) | instid1(SALU_CYCLE_1)
	s_or_b32 s26, s0, s26
	s_delay_alu instid0(SALU_CYCLE_1) | instskip(NEXT) | instid1(SALU_CYCLE_1)
	s_and_b32 s0, s26, exec_lo
	s_or_b32 s24, s24, s0
	s_mov_b32 s0, exec_lo
	v_cmpx_eq_u16_e64 v16, v17
	s_cbranch_execz .LBB1382_17
; %bb.19:                               ;   in Loop: Header=BB1382_18 Depth=2
	s_add_u32 s6, s6, -1
	s_addc_u32 s7, s7, -1
	v_add_co_u32 v3, vcc_lo, v3, 2
	v_add_co_ci_u32_e32 v4, vcc_lo, 0, v4, vcc_lo
	s_cmp_eq_u64 s[6:7], 0
	v_add_co_u32 v7, vcc_lo, v7, 2
	s_cselect_b32 s25, -1, 0
	v_add_co_ci_u32_e32 v8, vcc_lo, 0, v8, vcc_lo
	s_and_not1_b32 s23, s23, exec_lo
	s_and_b32 s26, s26, exec_lo
	s_and_not1_b32 s22, s22, exec_lo
	s_and_b32 s25, s25, exec_lo
	s_and_not1_b32 s24, s24, exec_lo
	s_or_b32 s23, s23, s26
	s_or_b32 s22, s22, s25
                                        ; implicit-def: $sgpr25
	s_branch .LBB1382_17
.LBB1382_20:
	s_or_b32 exec_lo, exec_lo, s16
.LBB1382_21:
	s_delay_alu instid0(SALU_CYCLE_1) | instskip(SKIP_2) | instid1(VALU_DEP_2)
	s_or_b32 exec_lo, exec_lo, s1
	v_sub_nc_u32_e32 v3, v9, v13
	v_cmp_ge_u32_e32 vcc_lo, s5, v13
	v_add_nc_u32_e32 v14, s5, v3
	s_delay_alu instid0(VALU_DEP_1) | instskip(NEXT) | instid1(VALU_DEP_1)
	v_cmp_ge_u32_e64 s0, s8, v14
	s_or_b32 s0, vcc_lo, s0
	s_delay_alu instid0(SALU_CYCLE_1)
	s_and_saveexec_b32 s1, s0
	s_cbranch_execz .LBB1382_45
; %bb.22:
	v_cmp_le_u32_e32 vcc_lo, s5, v13
	s_mov_b32 s2, exec_lo
                                        ; implicit-def: $vgpr3_vgpr4
	v_cmpx_gt_u32_e64 s5, v13
	s_cbranch_execz .LBB1382_24
; %bb.23:
	v_lshlrev_b32_e32 v1, 3, v13
	ds_load_b64 v[3:4], v1
.LBB1382_24:
	s_or_b32 exec_lo, exec_lo, s2
	v_cmp_le_u32_e64 s6, s8, v14
	s_mov_b32 s2, exec_lo
                                        ; implicit-def: $vgpr7_vgpr8
	v_cmpx_gt_u32_e64 s8, v14
	s_cbranch_execz .LBB1382_26
; %bb.25:
	v_lshlrev_b32_e32 v1, 3, v14
	ds_load_b64 v[7:8], v1
.LBB1382_26:
	s_or_b32 exec_lo, exec_lo, s2
	v_cmp_gt_i64_e64 s7, s[12:13], 0
	s_or_b32 s2, vcc_lo, s6
	s_mov_b32 s0, -1
	s_xor_b32 s2, s2, -1
	s_delay_alu instid0(SALU_CYCLE_1)
	s_and_saveexec_b32 s9, s2
	s_cbranch_execz .LBB1382_34
; %bb.27:
	s_and_not1_b32 vcc_lo, exec_lo, s7
	s_cbranch_vccnz .LBB1382_33
; %bb.28:
	s_waitcnt lgkmcnt(0)
	v_mul_lo_u32 v9, v8, s12
	v_mul_lo_u32 v10, v7, s13
	v_mad_u64_u32 v[1:2], null, v7, s12, 0
	v_mul_lo_u32 v15, v4, s12
	v_mul_lo_u32 v16, v3, s13
	v_mad_u64_u32 v[5:6], null, v3, s12, 0
	s_mov_b32 s16, 0
	s_mov_b64 s[2:3], s[12:13]
	s_delay_alu instid0(VALU_DEP_4) | instskip(NEXT) | instid1(VALU_DEP_2)
	v_add3_u32 v2, v2, v10, v9
                                        ; implicit-def: $sgpr17
                                        ; implicit-def: $sgpr18
                                        ; implicit-def: $sgpr22
                                        ; implicit-def: $sgpr23
                                        ; implicit-def: $sgpr24
	v_add3_u32 v6, v6, v16, v15
	s_delay_alu instid0(VALU_DEP_2) | instskip(NEXT) | instid1(VALU_DEP_2)
	v_lshlrev_b64 v[1:2], 1, v[1:2]
	v_lshlrev_b64 v[5:6], 1, v[5:6]
	s_delay_alu instid0(VALU_DEP_2) | instskip(NEXT) | instid1(VALU_DEP_3)
	v_add_co_u32 v1, vcc_lo, s14, v1
	v_add_co_ci_u32_e32 v2, vcc_lo, s15, v2, vcc_lo
	s_delay_alu instid0(VALU_DEP_3) | instskip(NEXT) | instid1(VALU_DEP_4)
	v_add_co_u32 v5, vcc_lo, s14, v5
	v_add_co_ci_u32_e32 v6, vcc_lo, s15, v6, vcc_lo
	s_set_inst_prefetch_distance 0x1
	s_branch .LBB1382_30
	.p2align	6
.LBB1382_29:                            ;   in Loop: Header=BB1382_30 Depth=1
	s_or_b32 exec_lo, exec_lo, s0
	s_delay_alu instid0(SALU_CYCLE_1) | instskip(NEXT) | instid1(SALU_CYCLE_1)
	s_and_b32 s0, exec_lo, s18
	s_or_b32 s16, s0, s16
	s_and_not1_b32 s0, s24, exec_lo
	s_and_b32 s24, s23, exec_lo
	s_and_not1_b32 s17, s17, exec_lo
	s_and_b32 s25, s22, exec_lo
	s_or_b32 s24, s0, s24
	s_or_b32 s17, s17, s25
	s_and_not1_b32 exec_lo, exec_lo, s16
	s_cbranch_execz .LBB1382_32
.LBB1382_30:                            ; =>This Inner Loop Header: Depth=1
	global_load_u16 v9, v[1:2], off
	global_load_u16 v10, v[5:6], off
	s_and_not1_b32 s22, s22, exec_lo
	s_and_not1_b32 s23, s23, exec_lo
	s_or_b32 s18, s18, exec_lo
	s_waitcnt vmcnt(0)
	v_cmp_le_u16_e32 vcc_lo, v9, v10
	v_cmp_lt_u16_e64 s0, v9, v10
	s_and_b32 s25, vcc_lo, s24
	s_delay_alu instid0(VALU_DEP_1) | instid1(SALU_CYCLE_1)
	s_or_b32 s25, s0, s25
	s_delay_alu instid0(SALU_CYCLE_1) | instskip(NEXT) | instid1(SALU_CYCLE_1)
	s_and_b32 s0, s25, exec_lo
	s_or_b32 s22, s22, s0
	s_mov_b32 s0, exec_lo
	v_cmpx_eq_u16_e64 v9, v10
	s_cbranch_execz .LBB1382_29
; %bb.31:                               ;   in Loop: Header=BB1382_30 Depth=1
	s_add_u32 s2, s2, -1
	s_addc_u32 s3, s3, -1
	v_add_co_u32 v1, vcc_lo, v1, 2
	s_cmp_eq_u64 s[2:3], 0
	v_add_co_ci_u32_e32 v2, vcc_lo, 0, v2, vcc_lo
	v_add_co_u32 v5, vcc_lo, v5, 2
	s_cselect_b32 s24, -1, 0
	v_add_co_ci_u32_e32 v6, vcc_lo, 0, v6, vcc_lo
	s_and_not1_b32 s23, s23, exec_lo
	s_and_b32 s25, s25, exec_lo
	s_and_not1_b32 s18, s18, exec_lo
	s_and_b32 s24, s24, exec_lo
	s_or_b32 s23, s23, s25
	s_and_not1_b32 s22, s22, exec_lo
	s_or_b32 s18, s18, s24
                                        ; implicit-def: $sgpr24
	s_branch .LBB1382_29
.LBB1382_32:
	s_set_inst_prefetch_distance 0x2
	s_or_b32 exec_lo, exec_lo, s16
	s_xor_b32 s0, s17, -1
.LBB1382_33:
	s_and_not1_b32 s2, s6, exec_lo
	s_and_b32 s0, s0, exec_lo
	s_delay_alu instid0(SALU_CYCLE_1)
	s_or_b32 s6, s2, s0
.LBB1382_34:
	s_or_b32 exec_lo, exec_lo, s9
	v_mov_b32_e32 v1, s5
	v_cndmask_b32_e64 v2, v14, v13, s6
	s_mov_b32 s2, exec_lo
	s_delay_alu instid0(VALU_DEP_2) | instskip(NEXT) | instid1(VALU_DEP_2)
	v_cndmask_b32_e64 v1, s8, v1, s6
	v_add_nc_u32_e32 v15, 1, v2
	s_waitcnt lgkmcnt(0)
	v_cndmask_b32_e64 v2, v8, v4, s6
	s_delay_alu instid0(VALU_DEP_3) | instskip(NEXT) | instid1(VALU_DEP_3)
	v_add_nc_u32_e32 v1, -1, v1
	v_cndmask_b32_e64 v14, v15, v14, s6
	s_delay_alu instid0(VALU_DEP_2) | instskip(NEXT) | instid1(VALU_DEP_1)
	v_min_u32_e32 v1, v15, v1
	v_lshlrev_b32_e32 v1, 3, v1
	ds_load_b64 v[9:10], v1
	v_cndmask_b32_e64 v1, v7, v3, s6
	s_waitcnt lgkmcnt(0)
	v_cndmask_b32_e64 v6, v4, v10, s6
	v_cndmask_b32_e64 v5, v3, v9, s6
	v_cmpx_gt_u32_e64 s8, v14
	s_cbranch_execz .LBB1382_44
; %bb.35:
	v_cndmask_b32_e64 v13, v13, v15, s6
	v_cndmask_b32_e64 v4, v10, v8, s6
	;; [unrolled: 1-line block ×3, first 2 shown]
	s_mov_b32 s3, exec_lo
	s_delay_alu instid0(VALU_DEP_3)
	v_cmpx_gt_u32_e64 s5, v13
	s_cbranch_execz .LBB1382_43
; %bb.36:
	s_and_not1_b32 vcc_lo, exec_lo, s7
	s_cbranch_vccnz .LBB1382_42
; %bb.37:
	v_mul_lo_u32 v13, v4, s12
	v_mul_lo_u32 v14, v3, s13
	v_mad_u64_u32 v[7:8], null, v3, s12, 0
	v_mul_lo_u32 v15, v6, s12
	v_mul_lo_u32 v16, v5, s13
	v_mad_u64_u32 v[9:10], null, v5, s12, 0
	s_mov_b32 s5, 0
                                        ; implicit-def: $sgpr6
                                        ; implicit-def: $sgpr7
                                        ; implicit-def: $sgpr8
                                        ; implicit-def: $sgpr9
	s_delay_alu instid0(VALU_DEP_4) | instskip(NEXT) | instid1(VALU_DEP_2)
	v_add3_u32 v8, v8, v14, v13
	v_add3_u32 v10, v10, v16, v15
	s_delay_alu instid0(VALU_DEP_2) | instskip(NEXT) | instid1(VALU_DEP_2)
	v_lshlrev_b64 v[7:8], 1, v[7:8]
	v_lshlrev_b64 v[9:10], 1, v[9:10]
	s_delay_alu instid0(VALU_DEP_2) | instskip(NEXT) | instid1(VALU_DEP_3)
	v_add_co_u32 v7, vcc_lo, s14, v7
	v_add_co_ci_u32_e32 v8, vcc_lo, s15, v8, vcc_lo
	s_delay_alu instid0(VALU_DEP_3) | instskip(NEXT) | instid1(VALU_DEP_4)
	v_add_co_u32 v9, vcc_lo, s14, v9
	v_add_co_ci_u32_e32 v10, vcc_lo, s15, v10, vcc_lo
                                        ; implicit-def: $sgpr14
	s_set_inst_prefetch_distance 0x1
	s_branch .LBB1382_39
	.p2align	6
.LBB1382_38:                            ;   in Loop: Header=BB1382_39 Depth=1
	s_or_b32 exec_lo, exec_lo, s0
	s_delay_alu instid0(SALU_CYCLE_1) | instskip(NEXT) | instid1(SALU_CYCLE_1)
	s_and_b32 s0, exec_lo, s7
	s_or_b32 s5, s0, s5
	s_and_not1_b32 s0, s14, exec_lo
	s_and_b32 s14, s9, exec_lo
	s_and_not1_b32 s6, s6, exec_lo
	s_and_b32 s15, s8, exec_lo
	s_or_b32 s14, s0, s14
	s_or_b32 s6, s6, s15
	s_and_not1_b32 exec_lo, exec_lo, s5
	s_cbranch_execz .LBB1382_41
.LBB1382_39:                            ; =>This Inner Loop Header: Depth=1
	global_load_u16 v13, v[7:8], off
	global_load_u16 v14, v[9:10], off
	s_and_not1_b32 s8, s8, exec_lo
	s_and_not1_b32 s9, s9, exec_lo
	s_or_b32 s7, s7, exec_lo
	s_waitcnt vmcnt(0)
	v_cmp_le_u16_e32 vcc_lo, v13, v14
	v_cmp_lt_u16_e64 s0, v13, v14
	s_and_b32 s15, vcc_lo, s14
	s_delay_alu instid0(VALU_DEP_1) | instid1(SALU_CYCLE_1)
	s_or_b32 s15, s0, s15
	s_delay_alu instid0(SALU_CYCLE_1) | instskip(NEXT) | instid1(SALU_CYCLE_1)
	s_and_b32 s0, s15, exec_lo
	s_or_b32 s8, s8, s0
	s_mov_b32 s0, exec_lo
	v_cmpx_eq_u16_e64 v13, v14
	s_cbranch_execz .LBB1382_38
; %bb.40:                               ;   in Loop: Header=BB1382_39 Depth=1
	s_add_u32 s12, s12, -1
	s_addc_u32 s13, s13, -1
	v_add_co_u32 v7, vcc_lo, v7, 2
	s_cmp_eq_u64 s[12:13], 0
	v_add_co_ci_u32_e32 v8, vcc_lo, 0, v8, vcc_lo
	v_add_co_u32 v9, vcc_lo, v9, 2
	s_cselect_b32 s14, -1, 0
	v_add_co_ci_u32_e32 v10, vcc_lo, 0, v10, vcc_lo
	s_and_not1_b32 s9, s9, exec_lo
	s_and_b32 s15, s15, exec_lo
	s_and_not1_b32 s7, s7, exec_lo
	s_and_b32 s14, s14, exec_lo
	s_or_b32 s9, s9, s15
	s_and_not1_b32 s8, s8, exec_lo
	s_or_b32 s7, s7, s14
                                        ; implicit-def: $sgpr14
	s_branch .LBB1382_38
.LBB1382_41:
	s_set_inst_prefetch_distance 0x2
	s_or_b32 exec_lo, exec_lo, s5
	v_cndmask_b32_e64 v6, v6, v4, s6
	v_cndmask_b32_e64 v5, v5, v3, s6
.LBB1382_42:
	s_delay_alu instid0(VALU_DEP_1)
	v_dual_mov_b32 v3, v5 :: v_dual_mov_b32 v4, v6
.LBB1382_43:
	s_or_b32 exec_lo, exec_lo, s3
	s_delay_alu instid0(VALU_DEP_1)
	v_dual_mov_b32 v6, v4 :: v_dual_mov_b32 v5, v3
.LBB1382_44:
	s_or_b32 exec_lo, exec_lo, s2
.LBB1382_45:
	s_delay_alu instid0(SALU_CYCLE_1) | instskip(SKIP_4) | instid1(VALU_DEP_3)
	s_or_b32 exec_lo, exec_lo, s1
	v_lshrrev_b32_e32 v3, 1, v0
	v_or_b32_e32 v7, 0x200, v0
	v_lshrrev_b32_e32 v4, 2, v0
	s_lshl_b64 s[0:1], s[20:21], 3
	v_and_b32_e32 v3, 0xf8, v3
	s_delay_alu instid0(VALU_DEP_3) | instskip(NEXT) | instid1(VALU_DEP_3)
	v_lshrrev_b32_e32 v8, 2, v7
	v_and_b32_e32 v4, 0x78, v4
	s_add_u32 s0, s10, s0
	s_barrier
	v_lshl_add_u32 v3, v12, 3, v3
	v_and_b32_e32 v8, 0xf8, v8
	buffer_gl0_inv
	s_barrier
	buffer_gl0_inv
	s_addc_u32 s1, s11, s1
	ds_store_2addr_b64 v3, v[1:2], v[5:6] offset1:1
	v_add_co_u32 v1, s0, s0, v11
	v_add_nc_u32_e32 v5, v11, v4
	v_add_nc_u32_e32 v6, v11, v8
	v_add_co_ci_u32_e64 v2, null, s1, 0, s0
	s_and_b32 vcc_lo, exec_lo, s19
	s_mov_b32 s0, 0
	s_waitcnt lgkmcnt(0)
	s_cbranch_vccz .LBB1382_47
; %bb.46:
	s_barrier
	buffer_gl0_inv
	ds_load_b64 v[8:9], v5
	ds_load_b64 v[3:4], v6 offset:4096
	s_mov_b32 s0, -1
	s_waitcnt lgkmcnt(1)
	global_store_b64 v[1:2], v[8:9], off
	s_cbranch_execz .LBB1382_48
	s_branch .LBB1382_51
.LBB1382_47:
                                        ; implicit-def: $vgpr3_vgpr4
.LBB1382_48:
	s_waitcnt lgkmcnt(0)
	s_waitcnt_vscnt null, 0x0
	s_barrier
	buffer_gl0_inv
	ds_load_b64 v[3:4], v6 offset:4096
	s_sub_i32 s0, s4, s20
	s_mov_b32 s1, exec_lo
	v_cmpx_gt_u32_e64 s0, v0
	s_cbranch_execz .LBB1382_50
; %bb.49:
	ds_load_b64 v[5:6], v5
	s_waitcnt lgkmcnt(0)
	global_store_b64 v[1:2], v[5:6], off
.LBB1382_50:
	s_or_b32 exec_lo, exec_lo, s1
	v_cmp_gt_u32_e64 s0, s0, v7
.LBB1382_51:
	s_delay_alu instid0(VALU_DEP_1)
	s_and_saveexec_b32 s1, s0
	s_cbranch_execz .LBB1382_53
; %bb.52:
	v_add_co_u32 v0, vcc_lo, 0x1000, v1
	v_add_co_ci_u32_e32 v1, vcc_lo, 0, v2, vcc_lo
	s_waitcnt lgkmcnt(0)
	global_store_b64 v[0:1], v[3:4], off
.LBB1382_53:
	s_nop 0
	s_sendmsg sendmsg(MSG_DEALLOC_VGPRS)
	s_endpgm
	.section	.rodata,"a",@progbits
	.p2align	6, 0x0
	.amdhsa_kernel _ZN7rocprim17ROCPRIM_400000_NS6detail17trampoline_kernelINS0_14default_configENS1_38merge_sort_block_merge_config_selectorIlNS0_10empty_typeEEEZZNS1_27merge_sort_block_merge_implIS3_PlPS5_mZN2at6native12_GLOBAL__N_124unique_dim_cuda_templateItEESt5tupleIJNSA_6TensorESF_SF_EERKSF_lbbbEUlllE_EE10hipError_tT0_T1_T2_jT3_P12ihipStream_tbPNSt15iterator_traitsISL_E10value_typeEPNSR_ISM_E10value_typeEPSN_NS1_7vsmem_tEENKUlT_SL_SM_SN_E_clIS8_S8_S9_S9_EESK_S10_SL_SM_SN_EUlS10_E0_NS1_11comp_targetILNS1_3genE9ELNS1_11target_archE1100ELNS1_3gpuE3ELNS1_3repE0EEENS1_38merge_mergepath_config_static_selectorELNS0_4arch9wavefront6targetE0EEEvSM_
		.amdhsa_group_segment_fixed_size 8448
		.amdhsa_private_segment_fixed_size 0
		.amdhsa_kernarg_size 344
		.amdhsa_user_sgpr_count 13
		.amdhsa_user_sgpr_dispatch_ptr 0
		.amdhsa_user_sgpr_queue_ptr 0
		.amdhsa_user_sgpr_kernarg_segment_ptr 1
		.amdhsa_user_sgpr_dispatch_id 0
		.amdhsa_user_sgpr_private_segment_size 0
		.amdhsa_wavefront_size32 1
		.amdhsa_uses_dynamic_stack 0
		.amdhsa_enable_private_segment 0
		.amdhsa_system_sgpr_workgroup_id_x 1
		.amdhsa_system_sgpr_workgroup_id_y 1
		.amdhsa_system_sgpr_workgroup_id_z 1
		.amdhsa_system_sgpr_workgroup_info 0
		.amdhsa_system_vgpr_workitem_id 0
		.amdhsa_next_free_vgpr 21
		.amdhsa_next_free_sgpr 32
		.amdhsa_reserve_vcc 1
		.amdhsa_float_round_mode_32 0
		.amdhsa_float_round_mode_16_64 0
		.amdhsa_float_denorm_mode_32 3
		.amdhsa_float_denorm_mode_16_64 3
		.amdhsa_dx10_clamp 1
		.amdhsa_ieee_mode 1
		.amdhsa_fp16_overflow 0
		.amdhsa_workgroup_processor_mode 1
		.amdhsa_memory_ordered 1
		.amdhsa_forward_progress 0
		.amdhsa_shared_vgpr_count 0
		.amdhsa_exception_fp_ieee_invalid_op 0
		.amdhsa_exception_fp_denorm_src 0
		.amdhsa_exception_fp_ieee_div_zero 0
		.amdhsa_exception_fp_ieee_overflow 0
		.amdhsa_exception_fp_ieee_underflow 0
		.amdhsa_exception_fp_ieee_inexact 0
		.amdhsa_exception_int_div_zero 0
	.end_amdhsa_kernel
	.section	.text._ZN7rocprim17ROCPRIM_400000_NS6detail17trampoline_kernelINS0_14default_configENS1_38merge_sort_block_merge_config_selectorIlNS0_10empty_typeEEEZZNS1_27merge_sort_block_merge_implIS3_PlPS5_mZN2at6native12_GLOBAL__N_124unique_dim_cuda_templateItEESt5tupleIJNSA_6TensorESF_SF_EERKSF_lbbbEUlllE_EE10hipError_tT0_T1_T2_jT3_P12ihipStream_tbPNSt15iterator_traitsISL_E10value_typeEPNSR_ISM_E10value_typeEPSN_NS1_7vsmem_tEENKUlT_SL_SM_SN_E_clIS8_S8_S9_S9_EESK_S10_SL_SM_SN_EUlS10_E0_NS1_11comp_targetILNS1_3genE9ELNS1_11target_archE1100ELNS1_3gpuE3ELNS1_3repE0EEENS1_38merge_mergepath_config_static_selectorELNS0_4arch9wavefront6targetE0EEEvSM_,"axG",@progbits,_ZN7rocprim17ROCPRIM_400000_NS6detail17trampoline_kernelINS0_14default_configENS1_38merge_sort_block_merge_config_selectorIlNS0_10empty_typeEEEZZNS1_27merge_sort_block_merge_implIS3_PlPS5_mZN2at6native12_GLOBAL__N_124unique_dim_cuda_templateItEESt5tupleIJNSA_6TensorESF_SF_EERKSF_lbbbEUlllE_EE10hipError_tT0_T1_T2_jT3_P12ihipStream_tbPNSt15iterator_traitsISL_E10value_typeEPNSR_ISM_E10value_typeEPSN_NS1_7vsmem_tEENKUlT_SL_SM_SN_E_clIS8_S8_S9_S9_EESK_S10_SL_SM_SN_EUlS10_E0_NS1_11comp_targetILNS1_3genE9ELNS1_11target_archE1100ELNS1_3gpuE3ELNS1_3repE0EEENS1_38merge_mergepath_config_static_selectorELNS0_4arch9wavefront6targetE0EEEvSM_,comdat
.Lfunc_end1382:
	.size	_ZN7rocprim17ROCPRIM_400000_NS6detail17trampoline_kernelINS0_14default_configENS1_38merge_sort_block_merge_config_selectorIlNS0_10empty_typeEEEZZNS1_27merge_sort_block_merge_implIS3_PlPS5_mZN2at6native12_GLOBAL__N_124unique_dim_cuda_templateItEESt5tupleIJNSA_6TensorESF_SF_EERKSF_lbbbEUlllE_EE10hipError_tT0_T1_T2_jT3_P12ihipStream_tbPNSt15iterator_traitsISL_E10value_typeEPNSR_ISM_E10value_typeEPSN_NS1_7vsmem_tEENKUlT_SL_SM_SN_E_clIS8_S8_S9_S9_EESK_S10_SL_SM_SN_EUlS10_E0_NS1_11comp_targetILNS1_3genE9ELNS1_11target_archE1100ELNS1_3gpuE3ELNS1_3repE0EEENS1_38merge_mergepath_config_static_selectorELNS0_4arch9wavefront6targetE0EEEvSM_, .Lfunc_end1382-_ZN7rocprim17ROCPRIM_400000_NS6detail17trampoline_kernelINS0_14default_configENS1_38merge_sort_block_merge_config_selectorIlNS0_10empty_typeEEEZZNS1_27merge_sort_block_merge_implIS3_PlPS5_mZN2at6native12_GLOBAL__N_124unique_dim_cuda_templateItEESt5tupleIJNSA_6TensorESF_SF_EERKSF_lbbbEUlllE_EE10hipError_tT0_T1_T2_jT3_P12ihipStream_tbPNSt15iterator_traitsISL_E10value_typeEPNSR_ISM_E10value_typeEPSN_NS1_7vsmem_tEENKUlT_SL_SM_SN_E_clIS8_S8_S9_S9_EESK_S10_SL_SM_SN_EUlS10_E0_NS1_11comp_targetILNS1_3genE9ELNS1_11target_archE1100ELNS1_3gpuE3ELNS1_3repE0EEENS1_38merge_mergepath_config_static_selectorELNS0_4arch9wavefront6targetE0EEEvSM_
                                        ; -- End function
	.section	.AMDGPU.csdata,"",@progbits
; Kernel info:
; codeLenInByte = 2856
; NumSgprs: 34
; NumVgprs: 21
; ScratchSize: 0
; MemoryBound: 0
; FloatMode: 240
; IeeeMode: 1
; LDSByteSize: 8448 bytes/workgroup (compile time only)
; SGPRBlocks: 4
; VGPRBlocks: 2
; NumSGPRsForWavesPerEU: 34
; NumVGPRsForWavesPerEU: 21
; Occupancy: 16
; WaveLimiterHint : 1
; COMPUTE_PGM_RSRC2:SCRATCH_EN: 0
; COMPUTE_PGM_RSRC2:USER_SGPR: 13
; COMPUTE_PGM_RSRC2:TRAP_HANDLER: 0
; COMPUTE_PGM_RSRC2:TGID_X_EN: 1
; COMPUTE_PGM_RSRC2:TGID_Y_EN: 1
; COMPUTE_PGM_RSRC2:TGID_Z_EN: 1
; COMPUTE_PGM_RSRC2:TIDIG_COMP_CNT: 0
	.section	.text._ZN7rocprim17ROCPRIM_400000_NS6detail17trampoline_kernelINS0_14default_configENS1_38merge_sort_block_merge_config_selectorIlNS0_10empty_typeEEEZZNS1_27merge_sort_block_merge_implIS3_PlPS5_mZN2at6native12_GLOBAL__N_124unique_dim_cuda_templateItEESt5tupleIJNSA_6TensorESF_SF_EERKSF_lbbbEUlllE_EE10hipError_tT0_T1_T2_jT3_P12ihipStream_tbPNSt15iterator_traitsISL_E10value_typeEPNSR_ISM_E10value_typeEPSN_NS1_7vsmem_tEENKUlT_SL_SM_SN_E_clIS8_S8_S9_S9_EESK_S10_SL_SM_SN_EUlS10_E0_NS1_11comp_targetILNS1_3genE8ELNS1_11target_archE1030ELNS1_3gpuE2ELNS1_3repE0EEENS1_38merge_mergepath_config_static_selectorELNS0_4arch9wavefront6targetE0EEEvSM_,"axG",@progbits,_ZN7rocprim17ROCPRIM_400000_NS6detail17trampoline_kernelINS0_14default_configENS1_38merge_sort_block_merge_config_selectorIlNS0_10empty_typeEEEZZNS1_27merge_sort_block_merge_implIS3_PlPS5_mZN2at6native12_GLOBAL__N_124unique_dim_cuda_templateItEESt5tupleIJNSA_6TensorESF_SF_EERKSF_lbbbEUlllE_EE10hipError_tT0_T1_T2_jT3_P12ihipStream_tbPNSt15iterator_traitsISL_E10value_typeEPNSR_ISM_E10value_typeEPSN_NS1_7vsmem_tEENKUlT_SL_SM_SN_E_clIS8_S8_S9_S9_EESK_S10_SL_SM_SN_EUlS10_E0_NS1_11comp_targetILNS1_3genE8ELNS1_11target_archE1030ELNS1_3gpuE2ELNS1_3repE0EEENS1_38merge_mergepath_config_static_selectorELNS0_4arch9wavefront6targetE0EEEvSM_,comdat
	.globl	_ZN7rocprim17ROCPRIM_400000_NS6detail17trampoline_kernelINS0_14default_configENS1_38merge_sort_block_merge_config_selectorIlNS0_10empty_typeEEEZZNS1_27merge_sort_block_merge_implIS3_PlPS5_mZN2at6native12_GLOBAL__N_124unique_dim_cuda_templateItEESt5tupleIJNSA_6TensorESF_SF_EERKSF_lbbbEUlllE_EE10hipError_tT0_T1_T2_jT3_P12ihipStream_tbPNSt15iterator_traitsISL_E10value_typeEPNSR_ISM_E10value_typeEPSN_NS1_7vsmem_tEENKUlT_SL_SM_SN_E_clIS8_S8_S9_S9_EESK_S10_SL_SM_SN_EUlS10_E0_NS1_11comp_targetILNS1_3genE8ELNS1_11target_archE1030ELNS1_3gpuE2ELNS1_3repE0EEENS1_38merge_mergepath_config_static_selectorELNS0_4arch9wavefront6targetE0EEEvSM_ ; -- Begin function _ZN7rocprim17ROCPRIM_400000_NS6detail17trampoline_kernelINS0_14default_configENS1_38merge_sort_block_merge_config_selectorIlNS0_10empty_typeEEEZZNS1_27merge_sort_block_merge_implIS3_PlPS5_mZN2at6native12_GLOBAL__N_124unique_dim_cuda_templateItEESt5tupleIJNSA_6TensorESF_SF_EERKSF_lbbbEUlllE_EE10hipError_tT0_T1_T2_jT3_P12ihipStream_tbPNSt15iterator_traitsISL_E10value_typeEPNSR_ISM_E10value_typeEPSN_NS1_7vsmem_tEENKUlT_SL_SM_SN_E_clIS8_S8_S9_S9_EESK_S10_SL_SM_SN_EUlS10_E0_NS1_11comp_targetILNS1_3genE8ELNS1_11target_archE1030ELNS1_3gpuE2ELNS1_3repE0EEENS1_38merge_mergepath_config_static_selectorELNS0_4arch9wavefront6targetE0EEEvSM_
	.p2align	8
	.type	_ZN7rocprim17ROCPRIM_400000_NS6detail17trampoline_kernelINS0_14default_configENS1_38merge_sort_block_merge_config_selectorIlNS0_10empty_typeEEEZZNS1_27merge_sort_block_merge_implIS3_PlPS5_mZN2at6native12_GLOBAL__N_124unique_dim_cuda_templateItEESt5tupleIJNSA_6TensorESF_SF_EERKSF_lbbbEUlllE_EE10hipError_tT0_T1_T2_jT3_P12ihipStream_tbPNSt15iterator_traitsISL_E10value_typeEPNSR_ISM_E10value_typeEPSN_NS1_7vsmem_tEENKUlT_SL_SM_SN_E_clIS8_S8_S9_S9_EESK_S10_SL_SM_SN_EUlS10_E0_NS1_11comp_targetILNS1_3genE8ELNS1_11target_archE1030ELNS1_3gpuE2ELNS1_3repE0EEENS1_38merge_mergepath_config_static_selectorELNS0_4arch9wavefront6targetE0EEEvSM_,@function
_ZN7rocprim17ROCPRIM_400000_NS6detail17trampoline_kernelINS0_14default_configENS1_38merge_sort_block_merge_config_selectorIlNS0_10empty_typeEEEZZNS1_27merge_sort_block_merge_implIS3_PlPS5_mZN2at6native12_GLOBAL__N_124unique_dim_cuda_templateItEESt5tupleIJNSA_6TensorESF_SF_EERKSF_lbbbEUlllE_EE10hipError_tT0_T1_T2_jT3_P12ihipStream_tbPNSt15iterator_traitsISL_E10value_typeEPNSR_ISM_E10value_typeEPSN_NS1_7vsmem_tEENKUlT_SL_SM_SN_E_clIS8_S8_S9_S9_EESK_S10_SL_SM_SN_EUlS10_E0_NS1_11comp_targetILNS1_3genE8ELNS1_11target_archE1030ELNS1_3gpuE2ELNS1_3repE0EEENS1_38merge_mergepath_config_static_selectorELNS0_4arch9wavefront6targetE0EEEvSM_: ; @_ZN7rocprim17ROCPRIM_400000_NS6detail17trampoline_kernelINS0_14default_configENS1_38merge_sort_block_merge_config_selectorIlNS0_10empty_typeEEEZZNS1_27merge_sort_block_merge_implIS3_PlPS5_mZN2at6native12_GLOBAL__N_124unique_dim_cuda_templateItEESt5tupleIJNSA_6TensorESF_SF_EERKSF_lbbbEUlllE_EE10hipError_tT0_T1_T2_jT3_P12ihipStream_tbPNSt15iterator_traitsISL_E10value_typeEPNSR_ISM_E10value_typeEPSN_NS1_7vsmem_tEENKUlT_SL_SM_SN_E_clIS8_S8_S9_S9_EESK_S10_SL_SM_SN_EUlS10_E0_NS1_11comp_targetILNS1_3genE8ELNS1_11target_archE1030ELNS1_3gpuE2ELNS1_3repE0EEENS1_38merge_mergepath_config_static_selectorELNS0_4arch9wavefront6targetE0EEEvSM_
; %bb.0:
	.section	.rodata,"a",@progbits
	.p2align	6, 0x0
	.amdhsa_kernel _ZN7rocprim17ROCPRIM_400000_NS6detail17trampoline_kernelINS0_14default_configENS1_38merge_sort_block_merge_config_selectorIlNS0_10empty_typeEEEZZNS1_27merge_sort_block_merge_implIS3_PlPS5_mZN2at6native12_GLOBAL__N_124unique_dim_cuda_templateItEESt5tupleIJNSA_6TensorESF_SF_EERKSF_lbbbEUlllE_EE10hipError_tT0_T1_T2_jT3_P12ihipStream_tbPNSt15iterator_traitsISL_E10value_typeEPNSR_ISM_E10value_typeEPSN_NS1_7vsmem_tEENKUlT_SL_SM_SN_E_clIS8_S8_S9_S9_EESK_S10_SL_SM_SN_EUlS10_E0_NS1_11comp_targetILNS1_3genE8ELNS1_11target_archE1030ELNS1_3gpuE2ELNS1_3repE0EEENS1_38merge_mergepath_config_static_selectorELNS0_4arch9wavefront6targetE0EEEvSM_
		.amdhsa_group_segment_fixed_size 0
		.amdhsa_private_segment_fixed_size 0
		.amdhsa_kernarg_size 88
		.amdhsa_user_sgpr_count 15
		.amdhsa_user_sgpr_dispatch_ptr 0
		.amdhsa_user_sgpr_queue_ptr 0
		.amdhsa_user_sgpr_kernarg_segment_ptr 1
		.amdhsa_user_sgpr_dispatch_id 0
		.amdhsa_user_sgpr_private_segment_size 0
		.amdhsa_wavefront_size32 1
		.amdhsa_uses_dynamic_stack 0
		.amdhsa_enable_private_segment 0
		.amdhsa_system_sgpr_workgroup_id_x 1
		.amdhsa_system_sgpr_workgroup_id_y 0
		.amdhsa_system_sgpr_workgroup_id_z 0
		.amdhsa_system_sgpr_workgroup_info 0
		.amdhsa_system_vgpr_workitem_id 0
		.amdhsa_next_free_vgpr 1
		.amdhsa_next_free_sgpr 1
		.amdhsa_reserve_vcc 0
		.amdhsa_float_round_mode_32 0
		.amdhsa_float_round_mode_16_64 0
		.amdhsa_float_denorm_mode_32 3
		.amdhsa_float_denorm_mode_16_64 3
		.amdhsa_dx10_clamp 1
		.amdhsa_ieee_mode 1
		.amdhsa_fp16_overflow 0
		.amdhsa_workgroup_processor_mode 1
		.amdhsa_memory_ordered 1
		.amdhsa_forward_progress 0
		.amdhsa_shared_vgpr_count 0
		.amdhsa_exception_fp_ieee_invalid_op 0
		.amdhsa_exception_fp_denorm_src 0
		.amdhsa_exception_fp_ieee_div_zero 0
		.amdhsa_exception_fp_ieee_overflow 0
		.amdhsa_exception_fp_ieee_underflow 0
		.amdhsa_exception_fp_ieee_inexact 0
		.amdhsa_exception_int_div_zero 0
	.end_amdhsa_kernel
	.section	.text._ZN7rocprim17ROCPRIM_400000_NS6detail17trampoline_kernelINS0_14default_configENS1_38merge_sort_block_merge_config_selectorIlNS0_10empty_typeEEEZZNS1_27merge_sort_block_merge_implIS3_PlPS5_mZN2at6native12_GLOBAL__N_124unique_dim_cuda_templateItEESt5tupleIJNSA_6TensorESF_SF_EERKSF_lbbbEUlllE_EE10hipError_tT0_T1_T2_jT3_P12ihipStream_tbPNSt15iterator_traitsISL_E10value_typeEPNSR_ISM_E10value_typeEPSN_NS1_7vsmem_tEENKUlT_SL_SM_SN_E_clIS8_S8_S9_S9_EESK_S10_SL_SM_SN_EUlS10_E0_NS1_11comp_targetILNS1_3genE8ELNS1_11target_archE1030ELNS1_3gpuE2ELNS1_3repE0EEENS1_38merge_mergepath_config_static_selectorELNS0_4arch9wavefront6targetE0EEEvSM_,"axG",@progbits,_ZN7rocprim17ROCPRIM_400000_NS6detail17trampoline_kernelINS0_14default_configENS1_38merge_sort_block_merge_config_selectorIlNS0_10empty_typeEEEZZNS1_27merge_sort_block_merge_implIS3_PlPS5_mZN2at6native12_GLOBAL__N_124unique_dim_cuda_templateItEESt5tupleIJNSA_6TensorESF_SF_EERKSF_lbbbEUlllE_EE10hipError_tT0_T1_T2_jT3_P12ihipStream_tbPNSt15iterator_traitsISL_E10value_typeEPNSR_ISM_E10value_typeEPSN_NS1_7vsmem_tEENKUlT_SL_SM_SN_E_clIS8_S8_S9_S9_EESK_S10_SL_SM_SN_EUlS10_E0_NS1_11comp_targetILNS1_3genE8ELNS1_11target_archE1030ELNS1_3gpuE2ELNS1_3repE0EEENS1_38merge_mergepath_config_static_selectorELNS0_4arch9wavefront6targetE0EEEvSM_,comdat
.Lfunc_end1383:
	.size	_ZN7rocprim17ROCPRIM_400000_NS6detail17trampoline_kernelINS0_14default_configENS1_38merge_sort_block_merge_config_selectorIlNS0_10empty_typeEEEZZNS1_27merge_sort_block_merge_implIS3_PlPS5_mZN2at6native12_GLOBAL__N_124unique_dim_cuda_templateItEESt5tupleIJNSA_6TensorESF_SF_EERKSF_lbbbEUlllE_EE10hipError_tT0_T1_T2_jT3_P12ihipStream_tbPNSt15iterator_traitsISL_E10value_typeEPNSR_ISM_E10value_typeEPSN_NS1_7vsmem_tEENKUlT_SL_SM_SN_E_clIS8_S8_S9_S9_EESK_S10_SL_SM_SN_EUlS10_E0_NS1_11comp_targetILNS1_3genE8ELNS1_11target_archE1030ELNS1_3gpuE2ELNS1_3repE0EEENS1_38merge_mergepath_config_static_selectorELNS0_4arch9wavefront6targetE0EEEvSM_, .Lfunc_end1383-_ZN7rocprim17ROCPRIM_400000_NS6detail17trampoline_kernelINS0_14default_configENS1_38merge_sort_block_merge_config_selectorIlNS0_10empty_typeEEEZZNS1_27merge_sort_block_merge_implIS3_PlPS5_mZN2at6native12_GLOBAL__N_124unique_dim_cuda_templateItEESt5tupleIJNSA_6TensorESF_SF_EERKSF_lbbbEUlllE_EE10hipError_tT0_T1_T2_jT3_P12ihipStream_tbPNSt15iterator_traitsISL_E10value_typeEPNSR_ISM_E10value_typeEPSN_NS1_7vsmem_tEENKUlT_SL_SM_SN_E_clIS8_S8_S9_S9_EESK_S10_SL_SM_SN_EUlS10_E0_NS1_11comp_targetILNS1_3genE8ELNS1_11target_archE1030ELNS1_3gpuE2ELNS1_3repE0EEENS1_38merge_mergepath_config_static_selectorELNS0_4arch9wavefront6targetE0EEEvSM_
                                        ; -- End function
	.section	.AMDGPU.csdata,"",@progbits
; Kernel info:
; codeLenInByte = 0
; NumSgprs: 0
; NumVgprs: 0
; ScratchSize: 0
; MemoryBound: 0
; FloatMode: 240
; IeeeMode: 1
; LDSByteSize: 0 bytes/workgroup (compile time only)
; SGPRBlocks: 0
; VGPRBlocks: 0
; NumSGPRsForWavesPerEU: 1
; NumVGPRsForWavesPerEU: 1
; Occupancy: 16
; WaveLimiterHint : 0
; COMPUTE_PGM_RSRC2:SCRATCH_EN: 0
; COMPUTE_PGM_RSRC2:USER_SGPR: 15
; COMPUTE_PGM_RSRC2:TRAP_HANDLER: 0
; COMPUTE_PGM_RSRC2:TGID_X_EN: 1
; COMPUTE_PGM_RSRC2:TGID_Y_EN: 0
; COMPUTE_PGM_RSRC2:TGID_Z_EN: 0
; COMPUTE_PGM_RSRC2:TIDIG_COMP_CNT: 0
	.section	.text._ZN7rocprim17ROCPRIM_400000_NS6detail17trampoline_kernelINS0_14default_configENS1_38merge_sort_block_merge_config_selectorIlNS0_10empty_typeEEEZZNS1_27merge_sort_block_merge_implIS3_PlPS5_mZN2at6native12_GLOBAL__N_124unique_dim_cuda_templateItEESt5tupleIJNSA_6TensorESF_SF_EERKSF_lbbbEUlllE_EE10hipError_tT0_T1_T2_jT3_P12ihipStream_tbPNSt15iterator_traitsISL_E10value_typeEPNSR_ISM_E10value_typeEPSN_NS1_7vsmem_tEENKUlT_SL_SM_SN_E_clIS8_S8_S9_S9_EESK_S10_SL_SM_SN_EUlS10_E1_NS1_11comp_targetILNS1_3genE0ELNS1_11target_archE4294967295ELNS1_3gpuE0ELNS1_3repE0EEENS1_36merge_oddeven_config_static_selectorELNS0_4arch9wavefront6targetE0EEEvSM_,"axG",@progbits,_ZN7rocprim17ROCPRIM_400000_NS6detail17trampoline_kernelINS0_14default_configENS1_38merge_sort_block_merge_config_selectorIlNS0_10empty_typeEEEZZNS1_27merge_sort_block_merge_implIS3_PlPS5_mZN2at6native12_GLOBAL__N_124unique_dim_cuda_templateItEESt5tupleIJNSA_6TensorESF_SF_EERKSF_lbbbEUlllE_EE10hipError_tT0_T1_T2_jT3_P12ihipStream_tbPNSt15iterator_traitsISL_E10value_typeEPNSR_ISM_E10value_typeEPSN_NS1_7vsmem_tEENKUlT_SL_SM_SN_E_clIS8_S8_S9_S9_EESK_S10_SL_SM_SN_EUlS10_E1_NS1_11comp_targetILNS1_3genE0ELNS1_11target_archE4294967295ELNS1_3gpuE0ELNS1_3repE0EEENS1_36merge_oddeven_config_static_selectorELNS0_4arch9wavefront6targetE0EEEvSM_,comdat
	.globl	_ZN7rocprim17ROCPRIM_400000_NS6detail17trampoline_kernelINS0_14default_configENS1_38merge_sort_block_merge_config_selectorIlNS0_10empty_typeEEEZZNS1_27merge_sort_block_merge_implIS3_PlPS5_mZN2at6native12_GLOBAL__N_124unique_dim_cuda_templateItEESt5tupleIJNSA_6TensorESF_SF_EERKSF_lbbbEUlllE_EE10hipError_tT0_T1_T2_jT3_P12ihipStream_tbPNSt15iterator_traitsISL_E10value_typeEPNSR_ISM_E10value_typeEPSN_NS1_7vsmem_tEENKUlT_SL_SM_SN_E_clIS8_S8_S9_S9_EESK_S10_SL_SM_SN_EUlS10_E1_NS1_11comp_targetILNS1_3genE0ELNS1_11target_archE4294967295ELNS1_3gpuE0ELNS1_3repE0EEENS1_36merge_oddeven_config_static_selectorELNS0_4arch9wavefront6targetE0EEEvSM_ ; -- Begin function _ZN7rocprim17ROCPRIM_400000_NS6detail17trampoline_kernelINS0_14default_configENS1_38merge_sort_block_merge_config_selectorIlNS0_10empty_typeEEEZZNS1_27merge_sort_block_merge_implIS3_PlPS5_mZN2at6native12_GLOBAL__N_124unique_dim_cuda_templateItEESt5tupleIJNSA_6TensorESF_SF_EERKSF_lbbbEUlllE_EE10hipError_tT0_T1_T2_jT3_P12ihipStream_tbPNSt15iterator_traitsISL_E10value_typeEPNSR_ISM_E10value_typeEPSN_NS1_7vsmem_tEENKUlT_SL_SM_SN_E_clIS8_S8_S9_S9_EESK_S10_SL_SM_SN_EUlS10_E1_NS1_11comp_targetILNS1_3genE0ELNS1_11target_archE4294967295ELNS1_3gpuE0ELNS1_3repE0EEENS1_36merge_oddeven_config_static_selectorELNS0_4arch9wavefront6targetE0EEEvSM_
	.p2align	8
	.type	_ZN7rocprim17ROCPRIM_400000_NS6detail17trampoline_kernelINS0_14default_configENS1_38merge_sort_block_merge_config_selectorIlNS0_10empty_typeEEEZZNS1_27merge_sort_block_merge_implIS3_PlPS5_mZN2at6native12_GLOBAL__N_124unique_dim_cuda_templateItEESt5tupleIJNSA_6TensorESF_SF_EERKSF_lbbbEUlllE_EE10hipError_tT0_T1_T2_jT3_P12ihipStream_tbPNSt15iterator_traitsISL_E10value_typeEPNSR_ISM_E10value_typeEPSN_NS1_7vsmem_tEENKUlT_SL_SM_SN_E_clIS8_S8_S9_S9_EESK_S10_SL_SM_SN_EUlS10_E1_NS1_11comp_targetILNS1_3genE0ELNS1_11target_archE4294967295ELNS1_3gpuE0ELNS1_3repE0EEENS1_36merge_oddeven_config_static_selectorELNS0_4arch9wavefront6targetE0EEEvSM_,@function
_ZN7rocprim17ROCPRIM_400000_NS6detail17trampoline_kernelINS0_14default_configENS1_38merge_sort_block_merge_config_selectorIlNS0_10empty_typeEEEZZNS1_27merge_sort_block_merge_implIS3_PlPS5_mZN2at6native12_GLOBAL__N_124unique_dim_cuda_templateItEESt5tupleIJNSA_6TensorESF_SF_EERKSF_lbbbEUlllE_EE10hipError_tT0_T1_T2_jT3_P12ihipStream_tbPNSt15iterator_traitsISL_E10value_typeEPNSR_ISM_E10value_typeEPSN_NS1_7vsmem_tEENKUlT_SL_SM_SN_E_clIS8_S8_S9_S9_EESK_S10_SL_SM_SN_EUlS10_E1_NS1_11comp_targetILNS1_3genE0ELNS1_11target_archE4294967295ELNS1_3gpuE0ELNS1_3repE0EEENS1_36merge_oddeven_config_static_selectorELNS0_4arch9wavefront6targetE0EEEvSM_: ; @_ZN7rocprim17ROCPRIM_400000_NS6detail17trampoline_kernelINS0_14default_configENS1_38merge_sort_block_merge_config_selectorIlNS0_10empty_typeEEEZZNS1_27merge_sort_block_merge_implIS3_PlPS5_mZN2at6native12_GLOBAL__N_124unique_dim_cuda_templateItEESt5tupleIJNSA_6TensorESF_SF_EERKSF_lbbbEUlllE_EE10hipError_tT0_T1_T2_jT3_P12ihipStream_tbPNSt15iterator_traitsISL_E10value_typeEPNSR_ISM_E10value_typeEPSN_NS1_7vsmem_tEENKUlT_SL_SM_SN_E_clIS8_S8_S9_S9_EESK_S10_SL_SM_SN_EUlS10_E1_NS1_11comp_targetILNS1_3genE0ELNS1_11target_archE4294967295ELNS1_3gpuE0ELNS1_3repE0EEENS1_36merge_oddeven_config_static_selectorELNS0_4arch9wavefront6targetE0EEEvSM_
; %bb.0:
	.section	.rodata,"a",@progbits
	.p2align	6, 0x0
	.amdhsa_kernel _ZN7rocprim17ROCPRIM_400000_NS6detail17trampoline_kernelINS0_14default_configENS1_38merge_sort_block_merge_config_selectorIlNS0_10empty_typeEEEZZNS1_27merge_sort_block_merge_implIS3_PlPS5_mZN2at6native12_GLOBAL__N_124unique_dim_cuda_templateItEESt5tupleIJNSA_6TensorESF_SF_EERKSF_lbbbEUlllE_EE10hipError_tT0_T1_T2_jT3_P12ihipStream_tbPNSt15iterator_traitsISL_E10value_typeEPNSR_ISM_E10value_typeEPSN_NS1_7vsmem_tEENKUlT_SL_SM_SN_E_clIS8_S8_S9_S9_EESK_S10_SL_SM_SN_EUlS10_E1_NS1_11comp_targetILNS1_3genE0ELNS1_11target_archE4294967295ELNS1_3gpuE0ELNS1_3repE0EEENS1_36merge_oddeven_config_static_selectorELNS0_4arch9wavefront6targetE0EEEvSM_
		.amdhsa_group_segment_fixed_size 0
		.amdhsa_private_segment_fixed_size 0
		.amdhsa_kernarg_size 64
		.amdhsa_user_sgpr_count 15
		.amdhsa_user_sgpr_dispatch_ptr 0
		.amdhsa_user_sgpr_queue_ptr 0
		.amdhsa_user_sgpr_kernarg_segment_ptr 1
		.amdhsa_user_sgpr_dispatch_id 0
		.amdhsa_user_sgpr_private_segment_size 0
		.amdhsa_wavefront_size32 1
		.amdhsa_uses_dynamic_stack 0
		.amdhsa_enable_private_segment 0
		.amdhsa_system_sgpr_workgroup_id_x 1
		.amdhsa_system_sgpr_workgroup_id_y 0
		.amdhsa_system_sgpr_workgroup_id_z 0
		.amdhsa_system_sgpr_workgroup_info 0
		.amdhsa_system_vgpr_workitem_id 0
		.amdhsa_next_free_vgpr 1
		.amdhsa_next_free_sgpr 1
		.amdhsa_reserve_vcc 0
		.amdhsa_float_round_mode_32 0
		.amdhsa_float_round_mode_16_64 0
		.amdhsa_float_denorm_mode_32 3
		.amdhsa_float_denorm_mode_16_64 3
		.amdhsa_dx10_clamp 1
		.amdhsa_ieee_mode 1
		.amdhsa_fp16_overflow 0
		.amdhsa_workgroup_processor_mode 1
		.amdhsa_memory_ordered 1
		.amdhsa_forward_progress 0
		.amdhsa_shared_vgpr_count 0
		.amdhsa_exception_fp_ieee_invalid_op 0
		.amdhsa_exception_fp_denorm_src 0
		.amdhsa_exception_fp_ieee_div_zero 0
		.amdhsa_exception_fp_ieee_overflow 0
		.amdhsa_exception_fp_ieee_underflow 0
		.amdhsa_exception_fp_ieee_inexact 0
		.amdhsa_exception_int_div_zero 0
	.end_amdhsa_kernel
	.section	.text._ZN7rocprim17ROCPRIM_400000_NS6detail17trampoline_kernelINS0_14default_configENS1_38merge_sort_block_merge_config_selectorIlNS0_10empty_typeEEEZZNS1_27merge_sort_block_merge_implIS3_PlPS5_mZN2at6native12_GLOBAL__N_124unique_dim_cuda_templateItEESt5tupleIJNSA_6TensorESF_SF_EERKSF_lbbbEUlllE_EE10hipError_tT0_T1_T2_jT3_P12ihipStream_tbPNSt15iterator_traitsISL_E10value_typeEPNSR_ISM_E10value_typeEPSN_NS1_7vsmem_tEENKUlT_SL_SM_SN_E_clIS8_S8_S9_S9_EESK_S10_SL_SM_SN_EUlS10_E1_NS1_11comp_targetILNS1_3genE0ELNS1_11target_archE4294967295ELNS1_3gpuE0ELNS1_3repE0EEENS1_36merge_oddeven_config_static_selectorELNS0_4arch9wavefront6targetE0EEEvSM_,"axG",@progbits,_ZN7rocprim17ROCPRIM_400000_NS6detail17trampoline_kernelINS0_14default_configENS1_38merge_sort_block_merge_config_selectorIlNS0_10empty_typeEEEZZNS1_27merge_sort_block_merge_implIS3_PlPS5_mZN2at6native12_GLOBAL__N_124unique_dim_cuda_templateItEESt5tupleIJNSA_6TensorESF_SF_EERKSF_lbbbEUlllE_EE10hipError_tT0_T1_T2_jT3_P12ihipStream_tbPNSt15iterator_traitsISL_E10value_typeEPNSR_ISM_E10value_typeEPSN_NS1_7vsmem_tEENKUlT_SL_SM_SN_E_clIS8_S8_S9_S9_EESK_S10_SL_SM_SN_EUlS10_E1_NS1_11comp_targetILNS1_3genE0ELNS1_11target_archE4294967295ELNS1_3gpuE0ELNS1_3repE0EEENS1_36merge_oddeven_config_static_selectorELNS0_4arch9wavefront6targetE0EEEvSM_,comdat
.Lfunc_end1384:
	.size	_ZN7rocprim17ROCPRIM_400000_NS6detail17trampoline_kernelINS0_14default_configENS1_38merge_sort_block_merge_config_selectorIlNS0_10empty_typeEEEZZNS1_27merge_sort_block_merge_implIS3_PlPS5_mZN2at6native12_GLOBAL__N_124unique_dim_cuda_templateItEESt5tupleIJNSA_6TensorESF_SF_EERKSF_lbbbEUlllE_EE10hipError_tT0_T1_T2_jT3_P12ihipStream_tbPNSt15iterator_traitsISL_E10value_typeEPNSR_ISM_E10value_typeEPSN_NS1_7vsmem_tEENKUlT_SL_SM_SN_E_clIS8_S8_S9_S9_EESK_S10_SL_SM_SN_EUlS10_E1_NS1_11comp_targetILNS1_3genE0ELNS1_11target_archE4294967295ELNS1_3gpuE0ELNS1_3repE0EEENS1_36merge_oddeven_config_static_selectorELNS0_4arch9wavefront6targetE0EEEvSM_, .Lfunc_end1384-_ZN7rocprim17ROCPRIM_400000_NS6detail17trampoline_kernelINS0_14default_configENS1_38merge_sort_block_merge_config_selectorIlNS0_10empty_typeEEEZZNS1_27merge_sort_block_merge_implIS3_PlPS5_mZN2at6native12_GLOBAL__N_124unique_dim_cuda_templateItEESt5tupleIJNSA_6TensorESF_SF_EERKSF_lbbbEUlllE_EE10hipError_tT0_T1_T2_jT3_P12ihipStream_tbPNSt15iterator_traitsISL_E10value_typeEPNSR_ISM_E10value_typeEPSN_NS1_7vsmem_tEENKUlT_SL_SM_SN_E_clIS8_S8_S9_S9_EESK_S10_SL_SM_SN_EUlS10_E1_NS1_11comp_targetILNS1_3genE0ELNS1_11target_archE4294967295ELNS1_3gpuE0ELNS1_3repE0EEENS1_36merge_oddeven_config_static_selectorELNS0_4arch9wavefront6targetE0EEEvSM_
                                        ; -- End function
	.section	.AMDGPU.csdata,"",@progbits
; Kernel info:
; codeLenInByte = 0
; NumSgprs: 0
; NumVgprs: 0
; ScratchSize: 0
; MemoryBound: 0
; FloatMode: 240
; IeeeMode: 1
; LDSByteSize: 0 bytes/workgroup (compile time only)
; SGPRBlocks: 0
; VGPRBlocks: 0
; NumSGPRsForWavesPerEU: 1
; NumVGPRsForWavesPerEU: 1
; Occupancy: 16
; WaveLimiterHint : 0
; COMPUTE_PGM_RSRC2:SCRATCH_EN: 0
; COMPUTE_PGM_RSRC2:USER_SGPR: 15
; COMPUTE_PGM_RSRC2:TRAP_HANDLER: 0
; COMPUTE_PGM_RSRC2:TGID_X_EN: 1
; COMPUTE_PGM_RSRC2:TGID_Y_EN: 0
; COMPUTE_PGM_RSRC2:TGID_Z_EN: 0
; COMPUTE_PGM_RSRC2:TIDIG_COMP_CNT: 0
	.section	.text._ZN7rocprim17ROCPRIM_400000_NS6detail17trampoline_kernelINS0_14default_configENS1_38merge_sort_block_merge_config_selectorIlNS0_10empty_typeEEEZZNS1_27merge_sort_block_merge_implIS3_PlPS5_mZN2at6native12_GLOBAL__N_124unique_dim_cuda_templateItEESt5tupleIJNSA_6TensorESF_SF_EERKSF_lbbbEUlllE_EE10hipError_tT0_T1_T2_jT3_P12ihipStream_tbPNSt15iterator_traitsISL_E10value_typeEPNSR_ISM_E10value_typeEPSN_NS1_7vsmem_tEENKUlT_SL_SM_SN_E_clIS8_S8_S9_S9_EESK_S10_SL_SM_SN_EUlS10_E1_NS1_11comp_targetILNS1_3genE10ELNS1_11target_archE1201ELNS1_3gpuE5ELNS1_3repE0EEENS1_36merge_oddeven_config_static_selectorELNS0_4arch9wavefront6targetE0EEEvSM_,"axG",@progbits,_ZN7rocprim17ROCPRIM_400000_NS6detail17trampoline_kernelINS0_14default_configENS1_38merge_sort_block_merge_config_selectorIlNS0_10empty_typeEEEZZNS1_27merge_sort_block_merge_implIS3_PlPS5_mZN2at6native12_GLOBAL__N_124unique_dim_cuda_templateItEESt5tupleIJNSA_6TensorESF_SF_EERKSF_lbbbEUlllE_EE10hipError_tT0_T1_T2_jT3_P12ihipStream_tbPNSt15iterator_traitsISL_E10value_typeEPNSR_ISM_E10value_typeEPSN_NS1_7vsmem_tEENKUlT_SL_SM_SN_E_clIS8_S8_S9_S9_EESK_S10_SL_SM_SN_EUlS10_E1_NS1_11comp_targetILNS1_3genE10ELNS1_11target_archE1201ELNS1_3gpuE5ELNS1_3repE0EEENS1_36merge_oddeven_config_static_selectorELNS0_4arch9wavefront6targetE0EEEvSM_,comdat
	.globl	_ZN7rocprim17ROCPRIM_400000_NS6detail17trampoline_kernelINS0_14default_configENS1_38merge_sort_block_merge_config_selectorIlNS0_10empty_typeEEEZZNS1_27merge_sort_block_merge_implIS3_PlPS5_mZN2at6native12_GLOBAL__N_124unique_dim_cuda_templateItEESt5tupleIJNSA_6TensorESF_SF_EERKSF_lbbbEUlllE_EE10hipError_tT0_T1_T2_jT3_P12ihipStream_tbPNSt15iterator_traitsISL_E10value_typeEPNSR_ISM_E10value_typeEPSN_NS1_7vsmem_tEENKUlT_SL_SM_SN_E_clIS8_S8_S9_S9_EESK_S10_SL_SM_SN_EUlS10_E1_NS1_11comp_targetILNS1_3genE10ELNS1_11target_archE1201ELNS1_3gpuE5ELNS1_3repE0EEENS1_36merge_oddeven_config_static_selectorELNS0_4arch9wavefront6targetE0EEEvSM_ ; -- Begin function _ZN7rocprim17ROCPRIM_400000_NS6detail17trampoline_kernelINS0_14default_configENS1_38merge_sort_block_merge_config_selectorIlNS0_10empty_typeEEEZZNS1_27merge_sort_block_merge_implIS3_PlPS5_mZN2at6native12_GLOBAL__N_124unique_dim_cuda_templateItEESt5tupleIJNSA_6TensorESF_SF_EERKSF_lbbbEUlllE_EE10hipError_tT0_T1_T2_jT3_P12ihipStream_tbPNSt15iterator_traitsISL_E10value_typeEPNSR_ISM_E10value_typeEPSN_NS1_7vsmem_tEENKUlT_SL_SM_SN_E_clIS8_S8_S9_S9_EESK_S10_SL_SM_SN_EUlS10_E1_NS1_11comp_targetILNS1_3genE10ELNS1_11target_archE1201ELNS1_3gpuE5ELNS1_3repE0EEENS1_36merge_oddeven_config_static_selectorELNS0_4arch9wavefront6targetE0EEEvSM_
	.p2align	8
	.type	_ZN7rocprim17ROCPRIM_400000_NS6detail17trampoline_kernelINS0_14default_configENS1_38merge_sort_block_merge_config_selectorIlNS0_10empty_typeEEEZZNS1_27merge_sort_block_merge_implIS3_PlPS5_mZN2at6native12_GLOBAL__N_124unique_dim_cuda_templateItEESt5tupleIJNSA_6TensorESF_SF_EERKSF_lbbbEUlllE_EE10hipError_tT0_T1_T2_jT3_P12ihipStream_tbPNSt15iterator_traitsISL_E10value_typeEPNSR_ISM_E10value_typeEPSN_NS1_7vsmem_tEENKUlT_SL_SM_SN_E_clIS8_S8_S9_S9_EESK_S10_SL_SM_SN_EUlS10_E1_NS1_11comp_targetILNS1_3genE10ELNS1_11target_archE1201ELNS1_3gpuE5ELNS1_3repE0EEENS1_36merge_oddeven_config_static_selectorELNS0_4arch9wavefront6targetE0EEEvSM_,@function
_ZN7rocprim17ROCPRIM_400000_NS6detail17trampoline_kernelINS0_14default_configENS1_38merge_sort_block_merge_config_selectorIlNS0_10empty_typeEEEZZNS1_27merge_sort_block_merge_implIS3_PlPS5_mZN2at6native12_GLOBAL__N_124unique_dim_cuda_templateItEESt5tupleIJNSA_6TensorESF_SF_EERKSF_lbbbEUlllE_EE10hipError_tT0_T1_T2_jT3_P12ihipStream_tbPNSt15iterator_traitsISL_E10value_typeEPNSR_ISM_E10value_typeEPSN_NS1_7vsmem_tEENKUlT_SL_SM_SN_E_clIS8_S8_S9_S9_EESK_S10_SL_SM_SN_EUlS10_E1_NS1_11comp_targetILNS1_3genE10ELNS1_11target_archE1201ELNS1_3gpuE5ELNS1_3repE0EEENS1_36merge_oddeven_config_static_selectorELNS0_4arch9wavefront6targetE0EEEvSM_: ; @_ZN7rocprim17ROCPRIM_400000_NS6detail17trampoline_kernelINS0_14default_configENS1_38merge_sort_block_merge_config_selectorIlNS0_10empty_typeEEEZZNS1_27merge_sort_block_merge_implIS3_PlPS5_mZN2at6native12_GLOBAL__N_124unique_dim_cuda_templateItEESt5tupleIJNSA_6TensorESF_SF_EERKSF_lbbbEUlllE_EE10hipError_tT0_T1_T2_jT3_P12ihipStream_tbPNSt15iterator_traitsISL_E10value_typeEPNSR_ISM_E10value_typeEPSN_NS1_7vsmem_tEENKUlT_SL_SM_SN_E_clIS8_S8_S9_S9_EESK_S10_SL_SM_SN_EUlS10_E1_NS1_11comp_targetILNS1_3genE10ELNS1_11target_archE1201ELNS1_3gpuE5ELNS1_3repE0EEENS1_36merge_oddeven_config_static_selectorELNS0_4arch9wavefront6targetE0EEEvSM_
; %bb.0:
	.section	.rodata,"a",@progbits
	.p2align	6, 0x0
	.amdhsa_kernel _ZN7rocprim17ROCPRIM_400000_NS6detail17trampoline_kernelINS0_14default_configENS1_38merge_sort_block_merge_config_selectorIlNS0_10empty_typeEEEZZNS1_27merge_sort_block_merge_implIS3_PlPS5_mZN2at6native12_GLOBAL__N_124unique_dim_cuda_templateItEESt5tupleIJNSA_6TensorESF_SF_EERKSF_lbbbEUlllE_EE10hipError_tT0_T1_T2_jT3_P12ihipStream_tbPNSt15iterator_traitsISL_E10value_typeEPNSR_ISM_E10value_typeEPSN_NS1_7vsmem_tEENKUlT_SL_SM_SN_E_clIS8_S8_S9_S9_EESK_S10_SL_SM_SN_EUlS10_E1_NS1_11comp_targetILNS1_3genE10ELNS1_11target_archE1201ELNS1_3gpuE5ELNS1_3repE0EEENS1_36merge_oddeven_config_static_selectorELNS0_4arch9wavefront6targetE0EEEvSM_
		.amdhsa_group_segment_fixed_size 0
		.amdhsa_private_segment_fixed_size 0
		.amdhsa_kernarg_size 64
		.amdhsa_user_sgpr_count 15
		.amdhsa_user_sgpr_dispatch_ptr 0
		.amdhsa_user_sgpr_queue_ptr 0
		.amdhsa_user_sgpr_kernarg_segment_ptr 1
		.amdhsa_user_sgpr_dispatch_id 0
		.amdhsa_user_sgpr_private_segment_size 0
		.amdhsa_wavefront_size32 1
		.amdhsa_uses_dynamic_stack 0
		.amdhsa_enable_private_segment 0
		.amdhsa_system_sgpr_workgroup_id_x 1
		.amdhsa_system_sgpr_workgroup_id_y 0
		.amdhsa_system_sgpr_workgroup_id_z 0
		.amdhsa_system_sgpr_workgroup_info 0
		.amdhsa_system_vgpr_workitem_id 0
		.amdhsa_next_free_vgpr 1
		.amdhsa_next_free_sgpr 1
		.amdhsa_reserve_vcc 0
		.amdhsa_float_round_mode_32 0
		.amdhsa_float_round_mode_16_64 0
		.amdhsa_float_denorm_mode_32 3
		.amdhsa_float_denorm_mode_16_64 3
		.amdhsa_dx10_clamp 1
		.amdhsa_ieee_mode 1
		.amdhsa_fp16_overflow 0
		.amdhsa_workgroup_processor_mode 1
		.amdhsa_memory_ordered 1
		.amdhsa_forward_progress 0
		.amdhsa_shared_vgpr_count 0
		.amdhsa_exception_fp_ieee_invalid_op 0
		.amdhsa_exception_fp_denorm_src 0
		.amdhsa_exception_fp_ieee_div_zero 0
		.amdhsa_exception_fp_ieee_overflow 0
		.amdhsa_exception_fp_ieee_underflow 0
		.amdhsa_exception_fp_ieee_inexact 0
		.amdhsa_exception_int_div_zero 0
	.end_amdhsa_kernel
	.section	.text._ZN7rocprim17ROCPRIM_400000_NS6detail17trampoline_kernelINS0_14default_configENS1_38merge_sort_block_merge_config_selectorIlNS0_10empty_typeEEEZZNS1_27merge_sort_block_merge_implIS3_PlPS5_mZN2at6native12_GLOBAL__N_124unique_dim_cuda_templateItEESt5tupleIJNSA_6TensorESF_SF_EERKSF_lbbbEUlllE_EE10hipError_tT0_T1_T2_jT3_P12ihipStream_tbPNSt15iterator_traitsISL_E10value_typeEPNSR_ISM_E10value_typeEPSN_NS1_7vsmem_tEENKUlT_SL_SM_SN_E_clIS8_S8_S9_S9_EESK_S10_SL_SM_SN_EUlS10_E1_NS1_11comp_targetILNS1_3genE10ELNS1_11target_archE1201ELNS1_3gpuE5ELNS1_3repE0EEENS1_36merge_oddeven_config_static_selectorELNS0_4arch9wavefront6targetE0EEEvSM_,"axG",@progbits,_ZN7rocprim17ROCPRIM_400000_NS6detail17trampoline_kernelINS0_14default_configENS1_38merge_sort_block_merge_config_selectorIlNS0_10empty_typeEEEZZNS1_27merge_sort_block_merge_implIS3_PlPS5_mZN2at6native12_GLOBAL__N_124unique_dim_cuda_templateItEESt5tupleIJNSA_6TensorESF_SF_EERKSF_lbbbEUlllE_EE10hipError_tT0_T1_T2_jT3_P12ihipStream_tbPNSt15iterator_traitsISL_E10value_typeEPNSR_ISM_E10value_typeEPSN_NS1_7vsmem_tEENKUlT_SL_SM_SN_E_clIS8_S8_S9_S9_EESK_S10_SL_SM_SN_EUlS10_E1_NS1_11comp_targetILNS1_3genE10ELNS1_11target_archE1201ELNS1_3gpuE5ELNS1_3repE0EEENS1_36merge_oddeven_config_static_selectorELNS0_4arch9wavefront6targetE0EEEvSM_,comdat
.Lfunc_end1385:
	.size	_ZN7rocprim17ROCPRIM_400000_NS6detail17trampoline_kernelINS0_14default_configENS1_38merge_sort_block_merge_config_selectorIlNS0_10empty_typeEEEZZNS1_27merge_sort_block_merge_implIS3_PlPS5_mZN2at6native12_GLOBAL__N_124unique_dim_cuda_templateItEESt5tupleIJNSA_6TensorESF_SF_EERKSF_lbbbEUlllE_EE10hipError_tT0_T1_T2_jT3_P12ihipStream_tbPNSt15iterator_traitsISL_E10value_typeEPNSR_ISM_E10value_typeEPSN_NS1_7vsmem_tEENKUlT_SL_SM_SN_E_clIS8_S8_S9_S9_EESK_S10_SL_SM_SN_EUlS10_E1_NS1_11comp_targetILNS1_3genE10ELNS1_11target_archE1201ELNS1_3gpuE5ELNS1_3repE0EEENS1_36merge_oddeven_config_static_selectorELNS0_4arch9wavefront6targetE0EEEvSM_, .Lfunc_end1385-_ZN7rocprim17ROCPRIM_400000_NS6detail17trampoline_kernelINS0_14default_configENS1_38merge_sort_block_merge_config_selectorIlNS0_10empty_typeEEEZZNS1_27merge_sort_block_merge_implIS3_PlPS5_mZN2at6native12_GLOBAL__N_124unique_dim_cuda_templateItEESt5tupleIJNSA_6TensorESF_SF_EERKSF_lbbbEUlllE_EE10hipError_tT0_T1_T2_jT3_P12ihipStream_tbPNSt15iterator_traitsISL_E10value_typeEPNSR_ISM_E10value_typeEPSN_NS1_7vsmem_tEENKUlT_SL_SM_SN_E_clIS8_S8_S9_S9_EESK_S10_SL_SM_SN_EUlS10_E1_NS1_11comp_targetILNS1_3genE10ELNS1_11target_archE1201ELNS1_3gpuE5ELNS1_3repE0EEENS1_36merge_oddeven_config_static_selectorELNS0_4arch9wavefront6targetE0EEEvSM_
                                        ; -- End function
	.section	.AMDGPU.csdata,"",@progbits
; Kernel info:
; codeLenInByte = 0
; NumSgprs: 0
; NumVgprs: 0
; ScratchSize: 0
; MemoryBound: 0
; FloatMode: 240
; IeeeMode: 1
; LDSByteSize: 0 bytes/workgroup (compile time only)
; SGPRBlocks: 0
; VGPRBlocks: 0
; NumSGPRsForWavesPerEU: 1
; NumVGPRsForWavesPerEU: 1
; Occupancy: 16
; WaveLimiterHint : 0
; COMPUTE_PGM_RSRC2:SCRATCH_EN: 0
; COMPUTE_PGM_RSRC2:USER_SGPR: 15
; COMPUTE_PGM_RSRC2:TRAP_HANDLER: 0
; COMPUTE_PGM_RSRC2:TGID_X_EN: 1
; COMPUTE_PGM_RSRC2:TGID_Y_EN: 0
; COMPUTE_PGM_RSRC2:TGID_Z_EN: 0
; COMPUTE_PGM_RSRC2:TIDIG_COMP_CNT: 0
	.section	.text._ZN7rocprim17ROCPRIM_400000_NS6detail17trampoline_kernelINS0_14default_configENS1_38merge_sort_block_merge_config_selectorIlNS0_10empty_typeEEEZZNS1_27merge_sort_block_merge_implIS3_PlPS5_mZN2at6native12_GLOBAL__N_124unique_dim_cuda_templateItEESt5tupleIJNSA_6TensorESF_SF_EERKSF_lbbbEUlllE_EE10hipError_tT0_T1_T2_jT3_P12ihipStream_tbPNSt15iterator_traitsISL_E10value_typeEPNSR_ISM_E10value_typeEPSN_NS1_7vsmem_tEENKUlT_SL_SM_SN_E_clIS8_S8_S9_S9_EESK_S10_SL_SM_SN_EUlS10_E1_NS1_11comp_targetILNS1_3genE5ELNS1_11target_archE942ELNS1_3gpuE9ELNS1_3repE0EEENS1_36merge_oddeven_config_static_selectorELNS0_4arch9wavefront6targetE0EEEvSM_,"axG",@progbits,_ZN7rocprim17ROCPRIM_400000_NS6detail17trampoline_kernelINS0_14default_configENS1_38merge_sort_block_merge_config_selectorIlNS0_10empty_typeEEEZZNS1_27merge_sort_block_merge_implIS3_PlPS5_mZN2at6native12_GLOBAL__N_124unique_dim_cuda_templateItEESt5tupleIJNSA_6TensorESF_SF_EERKSF_lbbbEUlllE_EE10hipError_tT0_T1_T2_jT3_P12ihipStream_tbPNSt15iterator_traitsISL_E10value_typeEPNSR_ISM_E10value_typeEPSN_NS1_7vsmem_tEENKUlT_SL_SM_SN_E_clIS8_S8_S9_S9_EESK_S10_SL_SM_SN_EUlS10_E1_NS1_11comp_targetILNS1_3genE5ELNS1_11target_archE942ELNS1_3gpuE9ELNS1_3repE0EEENS1_36merge_oddeven_config_static_selectorELNS0_4arch9wavefront6targetE0EEEvSM_,comdat
	.globl	_ZN7rocprim17ROCPRIM_400000_NS6detail17trampoline_kernelINS0_14default_configENS1_38merge_sort_block_merge_config_selectorIlNS0_10empty_typeEEEZZNS1_27merge_sort_block_merge_implIS3_PlPS5_mZN2at6native12_GLOBAL__N_124unique_dim_cuda_templateItEESt5tupleIJNSA_6TensorESF_SF_EERKSF_lbbbEUlllE_EE10hipError_tT0_T1_T2_jT3_P12ihipStream_tbPNSt15iterator_traitsISL_E10value_typeEPNSR_ISM_E10value_typeEPSN_NS1_7vsmem_tEENKUlT_SL_SM_SN_E_clIS8_S8_S9_S9_EESK_S10_SL_SM_SN_EUlS10_E1_NS1_11comp_targetILNS1_3genE5ELNS1_11target_archE942ELNS1_3gpuE9ELNS1_3repE0EEENS1_36merge_oddeven_config_static_selectorELNS0_4arch9wavefront6targetE0EEEvSM_ ; -- Begin function _ZN7rocprim17ROCPRIM_400000_NS6detail17trampoline_kernelINS0_14default_configENS1_38merge_sort_block_merge_config_selectorIlNS0_10empty_typeEEEZZNS1_27merge_sort_block_merge_implIS3_PlPS5_mZN2at6native12_GLOBAL__N_124unique_dim_cuda_templateItEESt5tupleIJNSA_6TensorESF_SF_EERKSF_lbbbEUlllE_EE10hipError_tT0_T1_T2_jT3_P12ihipStream_tbPNSt15iterator_traitsISL_E10value_typeEPNSR_ISM_E10value_typeEPSN_NS1_7vsmem_tEENKUlT_SL_SM_SN_E_clIS8_S8_S9_S9_EESK_S10_SL_SM_SN_EUlS10_E1_NS1_11comp_targetILNS1_3genE5ELNS1_11target_archE942ELNS1_3gpuE9ELNS1_3repE0EEENS1_36merge_oddeven_config_static_selectorELNS0_4arch9wavefront6targetE0EEEvSM_
	.p2align	8
	.type	_ZN7rocprim17ROCPRIM_400000_NS6detail17trampoline_kernelINS0_14default_configENS1_38merge_sort_block_merge_config_selectorIlNS0_10empty_typeEEEZZNS1_27merge_sort_block_merge_implIS3_PlPS5_mZN2at6native12_GLOBAL__N_124unique_dim_cuda_templateItEESt5tupleIJNSA_6TensorESF_SF_EERKSF_lbbbEUlllE_EE10hipError_tT0_T1_T2_jT3_P12ihipStream_tbPNSt15iterator_traitsISL_E10value_typeEPNSR_ISM_E10value_typeEPSN_NS1_7vsmem_tEENKUlT_SL_SM_SN_E_clIS8_S8_S9_S9_EESK_S10_SL_SM_SN_EUlS10_E1_NS1_11comp_targetILNS1_3genE5ELNS1_11target_archE942ELNS1_3gpuE9ELNS1_3repE0EEENS1_36merge_oddeven_config_static_selectorELNS0_4arch9wavefront6targetE0EEEvSM_,@function
_ZN7rocprim17ROCPRIM_400000_NS6detail17trampoline_kernelINS0_14default_configENS1_38merge_sort_block_merge_config_selectorIlNS0_10empty_typeEEEZZNS1_27merge_sort_block_merge_implIS3_PlPS5_mZN2at6native12_GLOBAL__N_124unique_dim_cuda_templateItEESt5tupleIJNSA_6TensorESF_SF_EERKSF_lbbbEUlllE_EE10hipError_tT0_T1_T2_jT3_P12ihipStream_tbPNSt15iterator_traitsISL_E10value_typeEPNSR_ISM_E10value_typeEPSN_NS1_7vsmem_tEENKUlT_SL_SM_SN_E_clIS8_S8_S9_S9_EESK_S10_SL_SM_SN_EUlS10_E1_NS1_11comp_targetILNS1_3genE5ELNS1_11target_archE942ELNS1_3gpuE9ELNS1_3repE0EEENS1_36merge_oddeven_config_static_selectorELNS0_4arch9wavefront6targetE0EEEvSM_: ; @_ZN7rocprim17ROCPRIM_400000_NS6detail17trampoline_kernelINS0_14default_configENS1_38merge_sort_block_merge_config_selectorIlNS0_10empty_typeEEEZZNS1_27merge_sort_block_merge_implIS3_PlPS5_mZN2at6native12_GLOBAL__N_124unique_dim_cuda_templateItEESt5tupleIJNSA_6TensorESF_SF_EERKSF_lbbbEUlllE_EE10hipError_tT0_T1_T2_jT3_P12ihipStream_tbPNSt15iterator_traitsISL_E10value_typeEPNSR_ISM_E10value_typeEPSN_NS1_7vsmem_tEENKUlT_SL_SM_SN_E_clIS8_S8_S9_S9_EESK_S10_SL_SM_SN_EUlS10_E1_NS1_11comp_targetILNS1_3genE5ELNS1_11target_archE942ELNS1_3gpuE9ELNS1_3repE0EEENS1_36merge_oddeven_config_static_selectorELNS0_4arch9wavefront6targetE0EEEvSM_
; %bb.0:
	.section	.rodata,"a",@progbits
	.p2align	6, 0x0
	.amdhsa_kernel _ZN7rocprim17ROCPRIM_400000_NS6detail17trampoline_kernelINS0_14default_configENS1_38merge_sort_block_merge_config_selectorIlNS0_10empty_typeEEEZZNS1_27merge_sort_block_merge_implIS3_PlPS5_mZN2at6native12_GLOBAL__N_124unique_dim_cuda_templateItEESt5tupleIJNSA_6TensorESF_SF_EERKSF_lbbbEUlllE_EE10hipError_tT0_T1_T2_jT3_P12ihipStream_tbPNSt15iterator_traitsISL_E10value_typeEPNSR_ISM_E10value_typeEPSN_NS1_7vsmem_tEENKUlT_SL_SM_SN_E_clIS8_S8_S9_S9_EESK_S10_SL_SM_SN_EUlS10_E1_NS1_11comp_targetILNS1_3genE5ELNS1_11target_archE942ELNS1_3gpuE9ELNS1_3repE0EEENS1_36merge_oddeven_config_static_selectorELNS0_4arch9wavefront6targetE0EEEvSM_
		.amdhsa_group_segment_fixed_size 0
		.amdhsa_private_segment_fixed_size 0
		.amdhsa_kernarg_size 64
		.amdhsa_user_sgpr_count 15
		.amdhsa_user_sgpr_dispatch_ptr 0
		.amdhsa_user_sgpr_queue_ptr 0
		.amdhsa_user_sgpr_kernarg_segment_ptr 1
		.amdhsa_user_sgpr_dispatch_id 0
		.amdhsa_user_sgpr_private_segment_size 0
		.amdhsa_wavefront_size32 1
		.amdhsa_uses_dynamic_stack 0
		.amdhsa_enable_private_segment 0
		.amdhsa_system_sgpr_workgroup_id_x 1
		.amdhsa_system_sgpr_workgroup_id_y 0
		.amdhsa_system_sgpr_workgroup_id_z 0
		.amdhsa_system_sgpr_workgroup_info 0
		.amdhsa_system_vgpr_workitem_id 0
		.amdhsa_next_free_vgpr 1
		.amdhsa_next_free_sgpr 1
		.amdhsa_reserve_vcc 0
		.amdhsa_float_round_mode_32 0
		.amdhsa_float_round_mode_16_64 0
		.amdhsa_float_denorm_mode_32 3
		.amdhsa_float_denorm_mode_16_64 3
		.amdhsa_dx10_clamp 1
		.amdhsa_ieee_mode 1
		.amdhsa_fp16_overflow 0
		.amdhsa_workgroup_processor_mode 1
		.amdhsa_memory_ordered 1
		.amdhsa_forward_progress 0
		.amdhsa_shared_vgpr_count 0
		.amdhsa_exception_fp_ieee_invalid_op 0
		.amdhsa_exception_fp_denorm_src 0
		.amdhsa_exception_fp_ieee_div_zero 0
		.amdhsa_exception_fp_ieee_overflow 0
		.amdhsa_exception_fp_ieee_underflow 0
		.amdhsa_exception_fp_ieee_inexact 0
		.amdhsa_exception_int_div_zero 0
	.end_amdhsa_kernel
	.section	.text._ZN7rocprim17ROCPRIM_400000_NS6detail17trampoline_kernelINS0_14default_configENS1_38merge_sort_block_merge_config_selectorIlNS0_10empty_typeEEEZZNS1_27merge_sort_block_merge_implIS3_PlPS5_mZN2at6native12_GLOBAL__N_124unique_dim_cuda_templateItEESt5tupleIJNSA_6TensorESF_SF_EERKSF_lbbbEUlllE_EE10hipError_tT0_T1_T2_jT3_P12ihipStream_tbPNSt15iterator_traitsISL_E10value_typeEPNSR_ISM_E10value_typeEPSN_NS1_7vsmem_tEENKUlT_SL_SM_SN_E_clIS8_S8_S9_S9_EESK_S10_SL_SM_SN_EUlS10_E1_NS1_11comp_targetILNS1_3genE5ELNS1_11target_archE942ELNS1_3gpuE9ELNS1_3repE0EEENS1_36merge_oddeven_config_static_selectorELNS0_4arch9wavefront6targetE0EEEvSM_,"axG",@progbits,_ZN7rocprim17ROCPRIM_400000_NS6detail17trampoline_kernelINS0_14default_configENS1_38merge_sort_block_merge_config_selectorIlNS0_10empty_typeEEEZZNS1_27merge_sort_block_merge_implIS3_PlPS5_mZN2at6native12_GLOBAL__N_124unique_dim_cuda_templateItEESt5tupleIJNSA_6TensorESF_SF_EERKSF_lbbbEUlllE_EE10hipError_tT0_T1_T2_jT3_P12ihipStream_tbPNSt15iterator_traitsISL_E10value_typeEPNSR_ISM_E10value_typeEPSN_NS1_7vsmem_tEENKUlT_SL_SM_SN_E_clIS8_S8_S9_S9_EESK_S10_SL_SM_SN_EUlS10_E1_NS1_11comp_targetILNS1_3genE5ELNS1_11target_archE942ELNS1_3gpuE9ELNS1_3repE0EEENS1_36merge_oddeven_config_static_selectorELNS0_4arch9wavefront6targetE0EEEvSM_,comdat
.Lfunc_end1386:
	.size	_ZN7rocprim17ROCPRIM_400000_NS6detail17trampoline_kernelINS0_14default_configENS1_38merge_sort_block_merge_config_selectorIlNS0_10empty_typeEEEZZNS1_27merge_sort_block_merge_implIS3_PlPS5_mZN2at6native12_GLOBAL__N_124unique_dim_cuda_templateItEESt5tupleIJNSA_6TensorESF_SF_EERKSF_lbbbEUlllE_EE10hipError_tT0_T1_T2_jT3_P12ihipStream_tbPNSt15iterator_traitsISL_E10value_typeEPNSR_ISM_E10value_typeEPSN_NS1_7vsmem_tEENKUlT_SL_SM_SN_E_clIS8_S8_S9_S9_EESK_S10_SL_SM_SN_EUlS10_E1_NS1_11comp_targetILNS1_3genE5ELNS1_11target_archE942ELNS1_3gpuE9ELNS1_3repE0EEENS1_36merge_oddeven_config_static_selectorELNS0_4arch9wavefront6targetE0EEEvSM_, .Lfunc_end1386-_ZN7rocprim17ROCPRIM_400000_NS6detail17trampoline_kernelINS0_14default_configENS1_38merge_sort_block_merge_config_selectorIlNS0_10empty_typeEEEZZNS1_27merge_sort_block_merge_implIS3_PlPS5_mZN2at6native12_GLOBAL__N_124unique_dim_cuda_templateItEESt5tupleIJNSA_6TensorESF_SF_EERKSF_lbbbEUlllE_EE10hipError_tT0_T1_T2_jT3_P12ihipStream_tbPNSt15iterator_traitsISL_E10value_typeEPNSR_ISM_E10value_typeEPSN_NS1_7vsmem_tEENKUlT_SL_SM_SN_E_clIS8_S8_S9_S9_EESK_S10_SL_SM_SN_EUlS10_E1_NS1_11comp_targetILNS1_3genE5ELNS1_11target_archE942ELNS1_3gpuE9ELNS1_3repE0EEENS1_36merge_oddeven_config_static_selectorELNS0_4arch9wavefront6targetE0EEEvSM_
                                        ; -- End function
	.section	.AMDGPU.csdata,"",@progbits
; Kernel info:
; codeLenInByte = 0
; NumSgprs: 0
; NumVgprs: 0
; ScratchSize: 0
; MemoryBound: 0
; FloatMode: 240
; IeeeMode: 1
; LDSByteSize: 0 bytes/workgroup (compile time only)
; SGPRBlocks: 0
; VGPRBlocks: 0
; NumSGPRsForWavesPerEU: 1
; NumVGPRsForWavesPerEU: 1
; Occupancy: 16
; WaveLimiterHint : 0
; COMPUTE_PGM_RSRC2:SCRATCH_EN: 0
; COMPUTE_PGM_RSRC2:USER_SGPR: 15
; COMPUTE_PGM_RSRC2:TRAP_HANDLER: 0
; COMPUTE_PGM_RSRC2:TGID_X_EN: 1
; COMPUTE_PGM_RSRC2:TGID_Y_EN: 0
; COMPUTE_PGM_RSRC2:TGID_Z_EN: 0
; COMPUTE_PGM_RSRC2:TIDIG_COMP_CNT: 0
	.section	.text._ZN7rocprim17ROCPRIM_400000_NS6detail17trampoline_kernelINS0_14default_configENS1_38merge_sort_block_merge_config_selectorIlNS0_10empty_typeEEEZZNS1_27merge_sort_block_merge_implIS3_PlPS5_mZN2at6native12_GLOBAL__N_124unique_dim_cuda_templateItEESt5tupleIJNSA_6TensorESF_SF_EERKSF_lbbbEUlllE_EE10hipError_tT0_T1_T2_jT3_P12ihipStream_tbPNSt15iterator_traitsISL_E10value_typeEPNSR_ISM_E10value_typeEPSN_NS1_7vsmem_tEENKUlT_SL_SM_SN_E_clIS8_S8_S9_S9_EESK_S10_SL_SM_SN_EUlS10_E1_NS1_11comp_targetILNS1_3genE4ELNS1_11target_archE910ELNS1_3gpuE8ELNS1_3repE0EEENS1_36merge_oddeven_config_static_selectorELNS0_4arch9wavefront6targetE0EEEvSM_,"axG",@progbits,_ZN7rocprim17ROCPRIM_400000_NS6detail17trampoline_kernelINS0_14default_configENS1_38merge_sort_block_merge_config_selectorIlNS0_10empty_typeEEEZZNS1_27merge_sort_block_merge_implIS3_PlPS5_mZN2at6native12_GLOBAL__N_124unique_dim_cuda_templateItEESt5tupleIJNSA_6TensorESF_SF_EERKSF_lbbbEUlllE_EE10hipError_tT0_T1_T2_jT3_P12ihipStream_tbPNSt15iterator_traitsISL_E10value_typeEPNSR_ISM_E10value_typeEPSN_NS1_7vsmem_tEENKUlT_SL_SM_SN_E_clIS8_S8_S9_S9_EESK_S10_SL_SM_SN_EUlS10_E1_NS1_11comp_targetILNS1_3genE4ELNS1_11target_archE910ELNS1_3gpuE8ELNS1_3repE0EEENS1_36merge_oddeven_config_static_selectorELNS0_4arch9wavefront6targetE0EEEvSM_,comdat
	.globl	_ZN7rocprim17ROCPRIM_400000_NS6detail17trampoline_kernelINS0_14default_configENS1_38merge_sort_block_merge_config_selectorIlNS0_10empty_typeEEEZZNS1_27merge_sort_block_merge_implIS3_PlPS5_mZN2at6native12_GLOBAL__N_124unique_dim_cuda_templateItEESt5tupleIJNSA_6TensorESF_SF_EERKSF_lbbbEUlllE_EE10hipError_tT0_T1_T2_jT3_P12ihipStream_tbPNSt15iterator_traitsISL_E10value_typeEPNSR_ISM_E10value_typeEPSN_NS1_7vsmem_tEENKUlT_SL_SM_SN_E_clIS8_S8_S9_S9_EESK_S10_SL_SM_SN_EUlS10_E1_NS1_11comp_targetILNS1_3genE4ELNS1_11target_archE910ELNS1_3gpuE8ELNS1_3repE0EEENS1_36merge_oddeven_config_static_selectorELNS0_4arch9wavefront6targetE0EEEvSM_ ; -- Begin function _ZN7rocprim17ROCPRIM_400000_NS6detail17trampoline_kernelINS0_14default_configENS1_38merge_sort_block_merge_config_selectorIlNS0_10empty_typeEEEZZNS1_27merge_sort_block_merge_implIS3_PlPS5_mZN2at6native12_GLOBAL__N_124unique_dim_cuda_templateItEESt5tupleIJNSA_6TensorESF_SF_EERKSF_lbbbEUlllE_EE10hipError_tT0_T1_T2_jT3_P12ihipStream_tbPNSt15iterator_traitsISL_E10value_typeEPNSR_ISM_E10value_typeEPSN_NS1_7vsmem_tEENKUlT_SL_SM_SN_E_clIS8_S8_S9_S9_EESK_S10_SL_SM_SN_EUlS10_E1_NS1_11comp_targetILNS1_3genE4ELNS1_11target_archE910ELNS1_3gpuE8ELNS1_3repE0EEENS1_36merge_oddeven_config_static_selectorELNS0_4arch9wavefront6targetE0EEEvSM_
	.p2align	8
	.type	_ZN7rocprim17ROCPRIM_400000_NS6detail17trampoline_kernelINS0_14default_configENS1_38merge_sort_block_merge_config_selectorIlNS0_10empty_typeEEEZZNS1_27merge_sort_block_merge_implIS3_PlPS5_mZN2at6native12_GLOBAL__N_124unique_dim_cuda_templateItEESt5tupleIJNSA_6TensorESF_SF_EERKSF_lbbbEUlllE_EE10hipError_tT0_T1_T2_jT3_P12ihipStream_tbPNSt15iterator_traitsISL_E10value_typeEPNSR_ISM_E10value_typeEPSN_NS1_7vsmem_tEENKUlT_SL_SM_SN_E_clIS8_S8_S9_S9_EESK_S10_SL_SM_SN_EUlS10_E1_NS1_11comp_targetILNS1_3genE4ELNS1_11target_archE910ELNS1_3gpuE8ELNS1_3repE0EEENS1_36merge_oddeven_config_static_selectorELNS0_4arch9wavefront6targetE0EEEvSM_,@function
_ZN7rocprim17ROCPRIM_400000_NS6detail17trampoline_kernelINS0_14default_configENS1_38merge_sort_block_merge_config_selectorIlNS0_10empty_typeEEEZZNS1_27merge_sort_block_merge_implIS3_PlPS5_mZN2at6native12_GLOBAL__N_124unique_dim_cuda_templateItEESt5tupleIJNSA_6TensorESF_SF_EERKSF_lbbbEUlllE_EE10hipError_tT0_T1_T2_jT3_P12ihipStream_tbPNSt15iterator_traitsISL_E10value_typeEPNSR_ISM_E10value_typeEPSN_NS1_7vsmem_tEENKUlT_SL_SM_SN_E_clIS8_S8_S9_S9_EESK_S10_SL_SM_SN_EUlS10_E1_NS1_11comp_targetILNS1_3genE4ELNS1_11target_archE910ELNS1_3gpuE8ELNS1_3repE0EEENS1_36merge_oddeven_config_static_selectorELNS0_4arch9wavefront6targetE0EEEvSM_: ; @_ZN7rocprim17ROCPRIM_400000_NS6detail17trampoline_kernelINS0_14default_configENS1_38merge_sort_block_merge_config_selectorIlNS0_10empty_typeEEEZZNS1_27merge_sort_block_merge_implIS3_PlPS5_mZN2at6native12_GLOBAL__N_124unique_dim_cuda_templateItEESt5tupleIJNSA_6TensorESF_SF_EERKSF_lbbbEUlllE_EE10hipError_tT0_T1_T2_jT3_P12ihipStream_tbPNSt15iterator_traitsISL_E10value_typeEPNSR_ISM_E10value_typeEPSN_NS1_7vsmem_tEENKUlT_SL_SM_SN_E_clIS8_S8_S9_S9_EESK_S10_SL_SM_SN_EUlS10_E1_NS1_11comp_targetILNS1_3genE4ELNS1_11target_archE910ELNS1_3gpuE8ELNS1_3repE0EEENS1_36merge_oddeven_config_static_selectorELNS0_4arch9wavefront6targetE0EEEvSM_
; %bb.0:
	.section	.rodata,"a",@progbits
	.p2align	6, 0x0
	.amdhsa_kernel _ZN7rocprim17ROCPRIM_400000_NS6detail17trampoline_kernelINS0_14default_configENS1_38merge_sort_block_merge_config_selectorIlNS0_10empty_typeEEEZZNS1_27merge_sort_block_merge_implIS3_PlPS5_mZN2at6native12_GLOBAL__N_124unique_dim_cuda_templateItEESt5tupleIJNSA_6TensorESF_SF_EERKSF_lbbbEUlllE_EE10hipError_tT0_T1_T2_jT3_P12ihipStream_tbPNSt15iterator_traitsISL_E10value_typeEPNSR_ISM_E10value_typeEPSN_NS1_7vsmem_tEENKUlT_SL_SM_SN_E_clIS8_S8_S9_S9_EESK_S10_SL_SM_SN_EUlS10_E1_NS1_11comp_targetILNS1_3genE4ELNS1_11target_archE910ELNS1_3gpuE8ELNS1_3repE0EEENS1_36merge_oddeven_config_static_selectorELNS0_4arch9wavefront6targetE0EEEvSM_
		.amdhsa_group_segment_fixed_size 0
		.amdhsa_private_segment_fixed_size 0
		.amdhsa_kernarg_size 64
		.amdhsa_user_sgpr_count 15
		.amdhsa_user_sgpr_dispatch_ptr 0
		.amdhsa_user_sgpr_queue_ptr 0
		.amdhsa_user_sgpr_kernarg_segment_ptr 1
		.amdhsa_user_sgpr_dispatch_id 0
		.amdhsa_user_sgpr_private_segment_size 0
		.amdhsa_wavefront_size32 1
		.amdhsa_uses_dynamic_stack 0
		.amdhsa_enable_private_segment 0
		.amdhsa_system_sgpr_workgroup_id_x 1
		.amdhsa_system_sgpr_workgroup_id_y 0
		.amdhsa_system_sgpr_workgroup_id_z 0
		.amdhsa_system_sgpr_workgroup_info 0
		.amdhsa_system_vgpr_workitem_id 0
		.amdhsa_next_free_vgpr 1
		.amdhsa_next_free_sgpr 1
		.amdhsa_reserve_vcc 0
		.amdhsa_float_round_mode_32 0
		.amdhsa_float_round_mode_16_64 0
		.amdhsa_float_denorm_mode_32 3
		.amdhsa_float_denorm_mode_16_64 3
		.amdhsa_dx10_clamp 1
		.amdhsa_ieee_mode 1
		.amdhsa_fp16_overflow 0
		.amdhsa_workgroup_processor_mode 1
		.amdhsa_memory_ordered 1
		.amdhsa_forward_progress 0
		.amdhsa_shared_vgpr_count 0
		.amdhsa_exception_fp_ieee_invalid_op 0
		.amdhsa_exception_fp_denorm_src 0
		.amdhsa_exception_fp_ieee_div_zero 0
		.amdhsa_exception_fp_ieee_overflow 0
		.amdhsa_exception_fp_ieee_underflow 0
		.amdhsa_exception_fp_ieee_inexact 0
		.amdhsa_exception_int_div_zero 0
	.end_amdhsa_kernel
	.section	.text._ZN7rocprim17ROCPRIM_400000_NS6detail17trampoline_kernelINS0_14default_configENS1_38merge_sort_block_merge_config_selectorIlNS0_10empty_typeEEEZZNS1_27merge_sort_block_merge_implIS3_PlPS5_mZN2at6native12_GLOBAL__N_124unique_dim_cuda_templateItEESt5tupleIJNSA_6TensorESF_SF_EERKSF_lbbbEUlllE_EE10hipError_tT0_T1_T2_jT3_P12ihipStream_tbPNSt15iterator_traitsISL_E10value_typeEPNSR_ISM_E10value_typeEPSN_NS1_7vsmem_tEENKUlT_SL_SM_SN_E_clIS8_S8_S9_S9_EESK_S10_SL_SM_SN_EUlS10_E1_NS1_11comp_targetILNS1_3genE4ELNS1_11target_archE910ELNS1_3gpuE8ELNS1_3repE0EEENS1_36merge_oddeven_config_static_selectorELNS0_4arch9wavefront6targetE0EEEvSM_,"axG",@progbits,_ZN7rocprim17ROCPRIM_400000_NS6detail17trampoline_kernelINS0_14default_configENS1_38merge_sort_block_merge_config_selectorIlNS0_10empty_typeEEEZZNS1_27merge_sort_block_merge_implIS3_PlPS5_mZN2at6native12_GLOBAL__N_124unique_dim_cuda_templateItEESt5tupleIJNSA_6TensorESF_SF_EERKSF_lbbbEUlllE_EE10hipError_tT0_T1_T2_jT3_P12ihipStream_tbPNSt15iterator_traitsISL_E10value_typeEPNSR_ISM_E10value_typeEPSN_NS1_7vsmem_tEENKUlT_SL_SM_SN_E_clIS8_S8_S9_S9_EESK_S10_SL_SM_SN_EUlS10_E1_NS1_11comp_targetILNS1_3genE4ELNS1_11target_archE910ELNS1_3gpuE8ELNS1_3repE0EEENS1_36merge_oddeven_config_static_selectorELNS0_4arch9wavefront6targetE0EEEvSM_,comdat
.Lfunc_end1387:
	.size	_ZN7rocprim17ROCPRIM_400000_NS6detail17trampoline_kernelINS0_14default_configENS1_38merge_sort_block_merge_config_selectorIlNS0_10empty_typeEEEZZNS1_27merge_sort_block_merge_implIS3_PlPS5_mZN2at6native12_GLOBAL__N_124unique_dim_cuda_templateItEESt5tupleIJNSA_6TensorESF_SF_EERKSF_lbbbEUlllE_EE10hipError_tT0_T1_T2_jT3_P12ihipStream_tbPNSt15iterator_traitsISL_E10value_typeEPNSR_ISM_E10value_typeEPSN_NS1_7vsmem_tEENKUlT_SL_SM_SN_E_clIS8_S8_S9_S9_EESK_S10_SL_SM_SN_EUlS10_E1_NS1_11comp_targetILNS1_3genE4ELNS1_11target_archE910ELNS1_3gpuE8ELNS1_3repE0EEENS1_36merge_oddeven_config_static_selectorELNS0_4arch9wavefront6targetE0EEEvSM_, .Lfunc_end1387-_ZN7rocprim17ROCPRIM_400000_NS6detail17trampoline_kernelINS0_14default_configENS1_38merge_sort_block_merge_config_selectorIlNS0_10empty_typeEEEZZNS1_27merge_sort_block_merge_implIS3_PlPS5_mZN2at6native12_GLOBAL__N_124unique_dim_cuda_templateItEESt5tupleIJNSA_6TensorESF_SF_EERKSF_lbbbEUlllE_EE10hipError_tT0_T1_T2_jT3_P12ihipStream_tbPNSt15iterator_traitsISL_E10value_typeEPNSR_ISM_E10value_typeEPSN_NS1_7vsmem_tEENKUlT_SL_SM_SN_E_clIS8_S8_S9_S9_EESK_S10_SL_SM_SN_EUlS10_E1_NS1_11comp_targetILNS1_3genE4ELNS1_11target_archE910ELNS1_3gpuE8ELNS1_3repE0EEENS1_36merge_oddeven_config_static_selectorELNS0_4arch9wavefront6targetE0EEEvSM_
                                        ; -- End function
	.section	.AMDGPU.csdata,"",@progbits
; Kernel info:
; codeLenInByte = 0
; NumSgprs: 0
; NumVgprs: 0
; ScratchSize: 0
; MemoryBound: 0
; FloatMode: 240
; IeeeMode: 1
; LDSByteSize: 0 bytes/workgroup (compile time only)
; SGPRBlocks: 0
; VGPRBlocks: 0
; NumSGPRsForWavesPerEU: 1
; NumVGPRsForWavesPerEU: 1
; Occupancy: 16
; WaveLimiterHint : 0
; COMPUTE_PGM_RSRC2:SCRATCH_EN: 0
; COMPUTE_PGM_RSRC2:USER_SGPR: 15
; COMPUTE_PGM_RSRC2:TRAP_HANDLER: 0
; COMPUTE_PGM_RSRC2:TGID_X_EN: 1
; COMPUTE_PGM_RSRC2:TGID_Y_EN: 0
; COMPUTE_PGM_RSRC2:TGID_Z_EN: 0
; COMPUTE_PGM_RSRC2:TIDIG_COMP_CNT: 0
	.section	.text._ZN7rocprim17ROCPRIM_400000_NS6detail17trampoline_kernelINS0_14default_configENS1_38merge_sort_block_merge_config_selectorIlNS0_10empty_typeEEEZZNS1_27merge_sort_block_merge_implIS3_PlPS5_mZN2at6native12_GLOBAL__N_124unique_dim_cuda_templateItEESt5tupleIJNSA_6TensorESF_SF_EERKSF_lbbbEUlllE_EE10hipError_tT0_T1_T2_jT3_P12ihipStream_tbPNSt15iterator_traitsISL_E10value_typeEPNSR_ISM_E10value_typeEPSN_NS1_7vsmem_tEENKUlT_SL_SM_SN_E_clIS8_S8_S9_S9_EESK_S10_SL_SM_SN_EUlS10_E1_NS1_11comp_targetILNS1_3genE3ELNS1_11target_archE908ELNS1_3gpuE7ELNS1_3repE0EEENS1_36merge_oddeven_config_static_selectorELNS0_4arch9wavefront6targetE0EEEvSM_,"axG",@progbits,_ZN7rocprim17ROCPRIM_400000_NS6detail17trampoline_kernelINS0_14default_configENS1_38merge_sort_block_merge_config_selectorIlNS0_10empty_typeEEEZZNS1_27merge_sort_block_merge_implIS3_PlPS5_mZN2at6native12_GLOBAL__N_124unique_dim_cuda_templateItEESt5tupleIJNSA_6TensorESF_SF_EERKSF_lbbbEUlllE_EE10hipError_tT0_T1_T2_jT3_P12ihipStream_tbPNSt15iterator_traitsISL_E10value_typeEPNSR_ISM_E10value_typeEPSN_NS1_7vsmem_tEENKUlT_SL_SM_SN_E_clIS8_S8_S9_S9_EESK_S10_SL_SM_SN_EUlS10_E1_NS1_11comp_targetILNS1_3genE3ELNS1_11target_archE908ELNS1_3gpuE7ELNS1_3repE0EEENS1_36merge_oddeven_config_static_selectorELNS0_4arch9wavefront6targetE0EEEvSM_,comdat
	.globl	_ZN7rocprim17ROCPRIM_400000_NS6detail17trampoline_kernelINS0_14default_configENS1_38merge_sort_block_merge_config_selectorIlNS0_10empty_typeEEEZZNS1_27merge_sort_block_merge_implIS3_PlPS5_mZN2at6native12_GLOBAL__N_124unique_dim_cuda_templateItEESt5tupleIJNSA_6TensorESF_SF_EERKSF_lbbbEUlllE_EE10hipError_tT0_T1_T2_jT3_P12ihipStream_tbPNSt15iterator_traitsISL_E10value_typeEPNSR_ISM_E10value_typeEPSN_NS1_7vsmem_tEENKUlT_SL_SM_SN_E_clIS8_S8_S9_S9_EESK_S10_SL_SM_SN_EUlS10_E1_NS1_11comp_targetILNS1_3genE3ELNS1_11target_archE908ELNS1_3gpuE7ELNS1_3repE0EEENS1_36merge_oddeven_config_static_selectorELNS0_4arch9wavefront6targetE0EEEvSM_ ; -- Begin function _ZN7rocprim17ROCPRIM_400000_NS6detail17trampoline_kernelINS0_14default_configENS1_38merge_sort_block_merge_config_selectorIlNS0_10empty_typeEEEZZNS1_27merge_sort_block_merge_implIS3_PlPS5_mZN2at6native12_GLOBAL__N_124unique_dim_cuda_templateItEESt5tupleIJNSA_6TensorESF_SF_EERKSF_lbbbEUlllE_EE10hipError_tT0_T1_T2_jT3_P12ihipStream_tbPNSt15iterator_traitsISL_E10value_typeEPNSR_ISM_E10value_typeEPSN_NS1_7vsmem_tEENKUlT_SL_SM_SN_E_clIS8_S8_S9_S9_EESK_S10_SL_SM_SN_EUlS10_E1_NS1_11comp_targetILNS1_3genE3ELNS1_11target_archE908ELNS1_3gpuE7ELNS1_3repE0EEENS1_36merge_oddeven_config_static_selectorELNS0_4arch9wavefront6targetE0EEEvSM_
	.p2align	8
	.type	_ZN7rocprim17ROCPRIM_400000_NS6detail17trampoline_kernelINS0_14default_configENS1_38merge_sort_block_merge_config_selectorIlNS0_10empty_typeEEEZZNS1_27merge_sort_block_merge_implIS3_PlPS5_mZN2at6native12_GLOBAL__N_124unique_dim_cuda_templateItEESt5tupleIJNSA_6TensorESF_SF_EERKSF_lbbbEUlllE_EE10hipError_tT0_T1_T2_jT3_P12ihipStream_tbPNSt15iterator_traitsISL_E10value_typeEPNSR_ISM_E10value_typeEPSN_NS1_7vsmem_tEENKUlT_SL_SM_SN_E_clIS8_S8_S9_S9_EESK_S10_SL_SM_SN_EUlS10_E1_NS1_11comp_targetILNS1_3genE3ELNS1_11target_archE908ELNS1_3gpuE7ELNS1_3repE0EEENS1_36merge_oddeven_config_static_selectorELNS0_4arch9wavefront6targetE0EEEvSM_,@function
_ZN7rocprim17ROCPRIM_400000_NS6detail17trampoline_kernelINS0_14default_configENS1_38merge_sort_block_merge_config_selectorIlNS0_10empty_typeEEEZZNS1_27merge_sort_block_merge_implIS3_PlPS5_mZN2at6native12_GLOBAL__N_124unique_dim_cuda_templateItEESt5tupleIJNSA_6TensorESF_SF_EERKSF_lbbbEUlllE_EE10hipError_tT0_T1_T2_jT3_P12ihipStream_tbPNSt15iterator_traitsISL_E10value_typeEPNSR_ISM_E10value_typeEPSN_NS1_7vsmem_tEENKUlT_SL_SM_SN_E_clIS8_S8_S9_S9_EESK_S10_SL_SM_SN_EUlS10_E1_NS1_11comp_targetILNS1_3genE3ELNS1_11target_archE908ELNS1_3gpuE7ELNS1_3repE0EEENS1_36merge_oddeven_config_static_selectorELNS0_4arch9wavefront6targetE0EEEvSM_: ; @_ZN7rocprim17ROCPRIM_400000_NS6detail17trampoline_kernelINS0_14default_configENS1_38merge_sort_block_merge_config_selectorIlNS0_10empty_typeEEEZZNS1_27merge_sort_block_merge_implIS3_PlPS5_mZN2at6native12_GLOBAL__N_124unique_dim_cuda_templateItEESt5tupleIJNSA_6TensorESF_SF_EERKSF_lbbbEUlllE_EE10hipError_tT0_T1_T2_jT3_P12ihipStream_tbPNSt15iterator_traitsISL_E10value_typeEPNSR_ISM_E10value_typeEPSN_NS1_7vsmem_tEENKUlT_SL_SM_SN_E_clIS8_S8_S9_S9_EESK_S10_SL_SM_SN_EUlS10_E1_NS1_11comp_targetILNS1_3genE3ELNS1_11target_archE908ELNS1_3gpuE7ELNS1_3repE0EEENS1_36merge_oddeven_config_static_selectorELNS0_4arch9wavefront6targetE0EEEvSM_
; %bb.0:
	.section	.rodata,"a",@progbits
	.p2align	6, 0x0
	.amdhsa_kernel _ZN7rocprim17ROCPRIM_400000_NS6detail17trampoline_kernelINS0_14default_configENS1_38merge_sort_block_merge_config_selectorIlNS0_10empty_typeEEEZZNS1_27merge_sort_block_merge_implIS3_PlPS5_mZN2at6native12_GLOBAL__N_124unique_dim_cuda_templateItEESt5tupleIJNSA_6TensorESF_SF_EERKSF_lbbbEUlllE_EE10hipError_tT0_T1_T2_jT3_P12ihipStream_tbPNSt15iterator_traitsISL_E10value_typeEPNSR_ISM_E10value_typeEPSN_NS1_7vsmem_tEENKUlT_SL_SM_SN_E_clIS8_S8_S9_S9_EESK_S10_SL_SM_SN_EUlS10_E1_NS1_11comp_targetILNS1_3genE3ELNS1_11target_archE908ELNS1_3gpuE7ELNS1_3repE0EEENS1_36merge_oddeven_config_static_selectorELNS0_4arch9wavefront6targetE0EEEvSM_
		.amdhsa_group_segment_fixed_size 0
		.amdhsa_private_segment_fixed_size 0
		.amdhsa_kernarg_size 64
		.amdhsa_user_sgpr_count 15
		.amdhsa_user_sgpr_dispatch_ptr 0
		.amdhsa_user_sgpr_queue_ptr 0
		.amdhsa_user_sgpr_kernarg_segment_ptr 1
		.amdhsa_user_sgpr_dispatch_id 0
		.amdhsa_user_sgpr_private_segment_size 0
		.amdhsa_wavefront_size32 1
		.amdhsa_uses_dynamic_stack 0
		.amdhsa_enable_private_segment 0
		.amdhsa_system_sgpr_workgroup_id_x 1
		.amdhsa_system_sgpr_workgroup_id_y 0
		.amdhsa_system_sgpr_workgroup_id_z 0
		.amdhsa_system_sgpr_workgroup_info 0
		.amdhsa_system_vgpr_workitem_id 0
		.amdhsa_next_free_vgpr 1
		.amdhsa_next_free_sgpr 1
		.amdhsa_reserve_vcc 0
		.amdhsa_float_round_mode_32 0
		.amdhsa_float_round_mode_16_64 0
		.amdhsa_float_denorm_mode_32 3
		.amdhsa_float_denorm_mode_16_64 3
		.amdhsa_dx10_clamp 1
		.amdhsa_ieee_mode 1
		.amdhsa_fp16_overflow 0
		.amdhsa_workgroup_processor_mode 1
		.amdhsa_memory_ordered 1
		.amdhsa_forward_progress 0
		.amdhsa_shared_vgpr_count 0
		.amdhsa_exception_fp_ieee_invalid_op 0
		.amdhsa_exception_fp_denorm_src 0
		.amdhsa_exception_fp_ieee_div_zero 0
		.amdhsa_exception_fp_ieee_overflow 0
		.amdhsa_exception_fp_ieee_underflow 0
		.amdhsa_exception_fp_ieee_inexact 0
		.amdhsa_exception_int_div_zero 0
	.end_amdhsa_kernel
	.section	.text._ZN7rocprim17ROCPRIM_400000_NS6detail17trampoline_kernelINS0_14default_configENS1_38merge_sort_block_merge_config_selectorIlNS0_10empty_typeEEEZZNS1_27merge_sort_block_merge_implIS3_PlPS5_mZN2at6native12_GLOBAL__N_124unique_dim_cuda_templateItEESt5tupleIJNSA_6TensorESF_SF_EERKSF_lbbbEUlllE_EE10hipError_tT0_T1_T2_jT3_P12ihipStream_tbPNSt15iterator_traitsISL_E10value_typeEPNSR_ISM_E10value_typeEPSN_NS1_7vsmem_tEENKUlT_SL_SM_SN_E_clIS8_S8_S9_S9_EESK_S10_SL_SM_SN_EUlS10_E1_NS1_11comp_targetILNS1_3genE3ELNS1_11target_archE908ELNS1_3gpuE7ELNS1_3repE0EEENS1_36merge_oddeven_config_static_selectorELNS0_4arch9wavefront6targetE0EEEvSM_,"axG",@progbits,_ZN7rocprim17ROCPRIM_400000_NS6detail17trampoline_kernelINS0_14default_configENS1_38merge_sort_block_merge_config_selectorIlNS0_10empty_typeEEEZZNS1_27merge_sort_block_merge_implIS3_PlPS5_mZN2at6native12_GLOBAL__N_124unique_dim_cuda_templateItEESt5tupleIJNSA_6TensorESF_SF_EERKSF_lbbbEUlllE_EE10hipError_tT0_T1_T2_jT3_P12ihipStream_tbPNSt15iterator_traitsISL_E10value_typeEPNSR_ISM_E10value_typeEPSN_NS1_7vsmem_tEENKUlT_SL_SM_SN_E_clIS8_S8_S9_S9_EESK_S10_SL_SM_SN_EUlS10_E1_NS1_11comp_targetILNS1_3genE3ELNS1_11target_archE908ELNS1_3gpuE7ELNS1_3repE0EEENS1_36merge_oddeven_config_static_selectorELNS0_4arch9wavefront6targetE0EEEvSM_,comdat
.Lfunc_end1388:
	.size	_ZN7rocprim17ROCPRIM_400000_NS6detail17trampoline_kernelINS0_14default_configENS1_38merge_sort_block_merge_config_selectorIlNS0_10empty_typeEEEZZNS1_27merge_sort_block_merge_implIS3_PlPS5_mZN2at6native12_GLOBAL__N_124unique_dim_cuda_templateItEESt5tupleIJNSA_6TensorESF_SF_EERKSF_lbbbEUlllE_EE10hipError_tT0_T1_T2_jT3_P12ihipStream_tbPNSt15iterator_traitsISL_E10value_typeEPNSR_ISM_E10value_typeEPSN_NS1_7vsmem_tEENKUlT_SL_SM_SN_E_clIS8_S8_S9_S9_EESK_S10_SL_SM_SN_EUlS10_E1_NS1_11comp_targetILNS1_3genE3ELNS1_11target_archE908ELNS1_3gpuE7ELNS1_3repE0EEENS1_36merge_oddeven_config_static_selectorELNS0_4arch9wavefront6targetE0EEEvSM_, .Lfunc_end1388-_ZN7rocprim17ROCPRIM_400000_NS6detail17trampoline_kernelINS0_14default_configENS1_38merge_sort_block_merge_config_selectorIlNS0_10empty_typeEEEZZNS1_27merge_sort_block_merge_implIS3_PlPS5_mZN2at6native12_GLOBAL__N_124unique_dim_cuda_templateItEESt5tupleIJNSA_6TensorESF_SF_EERKSF_lbbbEUlllE_EE10hipError_tT0_T1_T2_jT3_P12ihipStream_tbPNSt15iterator_traitsISL_E10value_typeEPNSR_ISM_E10value_typeEPSN_NS1_7vsmem_tEENKUlT_SL_SM_SN_E_clIS8_S8_S9_S9_EESK_S10_SL_SM_SN_EUlS10_E1_NS1_11comp_targetILNS1_3genE3ELNS1_11target_archE908ELNS1_3gpuE7ELNS1_3repE0EEENS1_36merge_oddeven_config_static_selectorELNS0_4arch9wavefront6targetE0EEEvSM_
                                        ; -- End function
	.section	.AMDGPU.csdata,"",@progbits
; Kernel info:
; codeLenInByte = 0
; NumSgprs: 0
; NumVgprs: 0
; ScratchSize: 0
; MemoryBound: 0
; FloatMode: 240
; IeeeMode: 1
; LDSByteSize: 0 bytes/workgroup (compile time only)
; SGPRBlocks: 0
; VGPRBlocks: 0
; NumSGPRsForWavesPerEU: 1
; NumVGPRsForWavesPerEU: 1
; Occupancy: 16
; WaveLimiterHint : 0
; COMPUTE_PGM_RSRC2:SCRATCH_EN: 0
; COMPUTE_PGM_RSRC2:USER_SGPR: 15
; COMPUTE_PGM_RSRC2:TRAP_HANDLER: 0
; COMPUTE_PGM_RSRC2:TGID_X_EN: 1
; COMPUTE_PGM_RSRC2:TGID_Y_EN: 0
; COMPUTE_PGM_RSRC2:TGID_Z_EN: 0
; COMPUTE_PGM_RSRC2:TIDIG_COMP_CNT: 0
	.section	.text._ZN7rocprim17ROCPRIM_400000_NS6detail17trampoline_kernelINS0_14default_configENS1_38merge_sort_block_merge_config_selectorIlNS0_10empty_typeEEEZZNS1_27merge_sort_block_merge_implIS3_PlPS5_mZN2at6native12_GLOBAL__N_124unique_dim_cuda_templateItEESt5tupleIJNSA_6TensorESF_SF_EERKSF_lbbbEUlllE_EE10hipError_tT0_T1_T2_jT3_P12ihipStream_tbPNSt15iterator_traitsISL_E10value_typeEPNSR_ISM_E10value_typeEPSN_NS1_7vsmem_tEENKUlT_SL_SM_SN_E_clIS8_S8_S9_S9_EESK_S10_SL_SM_SN_EUlS10_E1_NS1_11comp_targetILNS1_3genE2ELNS1_11target_archE906ELNS1_3gpuE6ELNS1_3repE0EEENS1_36merge_oddeven_config_static_selectorELNS0_4arch9wavefront6targetE0EEEvSM_,"axG",@progbits,_ZN7rocprim17ROCPRIM_400000_NS6detail17trampoline_kernelINS0_14default_configENS1_38merge_sort_block_merge_config_selectorIlNS0_10empty_typeEEEZZNS1_27merge_sort_block_merge_implIS3_PlPS5_mZN2at6native12_GLOBAL__N_124unique_dim_cuda_templateItEESt5tupleIJNSA_6TensorESF_SF_EERKSF_lbbbEUlllE_EE10hipError_tT0_T1_T2_jT3_P12ihipStream_tbPNSt15iterator_traitsISL_E10value_typeEPNSR_ISM_E10value_typeEPSN_NS1_7vsmem_tEENKUlT_SL_SM_SN_E_clIS8_S8_S9_S9_EESK_S10_SL_SM_SN_EUlS10_E1_NS1_11comp_targetILNS1_3genE2ELNS1_11target_archE906ELNS1_3gpuE6ELNS1_3repE0EEENS1_36merge_oddeven_config_static_selectorELNS0_4arch9wavefront6targetE0EEEvSM_,comdat
	.globl	_ZN7rocprim17ROCPRIM_400000_NS6detail17trampoline_kernelINS0_14default_configENS1_38merge_sort_block_merge_config_selectorIlNS0_10empty_typeEEEZZNS1_27merge_sort_block_merge_implIS3_PlPS5_mZN2at6native12_GLOBAL__N_124unique_dim_cuda_templateItEESt5tupleIJNSA_6TensorESF_SF_EERKSF_lbbbEUlllE_EE10hipError_tT0_T1_T2_jT3_P12ihipStream_tbPNSt15iterator_traitsISL_E10value_typeEPNSR_ISM_E10value_typeEPSN_NS1_7vsmem_tEENKUlT_SL_SM_SN_E_clIS8_S8_S9_S9_EESK_S10_SL_SM_SN_EUlS10_E1_NS1_11comp_targetILNS1_3genE2ELNS1_11target_archE906ELNS1_3gpuE6ELNS1_3repE0EEENS1_36merge_oddeven_config_static_selectorELNS0_4arch9wavefront6targetE0EEEvSM_ ; -- Begin function _ZN7rocprim17ROCPRIM_400000_NS6detail17trampoline_kernelINS0_14default_configENS1_38merge_sort_block_merge_config_selectorIlNS0_10empty_typeEEEZZNS1_27merge_sort_block_merge_implIS3_PlPS5_mZN2at6native12_GLOBAL__N_124unique_dim_cuda_templateItEESt5tupleIJNSA_6TensorESF_SF_EERKSF_lbbbEUlllE_EE10hipError_tT0_T1_T2_jT3_P12ihipStream_tbPNSt15iterator_traitsISL_E10value_typeEPNSR_ISM_E10value_typeEPSN_NS1_7vsmem_tEENKUlT_SL_SM_SN_E_clIS8_S8_S9_S9_EESK_S10_SL_SM_SN_EUlS10_E1_NS1_11comp_targetILNS1_3genE2ELNS1_11target_archE906ELNS1_3gpuE6ELNS1_3repE0EEENS1_36merge_oddeven_config_static_selectorELNS0_4arch9wavefront6targetE0EEEvSM_
	.p2align	8
	.type	_ZN7rocprim17ROCPRIM_400000_NS6detail17trampoline_kernelINS0_14default_configENS1_38merge_sort_block_merge_config_selectorIlNS0_10empty_typeEEEZZNS1_27merge_sort_block_merge_implIS3_PlPS5_mZN2at6native12_GLOBAL__N_124unique_dim_cuda_templateItEESt5tupleIJNSA_6TensorESF_SF_EERKSF_lbbbEUlllE_EE10hipError_tT0_T1_T2_jT3_P12ihipStream_tbPNSt15iterator_traitsISL_E10value_typeEPNSR_ISM_E10value_typeEPSN_NS1_7vsmem_tEENKUlT_SL_SM_SN_E_clIS8_S8_S9_S9_EESK_S10_SL_SM_SN_EUlS10_E1_NS1_11comp_targetILNS1_3genE2ELNS1_11target_archE906ELNS1_3gpuE6ELNS1_3repE0EEENS1_36merge_oddeven_config_static_selectorELNS0_4arch9wavefront6targetE0EEEvSM_,@function
_ZN7rocprim17ROCPRIM_400000_NS6detail17trampoline_kernelINS0_14default_configENS1_38merge_sort_block_merge_config_selectorIlNS0_10empty_typeEEEZZNS1_27merge_sort_block_merge_implIS3_PlPS5_mZN2at6native12_GLOBAL__N_124unique_dim_cuda_templateItEESt5tupleIJNSA_6TensorESF_SF_EERKSF_lbbbEUlllE_EE10hipError_tT0_T1_T2_jT3_P12ihipStream_tbPNSt15iterator_traitsISL_E10value_typeEPNSR_ISM_E10value_typeEPSN_NS1_7vsmem_tEENKUlT_SL_SM_SN_E_clIS8_S8_S9_S9_EESK_S10_SL_SM_SN_EUlS10_E1_NS1_11comp_targetILNS1_3genE2ELNS1_11target_archE906ELNS1_3gpuE6ELNS1_3repE0EEENS1_36merge_oddeven_config_static_selectorELNS0_4arch9wavefront6targetE0EEEvSM_: ; @_ZN7rocprim17ROCPRIM_400000_NS6detail17trampoline_kernelINS0_14default_configENS1_38merge_sort_block_merge_config_selectorIlNS0_10empty_typeEEEZZNS1_27merge_sort_block_merge_implIS3_PlPS5_mZN2at6native12_GLOBAL__N_124unique_dim_cuda_templateItEESt5tupleIJNSA_6TensorESF_SF_EERKSF_lbbbEUlllE_EE10hipError_tT0_T1_T2_jT3_P12ihipStream_tbPNSt15iterator_traitsISL_E10value_typeEPNSR_ISM_E10value_typeEPSN_NS1_7vsmem_tEENKUlT_SL_SM_SN_E_clIS8_S8_S9_S9_EESK_S10_SL_SM_SN_EUlS10_E1_NS1_11comp_targetILNS1_3genE2ELNS1_11target_archE906ELNS1_3gpuE6ELNS1_3repE0EEENS1_36merge_oddeven_config_static_selectorELNS0_4arch9wavefront6targetE0EEEvSM_
; %bb.0:
	.section	.rodata,"a",@progbits
	.p2align	6, 0x0
	.amdhsa_kernel _ZN7rocprim17ROCPRIM_400000_NS6detail17trampoline_kernelINS0_14default_configENS1_38merge_sort_block_merge_config_selectorIlNS0_10empty_typeEEEZZNS1_27merge_sort_block_merge_implIS3_PlPS5_mZN2at6native12_GLOBAL__N_124unique_dim_cuda_templateItEESt5tupleIJNSA_6TensorESF_SF_EERKSF_lbbbEUlllE_EE10hipError_tT0_T1_T2_jT3_P12ihipStream_tbPNSt15iterator_traitsISL_E10value_typeEPNSR_ISM_E10value_typeEPSN_NS1_7vsmem_tEENKUlT_SL_SM_SN_E_clIS8_S8_S9_S9_EESK_S10_SL_SM_SN_EUlS10_E1_NS1_11comp_targetILNS1_3genE2ELNS1_11target_archE906ELNS1_3gpuE6ELNS1_3repE0EEENS1_36merge_oddeven_config_static_selectorELNS0_4arch9wavefront6targetE0EEEvSM_
		.amdhsa_group_segment_fixed_size 0
		.amdhsa_private_segment_fixed_size 0
		.amdhsa_kernarg_size 64
		.amdhsa_user_sgpr_count 15
		.amdhsa_user_sgpr_dispatch_ptr 0
		.amdhsa_user_sgpr_queue_ptr 0
		.amdhsa_user_sgpr_kernarg_segment_ptr 1
		.amdhsa_user_sgpr_dispatch_id 0
		.amdhsa_user_sgpr_private_segment_size 0
		.amdhsa_wavefront_size32 1
		.amdhsa_uses_dynamic_stack 0
		.amdhsa_enable_private_segment 0
		.amdhsa_system_sgpr_workgroup_id_x 1
		.amdhsa_system_sgpr_workgroup_id_y 0
		.amdhsa_system_sgpr_workgroup_id_z 0
		.amdhsa_system_sgpr_workgroup_info 0
		.amdhsa_system_vgpr_workitem_id 0
		.amdhsa_next_free_vgpr 1
		.amdhsa_next_free_sgpr 1
		.amdhsa_reserve_vcc 0
		.amdhsa_float_round_mode_32 0
		.amdhsa_float_round_mode_16_64 0
		.amdhsa_float_denorm_mode_32 3
		.amdhsa_float_denorm_mode_16_64 3
		.amdhsa_dx10_clamp 1
		.amdhsa_ieee_mode 1
		.amdhsa_fp16_overflow 0
		.amdhsa_workgroup_processor_mode 1
		.amdhsa_memory_ordered 1
		.amdhsa_forward_progress 0
		.amdhsa_shared_vgpr_count 0
		.amdhsa_exception_fp_ieee_invalid_op 0
		.amdhsa_exception_fp_denorm_src 0
		.amdhsa_exception_fp_ieee_div_zero 0
		.amdhsa_exception_fp_ieee_overflow 0
		.amdhsa_exception_fp_ieee_underflow 0
		.amdhsa_exception_fp_ieee_inexact 0
		.amdhsa_exception_int_div_zero 0
	.end_amdhsa_kernel
	.section	.text._ZN7rocprim17ROCPRIM_400000_NS6detail17trampoline_kernelINS0_14default_configENS1_38merge_sort_block_merge_config_selectorIlNS0_10empty_typeEEEZZNS1_27merge_sort_block_merge_implIS3_PlPS5_mZN2at6native12_GLOBAL__N_124unique_dim_cuda_templateItEESt5tupleIJNSA_6TensorESF_SF_EERKSF_lbbbEUlllE_EE10hipError_tT0_T1_T2_jT3_P12ihipStream_tbPNSt15iterator_traitsISL_E10value_typeEPNSR_ISM_E10value_typeEPSN_NS1_7vsmem_tEENKUlT_SL_SM_SN_E_clIS8_S8_S9_S9_EESK_S10_SL_SM_SN_EUlS10_E1_NS1_11comp_targetILNS1_3genE2ELNS1_11target_archE906ELNS1_3gpuE6ELNS1_3repE0EEENS1_36merge_oddeven_config_static_selectorELNS0_4arch9wavefront6targetE0EEEvSM_,"axG",@progbits,_ZN7rocprim17ROCPRIM_400000_NS6detail17trampoline_kernelINS0_14default_configENS1_38merge_sort_block_merge_config_selectorIlNS0_10empty_typeEEEZZNS1_27merge_sort_block_merge_implIS3_PlPS5_mZN2at6native12_GLOBAL__N_124unique_dim_cuda_templateItEESt5tupleIJNSA_6TensorESF_SF_EERKSF_lbbbEUlllE_EE10hipError_tT0_T1_T2_jT3_P12ihipStream_tbPNSt15iterator_traitsISL_E10value_typeEPNSR_ISM_E10value_typeEPSN_NS1_7vsmem_tEENKUlT_SL_SM_SN_E_clIS8_S8_S9_S9_EESK_S10_SL_SM_SN_EUlS10_E1_NS1_11comp_targetILNS1_3genE2ELNS1_11target_archE906ELNS1_3gpuE6ELNS1_3repE0EEENS1_36merge_oddeven_config_static_selectorELNS0_4arch9wavefront6targetE0EEEvSM_,comdat
.Lfunc_end1389:
	.size	_ZN7rocprim17ROCPRIM_400000_NS6detail17trampoline_kernelINS0_14default_configENS1_38merge_sort_block_merge_config_selectorIlNS0_10empty_typeEEEZZNS1_27merge_sort_block_merge_implIS3_PlPS5_mZN2at6native12_GLOBAL__N_124unique_dim_cuda_templateItEESt5tupleIJNSA_6TensorESF_SF_EERKSF_lbbbEUlllE_EE10hipError_tT0_T1_T2_jT3_P12ihipStream_tbPNSt15iterator_traitsISL_E10value_typeEPNSR_ISM_E10value_typeEPSN_NS1_7vsmem_tEENKUlT_SL_SM_SN_E_clIS8_S8_S9_S9_EESK_S10_SL_SM_SN_EUlS10_E1_NS1_11comp_targetILNS1_3genE2ELNS1_11target_archE906ELNS1_3gpuE6ELNS1_3repE0EEENS1_36merge_oddeven_config_static_selectorELNS0_4arch9wavefront6targetE0EEEvSM_, .Lfunc_end1389-_ZN7rocprim17ROCPRIM_400000_NS6detail17trampoline_kernelINS0_14default_configENS1_38merge_sort_block_merge_config_selectorIlNS0_10empty_typeEEEZZNS1_27merge_sort_block_merge_implIS3_PlPS5_mZN2at6native12_GLOBAL__N_124unique_dim_cuda_templateItEESt5tupleIJNSA_6TensorESF_SF_EERKSF_lbbbEUlllE_EE10hipError_tT0_T1_T2_jT3_P12ihipStream_tbPNSt15iterator_traitsISL_E10value_typeEPNSR_ISM_E10value_typeEPSN_NS1_7vsmem_tEENKUlT_SL_SM_SN_E_clIS8_S8_S9_S9_EESK_S10_SL_SM_SN_EUlS10_E1_NS1_11comp_targetILNS1_3genE2ELNS1_11target_archE906ELNS1_3gpuE6ELNS1_3repE0EEENS1_36merge_oddeven_config_static_selectorELNS0_4arch9wavefront6targetE0EEEvSM_
                                        ; -- End function
	.section	.AMDGPU.csdata,"",@progbits
; Kernel info:
; codeLenInByte = 0
; NumSgprs: 0
; NumVgprs: 0
; ScratchSize: 0
; MemoryBound: 0
; FloatMode: 240
; IeeeMode: 1
; LDSByteSize: 0 bytes/workgroup (compile time only)
; SGPRBlocks: 0
; VGPRBlocks: 0
; NumSGPRsForWavesPerEU: 1
; NumVGPRsForWavesPerEU: 1
; Occupancy: 16
; WaveLimiterHint : 0
; COMPUTE_PGM_RSRC2:SCRATCH_EN: 0
; COMPUTE_PGM_RSRC2:USER_SGPR: 15
; COMPUTE_PGM_RSRC2:TRAP_HANDLER: 0
; COMPUTE_PGM_RSRC2:TGID_X_EN: 1
; COMPUTE_PGM_RSRC2:TGID_Y_EN: 0
; COMPUTE_PGM_RSRC2:TGID_Z_EN: 0
; COMPUTE_PGM_RSRC2:TIDIG_COMP_CNT: 0
	.section	.text._ZN7rocprim17ROCPRIM_400000_NS6detail17trampoline_kernelINS0_14default_configENS1_38merge_sort_block_merge_config_selectorIlNS0_10empty_typeEEEZZNS1_27merge_sort_block_merge_implIS3_PlPS5_mZN2at6native12_GLOBAL__N_124unique_dim_cuda_templateItEESt5tupleIJNSA_6TensorESF_SF_EERKSF_lbbbEUlllE_EE10hipError_tT0_T1_T2_jT3_P12ihipStream_tbPNSt15iterator_traitsISL_E10value_typeEPNSR_ISM_E10value_typeEPSN_NS1_7vsmem_tEENKUlT_SL_SM_SN_E_clIS8_S8_S9_S9_EESK_S10_SL_SM_SN_EUlS10_E1_NS1_11comp_targetILNS1_3genE9ELNS1_11target_archE1100ELNS1_3gpuE3ELNS1_3repE0EEENS1_36merge_oddeven_config_static_selectorELNS0_4arch9wavefront6targetE0EEEvSM_,"axG",@progbits,_ZN7rocprim17ROCPRIM_400000_NS6detail17trampoline_kernelINS0_14default_configENS1_38merge_sort_block_merge_config_selectorIlNS0_10empty_typeEEEZZNS1_27merge_sort_block_merge_implIS3_PlPS5_mZN2at6native12_GLOBAL__N_124unique_dim_cuda_templateItEESt5tupleIJNSA_6TensorESF_SF_EERKSF_lbbbEUlllE_EE10hipError_tT0_T1_T2_jT3_P12ihipStream_tbPNSt15iterator_traitsISL_E10value_typeEPNSR_ISM_E10value_typeEPSN_NS1_7vsmem_tEENKUlT_SL_SM_SN_E_clIS8_S8_S9_S9_EESK_S10_SL_SM_SN_EUlS10_E1_NS1_11comp_targetILNS1_3genE9ELNS1_11target_archE1100ELNS1_3gpuE3ELNS1_3repE0EEENS1_36merge_oddeven_config_static_selectorELNS0_4arch9wavefront6targetE0EEEvSM_,comdat
	.globl	_ZN7rocprim17ROCPRIM_400000_NS6detail17trampoline_kernelINS0_14default_configENS1_38merge_sort_block_merge_config_selectorIlNS0_10empty_typeEEEZZNS1_27merge_sort_block_merge_implIS3_PlPS5_mZN2at6native12_GLOBAL__N_124unique_dim_cuda_templateItEESt5tupleIJNSA_6TensorESF_SF_EERKSF_lbbbEUlllE_EE10hipError_tT0_T1_T2_jT3_P12ihipStream_tbPNSt15iterator_traitsISL_E10value_typeEPNSR_ISM_E10value_typeEPSN_NS1_7vsmem_tEENKUlT_SL_SM_SN_E_clIS8_S8_S9_S9_EESK_S10_SL_SM_SN_EUlS10_E1_NS1_11comp_targetILNS1_3genE9ELNS1_11target_archE1100ELNS1_3gpuE3ELNS1_3repE0EEENS1_36merge_oddeven_config_static_selectorELNS0_4arch9wavefront6targetE0EEEvSM_ ; -- Begin function _ZN7rocprim17ROCPRIM_400000_NS6detail17trampoline_kernelINS0_14default_configENS1_38merge_sort_block_merge_config_selectorIlNS0_10empty_typeEEEZZNS1_27merge_sort_block_merge_implIS3_PlPS5_mZN2at6native12_GLOBAL__N_124unique_dim_cuda_templateItEESt5tupleIJNSA_6TensorESF_SF_EERKSF_lbbbEUlllE_EE10hipError_tT0_T1_T2_jT3_P12ihipStream_tbPNSt15iterator_traitsISL_E10value_typeEPNSR_ISM_E10value_typeEPSN_NS1_7vsmem_tEENKUlT_SL_SM_SN_E_clIS8_S8_S9_S9_EESK_S10_SL_SM_SN_EUlS10_E1_NS1_11comp_targetILNS1_3genE9ELNS1_11target_archE1100ELNS1_3gpuE3ELNS1_3repE0EEENS1_36merge_oddeven_config_static_selectorELNS0_4arch9wavefront6targetE0EEEvSM_
	.p2align	8
	.type	_ZN7rocprim17ROCPRIM_400000_NS6detail17trampoline_kernelINS0_14default_configENS1_38merge_sort_block_merge_config_selectorIlNS0_10empty_typeEEEZZNS1_27merge_sort_block_merge_implIS3_PlPS5_mZN2at6native12_GLOBAL__N_124unique_dim_cuda_templateItEESt5tupleIJNSA_6TensorESF_SF_EERKSF_lbbbEUlllE_EE10hipError_tT0_T1_T2_jT3_P12ihipStream_tbPNSt15iterator_traitsISL_E10value_typeEPNSR_ISM_E10value_typeEPSN_NS1_7vsmem_tEENKUlT_SL_SM_SN_E_clIS8_S8_S9_S9_EESK_S10_SL_SM_SN_EUlS10_E1_NS1_11comp_targetILNS1_3genE9ELNS1_11target_archE1100ELNS1_3gpuE3ELNS1_3repE0EEENS1_36merge_oddeven_config_static_selectorELNS0_4arch9wavefront6targetE0EEEvSM_,@function
_ZN7rocprim17ROCPRIM_400000_NS6detail17trampoline_kernelINS0_14default_configENS1_38merge_sort_block_merge_config_selectorIlNS0_10empty_typeEEEZZNS1_27merge_sort_block_merge_implIS3_PlPS5_mZN2at6native12_GLOBAL__N_124unique_dim_cuda_templateItEESt5tupleIJNSA_6TensorESF_SF_EERKSF_lbbbEUlllE_EE10hipError_tT0_T1_T2_jT3_P12ihipStream_tbPNSt15iterator_traitsISL_E10value_typeEPNSR_ISM_E10value_typeEPSN_NS1_7vsmem_tEENKUlT_SL_SM_SN_E_clIS8_S8_S9_S9_EESK_S10_SL_SM_SN_EUlS10_E1_NS1_11comp_targetILNS1_3genE9ELNS1_11target_archE1100ELNS1_3gpuE3ELNS1_3repE0EEENS1_36merge_oddeven_config_static_selectorELNS0_4arch9wavefront6targetE0EEEvSM_: ; @_ZN7rocprim17ROCPRIM_400000_NS6detail17trampoline_kernelINS0_14default_configENS1_38merge_sort_block_merge_config_selectorIlNS0_10empty_typeEEEZZNS1_27merge_sort_block_merge_implIS3_PlPS5_mZN2at6native12_GLOBAL__N_124unique_dim_cuda_templateItEESt5tupleIJNSA_6TensorESF_SF_EERKSF_lbbbEUlllE_EE10hipError_tT0_T1_T2_jT3_P12ihipStream_tbPNSt15iterator_traitsISL_E10value_typeEPNSR_ISM_E10value_typeEPSN_NS1_7vsmem_tEENKUlT_SL_SM_SN_E_clIS8_S8_S9_S9_EESK_S10_SL_SM_SN_EUlS10_E1_NS1_11comp_targetILNS1_3genE9ELNS1_11target_archE1100ELNS1_3gpuE3ELNS1_3repE0EEENS1_36merge_oddeven_config_static_selectorELNS0_4arch9wavefront6targetE0EEEvSM_
; %bb.0:
	s_load_b32 s3, s[0:1], 0x20
	s_waitcnt lgkmcnt(0)
	s_lshr_b32 s2, s3, 8
	s_delay_alu instid0(SALU_CYCLE_1) | instskip(SKIP_4) | instid1(SALU_CYCLE_1)
	s_cmp_lg_u32 s15, s2
	s_cselect_b32 s8, -1, 0
	s_cmp_eq_u32 s15, s2
	s_cselect_b32 s14, -1, 0
	s_lshl_b32 s12, s15, 8
	s_sub_i32 s2, s3, s12
	s_delay_alu instid0(SALU_CYCLE_1) | instskip(NEXT) | instid1(VALU_DEP_1)
	v_cmp_gt_u32_e64 s2, s2, v0
	s_or_b32 s4, s8, s2
	s_delay_alu instid0(SALU_CYCLE_1)
	s_and_saveexec_b32 s5, s4
	s_cbranch_execz .LBB1390_54
; %bb.1:
	s_clause 0x1
	s_load_b128 s[4:7], s[0:1], 0x0
	s_load_b32 s18, s[0:1], 0x28
	s_mov_b32 s13, 0
	v_lshlrev_b32_e32 v1, 3, v0
	s_lshl_b64 s[10:11], s[12:13], 3
	s_waitcnt lgkmcnt(0)
	s_add_u32 s10, s4, s10
	s_addc_u32 s11, s5, s11
	s_lshr_b32 s9, s18, 8
	global_load_b64 v[1:2], v1, s[10:11]
	s_sub_i32 s10, 0, s9
	s_delay_alu instid0(SALU_CYCLE_1) | instskip(NEXT) | instid1(SALU_CYCLE_1)
	s_and_b32 s10, s15, s10
	s_and_b32 s9, s10, s9
	s_delay_alu instid0(SALU_CYCLE_1)
	s_cmp_lg_u32 s9, 0
	s_cselect_b32 s16, -1, 0
	s_lshl_b32 s15, s10, 8
	s_sub_i32 s10, 0, s18
	s_cmp_eq_u32 s9, 0
	s_cselect_b32 s17, s18, s10
	s_delay_alu instid0(SALU_CYCLE_1) | instskip(NEXT) | instid1(SALU_CYCLE_1)
	s_add_i32 s17, s17, s15
	s_cmp_lt_u32 s17, s3
	s_cbranch_scc1 .LBB1390_3
; %bb.2:
	v_add_nc_u32_e32 v3, s12, v0
	s_delay_alu instid0(VALU_DEP_1) | instskip(SKIP_1) | instid1(SALU_CYCLE_1)
	v_cmp_gt_u32_e32 vcc_lo, s3, v3
	s_or_b32 s9, vcc_lo, s8
	s_and_b32 s13, s9, exec_lo
	s_cbranch_execz .LBB1390_4
	s_branch .LBB1390_52
.LBB1390_3:
                                        ; implicit-def: $vgpr3
.LBB1390_4:
	s_load_b128 s[8:11], s[0:1], 0x30
	v_add_nc_u32_e32 v0, s12, v0
	s_min_u32 s1, s17, s3
	s_and_b32 vcc_lo, exec_lo, s14
	s_add_i32 s0, s15, s1
	s_add_i32 s12, s1, s18
	v_subrev_nc_u32_e32 v0, s0, v0
	s_min_u32 s0, s15, s1
	s_min_u32 s12, s12, s3
	s_delay_alu instid0(VALU_DEP_1)
	v_add_nc_u32_e32 v0, s0, v0
	s_cbranch_vccz .LBB1390_26
; %bb.5:
                                        ; implicit-def: $vgpr3
	s_and_saveexec_b32 s18, s2
	s_cbranch_execz .LBB1390_29
; %bb.6:
	v_mov_b32_e32 v13, s1
	s_cmp_ge_u32 s17, s12
	s_cbranch_scc1 .LBB1390_28
; %bb.7:
	s_waitcnt vmcnt(0) lgkmcnt(0)
	v_mul_lo_u32 v5, v2, s8
	v_mul_lo_u32 v6, v1, s9
	v_mad_u64_u32 v[3:4], null, v1, s8, 0
	v_cmp_gt_i64_e64 s19, s[8:9], 0
	v_dual_mov_b32 v14, s12 :: v_dual_mov_b32 v13, s1
	s_lshl_b64 s[2:3], s[8:9], 1
	s_mov_b32 s20, 0
	s_delay_alu instid0(VALU_DEP_3) | instskip(NEXT) | instid1(VALU_DEP_1)
	v_add3_u32 v4, v4, v6, v5
	v_lshlrev_b64 v[5:6], 1, v[3:4]
	v_mov_b32_e32 v4, 0
	s_delay_alu instid0(VALU_DEP_2) | instskip(NEXT) | instid1(VALU_DEP_3)
	v_add_co_u32 v5, vcc_lo, s10, v5
	v_add_co_ci_u32_e32 v6, vcc_lo, s11, v6, vcc_lo
	s_branch .LBB1390_10
.LBB1390_8:                             ;   in Loop: Header=BB1390_10 Depth=1
	s_set_inst_prefetch_distance 0x2
	s_or_b32 exec_lo, exec_lo, s22
.LBB1390_9:                             ;   in Loop: Header=BB1390_10 Depth=1
	s_waitcnt vmcnt(0)
	v_add_nc_u32_e32 v7, 1, v3
	v_cndmask_b32_e64 v14, v3, v14, s21
	s_delay_alu instid0(VALU_DEP_2) | instskip(NEXT) | instid1(VALU_DEP_1)
	v_cndmask_b32_e64 v13, v13, v7, s21
	v_cmp_ge_u32_e32 vcc_lo, v13, v14
	s_or_b32 s20, vcc_lo, s20
	s_delay_alu instid0(SALU_CYCLE_1)
	s_and_not1_b32 exec_lo, exec_lo, s20
	s_cbranch_execz .LBB1390_27
.LBB1390_10:                            ; =>This Loop Header: Depth=1
                                        ;     Child Loop BB1390_14 Depth 2
                                        ;     Child Loop BB1390_23 Depth 2
	v_add_nc_u32_e32 v3, v13, v14
	s_mov_b32 s0, -1
                                        ; implicit-def: $sgpr21
	s_delay_alu instid0(VALU_DEP_1) | instskip(NEXT) | instid1(VALU_DEP_1)
	v_lshrrev_b32_e32 v3, 1, v3
	v_lshlrev_b64 v[7:8], 3, v[3:4]
	s_delay_alu instid0(VALU_DEP_1) | instskip(NEXT) | instid1(VALU_DEP_2)
	v_add_co_u32 v7, vcc_lo, s4, v7
	v_add_co_ci_u32_e32 v8, vcc_lo, s5, v8, vcc_lo
	s_and_not1_b32 vcc_lo, exec_lo, s16
	global_load_b64 v[7:8], v[7:8], off
	s_cbranch_vccnz .LBB1390_19
; %bb.11:                               ;   in Loop: Header=BB1390_10 Depth=1
	s_and_not1_b32 vcc_lo, exec_lo, s19
	s_cbranch_vccnz .LBB1390_17
; %bb.12:                               ;   in Loop: Header=BB1390_10 Depth=1
	s_waitcnt vmcnt(0)
	v_mad_u64_u32 v[9:10], null, s2, v7, s[10:11]
	v_mul_lo_u32 v11, s2, v8
	v_mul_lo_u32 v12, s3, v7
	s_mov_b32 s22, 0
	s_mov_b64 s[14:15], s[8:9]
                                        ; implicit-def: $sgpr21
                                        ; implicit-def: $sgpr23
                                        ; implicit-def: $sgpr24
                                        ; implicit-def: $sgpr25
                                        ; implicit-def: $sgpr26
	s_delay_alu instid0(VALU_DEP_1)
	v_add3_u32 v10, v12, v10, v11
	v_dual_mov_b32 v12, v6 :: v_dual_mov_b32 v11, v5
	s_set_inst_prefetch_distance 0x1
	s_branch .LBB1390_14
	.p2align	6
.LBB1390_13:                            ;   in Loop: Header=BB1390_14 Depth=2
	s_or_b32 exec_lo, exec_lo, s0
	s_delay_alu instid0(SALU_CYCLE_1) | instskip(NEXT) | instid1(SALU_CYCLE_1)
	s_and_b32 s0, exec_lo, s23
	s_or_b32 s22, s0, s22
	s_and_not1_b32 s0, s26, exec_lo
	s_and_b32 s26, s24, exec_lo
	s_and_not1_b32 s21, s21, exec_lo
	s_and_b32 s27, s25, exec_lo
	s_or_b32 s26, s0, s26
	s_or_b32 s21, s21, s27
	s_and_not1_b32 exec_lo, exec_lo, s22
	s_cbranch_execz .LBB1390_16
.LBB1390_14:                            ;   Parent Loop BB1390_10 Depth=1
                                        ; =>  This Inner Loop Header: Depth=2
	global_load_u16 v15, v[11:12], off
	global_load_u16 v16, v[9:10], off
	s_and_not1_b32 s25, s25, exec_lo
	s_and_not1_b32 s24, s24, exec_lo
	s_or_b32 s23, s23, exec_lo
	s_waitcnt vmcnt(0)
	v_cmp_le_u16_e32 vcc_lo, v15, v16
	v_cmp_lt_u16_e64 s0, v15, v16
	s_and_b32 s27, vcc_lo, s26
	s_delay_alu instid0(VALU_DEP_1) | instid1(SALU_CYCLE_1)
	s_or_b32 s27, s0, s27
	s_delay_alu instid0(SALU_CYCLE_1) | instskip(NEXT) | instid1(SALU_CYCLE_1)
	s_and_b32 s0, s27, exec_lo
	s_or_b32 s25, s25, s0
	s_mov_b32 s0, exec_lo
	v_cmpx_eq_u16_e64 v15, v16
	s_cbranch_execz .LBB1390_13
; %bb.15:                               ;   in Loop: Header=BB1390_14 Depth=2
	s_add_u32 s14, s14, -1
	s_addc_u32 s15, s15, -1
	v_add_co_u32 v11, vcc_lo, v11, 2
	s_cmp_eq_u64 s[14:15], 0
	v_add_co_ci_u32_e32 v12, vcc_lo, 0, v12, vcc_lo
	s_cselect_b32 s26, -1, 0
	v_add_co_u32 v9, vcc_lo, v9, 2
	s_and_not1_b32 s24, s24, exec_lo
	s_and_b32 s27, s27, exec_lo
	s_and_not1_b32 s23, s23, exec_lo
	s_and_b32 s26, s26, exec_lo
	v_add_co_ci_u32_e32 v10, vcc_lo, 0, v10, vcc_lo
	s_and_not1_b32 s25, s25, exec_lo
	s_or_b32 s24, s24, s27
	s_or_b32 s23, s23, s26
                                        ; implicit-def: $sgpr26
	s_branch .LBB1390_13
.LBB1390_16:                            ;   in Loop: Header=BB1390_10 Depth=1
	s_set_inst_prefetch_distance 0x2
	s_or_b32 exec_lo, exec_lo, s22
	s_branch .LBB1390_18
.LBB1390_17:                            ;   in Loop: Header=BB1390_10 Depth=1
	s_mov_b32 s21, 0
.LBB1390_18:                            ;   in Loop: Header=BB1390_10 Depth=1
	s_delay_alu instid0(SALU_CYCLE_1)
	s_xor_b32 s21, s21, -1
	s_mov_b32 s0, 0
.LBB1390_19:                            ;   in Loop: Header=BB1390_10 Depth=1
	s_delay_alu instid0(SALU_CYCLE_1)
	s_and_b32 vcc_lo, exec_lo, s0
	s_cbranch_vccz .LBB1390_9
; %bb.20:                               ;   in Loop: Header=BB1390_10 Depth=1
	s_and_not1_b32 vcc_lo, exec_lo, s19
	s_cbranch_vccnz .LBB1390_25
; %bb.21:                               ;   in Loop: Header=BB1390_10 Depth=1
	s_waitcnt vmcnt(0)
	v_mad_u64_u32 v[9:10], null, s2, v7, s[10:11]
	v_mul_lo_u32 v8, s2, v8
	v_mul_lo_u32 v7, s3, v7
	s_mov_b32 s22, 0
	s_mov_b64 s[14:15], s[8:9]
                                        ; implicit-def: $sgpr21
                                        ; implicit-def: $sgpr23
                                        ; implicit-def: $sgpr24
                                        ; implicit-def: $sgpr25
                                        ; implicit-def: $sgpr26
	s_delay_alu instid0(VALU_DEP_1)
	v_add3_u32 v10, v7, v10, v8
	v_dual_mov_b32 v8, v6 :: v_dual_mov_b32 v7, v5
	s_set_inst_prefetch_distance 0x1
	s_branch .LBB1390_23
	.p2align	6
.LBB1390_22:                            ;   in Loop: Header=BB1390_23 Depth=2
	s_or_b32 exec_lo, exec_lo, s0
	s_delay_alu instid0(SALU_CYCLE_1) | instskip(NEXT) | instid1(SALU_CYCLE_1)
	s_and_b32 s0, exec_lo, s23
	s_or_b32 s22, s0, s22
	s_and_not1_b32 s0, s26, exec_lo
	s_and_b32 s26, s24, exec_lo
	s_and_not1_b32 s21, s21, exec_lo
	s_and_b32 s27, s25, exec_lo
	s_or_b32 s26, s0, s26
	s_or_b32 s21, s21, s27
	s_and_not1_b32 exec_lo, exec_lo, s22
	s_cbranch_execz .LBB1390_8
.LBB1390_23:                            ;   Parent Loop BB1390_10 Depth=1
                                        ; =>  This Inner Loop Header: Depth=2
	global_load_u16 v11, v[9:10], off
	global_load_u16 v12, v[7:8], off
	s_and_not1_b32 s25, s25, exec_lo
	s_and_not1_b32 s24, s24, exec_lo
	s_or_b32 s23, s23, exec_lo
	s_waitcnt vmcnt(0)
	v_cmp_le_u16_e32 vcc_lo, v11, v12
	v_cmp_lt_u16_e64 s0, v11, v12
	s_and_b32 s27, vcc_lo, s26
	s_delay_alu instid0(VALU_DEP_1) | instid1(SALU_CYCLE_1)
	s_or_b32 s27, s0, s27
	s_delay_alu instid0(SALU_CYCLE_1) | instskip(NEXT) | instid1(SALU_CYCLE_1)
	s_and_b32 s0, s27, exec_lo
	s_or_b32 s25, s25, s0
	s_mov_b32 s0, exec_lo
	v_cmpx_eq_u16_e64 v11, v12
	s_cbranch_execz .LBB1390_22
; %bb.24:                               ;   in Loop: Header=BB1390_23 Depth=2
	s_add_u32 s14, s14, -1
	s_addc_u32 s15, s15, -1
	v_add_co_u32 v9, vcc_lo, v9, 2
	s_cmp_eq_u64 s[14:15], 0
	v_add_co_ci_u32_e32 v10, vcc_lo, 0, v10, vcc_lo
	s_cselect_b32 s26, -1, 0
	v_add_co_u32 v7, vcc_lo, v7, 2
	s_and_not1_b32 s24, s24, exec_lo
	s_and_b32 s27, s27, exec_lo
	s_and_not1_b32 s23, s23, exec_lo
	s_and_b32 s26, s26, exec_lo
	v_add_co_ci_u32_e32 v8, vcc_lo, 0, v8, vcc_lo
	s_and_not1_b32 s25, s25, exec_lo
	s_or_b32 s24, s24, s27
	s_or_b32 s23, s23, s26
                                        ; implicit-def: $sgpr26
	s_branch .LBB1390_22
.LBB1390_25:                            ;   in Loop: Header=BB1390_10 Depth=1
	s_mov_b32 s21, 0
	s_branch .LBB1390_9
.LBB1390_26:
                                        ; implicit-def: $vgpr3
	s_cbranch_execnz .LBB1390_30
	s_branch .LBB1390_52
.LBB1390_27:
	s_or_b32 exec_lo, exec_lo, s20
.LBB1390_28:
	s_delay_alu instid0(VALU_DEP_1)
	v_add_nc_u32_e32 v3, v13, v0
	s_or_b32 s13, s13, exec_lo
.LBB1390_29:
	s_or_b32 exec_lo, exec_lo, s18
	s_branch .LBB1390_52
.LBB1390_30:
	v_mov_b32_e32 v13, s1
	s_cmp_ge_u32 s17, s12
	s_cbranch_scc1 .LBB1390_51
; %bb.31:
	s_waitcnt vmcnt(0) lgkmcnt(0)
	v_mul_lo_u32 v5, v2, s8
	v_mul_lo_u32 v6, v1, s9
	v_mad_u64_u32 v[3:4], null, v1, s8, 0
	v_dual_mov_b32 v14, s12 :: v_dual_mov_b32 v13, s1
	v_cmp_gt_i64_e64 s1, s[8:9], 0
	s_lshl_b64 s[2:3], s[8:9], 1
	s_mov_b32 s14, 0
	s_delay_alu instid0(VALU_DEP_3) | instskip(NEXT) | instid1(VALU_DEP_2)
	v_add3_u32 v4, v4, v6, v5
	v_cndmask_b32_e64 v15, 0, 1, s1
	s_delay_alu instid0(VALU_DEP_2) | instskip(SKIP_1) | instid1(VALU_DEP_2)
	v_lshlrev_b64 v[5:6], 1, v[3:4]
	v_mov_b32_e32 v4, 0
	v_add_co_u32 v5, vcc_lo, s10, v5
	s_delay_alu instid0(VALU_DEP_3)
	v_add_co_ci_u32_e32 v6, vcc_lo, s11, v6, vcc_lo
	s_branch .LBB1390_34
.LBB1390_32:                            ;   in Loop: Header=BB1390_34 Depth=1
	s_set_inst_prefetch_distance 0x2
	s_or_b32 exec_lo, exec_lo, s17
.LBB1390_33:                            ;   in Loop: Header=BB1390_34 Depth=1
	s_waitcnt vmcnt(0)
	v_add_nc_u32_e32 v7, 1, v3
	v_cndmask_b32_e64 v14, v3, v14, s15
	s_delay_alu instid0(VALU_DEP_2) | instskip(NEXT) | instid1(VALU_DEP_1)
	v_cndmask_b32_e64 v13, v13, v7, s15
	v_cmp_ge_u32_e32 vcc_lo, v13, v14
	s_or_b32 s14, vcc_lo, s14
	s_delay_alu instid0(SALU_CYCLE_1)
	s_and_not1_b32 exec_lo, exec_lo, s14
	s_cbranch_execz .LBB1390_50
.LBB1390_34:                            ; =>This Loop Header: Depth=1
                                        ;     Child Loop BB1390_38 Depth 2
                                        ;     Child Loop BB1390_47 Depth 2
	v_add_nc_u32_e32 v3, v13, v14
	v_cmp_ne_u32_e64 s0, 1, v15
	s_mov_b32 s12, -1
                                        ; implicit-def: $sgpr15
	s_delay_alu instid0(VALU_DEP_2) | instskip(NEXT) | instid1(VALU_DEP_1)
	v_lshrrev_b32_e32 v3, 1, v3
	v_lshlrev_b64 v[7:8], 3, v[3:4]
	s_delay_alu instid0(VALU_DEP_1) | instskip(NEXT) | instid1(VALU_DEP_2)
	v_add_co_u32 v7, vcc_lo, s4, v7
	v_add_co_ci_u32_e32 v8, vcc_lo, s5, v8, vcc_lo
	s_and_not1_b32 vcc_lo, exec_lo, s16
	global_load_b64 v[7:8], v[7:8], off
	s_cbranch_vccnz .LBB1390_43
; %bb.35:                               ;   in Loop: Header=BB1390_34 Depth=1
	s_and_b32 vcc_lo, exec_lo, s0
	s_cbranch_vccnz .LBB1390_41
; %bb.36:                               ;   in Loop: Header=BB1390_34 Depth=1
	s_waitcnt vmcnt(0)
	v_mad_u64_u32 v[9:10], null, s2, v7, s[10:11]
	v_mul_lo_u32 v11, s2, v8
	v_mul_lo_u32 v12, s3, v7
	s_mov_b32 s17, 0
	s_mov_b64 s[12:13], s[8:9]
                                        ; implicit-def: $sgpr15
                                        ; implicit-def: $sgpr18
                                        ; implicit-def: $sgpr19
                                        ; implicit-def: $sgpr20
                                        ; implicit-def: $sgpr21
	s_delay_alu instid0(VALU_DEP_1)
	v_add3_u32 v10, v12, v10, v11
	v_dual_mov_b32 v12, v6 :: v_dual_mov_b32 v11, v5
	s_set_inst_prefetch_distance 0x1
	s_branch .LBB1390_38
	.p2align	6
.LBB1390_37:                            ;   in Loop: Header=BB1390_38 Depth=2
	s_or_b32 exec_lo, exec_lo, s0
	s_delay_alu instid0(SALU_CYCLE_1) | instskip(NEXT) | instid1(SALU_CYCLE_1)
	s_and_b32 s0, exec_lo, s18
	s_or_b32 s17, s0, s17
	s_and_not1_b32 s0, s21, exec_lo
	s_and_b32 s21, s19, exec_lo
	s_and_not1_b32 s15, s15, exec_lo
	s_and_b32 s22, s20, exec_lo
	s_or_b32 s21, s0, s21
	s_or_b32 s15, s15, s22
	s_and_not1_b32 exec_lo, exec_lo, s17
	s_cbranch_execz .LBB1390_40
.LBB1390_38:                            ;   Parent Loop BB1390_34 Depth=1
                                        ; =>  This Inner Loop Header: Depth=2
	global_load_u16 v16, v[11:12], off
	global_load_u16 v17, v[9:10], off
	s_and_not1_b32 s20, s20, exec_lo
	s_and_not1_b32 s19, s19, exec_lo
	s_or_b32 s18, s18, exec_lo
	s_waitcnt vmcnt(0)
	v_cmp_le_u16_e32 vcc_lo, v16, v17
	v_cmp_lt_u16_e64 s0, v16, v17
	s_and_b32 s22, vcc_lo, s21
	s_delay_alu instid0(VALU_DEP_1) | instid1(SALU_CYCLE_1)
	s_or_b32 s22, s0, s22
	s_delay_alu instid0(SALU_CYCLE_1) | instskip(NEXT) | instid1(SALU_CYCLE_1)
	s_and_b32 s0, s22, exec_lo
	s_or_b32 s20, s20, s0
	s_mov_b32 s0, exec_lo
	v_cmpx_eq_u16_e64 v16, v17
	s_cbranch_execz .LBB1390_37
; %bb.39:                               ;   in Loop: Header=BB1390_38 Depth=2
	s_add_u32 s12, s12, -1
	s_addc_u32 s13, s13, -1
	v_add_co_u32 v11, vcc_lo, v11, 2
	s_cmp_eq_u64 s[12:13], 0
	v_add_co_ci_u32_e32 v12, vcc_lo, 0, v12, vcc_lo
	s_cselect_b32 s21, -1, 0
	v_add_co_u32 v9, vcc_lo, v9, 2
	s_and_not1_b32 s19, s19, exec_lo
	s_and_b32 s22, s22, exec_lo
	s_and_not1_b32 s18, s18, exec_lo
	s_and_b32 s21, s21, exec_lo
	v_add_co_ci_u32_e32 v10, vcc_lo, 0, v10, vcc_lo
	s_and_not1_b32 s20, s20, exec_lo
	s_or_b32 s19, s19, s22
	s_or_b32 s18, s18, s21
                                        ; implicit-def: $sgpr21
	s_branch .LBB1390_37
.LBB1390_40:                            ;   in Loop: Header=BB1390_34 Depth=1
	s_set_inst_prefetch_distance 0x2
	s_or_b32 exec_lo, exec_lo, s17
	s_branch .LBB1390_42
.LBB1390_41:                            ;   in Loop: Header=BB1390_34 Depth=1
	s_mov_b32 s15, 0
.LBB1390_42:                            ;   in Loop: Header=BB1390_34 Depth=1
	s_delay_alu instid0(SALU_CYCLE_1)
	s_xor_b32 s15, s15, -1
	s_mov_b32 s12, 0
.LBB1390_43:                            ;   in Loop: Header=BB1390_34 Depth=1
	s_delay_alu instid0(SALU_CYCLE_1)
	s_and_b32 vcc_lo, exec_lo, s12
	s_cbranch_vccz .LBB1390_33
; %bb.44:                               ;   in Loop: Header=BB1390_34 Depth=1
	s_and_not1_b32 vcc_lo, exec_lo, s1
	s_cbranch_vccnz .LBB1390_49
; %bb.45:                               ;   in Loop: Header=BB1390_34 Depth=1
	s_waitcnt vmcnt(0)
	v_mad_u64_u32 v[9:10], null, s2, v7, s[10:11]
	v_mul_lo_u32 v8, s2, v8
	v_mul_lo_u32 v7, s3, v7
	s_mov_b32 s17, 0
	s_mov_b64 s[12:13], s[8:9]
                                        ; implicit-def: $sgpr15
                                        ; implicit-def: $sgpr18
                                        ; implicit-def: $sgpr19
                                        ; implicit-def: $sgpr20
                                        ; implicit-def: $sgpr21
	s_delay_alu instid0(VALU_DEP_1)
	v_add3_u32 v10, v7, v10, v8
	v_dual_mov_b32 v8, v6 :: v_dual_mov_b32 v7, v5
	s_set_inst_prefetch_distance 0x1
	s_branch .LBB1390_47
	.p2align	6
.LBB1390_46:                            ;   in Loop: Header=BB1390_47 Depth=2
	s_or_b32 exec_lo, exec_lo, s0
	s_delay_alu instid0(SALU_CYCLE_1) | instskip(NEXT) | instid1(SALU_CYCLE_1)
	s_and_b32 s0, exec_lo, s18
	s_or_b32 s17, s0, s17
	s_and_not1_b32 s0, s21, exec_lo
	s_and_b32 s21, s19, exec_lo
	s_and_not1_b32 s15, s15, exec_lo
	s_and_b32 s22, s20, exec_lo
	s_or_b32 s21, s0, s21
	s_or_b32 s15, s15, s22
	s_and_not1_b32 exec_lo, exec_lo, s17
	s_cbranch_execz .LBB1390_32
.LBB1390_47:                            ;   Parent Loop BB1390_34 Depth=1
                                        ; =>  This Inner Loop Header: Depth=2
	global_load_u16 v11, v[9:10], off
	global_load_u16 v12, v[7:8], off
	s_and_not1_b32 s20, s20, exec_lo
	s_and_not1_b32 s19, s19, exec_lo
	s_or_b32 s18, s18, exec_lo
	s_waitcnt vmcnt(0)
	v_cmp_le_u16_e32 vcc_lo, v11, v12
	v_cmp_lt_u16_e64 s0, v11, v12
	s_and_b32 s22, vcc_lo, s21
	s_delay_alu instid0(VALU_DEP_1) | instid1(SALU_CYCLE_1)
	s_or_b32 s22, s0, s22
	s_delay_alu instid0(SALU_CYCLE_1) | instskip(NEXT) | instid1(SALU_CYCLE_1)
	s_and_b32 s0, s22, exec_lo
	s_or_b32 s20, s20, s0
	s_mov_b32 s0, exec_lo
	v_cmpx_eq_u16_e64 v11, v12
	s_cbranch_execz .LBB1390_46
; %bb.48:                               ;   in Loop: Header=BB1390_47 Depth=2
	s_add_u32 s12, s12, -1
	s_addc_u32 s13, s13, -1
	v_add_co_u32 v9, vcc_lo, v9, 2
	s_cmp_eq_u64 s[12:13], 0
	v_add_co_ci_u32_e32 v10, vcc_lo, 0, v10, vcc_lo
	s_cselect_b32 s21, -1, 0
	v_add_co_u32 v7, vcc_lo, v7, 2
	s_and_not1_b32 s19, s19, exec_lo
	s_and_b32 s22, s22, exec_lo
	s_and_not1_b32 s18, s18, exec_lo
	s_and_b32 s21, s21, exec_lo
	v_add_co_ci_u32_e32 v8, vcc_lo, 0, v8, vcc_lo
	s_and_not1_b32 s20, s20, exec_lo
	s_or_b32 s19, s19, s22
	s_or_b32 s18, s18, s21
                                        ; implicit-def: $sgpr21
	s_branch .LBB1390_46
.LBB1390_49:                            ;   in Loop: Header=BB1390_34 Depth=1
	s_mov_b32 s15, 0
	s_branch .LBB1390_33
.LBB1390_50:
	s_or_b32 exec_lo, exec_lo, s14
.LBB1390_51:
	s_delay_alu instid0(VALU_DEP_1)
	v_add_nc_u32_e32 v3, v13, v0
	s_mov_b32 s13, -1
.LBB1390_52:
	s_delay_alu instid0(SALU_CYCLE_1)
	s_and_b32 exec_lo, exec_lo, s13
	s_cbranch_execz .LBB1390_54
; %bb.53:
	v_mov_b32_e32 v4, 0
	s_delay_alu instid0(VALU_DEP_1) | instskip(NEXT) | instid1(VALU_DEP_1)
	v_lshlrev_b64 v[3:4], 3, v[3:4]
	v_add_co_u32 v3, vcc_lo, s6, v3
	s_delay_alu instid0(VALU_DEP_2)
	v_add_co_ci_u32_e32 v4, vcc_lo, s7, v4, vcc_lo
	s_waitcnt vmcnt(0)
	global_store_b64 v[3:4], v[1:2], off
.LBB1390_54:
	s_nop 0
	s_sendmsg sendmsg(MSG_DEALLOC_VGPRS)
	s_endpgm
	.section	.rodata,"a",@progbits
	.p2align	6, 0x0
	.amdhsa_kernel _ZN7rocprim17ROCPRIM_400000_NS6detail17trampoline_kernelINS0_14default_configENS1_38merge_sort_block_merge_config_selectorIlNS0_10empty_typeEEEZZNS1_27merge_sort_block_merge_implIS3_PlPS5_mZN2at6native12_GLOBAL__N_124unique_dim_cuda_templateItEESt5tupleIJNSA_6TensorESF_SF_EERKSF_lbbbEUlllE_EE10hipError_tT0_T1_T2_jT3_P12ihipStream_tbPNSt15iterator_traitsISL_E10value_typeEPNSR_ISM_E10value_typeEPSN_NS1_7vsmem_tEENKUlT_SL_SM_SN_E_clIS8_S8_S9_S9_EESK_S10_SL_SM_SN_EUlS10_E1_NS1_11comp_targetILNS1_3genE9ELNS1_11target_archE1100ELNS1_3gpuE3ELNS1_3repE0EEENS1_36merge_oddeven_config_static_selectorELNS0_4arch9wavefront6targetE0EEEvSM_
		.amdhsa_group_segment_fixed_size 0
		.amdhsa_private_segment_fixed_size 0
		.amdhsa_kernarg_size 64
		.amdhsa_user_sgpr_count 15
		.amdhsa_user_sgpr_dispatch_ptr 0
		.amdhsa_user_sgpr_queue_ptr 0
		.amdhsa_user_sgpr_kernarg_segment_ptr 1
		.amdhsa_user_sgpr_dispatch_id 0
		.amdhsa_user_sgpr_private_segment_size 0
		.amdhsa_wavefront_size32 1
		.amdhsa_uses_dynamic_stack 0
		.amdhsa_enable_private_segment 0
		.amdhsa_system_sgpr_workgroup_id_x 1
		.amdhsa_system_sgpr_workgroup_id_y 0
		.amdhsa_system_sgpr_workgroup_id_z 0
		.amdhsa_system_sgpr_workgroup_info 0
		.amdhsa_system_vgpr_workitem_id 0
		.amdhsa_next_free_vgpr 18
		.amdhsa_next_free_sgpr 28
		.amdhsa_reserve_vcc 1
		.amdhsa_float_round_mode_32 0
		.amdhsa_float_round_mode_16_64 0
		.amdhsa_float_denorm_mode_32 3
		.amdhsa_float_denorm_mode_16_64 3
		.amdhsa_dx10_clamp 1
		.amdhsa_ieee_mode 1
		.amdhsa_fp16_overflow 0
		.amdhsa_workgroup_processor_mode 1
		.amdhsa_memory_ordered 1
		.amdhsa_forward_progress 0
		.amdhsa_shared_vgpr_count 0
		.amdhsa_exception_fp_ieee_invalid_op 0
		.amdhsa_exception_fp_denorm_src 0
		.amdhsa_exception_fp_ieee_div_zero 0
		.amdhsa_exception_fp_ieee_overflow 0
		.amdhsa_exception_fp_ieee_underflow 0
		.amdhsa_exception_fp_ieee_inexact 0
		.amdhsa_exception_int_div_zero 0
	.end_amdhsa_kernel
	.section	.text._ZN7rocprim17ROCPRIM_400000_NS6detail17trampoline_kernelINS0_14default_configENS1_38merge_sort_block_merge_config_selectorIlNS0_10empty_typeEEEZZNS1_27merge_sort_block_merge_implIS3_PlPS5_mZN2at6native12_GLOBAL__N_124unique_dim_cuda_templateItEESt5tupleIJNSA_6TensorESF_SF_EERKSF_lbbbEUlllE_EE10hipError_tT0_T1_T2_jT3_P12ihipStream_tbPNSt15iterator_traitsISL_E10value_typeEPNSR_ISM_E10value_typeEPSN_NS1_7vsmem_tEENKUlT_SL_SM_SN_E_clIS8_S8_S9_S9_EESK_S10_SL_SM_SN_EUlS10_E1_NS1_11comp_targetILNS1_3genE9ELNS1_11target_archE1100ELNS1_3gpuE3ELNS1_3repE0EEENS1_36merge_oddeven_config_static_selectorELNS0_4arch9wavefront6targetE0EEEvSM_,"axG",@progbits,_ZN7rocprim17ROCPRIM_400000_NS6detail17trampoline_kernelINS0_14default_configENS1_38merge_sort_block_merge_config_selectorIlNS0_10empty_typeEEEZZNS1_27merge_sort_block_merge_implIS3_PlPS5_mZN2at6native12_GLOBAL__N_124unique_dim_cuda_templateItEESt5tupleIJNSA_6TensorESF_SF_EERKSF_lbbbEUlllE_EE10hipError_tT0_T1_T2_jT3_P12ihipStream_tbPNSt15iterator_traitsISL_E10value_typeEPNSR_ISM_E10value_typeEPSN_NS1_7vsmem_tEENKUlT_SL_SM_SN_E_clIS8_S8_S9_S9_EESK_S10_SL_SM_SN_EUlS10_E1_NS1_11comp_targetILNS1_3genE9ELNS1_11target_archE1100ELNS1_3gpuE3ELNS1_3repE0EEENS1_36merge_oddeven_config_static_selectorELNS0_4arch9wavefront6targetE0EEEvSM_,comdat
.Lfunc_end1390:
	.size	_ZN7rocprim17ROCPRIM_400000_NS6detail17trampoline_kernelINS0_14default_configENS1_38merge_sort_block_merge_config_selectorIlNS0_10empty_typeEEEZZNS1_27merge_sort_block_merge_implIS3_PlPS5_mZN2at6native12_GLOBAL__N_124unique_dim_cuda_templateItEESt5tupleIJNSA_6TensorESF_SF_EERKSF_lbbbEUlllE_EE10hipError_tT0_T1_T2_jT3_P12ihipStream_tbPNSt15iterator_traitsISL_E10value_typeEPNSR_ISM_E10value_typeEPSN_NS1_7vsmem_tEENKUlT_SL_SM_SN_E_clIS8_S8_S9_S9_EESK_S10_SL_SM_SN_EUlS10_E1_NS1_11comp_targetILNS1_3genE9ELNS1_11target_archE1100ELNS1_3gpuE3ELNS1_3repE0EEENS1_36merge_oddeven_config_static_selectorELNS0_4arch9wavefront6targetE0EEEvSM_, .Lfunc_end1390-_ZN7rocprim17ROCPRIM_400000_NS6detail17trampoline_kernelINS0_14default_configENS1_38merge_sort_block_merge_config_selectorIlNS0_10empty_typeEEEZZNS1_27merge_sort_block_merge_implIS3_PlPS5_mZN2at6native12_GLOBAL__N_124unique_dim_cuda_templateItEESt5tupleIJNSA_6TensorESF_SF_EERKSF_lbbbEUlllE_EE10hipError_tT0_T1_T2_jT3_P12ihipStream_tbPNSt15iterator_traitsISL_E10value_typeEPNSR_ISM_E10value_typeEPSN_NS1_7vsmem_tEENKUlT_SL_SM_SN_E_clIS8_S8_S9_S9_EESK_S10_SL_SM_SN_EUlS10_E1_NS1_11comp_targetILNS1_3genE9ELNS1_11target_archE1100ELNS1_3gpuE3ELNS1_3repE0EEENS1_36merge_oddeven_config_static_selectorELNS0_4arch9wavefront6targetE0EEEvSM_
                                        ; -- End function
	.section	.AMDGPU.csdata,"",@progbits
; Kernel info:
; codeLenInByte = 2052
; NumSgprs: 30
; NumVgprs: 18
; ScratchSize: 0
; MemoryBound: 0
; FloatMode: 240
; IeeeMode: 1
; LDSByteSize: 0 bytes/workgroup (compile time only)
; SGPRBlocks: 3
; VGPRBlocks: 2
; NumSGPRsForWavesPerEU: 30
; NumVGPRsForWavesPerEU: 18
; Occupancy: 16
; WaveLimiterHint : 0
; COMPUTE_PGM_RSRC2:SCRATCH_EN: 0
; COMPUTE_PGM_RSRC2:USER_SGPR: 15
; COMPUTE_PGM_RSRC2:TRAP_HANDLER: 0
; COMPUTE_PGM_RSRC2:TGID_X_EN: 1
; COMPUTE_PGM_RSRC2:TGID_Y_EN: 0
; COMPUTE_PGM_RSRC2:TGID_Z_EN: 0
; COMPUTE_PGM_RSRC2:TIDIG_COMP_CNT: 0
	.section	.text._ZN7rocprim17ROCPRIM_400000_NS6detail17trampoline_kernelINS0_14default_configENS1_38merge_sort_block_merge_config_selectorIlNS0_10empty_typeEEEZZNS1_27merge_sort_block_merge_implIS3_PlPS5_mZN2at6native12_GLOBAL__N_124unique_dim_cuda_templateItEESt5tupleIJNSA_6TensorESF_SF_EERKSF_lbbbEUlllE_EE10hipError_tT0_T1_T2_jT3_P12ihipStream_tbPNSt15iterator_traitsISL_E10value_typeEPNSR_ISM_E10value_typeEPSN_NS1_7vsmem_tEENKUlT_SL_SM_SN_E_clIS8_S8_S9_S9_EESK_S10_SL_SM_SN_EUlS10_E1_NS1_11comp_targetILNS1_3genE8ELNS1_11target_archE1030ELNS1_3gpuE2ELNS1_3repE0EEENS1_36merge_oddeven_config_static_selectorELNS0_4arch9wavefront6targetE0EEEvSM_,"axG",@progbits,_ZN7rocprim17ROCPRIM_400000_NS6detail17trampoline_kernelINS0_14default_configENS1_38merge_sort_block_merge_config_selectorIlNS0_10empty_typeEEEZZNS1_27merge_sort_block_merge_implIS3_PlPS5_mZN2at6native12_GLOBAL__N_124unique_dim_cuda_templateItEESt5tupleIJNSA_6TensorESF_SF_EERKSF_lbbbEUlllE_EE10hipError_tT0_T1_T2_jT3_P12ihipStream_tbPNSt15iterator_traitsISL_E10value_typeEPNSR_ISM_E10value_typeEPSN_NS1_7vsmem_tEENKUlT_SL_SM_SN_E_clIS8_S8_S9_S9_EESK_S10_SL_SM_SN_EUlS10_E1_NS1_11comp_targetILNS1_3genE8ELNS1_11target_archE1030ELNS1_3gpuE2ELNS1_3repE0EEENS1_36merge_oddeven_config_static_selectorELNS0_4arch9wavefront6targetE0EEEvSM_,comdat
	.globl	_ZN7rocprim17ROCPRIM_400000_NS6detail17trampoline_kernelINS0_14default_configENS1_38merge_sort_block_merge_config_selectorIlNS0_10empty_typeEEEZZNS1_27merge_sort_block_merge_implIS3_PlPS5_mZN2at6native12_GLOBAL__N_124unique_dim_cuda_templateItEESt5tupleIJNSA_6TensorESF_SF_EERKSF_lbbbEUlllE_EE10hipError_tT0_T1_T2_jT3_P12ihipStream_tbPNSt15iterator_traitsISL_E10value_typeEPNSR_ISM_E10value_typeEPSN_NS1_7vsmem_tEENKUlT_SL_SM_SN_E_clIS8_S8_S9_S9_EESK_S10_SL_SM_SN_EUlS10_E1_NS1_11comp_targetILNS1_3genE8ELNS1_11target_archE1030ELNS1_3gpuE2ELNS1_3repE0EEENS1_36merge_oddeven_config_static_selectorELNS0_4arch9wavefront6targetE0EEEvSM_ ; -- Begin function _ZN7rocprim17ROCPRIM_400000_NS6detail17trampoline_kernelINS0_14default_configENS1_38merge_sort_block_merge_config_selectorIlNS0_10empty_typeEEEZZNS1_27merge_sort_block_merge_implIS3_PlPS5_mZN2at6native12_GLOBAL__N_124unique_dim_cuda_templateItEESt5tupleIJNSA_6TensorESF_SF_EERKSF_lbbbEUlllE_EE10hipError_tT0_T1_T2_jT3_P12ihipStream_tbPNSt15iterator_traitsISL_E10value_typeEPNSR_ISM_E10value_typeEPSN_NS1_7vsmem_tEENKUlT_SL_SM_SN_E_clIS8_S8_S9_S9_EESK_S10_SL_SM_SN_EUlS10_E1_NS1_11comp_targetILNS1_3genE8ELNS1_11target_archE1030ELNS1_3gpuE2ELNS1_3repE0EEENS1_36merge_oddeven_config_static_selectorELNS0_4arch9wavefront6targetE0EEEvSM_
	.p2align	8
	.type	_ZN7rocprim17ROCPRIM_400000_NS6detail17trampoline_kernelINS0_14default_configENS1_38merge_sort_block_merge_config_selectorIlNS0_10empty_typeEEEZZNS1_27merge_sort_block_merge_implIS3_PlPS5_mZN2at6native12_GLOBAL__N_124unique_dim_cuda_templateItEESt5tupleIJNSA_6TensorESF_SF_EERKSF_lbbbEUlllE_EE10hipError_tT0_T1_T2_jT3_P12ihipStream_tbPNSt15iterator_traitsISL_E10value_typeEPNSR_ISM_E10value_typeEPSN_NS1_7vsmem_tEENKUlT_SL_SM_SN_E_clIS8_S8_S9_S9_EESK_S10_SL_SM_SN_EUlS10_E1_NS1_11comp_targetILNS1_3genE8ELNS1_11target_archE1030ELNS1_3gpuE2ELNS1_3repE0EEENS1_36merge_oddeven_config_static_selectorELNS0_4arch9wavefront6targetE0EEEvSM_,@function
_ZN7rocprim17ROCPRIM_400000_NS6detail17trampoline_kernelINS0_14default_configENS1_38merge_sort_block_merge_config_selectorIlNS0_10empty_typeEEEZZNS1_27merge_sort_block_merge_implIS3_PlPS5_mZN2at6native12_GLOBAL__N_124unique_dim_cuda_templateItEESt5tupleIJNSA_6TensorESF_SF_EERKSF_lbbbEUlllE_EE10hipError_tT0_T1_T2_jT3_P12ihipStream_tbPNSt15iterator_traitsISL_E10value_typeEPNSR_ISM_E10value_typeEPSN_NS1_7vsmem_tEENKUlT_SL_SM_SN_E_clIS8_S8_S9_S9_EESK_S10_SL_SM_SN_EUlS10_E1_NS1_11comp_targetILNS1_3genE8ELNS1_11target_archE1030ELNS1_3gpuE2ELNS1_3repE0EEENS1_36merge_oddeven_config_static_selectorELNS0_4arch9wavefront6targetE0EEEvSM_: ; @_ZN7rocprim17ROCPRIM_400000_NS6detail17trampoline_kernelINS0_14default_configENS1_38merge_sort_block_merge_config_selectorIlNS0_10empty_typeEEEZZNS1_27merge_sort_block_merge_implIS3_PlPS5_mZN2at6native12_GLOBAL__N_124unique_dim_cuda_templateItEESt5tupleIJNSA_6TensorESF_SF_EERKSF_lbbbEUlllE_EE10hipError_tT0_T1_T2_jT3_P12ihipStream_tbPNSt15iterator_traitsISL_E10value_typeEPNSR_ISM_E10value_typeEPSN_NS1_7vsmem_tEENKUlT_SL_SM_SN_E_clIS8_S8_S9_S9_EESK_S10_SL_SM_SN_EUlS10_E1_NS1_11comp_targetILNS1_3genE8ELNS1_11target_archE1030ELNS1_3gpuE2ELNS1_3repE0EEENS1_36merge_oddeven_config_static_selectorELNS0_4arch9wavefront6targetE0EEEvSM_
; %bb.0:
	.section	.rodata,"a",@progbits
	.p2align	6, 0x0
	.amdhsa_kernel _ZN7rocprim17ROCPRIM_400000_NS6detail17trampoline_kernelINS0_14default_configENS1_38merge_sort_block_merge_config_selectorIlNS0_10empty_typeEEEZZNS1_27merge_sort_block_merge_implIS3_PlPS5_mZN2at6native12_GLOBAL__N_124unique_dim_cuda_templateItEESt5tupleIJNSA_6TensorESF_SF_EERKSF_lbbbEUlllE_EE10hipError_tT0_T1_T2_jT3_P12ihipStream_tbPNSt15iterator_traitsISL_E10value_typeEPNSR_ISM_E10value_typeEPSN_NS1_7vsmem_tEENKUlT_SL_SM_SN_E_clIS8_S8_S9_S9_EESK_S10_SL_SM_SN_EUlS10_E1_NS1_11comp_targetILNS1_3genE8ELNS1_11target_archE1030ELNS1_3gpuE2ELNS1_3repE0EEENS1_36merge_oddeven_config_static_selectorELNS0_4arch9wavefront6targetE0EEEvSM_
		.amdhsa_group_segment_fixed_size 0
		.amdhsa_private_segment_fixed_size 0
		.amdhsa_kernarg_size 64
		.amdhsa_user_sgpr_count 15
		.amdhsa_user_sgpr_dispatch_ptr 0
		.amdhsa_user_sgpr_queue_ptr 0
		.amdhsa_user_sgpr_kernarg_segment_ptr 1
		.amdhsa_user_sgpr_dispatch_id 0
		.amdhsa_user_sgpr_private_segment_size 0
		.amdhsa_wavefront_size32 1
		.amdhsa_uses_dynamic_stack 0
		.amdhsa_enable_private_segment 0
		.amdhsa_system_sgpr_workgroup_id_x 1
		.amdhsa_system_sgpr_workgroup_id_y 0
		.amdhsa_system_sgpr_workgroup_id_z 0
		.amdhsa_system_sgpr_workgroup_info 0
		.amdhsa_system_vgpr_workitem_id 0
		.amdhsa_next_free_vgpr 1
		.amdhsa_next_free_sgpr 1
		.amdhsa_reserve_vcc 0
		.amdhsa_float_round_mode_32 0
		.amdhsa_float_round_mode_16_64 0
		.amdhsa_float_denorm_mode_32 3
		.amdhsa_float_denorm_mode_16_64 3
		.amdhsa_dx10_clamp 1
		.amdhsa_ieee_mode 1
		.amdhsa_fp16_overflow 0
		.amdhsa_workgroup_processor_mode 1
		.amdhsa_memory_ordered 1
		.amdhsa_forward_progress 0
		.amdhsa_shared_vgpr_count 0
		.amdhsa_exception_fp_ieee_invalid_op 0
		.amdhsa_exception_fp_denorm_src 0
		.amdhsa_exception_fp_ieee_div_zero 0
		.amdhsa_exception_fp_ieee_overflow 0
		.amdhsa_exception_fp_ieee_underflow 0
		.amdhsa_exception_fp_ieee_inexact 0
		.amdhsa_exception_int_div_zero 0
	.end_amdhsa_kernel
	.section	.text._ZN7rocprim17ROCPRIM_400000_NS6detail17trampoline_kernelINS0_14default_configENS1_38merge_sort_block_merge_config_selectorIlNS0_10empty_typeEEEZZNS1_27merge_sort_block_merge_implIS3_PlPS5_mZN2at6native12_GLOBAL__N_124unique_dim_cuda_templateItEESt5tupleIJNSA_6TensorESF_SF_EERKSF_lbbbEUlllE_EE10hipError_tT0_T1_T2_jT3_P12ihipStream_tbPNSt15iterator_traitsISL_E10value_typeEPNSR_ISM_E10value_typeEPSN_NS1_7vsmem_tEENKUlT_SL_SM_SN_E_clIS8_S8_S9_S9_EESK_S10_SL_SM_SN_EUlS10_E1_NS1_11comp_targetILNS1_3genE8ELNS1_11target_archE1030ELNS1_3gpuE2ELNS1_3repE0EEENS1_36merge_oddeven_config_static_selectorELNS0_4arch9wavefront6targetE0EEEvSM_,"axG",@progbits,_ZN7rocprim17ROCPRIM_400000_NS6detail17trampoline_kernelINS0_14default_configENS1_38merge_sort_block_merge_config_selectorIlNS0_10empty_typeEEEZZNS1_27merge_sort_block_merge_implIS3_PlPS5_mZN2at6native12_GLOBAL__N_124unique_dim_cuda_templateItEESt5tupleIJNSA_6TensorESF_SF_EERKSF_lbbbEUlllE_EE10hipError_tT0_T1_T2_jT3_P12ihipStream_tbPNSt15iterator_traitsISL_E10value_typeEPNSR_ISM_E10value_typeEPSN_NS1_7vsmem_tEENKUlT_SL_SM_SN_E_clIS8_S8_S9_S9_EESK_S10_SL_SM_SN_EUlS10_E1_NS1_11comp_targetILNS1_3genE8ELNS1_11target_archE1030ELNS1_3gpuE2ELNS1_3repE0EEENS1_36merge_oddeven_config_static_selectorELNS0_4arch9wavefront6targetE0EEEvSM_,comdat
.Lfunc_end1391:
	.size	_ZN7rocprim17ROCPRIM_400000_NS6detail17trampoline_kernelINS0_14default_configENS1_38merge_sort_block_merge_config_selectorIlNS0_10empty_typeEEEZZNS1_27merge_sort_block_merge_implIS3_PlPS5_mZN2at6native12_GLOBAL__N_124unique_dim_cuda_templateItEESt5tupleIJNSA_6TensorESF_SF_EERKSF_lbbbEUlllE_EE10hipError_tT0_T1_T2_jT3_P12ihipStream_tbPNSt15iterator_traitsISL_E10value_typeEPNSR_ISM_E10value_typeEPSN_NS1_7vsmem_tEENKUlT_SL_SM_SN_E_clIS8_S8_S9_S9_EESK_S10_SL_SM_SN_EUlS10_E1_NS1_11comp_targetILNS1_3genE8ELNS1_11target_archE1030ELNS1_3gpuE2ELNS1_3repE0EEENS1_36merge_oddeven_config_static_selectorELNS0_4arch9wavefront6targetE0EEEvSM_, .Lfunc_end1391-_ZN7rocprim17ROCPRIM_400000_NS6detail17trampoline_kernelINS0_14default_configENS1_38merge_sort_block_merge_config_selectorIlNS0_10empty_typeEEEZZNS1_27merge_sort_block_merge_implIS3_PlPS5_mZN2at6native12_GLOBAL__N_124unique_dim_cuda_templateItEESt5tupleIJNSA_6TensorESF_SF_EERKSF_lbbbEUlllE_EE10hipError_tT0_T1_T2_jT3_P12ihipStream_tbPNSt15iterator_traitsISL_E10value_typeEPNSR_ISM_E10value_typeEPSN_NS1_7vsmem_tEENKUlT_SL_SM_SN_E_clIS8_S8_S9_S9_EESK_S10_SL_SM_SN_EUlS10_E1_NS1_11comp_targetILNS1_3genE8ELNS1_11target_archE1030ELNS1_3gpuE2ELNS1_3repE0EEENS1_36merge_oddeven_config_static_selectorELNS0_4arch9wavefront6targetE0EEEvSM_
                                        ; -- End function
	.section	.AMDGPU.csdata,"",@progbits
; Kernel info:
; codeLenInByte = 0
; NumSgprs: 0
; NumVgprs: 0
; ScratchSize: 0
; MemoryBound: 0
; FloatMode: 240
; IeeeMode: 1
; LDSByteSize: 0 bytes/workgroup (compile time only)
; SGPRBlocks: 0
; VGPRBlocks: 0
; NumSGPRsForWavesPerEU: 1
; NumVGPRsForWavesPerEU: 1
; Occupancy: 16
; WaveLimiterHint : 0
; COMPUTE_PGM_RSRC2:SCRATCH_EN: 0
; COMPUTE_PGM_RSRC2:USER_SGPR: 15
; COMPUTE_PGM_RSRC2:TRAP_HANDLER: 0
; COMPUTE_PGM_RSRC2:TGID_X_EN: 1
; COMPUTE_PGM_RSRC2:TGID_Y_EN: 0
; COMPUTE_PGM_RSRC2:TGID_Z_EN: 0
; COMPUTE_PGM_RSRC2:TIDIG_COMP_CNT: 0
	.section	.text._ZN7rocprim17ROCPRIM_400000_NS6detail17trampoline_kernelINS0_14default_configENS1_35adjacent_difference_config_selectorILb0ElEEZNS1_24adjacent_difference_implIS3_Lb0ELb0EPlS7_ZN2at6native12_GLOBAL__N_124unique_dim_cuda_templateItEESt5tupleIJNS8_6TensorESD_SD_EERKSD_lbbbEUlllE1_EE10hipError_tPvRmT2_T3_mT4_P12ihipStream_tbEUlT_E_NS1_11comp_targetILNS1_3genE0ELNS1_11target_archE4294967295ELNS1_3gpuE0ELNS1_3repE0EEENS1_30default_config_static_selectorELNS0_4arch9wavefront6targetE0EEEvT1_,"axG",@progbits,_ZN7rocprim17ROCPRIM_400000_NS6detail17trampoline_kernelINS0_14default_configENS1_35adjacent_difference_config_selectorILb0ElEEZNS1_24adjacent_difference_implIS3_Lb0ELb0EPlS7_ZN2at6native12_GLOBAL__N_124unique_dim_cuda_templateItEESt5tupleIJNS8_6TensorESD_SD_EERKSD_lbbbEUlllE1_EE10hipError_tPvRmT2_T3_mT4_P12ihipStream_tbEUlT_E_NS1_11comp_targetILNS1_3genE0ELNS1_11target_archE4294967295ELNS1_3gpuE0ELNS1_3repE0EEENS1_30default_config_static_selectorELNS0_4arch9wavefront6targetE0EEEvT1_,comdat
	.globl	_ZN7rocprim17ROCPRIM_400000_NS6detail17trampoline_kernelINS0_14default_configENS1_35adjacent_difference_config_selectorILb0ElEEZNS1_24adjacent_difference_implIS3_Lb0ELb0EPlS7_ZN2at6native12_GLOBAL__N_124unique_dim_cuda_templateItEESt5tupleIJNS8_6TensorESD_SD_EERKSD_lbbbEUlllE1_EE10hipError_tPvRmT2_T3_mT4_P12ihipStream_tbEUlT_E_NS1_11comp_targetILNS1_3genE0ELNS1_11target_archE4294967295ELNS1_3gpuE0ELNS1_3repE0EEENS1_30default_config_static_selectorELNS0_4arch9wavefront6targetE0EEEvT1_ ; -- Begin function _ZN7rocprim17ROCPRIM_400000_NS6detail17trampoline_kernelINS0_14default_configENS1_35adjacent_difference_config_selectorILb0ElEEZNS1_24adjacent_difference_implIS3_Lb0ELb0EPlS7_ZN2at6native12_GLOBAL__N_124unique_dim_cuda_templateItEESt5tupleIJNS8_6TensorESD_SD_EERKSD_lbbbEUlllE1_EE10hipError_tPvRmT2_T3_mT4_P12ihipStream_tbEUlT_E_NS1_11comp_targetILNS1_3genE0ELNS1_11target_archE4294967295ELNS1_3gpuE0ELNS1_3repE0EEENS1_30default_config_static_selectorELNS0_4arch9wavefront6targetE0EEEvT1_
	.p2align	8
	.type	_ZN7rocprim17ROCPRIM_400000_NS6detail17trampoline_kernelINS0_14default_configENS1_35adjacent_difference_config_selectorILb0ElEEZNS1_24adjacent_difference_implIS3_Lb0ELb0EPlS7_ZN2at6native12_GLOBAL__N_124unique_dim_cuda_templateItEESt5tupleIJNS8_6TensorESD_SD_EERKSD_lbbbEUlllE1_EE10hipError_tPvRmT2_T3_mT4_P12ihipStream_tbEUlT_E_NS1_11comp_targetILNS1_3genE0ELNS1_11target_archE4294967295ELNS1_3gpuE0ELNS1_3repE0EEENS1_30default_config_static_selectorELNS0_4arch9wavefront6targetE0EEEvT1_,@function
_ZN7rocprim17ROCPRIM_400000_NS6detail17trampoline_kernelINS0_14default_configENS1_35adjacent_difference_config_selectorILb0ElEEZNS1_24adjacent_difference_implIS3_Lb0ELb0EPlS7_ZN2at6native12_GLOBAL__N_124unique_dim_cuda_templateItEESt5tupleIJNS8_6TensorESD_SD_EERKSD_lbbbEUlllE1_EE10hipError_tPvRmT2_T3_mT4_P12ihipStream_tbEUlT_E_NS1_11comp_targetILNS1_3genE0ELNS1_11target_archE4294967295ELNS1_3gpuE0ELNS1_3repE0EEENS1_30default_config_static_selectorELNS0_4arch9wavefront6targetE0EEEvT1_: ; @_ZN7rocprim17ROCPRIM_400000_NS6detail17trampoline_kernelINS0_14default_configENS1_35adjacent_difference_config_selectorILb0ElEEZNS1_24adjacent_difference_implIS3_Lb0ELb0EPlS7_ZN2at6native12_GLOBAL__N_124unique_dim_cuda_templateItEESt5tupleIJNS8_6TensorESD_SD_EERKSD_lbbbEUlllE1_EE10hipError_tPvRmT2_T3_mT4_P12ihipStream_tbEUlT_E_NS1_11comp_targetILNS1_3genE0ELNS1_11target_archE4294967295ELNS1_3gpuE0ELNS1_3repE0EEENS1_30default_config_static_selectorELNS0_4arch9wavefront6targetE0EEEvT1_
; %bb.0:
	.section	.rodata,"a",@progbits
	.p2align	6, 0x0
	.amdhsa_kernel _ZN7rocprim17ROCPRIM_400000_NS6detail17trampoline_kernelINS0_14default_configENS1_35adjacent_difference_config_selectorILb0ElEEZNS1_24adjacent_difference_implIS3_Lb0ELb0EPlS7_ZN2at6native12_GLOBAL__N_124unique_dim_cuda_templateItEESt5tupleIJNS8_6TensorESD_SD_EERKSD_lbbbEUlllE1_EE10hipError_tPvRmT2_T3_mT4_P12ihipStream_tbEUlT_E_NS1_11comp_targetILNS1_3genE0ELNS1_11target_archE4294967295ELNS1_3gpuE0ELNS1_3repE0EEENS1_30default_config_static_selectorELNS0_4arch9wavefront6targetE0EEEvT1_
		.amdhsa_group_segment_fixed_size 0
		.amdhsa_private_segment_fixed_size 0
		.amdhsa_kernarg_size 64
		.amdhsa_user_sgpr_count 15
		.amdhsa_user_sgpr_dispatch_ptr 0
		.amdhsa_user_sgpr_queue_ptr 0
		.amdhsa_user_sgpr_kernarg_segment_ptr 1
		.amdhsa_user_sgpr_dispatch_id 0
		.amdhsa_user_sgpr_private_segment_size 0
		.amdhsa_wavefront_size32 1
		.amdhsa_uses_dynamic_stack 0
		.amdhsa_enable_private_segment 0
		.amdhsa_system_sgpr_workgroup_id_x 1
		.amdhsa_system_sgpr_workgroup_id_y 0
		.amdhsa_system_sgpr_workgroup_id_z 0
		.amdhsa_system_sgpr_workgroup_info 0
		.amdhsa_system_vgpr_workitem_id 0
		.amdhsa_next_free_vgpr 1
		.amdhsa_next_free_sgpr 1
		.amdhsa_reserve_vcc 0
		.amdhsa_float_round_mode_32 0
		.amdhsa_float_round_mode_16_64 0
		.amdhsa_float_denorm_mode_32 3
		.amdhsa_float_denorm_mode_16_64 3
		.amdhsa_dx10_clamp 1
		.amdhsa_ieee_mode 1
		.amdhsa_fp16_overflow 0
		.amdhsa_workgroup_processor_mode 1
		.amdhsa_memory_ordered 1
		.amdhsa_forward_progress 0
		.amdhsa_shared_vgpr_count 0
		.amdhsa_exception_fp_ieee_invalid_op 0
		.amdhsa_exception_fp_denorm_src 0
		.amdhsa_exception_fp_ieee_div_zero 0
		.amdhsa_exception_fp_ieee_overflow 0
		.amdhsa_exception_fp_ieee_underflow 0
		.amdhsa_exception_fp_ieee_inexact 0
		.amdhsa_exception_int_div_zero 0
	.end_amdhsa_kernel
	.section	.text._ZN7rocprim17ROCPRIM_400000_NS6detail17trampoline_kernelINS0_14default_configENS1_35adjacent_difference_config_selectorILb0ElEEZNS1_24adjacent_difference_implIS3_Lb0ELb0EPlS7_ZN2at6native12_GLOBAL__N_124unique_dim_cuda_templateItEESt5tupleIJNS8_6TensorESD_SD_EERKSD_lbbbEUlllE1_EE10hipError_tPvRmT2_T3_mT4_P12ihipStream_tbEUlT_E_NS1_11comp_targetILNS1_3genE0ELNS1_11target_archE4294967295ELNS1_3gpuE0ELNS1_3repE0EEENS1_30default_config_static_selectorELNS0_4arch9wavefront6targetE0EEEvT1_,"axG",@progbits,_ZN7rocprim17ROCPRIM_400000_NS6detail17trampoline_kernelINS0_14default_configENS1_35adjacent_difference_config_selectorILb0ElEEZNS1_24adjacent_difference_implIS3_Lb0ELb0EPlS7_ZN2at6native12_GLOBAL__N_124unique_dim_cuda_templateItEESt5tupleIJNS8_6TensorESD_SD_EERKSD_lbbbEUlllE1_EE10hipError_tPvRmT2_T3_mT4_P12ihipStream_tbEUlT_E_NS1_11comp_targetILNS1_3genE0ELNS1_11target_archE4294967295ELNS1_3gpuE0ELNS1_3repE0EEENS1_30default_config_static_selectorELNS0_4arch9wavefront6targetE0EEEvT1_,comdat
.Lfunc_end1392:
	.size	_ZN7rocprim17ROCPRIM_400000_NS6detail17trampoline_kernelINS0_14default_configENS1_35adjacent_difference_config_selectorILb0ElEEZNS1_24adjacent_difference_implIS3_Lb0ELb0EPlS7_ZN2at6native12_GLOBAL__N_124unique_dim_cuda_templateItEESt5tupleIJNS8_6TensorESD_SD_EERKSD_lbbbEUlllE1_EE10hipError_tPvRmT2_T3_mT4_P12ihipStream_tbEUlT_E_NS1_11comp_targetILNS1_3genE0ELNS1_11target_archE4294967295ELNS1_3gpuE0ELNS1_3repE0EEENS1_30default_config_static_selectorELNS0_4arch9wavefront6targetE0EEEvT1_, .Lfunc_end1392-_ZN7rocprim17ROCPRIM_400000_NS6detail17trampoline_kernelINS0_14default_configENS1_35adjacent_difference_config_selectorILb0ElEEZNS1_24adjacent_difference_implIS3_Lb0ELb0EPlS7_ZN2at6native12_GLOBAL__N_124unique_dim_cuda_templateItEESt5tupleIJNS8_6TensorESD_SD_EERKSD_lbbbEUlllE1_EE10hipError_tPvRmT2_T3_mT4_P12ihipStream_tbEUlT_E_NS1_11comp_targetILNS1_3genE0ELNS1_11target_archE4294967295ELNS1_3gpuE0ELNS1_3repE0EEENS1_30default_config_static_selectorELNS0_4arch9wavefront6targetE0EEEvT1_
                                        ; -- End function
	.section	.AMDGPU.csdata,"",@progbits
; Kernel info:
; codeLenInByte = 0
; NumSgprs: 0
; NumVgprs: 0
; ScratchSize: 0
; MemoryBound: 0
; FloatMode: 240
; IeeeMode: 1
; LDSByteSize: 0 bytes/workgroup (compile time only)
; SGPRBlocks: 0
; VGPRBlocks: 0
; NumSGPRsForWavesPerEU: 1
; NumVGPRsForWavesPerEU: 1
; Occupancy: 16
; WaveLimiterHint : 0
; COMPUTE_PGM_RSRC2:SCRATCH_EN: 0
; COMPUTE_PGM_RSRC2:USER_SGPR: 15
; COMPUTE_PGM_RSRC2:TRAP_HANDLER: 0
; COMPUTE_PGM_RSRC2:TGID_X_EN: 1
; COMPUTE_PGM_RSRC2:TGID_Y_EN: 0
; COMPUTE_PGM_RSRC2:TGID_Z_EN: 0
; COMPUTE_PGM_RSRC2:TIDIG_COMP_CNT: 0
	.section	.text._ZN7rocprim17ROCPRIM_400000_NS6detail17trampoline_kernelINS0_14default_configENS1_35adjacent_difference_config_selectorILb0ElEEZNS1_24adjacent_difference_implIS3_Lb0ELb0EPlS7_ZN2at6native12_GLOBAL__N_124unique_dim_cuda_templateItEESt5tupleIJNS8_6TensorESD_SD_EERKSD_lbbbEUlllE1_EE10hipError_tPvRmT2_T3_mT4_P12ihipStream_tbEUlT_E_NS1_11comp_targetILNS1_3genE10ELNS1_11target_archE1201ELNS1_3gpuE5ELNS1_3repE0EEENS1_30default_config_static_selectorELNS0_4arch9wavefront6targetE0EEEvT1_,"axG",@progbits,_ZN7rocprim17ROCPRIM_400000_NS6detail17trampoline_kernelINS0_14default_configENS1_35adjacent_difference_config_selectorILb0ElEEZNS1_24adjacent_difference_implIS3_Lb0ELb0EPlS7_ZN2at6native12_GLOBAL__N_124unique_dim_cuda_templateItEESt5tupleIJNS8_6TensorESD_SD_EERKSD_lbbbEUlllE1_EE10hipError_tPvRmT2_T3_mT4_P12ihipStream_tbEUlT_E_NS1_11comp_targetILNS1_3genE10ELNS1_11target_archE1201ELNS1_3gpuE5ELNS1_3repE0EEENS1_30default_config_static_selectorELNS0_4arch9wavefront6targetE0EEEvT1_,comdat
	.globl	_ZN7rocprim17ROCPRIM_400000_NS6detail17trampoline_kernelINS0_14default_configENS1_35adjacent_difference_config_selectorILb0ElEEZNS1_24adjacent_difference_implIS3_Lb0ELb0EPlS7_ZN2at6native12_GLOBAL__N_124unique_dim_cuda_templateItEESt5tupleIJNS8_6TensorESD_SD_EERKSD_lbbbEUlllE1_EE10hipError_tPvRmT2_T3_mT4_P12ihipStream_tbEUlT_E_NS1_11comp_targetILNS1_3genE10ELNS1_11target_archE1201ELNS1_3gpuE5ELNS1_3repE0EEENS1_30default_config_static_selectorELNS0_4arch9wavefront6targetE0EEEvT1_ ; -- Begin function _ZN7rocprim17ROCPRIM_400000_NS6detail17trampoline_kernelINS0_14default_configENS1_35adjacent_difference_config_selectorILb0ElEEZNS1_24adjacent_difference_implIS3_Lb0ELb0EPlS7_ZN2at6native12_GLOBAL__N_124unique_dim_cuda_templateItEESt5tupleIJNS8_6TensorESD_SD_EERKSD_lbbbEUlllE1_EE10hipError_tPvRmT2_T3_mT4_P12ihipStream_tbEUlT_E_NS1_11comp_targetILNS1_3genE10ELNS1_11target_archE1201ELNS1_3gpuE5ELNS1_3repE0EEENS1_30default_config_static_selectorELNS0_4arch9wavefront6targetE0EEEvT1_
	.p2align	8
	.type	_ZN7rocprim17ROCPRIM_400000_NS6detail17trampoline_kernelINS0_14default_configENS1_35adjacent_difference_config_selectorILb0ElEEZNS1_24adjacent_difference_implIS3_Lb0ELb0EPlS7_ZN2at6native12_GLOBAL__N_124unique_dim_cuda_templateItEESt5tupleIJNS8_6TensorESD_SD_EERKSD_lbbbEUlllE1_EE10hipError_tPvRmT2_T3_mT4_P12ihipStream_tbEUlT_E_NS1_11comp_targetILNS1_3genE10ELNS1_11target_archE1201ELNS1_3gpuE5ELNS1_3repE0EEENS1_30default_config_static_selectorELNS0_4arch9wavefront6targetE0EEEvT1_,@function
_ZN7rocprim17ROCPRIM_400000_NS6detail17trampoline_kernelINS0_14default_configENS1_35adjacent_difference_config_selectorILb0ElEEZNS1_24adjacent_difference_implIS3_Lb0ELb0EPlS7_ZN2at6native12_GLOBAL__N_124unique_dim_cuda_templateItEESt5tupleIJNS8_6TensorESD_SD_EERKSD_lbbbEUlllE1_EE10hipError_tPvRmT2_T3_mT4_P12ihipStream_tbEUlT_E_NS1_11comp_targetILNS1_3genE10ELNS1_11target_archE1201ELNS1_3gpuE5ELNS1_3repE0EEENS1_30default_config_static_selectorELNS0_4arch9wavefront6targetE0EEEvT1_: ; @_ZN7rocprim17ROCPRIM_400000_NS6detail17trampoline_kernelINS0_14default_configENS1_35adjacent_difference_config_selectorILb0ElEEZNS1_24adjacent_difference_implIS3_Lb0ELb0EPlS7_ZN2at6native12_GLOBAL__N_124unique_dim_cuda_templateItEESt5tupleIJNS8_6TensorESD_SD_EERKSD_lbbbEUlllE1_EE10hipError_tPvRmT2_T3_mT4_P12ihipStream_tbEUlT_E_NS1_11comp_targetILNS1_3genE10ELNS1_11target_archE1201ELNS1_3gpuE5ELNS1_3repE0EEENS1_30default_config_static_selectorELNS0_4arch9wavefront6targetE0EEEvT1_
; %bb.0:
	.section	.rodata,"a",@progbits
	.p2align	6, 0x0
	.amdhsa_kernel _ZN7rocprim17ROCPRIM_400000_NS6detail17trampoline_kernelINS0_14default_configENS1_35adjacent_difference_config_selectorILb0ElEEZNS1_24adjacent_difference_implIS3_Lb0ELb0EPlS7_ZN2at6native12_GLOBAL__N_124unique_dim_cuda_templateItEESt5tupleIJNS8_6TensorESD_SD_EERKSD_lbbbEUlllE1_EE10hipError_tPvRmT2_T3_mT4_P12ihipStream_tbEUlT_E_NS1_11comp_targetILNS1_3genE10ELNS1_11target_archE1201ELNS1_3gpuE5ELNS1_3repE0EEENS1_30default_config_static_selectorELNS0_4arch9wavefront6targetE0EEEvT1_
		.amdhsa_group_segment_fixed_size 0
		.amdhsa_private_segment_fixed_size 0
		.amdhsa_kernarg_size 64
		.amdhsa_user_sgpr_count 15
		.amdhsa_user_sgpr_dispatch_ptr 0
		.amdhsa_user_sgpr_queue_ptr 0
		.amdhsa_user_sgpr_kernarg_segment_ptr 1
		.amdhsa_user_sgpr_dispatch_id 0
		.amdhsa_user_sgpr_private_segment_size 0
		.amdhsa_wavefront_size32 1
		.amdhsa_uses_dynamic_stack 0
		.amdhsa_enable_private_segment 0
		.amdhsa_system_sgpr_workgroup_id_x 1
		.amdhsa_system_sgpr_workgroup_id_y 0
		.amdhsa_system_sgpr_workgroup_id_z 0
		.amdhsa_system_sgpr_workgroup_info 0
		.amdhsa_system_vgpr_workitem_id 0
		.amdhsa_next_free_vgpr 1
		.amdhsa_next_free_sgpr 1
		.amdhsa_reserve_vcc 0
		.amdhsa_float_round_mode_32 0
		.amdhsa_float_round_mode_16_64 0
		.amdhsa_float_denorm_mode_32 3
		.amdhsa_float_denorm_mode_16_64 3
		.amdhsa_dx10_clamp 1
		.amdhsa_ieee_mode 1
		.amdhsa_fp16_overflow 0
		.amdhsa_workgroup_processor_mode 1
		.amdhsa_memory_ordered 1
		.amdhsa_forward_progress 0
		.amdhsa_shared_vgpr_count 0
		.amdhsa_exception_fp_ieee_invalid_op 0
		.amdhsa_exception_fp_denorm_src 0
		.amdhsa_exception_fp_ieee_div_zero 0
		.amdhsa_exception_fp_ieee_overflow 0
		.amdhsa_exception_fp_ieee_underflow 0
		.amdhsa_exception_fp_ieee_inexact 0
		.amdhsa_exception_int_div_zero 0
	.end_amdhsa_kernel
	.section	.text._ZN7rocprim17ROCPRIM_400000_NS6detail17trampoline_kernelINS0_14default_configENS1_35adjacent_difference_config_selectorILb0ElEEZNS1_24adjacent_difference_implIS3_Lb0ELb0EPlS7_ZN2at6native12_GLOBAL__N_124unique_dim_cuda_templateItEESt5tupleIJNS8_6TensorESD_SD_EERKSD_lbbbEUlllE1_EE10hipError_tPvRmT2_T3_mT4_P12ihipStream_tbEUlT_E_NS1_11comp_targetILNS1_3genE10ELNS1_11target_archE1201ELNS1_3gpuE5ELNS1_3repE0EEENS1_30default_config_static_selectorELNS0_4arch9wavefront6targetE0EEEvT1_,"axG",@progbits,_ZN7rocprim17ROCPRIM_400000_NS6detail17trampoline_kernelINS0_14default_configENS1_35adjacent_difference_config_selectorILb0ElEEZNS1_24adjacent_difference_implIS3_Lb0ELb0EPlS7_ZN2at6native12_GLOBAL__N_124unique_dim_cuda_templateItEESt5tupleIJNS8_6TensorESD_SD_EERKSD_lbbbEUlllE1_EE10hipError_tPvRmT2_T3_mT4_P12ihipStream_tbEUlT_E_NS1_11comp_targetILNS1_3genE10ELNS1_11target_archE1201ELNS1_3gpuE5ELNS1_3repE0EEENS1_30default_config_static_selectorELNS0_4arch9wavefront6targetE0EEEvT1_,comdat
.Lfunc_end1393:
	.size	_ZN7rocprim17ROCPRIM_400000_NS6detail17trampoline_kernelINS0_14default_configENS1_35adjacent_difference_config_selectorILb0ElEEZNS1_24adjacent_difference_implIS3_Lb0ELb0EPlS7_ZN2at6native12_GLOBAL__N_124unique_dim_cuda_templateItEESt5tupleIJNS8_6TensorESD_SD_EERKSD_lbbbEUlllE1_EE10hipError_tPvRmT2_T3_mT4_P12ihipStream_tbEUlT_E_NS1_11comp_targetILNS1_3genE10ELNS1_11target_archE1201ELNS1_3gpuE5ELNS1_3repE0EEENS1_30default_config_static_selectorELNS0_4arch9wavefront6targetE0EEEvT1_, .Lfunc_end1393-_ZN7rocprim17ROCPRIM_400000_NS6detail17trampoline_kernelINS0_14default_configENS1_35adjacent_difference_config_selectorILb0ElEEZNS1_24adjacent_difference_implIS3_Lb0ELb0EPlS7_ZN2at6native12_GLOBAL__N_124unique_dim_cuda_templateItEESt5tupleIJNS8_6TensorESD_SD_EERKSD_lbbbEUlllE1_EE10hipError_tPvRmT2_T3_mT4_P12ihipStream_tbEUlT_E_NS1_11comp_targetILNS1_3genE10ELNS1_11target_archE1201ELNS1_3gpuE5ELNS1_3repE0EEENS1_30default_config_static_selectorELNS0_4arch9wavefront6targetE0EEEvT1_
                                        ; -- End function
	.section	.AMDGPU.csdata,"",@progbits
; Kernel info:
; codeLenInByte = 0
; NumSgprs: 0
; NumVgprs: 0
; ScratchSize: 0
; MemoryBound: 0
; FloatMode: 240
; IeeeMode: 1
; LDSByteSize: 0 bytes/workgroup (compile time only)
; SGPRBlocks: 0
; VGPRBlocks: 0
; NumSGPRsForWavesPerEU: 1
; NumVGPRsForWavesPerEU: 1
; Occupancy: 16
; WaveLimiterHint : 0
; COMPUTE_PGM_RSRC2:SCRATCH_EN: 0
; COMPUTE_PGM_RSRC2:USER_SGPR: 15
; COMPUTE_PGM_RSRC2:TRAP_HANDLER: 0
; COMPUTE_PGM_RSRC2:TGID_X_EN: 1
; COMPUTE_PGM_RSRC2:TGID_Y_EN: 0
; COMPUTE_PGM_RSRC2:TGID_Z_EN: 0
; COMPUTE_PGM_RSRC2:TIDIG_COMP_CNT: 0
	.section	.text._ZN7rocprim17ROCPRIM_400000_NS6detail17trampoline_kernelINS0_14default_configENS1_35adjacent_difference_config_selectorILb0ElEEZNS1_24adjacent_difference_implIS3_Lb0ELb0EPlS7_ZN2at6native12_GLOBAL__N_124unique_dim_cuda_templateItEESt5tupleIJNS8_6TensorESD_SD_EERKSD_lbbbEUlllE1_EE10hipError_tPvRmT2_T3_mT4_P12ihipStream_tbEUlT_E_NS1_11comp_targetILNS1_3genE5ELNS1_11target_archE942ELNS1_3gpuE9ELNS1_3repE0EEENS1_30default_config_static_selectorELNS0_4arch9wavefront6targetE0EEEvT1_,"axG",@progbits,_ZN7rocprim17ROCPRIM_400000_NS6detail17trampoline_kernelINS0_14default_configENS1_35adjacent_difference_config_selectorILb0ElEEZNS1_24adjacent_difference_implIS3_Lb0ELb0EPlS7_ZN2at6native12_GLOBAL__N_124unique_dim_cuda_templateItEESt5tupleIJNS8_6TensorESD_SD_EERKSD_lbbbEUlllE1_EE10hipError_tPvRmT2_T3_mT4_P12ihipStream_tbEUlT_E_NS1_11comp_targetILNS1_3genE5ELNS1_11target_archE942ELNS1_3gpuE9ELNS1_3repE0EEENS1_30default_config_static_selectorELNS0_4arch9wavefront6targetE0EEEvT1_,comdat
	.globl	_ZN7rocprim17ROCPRIM_400000_NS6detail17trampoline_kernelINS0_14default_configENS1_35adjacent_difference_config_selectorILb0ElEEZNS1_24adjacent_difference_implIS3_Lb0ELb0EPlS7_ZN2at6native12_GLOBAL__N_124unique_dim_cuda_templateItEESt5tupleIJNS8_6TensorESD_SD_EERKSD_lbbbEUlllE1_EE10hipError_tPvRmT2_T3_mT4_P12ihipStream_tbEUlT_E_NS1_11comp_targetILNS1_3genE5ELNS1_11target_archE942ELNS1_3gpuE9ELNS1_3repE0EEENS1_30default_config_static_selectorELNS0_4arch9wavefront6targetE0EEEvT1_ ; -- Begin function _ZN7rocprim17ROCPRIM_400000_NS6detail17trampoline_kernelINS0_14default_configENS1_35adjacent_difference_config_selectorILb0ElEEZNS1_24adjacent_difference_implIS3_Lb0ELb0EPlS7_ZN2at6native12_GLOBAL__N_124unique_dim_cuda_templateItEESt5tupleIJNS8_6TensorESD_SD_EERKSD_lbbbEUlllE1_EE10hipError_tPvRmT2_T3_mT4_P12ihipStream_tbEUlT_E_NS1_11comp_targetILNS1_3genE5ELNS1_11target_archE942ELNS1_3gpuE9ELNS1_3repE0EEENS1_30default_config_static_selectorELNS0_4arch9wavefront6targetE0EEEvT1_
	.p2align	8
	.type	_ZN7rocprim17ROCPRIM_400000_NS6detail17trampoline_kernelINS0_14default_configENS1_35adjacent_difference_config_selectorILb0ElEEZNS1_24adjacent_difference_implIS3_Lb0ELb0EPlS7_ZN2at6native12_GLOBAL__N_124unique_dim_cuda_templateItEESt5tupleIJNS8_6TensorESD_SD_EERKSD_lbbbEUlllE1_EE10hipError_tPvRmT2_T3_mT4_P12ihipStream_tbEUlT_E_NS1_11comp_targetILNS1_3genE5ELNS1_11target_archE942ELNS1_3gpuE9ELNS1_3repE0EEENS1_30default_config_static_selectorELNS0_4arch9wavefront6targetE0EEEvT1_,@function
_ZN7rocprim17ROCPRIM_400000_NS6detail17trampoline_kernelINS0_14default_configENS1_35adjacent_difference_config_selectorILb0ElEEZNS1_24adjacent_difference_implIS3_Lb0ELb0EPlS7_ZN2at6native12_GLOBAL__N_124unique_dim_cuda_templateItEESt5tupleIJNS8_6TensorESD_SD_EERKSD_lbbbEUlllE1_EE10hipError_tPvRmT2_T3_mT4_P12ihipStream_tbEUlT_E_NS1_11comp_targetILNS1_3genE5ELNS1_11target_archE942ELNS1_3gpuE9ELNS1_3repE0EEENS1_30default_config_static_selectorELNS0_4arch9wavefront6targetE0EEEvT1_: ; @_ZN7rocprim17ROCPRIM_400000_NS6detail17trampoline_kernelINS0_14default_configENS1_35adjacent_difference_config_selectorILb0ElEEZNS1_24adjacent_difference_implIS3_Lb0ELb0EPlS7_ZN2at6native12_GLOBAL__N_124unique_dim_cuda_templateItEESt5tupleIJNS8_6TensorESD_SD_EERKSD_lbbbEUlllE1_EE10hipError_tPvRmT2_T3_mT4_P12ihipStream_tbEUlT_E_NS1_11comp_targetILNS1_3genE5ELNS1_11target_archE942ELNS1_3gpuE9ELNS1_3repE0EEENS1_30default_config_static_selectorELNS0_4arch9wavefront6targetE0EEEvT1_
; %bb.0:
	.section	.rodata,"a",@progbits
	.p2align	6, 0x0
	.amdhsa_kernel _ZN7rocprim17ROCPRIM_400000_NS6detail17trampoline_kernelINS0_14default_configENS1_35adjacent_difference_config_selectorILb0ElEEZNS1_24adjacent_difference_implIS3_Lb0ELb0EPlS7_ZN2at6native12_GLOBAL__N_124unique_dim_cuda_templateItEESt5tupleIJNS8_6TensorESD_SD_EERKSD_lbbbEUlllE1_EE10hipError_tPvRmT2_T3_mT4_P12ihipStream_tbEUlT_E_NS1_11comp_targetILNS1_3genE5ELNS1_11target_archE942ELNS1_3gpuE9ELNS1_3repE0EEENS1_30default_config_static_selectorELNS0_4arch9wavefront6targetE0EEEvT1_
		.amdhsa_group_segment_fixed_size 0
		.amdhsa_private_segment_fixed_size 0
		.amdhsa_kernarg_size 64
		.amdhsa_user_sgpr_count 15
		.amdhsa_user_sgpr_dispatch_ptr 0
		.amdhsa_user_sgpr_queue_ptr 0
		.amdhsa_user_sgpr_kernarg_segment_ptr 1
		.amdhsa_user_sgpr_dispatch_id 0
		.amdhsa_user_sgpr_private_segment_size 0
		.amdhsa_wavefront_size32 1
		.amdhsa_uses_dynamic_stack 0
		.amdhsa_enable_private_segment 0
		.amdhsa_system_sgpr_workgroup_id_x 1
		.amdhsa_system_sgpr_workgroup_id_y 0
		.amdhsa_system_sgpr_workgroup_id_z 0
		.amdhsa_system_sgpr_workgroup_info 0
		.amdhsa_system_vgpr_workitem_id 0
		.amdhsa_next_free_vgpr 1
		.amdhsa_next_free_sgpr 1
		.amdhsa_reserve_vcc 0
		.amdhsa_float_round_mode_32 0
		.amdhsa_float_round_mode_16_64 0
		.amdhsa_float_denorm_mode_32 3
		.amdhsa_float_denorm_mode_16_64 3
		.amdhsa_dx10_clamp 1
		.amdhsa_ieee_mode 1
		.amdhsa_fp16_overflow 0
		.amdhsa_workgroup_processor_mode 1
		.amdhsa_memory_ordered 1
		.amdhsa_forward_progress 0
		.amdhsa_shared_vgpr_count 0
		.amdhsa_exception_fp_ieee_invalid_op 0
		.amdhsa_exception_fp_denorm_src 0
		.amdhsa_exception_fp_ieee_div_zero 0
		.amdhsa_exception_fp_ieee_overflow 0
		.amdhsa_exception_fp_ieee_underflow 0
		.amdhsa_exception_fp_ieee_inexact 0
		.amdhsa_exception_int_div_zero 0
	.end_amdhsa_kernel
	.section	.text._ZN7rocprim17ROCPRIM_400000_NS6detail17trampoline_kernelINS0_14default_configENS1_35adjacent_difference_config_selectorILb0ElEEZNS1_24adjacent_difference_implIS3_Lb0ELb0EPlS7_ZN2at6native12_GLOBAL__N_124unique_dim_cuda_templateItEESt5tupleIJNS8_6TensorESD_SD_EERKSD_lbbbEUlllE1_EE10hipError_tPvRmT2_T3_mT4_P12ihipStream_tbEUlT_E_NS1_11comp_targetILNS1_3genE5ELNS1_11target_archE942ELNS1_3gpuE9ELNS1_3repE0EEENS1_30default_config_static_selectorELNS0_4arch9wavefront6targetE0EEEvT1_,"axG",@progbits,_ZN7rocprim17ROCPRIM_400000_NS6detail17trampoline_kernelINS0_14default_configENS1_35adjacent_difference_config_selectorILb0ElEEZNS1_24adjacent_difference_implIS3_Lb0ELb0EPlS7_ZN2at6native12_GLOBAL__N_124unique_dim_cuda_templateItEESt5tupleIJNS8_6TensorESD_SD_EERKSD_lbbbEUlllE1_EE10hipError_tPvRmT2_T3_mT4_P12ihipStream_tbEUlT_E_NS1_11comp_targetILNS1_3genE5ELNS1_11target_archE942ELNS1_3gpuE9ELNS1_3repE0EEENS1_30default_config_static_selectorELNS0_4arch9wavefront6targetE0EEEvT1_,comdat
.Lfunc_end1394:
	.size	_ZN7rocprim17ROCPRIM_400000_NS6detail17trampoline_kernelINS0_14default_configENS1_35adjacent_difference_config_selectorILb0ElEEZNS1_24adjacent_difference_implIS3_Lb0ELb0EPlS7_ZN2at6native12_GLOBAL__N_124unique_dim_cuda_templateItEESt5tupleIJNS8_6TensorESD_SD_EERKSD_lbbbEUlllE1_EE10hipError_tPvRmT2_T3_mT4_P12ihipStream_tbEUlT_E_NS1_11comp_targetILNS1_3genE5ELNS1_11target_archE942ELNS1_3gpuE9ELNS1_3repE0EEENS1_30default_config_static_selectorELNS0_4arch9wavefront6targetE0EEEvT1_, .Lfunc_end1394-_ZN7rocprim17ROCPRIM_400000_NS6detail17trampoline_kernelINS0_14default_configENS1_35adjacent_difference_config_selectorILb0ElEEZNS1_24adjacent_difference_implIS3_Lb0ELb0EPlS7_ZN2at6native12_GLOBAL__N_124unique_dim_cuda_templateItEESt5tupleIJNS8_6TensorESD_SD_EERKSD_lbbbEUlllE1_EE10hipError_tPvRmT2_T3_mT4_P12ihipStream_tbEUlT_E_NS1_11comp_targetILNS1_3genE5ELNS1_11target_archE942ELNS1_3gpuE9ELNS1_3repE0EEENS1_30default_config_static_selectorELNS0_4arch9wavefront6targetE0EEEvT1_
                                        ; -- End function
	.section	.AMDGPU.csdata,"",@progbits
; Kernel info:
; codeLenInByte = 0
; NumSgprs: 0
; NumVgprs: 0
; ScratchSize: 0
; MemoryBound: 0
; FloatMode: 240
; IeeeMode: 1
; LDSByteSize: 0 bytes/workgroup (compile time only)
; SGPRBlocks: 0
; VGPRBlocks: 0
; NumSGPRsForWavesPerEU: 1
; NumVGPRsForWavesPerEU: 1
; Occupancy: 16
; WaveLimiterHint : 0
; COMPUTE_PGM_RSRC2:SCRATCH_EN: 0
; COMPUTE_PGM_RSRC2:USER_SGPR: 15
; COMPUTE_PGM_RSRC2:TRAP_HANDLER: 0
; COMPUTE_PGM_RSRC2:TGID_X_EN: 1
; COMPUTE_PGM_RSRC2:TGID_Y_EN: 0
; COMPUTE_PGM_RSRC2:TGID_Z_EN: 0
; COMPUTE_PGM_RSRC2:TIDIG_COMP_CNT: 0
	.section	.text._ZN7rocprim17ROCPRIM_400000_NS6detail17trampoline_kernelINS0_14default_configENS1_35adjacent_difference_config_selectorILb0ElEEZNS1_24adjacent_difference_implIS3_Lb0ELb0EPlS7_ZN2at6native12_GLOBAL__N_124unique_dim_cuda_templateItEESt5tupleIJNS8_6TensorESD_SD_EERKSD_lbbbEUlllE1_EE10hipError_tPvRmT2_T3_mT4_P12ihipStream_tbEUlT_E_NS1_11comp_targetILNS1_3genE4ELNS1_11target_archE910ELNS1_3gpuE8ELNS1_3repE0EEENS1_30default_config_static_selectorELNS0_4arch9wavefront6targetE0EEEvT1_,"axG",@progbits,_ZN7rocprim17ROCPRIM_400000_NS6detail17trampoline_kernelINS0_14default_configENS1_35adjacent_difference_config_selectorILb0ElEEZNS1_24adjacent_difference_implIS3_Lb0ELb0EPlS7_ZN2at6native12_GLOBAL__N_124unique_dim_cuda_templateItEESt5tupleIJNS8_6TensorESD_SD_EERKSD_lbbbEUlllE1_EE10hipError_tPvRmT2_T3_mT4_P12ihipStream_tbEUlT_E_NS1_11comp_targetILNS1_3genE4ELNS1_11target_archE910ELNS1_3gpuE8ELNS1_3repE0EEENS1_30default_config_static_selectorELNS0_4arch9wavefront6targetE0EEEvT1_,comdat
	.globl	_ZN7rocprim17ROCPRIM_400000_NS6detail17trampoline_kernelINS0_14default_configENS1_35adjacent_difference_config_selectorILb0ElEEZNS1_24adjacent_difference_implIS3_Lb0ELb0EPlS7_ZN2at6native12_GLOBAL__N_124unique_dim_cuda_templateItEESt5tupleIJNS8_6TensorESD_SD_EERKSD_lbbbEUlllE1_EE10hipError_tPvRmT2_T3_mT4_P12ihipStream_tbEUlT_E_NS1_11comp_targetILNS1_3genE4ELNS1_11target_archE910ELNS1_3gpuE8ELNS1_3repE0EEENS1_30default_config_static_selectorELNS0_4arch9wavefront6targetE0EEEvT1_ ; -- Begin function _ZN7rocprim17ROCPRIM_400000_NS6detail17trampoline_kernelINS0_14default_configENS1_35adjacent_difference_config_selectorILb0ElEEZNS1_24adjacent_difference_implIS3_Lb0ELb0EPlS7_ZN2at6native12_GLOBAL__N_124unique_dim_cuda_templateItEESt5tupleIJNS8_6TensorESD_SD_EERKSD_lbbbEUlllE1_EE10hipError_tPvRmT2_T3_mT4_P12ihipStream_tbEUlT_E_NS1_11comp_targetILNS1_3genE4ELNS1_11target_archE910ELNS1_3gpuE8ELNS1_3repE0EEENS1_30default_config_static_selectorELNS0_4arch9wavefront6targetE0EEEvT1_
	.p2align	8
	.type	_ZN7rocprim17ROCPRIM_400000_NS6detail17trampoline_kernelINS0_14default_configENS1_35adjacent_difference_config_selectorILb0ElEEZNS1_24adjacent_difference_implIS3_Lb0ELb0EPlS7_ZN2at6native12_GLOBAL__N_124unique_dim_cuda_templateItEESt5tupleIJNS8_6TensorESD_SD_EERKSD_lbbbEUlllE1_EE10hipError_tPvRmT2_T3_mT4_P12ihipStream_tbEUlT_E_NS1_11comp_targetILNS1_3genE4ELNS1_11target_archE910ELNS1_3gpuE8ELNS1_3repE0EEENS1_30default_config_static_selectorELNS0_4arch9wavefront6targetE0EEEvT1_,@function
_ZN7rocprim17ROCPRIM_400000_NS6detail17trampoline_kernelINS0_14default_configENS1_35adjacent_difference_config_selectorILb0ElEEZNS1_24adjacent_difference_implIS3_Lb0ELb0EPlS7_ZN2at6native12_GLOBAL__N_124unique_dim_cuda_templateItEESt5tupleIJNS8_6TensorESD_SD_EERKSD_lbbbEUlllE1_EE10hipError_tPvRmT2_T3_mT4_P12ihipStream_tbEUlT_E_NS1_11comp_targetILNS1_3genE4ELNS1_11target_archE910ELNS1_3gpuE8ELNS1_3repE0EEENS1_30default_config_static_selectorELNS0_4arch9wavefront6targetE0EEEvT1_: ; @_ZN7rocprim17ROCPRIM_400000_NS6detail17trampoline_kernelINS0_14default_configENS1_35adjacent_difference_config_selectorILb0ElEEZNS1_24adjacent_difference_implIS3_Lb0ELb0EPlS7_ZN2at6native12_GLOBAL__N_124unique_dim_cuda_templateItEESt5tupleIJNS8_6TensorESD_SD_EERKSD_lbbbEUlllE1_EE10hipError_tPvRmT2_T3_mT4_P12ihipStream_tbEUlT_E_NS1_11comp_targetILNS1_3genE4ELNS1_11target_archE910ELNS1_3gpuE8ELNS1_3repE0EEENS1_30default_config_static_selectorELNS0_4arch9wavefront6targetE0EEEvT1_
; %bb.0:
	.section	.rodata,"a",@progbits
	.p2align	6, 0x0
	.amdhsa_kernel _ZN7rocprim17ROCPRIM_400000_NS6detail17trampoline_kernelINS0_14default_configENS1_35adjacent_difference_config_selectorILb0ElEEZNS1_24adjacent_difference_implIS3_Lb0ELb0EPlS7_ZN2at6native12_GLOBAL__N_124unique_dim_cuda_templateItEESt5tupleIJNS8_6TensorESD_SD_EERKSD_lbbbEUlllE1_EE10hipError_tPvRmT2_T3_mT4_P12ihipStream_tbEUlT_E_NS1_11comp_targetILNS1_3genE4ELNS1_11target_archE910ELNS1_3gpuE8ELNS1_3repE0EEENS1_30default_config_static_selectorELNS0_4arch9wavefront6targetE0EEEvT1_
		.amdhsa_group_segment_fixed_size 0
		.amdhsa_private_segment_fixed_size 0
		.amdhsa_kernarg_size 64
		.amdhsa_user_sgpr_count 15
		.amdhsa_user_sgpr_dispatch_ptr 0
		.amdhsa_user_sgpr_queue_ptr 0
		.amdhsa_user_sgpr_kernarg_segment_ptr 1
		.amdhsa_user_sgpr_dispatch_id 0
		.amdhsa_user_sgpr_private_segment_size 0
		.amdhsa_wavefront_size32 1
		.amdhsa_uses_dynamic_stack 0
		.amdhsa_enable_private_segment 0
		.amdhsa_system_sgpr_workgroup_id_x 1
		.amdhsa_system_sgpr_workgroup_id_y 0
		.amdhsa_system_sgpr_workgroup_id_z 0
		.amdhsa_system_sgpr_workgroup_info 0
		.amdhsa_system_vgpr_workitem_id 0
		.amdhsa_next_free_vgpr 1
		.amdhsa_next_free_sgpr 1
		.amdhsa_reserve_vcc 0
		.amdhsa_float_round_mode_32 0
		.amdhsa_float_round_mode_16_64 0
		.amdhsa_float_denorm_mode_32 3
		.amdhsa_float_denorm_mode_16_64 3
		.amdhsa_dx10_clamp 1
		.amdhsa_ieee_mode 1
		.amdhsa_fp16_overflow 0
		.amdhsa_workgroup_processor_mode 1
		.amdhsa_memory_ordered 1
		.amdhsa_forward_progress 0
		.amdhsa_shared_vgpr_count 0
		.amdhsa_exception_fp_ieee_invalid_op 0
		.amdhsa_exception_fp_denorm_src 0
		.amdhsa_exception_fp_ieee_div_zero 0
		.amdhsa_exception_fp_ieee_overflow 0
		.amdhsa_exception_fp_ieee_underflow 0
		.amdhsa_exception_fp_ieee_inexact 0
		.amdhsa_exception_int_div_zero 0
	.end_amdhsa_kernel
	.section	.text._ZN7rocprim17ROCPRIM_400000_NS6detail17trampoline_kernelINS0_14default_configENS1_35adjacent_difference_config_selectorILb0ElEEZNS1_24adjacent_difference_implIS3_Lb0ELb0EPlS7_ZN2at6native12_GLOBAL__N_124unique_dim_cuda_templateItEESt5tupleIJNS8_6TensorESD_SD_EERKSD_lbbbEUlllE1_EE10hipError_tPvRmT2_T3_mT4_P12ihipStream_tbEUlT_E_NS1_11comp_targetILNS1_3genE4ELNS1_11target_archE910ELNS1_3gpuE8ELNS1_3repE0EEENS1_30default_config_static_selectorELNS0_4arch9wavefront6targetE0EEEvT1_,"axG",@progbits,_ZN7rocprim17ROCPRIM_400000_NS6detail17trampoline_kernelINS0_14default_configENS1_35adjacent_difference_config_selectorILb0ElEEZNS1_24adjacent_difference_implIS3_Lb0ELb0EPlS7_ZN2at6native12_GLOBAL__N_124unique_dim_cuda_templateItEESt5tupleIJNS8_6TensorESD_SD_EERKSD_lbbbEUlllE1_EE10hipError_tPvRmT2_T3_mT4_P12ihipStream_tbEUlT_E_NS1_11comp_targetILNS1_3genE4ELNS1_11target_archE910ELNS1_3gpuE8ELNS1_3repE0EEENS1_30default_config_static_selectorELNS0_4arch9wavefront6targetE0EEEvT1_,comdat
.Lfunc_end1395:
	.size	_ZN7rocprim17ROCPRIM_400000_NS6detail17trampoline_kernelINS0_14default_configENS1_35adjacent_difference_config_selectorILb0ElEEZNS1_24adjacent_difference_implIS3_Lb0ELb0EPlS7_ZN2at6native12_GLOBAL__N_124unique_dim_cuda_templateItEESt5tupleIJNS8_6TensorESD_SD_EERKSD_lbbbEUlllE1_EE10hipError_tPvRmT2_T3_mT4_P12ihipStream_tbEUlT_E_NS1_11comp_targetILNS1_3genE4ELNS1_11target_archE910ELNS1_3gpuE8ELNS1_3repE0EEENS1_30default_config_static_selectorELNS0_4arch9wavefront6targetE0EEEvT1_, .Lfunc_end1395-_ZN7rocprim17ROCPRIM_400000_NS6detail17trampoline_kernelINS0_14default_configENS1_35adjacent_difference_config_selectorILb0ElEEZNS1_24adjacent_difference_implIS3_Lb0ELb0EPlS7_ZN2at6native12_GLOBAL__N_124unique_dim_cuda_templateItEESt5tupleIJNS8_6TensorESD_SD_EERKSD_lbbbEUlllE1_EE10hipError_tPvRmT2_T3_mT4_P12ihipStream_tbEUlT_E_NS1_11comp_targetILNS1_3genE4ELNS1_11target_archE910ELNS1_3gpuE8ELNS1_3repE0EEENS1_30default_config_static_selectorELNS0_4arch9wavefront6targetE0EEEvT1_
                                        ; -- End function
	.section	.AMDGPU.csdata,"",@progbits
; Kernel info:
; codeLenInByte = 0
; NumSgprs: 0
; NumVgprs: 0
; ScratchSize: 0
; MemoryBound: 0
; FloatMode: 240
; IeeeMode: 1
; LDSByteSize: 0 bytes/workgroup (compile time only)
; SGPRBlocks: 0
; VGPRBlocks: 0
; NumSGPRsForWavesPerEU: 1
; NumVGPRsForWavesPerEU: 1
; Occupancy: 16
; WaveLimiterHint : 0
; COMPUTE_PGM_RSRC2:SCRATCH_EN: 0
; COMPUTE_PGM_RSRC2:USER_SGPR: 15
; COMPUTE_PGM_RSRC2:TRAP_HANDLER: 0
; COMPUTE_PGM_RSRC2:TGID_X_EN: 1
; COMPUTE_PGM_RSRC2:TGID_Y_EN: 0
; COMPUTE_PGM_RSRC2:TGID_Z_EN: 0
; COMPUTE_PGM_RSRC2:TIDIG_COMP_CNT: 0
	.section	.text._ZN7rocprim17ROCPRIM_400000_NS6detail17trampoline_kernelINS0_14default_configENS1_35adjacent_difference_config_selectorILb0ElEEZNS1_24adjacent_difference_implIS3_Lb0ELb0EPlS7_ZN2at6native12_GLOBAL__N_124unique_dim_cuda_templateItEESt5tupleIJNS8_6TensorESD_SD_EERKSD_lbbbEUlllE1_EE10hipError_tPvRmT2_T3_mT4_P12ihipStream_tbEUlT_E_NS1_11comp_targetILNS1_3genE3ELNS1_11target_archE908ELNS1_3gpuE7ELNS1_3repE0EEENS1_30default_config_static_selectorELNS0_4arch9wavefront6targetE0EEEvT1_,"axG",@progbits,_ZN7rocprim17ROCPRIM_400000_NS6detail17trampoline_kernelINS0_14default_configENS1_35adjacent_difference_config_selectorILb0ElEEZNS1_24adjacent_difference_implIS3_Lb0ELb0EPlS7_ZN2at6native12_GLOBAL__N_124unique_dim_cuda_templateItEESt5tupleIJNS8_6TensorESD_SD_EERKSD_lbbbEUlllE1_EE10hipError_tPvRmT2_T3_mT4_P12ihipStream_tbEUlT_E_NS1_11comp_targetILNS1_3genE3ELNS1_11target_archE908ELNS1_3gpuE7ELNS1_3repE0EEENS1_30default_config_static_selectorELNS0_4arch9wavefront6targetE0EEEvT1_,comdat
	.globl	_ZN7rocprim17ROCPRIM_400000_NS6detail17trampoline_kernelINS0_14default_configENS1_35adjacent_difference_config_selectorILb0ElEEZNS1_24adjacent_difference_implIS3_Lb0ELb0EPlS7_ZN2at6native12_GLOBAL__N_124unique_dim_cuda_templateItEESt5tupleIJNS8_6TensorESD_SD_EERKSD_lbbbEUlllE1_EE10hipError_tPvRmT2_T3_mT4_P12ihipStream_tbEUlT_E_NS1_11comp_targetILNS1_3genE3ELNS1_11target_archE908ELNS1_3gpuE7ELNS1_3repE0EEENS1_30default_config_static_selectorELNS0_4arch9wavefront6targetE0EEEvT1_ ; -- Begin function _ZN7rocprim17ROCPRIM_400000_NS6detail17trampoline_kernelINS0_14default_configENS1_35adjacent_difference_config_selectorILb0ElEEZNS1_24adjacent_difference_implIS3_Lb0ELb0EPlS7_ZN2at6native12_GLOBAL__N_124unique_dim_cuda_templateItEESt5tupleIJNS8_6TensorESD_SD_EERKSD_lbbbEUlllE1_EE10hipError_tPvRmT2_T3_mT4_P12ihipStream_tbEUlT_E_NS1_11comp_targetILNS1_3genE3ELNS1_11target_archE908ELNS1_3gpuE7ELNS1_3repE0EEENS1_30default_config_static_selectorELNS0_4arch9wavefront6targetE0EEEvT1_
	.p2align	8
	.type	_ZN7rocprim17ROCPRIM_400000_NS6detail17trampoline_kernelINS0_14default_configENS1_35adjacent_difference_config_selectorILb0ElEEZNS1_24adjacent_difference_implIS3_Lb0ELb0EPlS7_ZN2at6native12_GLOBAL__N_124unique_dim_cuda_templateItEESt5tupleIJNS8_6TensorESD_SD_EERKSD_lbbbEUlllE1_EE10hipError_tPvRmT2_T3_mT4_P12ihipStream_tbEUlT_E_NS1_11comp_targetILNS1_3genE3ELNS1_11target_archE908ELNS1_3gpuE7ELNS1_3repE0EEENS1_30default_config_static_selectorELNS0_4arch9wavefront6targetE0EEEvT1_,@function
_ZN7rocprim17ROCPRIM_400000_NS6detail17trampoline_kernelINS0_14default_configENS1_35adjacent_difference_config_selectorILb0ElEEZNS1_24adjacent_difference_implIS3_Lb0ELb0EPlS7_ZN2at6native12_GLOBAL__N_124unique_dim_cuda_templateItEESt5tupleIJNS8_6TensorESD_SD_EERKSD_lbbbEUlllE1_EE10hipError_tPvRmT2_T3_mT4_P12ihipStream_tbEUlT_E_NS1_11comp_targetILNS1_3genE3ELNS1_11target_archE908ELNS1_3gpuE7ELNS1_3repE0EEENS1_30default_config_static_selectorELNS0_4arch9wavefront6targetE0EEEvT1_: ; @_ZN7rocprim17ROCPRIM_400000_NS6detail17trampoline_kernelINS0_14default_configENS1_35adjacent_difference_config_selectorILb0ElEEZNS1_24adjacent_difference_implIS3_Lb0ELb0EPlS7_ZN2at6native12_GLOBAL__N_124unique_dim_cuda_templateItEESt5tupleIJNS8_6TensorESD_SD_EERKSD_lbbbEUlllE1_EE10hipError_tPvRmT2_T3_mT4_P12ihipStream_tbEUlT_E_NS1_11comp_targetILNS1_3genE3ELNS1_11target_archE908ELNS1_3gpuE7ELNS1_3repE0EEENS1_30default_config_static_selectorELNS0_4arch9wavefront6targetE0EEEvT1_
; %bb.0:
	.section	.rodata,"a",@progbits
	.p2align	6, 0x0
	.amdhsa_kernel _ZN7rocprim17ROCPRIM_400000_NS6detail17trampoline_kernelINS0_14default_configENS1_35adjacent_difference_config_selectorILb0ElEEZNS1_24adjacent_difference_implIS3_Lb0ELb0EPlS7_ZN2at6native12_GLOBAL__N_124unique_dim_cuda_templateItEESt5tupleIJNS8_6TensorESD_SD_EERKSD_lbbbEUlllE1_EE10hipError_tPvRmT2_T3_mT4_P12ihipStream_tbEUlT_E_NS1_11comp_targetILNS1_3genE3ELNS1_11target_archE908ELNS1_3gpuE7ELNS1_3repE0EEENS1_30default_config_static_selectorELNS0_4arch9wavefront6targetE0EEEvT1_
		.amdhsa_group_segment_fixed_size 0
		.amdhsa_private_segment_fixed_size 0
		.amdhsa_kernarg_size 64
		.amdhsa_user_sgpr_count 15
		.amdhsa_user_sgpr_dispatch_ptr 0
		.amdhsa_user_sgpr_queue_ptr 0
		.amdhsa_user_sgpr_kernarg_segment_ptr 1
		.amdhsa_user_sgpr_dispatch_id 0
		.amdhsa_user_sgpr_private_segment_size 0
		.amdhsa_wavefront_size32 1
		.amdhsa_uses_dynamic_stack 0
		.amdhsa_enable_private_segment 0
		.amdhsa_system_sgpr_workgroup_id_x 1
		.amdhsa_system_sgpr_workgroup_id_y 0
		.amdhsa_system_sgpr_workgroup_id_z 0
		.amdhsa_system_sgpr_workgroup_info 0
		.amdhsa_system_vgpr_workitem_id 0
		.amdhsa_next_free_vgpr 1
		.amdhsa_next_free_sgpr 1
		.amdhsa_reserve_vcc 0
		.amdhsa_float_round_mode_32 0
		.amdhsa_float_round_mode_16_64 0
		.amdhsa_float_denorm_mode_32 3
		.amdhsa_float_denorm_mode_16_64 3
		.amdhsa_dx10_clamp 1
		.amdhsa_ieee_mode 1
		.amdhsa_fp16_overflow 0
		.amdhsa_workgroup_processor_mode 1
		.amdhsa_memory_ordered 1
		.amdhsa_forward_progress 0
		.amdhsa_shared_vgpr_count 0
		.amdhsa_exception_fp_ieee_invalid_op 0
		.amdhsa_exception_fp_denorm_src 0
		.amdhsa_exception_fp_ieee_div_zero 0
		.amdhsa_exception_fp_ieee_overflow 0
		.amdhsa_exception_fp_ieee_underflow 0
		.amdhsa_exception_fp_ieee_inexact 0
		.amdhsa_exception_int_div_zero 0
	.end_amdhsa_kernel
	.section	.text._ZN7rocprim17ROCPRIM_400000_NS6detail17trampoline_kernelINS0_14default_configENS1_35adjacent_difference_config_selectorILb0ElEEZNS1_24adjacent_difference_implIS3_Lb0ELb0EPlS7_ZN2at6native12_GLOBAL__N_124unique_dim_cuda_templateItEESt5tupleIJNS8_6TensorESD_SD_EERKSD_lbbbEUlllE1_EE10hipError_tPvRmT2_T3_mT4_P12ihipStream_tbEUlT_E_NS1_11comp_targetILNS1_3genE3ELNS1_11target_archE908ELNS1_3gpuE7ELNS1_3repE0EEENS1_30default_config_static_selectorELNS0_4arch9wavefront6targetE0EEEvT1_,"axG",@progbits,_ZN7rocprim17ROCPRIM_400000_NS6detail17trampoline_kernelINS0_14default_configENS1_35adjacent_difference_config_selectorILb0ElEEZNS1_24adjacent_difference_implIS3_Lb0ELb0EPlS7_ZN2at6native12_GLOBAL__N_124unique_dim_cuda_templateItEESt5tupleIJNS8_6TensorESD_SD_EERKSD_lbbbEUlllE1_EE10hipError_tPvRmT2_T3_mT4_P12ihipStream_tbEUlT_E_NS1_11comp_targetILNS1_3genE3ELNS1_11target_archE908ELNS1_3gpuE7ELNS1_3repE0EEENS1_30default_config_static_selectorELNS0_4arch9wavefront6targetE0EEEvT1_,comdat
.Lfunc_end1396:
	.size	_ZN7rocprim17ROCPRIM_400000_NS6detail17trampoline_kernelINS0_14default_configENS1_35adjacent_difference_config_selectorILb0ElEEZNS1_24adjacent_difference_implIS3_Lb0ELb0EPlS7_ZN2at6native12_GLOBAL__N_124unique_dim_cuda_templateItEESt5tupleIJNS8_6TensorESD_SD_EERKSD_lbbbEUlllE1_EE10hipError_tPvRmT2_T3_mT4_P12ihipStream_tbEUlT_E_NS1_11comp_targetILNS1_3genE3ELNS1_11target_archE908ELNS1_3gpuE7ELNS1_3repE0EEENS1_30default_config_static_selectorELNS0_4arch9wavefront6targetE0EEEvT1_, .Lfunc_end1396-_ZN7rocprim17ROCPRIM_400000_NS6detail17trampoline_kernelINS0_14default_configENS1_35adjacent_difference_config_selectorILb0ElEEZNS1_24adjacent_difference_implIS3_Lb0ELb0EPlS7_ZN2at6native12_GLOBAL__N_124unique_dim_cuda_templateItEESt5tupleIJNS8_6TensorESD_SD_EERKSD_lbbbEUlllE1_EE10hipError_tPvRmT2_T3_mT4_P12ihipStream_tbEUlT_E_NS1_11comp_targetILNS1_3genE3ELNS1_11target_archE908ELNS1_3gpuE7ELNS1_3repE0EEENS1_30default_config_static_selectorELNS0_4arch9wavefront6targetE0EEEvT1_
                                        ; -- End function
	.section	.AMDGPU.csdata,"",@progbits
; Kernel info:
; codeLenInByte = 0
; NumSgprs: 0
; NumVgprs: 0
; ScratchSize: 0
; MemoryBound: 0
; FloatMode: 240
; IeeeMode: 1
; LDSByteSize: 0 bytes/workgroup (compile time only)
; SGPRBlocks: 0
; VGPRBlocks: 0
; NumSGPRsForWavesPerEU: 1
; NumVGPRsForWavesPerEU: 1
; Occupancy: 16
; WaveLimiterHint : 0
; COMPUTE_PGM_RSRC2:SCRATCH_EN: 0
; COMPUTE_PGM_RSRC2:USER_SGPR: 15
; COMPUTE_PGM_RSRC2:TRAP_HANDLER: 0
; COMPUTE_PGM_RSRC2:TGID_X_EN: 1
; COMPUTE_PGM_RSRC2:TGID_Y_EN: 0
; COMPUTE_PGM_RSRC2:TGID_Z_EN: 0
; COMPUTE_PGM_RSRC2:TIDIG_COMP_CNT: 0
	.section	.text._ZN7rocprim17ROCPRIM_400000_NS6detail17trampoline_kernelINS0_14default_configENS1_35adjacent_difference_config_selectorILb0ElEEZNS1_24adjacent_difference_implIS3_Lb0ELb0EPlS7_ZN2at6native12_GLOBAL__N_124unique_dim_cuda_templateItEESt5tupleIJNS8_6TensorESD_SD_EERKSD_lbbbEUlllE1_EE10hipError_tPvRmT2_T3_mT4_P12ihipStream_tbEUlT_E_NS1_11comp_targetILNS1_3genE2ELNS1_11target_archE906ELNS1_3gpuE6ELNS1_3repE0EEENS1_30default_config_static_selectorELNS0_4arch9wavefront6targetE0EEEvT1_,"axG",@progbits,_ZN7rocprim17ROCPRIM_400000_NS6detail17trampoline_kernelINS0_14default_configENS1_35adjacent_difference_config_selectorILb0ElEEZNS1_24adjacent_difference_implIS3_Lb0ELb0EPlS7_ZN2at6native12_GLOBAL__N_124unique_dim_cuda_templateItEESt5tupleIJNS8_6TensorESD_SD_EERKSD_lbbbEUlllE1_EE10hipError_tPvRmT2_T3_mT4_P12ihipStream_tbEUlT_E_NS1_11comp_targetILNS1_3genE2ELNS1_11target_archE906ELNS1_3gpuE6ELNS1_3repE0EEENS1_30default_config_static_selectorELNS0_4arch9wavefront6targetE0EEEvT1_,comdat
	.globl	_ZN7rocprim17ROCPRIM_400000_NS6detail17trampoline_kernelINS0_14default_configENS1_35adjacent_difference_config_selectorILb0ElEEZNS1_24adjacent_difference_implIS3_Lb0ELb0EPlS7_ZN2at6native12_GLOBAL__N_124unique_dim_cuda_templateItEESt5tupleIJNS8_6TensorESD_SD_EERKSD_lbbbEUlllE1_EE10hipError_tPvRmT2_T3_mT4_P12ihipStream_tbEUlT_E_NS1_11comp_targetILNS1_3genE2ELNS1_11target_archE906ELNS1_3gpuE6ELNS1_3repE0EEENS1_30default_config_static_selectorELNS0_4arch9wavefront6targetE0EEEvT1_ ; -- Begin function _ZN7rocprim17ROCPRIM_400000_NS6detail17trampoline_kernelINS0_14default_configENS1_35adjacent_difference_config_selectorILb0ElEEZNS1_24adjacent_difference_implIS3_Lb0ELb0EPlS7_ZN2at6native12_GLOBAL__N_124unique_dim_cuda_templateItEESt5tupleIJNS8_6TensorESD_SD_EERKSD_lbbbEUlllE1_EE10hipError_tPvRmT2_T3_mT4_P12ihipStream_tbEUlT_E_NS1_11comp_targetILNS1_3genE2ELNS1_11target_archE906ELNS1_3gpuE6ELNS1_3repE0EEENS1_30default_config_static_selectorELNS0_4arch9wavefront6targetE0EEEvT1_
	.p2align	8
	.type	_ZN7rocprim17ROCPRIM_400000_NS6detail17trampoline_kernelINS0_14default_configENS1_35adjacent_difference_config_selectorILb0ElEEZNS1_24adjacent_difference_implIS3_Lb0ELb0EPlS7_ZN2at6native12_GLOBAL__N_124unique_dim_cuda_templateItEESt5tupleIJNS8_6TensorESD_SD_EERKSD_lbbbEUlllE1_EE10hipError_tPvRmT2_T3_mT4_P12ihipStream_tbEUlT_E_NS1_11comp_targetILNS1_3genE2ELNS1_11target_archE906ELNS1_3gpuE6ELNS1_3repE0EEENS1_30default_config_static_selectorELNS0_4arch9wavefront6targetE0EEEvT1_,@function
_ZN7rocprim17ROCPRIM_400000_NS6detail17trampoline_kernelINS0_14default_configENS1_35adjacent_difference_config_selectorILb0ElEEZNS1_24adjacent_difference_implIS3_Lb0ELb0EPlS7_ZN2at6native12_GLOBAL__N_124unique_dim_cuda_templateItEESt5tupleIJNS8_6TensorESD_SD_EERKSD_lbbbEUlllE1_EE10hipError_tPvRmT2_T3_mT4_P12ihipStream_tbEUlT_E_NS1_11comp_targetILNS1_3genE2ELNS1_11target_archE906ELNS1_3gpuE6ELNS1_3repE0EEENS1_30default_config_static_selectorELNS0_4arch9wavefront6targetE0EEEvT1_: ; @_ZN7rocprim17ROCPRIM_400000_NS6detail17trampoline_kernelINS0_14default_configENS1_35adjacent_difference_config_selectorILb0ElEEZNS1_24adjacent_difference_implIS3_Lb0ELb0EPlS7_ZN2at6native12_GLOBAL__N_124unique_dim_cuda_templateItEESt5tupleIJNS8_6TensorESD_SD_EERKSD_lbbbEUlllE1_EE10hipError_tPvRmT2_T3_mT4_P12ihipStream_tbEUlT_E_NS1_11comp_targetILNS1_3genE2ELNS1_11target_archE906ELNS1_3gpuE6ELNS1_3repE0EEENS1_30default_config_static_selectorELNS0_4arch9wavefront6targetE0EEEvT1_
; %bb.0:
	.section	.rodata,"a",@progbits
	.p2align	6, 0x0
	.amdhsa_kernel _ZN7rocprim17ROCPRIM_400000_NS6detail17trampoline_kernelINS0_14default_configENS1_35adjacent_difference_config_selectorILb0ElEEZNS1_24adjacent_difference_implIS3_Lb0ELb0EPlS7_ZN2at6native12_GLOBAL__N_124unique_dim_cuda_templateItEESt5tupleIJNS8_6TensorESD_SD_EERKSD_lbbbEUlllE1_EE10hipError_tPvRmT2_T3_mT4_P12ihipStream_tbEUlT_E_NS1_11comp_targetILNS1_3genE2ELNS1_11target_archE906ELNS1_3gpuE6ELNS1_3repE0EEENS1_30default_config_static_selectorELNS0_4arch9wavefront6targetE0EEEvT1_
		.amdhsa_group_segment_fixed_size 0
		.amdhsa_private_segment_fixed_size 0
		.amdhsa_kernarg_size 64
		.amdhsa_user_sgpr_count 15
		.amdhsa_user_sgpr_dispatch_ptr 0
		.amdhsa_user_sgpr_queue_ptr 0
		.amdhsa_user_sgpr_kernarg_segment_ptr 1
		.amdhsa_user_sgpr_dispatch_id 0
		.amdhsa_user_sgpr_private_segment_size 0
		.amdhsa_wavefront_size32 1
		.amdhsa_uses_dynamic_stack 0
		.amdhsa_enable_private_segment 0
		.amdhsa_system_sgpr_workgroup_id_x 1
		.amdhsa_system_sgpr_workgroup_id_y 0
		.amdhsa_system_sgpr_workgroup_id_z 0
		.amdhsa_system_sgpr_workgroup_info 0
		.amdhsa_system_vgpr_workitem_id 0
		.amdhsa_next_free_vgpr 1
		.amdhsa_next_free_sgpr 1
		.amdhsa_reserve_vcc 0
		.amdhsa_float_round_mode_32 0
		.amdhsa_float_round_mode_16_64 0
		.amdhsa_float_denorm_mode_32 3
		.amdhsa_float_denorm_mode_16_64 3
		.amdhsa_dx10_clamp 1
		.amdhsa_ieee_mode 1
		.amdhsa_fp16_overflow 0
		.amdhsa_workgroup_processor_mode 1
		.amdhsa_memory_ordered 1
		.amdhsa_forward_progress 0
		.amdhsa_shared_vgpr_count 0
		.amdhsa_exception_fp_ieee_invalid_op 0
		.amdhsa_exception_fp_denorm_src 0
		.amdhsa_exception_fp_ieee_div_zero 0
		.amdhsa_exception_fp_ieee_overflow 0
		.amdhsa_exception_fp_ieee_underflow 0
		.amdhsa_exception_fp_ieee_inexact 0
		.amdhsa_exception_int_div_zero 0
	.end_amdhsa_kernel
	.section	.text._ZN7rocprim17ROCPRIM_400000_NS6detail17trampoline_kernelINS0_14default_configENS1_35adjacent_difference_config_selectorILb0ElEEZNS1_24adjacent_difference_implIS3_Lb0ELb0EPlS7_ZN2at6native12_GLOBAL__N_124unique_dim_cuda_templateItEESt5tupleIJNS8_6TensorESD_SD_EERKSD_lbbbEUlllE1_EE10hipError_tPvRmT2_T3_mT4_P12ihipStream_tbEUlT_E_NS1_11comp_targetILNS1_3genE2ELNS1_11target_archE906ELNS1_3gpuE6ELNS1_3repE0EEENS1_30default_config_static_selectorELNS0_4arch9wavefront6targetE0EEEvT1_,"axG",@progbits,_ZN7rocprim17ROCPRIM_400000_NS6detail17trampoline_kernelINS0_14default_configENS1_35adjacent_difference_config_selectorILb0ElEEZNS1_24adjacent_difference_implIS3_Lb0ELb0EPlS7_ZN2at6native12_GLOBAL__N_124unique_dim_cuda_templateItEESt5tupleIJNS8_6TensorESD_SD_EERKSD_lbbbEUlllE1_EE10hipError_tPvRmT2_T3_mT4_P12ihipStream_tbEUlT_E_NS1_11comp_targetILNS1_3genE2ELNS1_11target_archE906ELNS1_3gpuE6ELNS1_3repE0EEENS1_30default_config_static_selectorELNS0_4arch9wavefront6targetE0EEEvT1_,comdat
.Lfunc_end1397:
	.size	_ZN7rocprim17ROCPRIM_400000_NS6detail17trampoline_kernelINS0_14default_configENS1_35adjacent_difference_config_selectorILb0ElEEZNS1_24adjacent_difference_implIS3_Lb0ELb0EPlS7_ZN2at6native12_GLOBAL__N_124unique_dim_cuda_templateItEESt5tupleIJNS8_6TensorESD_SD_EERKSD_lbbbEUlllE1_EE10hipError_tPvRmT2_T3_mT4_P12ihipStream_tbEUlT_E_NS1_11comp_targetILNS1_3genE2ELNS1_11target_archE906ELNS1_3gpuE6ELNS1_3repE0EEENS1_30default_config_static_selectorELNS0_4arch9wavefront6targetE0EEEvT1_, .Lfunc_end1397-_ZN7rocprim17ROCPRIM_400000_NS6detail17trampoline_kernelINS0_14default_configENS1_35adjacent_difference_config_selectorILb0ElEEZNS1_24adjacent_difference_implIS3_Lb0ELb0EPlS7_ZN2at6native12_GLOBAL__N_124unique_dim_cuda_templateItEESt5tupleIJNS8_6TensorESD_SD_EERKSD_lbbbEUlllE1_EE10hipError_tPvRmT2_T3_mT4_P12ihipStream_tbEUlT_E_NS1_11comp_targetILNS1_3genE2ELNS1_11target_archE906ELNS1_3gpuE6ELNS1_3repE0EEENS1_30default_config_static_selectorELNS0_4arch9wavefront6targetE0EEEvT1_
                                        ; -- End function
	.section	.AMDGPU.csdata,"",@progbits
; Kernel info:
; codeLenInByte = 0
; NumSgprs: 0
; NumVgprs: 0
; ScratchSize: 0
; MemoryBound: 0
; FloatMode: 240
; IeeeMode: 1
; LDSByteSize: 0 bytes/workgroup (compile time only)
; SGPRBlocks: 0
; VGPRBlocks: 0
; NumSGPRsForWavesPerEU: 1
; NumVGPRsForWavesPerEU: 1
; Occupancy: 16
; WaveLimiterHint : 0
; COMPUTE_PGM_RSRC2:SCRATCH_EN: 0
; COMPUTE_PGM_RSRC2:USER_SGPR: 15
; COMPUTE_PGM_RSRC2:TRAP_HANDLER: 0
; COMPUTE_PGM_RSRC2:TGID_X_EN: 1
; COMPUTE_PGM_RSRC2:TGID_Y_EN: 0
; COMPUTE_PGM_RSRC2:TGID_Z_EN: 0
; COMPUTE_PGM_RSRC2:TIDIG_COMP_CNT: 0
	.section	.text._ZN7rocprim17ROCPRIM_400000_NS6detail17trampoline_kernelINS0_14default_configENS1_35adjacent_difference_config_selectorILb0ElEEZNS1_24adjacent_difference_implIS3_Lb0ELb0EPlS7_ZN2at6native12_GLOBAL__N_124unique_dim_cuda_templateItEESt5tupleIJNS8_6TensorESD_SD_EERKSD_lbbbEUlllE1_EE10hipError_tPvRmT2_T3_mT4_P12ihipStream_tbEUlT_E_NS1_11comp_targetILNS1_3genE9ELNS1_11target_archE1100ELNS1_3gpuE3ELNS1_3repE0EEENS1_30default_config_static_selectorELNS0_4arch9wavefront6targetE0EEEvT1_,"axG",@progbits,_ZN7rocprim17ROCPRIM_400000_NS6detail17trampoline_kernelINS0_14default_configENS1_35adjacent_difference_config_selectorILb0ElEEZNS1_24adjacent_difference_implIS3_Lb0ELb0EPlS7_ZN2at6native12_GLOBAL__N_124unique_dim_cuda_templateItEESt5tupleIJNS8_6TensorESD_SD_EERKSD_lbbbEUlllE1_EE10hipError_tPvRmT2_T3_mT4_P12ihipStream_tbEUlT_E_NS1_11comp_targetILNS1_3genE9ELNS1_11target_archE1100ELNS1_3gpuE3ELNS1_3repE0EEENS1_30default_config_static_selectorELNS0_4arch9wavefront6targetE0EEEvT1_,comdat
	.globl	_ZN7rocprim17ROCPRIM_400000_NS6detail17trampoline_kernelINS0_14default_configENS1_35adjacent_difference_config_selectorILb0ElEEZNS1_24adjacent_difference_implIS3_Lb0ELb0EPlS7_ZN2at6native12_GLOBAL__N_124unique_dim_cuda_templateItEESt5tupleIJNS8_6TensorESD_SD_EERKSD_lbbbEUlllE1_EE10hipError_tPvRmT2_T3_mT4_P12ihipStream_tbEUlT_E_NS1_11comp_targetILNS1_3genE9ELNS1_11target_archE1100ELNS1_3gpuE3ELNS1_3repE0EEENS1_30default_config_static_selectorELNS0_4arch9wavefront6targetE0EEEvT1_ ; -- Begin function _ZN7rocprim17ROCPRIM_400000_NS6detail17trampoline_kernelINS0_14default_configENS1_35adjacent_difference_config_selectorILb0ElEEZNS1_24adjacent_difference_implIS3_Lb0ELb0EPlS7_ZN2at6native12_GLOBAL__N_124unique_dim_cuda_templateItEESt5tupleIJNS8_6TensorESD_SD_EERKSD_lbbbEUlllE1_EE10hipError_tPvRmT2_T3_mT4_P12ihipStream_tbEUlT_E_NS1_11comp_targetILNS1_3genE9ELNS1_11target_archE1100ELNS1_3gpuE3ELNS1_3repE0EEENS1_30default_config_static_selectorELNS0_4arch9wavefront6targetE0EEEvT1_
	.p2align	8
	.type	_ZN7rocprim17ROCPRIM_400000_NS6detail17trampoline_kernelINS0_14default_configENS1_35adjacent_difference_config_selectorILb0ElEEZNS1_24adjacent_difference_implIS3_Lb0ELb0EPlS7_ZN2at6native12_GLOBAL__N_124unique_dim_cuda_templateItEESt5tupleIJNS8_6TensorESD_SD_EERKSD_lbbbEUlllE1_EE10hipError_tPvRmT2_T3_mT4_P12ihipStream_tbEUlT_E_NS1_11comp_targetILNS1_3genE9ELNS1_11target_archE1100ELNS1_3gpuE3ELNS1_3repE0EEENS1_30default_config_static_selectorELNS0_4arch9wavefront6targetE0EEEvT1_,@function
_ZN7rocprim17ROCPRIM_400000_NS6detail17trampoline_kernelINS0_14default_configENS1_35adjacent_difference_config_selectorILb0ElEEZNS1_24adjacent_difference_implIS3_Lb0ELb0EPlS7_ZN2at6native12_GLOBAL__N_124unique_dim_cuda_templateItEESt5tupleIJNS8_6TensorESD_SD_EERKSD_lbbbEUlllE1_EE10hipError_tPvRmT2_T3_mT4_P12ihipStream_tbEUlT_E_NS1_11comp_targetILNS1_3genE9ELNS1_11target_archE1100ELNS1_3gpuE3ELNS1_3repE0EEENS1_30default_config_static_selectorELNS0_4arch9wavefront6targetE0EEEvT1_: ; @_ZN7rocprim17ROCPRIM_400000_NS6detail17trampoline_kernelINS0_14default_configENS1_35adjacent_difference_config_selectorILb0ElEEZNS1_24adjacent_difference_implIS3_Lb0ELb0EPlS7_ZN2at6native12_GLOBAL__N_124unique_dim_cuda_templateItEESt5tupleIJNS8_6TensorESD_SD_EERKSD_lbbbEUlllE1_EE10hipError_tPvRmT2_T3_mT4_P12ihipStream_tbEUlT_E_NS1_11comp_targetILNS1_3genE9ELNS1_11target_archE1100ELNS1_3gpuE3ELNS1_3repE0EEENS1_30default_config_static_selectorELNS0_4arch9wavefront6targetE0EEEvT1_
; %bb.0:
	s_clause 0x1
	s_load_b256 s[4:11], s[0:1], 0x0
	s_load_b64 s[18:19], s[0:1], 0x38
	s_mov_b32 s17, 0
	s_waitcnt lgkmcnt(0)
	s_lshl_b64 s[12:13], s[6:7], 3
	s_delay_alu instid0(SALU_CYCLE_1)
	s_add_u32 s20, s4, s12
	s_addc_u32 s21, s5, s13
	s_load_b128 s[4:7], s[0:1], 0x20
	s_and_b32 s16, s10, 0x1ff
	s_lshl_b32 s2, s15, 9
	s_lshr_b64 s[22:23], s[10:11], 9
	s_cmp_lg_u64 s[16:17], 0
	s_cselect_b32 s3, -1, 0
	s_delay_alu instid0(SALU_CYCLE_1) | instskip(NEXT) | instid1(VALU_DEP_1)
	v_cndmask_b32_e64 v1, 0, 1, s3
	v_readfirstlane_b32 s3, v1
	s_delay_alu instid0(VALU_DEP_1)
	s_add_u32 s16, s22, s3
	s_addc_u32 s17, s23, 0
	s_add_u32 s18, s18, s15
	s_addc_u32 s19, s19, 0
	s_add_u32 s14, s16, -1
	s_addc_u32 s15, s17, -1
	s_delay_alu instid0(SALU_CYCLE_1) | instskip(NEXT) | instid1(VALU_DEP_1)
	v_cmp_ge_u64_e64 s1, s[18:19], s[14:15]
	s_and_b32 vcc_lo, exec_lo, s1
	s_cbranch_vccz .LBB1398_4
; %bb.1:
	s_lshl_b32 s0, s14, 9
                                        ; implicit-def: $vgpr1_vgpr2
	s_delay_alu instid0(SALU_CYCLE_1) | instskip(NEXT) | instid1(SALU_CYCLE_1)
	s_sub_i32 s0, s10, s0
	v_cmp_gt_u32_e32 vcc_lo, s0, v0
	s_and_saveexec_b32 s0, vcc_lo
	s_cbranch_execz .LBB1398_3
; %bb.2:
	s_mov_b32 s3, 0
	v_lshlrev_b32_e32 v1, 3, v0
	s_lshl_b64 s[22:23], s[2:3], 3
	s_delay_alu instid0(SALU_CYCLE_1)
	s_add_u32 s22, s20, s22
	s_addc_u32 s23, s21, s23
	global_load_b64 v[1:2], v1, s[22:23]
.LBB1398_3:
	s_or_b32 exec_lo, exec_lo, s0
	v_lshlrev_b32_e32 v3, 3, v0
	s_waitcnt vmcnt(0)
	ds_store_b64 v3, v[1:2]
	s_waitcnt lgkmcnt(0)
	s_barrier
	v_lshlrev_b32_e32 v9, 3, v0
	s_branch .LBB1398_6
.LBB1398_4:
                                        ; implicit-def: $vgpr3
	v_lshlrev_b32_e32 v9, 3, v0
	s_cbranch_execz .LBB1398_6
; %bb.5:
	s_mov_b32 s3, 0
	s_delay_alu instid0(VALU_DEP_1) | instskip(SKIP_1) | instid1(SALU_CYCLE_1)
	v_mov_b32_e32 v3, v9
	s_lshl_b64 s[22:23], s[2:3], 3
	s_add_u32 s22, s20, s22
	s_addc_u32 s23, s21, s23
	global_load_b64 v[1:2], v9, s[22:23]
	s_waitcnt vmcnt(0)
	ds_store_b64 v9, v[1:2]
	s_waitcnt lgkmcnt(0)
	s_barrier
.LBB1398_6:
	s_waitcnt lgkmcnt(0)
	buffer_gl0_inv
	ds_load_b64 v[1:2], v3
	s_cmp_eq_u64 s[18:19], 0
	s_waitcnt lgkmcnt(0)
	s_barrier
	buffer_gl0_inv
	s_cbranch_scc1 .LBB1398_17
; %bb.7:
	s_mov_b32 s3, 0
	s_delay_alu instid0(SALU_CYCLE_1) | instskip(NEXT) | instid1(SALU_CYCLE_1)
	s_lshl_b64 s[22:23], s[2:3], 3
	s_add_u32 s0, s20, s22
	s_addc_u32 s11, s21, s23
	s_add_u32 s20, s0, -8
	s_addc_u32 s21, s11, -1
	s_cmp_lg_u64 s[18:19], s[14:15]
	s_load_b64 s[20:21], s[20:21], 0x0
	s_cbranch_scc0 .LBB1398_18
; %bb.8:
	s_waitcnt lgkmcnt(0)
	v_dual_mov_b32 v3, s20 :: v_dual_mov_b32 v4, s21
	s_mov_b32 s0, 0
	s_mov_b32 s3, exec_lo
	ds_store_b64 v9, v[1:2]
	s_waitcnt lgkmcnt(0)
	s_barrier
	buffer_gl0_inv
	v_cmpx_ne_u32_e32 0, v0
	s_cbranch_execz .LBB1398_10
; %bb.9:
	v_add_nc_u32_e32 v3, -8, v9
	ds_load_b64 v[3:4], v3
.LBB1398_10:
	s_or_b32 exec_lo, exec_lo, s3
	v_cmp_lt_i64_e64 s3, s[4:5], 1
	s_delay_alu instid0(VALU_DEP_1)
	s_and_b32 vcc_lo, exec_lo, s3
	s_cbranch_vccnz .LBB1398_21
; %bb.11:
	v_mul_lo_u32 v10, v2, s4
	v_mul_lo_u32 v11, v1, s5
	v_mad_u64_u32 v[5:6], null, v1, s4, 0
	s_waitcnt lgkmcnt(0)
	v_mul_lo_u32 v4, v4, s4
	v_mul_lo_u32 v12, v3, s5
	v_mad_u64_u32 v[7:8], null, v3, s4, 0
	s_mov_b32 s0, -1
	s_mov_b32 s3, exec_lo
	s_delay_alu instid0(VALU_DEP_4) | instskip(NEXT) | instid1(VALU_DEP_2)
	v_add3_u32 v6, v6, v11, v10
	v_add3_u32 v8, v8, v12, v4
	s_delay_alu instid0(VALU_DEP_2) | instskip(NEXT) | instid1(VALU_DEP_2)
	v_lshlrev_b64 v[3:4], 1, v[5:6]
	v_lshlrev_b64 v[7:8], 1, v[7:8]
	s_delay_alu instid0(VALU_DEP_2) | instskip(NEXT) | instid1(VALU_DEP_3)
	v_add_co_u32 v5, vcc_lo, s6, v3
	v_add_co_ci_u32_e32 v6, vcc_lo, s7, v4, vcc_lo
	s_delay_alu instid0(VALU_DEP_3) | instskip(NEXT) | instid1(VALU_DEP_4)
	v_add_co_u32 v3, vcc_lo, s6, v7
	v_add_co_ci_u32_e32 v4, vcc_lo, s7, v8, vcc_lo
	s_clause 0x1
	global_load_u16 v7, v[5:6], off
	global_load_u16 v8, v[3:4], off
	s_waitcnt vmcnt(0)
	v_cmpx_eq_u16_e64 v7, v8
	s_cbranch_execz .LBB1398_20
; %bb.12:
	v_add_co_u32 v3, vcc_lo, v3, 2
	v_add_co_ci_u32_e32 v4, vcc_lo, 0, v4, vcc_lo
	v_add_co_u32 v5, vcc_lo, v5, 2
	v_add_co_ci_u32_e32 v6, vcc_lo, 0, v6, vcc_lo
	s_add_u32 s22, s4, -1
	s_addc_u32 s23, s5, -1
	s_mov_b64 s[24:25], 0
	s_mov_b32 s11, 0
                                        ; implicit-def: $sgpr15
	s_set_inst_prefetch_distance 0x1
	s_branch .LBB1398_15
	.p2align	6
.LBB1398_13:                            ;   in Loop: Header=BB1398_15 Depth=1
	global_load_u16 v7, v[5:6], off
	global_load_u16 v8, v[3:4], off
	v_add_co_u32 v3, vcc_lo, v3, 2
	v_add_co_ci_u32_e32 v4, vcc_lo, 0, v4, vcc_lo
	v_add_co_u32 v5, s0, v5, 2
	s_delay_alu instid0(VALU_DEP_1)
	v_add_co_ci_u32_e64 v6, s0, 0, v6, s0
	s_add_u32 s24, s24, 1
	s_addc_u32 s25, s25, 0
	s_and_not1_b32 s0, s15, exec_lo
	s_waitcnt vmcnt(0)
	v_cmp_ne_u16_e32 vcc_lo, v7, v8
	s_and_b32 s15, vcc_lo, exec_lo
	s_delay_alu instid0(SALU_CYCLE_1)
	s_or_b32 s15, s0, s15
.LBB1398_14:                            ;   in Loop: Header=BB1398_15 Depth=1
	v_dual_mov_b32 v7, s24 :: v_dual_mov_b32 v8, s25
	s_and_b32 s0, exec_lo, s15
	s_delay_alu instid0(SALU_CYCLE_1) | instskip(NEXT) | instid1(SALU_CYCLE_1)
	s_or_b32 s11, s0, s11
	s_and_not1_b32 exec_lo, exec_lo, s11
	s_cbranch_execz .LBB1398_19
.LBB1398_15:                            ; =>This Inner Loop Header: Depth=1
	s_or_b32 s15, s15, exec_lo
	s_cmp_eq_u64 s[22:23], s[24:25]
	s_cbranch_scc0 .LBB1398_13
; %bb.16:                               ;   in Loop: Header=BB1398_15 Depth=1
	s_mov_b64 s[24:25], s[4:5]
                                        ; implicit-def: $vgpr3_vgpr4
                                        ; implicit-def: $vgpr5_vgpr6
	s_branch .LBB1398_14
.LBB1398_17:
	s_mov_b32 s3, 0
                                        ; implicit-def: $sgpr0
	s_cbranch_execnz .LBB1398_38
	s_branch .LBB1398_65
.LBB1398_18:
                                        ; implicit-def: $sgpr0
	s_cbranch_execnz .LBB1398_22
	s_branch .LBB1398_37
.LBB1398_19:
	s_set_inst_prefetch_distance 0x2
	s_or_b32 exec_lo, exec_lo, s11
	v_cmp_gt_i64_e32 vcc_lo, s[4:5], v[7:8]
	s_or_not1_b32 s0, vcc_lo, exec_lo
.LBB1398_20:
	s_or_b32 exec_lo, exec_lo, s3
.LBB1398_21:
	s_mov_b32 s3, -1
	s_branch .LBB1398_37
.LBB1398_22:
	s_waitcnt lgkmcnt(0)
	v_dual_mov_b32 v3, s20 :: v_dual_mov_b32 v4, s21
	s_mov_b32 s0, exec_lo
	ds_store_b64 v9, v[1:2]
	s_waitcnt lgkmcnt(0)
	s_barrier
	buffer_gl0_inv
	v_cmpx_ne_u32_e32 0, v0
	s_cbranch_execz .LBB1398_24
; %bb.23:
	v_add_nc_u32_e32 v3, -8, v9
	ds_load_b64 v[3:4], v3
.LBB1398_24:
	s_or_b32 exec_lo, exec_lo, s0
	s_lshl_b32 s0, s18, 9
	s_delay_alu instid0(SALU_CYCLE_1) | instskip(NEXT) | instid1(SALU_CYCLE_1)
	s_sub_i32 s0, s10, s0
	v_cmp_gt_u32_e32 vcc_lo, s0, v0
                                        ; implicit-def: $sgpr0
	s_and_saveexec_b32 s11, vcc_lo
	s_cbranch_execz .LBB1398_36
; %bb.25:
	v_cmp_lt_i64_e64 s0, s[4:5], 1
	s_delay_alu instid0(VALU_DEP_1)
	s_and_b32 vcc_lo, exec_lo, s0
	s_cbranch_vccnz .LBB1398_32
; %bb.26:
	v_mul_lo_u32 v10, v2, s4
	v_mul_lo_u32 v11, v1, s5
	v_mad_u64_u32 v[5:6], null, v1, s4, 0
	s_waitcnt lgkmcnt(0)
	v_mul_lo_u32 v4, v4, s4
	v_mul_lo_u32 v12, v3, s5
	v_mad_u64_u32 v[7:8], null, v3, s4, 0
	s_mov_b32 s0, -1
	s_mov_b32 s15, exec_lo
	s_delay_alu instid0(VALU_DEP_4) | instskip(NEXT) | instid1(VALU_DEP_2)
	v_add3_u32 v6, v6, v11, v10
	v_add3_u32 v8, v8, v12, v4
	s_delay_alu instid0(VALU_DEP_2) | instskip(NEXT) | instid1(VALU_DEP_2)
	v_lshlrev_b64 v[3:4], 1, v[5:6]
	v_lshlrev_b64 v[7:8], 1, v[7:8]
	s_delay_alu instid0(VALU_DEP_2) | instskip(NEXT) | instid1(VALU_DEP_3)
	v_add_co_u32 v5, vcc_lo, s6, v3
	v_add_co_ci_u32_e32 v6, vcc_lo, s7, v4, vcc_lo
	s_delay_alu instid0(VALU_DEP_3) | instskip(NEXT) | instid1(VALU_DEP_4)
	v_add_co_u32 v3, vcc_lo, s6, v7
	v_add_co_ci_u32_e32 v4, vcc_lo, s7, v8, vcc_lo
	s_clause 0x1
	global_load_u16 v7, v[5:6], off
	global_load_u16 v8, v[3:4], off
	s_waitcnt vmcnt(0)
	v_cmpx_eq_u16_e64 v7, v8
	s_cbranch_execz .LBB1398_34
; %bb.27:
	v_add_co_u32 v3, vcc_lo, v3, 2
	v_add_co_ci_u32_e32 v4, vcc_lo, 0, v4, vcc_lo
	v_add_co_u32 v5, vcc_lo, v5, 2
	v_add_co_ci_u32_e32 v6, vcc_lo, 0, v6, vcc_lo
	s_add_u32 s18, s4, -1
	s_addc_u32 s19, s5, -1
	s_mov_b64 s[20:21], 0
	s_mov_b32 s22, 0
                                        ; implicit-def: $sgpr23
	s_set_inst_prefetch_distance 0x1
	s_branch .LBB1398_30
	.p2align	6
.LBB1398_28:                            ;   in Loop: Header=BB1398_30 Depth=1
	global_load_u16 v7, v[5:6], off
	global_load_u16 v8, v[3:4], off
	v_add_co_u32 v3, vcc_lo, v3, 2
	v_add_co_ci_u32_e32 v4, vcc_lo, 0, v4, vcc_lo
	v_add_co_u32 v5, s0, v5, 2
	s_delay_alu instid0(VALU_DEP_1)
	v_add_co_ci_u32_e64 v6, s0, 0, v6, s0
	s_add_u32 s20, s20, 1
	s_addc_u32 s21, s21, 0
	s_and_not1_b32 s0, s23, exec_lo
	s_waitcnt vmcnt(0)
	v_cmp_ne_u16_e32 vcc_lo, v7, v8
	s_and_b32 s23, vcc_lo, exec_lo
	s_delay_alu instid0(SALU_CYCLE_1)
	s_or_b32 s23, s0, s23
.LBB1398_29:                            ;   in Loop: Header=BB1398_30 Depth=1
	v_dual_mov_b32 v7, s20 :: v_dual_mov_b32 v8, s21
	s_and_b32 s0, exec_lo, s23
	s_delay_alu instid0(SALU_CYCLE_1) | instskip(NEXT) | instid1(SALU_CYCLE_1)
	s_or_b32 s22, s0, s22
	s_and_not1_b32 exec_lo, exec_lo, s22
	s_cbranch_execz .LBB1398_33
.LBB1398_30:                            ; =>This Inner Loop Header: Depth=1
	s_or_b32 s23, s23, exec_lo
	s_cmp_eq_u64 s[18:19], s[20:21]
	s_cbranch_scc0 .LBB1398_28
; %bb.31:                               ;   in Loop: Header=BB1398_30 Depth=1
	s_mov_b64 s[20:21], s[4:5]
                                        ; implicit-def: $vgpr3_vgpr4
                                        ; implicit-def: $vgpr5_vgpr6
	s_branch .LBB1398_29
.LBB1398_32:
	s_mov_b32 s0, 0
	s_branch .LBB1398_35
.LBB1398_33:
	s_set_inst_prefetch_distance 0x2
	s_or_b32 exec_lo, exec_lo, s22
	v_cmp_gt_i64_e32 vcc_lo, s[4:5], v[7:8]
	s_or_not1_b32 s0, vcc_lo, exec_lo
.LBB1398_34:
	s_or_b32 exec_lo, exec_lo, s15
.LBB1398_35:
	s_delay_alu instid0(SALU_CYCLE_1)
	s_and_b32 s0, s0, exec_lo
	s_or_b32 s3, s3, exec_lo
.LBB1398_36:
	s_or_b32 exec_lo, exec_lo, s11
.LBB1398_37:
	s_branch .LBB1398_65
.LBB1398_38:
	s_cmp_lg_u64 s[16:17], 1
	s_cbranch_scc0 .LBB1398_47
; %bb.39:
	s_mov_b32 s11, 0
	s_mov_b32 s15, exec_lo
	ds_store_b64 v9, v[1:2]
	s_waitcnt lgkmcnt(0)
	s_barrier
	buffer_gl0_inv
                                        ; implicit-def: $sgpr0
	v_cmpx_ne_u32_e32 0, v0
	s_cbranch_execz .LBB1398_48
; %bb.40:
	v_cmp_lt_i64_e64 s0, s[4:5], 1
	s_delay_alu instid0(VALU_DEP_1)
	s_and_b32 vcc_lo, exec_lo, s0
	s_cbranch_vccnz .LBB1398_49
; %bb.41:
	v_add_nc_u32_e32 v3, -8, v9
	v_mul_lo_u32 v10, v2, s4
	v_mul_lo_u32 v11, v1, s5
	v_mad_u64_u32 v[5:6], null, v1, s4, 0
	ds_load_b64 v[3:4], v3
	s_mov_b32 s0, -1
	s_mov_b32 s20, exec_lo
	v_add3_u32 v6, v6, v11, v10
	s_waitcnt lgkmcnt(0)
	v_mul_lo_u32 v4, v4, s4
	v_mul_lo_u32 v12, v3, s5
	v_mad_u64_u32 v[7:8], null, v3, s4, 0
	s_delay_alu instid0(VALU_DEP_1) | instskip(SKIP_1) | instid1(VALU_DEP_2)
	v_add3_u32 v8, v8, v12, v4
	v_lshlrev_b64 v[3:4], 1, v[5:6]
	v_lshlrev_b64 v[7:8], 1, v[7:8]
	s_delay_alu instid0(VALU_DEP_2) | instskip(NEXT) | instid1(VALU_DEP_3)
	v_add_co_u32 v5, vcc_lo, s6, v3
	v_add_co_ci_u32_e32 v6, vcc_lo, s7, v4, vcc_lo
	s_delay_alu instid0(VALU_DEP_3) | instskip(NEXT) | instid1(VALU_DEP_4)
	v_add_co_u32 v3, vcc_lo, s6, v7
	v_add_co_ci_u32_e32 v4, vcc_lo, s7, v8, vcc_lo
	s_clause 0x1
	global_load_u16 v7, v[5:6], off
	global_load_u16 v8, v[3:4], off
	s_waitcnt vmcnt(0)
	v_cmpx_eq_u16_e64 v7, v8
	s_cbranch_execz .LBB1398_51
; %bb.42:
	v_add_co_u32 v3, vcc_lo, v3, 2
	v_add_co_ci_u32_e32 v4, vcc_lo, 0, v4, vcc_lo
	v_add_co_u32 v5, vcc_lo, v5, 2
	v_add_co_ci_u32_e32 v6, vcc_lo, 0, v6, vcc_lo
	s_add_u32 s16, s4, -1
	s_addc_u32 s17, s5, -1
	s_mov_b64 s[18:19], 0
	s_mov_b32 s21, 0
                                        ; implicit-def: $sgpr22
	s_set_inst_prefetch_distance 0x1
	s_branch .LBB1398_45
	.p2align	6
.LBB1398_43:                            ;   in Loop: Header=BB1398_45 Depth=1
	global_load_u16 v7, v[5:6], off
	global_load_u16 v8, v[3:4], off
	v_add_co_u32 v3, vcc_lo, v3, 2
	v_add_co_ci_u32_e32 v4, vcc_lo, 0, v4, vcc_lo
	v_add_co_u32 v5, s0, v5, 2
	s_delay_alu instid0(VALU_DEP_1)
	v_add_co_ci_u32_e64 v6, s0, 0, v6, s0
	s_add_u32 s18, s18, 1
	s_addc_u32 s19, s19, 0
	s_and_not1_b32 s0, s22, exec_lo
	s_waitcnt vmcnt(0)
	v_cmp_ne_u16_e32 vcc_lo, v7, v8
	s_and_b32 s22, vcc_lo, exec_lo
	s_delay_alu instid0(SALU_CYCLE_1)
	s_or_b32 s22, s0, s22
.LBB1398_44:                            ;   in Loop: Header=BB1398_45 Depth=1
	v_dual_mov_b32 v7, s18 :: v_dual_mov_b32 v8, s19
	s_and_b32 s0, exec_lo, s22
	s_delay_alu instid0(SALU_CYCLE_1) | instskip(NEXT) | instid1(SALU_CYCLE_1)
	s_or_b32 s21, s0, s21
	s_and_not1_b32 exec_lo, exec_lo, s21
	s_cbranch_execz .LBB1398_50
.LBB1398_45:                            ; =>This Inner Loop Header: Depth=1
	s_or_b32 s22, s22, exec_lo
	s_cmp_eq_u64 s[16:17], s[18:19]
	s_cbranch_scc0 .LBB1398_43
; %bb.46:                               ;   in Loop: Header=BB1398_45 Depth=1
	s_mov_b64 s[18:19], s[4:5]
                                        ; implicit-def: $vgpr3_vgpr4
                                        ; implicit-def: $vgpr5_vgpr6
	s_branch .LBB1398_44
.LBB1398_47:
                                        ; implicit-def: $sgpr0
	s_cbranch_execnz .LBB1398_53
	s_branch .LBB1398_65
.LBB1398_48:
	s_or_b32 exec_lo, exec_lo, s15
	s_delay_alu instid0(SALU_CYCLE_1)
	s_and_b32 vcc_lo, exec_lo, s11
	s_cbranch_vccnz .LBB1398_53
	s_branch .LBB1398_65
.LBB1398_49:
	s_mov_b32 s0, 0
	s_branch .LBB1398_52
.LBB1398_50:
	s_set_inst_prefetch_distance 0x2
	s_or_b32 exec_lo, exec_lo, s21
	v_cmp_gt_i64_e32 vcc_lo, s[4:5], v[7:8]
	s_or_not1_b32 s0, vcc_lo, exec_lo
.LBB1398_51:
	s_or_b32 exec_lo, exec_lo, s20
.LBB1398_52:
	s_delay_alu instid0(SALU_CYCLE_1) | instskip(SKIP_2) | instid1(SALU_CYCLE_1)
	s_and_b32 s0, s0, exec_lo
	s_or_b32 s3, s3, exec_lo
	s_or_b32 exec_lo, exec_lo, s15
	s_and_b32 vcc_lo, exec_lo, s11
	s_cbranch_vccz .LBB1398_65
.LBB1398_53:
	v_cmp_ne_u32_e32 vcc_lo, 0, v0
	v_cmp_gt_u32_e64 s0, s10, v0
	s_mov_b32 s16, 0
	ds_store_b64 v9, v[1:2]
	s_waitcnt lgkmcnt(0)
	s_barrier
	s_and_b32 s15, vcc_lo, s0
	buffer_gl0_inv
                                        ; implicit-def: $sgpr0
	s_and_saveexec_b32 s11, s15
	s_cbranch_execz .LBB1398_64
; %bb.54:
	v_cmp_lt_i64_e64 s0, s[4:5], 1
	s_delay_alu instid0(VALU_DEP_1)
	s_and_b32 vcc_lo, exec_lo, s0
	s_cbranch_vccnz .LBB1398_63
; %bb.55:
	v_add_nc_u32_e32 v3, -8, v9
	v_mul_lo_u32 v7, v2, s4
	v_mul_lo_u32 v8, v1, s5
	v_mad_u64_u32 v[5:6], null, v1, s4, 0
	ds_load_b64 v[3:4], v3
	s_mov_b32 s16, -1
	s_mov_b32 s15, exec_lo
	v_add3_u32 v6, v6, v8, v7
	s_waitcnt lgkmcnt(0)
	v_mul_lo_u32 v4, v4, s4
	v_mul_lo_u32 v10, v3, s5
	v_mad_u64_u32 v[1:2], null, v3, s4, 0
	s_delay_alu instid0(VALU_DEP_1) | instskip(SKIP_1) | instid1(VALU_DEP_2)
	v_add3_u32 v2, v2, v10, v4
	v_lshlrev_b64 v[3:4], 1, v[5:6]
	v_lshlrev_b64 v[1:2], 1, v[1:2]
	s_delay_alu instid0(VALU_DEP_2) | instskip(NEXT) | instid1(VALU_DEP_3)
	v_add_co_u32 v3, vcc_lo, s6, v3
	v_add_co_ci_u32_e32 v4, vcc_lo, s7, v4, vcc_lo
	s_delay_alu instid0(VALU_DEP_3) | instskip(NEXT) | instid1(VALU_DEP_4)
	v_add_co_u32 v1, vcc_lo, s6, v1
	v_add_co_ci_u32_e32 v2, vcc_lo, s7, v2, vcc_lo
	s_clause 0x1
	global_load_u16 v5, v[3:4], off
	global_load_u16 v6, v[1:2], off
	s_waitcnt vmcnt(0)
	v_cmpx_eq_u16_e64 v5, v6
	s_cbranch_execz .LBB1398_62
; %bb.56:
	v_add_co_u32 v1, vcc_lo, v1, 2
	v_add_co_ci_u32_e32 v2, vcc_lo, 0, v2, vcc_lo
	v_add_co_u32 v3, vcc_lo, v3, 2
	v_add_co_ci_u32_e32 v4, vcc_lo, 0, v4, vcc_lo
	s_add_u32 s6, s4, -1
	s_addc_u32 s7, s5, -1
	s_mov_b64 s[16:17], 0
	s_mov_b32 s18, 0
                                        ; implicit-def: $sgpr19
	s_set_inst_prefetch_distance 0x1
	s_branch .LBB1398_59
	.p2align	6
.LBB1398_57:                            ;   in Loop: Header=BB1398_59 Depth=1
	global_load_u16 v5, v[3:4], off
	global_load_u16 v6, v[1:2], off
	v_add_co_u32 v1, vcc_lo, v1, 2
	v_add_co_ci_u32_e32 v2, vcc_lo, 0, v2, vcc_lo
	v_add_co_u32 v3, s0, v3, 2
	s_delay_alu instid0(VALU_DEP_1)
	v_add_co_ci_u32_e64 v4, s0, 0, v4, s0
	s_add_u32 s16, s16, 1
	s_addc_u32 s17, s17, 0
	s_and_not1_b32 s0, s19, exec_lo
	s_waitcnt vmcnt(0)
	v_cmp_ne_u16_e32 vcc_lo, v5, v6
	s_and_b32 s19, vcc_lo, exec_lo
	s_delay_alu instid0(SALU_CYCLE_1)
	s_or_b32 s19, s0, s19
.LBB1398_58:                            ;   in Loop: Header=BB1398_59 Depth=1
	v_dual_mov_b32 v5, s16 :: v_dual_mov_b32 v6, s17
	s_and_b32 s0, exec_lo, s19
	s_delay_alu instid0(SALU_CYCLE_1) | instskip(NEXT) | instid1(SALU_CYCLE_1)
	s_or_b32 s18, s0, s18
	s_and_not1_b32 exec_lo, exec_lo, s18
	s_cbranch_execz .LBB1398_61
.LBB1398_59:                            ; =>This Inner Loop Header: Depth=1
	s_or_b32 s19, s19, exec_lo
	s_cmp_eq_u64 s[6:7], s[16:17]
	s_cbranch_scc0 .LBB1398_57
; %bb.60:                               ;   in Loop: Header=BB1398_59 Depth=1
	s_mov_b64 s[16:17], s[4:5]
                                        ; implicit-def: $vgpr1_vgpr2
                                        ; implicit-def: $vgpr3_vgpr4
	s_branch .LBB1398_58
.LBB1398_61:
	s_set_inst_prefetch_distance 0x2
	s_or_b32 exec_lo, exec_lo, s18
	v_cmp_gt_i64_e32 vcc_lo, s[4:5], v[5:6]
	s_or_not1_b32 s16, vcc_lo, exec_lo
.LBB1398_62:
	s_or_b32 exec_lo, exec_lo, s15
.LBB1398_63:
	s_delay_alu instid0(SALU_CYCLE_1)
	s_and_b32 s0, s16, exec_lo
	s_or_b32 s3, s3, exec_lo
                                        ; implicit-def: $vgpr1_vgpr2
.LBB1398_64:
	s_or_b32 exec_lo, exec_lo, s11
.LBB1398_65:
	s_and_saveexec_b32 s4, s3
; %bb.66:
	s_mov_b32 s3, 0
	v_cndmask_b32_e64 v1, 0, 1, s0
	v_mov_b32_e32 v2, s3
; %bb.67:
	s_or_b32 exec_lo, exec_lo, s4
	s_add_u32 s0, s8, s12
	s_addc_u32 s4, s9, s13
	s_and_b32 vcc_lo, exec_lo, s1
	s_mov_b32 s1, -1
	s_waitcnt lgkmcnt(0)
	s_barrier
	buffer_gl0_inv
	s_cbranch_vccnz .LBB1398_70
; %bb.68:
	s_and_not1_b32 vcc_lo, exec_lo, s1
	s_cbranch_vccz .LBB1398_73
.LBB1398_69:
	s_nop 0
	s_sendmsg sendmsg(MSG_DEALLOC_VGPRS)
	s_endpgm
.LBB1398_70:
	s_lshl_b32 s1, s14, 9
	ds_store_b64 v9, v[1:2]
	s_sub_i32 s1, s10, s1
	s_waitcnt lgkmcnt(0)
	v_cmp_gt_u32_e32 vcc_lo, s1, v0
	s_barrier
	buffer_gl0_inv
	s_and_saveexec_b32 s1, vcc_lo
	s_cbranch_execz .LBB1398_72
; %bb.71:
	ds_load_b64 v[3:4], v9
	s_mov_b32 s3, 0
	s_delay_alu instid0(SALU_CYCLE_1) | instskip(NEXT) | instid1(SALU_CYCLE_1)
	s_lshl_b64 s[6:7], s[2:3], 3
	s_add_u32 s6, s0, s6
	s_addc_u32 s7, s4, s7
	s_waitcnt lgkmcnt(0)
	global_store_b64 v9, v[3:4], s[6:7]
.LBB1398_72:
	s_or_b32 exec_lo, exec_lo, s1
	s_cbranch_execnz .LBB1398_69
.LBB1398_73:
	ds_store_b64 v9, v[1:2]
	s_waitcnt lgkmcnt(0)
	s_waitcnt_vscnt null, 0x0
	s_barrier
	buffer_gl0_inv
	ds_load_b64 v[0:1], v9
	s_mov_b32 s3, 0
	s_delay_alu instid0(SALU_CYCLE_1) | instskip(NEXT) | instid1(SALU_CYCLE_1)
	s_lshl_b64 s[2:3], s[2:3], 3
	s_add_u32 s0, s0, s2
	s_addc_u32 s1, s4, s3
	s_waitcnt lgkmcnt(0)
	global_store_b64 v9, v[0:1], s[0:1]
	s_nop 0
	s_sendmsg sendmsg(MSG_DEALLOC_VGPRS)
	s_endpgm
	.section	.rodata,"a",@progbits
	.p2align	6, 0x0
	.amdhsa_kernel _ZN7rocprim17ROCPRIM_400000_NS6detail17trampoline_kernelINS0_14default_configENS1_35adjacent_difference_config_selectorILb0ElEEZNS1_24adjacent_difference_implIS3_Lb0ELb0EPlS7_ZN2at6native12_GLOBAL__N_124unique_dim_cuda_templateItEESt5tupleIJNS8_6TensorESD_SD_EERKSD_lbbbEUlllE1_EE10hipError_tPvRmT2_T3_mT4_P12ihipStream_tbEUlT_E_NS1_11comp_targetILNS1_3genE9ELNS1_11target_archE1100ELNS1_3gpuE3ELNS1_3repE0EEENS1_30default_config_static_selectorELNS0_4arch9wavefront6targetE0EEEvT1_
		.amdhsa_group_segment_fixed_size 8192
		.amdhsa_private_segment_fixed_size 0
		.amdhsa_kernarg_size 64
		.amdhsa_user_sgpr_count 15
		.amdhsa_user_sgpr_dispatch_ptr 0
		.amdhsa_user_sgpr_queue_ptr 0
		.amdhsa_user_sgpr_kernarg_segment_ptr 1
		.amdhsa_user_sgpr_dispatch_id 0
		.amdhsa_user_sgpr_private_segment_size 0
		.amdhsa_wavefront_size32 1
		.amdhsa_uses_dynamic_stack 0
		.amdhsa_enable_private_segment 0
		.amdhsa_system_sgpr_workgroup_id_x 1
		.amdhsa_system_sgpr_workgroup_id_y 0
		.amdhsa_system_sgpr_workgroup_id_z 0
		.amdhsa_system_sgpr_workgroup_info 0
		.amdhsa_system_vgpr_workitem_id 0
		.amdhsa_next_free_vgpr 13
		.amdhsa_next_free_sgpr 26
		.amdhsa_reserve_vcc 1
		.amdhsa_float_round_mode_32 0
		.amdhsa_float_round_mode_16_64 0
		.amdhsa_float_denorm_mode_32 3
		.amdhsa_float_denorm_mode_16_64 3
		.amdhsa_dx10_clamp 1
		.amdhsa_ieee_mode 1
		.amdhsa_fp16_overflow 0
		.amdhsa_workgroup_processor_mode 1
		.amdhsa_memory_ordered 1
		.amdhsa_forward_progress 0
		.amdhsa_shared_vgpr_count 0
		.amdhsa_exception_fp_ieee_invalid_op 0
		.amdhsa_exception_fp_denorm_src 0
		.amdhsa_exception_fp_ieee_div_zero 0
		.amdhsa_exception_fp_ieee_overflow 0
		.amdhsa_exception_fp_ieee_underflow 0
		.amdhsa_exception_fp_ieee_inexact 0
		.amdhsa_exception_int_div_zero 0
	.end_amdhsa_kernel
	.section	.text._ZN7rocprim17ROCPRIM_400000_NS6detail17trampoline_kernelINS0_14default_configENS1_35adjacent_difference_config_selectorILb0ElEEZNS1_24adjacent_difference_implIS3_Lb0ELb0EPlS7_ZN2at6native12_GLOBAL__N_124unique_dim_cuda_templateItEESt5tupleIJNS8_6TensorESD_SD_EERKSD_lbbbEUlllE1_EE10hipError_tPvRmT2_T3_mT4_P12ihipStream_tbEUlT_E_NS1_11comp_targetILNS1_3genE9ELNS1_11target_archE1100ELNS1_3gpuE3ELNS1_3repE0EEENS1_30default_config_static_selectorELNS0_4arch9wavefront6targetE0EEEvT1_,"axG",@progbits,_ZN7rocprim17ROCPRIM_400000_NS6detail17trampoline_kernelINS0_14default_configENS1_35adjacent_difference_config_selectorILb0ElEEZNS1_24adjacent_difference_implIS3_Lb0ELb0EPlS7_ZN2at6native12_GLOBAL__N_124unique_dim_cuda_templateItEESt5tupleIJNS8_6TensorESD_SD_EERKSD_lbbbEUlllE1_EE10hipError_tPvRmT2_T3_mT4_P12ihipStream_tbEUlT_E_NS1_11comp_targetILNS1_3genE9ELNS1_11target_archE1100ELNS1_3gpuE3ELNS1_3repE0EEENS1_30default_config_static_selectorELNS0_4arch9wavefront6targetE0EEEvT1_,comdat
.Lfunc_end1398:
	.size	_ZN7rocprim17ROCPRIM_400000_NS6detail17trampoline_kernelINS0_14default_configENS1_35adjacent_difference_config_selectorILb0ElEEZNS1_24adjacent_difference_implIS3_Lb0ELb0EPlS7_ZN2at6native12_GLOBAL__N_124unique_dim_cuda_templateItEESt5tupleIJNS8_6TensorESD_SD_EERKSD_lbbbEUlllE1_EE10hipError_tPvRmT2_T3_mT4_P12ihipStream_tbEUlT_E_NS1_11comp_targetILNS1_3genE9ELNS1_11target_archE1100ELNS1_3gpuE3ELNS1_3repE0EEENS1_30default_config_static_selectorELNS0_4arch9wavefront6targetE0EEEvT1_, .Lfunc_end1398-_ZN7rocprim17ROCPRIM_400000_NS6detail17trampoline_kernelINS0_14default_configENS1_35adjacent_difference_config_selectorILb0ElEEZNS1_24adjacent_difference_implIS3_Lb0ELb0EPlS7_ZN2at6native12_GLOBAL__N_124unique_dim_cuda_templateItEESt5tupleIJNS8_6TensorESD_SD_EERKSD_lbbbEUlllE1_EE10hipError_tPvRmT2_T3_mT4_P12ihipStream_tbEUlT_E_NS1_11comp_targetILNS1_3genE9ELNS1_11target_archE1100ELNS1_3gpuE3ELNS1_3repE0EEENS1_30default_config_static_selectorELNS0_4arch9wavefront6targetE0EEEvT1_
                                        ; -- End function
	.section	.AMDGPU.csdata,"",@progbits
; Kernel info:
; codeLenInByte = 2572
; NumSgprs: 28
; NumVgprs: 13
; ScratchSize: 0
; MemoryBound: 0
; FloatMode: 240
; IeeeMode: 1
; LDSByteSize: 8192 bytes/workgroup (compile time only)
; SGPRBlocks: 3
; VGPRBlocks: 1
; NumSGPRsForWavesPerEU: 28
; NumVGPRsForWavesPerEU: 13
; Occupancy: 16
; WaveLimiterHint : 0
; COMPUTE_PGM_RSRC2:SCRATCH_EN: 0
; COMPUTE_PGM_RSRC2:USER_SGPR: 15
; COMPUTE_PGM_RSRC2:TRAP_HANDLER: 0
; COMPUTE_PGM_RSRC2:TGID_X_EN: 1
; COMPUTE_PGM_RSRC2:TGID_Y_EN: 0
; COMPUTE_PGM_RSRC2:TGID_Z_EN: 0
; COMPUTE_PGM_RSRC2:TIDIG_COMP_CNT: 0
	.section	.text._ZN7rocprim17ROCPRIM_400000_NS6detail17trampoline_kernelINS0_14default_configENS1_35adjacent_difference_config_selectorILb0ElEEZNS1_24adjacent_difference_implIS3_Lb0ELb0EPlS7_ZN2at6native12_GLOBAL__N_124unique_dim_cuda_templateItEESt5tupleIJNS8_6TensorESD_SD_EERKSD_lbbbEUlllE1_EE10hipError_tPvRmT2_T3_mT4_P12ihipStream_tbEUlT_E_NS1_11comp_targetILNS1_3genE8ELNS1_11target_archE1030ELNS1_3gpuE2ELNS1_3repE0EEENS1_30default_config_static_selectorELNS0_4arch9wavefront6targetE0EEEvT1_,"axG",@progbits,_ZN7rocprim17ROCPRIM_400000_NS6detail17trampoline_kernelINS0_14default_configENS1_35adjacent_difference_config_selectorILb0ElEEZNS1_24adjacent_difference_implIS3_Lb0ELb0EPlS7_ZN2at6native12_GLOBAL__N_124unique_dim_cuda_templateItEESt5tupleIJNS8_6TensorESD_SD_EERKSD_lbbbEUlllE1_EE10hipError_tPvRmT2_T3_mT4_P12ihipStream_tbEUlT_E_NS1_11comp_targetILNS1_3genE8ELNS1_11target_archE1030ELNS1_3gpuE2ELNS1_3repE0EEENS1_30default_config_static_selectorELNS0_4arch9wavefront6targetE0EEEvT1_,comdat
	.globl	_ZN7rocprim17ROCPRIM_400000_NS6detail17trampoline_kernelINS0_14default_configENS1_35adjacent_difference_config_selectorILb0ElEEZNS1_24adjacent_difference_implIS3_Lb0ELb0EPlS7_ZN2at6native12_GLOBAL__N_124unique_dim_cuda_templateItEESt5tupleIJNS8_6TensorESD_SD_EERKSD_lbbbEUlllE1_EE10hipError_tPvRmT2_T3_mT4_P12ihipStream_tbEUlT_E_NS1_11comp_targetILNS1_3genE8ELNS1_11target_archE1030ELNS1_3gpuE2ELNS1_3repE0EEENS1_30default_config_static_selectorELNS0_4arch9wavefront6targetE0EEEvT1_ ; -- Begin function _ZN7rocprim17ROCPRIM_400000_NS6detail17trampoline_kernelINS0_14default_configENS1_35adjacent_difference_config_selectorILb0ElEEZNS1_24adjacent_difference_implIS3_Lb0ELb0EPlS7_ZN2at6native12_GLOBAL__N_124unique_dim_cuda_templateItEESt5tupleIJNS8_6TensorESD_SD_EERKSD_lbbbEUlllE1_EE10hipError_tPvRmT2_T3_mT4_P12ihipStream_tbEUlT_E_NS1_11comp_targetILNS1_3genE8ELNS1_11target_archE1030ELNS1_3gpuE2ELNS1_3repE0EEENS1_30default_config_static_selectorELNS0_4arch9wavefront6targetE0EEEvT1_
	.p2align	8
	.type	_ZN7rocprim17ROCPRIM_400000_NS6detail17trampoline_kernelINS0_14default_configENS1_35adjacent_difference_config_selectorILb0ElEEZNS1_24adjacent_difference_implIS3_Lb0ELb0EPlS7_ZN2at6native12_GLOBAL__N_124unique_dim_cuda_templateItEESt5tupleIJNS8_6TensorESD_SD_EERKSD_lbbbEUlllE1_EE10hipError_tPvRmT2_T3_mT4_P12ihipStream_tbEUlT_E_NS1_11comp_targetILNS1_3genE8ELNS1_11target_archE1030ELNS1_3gpuE2ELNS1_3repE0EEENS1_30default_config_static_selectorELNS0_4arch9wavefront6targetE0EEEvT1_,@function
_ZN7rocprim17ROCPRIM_400000_NS6detail17trampoline_kernelINS0_14default_configENS1_35adjacent_difference_config_selectorILb0ElEEZNS1_24adjacent_difference_implIS3_Lb0ELb0EPlS7_ZN2at6native12_GLOBAL__N_124unique_dim_cuda_templateItEESt5tupleIJNS8_6TensorESD_SD_EERKSD_lbbbEUlllE1_EE10hipError_tPvRmT2_T3_mT4_P12ihipStream_tbEUlT_E_NS1_11comp_targetILNS1_3genE8ELNS1_11target_archE1030ELNS1_3gpuE2ELNS1_3repE0EEENS1_30default_config_static_selectorELNS0_4arch9wavefront6targetE0EEEvT1_: ; @_ZN7rocprim17ROCPRIM_400000_NS6detail17trampoline_kernelINS0_14default_configENS1_35adjacent_difference_config_selectorILb0ElEEZNS1_24adjacent_difference_implIS3_Lb0ELb0EPlS7_ZN2at6native12_GLOBAL__N_124unique_dim_cuda_templateItEESt5tupleIJNS8_6TensorESD_SD_EERKSD_lbbbEUlllE1_EE10hipError_tPvRmT2_T3_mT4_P12ihipStream_tbEUlT_E_NS1_11comp_targetILNS1_3genE8ELNS1_11target_archE1030ELNS1_3gpuE2ELNS1_3repE0EEENS1_30default_config_static_selectorELNS0_4arch9wavefront6targetE0EEEvT1_
; %bb.0:
	.section	.rodata,"a",@progbits
	.p2align	6, 0x0
	.amdhsa_kernel _ZN7rocprim17ROCPRIM_400000_NS6detail17trampoline_kernelINS0_14default_configENS1_35adjacent_difference_config_selectorILb0ElEEZNS1_24adjacent_difference_implIS3_Lb0ELb0EPlS7_ZN2at6native12_GLOBAL__N_124unique_dim_cuda_templateItEESt5tupleIJNS8_6TensorESD_SD_EERKSD_lbbbEUlllE1_EE10hipError_tPvRmT2_T3_mT4_P12ihipStream_tbEUlT_E_NS1_11comp_targetILNS1_3genE8ELNS1_11target_archE1030ELNS1_3gpuE2ELNS1_3repE0EEENS1_30default_config_static_selectorELNS0_4arch9wavefront6targetE0EEEvT1_
		.amdhsa_group_segment_fixed_size 0
		.amdhsa_private_segment_fixed_size 0
		.amdhsa_kernarg_size 64
		.amdhsa_user_sgpr_count 15
		.amdhsa_user_sgpr_dispatch_ptr 0
		.amdhsa_user_sgpr_queue_ptr 0
		.amdhsa_user_sgpr_kernarg_segment_ptr 1
		.amdhsa_user_sgpr_dispatch_id 0
		.amdhsa_user_sgpr_private_segment_size 0
		.amdhsa_wavefront_size32 1
		.amdhsa_uses_dynamic_stack 0
		.amdhsa_enable_private_segment 0
		.amdhsa_system_sgpr_workgroup_id_x 1
		.amdhsa_system_sgpr_workgroup_id_y 0
		.amdhsa_system_sgpr_workgroup_id_z 0
		.amdhsa_system_sgpr_workgroup_info 0
		.amdhsa_system_vgpr_workitem_id 0
		.amdhsa_next_free_vgpr 1
		.amdhsa_next_free_sgpr 1
		.amdhsa_reserve_vcc 0
		.amdhsa_float_round_mode_32 0
		.amdhsa_float_round_mode_16_64 0
		.amdhsa_float_denorm_mode_32 3
		.amdhsa_float_denorm_mode_16_64 3
		.amdhsa_dx10_clamp 1
		.amdhsa_ieee_mode 1
		.amdhsa_fp16_overflow 0
		.amdhsa_workgroup_processor_mode 1
		.amdhsa_memory_ordered 1
		.amdhsa_forward_progress 0
		.amdhsa_shared_vgpr_count 0
		.amdhsa_exception_fp_ieee_invalid_op 0
		.amdhsa_exception_fp_denorm_src 0
		.amdhsa_exception_fp_ieee_div_zero 0
		.amdhsa_exception_fp_ieee_overflow 0
		.amdhsa_exception_fp_ieee_underflow 0
		.amdhsa_exception_fp_ieee_inexact 0
		.amdhsa_exception_int_div_zero 0
	.end_amdhsa_kernel
	.section	.text._ZN7rocprim17ROCPRIM_400000_NS6detail17trampoline_kernelINS0_14default_configENS1_35adjacent_difference_config_selectorILb0ElEEZNS1_24adjacent_difference_implIS3_Lb0ELb0EPlS7_ZN2at6native12_GLOBAL__N_124unique_dim_cuda_templateItEESt5tupleIJNS8_6TensorESD_SD_EERKSD_lbbbEUlllE1_EE10hipError_tPvRmT2_T3_mT4_P12ihipStream_tbEUlT_E_NS1_11comp_targetILNS1_3genE8ELNS1_11target_archE1030ELNS1_3gpuE2ELNS1_3repE0EEENS1_30default_config_static_selectorELNS0_4arch9wavefront6targetE0EEEvT1_,"axG",@progbits,_ZN7rocprim17ROCPRIM_400000_NS6detail17trampoline_kernelINS0_14default_configENS1_35adjacent_difference_config_selectorILb0ElEEZNS1_24adjacent_difference_implIS3_Lb0ELb0EPlS7_ZN2at6native12_GLOBAL__N_124unique_dim_cuda_templateItEESt5tupleIJNS8_6TensorESD_SD_EERKSD_lbbbEUlllE1_EE10hipError_tPvRmT2_T3_mT4_P12ihipStream_tbEUlT_E_NS1_11comp_targetILNS1_3genE8ELNS1_11target_archE1030ELNS1_3gpuE2ELNS1_3repE0EEENS1_30default_config_static_selectorELNS0_4arch9wavefront6targetE0EEEvT1_,comdat
.Lfunc_end1399:
	.size	_ZN7rocprim17ROCPRIM_400000_NS6detail17trampoline_kernelINS0_14default_configENS1_35adjacent_difference_config_selectorILb0ElEEZNS1_24adjacent_difference_implIS3_Lb0ELb0EPlS7_ZN2at6native12_GLOBAL__N_124unique_dim_cuda_templateItEESt5tupleIJNS8_6TensorESD_SD_EERKSD_lbbbEUlllE1_EE10hipError_tPvRmT2_T3_mT4_P12ihipStream_tbEUlT_E_NS1_11comp_targetILNS1_3genE8ELNS1_11target_archE1030ELNS1_3gpuE2ELNS1_3repE0EEENS1_30default_config_static_selectorELNS0_4arch9wavefront6targetE0EEEvT1_, .Lfunc_end1399-_ZN7rocprim17ROCPRIM_400000_NS6detail17trampoline_kernelINS0_14default_configENS1_35adjacent_difference_config_selectorILb0ElEEZNS1_24adjacent_difference_implIS3_Lb0ELb0EPlS7_ZN2at6native12_GLOBAL__N_124unique_dim_cuda_templateItEESt5tupleIJNS8_6TensorESD_SD_EERKSD_lbbbEUlllE1_EE10hipError_tPvRmT2_T3_mT4_P12ihipStream_tbEUlT_E_NS1_11comp_targetILNS1_3genE8ELNS1_11target_archE1030ELNS1_3gpuE2ELNS1_3repE0EEENS1_30default_config_static_selectorELNS0_4arch9wavefront6targetE0EEEvT1_
                                        ; -- End function
	.section	.AMDGPU.csdata,"",@progbits
; Kernel info:
; codeLenInByte = 0
; NumSgprs: 0
; NumVgprs: 0
; ScratchSize: 0
; MemoryBound: 0
; FloatMode: 240
; IeeeMode: 1
; LDSByteSize: 0 bytes/workgroup (compile time only)
; SGPRBlocks: 0
; VGPRBlocks: 0
; NumSGPRsForWavesPerEU: 1
; NumVGPRsForWavesPerEU: 1
; Occupancy: 16
; WaveLimiterHint : 0
; COMPUTE_PGM_RSRC2:SCRATCH_EN: 0
; COMPUTE_PGM_RSRC2:USER_SGPR: 15
; COMPUTE_PGM_RSRC2:TRAP_HANDLER: 0
; COMPUTE_PGM_RSRC2:TGID_X_EN: 1
; COMPUTE_PGM_RSRC2:TGID_Y_EN: 0
; COMPUTE_PGM_RSRC2:TGID_Z_EN: 0
; COMPUTE_PGM_RSRC2:TIDIG_COMP_CNT: 0
	.section	.text._ZN7rocprim17ROCPRIM_400000_NS6detail17trampoline_kernelINS0_14default_configENS1_25transform_config_selectorIlLb0EEEZNS1_14transform_implILb0ES3_S5_NS0_18transform_iteratorINS0_17counting_iteratorImlEEZNS1_24adjacent_difference_implIS3_Lb1ELb0EPlSB_ZN2at6native12_GLOBAL__N_124unique_dim_cuda_templateItEESt5tupleIJNSC_6TensorESH_SH_EERKSH_lbbbEUlllE1_EE10hipError_tPvRmT2_T3_mT4_P12ihipStream_tbEUlmE_lEESB_NS0_8identityIvEEEESM_SP_SQ_mSR_ST_bEUlT_E_NS1_11comp_targetILNS1_3genE0ELNS1_11target_archE4294967295ELNS1_3gpuE0ELNS1_3repE0EEENS1_30default_config_static_selectorELNS0_4arch9wavefront6targetE0EEEvT1_,"axG",@progbits,_ZN7rocprim17ROCPRIM_400000_NS6detail17trampoline_kernelINS0_14default_configENS1_25transform_config_selectorIlLb0EEEZNS1_14transform_implILb0ES3_S5_NS0_18transform_iteratorINS0_17counting_iteratorImlEEZNS1_24adjacent_difference_implIS3_Lb1ELb0EPlSB_ZN2at6native12_GLOBAL__N_124unique_dim_cuda_templateItEESt5tupleIJNSC_6TensorESH_SH_EERKSH_lbbbEUlllE1_EE10hipError_tPvRmT2_T3_mT4_P12ihipStream_tbEUlmE_lEESB_NS0_8identityIvEEEESM_SP_SQ_mSR_ST_bEUlT_E_NS1_11comp_targetILNS1_3genE0ELNS1_11target_archE4294967295ELNS1_3gpuE0ELNS1_3repE0EEENS1_30default_config_static_selectorELNS0_4arch9wavefront6targetE0EEEvT1_,comdat
	.globl	_ZN7rocprim17ROCPRIM_400000_NS6detail17trampoline_kernelINS0_14default_configENS1_25transform_config_selectorIlLb0EEEZNS1_14transform_implILb0ES3_S5_NS0_18transform_iteratorINS0_17counting_iteratorImlEEZNS1_24adjacent_difference_implIS3_Lb1ELb0EPlSB_ZN2at6native12_GLOBAL__N_124unique_dim_cuda_templateItEESt5tupleIJNSC_6TensorESH_SH_EERKSH_lbbbEUlllE1_EE10hipError_tPvRmT2_T3_mT4_P12ihipStream_tbEUlmE_lEESB_NS0_8identityIvEEEESM_SP_SQ_mSR_ST_bEUlT_E_NS1_11comp_targetILNS1_3genE0ELNS1_11target_archE4294967295ELNS1_3gpuE0ELNS1_3repE0EEENS1_30default_config_static_selectorELNS0_4arch9wavefront6targetE0EEEvT1_ ; -- Begin function _ZN7rocprim17ROCPRIM_400000_NS6detail17trampoline_kernelINS0_14default_configENS1_25transform_config_selectorIlLb0EEEZNS1_14transform_implILb0ES3_S5_NS0_18transform_iteratorINS0_17counting_iteratorImlEEZNS1_24adjacent_difference_implIS3_Lb1ELb0EPlSB_ZN2at6native12_GLOBAL__N_124unique_dim_cuda_templateItEESt5tupleIJNSC_6TensorESH_SH_EERKSH_lbbbEUlllE1_EE10hipError_tPvRmT2_T3_mT4_P12ihipStream_tbEUlmE_lEESB_NS0_8identityIvEEEESM_SP_SQ_mSR_ST_bEUlT_E_NS1_11comp_targetILNS1_3genE0ELNS1_11target_archE4294967295ELNS1_3gpuE0ELNS1_3repE0EEENS1_30default_config_static_selectorELNS0_4arch9wavefront6targetE0EEEvT1_
	.p2align	8
	.type	_ZN7rocprim17ROCPRIM_400000_NS6detail17trampoline_kernelINS0_14default_configENS1_25transform_config_selectorIlLb0EEEZNS1_14transform_implILb0ES3_S5_NS0_18transform_iteratorINS0_17counting_iteratorImlEEZNS1_24adjacent_difference_implIS3_Lb1ELb0EPlSB_ZN2at6native12_GLOBAL__N_124unique_dim_cuda_templateItEESt5tupleIJNSC_6TensorESH_SH_EERKSH_lbbbEUlllE1_EE10hipError_tPvRmT2_T3_mT4_P12ihipStream_tbEUlmE_lEESB_NS0_8identityIvEEEESM_SP_SQ_mSR_ST_bEUlT_E_NS1_11comp_targetILNS1_3genE0ELNS1_11target_archE4294967295ELNS1_3gpuE0ELNS1_3repE0EEENS1_30default_config_static_selectorELNS0_4arch9wavefront6targetE0EEEvT1_,@function
_ZN7rocprim17ROCPRIM_400000_NS6detail17trampoline_kernelINS0_14default_configENS1_25transform_config_selectorIlLb0EEEZNS1_14transform_implILb0ES3_S5_NS0_18transform_iteratorINS0_17counting_iteratorImlEEZNS1_24adjacent_difference_implIS3_Lb1ELb0EPlSB_ZN2at6native12_GLOBAL__N_124unique_dim_cuda_templateItEESt5tupleIJNSC_6TensorESH_SH_EERKSH_lbbbEUlllE1_EE10hipError_tPvRmT2_T3_mT4_P12ihipStream_tbEUlmE_lEESB_NS0_8identityIvEEEESM_SP_SQ_mSR_ST_bEUlT_E_NS1_11comp_targetILNS1_3genE0ELNS1_11target_archE4294967295ELNS1_3gpuE0ELNS1_3repE0EEENS1_30default_config_static_selectorELNS0_4arch9wavefront6targetE0EEEvT1_: ; @_ZN7rocprim17ROCPRIM_400000_NS6detail17trampoline_kernelINS0_14default_configENS1_25transform_config_selectorIlLb0EEEZNS1_14transform_implILb0ES3_S5_NS0_18transform_iteratorINS0_17counting_iteratorImlEEZNS1_24adjacent_difference_implIS3_Lb1ELb0EPlSB_ZN2at6native12_GLOBAL__N_124unique_dim_cuda_templateItEESt5tupleIJNSC_6TensorESH_SH_EERKSH_lbbbEUlllE1_EE10hipError_tPvRmT2_T3_mT4_P12ihipStream_tbEUlmE_lEESB_NS0_8identityIvEEEESM_SP_SQ_mSR_ST_bEUlT_E_NS1_11comp_targetILNS1_3genE0ELNS1_11target_archE4294967295ELNS1_3gpuE0ELNS1_3repE0EEENS1_30default_config_static_selectorELNS0_4arch9wavefront6targetE0EEEvT1_
; %bb.0:
	.section	.rodata,"a",@progbits
	.p2align	6, 0x0
	.amdhsa_kernel _ZN7rocprim17ROCPRIM_400000_NS6detail17trampoline_kernelINS0_14default_configENS1_25transform_config_selectorIlLb0EEEZNS1_14transform_implILb0ES3_S5_NS0_18transform_iteratorINS0_17counting_iteratorImlEEZNS1_24adjacent_difference_implIS3_Lb1ELb0EPlSB_ZN2at6native12_GLOBAL__N_124unique_dim_cuda_templateItEESt5tupleIJNSC_6TensorESH_SH_EERKSH_lbbbEUlllE1_EE10hipError_tPvRmT2_T3_mT4_P12ihipStream_tbEUlmE_lEESB_NS0_8identityIvEEEESM_SP_SQ_mSR_ST_bEUlT_E_NS1_11comp_targetILNS1_3genE0ELNS1_11target_archE4294967295ELNS1_3gpuE0ELNS1_3repE0EEENS1_30default_config_static_selectorELNS0_4arch9wavefront6targetE0EEEvT1_
		.amdhsa_group_segment_fixed_size 0
		.amdhsa_private_segment_fixed_size 0
		.amdhsa_kernarg_size 56
		.amdhsa_user_sgpr_count 15
		.amdhsa_user_sgpr_dispatch_ptr 0
		.amdhsa_user_sgpr_queue_ptr 0
		.amdhsa_user_sgpr_kernarg_segment_ptr 1
		.amdhsa_user_sgpr_dispatch_id 0
		.amdhsa_user_sgpr_private_segment_size 0
		.amdhsa_wavefront_size32 1
		.amdhsa_uses_dynamic_stack 0
		.amdhsa_enable_private_segment 0
		.amdhsa_system_sgpr_workgroup_id_x 1
		.amdhsa_system_sgpr_workgroup_id_y 0
		.amdhsa_system_sgpr_workgroup_id_z 0
		.amdhsa_system_sgpr_workgroup_info 0
		.amdhsa_system_vgpr_workitem_id 0
		.amdhsa_next_free_vgpr 1
		.amdhsa_next_free_sgpr 1
		.amdhsa_reserve_vcc 0
		.amdhsa_float_round_mode_32 0
		.amdhsa_float_round_mode_16_64 0
		.amdhsa_float_denorm_mode_32 3
		.amdhsa_float_denorm_mode_16_64 3
		.amdhsa_dx10_clamp 1
		.amdhsa_ieee_mode 1
		.amdhsa_fp16_overflow 0
		.amdhsa_workgroup_processor_mode 1
		.amdhsa_memory_ordered 1
		.amdhsa_forward_progress 0
		.amdhsa_shared_vgpr_count 0
		.amdhsa_exception_fp_ieee_invalid_op 0
		.amdhsa_exception_fp_denorm_src 0
		.amdhsa_exception_fp_ieee_div_zero 0
		.amdhsa_exception_fp_ieee_overflow 0
		.amdhsa_exception_fp_ieee_underflow 0
		.amdhsa_exception_fp_ieee_inexact 0
		.amdhsa_exception_int_div_zero 0
	.end_amdhsa_kernel
	.section	.text._ZN7rocprim17ROCPRIM_400000_NS6detail17trampoline_kernelINS0_14default_configENS1_25transform_config_selectorIlLb0EEEZNS1_14transform_implILb0ES3_S5_NS0_18transform_iteratorINS0_17counting_iteratorImlEEZNS1_24adjacent_difference_implIS3_Lb1ELb0EPlSB_ZN2at6native12_GLOBAL__N_124unique_dim_cuda_templateItEESt5tupleIJNSC_6TensorESH_SH_EERKSH_lbbbEUlllE1_EE10hipError_tPvRmT2_T3_mT4_P12ihipStream_tbEUlmE_lEESB_NS0_8identityIvEEEESM_SP_SQ_mSR_ST_bEUlT_E_NS1_11comp_targetILNS1_3genE0ELNS1_11target_archE4294967295ELNS1_3gpuE0ELNS1_3repE0EEENS1_30default_config_static_selectorELNS0_4arch9wavefront6targetE0EEEvT1_,"axG",@progbits,_ZN7rocprim17ROCPRIM_400000_NS6detail17trampoline_kernelINS0_14default_configENS1_25transform_config_selectorIlLb0EEEZNS1_14transform_implILb0ES3_S5_NS0_18transform_iteratorINS0_17counting_iteratorImlEEZNS1_24adjacent_difference_implIS3_Lb1ELb0EPlSB_ZN2at6native12_GLOBAL__N_124unique_dim_cuda_templateItEESt5tupleIJNSC_6TensorESH_SH_EERKSH_lbbbEUlllE1_EE10hipError_tPvRmT2_T3_mT4_P12ihipStream_tbEUlmE_lEESB_NS0_8identityIvEEEESM_SP_SQ_mSR_ST_bEUlT_E_NS1_11comp_targetILNS1_3genE0ELNS1_11target_archE4294967295ELNS1_3gpuE0ELNS1_3repE0EEENS1_30default_config_static_selectorELNS0_4arch9wavefront6targetE0EEEvT1_,comdat
.Lfunc_end1400:
	.size	_ZN7rocprim17ROCPRIM_400000_NS6detail17trampoline_kernelINS0_14default_configENS1_25transform_config_selectorIlLb0EEEZNS1_14transform_implILb0ES3_S5_NS0_18transform_iteratorINS0_17counting_iteratorImlEEZNS1_24adjacent_difference_implIS3_Lb1ELb0EPlSB_ZN2at6native12_GLOBAL__N_124unique_dim_cuda_templateItEESt5tupleIJNSC_6TensorESH_SH_EERKSH_lbbbEUlllE1_EE10hipError_tPvRmT2_T3_mT4_P12ihipStream_tbEUlmE_lEESB_NS0_8identityIvEEEESM_SP_SQ_mSR_ST_bEUlT_E_NS1_11comp_targetILNS1_3genE0ELNS1_11target_archE4294967295ELNS1_3gpuE0ELNS1_3repE0EEENS1_30default_config_static_selectorELNS0_4arch9wavefront6targetE0EEEvT1_, .Lfunc_end1400-_ZN7rocprim17ROCPRIM_400000_NS6detail17trampoline_kernelINS0_14default_configENS1_25transform_config_selectorIlLb0EEEZNS1_14transform_implILb0ES3_S5_NS0_18transform_iteratorINS0_17counting_iteratorImlEEZNS1_24adjacent_difference_implIS3_Lb1ELb0EPlSB_ZN2at6native12_GLOBAL__N_124unique_dim_cuda_templateItEESt5tupleIJNSC_6TensorESH_SH_EERKSH_lbbbEUlllE1_EE10hipError_tPvRmT2_T3_mT4_P12ihipStream_tbEUlmE_lEESB_NS0_8identityIvEEEESM_SP_SQ_mSR_ST_bEUlT_E_NS1_11comp_targetILNS1_3genE0ELNS1_11target_archE4294967295ELNS1_3gpuE0ELNS1_3repE0EEENS1_30default_config_static_selectorELNS0_4arch9wavefront6targetE0EEEvT1_
                                        ; -- End function
	.section	.AMDGPU.csdata,"",@progbits
; Kernel info:
; codeLenInByte = 0
; NumSgprs: 0
; NumVgprs: 0
; ScratchSize: 0
; MemoryBound: 0
; FloatMode: 240
; IeeeMode: 1
; LDSByteSize: 0 bytes/workgroup (compile time only)
; SGPRBlocks: 0
; VGPRBlocks: 0
; NumSGPRsForWavesPerEU: 1
; NumVGPRsForWavesPerEU: 1
; Occupancy: 16
; WaveLimiterHint : 0
; COMPUTE_PGM_RSRC2:SCRATCH_EN: 0
; COMPUTE_PGM_RSRC2:USER_SGPR: 15
; COMPUTE_PGM_RSRC2:TRAP_HANDLER: 0
; COMPUTE_PGM_RSRC2:TGID_X_EN: 1
; COMPUTE_PGM_RSRC2:TGID_Y_EN: 0
; COMPUTE_PGM_RSRC2:TGID_Z_EN: 0
; COMPUTE_PGM_RSRC2:TIDIG_COMP_CNT: 0
	.section	.text._ZN7rocprim17ROCPRIM_400000_NS6detail17trampoline_kernelINS0_14default_configENS1_25transform_config_selectorIlLb0EEEZNS1_14transform_implILb0ES3_S5_NS0_18transform_iteratorINS0_17counting_iteratorImlEEZNS1_24adjacent_difference_implIS3_Lb1ELb0EPlSB_ZN2at6native12_GLOBAL__N_124unique_dim_cuda_templateItEESt5tupleIJNSC_6TensorESH_SH_EERKSH_lbbbEUlllE1_EE10hipError_tPvRmT2_T3_mT4_P12ihipStream_tbEUlmE_lEESB_NS0_8identityIvEEEESM_SP_SQ_mSR_ST_bEUlT_E_NS1_11comp_targetILNS1_3genE5ELNS1_11target_archE942ELNS1_3gpuE9ELNS1_3repE0EEENS1_30default_config_static_selectorELNS0_4arch9wavefront6targetE0EEEvT1_,"axG",@progbits,_ZN7rocprim17ROCPRIM_400000_NS6detail17trampoline_kernelINS0_14default_configENS1_25transform_config_selectorIlLb0EEEZNS1_14transform_implILb0ES3_S5_NS0_18transform_iteratorINS0_17counting_iteratorImlEEZNS1_24adjacent_difference_implIS3_Lb1ELb0EPlSB_ZN2at6native12_GLOBAL__N_124unique_dim_cuda_templateItEESt5tupleIJNSC_6TensorESH_SH_EERKSH_lbbbEUlllE1_EE10hipError_tPvRmT2_T3_mT4_P12ihipStream_tbEUlmE_lEESB_NS0_8identityIvEEEESM_SP_SQ_mSR_ST_bEUlT_E_NS1_11comp_targetILNS1_3genE5ELNS1_11target_archE942ELNS1_3gpuE9ELNS1_3repE0EEENS1_30default_config_static_selectorELNS0_4arch9wavefront6targetE0EEEvT1_,comdat
	.globl	_ZN7rocprim17ROCPRIM_400000_NS6detail17trampoline_kernelINS0_14default_configENS1_25transform_config_selectorIlLb0EEEZNS1_14transform_implILb0ES3_S5_NS0_18transform_iteratorINS0_17counting_iteratorImlEEZNS1_24adjacent_difference_implIS3_Lb1ELb0EPlSB_ZN2at6native12_GLOBAL__N_124unique_dim_cuda_templateItEESt5tupleIJNSC_6TensorESH_SH_EERKSH_lbbbEUlllE1_EE10hipError_tPvRmT2_T3_mT4_P12ihipStream_tbEUlmE_lEESB_NS0_8identityIvEEEESM_SP_SQ_mSR_ST_bEUlT_E_NS1_11comp_targetILNS1_3genE5ELNS1_11target_archE942ELNS1_3gpuE9ELNS1_3repE0EEENS1_30default_config_static_selectorELNS0_4arch9wavefront6targetE0EEEvT1_ ; -- Begin function _ZN7rocprim17ROCPRIM_400000_NS6detail17trampoline_kernelINS0_14default_configENS1_25transform_config_selectorIlLb0EEEZNS1_14transform_implILb0ES3_S5_NS0_18transform_iteratorINS0_17counting_iteratorImlEEZNS1_24adjacent_difference_implIS3_Lb1ELb0EPlSB_ZN2at6native12_GLOBAL__N_124unique_dim_cuda_templateItEESt5tupleIJNSC_6TensorESH_SH_EERKSH_lbbbEUlllE1_EE10hipError_tPvRmT2_T3_mT4_P12ihipStream_tbEUlmE_lEESB_NS0_8identityIvEEEESM_SP_SQ_mSR_ST_bEUlT_E_NS1_11comp_targetILNS1_3genE5ELNS1_11target_archE942ELNS1_3gpuE9ELNS1_3repE0EEENS1_30default_config_static_selectorELNS0_4arch9wavefront6targetE0EEEvT1_
	.p2align	8
	.type	_ZN7rocprim17ROCPRIM_400000_NS6detail17trampoline_kernelINS0_14default_configENS1_25transform_config_selectorIlLb0EEEZNS1_14transform_implILb0ES3_S5_NS0_18transform_iteratorINS0_17counting_iteratorImlEEZNS1_24adjacent_difference_implIS3_Lb1ELb0EPlSB_ZN2at6native12_GLOBAL__N_124unique_dim_cuda_templateItEESt5tupleIJNSC_6TensorESH_SH_EERKSH_lbbbEUlllE1_EE10hipError_tPvRmT2_T3_mT4_P12ihipStream_tbEUlmE_lEESB_NS0_8identityIvEEEESM_SP_SQ_mSR_ST_bEUlT_E_NS1_11comp_targetILNS1_3genE5ELNS1_11target_archE942ELNS1_3gpuE9ELNS1_3repE0EEENS1_30default_config_static_selectorELNS0_4arch9wavefront6targetE0EEEvT1_,@function
_ZN7rocprim17ROCPRIM_400000_NS6detail17trampoline_kernelINS0_14default_configENS1_25transform_config_selectorIlLb0EEEZNS1_14transform_implILb0ES3_S5_NS0_18transform_iteratorINS0_17counting_iteratorImlEEZNS1_24adjacent_difference_implIS3_Lb1ELb0EPlSB_ZN2at6native12_GLOBAL__N_124unique_dim_cuda_templateItEESt5tupleIJNSC_6TensorESH_SH_EERKSH_lbbbEUlllE1_EE10hipError_tPvRmT2_T3_mT4_P12ihipStream_tbEUlmE_lEESB_NS0_8identityIvEEEESM_SP_SQ_mSR_ST_bEUlT_E_NS1_11comp_targetILNS1_3genE5ELNS1_11target_archE942ELNS1_3gpuE9ELNS1_3repE0EEENS1_30default_config_static_selectorELNS0_4arch9wavefront6targetE0EEEvT1_: ; @_ZN7rocprim17ROCPRIM_400000_NS6detail17trampoline_kernelINS0_14default_configENS1_25transform_config_selectorIlLb0EEEZNS1_14transform_implILb0ES3_S5_NS0_18transform_iteratorINS0_17counting_iteratorImlEEZNS1_24adjacent_difference_implIS3_Lb1ELb0EPlSB_ZN2at6native12_GLOBAL__N_124unique_dim_cuda_templateItEESt5tupleIJNSC_6TensorESH_SH_EERKSH_lbbbEUlllE1_EE10hipError_tPvRmT2_T3_mT4_P12ihipStream_tbEUlmE_lEESB_NS0_8identityIvEEEESM_SP_SQ_mSR_ST_bEUlT_E_NS1_11comp_targetILNS1_3genE5ELNS1_11target_archE942ELNS1_3gpuE9ELNS1_3repE0EEENS1_30default_config_static_selectorELNS0_4arch9wavefront6targetE0EEEvT1_
; %bb.0:
	.section	.rodata,"a",@progbits
	.p2align	6, 0x0
	.amdhsa_kernel _ZN7rocprim17ROCPRIM_400000_NS6detail17trampoline_kernelINS0_14default_configENS1_25transform_config_selectorIlLb0EEEZNS1_14transform_implILb0ES3_S5_NS0_18transform_iteratorINS0_17counting_iteratorImlEEZNS1_24adjacent_difference_implIS3_Lb1ELb0EPlSB_ZN2at6native12_GLOBAL__N_124unique_dim_cuda_templateItEESt5tupleIJNSC_6TensorESH_SH_EERKSH_lbbbEUlllE1_EE10hipError_tPvRmT2_T3_mT4_P12ihipStream_tbEUlmE_lEESB_NS0_8identityIvEEEESM_SP_SQ_mSR_ST_bEUlT_E_NS1_11comp_targetILNS1_3genE5ELNS1_11target_archE942ELNS1_3gpuE9ELNS1_3repE0EEENS1_30default_config_static_selectorELNS0_4arch9wavefront6targetE0EEEvT1_
		.amdhsa_group_segment_fixed_size 0
		.amdhsa_private_segment_fixed_size 0
		.amdhsa_kernarg_size 56
		.amdhsa_user_sgpr_count 15
		.amdhsa_user_sgpr_dispatch_ptr 0
		.amdhsa_user_sgpr_queue_ptr 0
		.amdhsa_user_sgpr_kernarg_segment_ptr 1
		.amdhsa_user_sgpr_dispatch_id 0
		.amdhsa_user_sgpr_private_segment_size 0
		.amdhsa_wavefront_size32 1
		.amdhsa_uses_dynamic_stack 0
		.amdhsa_enable_private_segment 0
		.amdhsa_system_sgpr_workgroup_id_x 1
		.amdhsa_system_sgpr_workgroup_id_y 0
		.amdhsa_system_sgpr_workgroup_id_z 0
		.amdhsa_system_sgpr_workgroup_info 0
		.amdhsa_system_vgpr_workitem_id 0
		.amdhsa_next_free_vgpr 1
		.amdhsa_next_free_sgpr 1
		.amdhsa_reserve_vcc 0
		.amdhsa_float_round_mode_32 0
		.amdhsa_float_round_mode_16_64 0
		.amdhsa_float_denorm_mode_32 3
		.amdhsa_float_denorm_mode_16_64 3
		.amdhsa_dx10_clamp 1
		.amdhsa_ieee_mode 1
		.amdhsa_fp16_overflow 0
		.amdhsa_workgroup_processor_mode 1
		.amdhsa_memory_ordered 1
		.amdhsa_forward_progress 0
		.amdhsa_shared_vgpr_count 0
		.amdhsa_exception_fp_ieee_invalid_op 0
		.amdhsa_exception_fp_denorm_src 0
		.amdhsa_exception_fp_ieee_div_zero 0
		.amdhsa_exception_fp_ieee_overflow 0
		.amdhsa_exception_fp_ieee_underflow 0
		.amdhsa_exception_fp_ieee_inexact 0
		.amdhsa_exception_int_div_zero 0
	.end_amdhsa_kernel
	.section	.text._ZN7rocprim17ROCPRIM_400000_NS6detail17trampoline_kernelINS0_14default_configENS1_25transform_config_selectorIlLb0EEEZNS1_14transform_implILb0ES3_S5_NS0_18transform_iteratorINS0_17counting_iteratorImlEEZNS1_24adjacent_difference_implIS3_Lb1ELb0EPlSB_ZN2at6native12_GLOBAL__N_124unique_dim_cuda_templateItEESt5tupleIJNSC_6TensorESH_SH_EERKSH_lbbbEUlllE1_EE10hipError_tPvRmT2_T3_mT4_P12ihipStream_tbEUlmE_lEESB_NS0_8identityIvEEEESM_SP_SQ_mSR_ST_bEUlT_E_NS1_11comp_targetILNS1_3genE5ELNS1_11target_archE942ELNS1_3gpuE9ELNS1_3repE0EEENS1_30default_config_static_selectorELNS0_4arch9wavefront6targetE0EEEvT1_,"axG",@progbits,_ZN7rocprim17ROCPRIM_400000_NS6detail17trampoline_kernelINS0_14default_configENS1_25transform_config_selectorIlLb0EEEZNS1_14transform_implILb0ES3_S5_NS0_18transform_iteratorINS0_17counting_iteratorImlEEZNS1_24adjacent_difference_implIS3_Lb1ELb0EPlSB_ZN2at6native12_GLOBAL__N_124unique_dim_cuda_templateItEESt5tupleIJNSC_6TensorESH_SH_EERKSH_lbbbEUlllE1_EE10hipError_tPvRmT2_T3_mT4_P12ihipStream_tbEUlmE_lEESB_NS0_8identityIvEEEESM_SP_SQ_mSR_ST_bEUlT_E_NS1_11comp_targetILNS1_3genE5ELNS1_11target_archE942ELNS1_3gpuE9ELNS1_3repE0EEENS1_30default_config_static_selectorELNS0_4arch9wavefront6targetE0EEEvT1_,comdat
.Lfunc_end1401:
	.size	_ZN7rocprim17ROCPRIM_400000_NS6detail17trampoline_kernelINS0_14default_configENS1_25transform_config_selectorIlLb0EEEZNS1_14transform_implILb0ES3_S5_NS0_18transform_iteratorINS0_17counting_iteratorImlEEZNS1_24adjacent_difference_implIS3_Lb1ELb0EPlSB_ZN2at6native12_GLOBAL__N_124unique_dim_cuda_templateItEESt5tupleIJNSC_6TensorESH_SH_EERKSH_lbbbEUlllE1_EE10hipError_tPvRmT2_T3_mT4_P12ihipStream_tbEUlmE_lEESB_NS0_8identityIvEEEESM_SP_SQ_mSR_ST_bEUlT_E_NS1_11comp_targetILNS1_3genE5ELNS1_11target_archE942ELNS1_3gpuE9ELNS1_3repE0EEENS1_30default_config_static_selectorELNS0_4arch9wavefront6targetE0EEEvT1_, .Lfunc_end1401-_ZN7rocprim17ROCPRIM_400000_NS6detail17trampoline_kernelINS0_14default_configENS1_25transform_config_selectorIlLb0EEEZNS1_14transform_implILb0ES3_S5_NS0_18transform_iteratorINS0_17counting_iteratorImlEEZNS1_24adjacent_difference_implIS3_Lb1ELb0EPlSB_ZN2at6native12_GLOBAL__N_124unique_dim_cuda_templateItEESt5tupleIJNSC_6TensorESH_SH_EERKSH_lbbbEUlllE1_EE10hipError_tPvRmT2_T3_mT4_P12ihipStream_tbEUlmE_lEESB_NS0_8identityIvEEEESM_SP_SQ_mSR_ST_bEUlT_E_NS1_11comp_targetILNS1_3genE5ELNS1_11target_archE942ELNS1_3gpuE9ELNS1_3repE0EEENS1_30default_config_static_selectorELNS0_4arch9wavefront6targetE0EEEvT1_
                                        ; -- End function
	.section	.AMDGPU.csdata,"",@progbits
; Kernel info:
; codeLenInByte = 0
; NumSgprs: 0
; NumVgprs: 0
; ScratchSize: 0
; MemoryBound: 0
; FloatMode: 240
; IeeeMode: 1
; LDSByteSize: 0 bytes/workgroup (compile time only)
; SGPRBlocks: 0
; VGPRBlocks: 0
; NumSGPRsForWavesPerEU: 1
; NumVGPRsForWavesPerEU: 1
; Occupancy: 16
; WaveLimiterHint : 0
; COMPUTE_PGM_RSRC2:SCRATCH_EN: 0
; COMPUTE_PGM_RSRC2:USER_SGPR: 15
; COMPUTE_PGM_RSRC2:TRAP_HANDLER: 0
; COMPUTE_PGM_RSRC2:TGID_X_EN: 1
; COMPUTE_PGM_RSRC2:TGID_Y_EN: 0
; COMPUTE_PGM_RSRC2:TGID_Z_EN: 0
; COMPUTE_PGM_RSRC2:TIDIG_COMP_CNT: 0
	.section	.text._ZN7rocprim17ROCPRIM_400000_NS6detail17trampoline_kernelINS0_14default_configENS1_25transform_config_selectorIlLb0EEEZNS1_14transform_implILb0ES3_S5_NS0_18transform_iteratorINS0_17counting_iteratorImlEEZNS1_24adjacent_difference_implIS3_Lb1ELb0EPlSB_ZN2at6native12_GLOBAL__N_124unique_dim_cuda_templateItEESt5tupleIJNSC_6TensorESH_SH_EERKSH_lbbbEUlllE1_EE10hipError_tPvRmT2_T3_mT4_P12ihipStream_tbEUlmE_lEESB_NS0_8identityIvEEEESM_SP_SQ_mSR_ST_bEUlT_E_NS1_11comp_targetILNS1_3genE4ELNS1_11target_archE910ELNS1_3gpuE8ELNS1_3repE0EEENS1_30default_config_static_selectorELNS0_4arch9wavefront6targetE0EEEvT1_,"axG",@progbits,_ZN7rocprim17ROCPRIM_400000_NS6detail17trampoline_kernelINS0_14default_configENS1_25transform_config_selectorIlLb0EEEZNS1_14transform_implILb0ES3_S5_NS0_18transform_iteratorINS0_17counting_iteratorImlEEZNS1_24adjacent_difference_implIS3_Lb1ELb0EPlSB_ZN2at6native12_GLOBAL__N_124unique_dim_cuda_templateItEESt5tupleIJNSC_6TensorESH_SH_EERKSH_lbbbEUlllE1_EE10hipError_tPvRmT2_T3_mT4_P12ihipStream_tbEUlmE_lEESB_NS0_8identityIvEEEESM_SP_SQ_mSR_ST_bEUlT_E_NS1_11comp_targetILNS1_3genE4ELNS1_11target_archE910ELNS1_3gpuE8ELNS1_3repE0EEENS1_30default_config_static_selectorELNS0_4arch9wavefront6targetE0EEEvT1_,comdat
	.globl	_ZN7rocprim17ROCPRIM_400000_NS6detail17trampoline_kernelINS0_14default_configENS1_25transform_config_selectorIlLb0EEEZNS1_14transform_implILb0ES3_S5_NS0_18transform_iteratorINS0_17counting_iteratorImlEEZNS1_24adjacent_difference_implIS3_Lb1ELb0EPlSB_ZN2at6native12_GLOBAL__N_124unique_dim_cuda_templateItEESt5tupleIJNSC_6TensorESH_SH_EERKSH_lbbbEUlllE1_EE10hipError_tPvRmT2_T3_mT4_P12ihipStream_tbEUlmE_lEESB_NS0_8identityIvEEEESM_SP_SQ_mSR_ST_bEUlT_E_NS1_11comp_targetILNS1_3genE4ELNS1_11target_archE910ELNS1_3gpuE8ELNS1_3repE0EEENS1_30default_config_static_selectorELNS0_4arch9wavefront6targetE0EEEvT1_ ; -- Begin function _ZN7rocprim17ROCPRIM_400000_NS6detail17trampoline_kernelINS0_14default_configENS1_25transform_config_selectorIlLb0EEEZNS1_14transform_implILb0ES3_S5_NS0_18transform_iteratorINS0_17counting_iteratorImlEEZNS1_24adjacent_difference_implIS3_Lb1ELb0EPlSB_ZN2at6native12_GLOBAL__N_124unique_dim_cuda_templateItEESt5tupleIJNSC_6TensorESH_SH_EERKSH_lbbbEUlllE1_EE10hipError_tPvRmT2_T3_mT4_P12ihipStream_tbEUlmE_lEESB_NS0_8identityIvEEEESM_SP_SQ_mSR_ST_bEUlT_E_NS1_11comp_targetILNS1_3genE4ELNS1_11target_archE910ELNS1_3gpuE8ELNS1_3repE0EEENS1_30default_config_static_selectorELNS0_4arch9wavefront6targetE0EEEvT1_
	.p2align	8
	.type	_ZN7rocprim17ROCPRIM_400000_NS6detail17trampoline_kernelINS0_14default_configENS1_25transform_config_selectorIlLb0EEEZNS1_14transform_implILb0ES3_S5_NS0_18transform_iteratorINS0_17counting_iteratorImlEEZNS1_24adjacent_difference_implIS3_Lb1ELb0EPlSB_ZN2at6native12_GLOBAL__N_124unique_dim_cuda_templateItEESt5tupleIJNSC_6TensorESH_SH_EERKSH_lbbbEUlllE1_EE10hipError_tPvRmT2_T3_mT4_P12ihipStream_tbEUlmE_lEESB_NS0_8identityIvEEEESM_SP_SQ_mSR_ST_bEUlT_E_NS1_11comp_targetILNS1_3genE4ELNS1_11target_archE910ELNS1_3gpuE8ELNS1_3repE0EEENS1_30default_config_static_selectorELNS0_4arch9wavefront6targetE0EEEvT1_,@function
_ZN7rocprim17ROCPRIM_400000_NS6detail17trampoline_kernelINS0_14default_configENS1_25transform_config_selectorIlLb0EEEZNS1_14transform_implILb0ES3_S5_NS0_18transform_iteratorINS0_17counting_iteratorImlEEZNS1_24adjacent_difference_implIS3_Lb1ELb0EPlSB_ZN2at6native12_GLOBAL__N_124unique_dim_cuda_templateItEESt5tupleIJNSC_6TensorESH_SH_EERKSH_lbbbEUlllE1_EE10hipError_tPvRmT2_T3_mT4_P12ihipStream_tbEUlmE_lEESB_NS0_8identityIvEEEESM_SP_SQ_mSR_ST_bEUlT_E_NS1_11comp_targetILNS1_3genE4ELNS1_11target_archE910ELNS1_3gpuE8ELNS1_3repE0EEENS1_30default_config_static_selectorELNS0_4arch9wavefront6targetE0EEEvT1_: ; @_ZN7rocprim17ROCPRIM_400000_NS6detail17trampoline_kernelINS0_14default_configENS1_25transform_config_selectorIlLb0EEEZNS1_14transform_implILb0ES3_S5_NS0_18transform_iteratorINS0_17counting_iteratorImlEEZNS1_24adjacent_difference_implIS3_Lb1ELb0EPlSB_ZN2at6native12_GLOBAL__N_124unique_dim_cuda_templateItEESt5tupleIJNSC_6TensorESH_SH_EERKSH_lbbbEUlllE1_EE10hipError_tPvRmT2_T3_mT4_P12ihipStream_tbEUlmE_lEESB_NS0_8identityIvEEEESM_SP_SQ_mSR_ST_bEUlT_E_NS1_11comp_targetILNS1_3genE4ELNS1_11target_archE910ELNS1_3gpuE8ELNS1_3repE0EEENS1_30default_config_static_selectorELNS0_4arch9wavefront6targetE0EEEvT1_
; %bb.0:
	.section	.rodata,"a",@progbits
	.p2align	6, 0x0
	.amdhsa_kernel _ZN7rocprim17ROCPRIM_400000_NS6detail17trampoline_kernelINS0_14default_configENS1_25transform_config_selectorIlLb0EEEZNS1_14transform_implILb0ES3_S5_NS0_18transform_iteratorINS0_17counting_iteratorImlEEZNS1_24adjacent_difference_implIS3_Lb1ELb0EPlSB_ZN2at6native12_GLOBAL__N_124unique_dim_cuda_templateItEESt5tupleIJNSC_6TensorESH_SH_EERKSH_lbbbEUlllE1_EE10hipError_tPvRmT2_T3_mT4_P12ihipStream_tbEUlmE_lEESB_NS0_8identityIvEEEESM_SP_SQ_mSR_ST_bEUlT_E_NS1_11comp_targetILNS1_3genE4ELNS1_11target_archE910ELNS1_3gpuE8ELNS1_3repE0EEENS1_30default_config_static_selectorELNS0_4arch9wavefront6targetE0EEEvT1_
		.amdhsa_group_segment_fixed_size 0
		.amdhsa_private_segment_fixed_size 0
		.amdhsa_kernarg_size 56
		.amdhsa_user_sgpr_count 15
		.amdhsa_user_sgpr_dispatch_ptr 0
		.amdhsa_user_sgpr_queue_ptr 0
		.amdhsa_user_sgpr_kernarg_segment_ptr 1
		.amdhsa_user_sgpr_dispatch_id 0
		.amdhsa_user_sgpr_private_segment_size 0
		.amdhsa_wavefront_size32 1
		.amdhsa_uses_dynamic_stack 0
		.amdhsa_enable_private_segment 0
		.amdhsa_system_sgpr_workgroup_id_x 1
		.amdhsa_system_sgpr_workgroup_id_y 0
		.amdhsa_system_sgpr_workgroup_id_z 0
		.amdhsa_system_sgpr_workgroup_info 0
		.amdhsa_system_vgpr_workitem_id 0
		.amdhsa_next_free_vgpr 1
		.amdhsa_next_free_sgpr 1
		.amdhsa_reserve_vcc 0
		.amdhsa_float_round_mode_32 0
		.amdhsa_float_round_mode_16_64 0
		.amdhsa_float_denorm_mode_32 3
		.amdhsa_float_denorm_mode_16_64 3
		.amdhsa_dx10_clamp 1
		.amdhsa_ieee_mode 1
		.amdhsa_fp16_overflow 0
		.amdhsa_workgroup_processor_mode 1
		.amdhsa_memory_ordered 1
		.amdhsa_forward_progress 0
		.amdhsa_shared_vgpr_count 0
		.amdhsa_exception_fp_ieee_invalid_op 0
		.amdhsa_exception_fp_denorm_src 0
		.amdhsa_exception_fp_ieee_div_zero 0
		.amdhsa_exception_fp_ieee_overflow 0
		.amdhsa_exception_fp_ieee_underflow 0
		.amdhsa_exception_fp_ieee_inexact 0
		.amdhsa_exception_int_div_zero 0
	.end_amdhsa_kernel
	.section	.text._ZN7rocprim17ROCPRIM_400000_NS6detail17trampoline_kernelINS0_14default_configENS1_25transform_config_selectorIlLb0EEEZNS1_14transform_implILb0ES3_S5_NS0_18transform_iteratorINS0_17counting_iteratorImlEEZNS1_24adjacent_difference_implIS3_Lb1ELb0EPlSB_ZN2at6native12_GLOBAL__N_124unique_dim_cuda_templateItEESt5tupleIJNSC_6TensorESH_SH_EERKSH_lbbbEUlllE1_EE10hipError_tPvRmT2_T3_mT4_P12ihipStream_tbEUlmE_lEESB_NS0_8identityIvEEEESM_SP_SQ_mSR_ST_bEUlT_E_NS1_11comp_targetILNS1_3genE4ELNS1_11target_archE910ELNS1_3gpuE8ELNS1_3repE0EEENS1_30default_config_static_selectorELNS0_4arch9wavefront6targetE0EEEvT1_,"axG",@progbits,_ZN7rocprim17ROCPRIM_400000_NS6detail17trampoline_kernelINS0_14default_configENS1_25transform_config_selectorIlLb0EEEZNS1_14transform_implILb0ES3_S5_NS0_18transform_iteratorINS0_17counting_iteratorImlEEZNS1_24adjacent_difference_implIS3_Lb1ELb0EPlSB_ZN2at6native12_GLOBAL__N_124unique_dim_cuda_templateItEESt5tupleIJNSC_6TensorESH_SH_EERKSH_lbbbEUlllE1_EE10hipError_tPvRmT2_T3_mT4_P12ihipStream_tbEUlmE_lEESB_NS0_8identityIvEEEESM_SP_SQ_mSR_ST_bEUlT_E_NS1_11comp_targetILNS1_3genE4ELNS1_11target_archE910ELNS1_3gpuE8ELNS1_3repE0EEENS1_30default_config_static_selectorELNS0_4arch9wavefront6targetE0EEEvT1_,comdat
.Lfunc_end1402:
	.size	_ZN7rocprim17ROCPRIM_400000_NS6detail17trampoline_kernelINS0_14default_configENS1_25transform_config_selectorIlLb0EEEZNS1_14transform_implILb0ES3_S5_NS0_18transform_iteratorINS0_17counting_iteratorImlEEZNS1_24adjacent_difference_implIS3_Lb1ELb0EPlSB_ZN2at6native12_GLOBAL__N_124unique_dim_cuda_templateItEESt5tupleIJNSC_6TensorESH_SH_EERKSH_lbbbEUlllE1_EE10hipError_tPvRmT2_T3_mT4_P12ihipStream_tbEUlmE_lEESB_NS0_8identityIvEEEESM_SP_SQ_mSR_ST_bEUlT_E_NS1_11comp_targetILNS1_3genE4ELNS1_11target_archE910ELNS1_3gpuE8ELNS1_3repE0EEENS1_30default_config_static_selectorELNS0_4arch9wavefront6targetE0EEEvT1_, .Lfunc_end1402-_ZN7rocprim17ROCPRIM_400000_NS6detail17trampoline_kernelINS0_14default_configENS1_25transform_config_selectorIlLb0EEEZNS1_14transform_implILb0ES3_S5_NS0_18transform_iteratorINS0_17counting_iteratorImlEEZNS1_24adjacent_difference_implIS3_Lb1ELb0EPlSB_ZN2at6native12_GLOBAL__N_124unique_dim_cuda_templateItEESt5tupleIJNSC_6TensorESH_SH_EERKSH_lbbbEUlllE1_EE10hipError_tPvRmT2_T3_mT4_P12ihipStream_tbEUlmE_lEESB_NS0_8identityIvEEEESM_SP_SQ_mSR_ST_bEUlT_E_NS1_11comp_targetILNS1_3genE4ELNS1_11target_archE910ELNS1_3gpuE8ELNS1_3repE0EEENS1_30default_config_static_selectorELNS0_4arch9wavefront6targetE0EEEvT1_
                                        ; -- End function
	.section	.AMDGPU.csdata,"",@progbits
; Kernel info:
; codeLenInByte = 0
; NumSgprs: 0
; NumVgprs: 0
; ScratchSize: 0
; MemoryBound: 0
; FloatMode: 240
; IeeeMode: 1
; LDSByteSize: 0 bytes/workgroup (compile time only)
; SGPRBlocks: 0
; VGPRBlocks: 0
; NumSGPRsForWavesPerEU: 1
; NumVGPRsForWavesPerEU: 1
; Occupancy: 16
; WaveLimiterHint : 0
; COMPUTE_PGM_RSRC2:SCRATCH_EN: 0
; COMPUTE_PGM_RSRC2:USER_SGPR: 15
; COMPUTE_PGM_RSRC2:TRAP_HANDLER: 0
; COMPUTE_PGM_RSRC2:TGID_X_EN: 1
; COMPUTE_PGM_RSRC2:TGID_Y_EN: 0
; COMPUTE_PGM_RSRC2:TGID_Z_EN: 0
; COMPUTE_PGM_RSRC2:TIDIG_COMP_CNT: 0
	.section	.text._ZN7rocprim17ROCPRIM_400000_NS6detail17trampoline_kernelINS0_14default_configENS1_25transform_config_selectorIlLb0EEEZNS1_14transform_implILb0ES3_S5_NS0_18transform_iteratorINS0_17counting_iteratorImlEEZNS1_24adjacent_difference_implIS3_Lb1ELb0EPlSB_ZN2at6native12_GLOBAL__N_124unique_dim_cuda_templateItEESt5tupleIJNSC_6TensorESH_SH_EERKSH_lbbbEUlllE1_EE10hipError_tPvRmT2_T3_mT4_P12ihipStream_tbEUlmE_lEESB_NS0_8identityIvEEEESM_SP_SQ_mSR_ST_bEUlT_E_NS1_11comp_targetILNS1_3genE3ELNS1_11target_archE908ELNS1_3gpuE7ELNS1_3repE0EEENS1_30default_config_static_selectorELNS0_4arch9wavefront6targetE0EEEvT1_,"axG",@progbits,_ZN7rocprim17ROCPRIM_400000_NS6detail17trampoline_kernelINS0_14default_configENS1_25transform_config_selectorIlLb0EEEZNS1_14transform_implILb0ES3_S5_NS0_18transform_iteratorINS0_17counting_iteratorImlEEZNS1_24adjacent_difference_implIS3_Lb1ELb0EPlSB_ZN2at6native12_GLOBAL__N_124unique_dim_cuda_templateItEESt5tupleIJNSC_6TensorESH_SH_EERKSH_lbbbEUlllE1_EE10hipError_tPvRmT2_T3_mT4_P12ihipStream_tbEUlmE_lEESB_NS0_8identityIvEEEESM_SP_SQ_mSR_ST_bEUlT_E_NS1_11comp_targetILNS1_3genE3ELNS1_11target_archE908ELNS1_3gpuE7ELNS1_3repE0EEENS1_30default_config_static_selectorELNS0_4arch9wavefront6targetE0EEEvT1_,comdat
	.globl	_ZN7rocprim17ROCPRIM_400000_NS6detail17trampoline_kernelINS0_14default_configENS1_25transform_config_selectorIlLb0EEEZNS1_14transform_implILb0ES3_S5_NS0_18transform_iteratorINS0_17counting_iteratorImlEEZNS1_24adjacent_difference_implIS3_Lb1ELb0EPlSB_ZN2at6native12_GLOBAL__N_124unique_dim_cuda_templateItEESt5tupleIJNSC_6TensorESH_SH_EERKSH_lbbbEUlllE1_EE10hipError_tPvRmT2_T3_mT4_P12ihipStream_tbEUlmE_lEESB_NS0_8identityIvEEEESM_SP_SQ_mSR_ST_bEUlT_E_NS1_11comp_targetILNS1_3genE3ELNS1_11target_archE908ELNS1_3gpuE7ELNS1_3repE0EEENS1_30default_config_static_selectorELNS0_4arch9wavefront6targetE0EEEvT1_ ; -- Begin function _ZN7rocprim17ROCPRIM_400000_NS6detail17trampoline_kernelINS0_14default_configENS1_25transform_config_selectorIlLb0EEEZNS1_14transform_implILb0ES3_S5_NS0_18transform_iteratorINS0_17counting_iteratorImlEEZNS1_24adjacent_difference_implIS3_Lb1ELb0EPlSB_ZN2at6native12_GLOBAL__N_124unique_dim_cuda_templateItEESt5tupleIJNSC_6TensorESH_SH_EERKSH_lbbbEUlllE1_EE10hipError_tPvRmT2_T3_mT4_P12ihipStream_tbEUlmE_lEESB_NS0_8identityIvEEEESM_SP_SQ_mSR_ST_bEUlT_E_NS1_11comp_targetILNS1_3genE3ELNS1_11target_archE908ELNS1_3gpuE7ELNS1_3repE0EEENS1_30default_config_static_selectorELNS0_4arch9wavefront6targetE0EEEvT1_
	.p2align	8
	.type	_ZN7rocprim17ROCPRIM_400000_NS6detail17trampoline_kernelINS0_14default_configENS1_25transform_config_selectorIlLb0EEEZNS1_14transform_implILb0ES3_S5_NS0_18transform_iteratorINS0_17counting_iteratorImlEEZNS1_24adjacent_difference_implIS3_Lb1ELb0EPlSB_ZN2at6native12_GLOBAL__N_124unique_dim_cuda_templateItEESt5tupleIJNSC_6TensorESH_SH_EERKSH_lbbbEUlllE1_EE10hipError_tPvRmT2_T3_mT4_P12ihipStream_tbEUlmE_lEESB_NS0_8identityIvEEEESM_SP_SQ_mSR_ST_bEUlT_E_NS1_11comp_targetILNS1_3genE3ELNS1_11target_archE908ELNS1_3gpuE7ELNS1_3repE0EEENS1_30default_config_static_selectorELNS0_4arch9wavefront6targetE0EEEvT1_,@function
_ZN7rocprim17ROCPRIM_400000_NS6detail17trampoline_kernelINS0_14default_configENS1_25transform_config_selectorIlLb0EEEZNS1_14transform_implILb0ES3_S5_NS0_18transform_iteratorINS0_17counting_iteratorImlEEZNS1_24adjacent_difference_implIS3_Lb1ELb0EPlSB_ZN2at6native12_GLOBAL__N_124unique_dim_cuda_templateItEESt5tupleIJNSC_6TensorESH_SH_EERKSH_lbbbEUlllE1_EE10hipError_tPvRmT2_T3_mT4_P12ihipStream_tbEUlmE_lEESB_NS0_8identityIvEEEESM_SP_SQ_mSR_ST_bEUlT_E_NS1_11comp_targetILNS1_3genE3ELNS1_11target_archE908ELNS1_3gpuE7ELNS1_3repE0EEENS1_30default_config_static_selectorELNS0_4arch9wavefront6targetE0EEEvT1_: ; @_ZN7rocprim17ROCPRIM_400000_NS6detail17trampoline_kernelINS0_14default_configENS1_25transform_config_selectorIlLb0EEEZNS1_14transform_implILb0ES3_S5_NS0_18transform_iteratorINS0_17counting_iteratorImlEEZNS1_24adjacent_difference_implIS3_Lb1ELb0EPlSB_ZN2at6native12_GLOBAL__N_124unique_dim_cuda_templateItEESt5tupleIJNSC_6TensorESH_SH_EERKSH_lbbbEUlllE1_EE10hipError_tPvRmT2_T3_mT4_P12ihipStream_tbEUlmE_lEESB_NS0_8identityIvEEEESM_SP_SQ_mSR_ST_bEUlT_E_NS1_11comp_targetILNS1_3genE3ELNS1_11target_archE908ELNS1_3gpuE7ELNS1_3repE0EEENS1_30default_config_static_selectorELNS0_4arch9wavefront6targetE0EEEvT1_
; %bb.0:
	.section	.rodata,"a",@progbits
	.p2align	6, 0x0
	.amdhsa_kernel _ZN7rocprim17ROCPRIM_400000_NS6detail17trampoline_kernelINS0_14default_configENS1_25transform_config_selectorIlLb0EEEZNS1_14transform_implILb0ES3_S5_NS0_18transform_iteratorINS0_17counting_iteratorImlEEZNS1_24adjacent_difference_implIS3_Lb1ELb0EPlSB_ZN2at6native12_GLOBAL__N_124unique_dim_cuda_templateItEESt5tupleIJNSC_6TensorESH_SH_EERKSH_lbbbEUlllE1_EE10hipError_tPvRmT2_T3_mT4_P12ihipStream_tbEUlmE_lEESB_NS0_8identityIvEEEESM_SP_SQ_mSR_ST_bEUlT_E_NS1_11comp_targetILNS1_3genE3ELNS1_11target_archE908ELNS1_3gpuE7ELNS1_3repE0EEENS1_30default_config_static_selectorELNS0_4arch9wavefront6targetE0EEEvT1_
		.amdhsa_group_segment_fixed_size 0
		.amdhsa_private_segment_fixed_size 0
		.amdhsa_kernarg_size 56
		.amdhsa_user_sgpr_count 15
		.amdhsa_user_sgpr_dispatch_ptr 0
		.amdhsa_user_sgpr_queue_ptr 0
		.amdhsa_user_sgpr_kernarg_segment_ptr 1
		.amdhsa_user_sgpr_dispatch_id 0
		.amdhsa_user_sgpr_private_segment_size 0
		.amdhsa_wavefront_size32 1
		.amdhsa_uses_dynamic_stack 0
		.amdhsa_enable_private_segment 0
		.amdhsa_system_sgpr_workgroup_id_x 1
		.amdhsa_system_sgpr_workgroup_id_y 0
		.amdhsa_system_sgpr_workgroup_id_z 0
		.amdhsa_system_sgpr_workgroup_info 0
		.amdhsa_system_vgpr_workitem_id 0
		.amdhsa_next_free_vgpr 1
		.amdhsa_next_free_sgpr 1
		.amdhsa_reserve_vcc 0
		.amdhsa_float_round_mode_32 0
		.amdhsa_float_round_mode_16_64 0
		.amdhsa_float_denorm_mode_32 3
		.amdhsa_float_denorm_mode_16_64 3
		.amdhsa_dx10_clamp 1
		.amdhsa_ieee_mode 1
		.amdhsa_fp16_overflow 0
		.amdhsa_workgroup_processor_mode 1
		.amdhsa_memory_ordered 1
		.amdhsa_forward_progress 0
		.amdhsa_shared_vgpr_count 0
		.amdhsa_exception_fp_ieee_invalid_op 0
		.amdhsa_exception_fp_denorm_src 0
		.amdhsa_exception_fp_ieee_div_zero 0
		.amdhsa_exception_fp_ieee_overflow 0
		.amdhsa_exception_fp_ieee_underflow 0
		.amdhsa_exception_fp_ieee_inexact 0
		.amdhsa_exception_int_div_zero 0
	.end_amdhsa_kernel
	.section	.text._ZN7rocprim17ROCPRIM_400000_NS6detail17trampoline_kernelINS0_14default_configENS1_25transform_config_selectorIlLb0EEEZNS1_14transform_implILb0ES3_S5_NS0_18transform_iteratorINS0_17counting_iteratorImlEEZNS1_24adjacent_difference_implIS3_Lb1ELb0EPlSB_ZN2at6native12_GLOBAL__N_124unique_dim_cuda_templateItEESt5tupleIJNSC_6TensorESH_SH_EERKSH_lbbbEUlllE1_EE10hipError_tPvRmT2_T3_mT4_P12ihipStream_tbEUlmE_lEESB_NS0_8identityIvEEEESM_SP_SQ_mSR_ST_bEUlT_E_NS1_11comp_targetILNS1_3genE3ELNS1_11target_archE908ELNS1_3gpuE7ELNS1_3repE0EEENS1_30default_config_static_selectorELNS0_4arch9wavefront6targetE0EEEvT1_,"axG",@progbits,_ZN7rocprim17ROCPRIM_400000_NS6detail17trampoline_kernelINS0_14default_configENS1_25transform_config_selectorIlLb0EEEZNS1_14transform_implILb0ES3_S5_NS0_18transform_iteratorINS0_17counting_iteratorImlEEZNS1_24adjacent_difference_implIS3_Lb1ELb0EPlSB_ZN2at6native12_GLOBAL__N_124unique_dim_cuda_templateItEESt5tupleIJNSC_6TensorESH_SH_EERKSH_lbbbEUlllE1_EE10hipError_tPvRmT2_T3_mT4_P12ihipStream_tbEUlmE_lEESB_NS0_8identityIvEEEESM_SP_SQ_mSR_ST_bEUlT_E_NS1_11comp_targetILNS1_3genE3ELNS1_11target_archE908ELNS1_3gpuE7ELNS1_3repE0EEENS1_30default_config_static_selectorELNS0_4arch9wavefront6targetE0EEEvT1_,comdat
.Lfunc_end1403:
	.size	_ZN7rocprim17ROCPRIM_400000_NS6detail17trampoline_kernelINS0_14default_configENS1_25transform_config_selectorIlLb0EEEZNS1_14transform_implILb0ES3_S5_NS0_18transform_iteratorINS0_17counting_iteratorImlEEZNS1_24adjacent_difference_implIS3_Lb1ELb0EPlSB_ZN2at6native12_GLOBAL__N_124unique_dim_cuda_templateItEESt5tupleIJNSC_6TensorESH_SH_EERKSH_lbbbEUlllE1_EE10hipError_tPvRmT2_T3_mT4_P12ihipStream_tbEUlmE_lEESB_NS0_8identityIvEEEESM_SP_SQ_mSR_ST_bEUlT_E_NS1_11comp_targetILNS1_3genE3ELNS1_11target_archE908ELNS1_3gpuE7ELNS1_3repE0EEENS1_30default_config_static_selectorELNS0_4arch9wavefront6targetE0EEEvT1_, .Lfunc_end1403-_ZN7rocprim17ROCPRIM_400000_NS6detail17trampoline_kernelINS0_14default_configENS1_25transform_config_selectorIlLb0EEEZNS1_14transform_implILb0ES3_S5_NS0_18transform_iteratorINS0_17counting_iteratorImlEEZNS1_24adjacent_difference_implIS3_Lb1ELb0EPlSB_ZN2at6native12_GLOBAL__N_124unique_dim_cuda_templateItEESt5tupleIJNSC_6TensorESH_SH_EERKSH_lbbbEUlllE1_EE10hipError_tPvRmT2_T3_mT4_P12ihipStream_tbEUlmE_lEESB_NS0_8identityIvEEEESM_SP_SQ_mSR_ST_bEUlT_E_NS1_11comp_targetILNS1_3genE3ELNS1_11target_archE908ELNS1_3gpuE7ELNS1_3repE0EEENS1_30default_config_static_selectorELNS0_4arch9wavefront6targetE0EEEvT1_
                                        ; -- End function
	.section	.AMDGPU.csdata,"",@progbits
; Kernel info:
; codeLenInByte = 0
; NumSgprs: 0
; NumVgprs: 0
; ScratchSize: 0
; MemoryBound: 0
; FloatMode: 240
; IeeeMode: 1
; LDSByteSize: 0 bytes/workgroup (compile time only)
; SGPRBlocks: 0
; VGPRBlocks: 0
; NumSGPRsForWavesPerEU: 1
; NumVGPRsForWavesPerEU: 1
; Occupancy: 16
; WaveLimiterHint : 0
; COMPUTE_PGM_RSRC2:SCRATCH_EN: 0
; COMPUTE_PGM_RSRC2:USER_SGPR: 15
; COMPUTE_PGM_RSRC2:TRAP_HANDLER: 0
; COMPUTE_PGM_RSRC2:TGID_X_EN: 1
; COMPUTE_PGM_RSRC2:TGID_Y_EN: 0
; COMPUTE_PGM_RSRC2:TGID_Z_EN: 0
; COMPUTE_PGM_RSRC2:TIDIG_COMP_CNT: 0
	.section	.text._ZN7rocprim17ROCPRIM_400000_NS6detail17trampoline_kernelINS0_14default_configENS1_25transform_config_selectorIlLb0EEEZNS1_14transform_implILb0ES3_S5_NS0_18transform_iteratorINS0_17counting_iteratorImlEEZNS1_24adjacent_difference_implIS3_Lb1ELb0EPlSB_ZN2at6native12_GLOBAL__N_124unique_dim_cuda_templateItEESt5tupleIJNSC_6TensorESH_SH_EERKSH_lbbbEUlllE1_EE10hipError_tPvRmT2_T3_mT4_P12ihipStream_tbEUlmE_lEESB_NS0_8identityIvEEEESM_SP_SQ_mSR_ST_bEUlT_E_NS1_11comp_targetILNS1_3genE2ELNS1_11target_archE906ELNS1_3gpuE6ELNS1_3repE0EEENS1_30default_config_static_selectorELNS0_4arch9wavefront6targetE0EEEvT1_,"axG",@progbits,_ZN7rocprim17ROCPRIM_400000_NS6detail17trampoline_kernelINS0_14default_configENS1_25transform_config_selectorIlLb0EEEZNS1_14transform_implILb0ES3_S5_NS0_18transform_iteratorINS0_17counting_iteratorImlEEZNS1_24adjacent_difference_implIS3_Lb1ELb0EPlSB_ZN2at6native12_GLOBAL__N_124unique_dim_cuda_templateItEESt5tupleIJNSC_6TensorESH_SH_EERKSH_lbbbEUlllE1_EE10hipError_tPvRmT2_T3_mT4_P12ihipStream_tbEUlmE_lEESB_NS0_8identityIvEEEESM_SP_SQ_mSR_ST_bEUlT_E_NS1_11comp_targetILNS1_3genE2ELNS1_11target_archE906ELNS1_3gpuE6ELNS1_3repE0EEENS1_30default_config_static_selectorELNS0_4arch9wavefront6targetE0EEEvT1_,comdat
	.globl	_ZN7rocprim17ROCPRIM_400000_NS6detail17trampoline_kernelINS0_14default_configENS1_25transform_config_selectorIlLb0EEEZNS1_14transform_implILb0ES3_S5_NS0_18transform_iteratorINS0_17counting_iteratorImlEEZNS1_24adjacent_difference_implIS3_Lb1ELb0EPlSB_ZN2at6native12_GLOBAL__N_124unique_dim_cuda_templateItEESt5tupleIJNSC_6TensorESH_SH_EERKSH_lbbbEUlllE1_EE10hipError_tPvRmT2_T3_mT4_P12ihipStream_tbEUlmE_lEESB_NS0_8identityIvEEEESM_SP_SQ_mSR_ST_bEUlT_E_NS1_11comp_targetILNS1_3genE2ELNS1_11target_archE906ELNS1_3gpuE6ELNS1_3repE0EEENS1_30default_config_static_selectorELNS0_4arch9wavefront6targetE0EEEvT1_ ; -- Begin function _ZN7rocprim17ROCPRIM_400000_NS6detail17trampoline_kernelINS0_14default_configENS1_25transform_config_selectorIlLb0EEEZNS1_14transform_implILb0ES3_S5_NS0_18transform_iteratorINS0_17counting_iteratorImlEEZNS1_24adjacent_difference_implIS3_Lb1ELb0EPlSB_ZN2at6native12_GLOBAL__N_124unique_dim_cuda_templateItEESt5tupleIJNSC_6TensorESH_SH_EERKSH_lbbbEUlllE1_EE10hipError_tPvRmT2_T3_mT4_P12ihipStream_tbEUlmE_lEESB_NS0_8identityIvEEEESM_SP_SQ_mSR_ST_bEUlT_E_NS1_11comp_targetILNS1_3genE2ELNS1_11target_archE906ELNS1_3gpuE6ELNS1_3repE0EEENS1_30default_config_static_selectorELNS0_4arch9wavefront6targetE0EEEvT1_
	.p2align	8
	.type	_ZN7rocprim17ROCPRIM_400000_NS6detail17trampoline_kernelINS0_14default_configENS1_25transform_config_selectorIlLb0EEEZNS1_14transform_implILb0ES3_S5_NS0_18transform_iteratorINS0_17counting_iteratorImlEEZNS1_24adjacent_difference_implIS3_Lb1ELb0EPlSB_ZN2at6native12_GLOBAL__N_124unique_dim_cuda_templateItEESt5tupleIJNSC_6TensorESH_SH_EERKSH_lbbbEUlllE1_EE10hipError_tPvRmT2_T3_mT4_P12ihipStream_tbEUlmE_lEESB_NS0_8identityIvEEEESM_SP_SQ_mSR_ST_bEUlT_E_NS1_11comp_targetILNS1_3genE2ELNS1_11target_archE906ELNS1_3gpuE6ELNS1_3repE0EEENS1_30default_config_static_selectorELNS0_4arch9wavefront6targetE0EEEvT1_,@function
_ZN7rocprim17ROCPRIM_400000_NS6detail17trampoline_kernelINS0_14default_configENS1_25transform_config_selectorIlLb0EEEZNS1_14transform_implILb0ES3_S5_NS0_18transform_iteratorINS0_17counting_iteratorImlEEZNS1_24adjacent_difference_implIS3_Lb1ELb0EPlSB_ZN2at6native12_GLOBAL__N_124unique_dim_cuda_templateItEESt5tupleIJNSC_6TensorESH_SH_EERKSH_lbbbEUlllE1_EE10hipError_tPvRmT2_T3_mT4_P12ihipStream_tbEUlmE_lEESB_NS0_8identityIvEEEESM_SP_SQ_mSR_ST_bEUlT_E_NS1_11comp_targetILNS1_3genE2ELNS1_11target_archE906ELNS1_3gpuE6ELNS1_3repE0EEENS1_30default_config_static_selectorELNS0_4arch9wavefront6targetE0EEEvT1_: ; @_ZN7rocprim17ROCPRIM_400000_NS6detail17trampoline_kernelINS0_14default_configENS1_25transform_config_selectorIlLb0EEEZNS1_14transform_implILb0ES3_S5_NS0_18transform_iteratorINS0_17counting_iteratorImlEEZNS1_24adjacent_difference_implIS3_Lb1ELb0EPlSB_ZN2at6native12_GLOBAL__N_124unique_dim_cuda_templateItEESt5tupleIJNSC_6TensorESH_SH_EERKSH_lbbbEUlllE1_EE10hipError_tPvRmT2_T3_mT4_P12ihipStream_tbEUlmE_lEESB_NS0_8identityIvEEEESM_SP_SQ_mSR_ST_bEUlT_E_NS1_11comp_targetILNS1_3genE2ELNS1_11target_archE906ELNS1_3gpuE6ELNS1_3repE0EEENS1_30default_config_static_selectorELNS0_4arch9wavefront6targetE0EEEvT1_
; %bb.0:
	.section	.rodata,"a",@progbits
	.p2align	6, 0x0
	.amdhsa_kernel _ZN7rocprim17ROCPRIM_400000_NS6detail17trampoline_kernelINS0_14default_configENS1_25transform_config_selectorIlLb0EEEZNS1_14transform_implILb0ES3_S5_NS0_18transform_iteratorINS0_17counting_iteratorImlEEZNS1_24adjacent_difference_implIS3_Lb1ELb0EPlSB_ZN2at6native12_GLOBAL__N_124unique_dim_cuda_templateItEESt5tupleIJNSC_6TensorESH_SH_EERKSH_lbbbEUlllE1_EE10hipError_tPvRmT2_T3_mT4_P12ihipStream_tbEUlmE_lEESB_NS0_8identityIvEEEESM_SP_SQ_mSR_ST_bEUlT_E_NS1_11comp_targetILNS1_3genE2ELNS1_11target_archE906ELNS1_3gpuE6ELNS1_3repE0EEENS1_30default_config_static_selectorELNS0_4arch9wavefront6targetE0EEEvT1_
		.amdhsa_group_segment_fixed_size 0
		.amdhsa_private_segment_fixed_size 0
		.amdhsa_kernarg_size 56
		.amdhsa_user_sgpr_count 15
		.amdhsa_user_sgpr_dispatch_ptr 0
		.amdhsa_user_sgpr_queue_ptr 0
		.amdhsa_user_sgpr_kernarg_segment_ptr 1
		.amdhsa_user_sgpr_dispatch_id 0
		.amdhsa_user_sgpr_private_segment_size 0
		.amdhsa_wavefront_size32 1
		.amdhsa_uses_dynamic_stack 0
		.amdhsa_enable_private_segment 0
		.amdhsa_system_sgpr_workgroup_id_x 1
		.amdhsa_system_sgpr_workgroup_id_y 0
		.amdhsa_system_sgpr_workgroup_id_z 0
		.amdhsa_system_sgpr_workgroup_info 0
		.amdhsa_system_vgpr_workitem_id 0
		.amdhsa_next_free_vgpr 1
		.amdhsa_next_free_sgpr 1
		.amdhsa_reserve_vcc 0
		.amdhsa_float_round_mode_32 0
		.amdhsa_float_round_mode_16_64 0
		.amdhsa_float_denorm_mode_32 3
		.amdhsa_float_denorm_mode_16_64 3
		.amdhsa_dx10_clamp 1
		.amdhsa_ieee_mode 1
		.amdhsa_fp16_overflow 0
		.amdhsa_workgroup_processor_mode 1
		.amdhsa_memory_ordered 1
		.amdhsa_forward_progress 0
		.amdhsa_shared_vgpr_count 0
		.amdhsa_exception_fp_ieee_invalid_op 0
		.amdhsa_exception_fp_denorm_src 0
		.amdhsa_exception_fp_ieee_div_zero 0
		.amdhsa_exception_fp_ieee_overflow 0
		.amdhsa_exception_fp_ieee_underflow 0
		.amdhsa_exception_fp_ieee_inexact 0
		.amdhsa_exception_int_div_zero 0
	.end_amdhsa_kernel
	.section	.text._ZN7rocprim17ROCPRIM_400000_NS6detail17trampoline_kernelINS0_14default_configENS1_25transform_config_selectorIlLb0EEEZNS1_14transform_implILb0ES3_S5_NS0_18transform_iteratorINS0_17counting_iteratorImlEEZNS1_24adjacent_difference_implIS3_Lb1ELb0EPlSB_ZN2at6native12_GLOBAL__N_124unique_dim_cuda_templateItEESt5tupleIJNSC_6TensorESH_SH_EERKSH_lbbbEUlllE1_EE10hipError_tPvRmT2_T3_mT4_P12ihipStream_tbEUlmE_lEESB_NS0_8identityIvEEEESM_SP_SQ_mSR_ST_bEUlT_E_NS1_11comp_targetILNS1_3genE2ELNS1_11target_archE906ELNS1_3gpuE6ELNS1_3repE0EEENS1_30default_config_static_selectorELNS0_4arch9wavefront6targetE0EEEvT1_,"axG",@progbits,_ZN7rocprim17ROCPRIM_400000_NS6detail17trampoline_kernelINS0_14default_configENS1_25transform_config_selectorIlLb0EEEZNS1_14transform_implILb0ES3_S5_NS0_18transform_iteratorINS0_17counting_iteratorImlEEZNS1_24adjacent_difference_implIS3_Lb1ELb0EPlSB_ZN2at6native12_GLOBAL__N_124unique_dim_cuda_templateItEESt5tupleIJNSC_6TensorESH_SH_EERKSH_lbbbEUlllE1_EE10hipError_tPvRmT2_T3_mT4_P12ihipStream_tbEUlmE_lEESB_NS0_8identityIvEEEESM_SP_SQ_mSR_ST_bEUlT_E_NS1_11comp_targetILNS1_3genE2ELNS1_11target_archE906ELNS1_3gpuE6ELNS1_3repE0EEENS1_30default_config_static_selectorELNS0_4arch9wavefront6targetE0EEEvT1_,comdat
.Lfunc_end1404:
	.size	_ZN7rocprim17ROCPRIM_400000_NS6detail17trampoline_kernelINS0_14default_configENS1_25transform_config_selectorIlLb0EEEZNS1_14transform_implILb0ES3_S5_NS0_18transform_iteratorINS0_17counting_iteratorImlEEZNS1_24adjacent_difference_implIS3_Lb1ELb0EPlSB_ZN2at6native12_GLOBAL__N_124unique_dim_cuda_templateItEESt5tupleIJNSC_6TensorESH_SH_EERKSH_lbbbEUlllE1_EE10hipError_tPvRmT2_T3_mT4_P12ihipStream_tbEUlmE_lEESB_NS0_8identityIvEEEESM_SP_SQ_mSR_ST_bEUlT_E_NS1_11comp_targetILNS1_3genE2ELNS1_11target_archE906ELNS1_3gpuE6ELNS1_3repE0EEENS1_30default_config_static_selectorELNS0_4arch9wavefront6targetE0EEEvT1_, .Lfunc_end1404-_ZN7rocprim17ROCPRIM_400000_NS6detail17trampoline_kernelINS0_14default_configENS1_25transform_config_selectorIlLb0EEEZNS1_14transform_implILb0ES3_S5_NS0_18transform_iteratorINS0_17counting_iteratorImlEEZNS1_24adjacent_difference_implIS3_Lb1ELb0EPlSB_ZN2at6native12_GLOBAL__N_124unique_dim_cuda_templateItEESt5tupleIJNSC_6TensorESH_SH_EERKSH_lbbbEUlllE1_EE10hipError_tPvRmT2_T3_mT4_P12ihipStream_tbEUlmE_lEESB_NS0_8identityIvEEEESM_SP_SQ_mSR_ST_bEUlT_E_NS1_11comp_targetILNS1_3genE2ELNS1_11target_archE906ELNS1_3gpuE6ELNS1_3repE0EEENS1_30default_config_static_selectorELNS0_4arch9wavefront6targetE0EEEvT1_
                                        ; -- End function
	.section	.AMDGPU.csdata,"",@progbits
; Kernel info:
; codeLenInByte = 0
; NumSgprs: 0
; NumVgprs: 0
; ScratchSize: 0
; MemoryBound: 0
; FloatMode: 240
; IeeeMode: 1
; LDSByteSize: 0 bytes/workgroup (compile time only)
; SGPRBlocks: 0
; VGPRBlocks: 0
; NumSGPRsForWavesPerEU: 1
; NumVGPRsForWavesPerEU: 1
; Occupancy: 16
; WaveLimiterHint : 0
; COMPUTE_PGM_RSRC2:SCRATCH_EN: 0
; COMPUTE_PGM_RSRC2:USER_SGPR: 15
; COMPUTE_PGM_RSRC2:TRAP_HANDLER: 0
; COMPUTE_PGM_RSRC2:TGID_X_EN: 1
; COMPUTE_PGM_RSRC2:TGID_Y_EN: 0
; COMPUTE_PGM_RSRC2:TGID_Z_EN: 0
; COMPUTE_PGM_RSRC2:TIDIG_COMP_CNT: 0
	.section	.text._ZN7rocprim17ROCPRIM_400000_NS6detail17trampoline_kernelINS0_14default_configENS1_25transform_config_selectorIlLb0EEEZNS1_14transform_implILb0ES3_S5_NS0_18transform_iteratorINS0_17counting_iteratorImlEEZNS1_24adjacent_difference_implIS3_Lb1ELb0EPlSB_ZN2at6native12_GLOBAL__N_124unique_dim_cuda_templateItEESt5tupleIJNSC_6TensorESH_SH_EERKSH_lbbbEUlllE1_EE10hipError_tPvRmT2_T3_mT4_P12ihipStream_tbEUlmE_lEESB_NS0_8identityIvEEEESM_SP_SQ_mSR_ST_bEUlT_E_NS1_11comp_targetILNS1_3genE10ELNS1_11target_archE1201ELNS1_3gpuE5ELNS1_3repE0EEENS1_30default_config_static_selectorELNS0_4arch9wavefront6targetE0EEEvT1_,"axG",@progbits,_ZN7rocprim17ROCPRIM_400000_NS6detail17trampoline_kernelINS0_14default_configENS1_25transform_config_selectorIlLb0EEEZNS1_14transform_implILb0ES3_S5_NS0_18transform_iteratorINS0_17counting_iteratorImlEEZNS1_24adjacent_difference_implIS3_Lb1ELb0EPlSB_ZN2at6native12_GLOBAL__N_124unique_dim_cuda_templateItEESt5tupleIJNSC_6TensorESH_SH_EERKSH_lbbbEUlllE1_EE10hipError_tPvRmT2_T3_mT4_P12ihipStream_tbEUlmE_lEESB_NS0_8identityIvEEEESM_SP_SQ_mSR_ST_bEUlT_E_NS1_11comp_targetILNS1_3genE10ELNS1_11target_archE1201ELNS1_3gpuE5ELNS1_3repE0EEENS1_30default_config_static_selectorELNS0_4arch9wavefront6targetE0EEEvT1_,comdat
	.globl	_ZN7rocprim17ROCPRIM_400000_NS6detail17trampoline_kernelINS0_14default_configENS1_25transform_config_selectorIlLb0EEEZNS1_14transform_implILb0ES3_S5_NS0_18transform_iteratorINS0_17counting_iteratorImlEEZNS1_24adjacent_difference_implIS3_Lb1ELb0EPlSB_ZN2at6native12_GLOBAL__N_124unique_dim_cuda_templateItEESt5tupleIJNSC_6TensorESH_SH_EERKSH_lbbbEUlllE1_EE10hipError_tPvRmT2_T3_mT4_P12ihipStream_tbEUlmE_lEESB_NS0_8identityIvEEEESM_SP_SQ_mSR_ST_bEUlT_E_NS1_11comp_targetILNS1_3genE10ELNS1_11target_archE1201ELNS1_3gpuE5ELNS1_3repE0EEENS1_30default_config_static_selectorELNS0_4arch9wavefront6targetE0EEEvT1_ ; -- Begin function _ZN7rocprim17ROCPRIM_400000_NS6detail17trampoline_kernelINS0_14default_configENS1_25transform_config_selectorIlLb0EEEZNS1_14transform_implILb0ES3_S5_NS0_18transform_iteratorINS0_17counting_iteratorImlEEZNS1_24adjacent_difference_implIS3_Lb1ELb0EPlSB_ZN2at6native12_GLOBAL__N_124unique_dim_cuda_templateItEESt5tupleIJNSC_6TensorESH_SH_EERKSH_lbbbEUlllE1_EE10hipError_tPvRmT2_T3_mT4_P12ihipStream_tbEUlmE_lEESB_NS0_8identityIvEEEESM_SP_SQ_mSR_ST_bEUlT_E_NS1_11comp_targetILNS1_3genE10ELNS1_11target_archE1201ELNS1_3gpuE5ELNS1_3repE0EEENS1_30default_config_static_selectorELNS0_4arch9wavefront6targetE0EEEvT1_
	.p2align	8
	.type	_ZN7rocprim17ROCPRIM_400000_NS6detail17trampoline_kernelINS0_14default_configENS1_25transform_config_selectorIlLb0EEEZNS1_14transform_implILb0ES3_S5_NS0_18transform_iteratorINS0_17counting_iteratorImlEEZNS1_24adjacent_difference_implIS3_Lb1ELb0EPlSB_ZN2at6native12_GLOBAL__N_124unique_dim_cuda_templateItEESt5tupleIJNSC_6TensorESH_SH_EERKSH_lbbbEUlllE1_EE10hipError_tPvRmT2_T3_mT4_P12ihipStream_tbEUlmE_lEESB_NS0_8identityIvEEEESM_SP_SQ_mSR_ST_bEUlT_E_NS1_11comp_targetILNS1_3genE10ELNS1_11target_archE1201ELNS1_3gpuE5ELNS1_3repE0EEENS1_30default_config_static_selectorELNS0_4arch9wavefront6targetE0EEEvT1_,@function
_ZN7rocprim17ROCPRIM_400000_NS6detail17trampoline_kernelINS0_14default_configENS1_25transform_config_selectorIlLb0EEEZNS1_14transform_implILb0ES3_S5_NS0_18transform_iteratorINS0_17counting_iteratorImlEEZNS1_24adjacent_difference_implIS3_Lb1ELb0EPlSB_ZN2at6native12_GLOBAL__N_124unique_dim_cuda_templateItEESt5tupleIJNSC_6TensorESH_SH_EERKSH_lbbbEUlllE1_EE10hipError_tPvRmT2_T3_mT4_P12ihipStream_tbEUlmE_lEESB_NS0_8identityIvEEEESM_SP_SQ_mSR_ST_bEUlT_E_NS1_11comp_targetILNS1_3genE10ELNS1_11target_archE1201ELNS1_3gpuE5ELNS1_3repE0EEENS1_30default_config_static_selectorELNS0_4arch9wavefront6targetE0EEEvT1_: ; @_ZN7rocprim17ROCPRIM_400000_NS6detail17trampoline_kernelINS0_14default_configENS1_25transform_config_selectorIlLb0EEEZNS1_14transform_implILb0ES3_S5_NS0_18transform_iteratorINS0_17counting_iteratorImlEEZNS1_24adjacent_difference_implIS3_Lb1ELb0EPlSB_ZN2at6native12_GLOBAL__N_124unique_dim_cuda_templateItEESt5tupleIJNSC_6TensorESH_SH_EERKSH_lbbbEUlllE1_EE10hipError_tPvRmT2_T3_mT4_P12ihipStream_tbEUlmE_lEESB_NS0_8identityIvEEEESM_SP_SQ_mSR_ST_bEUlT_E_NS1_11comp_targetILNS1_3genE10ELNS1_11target_archE1201ELNS1_3gpuE5ELNS1_3repE0EEENS1_30default_config_static_selectorELNS0_4arch9wavefront6targetE0EEEvT1_
; %bb.0:
	.section	.rodata,"a",@progbits
	.p2align	6, 0x0
	.amdhsa_kernel _ZN7rocprim17ROCPRIM_400000_NS6detail17trampoline_kernelINS0_14default_configENS1_25transform_config_selectorIlLb0EEEZNS1_14transform_implILb0ES3_S5_NS0_18transform_iteratorINS0_17counting_iteratorImlEEZNS1_24adjacent_difference_implIS3_Lb1ELb0EPlSB_ZN2at6native12_GLOBAL__N_124unique_dim_cuda_templateItEESt5tupleIJNSC_6TensorESH_SH_EERKSH_lbbbEUlllE1_EE10hipError_tPvRmT2_T3_mT4_P12ihipStream_tbEUlmE_lEESB_NS0_8identityIvEEEESM_SP_SQ_mSR_ST_bEUlT_E_NS1_11comp_targetILNS1_3genE10ELNS1_11target_archE1201ELNS1_3gpuE5ELNS1_3repE0EEENS1_30default_config_static_selectorELNS0_4arch9wavefront6targetE0EEEvT1_
		.amdhsa_group_segment_fixed_size 0
		.amdhsa_private_segment_fixed_size 0
		.amdhsa_kernarg_size 56
		.amdhsa_user_sgpr_count 15
		.amdhsa_user_sgpr_dispatch_ptr 0
		.amdhsa_user_sgpr_queue_ptr 0
		.amdhsa_user_sgpr_kernarg_segment_ptr 1
		.amdhsa_user_sgpr_dispatch_id 0
		.amdhsa_user_sgpr_private_segment_size 0
		.amdhsa_wavefront_size32 1
		.amdhsa_uses_dynamic_stack 0
		.amdhsa_enable_private_segment 0
		.amdhsa_system_sgpr_workgroup_id_x 1
		.amdhsa_system_sgpr_workgroup_id_y 0
		.amdhsa_system_sgpr_workgroup_id_z 0
		.amdhsa_system_sgpr_workgroup_info 0
		.amdhsa_system_vgpr_workitem_id 0
		.amdhsa_next_free_vgpr 1
		.amdhsa_next_free_sgpr 1
		.amdhsa_reserve_vcc 0
		.amdhsa_float_round_mode_32 0
		.amdhsa_float_round_mode_16_64 0
		.amdhsa_float_denorm_mode_32 3
		.amdhsa_float_denorm_mode_16_64 3
		.amdhsa_dx10_clamp 1
		.amdhsa_ieee_mode 1
		.amdhsa_fp16_overflow 0
		.amdhsa_workgroup_processor_mode 1
		.amdhsa_memory_ordered 1
		.amdhsa_forward_progress 0
		.amdhsa_shared_vgpr_count 0
		.amdhsa_exception_fp_ieee_invalid_op 0
		.amdhsa_exception_fp_denorm_src 0
		.amdhsa_exception_fp_ieee_div_zero 0
		.amdhsa_exception_fp_ieee_overflow 0
		.amdhsa_exception_fp_ieee_underflow 0
		.amdhsa_exception_fp_ieee_inexact 0
		.amdhsa_exception_int_div_zero 0
	.end_amdhsa_kernel
	.section	.text._ZN7rocprim17ROCPRIM_400000_NS6detail17trampoline_kernelINS0_14default_configENS1_25transform_config_selectorIlLb0EEEZNS1_14transform_implILb0ES3_S5_NS0_18transform_iteratorINS0_17counting_iteratorImlEEZNS1_24adjacent_difference_implIS3_Lb1ELb0EPlSB_ZN2at6native12_GLOBAL__N_124unique_dim_cuda_templateItEESt5tupleIJNSC_6TensorESH_SH_EERKSH_lbbbEUlllE1_EE10hipError_tPvRmT2_T3_mT4_P12ihipStream_tbEUlmE_lEESB_NS0_8identityIvEEEESM_SP_SQ_mSR_ST_bEUlT_E_NS1_11comp_targetILNS1_3genE10ELNS1_11target_archE1201ELNS1_3gpuE5ELNS1_3repE0EEENS1_30default_config_static_selectorELNS0_4arch9wavefront6targetE0EEEvT1_,"axG",@progbits,_ZN7rocprim17ROCPRIM_400000_NS6detail17trampoline_kernelINS0_14default_configENS1_25transform_config_selectorIlLb0EEEZNS1_14transform_implILb0ES3_S5_NS0_18transform_iteratorINS0_17counting_iteratorImlEEZNS1_24adjacent_difference_implIS3_Lb1ELb0EPlSB_ZN2at6native12_GLOBAL__N_124unique_dim_cuda_templateItEESt5tupleIJNSC_6TensorESH_SH_EERKSH_lbbbEUlllE1_EE10hipError_tPvRmT2_T3_mT4_P12ihipStream_tbEUlmE_lEESB_NS0_8identityIvEEEESM_SP_SQ_mSR_ST_bEUlT_E_NS1_11comp_targetILNS1_3genE10ELNS1_11target_archE1201ELNS1_3gpuE5ELNS1_3repE0EEENS1_30default_config_static_selectorELNS0_4arch9wavefront6targetE0EEEvT1_,comdat
.Lfunc_end1405:
	.size	_ZN7rocprim17ROCPRIM_400000_NS6detail17trampoline_kernelINS0_14default_configENS1_25transform_config_selectorIlLb0EEEZNS1_14transform_implILb0ES3_S5_NS0_18transform_iteratorINS0_17counting_iteratorImlEEZNS1_24adjacent_difference_implIS3_Lb1ELb0EPlSB_ZN2at6native12_GLOBAL__N_124unique_dim_cuda_templateItEESt5tupleIJNSC_6TensorESH_SH_EERKSH_lbbbEUlllE1_EE10hipError_tPvRmT2_T3_mT4_P12ihipStream_tbEUlmE_lEESB_NS0_8identityIvEEEESM_SP_SQ_mSR_ST_bEUlT_E_NS1_11comp_targetILNS1_3genE10ELNS1_11target_archE1201ELNS1_3gpuE5ELNS1_3repE0EEENS1_30default_config_static_selectorELNS0_4arch9wavefront6targetE0EEEvT1_, .Lfunc_end1405-_ZN7rocprim17ROCPRIM_400000_NS6detail17trampoline_kernelINS0_14default_configENS1_25transform_config_selectorIlLb0EEEZNS1_14transform_implILb0ES3_S5_NS0_18transform_iteratorINS0_17counting_iteratorImlEEZNS1_24adjacent_difference_implIS3_Lb1ELb0EPlSB_ZN2at6native12_GLOBAL__N_124unique_dim_cuda_templateItEESt5tupleIJNSC_6TensorESH_SH_EERKSH_lbbbEUlllE1_EE10hipError_tPvRmT2_T3_mT4_P12ihipStream_tbEUlmE_lEESB_NS0_8identityIvEEEESM_SP_SQ_mSR_ST_bEUlT_E_NS1_11comp_targetILNS1_3genE10ELNS1_11target_archE1201ELNS1_3gpuE5ELNS1_3repE0EEENS1_30default_config_static_selectorELNS0_4arch9wavefront6targetE0EEEvT1_
                                        ; -- End function
	.section	.AMDGPU.csdata,"",@progbits
; Kernel info:
; codeLenInByte = 0
; NumSgprs: 0
; NumVgprs: 0
; ScratchSize: 0
; MemoryBound: 0
; FloatMode: 240
; IeeeMode: 1
; LDSByteSize: 0 bytes/workgroup (compile time only)
; SGPRBlocks: 0
; VGPRBlocks: 0
; NumSGPRsForWavesPerEU: 1
; NumVGPRsForWavesPerEU: 1
; Occupancy: 16
; WaveLimiterHint : 0
; COMPUTE_PGM_RSRC2:SCRATCH_EN: 0
; COMPUTE_PGM_RSRC2:USER_SGPR: 15
; COMPUTE_PGM_RSRC2:TRAP_HANDLER: 0
; COMPUTE_PGM_RSRC2:TGID_X_EN: 1
; COMPUTE_PGM_RSRC2:TGID_Y_EN: 0
; COMPUTE_PGM_RSRC2:TGID_Z_EN: 0
; COMPUTE_PGM_RSRC2:TIDIG_COMP_CNT: 0
	.section	.text._ZN7rocprim17ROCPRIM_400000_NS6detail17trampoline_kernelINS0_14default_configENS1_25transform_config_selectorIlLb0EEEZNS1_14transform_implILb0ES3_S5_NS0_18transform_iteratorINS0_17counting_iteratorImlEEZNS1_24adjacent_difference_implIS3_Lb1ELb0EPlSB_ZN2at6native12_GLOBAL__N_124unique_dim_cuda_templateItEESt5tupleIJNSC_6TensorESH_SH_EERKSH_lbbbEUlllE1_EE10hipError_tPvRmT2_T3_mT4_P12ihipStream_tbEUlmE_lEESB_NS0_8identityIvEEEESM_SP_SQ_mSR_ST_bEUlT_E_NS1_11comp_targetILNS1_3genE10ELNS1_11target_archE1200ELNS1_3gpuE4ELNS1_3repE0EEENS1_30default_config_static_selectorELNS0_4arch9wavefront6targetE0EEEvT1_,"axG",@progbits,_ZN7rocprim17ROCPRIM_400000_NS6detail17trampoline_kernelINS0_14default_configENS1_25transform_config_selectorIlLb0EEEZNS1_14transform_implILb0ES3_S5_NS0_18transform_iteratorINS0_17counting_iteratorImlEEZNS1_24adjacent_difference_implIS3_Lb1ELb0EPlSB_ZN2at6native12_GLOBAL__N_124unique_dim_cuda_templateItEESt5tupleIJNSC_6TensorESH_SH_EERKSH_lbbbEUlllE1_EE10hipError_tPvRmT2_T3_mT4_P12ihipStream_tbEUlmE_lEESB_NS0_8identityIvEEEESM_SP_SQ_mSR_ST_bEUlT_E_NS1_11comp_targetILNS1_3genE10ELNS1_11target_archE1200ELNS1_3gpuE4ELNS1_3repE0EEENS1_30default_config_static_selectorELNS0_4arch9wavefront6targetE0EEEvT1_,comdat
	.globl	_ZN7rocprim17ROCPRIM_400000_NS6detail17trampoline_kernelINS0_14default_configENS1_25transform_config_selectorIlLb0EEEZNS1_14transform_implILb0ES3_S5_NS0_18transform_iteratorINS0_17counting_iteratorImlEEZNS1_24adjacent_difference_implIS3_Lb1ELb0EPlSB_ZN2at6native12_GLOBAL__N_124unique_dim_cuda_templateItEESt5tupleIJNSC_6TensorESH_SH_EERKSH_lbbbEUlllE1_EE10hipError_tPvRmT2_T3_mT4_P12ihipStream_tbEUlmE_lEESB_NS0_8identityIvEEEESM_SP_SQ_mSR_ST_bEUlT_E_NS1_11comp_targetILNS1_3genE10ELNS1_11target_archE1200ELNS1_3gpuE4ELNS1_3repE0EEENS1_30default_config_static_selectorELNS0_4arch9wavefront6targetE0EEEvT1_ ; -- Begin function _ZN7rocprim17ROCPRIM_400000_NS6detail17trampoline_kernelINS0_14default_configENS1_25transform_config_selectorIlLb0EEEZNS1_14transform_implILb0ES3_S5_NS0_18transform_iteratorINS0_17counting_iteratorImlEEZNS1_24adjacent_difference_implIS3_Lb1ELb0EPlSB_ZN2at6native12_GLOBAL__N_124unique_dim_cuda_templateItEESt5tupleIJNSC_6TensorESH_SH_EERKSH_lbbbEUlllE1_EE10hipError_tPvRmT2_T3_mT4_P12ihipStream_tbEUlmE_lEESB_NS0_8identityIvEEEESM_SP_SQ_mSR_ST_bEUlT_E_NS1_11comp_targetILNS1_3genE10ELNS1_11target_archE1200ELNS1_3gpuE4ELNS1_3repE0EEENS1_30default_config_static_selectorELNS0_4arch9wavefront6targetE0EEEvT1_
	.p2align	8
	.type	_ZN7rocprim17ROCPRIM_400000_NS6detail17trampoline_kernelINS0_14default_configENS1_25transform_config_selectorIlLb0EEEZNS1_14transform_implILb0ES3_S5_NS0_18transform_iteratorINS0_17counting_iteratorImlEEZNS1_24adjacent_difference_implIS3_Lb1ELb0EPlSB_ZN2at6native12_GLOBAL__N_124unique_dim_cuda_templateItEESt5tupleIJNSC_6TensorESH_SH_EERKSH_lbbbEUlllE1_EE10hipError_tPvRmT2_T3_mT4_P12ihipStream_tbEUlmE_lEESB_NS0_8identityIvEEEESM_SP_SQ_mSR_ST_bEUlT_E_NS1_11comp_targetILNS1_3genE10ELNS1_11target_archE1200ELNS1_3gpuE4ELNS1_3repE0EEENS1_30default_config_static_selectorELNS0_4arch9wavefront6targetE0EEEvT1_,@function
_ZN7rocprim17ROCPRIM_400000_NS6detail17trampoline_kernelINS0_14default_configENS1_25transform_config_selectorIlLb0EEEZNS1_14transform_implILb0ES3_S5_NS0_18transform_iteratorINS0_17counting_iteratorImlEEZNS1_24adjacent_difference_implIS3_Lb1ELb0EPlSB_ZN2at6native12_GLOBAL__N_124unique_dim_cuda_templateItEESt5tupleIJNSC_6TensorESH_SH_EERKSH_lbbbEUlllE1_EE10hipError_tPvRmT2_T3_mT4_P12ihipStream_tbEUlmE_lEESB_NS0_8identityIvEEEESM_SP_SQ_mSR_ST_bEUlT_E_NS1_11comp_targetILNS1_3genE10ELNS1_11target_archE1200ELNS1_3gpuE4ELNS1_3repE0EEENS1_30default_config_static_selectorELNS0_4arch9wavefront6targetE0EEEvT1_: ; @_ZN7rocprim17ROCPRIM_400000_NS6detail17trampoline_kernelINS0_14default_configENS1_25transform_config_selectorIlLb0EEEZNS1_14transform_implILb0ES3_S5_NS0_18transform_iteratorINS0_17counting_iteratorImlEEZNS1_24adjacent_difference_implIS3_Lb1ELb0EPlSB_ZN2at6native12_GLOBAL__N_124unique_dim_cuda_templateItEESt5tupleIJNSC_6TensorESH_SH_EERKSH_lbbbEUlllE1_EE10hipError_tPvRmT2_T3_mT4_P12ihipStream_tbEUlmE_lEESB_NS0_8identityIvEEEESM_SP_SQ_mSR_ST_bEUlT_E_NS1_11comp_targetILNS1_3genE10ELNS1_11target_archE1200ELNS1_3gpuE4ELNS1_3repE0EEENS1_30default_config_static_selectorELNS0_4arch9wavefront6targetE0EEEvT1_
; %bb.0:
	.section	.rodata,"a",@progbits
	.p2align	6, 0x0
	.amdhsa_kernel _ZN7rocprim17ROCPRIM_400000_NS6detail17trampoline_kernelINS0_14default_configENS1_25transform_config_selectorIlLb0EEEZNS1_14transform_implILb0ES3_S5_NS0_18transform_iteratorINS0_17counting_iteratorImlEEZNS1_24adjacent_difference_implIS3_Lb1ELb0EPlSB_ZN2at6native12_GLOBAL__N_124unique_dim_cuda_templateItEESt5tupleIJNSC_6TensorESH_SH_EERKSH_lbbbEUlllE1_EE10hipError_tPvRmT2_T3_mT4_P12ihipStream_tbEUlmE_lEESB_NS0_8identityIvEEEESM_SP_SQ_mSR_ST_bEUlT_E_NS1_11comp_targetILNS1_3genE10ELNS1_11target_archE1200ELNS1_3gpuE4ELNS1_3repE0EEENS1_30default_config_static_selectorELNS0_4arch9wavefront6targetE0EEEvT1_
		.amdhsa_group_segment_fixed_size 0
		.amdhsa_private_segment_fixed_size 0
		.amdhsa_kernarg_size 56
		.amdhsa_user_sgpr_count 15
		.amdhsa_user_sgpr_dispatch_ptr 0
		.amdhsa_user_sgpr_queue_ptr 0
		.amdhsa_user_sgpr_kernarg_segment_ptr 1
		.amdhsa_user_sgpr_dispatch_id 0
		.amdhsa_user_sgpr_private_segment_size 0
		.amdhsa_wavefront_size32 1
		.amdhsa_uses_dynamic_stack 0
		.amdhsa_enable_private_segment 0
		.amdhsa_system_sgpr_workgroup_id_x 1
		.amdhsa_system_sgpr_workgroup_id_y 0
		.amdhsa_system_sgpr_workgroup_id_z 0
		.amdhsa_system_sgpr_workgroup_info 0
		.amdhsa_system_vgpr_workitem_id 0
		.amdhsa_next_free_vgpr 1
		.amdhsa_next_free_sgpr 1
		.amdhsa_reserve_vcc 0
		.amdhsa_float_round_mode_32 0
		.amdhsa_float_round_mode_16_64 0
		.amdhsa_float_denorm_mode_32 3
		.amdhsa_float_denorm_mode_16_64 3
		.amdhsa_dx10_clamp 1
		.amdhsa_ieee_mode 1
		.amdhsa_fp16_overflow 0
		.amdhsa_workgroup_processor_mode 1
		.amdhsa_memory_ordered 1
		.amdhsa_forward_progress 0
		.amdhsa_shared_vgpr_count 0
		.amdhsa_exception_fp_ieee_invalid_op 0
		.amdhsa_exception_fp_denorm_src 0
		.amdhsa_exception_fp_ieee_div_zero 0
		.amdhsa_exception_fp_ieee_overflow 0
		.amdhsa_exception_fp_ieee_underflow 0
		.amdhsa_exception_fp_ieee_inexact 0
		.amdhsa_exception_int_div_zero 0
	.end_amdhsa_kernel
	.section	.text._ZN7rocprim17ROCPRIM_400000_NS6detail17trampoline_kernelINS0_14default_configENS1_25transform_config_selectorIlLb0EEEZNS1_14transform_implILb0ES3_S5_NS0_18transform_iteratorINS0_17counting_iteratorImlEEZNS1_24adjacent_difference_implIS3_Lb1ELb0EPlSB_ZN2at6native12_GLOBAL__N_124unique_dim_cuda_templateItEESt5tupleIJNSC_6TensorESH_SH_EERKSH_lbbbEUlllE1_EE10hipError_tPvRmT2_T3_mT4_P12ihipStream_tbEUlmE_lEESB_NS0_8identityIvEEEESM_SP_SQ_mSR_ST_bEUlT_E_NS1_11comp_targetILNS1_3genE10ELNS1_11target_archE1200ELNS1_3gpuE4ELNS1_3repE0EEENS1_30default_config_static_selectorELNS0_4arch9wavefront6targetE0EEEvT1_,"axG",@progbits,_ZN7rocprim17ROCPRIM_400000_NS6detail17trampoline_kernelINS0_14default_configENS1_25transform_config_selectorIlLb0EEEZNS1_14transform_implILb0ES3_S5_NS0_18transform_iteratorINS0_17counting_iteratorImlEEZNS1_24adjacent_difference_implIS3_Lb1ELb0EPlSB_ZN2at6native12_GLOBAL__N_124unique_dim_cuda_templateItEESt5tupleIJNSC_6TensorESH_SH_EERKSH_lbbbEUlllE1_EE10hipError_tPvRmT2_T3_mT4_P12ihipStream_tbEUlmE_lEESB_NS0_8identityIvEEEESM_SP_SQ_mSR_ST_bEUlT_E_NS1_11comp_targetILNS1_3genE10ELNS1_11target_archE1200ELNS1_3gpuE4ELNS1_3repE0EEENS1_30default_config_static_selectorELNS0_4arch9wavefront6targetE0EEEvT1_,comdat
.Lfunc_end1406:
	.size	_ZN7rocprim17ROCPRIM_400000_NS6detail17trampoline_kernelINS0_14default_configENS1_25transform_config_selectorIlLb0EEEZNS1_14transform_implILb0ES3_S5_NS0_18transform_iteratorINS0_17counting_iteratorImlEEZNS1_24adjacent_difference_implIS3_Lb1ELb0EPlSB_ZN2at6native12_GLOBAL__N_124unique_dim_cuda_templateItEESt5tupleIJNSC_6TensorESH_SH_EERKSH_lbbbEUlllE1_EE10hipError_tPvRmT2_T3_mT4_P12ihipStream_tbEUlmE_lEESB_NS0_8identityIvEEEESM_SP_SQ_mSR_ST_bEUlT_E_NS1_11comp_targetILNS1_3genE10ELNS1_11target_archE1200ELNS1_3gpuE4ELNS1_3repE0EEENS1_30default_config_static_selectorELNS0_4arch9wavefront6targetE0EEEvT1_, .Lfunc_end1406-_ZN7rocprim17ROCPRIM_400000_NS6detail17trampoline_kernelINS0_14default_configENS1_25transform_config_selectorIlLb0EEEZNS1_14transform_implILb0ES3_S5_NS0_18transform_iteratorINS0_17counting_iteratorImlEEZNS1_24adjacent_difference_implIS3_Lb1ELb0EPlSB_ZN2at6native12_GLOBAL__N_124unique_dim_cuda_templateItEESt5tupleIJNSC_6TensorESH_SH_EERKSH_lbbbEUlllE1_EE10hipError_tPvRmT2_T3_mT4_P12ihipStream_tbEUlmE_lEESB_NS0_8identityIvEEEESM_SP_SQ_mSR_ST_bEUlT_E_NS1_11comp_targetILNS1_3genE10ELNS1_11target_archE1200ELNS1_3gpuE4ELNS1_3repE0EEENS1_30default_config_static_selectorELNS0_4arch9wavefront6targetE0EEEvT1_
                                        ; -- End function
	.section	.AMDGPU.csdata,"",@progbits
; Kernel info:
; codeLenInByte = 0
; NumSgprs: 0
; NumVgprs: 0
; ScratchSize: 0
; MemoryBound: 0
; FloatMode: 240
; IeeeMode: 1
; LDSByteSize: 0 bytes/workgroup (compile time only)
; SGPRBlocks: 0
; VGPRBlocks: 0
; NumSGPRsForWavesPerEU: 1
; NumVGPRsForWavesPerEU: 1
; Occupancy: 16
; WaveLimiterHint : 0
; COMPUTE_PGM_RSRC2:SCRATCH_EN: 0
; COMPUTE_PGM_RSRC2:USER_SGPR: 15
; COMPUTE_PGM_RSRC2:TRAP_HANDLER: 0
; COMPUTE_PGM_RSRC2:TGID_X_EN: 1
; COMPUTE_PGM_RSRC2:TGID_Y_EN: 0
; COMPUTE_PGM_RSRC2:TGID_Z_EN: 0
; COMPUTE_PGM_RSRC2:TIDIG_COMP_CNT: 0
	.section	.text._ZN7rocprim17ROCPRIM_400000_NS6detail17trampoline_kernelINS0_14default_configENS1_25transform_config_selectorIlLb0EEEZNS1_14transform_implILb0ES3_S5_NS0_18transform_iteratorINS0_17counting_iteratorImlEEZNS1_24adjacent_difference_implIS3_Lb1ELb0EPlSB_ZN2at6native12_GLOBAL__N_124unique_dim_cuda_templateItEESt5tupleIJNSC_6TensorESH_SH_EERKSH_lbbbEUlllE1_EE10hipError_tPvRmT2_T3_mT4_P12ihipStream_tbEUlmE_lEESB_NS0_8identityIvEEEESM_SP_SQ_mSR_ST_bEUlT_E_NS1_11comp_targetILNS1_3genE9ELNS1_11target_archE1100ELNS1_3gpuE3ELNS1_3repE0EEENS1_30default_config_static_selectorELNS0_4arch9wavefront6targetE0EEEvT1_,"axG",@progbits,_ZN7rocprim17ROCPRIM_400000_NS6detail17trampoline_kernelINS0_14default_configENS1_25transform_config_selectorIlLb0EEEZNS1_14transform_implILb0ES3_S5_NS0_18transform_iteratorINS0_17counting_iteratorImlEEZNS1_24adjacent_difference_implIS3_Lb1ELb0EPlSB_ZN2at6native12_GLOBAL__N_124unique_dim_cuda_templateItEESt5tupleIJNSC_6TensorESH_SH_EERKSH_lbbbEUlllE1_EE10hipError_tPvRmT2_T3_mT4_P12ihipStream_tbEUlmE_lEESB_NS0_8identityIvEEEESM_SP_SQ_mSR_ST_bEUlT_E_NS1_11comp_targetILNS1_3genE9ELNS1_11target_archE1100ELNS1_3gpuE3ELNS1_3repE0EEENS1_30default_config_static_selectorELNS0_4arch9wavefront6targetE0EEEvT1_,comdat
	.globl	_ZN7rocprim17ROCPRIM_400000_NS6detail17trampoline_kernelINS0_14default_configENS1_25transform_config_selectorIlLb0EEEZNS1_14transform_implILb0ES3_S5_NS0_18transform_iteratorINS0_17counting_iteratorImlEEZNS1_24adjacent_difference_implIS3_Lb1ELb0EPlSB_ZN2at6native12_GLOBAL__N_124unique_dim_cuda_templateItEESt5tupleIJNSC_6TensorESH_SH_EERKSH_lbbbEUlllE1_EE10hipError_tPvRmT2_T3_mT4_P12ihipStream_tbEUlmE_lEESB_NS0_8identityIvEEEESM_SP_SQ_mSR_ST_bEUlT_E_NS1_11comp_targetILNS1_3genE9ELNS1_11target_archE1100ELNS1_3gpuE3ELNS1_3repE0EEENS1_30default_config_static_selectorELNS0_4arch9wavefront6targetE0EEEvT1_ ; -- Begin function _ZN7rocprim17ROCPRIM_400000_NS6detail17trampoline_kernelINS0_14default_configENS1_25transform_config_selectorIlLb0EEEZNS1_14transform_implILb0ES3_S5_NS0_18transform_iteratorINS0_17counting_iteratorImlEEZNS1_24adjacent_difference_implIS3_Lb1ELb0EPlSB_ZN2at6native12_GLOBAL__N_124unique_dim_cuda_templateItEESt5tupleIJNSC_6TensorESH_SH_EERKSH_lbbbEUlllE1_EE10hipError_tPvRmT2_T3_mT4_P12ihipStream_tbEUlmE_lEESB_NS0_8identityIvEEEESM_SP_SQ_mSR_ST_bEUlT_E_NS1_11comp_targetILNS1_3genE9ELNS1_11target_archE1100ELNS1_3gpuE3ELNS1_3repE0EEENS1_30default_config_static_selectorELNS0_4arch9wavefront6targetE0EEEvT1_
	.p2align	8
	.type	_ZN7rocprim17ROCPRIM_400000_NS6detail17trampoline_kernelINS0_14default_configENS1_25transform_config_selectorIlLb0EEEZNS1_14transform_implILb0ES3_S5_NS0_18transform_iteratorINS0_17counting_iteratorImlEEZNS1_24adjacent_difference_implIS3_Lb1ELb0EPlSB_ZN2at6native12_GLOBAL__N_124unique_dim_cuda_templateItEESt5tupleIJNSC_6TensorESH_SH_EERKSH_lbbbEUlllE1_EE10hipError_tPvRmT2_T3_mT4_P12ihipStream_tbEUlmE_lEESB_NS0_8identityIvEEEESM_SP_SQ_mSR_ST_bEUlT_E_NS1_11comp_targetILNS1_3genE9ELNS1_11target_archE1100ELNS1_3gpuE3ELNS1_3repE0EEENS1_30default_config_static_selectorELNS0_4arch9wavefront6targetE0EEEvT1_,@function
_ZN7rocprim17ROCPRIM_400000_NS6detail17trampoline_kernelINS0_14default_configENS1_25transform_config_selectorIlLb0EEEZNS1_14transform_implILb0ES3_S5_NS0_18transform_iteratorINS0_17counting_iteratorImlEEZNS1_24adjacent_difference_implIS3_Lb1ELb0EPlSB_ZN2at6native12_GLOBAL__N_124unique_dim_cuda_templateItEESt5tupleIJNSC_6TensorESH_SH_EERKSH_lbbbEUlllE1_EE10hipError_tPvRmT2_T3_mT4_P12ihipStream_tbEUlmE_lEESB_NS0_8identityIvEEEESM_SP_SQ_mSR_ST_bEUlT_E_NS1_11comp_targetILNS1_3genE9ELNS1_11target_archE1100ELNS1_3gpuE3ELNS1_3repE0EEENS1_30default_config_static_selectorELNS0_4arch9wavefront6targetE0EEEvT1_: ; @_ZN7rocprim17ROCPRIM_400000_NS6detail17trampoline_kernelINS0_14default_configENS1_25transform_config_selectorIlLb0EEEZNS1_14transform_implILb0ES3_S5_NS0_18transform_iteratorINS0_17counting_iteratorImlEEZNS1_24adjacent_difference_implIS3_Lb1ELb0EPlSB_ZN2at6native12_GLOBAL__N_124unique_dim_cuda_templateItEESt5tupleIJNSC_6TensorESH_SH_EERKSH_lbbbEUlllE1_EE10hipError_tPvRmT2_T3_mT4_P12ihipStream_tbEUlmE_lEESB_NS0_8identityIvEEEESM_SP_SQ_mSR_ST_bEUlT_E_NS1_11comp_targetILNS1_3genE9ELNS1_11target_archE1100ELNS1_3gpuE3ELNS1_3repE0EEENS1_30default_config_static_selectorELNS0_4arch9wavefront6targetE0EEEvT1_
; %bb.0:
	s_clause 0x4
	s_load_b128 s[4:7], s[0:1], 0x0
	s_load_b64 s[2:3], s[0:1], 0x18
	s_load_b64 s[12:13], s[0:1], 0x28
	s_load_b32 s11, s[0:1], 0x38
	s_load_b32 s8, s[0:1], 0x10
	s_waitcnt lgkmcnt(0)
	s_add_u32 s9, s2, s4
	s_addc_u32 s10, s3, s5
	s_lshl_b64 s[2:3], s[2:3], 3
	s_delay_alu instid0(SALU_CYCLE_1)
	s_add_u32 s4, s12, s2
	s_addc_u32 s5, s13, s3
	s_add_i32 s11, s11, -1
	s_lshl_b32 s2, s15, 9
	s_mov_b32 s3, 0
	s_cmp_lg_u32 s15, s11
	s_mov_b32 s11, -1
	s_cbranch_scc0 .LBB1407_2
; %bb.1:
	s_add_u32 s11, s9, s2
	s_addc_u32 s12, s10, 0
	v_add_co_u32 v3, s11, s11, v0
	s_delay_alu instid0(VALU_DEP_1) | instskip(SKIP_1) | instid1(VALU_DEP_2)
	v_add_co_ci_u32_e64 v5, null, s12, 0, s11
	s_lshl_b64 s[12:13], s[2:3], 3
	v_mad_u64_u32 v[1:2], null, v3, s8, 0
	s_add_u32 s12, s4, s12
	s_addc_u32 s13, s5, s13
	s_mov_b32 s11, s3
	s_delay_alu instid0(VALU_DEP_1) | instskip(NEXT) | instid1(VALU_DEP_1)
	v_mad_u64_u32 v[3:4], null, v5, s8, v[2:3]
	v_dual_mov_b32 v2, v3 :: v_dual_lshlrev_b32 v3, 3, v0
	s_delay_alu instid0(VALU_DEP_1) | instskip(NEXT) | instid1(VALU_DEP_1)
	v_lshlrev_b64 v[1:2], 3, v[1:2]
	v_add_co_u32 v1, vcc_lo, s6, v1
	s_delay_alu instid0(VALU_DEP_2)
	v_add_co_ci_u32_e32 v2, vcc_lo, s7, v2, vcc_lo
	global_load_b64 v[1:2], v[1:2], off
	s_waitcnt vmcnt(0)
	global_store_b64 v3, v[1:2], s[12:13]
.LBB1407_2:
	s_and_not1_b32 vcc_lo, exec_lo, s11
	s_cbranch_vccnz .LBB1407_7
; %bb.3:
	s_load_b32 s0, s[0:1], 0x20
                                        ; implicit-def: $vgpr1_vgpr2
	s_waitcnt lgkmcnt(0)
	s_sub_i32 s0, s0, s2
	s_delay_alu instid0(SALU_CYCLE_1)
	v_cmp_gt_u32_e32 vcc_lo, s0, v0
	s_and_saveexec_b32 s1, vcc_lo
	s_cbranch_execz .LBB1407_5
; %bb.4:
	s_add_u32 s0, s9, s2
	s_addc_u32 s9, s10, 0
	v_add_co_u32 v3, s0, s0, v0
	s_delay_alu instid0(VALU_DEP_1) | instskip(NEXT) | instid1(VALU_DEP_2)
	v_add_co_ci_u32_e64 v5, null, s9, 0, s0
	v_mad_u64_u32 v[1:2], null, v3, s8, 0
	s_delay_alu instid0(VALU_DEP_1) | instskip(NEXT) | instid1(VALU_DEP_1)
	v_mad_u64_u32 v[3:4], null, v5, s8, v[2:3]
	v_mov_b32_e32 v2, v3
	s_delay_alu instid0(VALU_DEP_1) | instskip(NEXT) | instid1(VALU_DEP_1)
	v_lshlrev_b64 v[1:2], 3, v[1:2]
	v_add_co_u32 v1, s0, s6, v1
	s_delay_alu instid0(VALU_DEP_1)
	v_add_co_ci_u32_e64 v2, s0, s7, v2, s0
	global_load_b64 v[1:2], v[1:2], off
.LBB1407_5:
	s_or_b32 exec_lo, exec_lo, s1
	s_and_saveexec_b32 s0, vcc_lo
	s_cbranch_execz .LBB1407_7
; %bb.6:
	s_lshl_b64 s[0:1], s[2:3], 3
	v_lshlrev_b32_e32 v0, 3, v0
	s_add_u32 s0, s4, s0
	s_addc_u32 s1, s5, s1
	s_waitcnt vmcnt(0)
	global_store_b64 v0, v[1:2], s[0:1]
.LBB1407_7:
	s_nop 0
	s_sendmsg sendmsg(MSG_DEALLOC_VGPRS)
	s_endpgm
	.section	.rodata,"a",@progbits
	.p2align	6, 0x0
	.amdhsa_kernel _ZN7rocprim17ROCPRIM_400000_NS6detail17trampoline_kernelINS0_14default_configENS1_25transform_config_selectorIlLb0EEEZNS1_14transform_implILb0ES3_S5_NS0_18transform_iteratorINS0_17counting_iteratorImlEEZNS1_24adjacent_difference_implIS3_Lb1ELb0EPlSB_ZN2at6native12_GLOBAL__N_124unique_dim_cuda_templateItEESt5tupleIJNSC_6TensorESH_SH_EERKSH_lbbbEUlllE1_EE10hipError_tPvRmT2_T3_mT4_P12ihipStream_tbEUlmE_lEESB_NS0_8identityIvEEEESM_SP_SQ_mSR_ST_bEUlT_E_NS1_11comp_targetILNS1_3genE9ELNS1_11target_archE1100ELNS1_3gpuE3ELNS1_3repE0EEENS1_30default_config_static_selectorELNS0_4arch9wavefront6targetE0EEEvT1_
		.amdhsa_group_segment_fixed_size 0
		.amdhsa_private_segment_fixed_size 0
		.amdhsa_kernarg_size 312
		.amdhsa_user_sgpr_count 15
		.amdhsa_user_sgpr_dispatch_ptr 0
		.amdhsa_user_sgpr_queue_ptr 0
		.amdhsa_user_sgpr_kernarg_segment_ptr 1
		.amdhsa_user_sgpr_dispatch_id 0
		.amdhsa_user_sgpr_private_segment_size 0
		.amdhsa_wavefront_size32 1
		.amdhsa_uses_dynamic_stack 0
		.amdhsa_enable_private_segment 0
		.amdhsa_system_sgpr_workgroup_id_x 1
		.amdhsa_system_sgpr_workgroup_id_y 0
		.amdhsa_system_sgpr_workgroup_id_z 0
		.amdhsa_system_sgpr_workgroup_info 0
		.amdhsa_system_vgpr_workitem_id 0
		.amdhsa_next_free_vgpr 6
		.amdhsa_next_free_sgpr 16
		.amdhsa_reserve_vcc 1
		.amdhsa_float_round_mode_32 0
		.amdhsa_float_round_mode_16_64 0
		.amdhsa_float_denorm_mode_32 3
		.amdhsa_float_denorm_mode_16_64 3
		.amdhsa_dx10_clamp 1
		.amdhsa_ieee_mode 1
		.amdhsa_fp16_overflow 0
		.amdhsa_workgroup_processor_mode 1
		.amdhsa_memory_ordered 1
		.amdhsa_forward_progress 0
		.amdhsa_shared_vgpr_count 0
		.amdhsa_exception_fp_ieee_invalid_op 0
		.amdhsa_exception_fp_denorm_src 0
		.amdhsa_exception_fp_ieee_div_zero 0
		.amdhsa_exception_fp_ieee_overflow 0
		.amdhsa_exception_fp_ieee_underflow 0
		.amdhsa_exception_fp_ieee_inexact 0
		.amdhsa_exception_int_div_zero 0
	.end_amdhsa_kernel
	.section	.text._ZN7rocprim17ROCPRIM_400000_NS6detail17trampoline_kernelINS0_14default_configENS1_25transform_config_selectorIlLb0EEEZNS1_14transform_implILb0ES3_S5_NS0_18transform_iteratorINS0_17counting_iteratorImlEEZNS1_24adjacent_difference_implIS3_Lb1ELb0EPlSB_ZN2at6native12_GLOBAL__N_124unique_dim_cuda_templateItEESt5tupleIJNSC_6TensorESH_SH_EERKSH_lbbbEUlllE1_EE10hipError_tPvRmT2_T3_mT4_P12ihipStream_tbEUlmE_lEESB_NS0_8identityIvEEEESM_SP_SQ_mSR_ST_bEUlT_E_NS1_11comp_targetILNS1_3genE9ELNS1_11target_archE1100ELNS1_3gpuE3ELNS1_3repE0EEENS1_30default_config_static_selectorELNS0_4arch9wavefront6targetE0EEEvT1_,"axG",@progbits,_ZN7rocprim17ROCPRIM_400000_NS6detail17trampoline_kernelINS0_14default_configENS1_25transform_config_selectorIlLb0EEEZNS1_14transform_implILb0ES3_S5_NS0_18transform_iteratorINS0_17counting_iteratorImlEEZNS1_24adjacent_difference_implIS3_Lb1ELb0EPlSB_ZN2at6native12_GLOBAL__N_124unique_dim_cuda_templateItEESt5tupleIJNSC_6TensorESH_SH_EERKSH_lbbbEUlllE1_EE10hipError_tPvRmT2_T3_mT4_P12ihipStream_tbEUlmE_lEESB_NS0_8identityIvEEEESM_SP_SQ_mSR_ST_bEUlT_E_NS1_11comp_targetILNS1_3genE9ELNS1_11target_archE1100ELNS1_3gpuE3ELNS1_3repE0EEENS1_30default_config_static_selectorELNS0_4arch9wavefront6targetE0EEEvT1_,comdat
.Lfunc_end1407:
	.size	_ZN7rocprim17ROCPRIM_400000_NS6detail17trampoline_kernelINS0_14default_configENS1_25transform_config_selectorIlLb0EEEZNS1_14transform_implILb0ES3_S5_NS0_18transform_iteratorINS0_17counting_iteratorImlEEZNS1_24adjacent_difference_implIS3_Lb1ELb0EPlSB_ZN2at6native12_GLOBAL__N_124unique_dim_cuda_templateItEESt5tupleIJNSC_6TensorESH_SH_EERKSH_lbbbEUlllE1_EE10hipError_tPvRmT2_T3_mT4_P12ihipStream_tbEUlmE_lEESB_NS0_8identityIvEEEESM_SP_SQ_mSR_ST_bEUlT_E_NS1_11comp_targetILNS1_3genE9ELNS1_11target_archE1100ELNS1_3gpuE3ELNS1_3repE0EEENS1_30default_config_static_selectorELNS0_4arch9wavefront6targetE0EEEvT1_, .Lfunc_end1407-_ZN7rocprim17ROCPRIM_400000_NS6detail17trampoline_kernelINS0_14default_configENS1_25transform_config_selectorIlLb0EEEZNS1_14transform_implILb0ES3_S5_NS0_18transform_iteratorINS0_17counting_iteratorImlEEZNS1_24adjacent_difference_implIS3_Lb1ELb0EPlSB_ZN2at6native12_GLOBAL__N_124unique_dim_cuda_templateItEESt5tupleIJNSC_6TensorESH_SH_EERKSH_lbbbEUlllE1_EE10hipError_tPvRmT2_T3_mT4_P12ihipStream_tbEUlmE_lEESB_NS0_8identityIvEEEESM_SP_SQ_mSR_ST_bEUlT_E_NS1_11comp_targetILNS1_3genE9ELNS1_11target_archE1100ELNS1_3gpuE3ELNS1_3repE0EEENS1_30default_config_static_selectorELNS0_4arch9wavefront6targetE0EEEvT1_
                                        ; -- End function
	.section	.AMDGPU.csdata,"",@progbits
; Kernel info:
; codeLenInByte = 400
; NumSgprs: 18
; NumVgprs: 6
; ScratchSize: 0
; MemoryBound: 0
; FloatMode: 240
; IeeeMode: 1
; LDSByteSize: 0 bytes/workgroup (compile time only)
; SGPRBlocks: 2
; VGPRBlocks: 0
; NumSGPRsForWavesPerEU: 18
; NumVGPRsForWavesPerEU: 6
; Occupancy: 16
; WaveLimiterHint : 0
; COMPUTE_PGM_RSRC2:SCRATCH_EN: 0
; COMPUTE_PGM_RSRC2:USER_SGPR: 15
; COMPUTE_PGM_RSRC2:TRAP_HANDLER: 0
; COMPUTE_PGM_RSRC2:TGID_X_EN: 1
; COMPUTE_PGM_RSRC2:TGID_Y_EN: 0
; COMPUTE_PGM_RSRC2:TGID_Z_EN: 0
; COMPUTE_PGM_RSRC2:TIDIG_COMP_CNT: 0
	.section	.text._ZN7rocprim17ROCPRIM_400000_NS6detail17trampoline_kernelINS0_14default_configENS1_25transform_config_selectorIlLb0EEEZNS1_14transform_implILb0ES3_S5_NS0_18transform_iteratorINS0_17counting_iteratorImlEEZNS1_24adjacent_difference_implIS3_Lb1ELb0EPlSB_ZN2at6native12_GLOBAL__N_124unique_dim_cuda_templateItEESt5tupleIJNSC_6TensorESH_SH_EERKSH_lbbbEUlllE1_EE10hipError_tPvRmT2_T3_mT4_P12ihipStream_tbEUlmE_lEESB_NS0_8identityIvEEEESM_SP_SQ_mSR_ST_bEUlT_E_NS1_11comp_targetILNS1_3genE8ELNS1_11target_archE1030ELNS1_3gpuE2ELNS1_3repE0EEENS1_30default_config_static_selectorELNS0_4arch9wavefront6targetE0EEEvT1_,"axG",@progbits,_ZN7rocprim17ROCPRIM_400000_NS6detail17trampoline_kernelINS0_14default_configENS1_25transform_config_selectorIlLb0EEEZNS1_14transform_implILb0ES3_S5_NS0_18transform_iteratorINS0_17counting_iteratorImlEEZNS1_24adjacent_difference_implIS3_Lb1ELb0EPlSB_ZN2at6native12_GLOBAL__N_124unique_dim_cuda_templateItEESt5tupleIJNSC_6TensorESH_SH_EERKSH_lbbbEUlllE1_EE10hipError_tPvRmT2_T3_mT4_P12ihipStream_tbEUlmE_lEESB_NS0_8identityIvEEEESM_SP_SQ_mSR_ST_bEUlT_E_NS1_11comp_targetILNS1_3genE8ELNS1_11target_archE1030ELNS1_3gpuE2ELNS1_3repE0EEENS1_30default_config_static_selectorELNS0_4arch9wavefront6targetE0EEEvT1_,comdat
	.globl	_ZN7rocprim17ROCPRIM_400000_NS6detail17trampoline_kernelINS0_14default_configENS1_25transform_config_selectorIlLb0EEEZNS1_14transform_implILb0ES3_S5_NS0_18transform_iteratorINS0_17counting_iteratorImlEEZNS1_24adjacent_difference_implIS3_Lb1ELb0EPlSB_ZN2at6native12_GLOBAL__N_124unique_dim_cuda_templateItEESt5tupleIJNSC_6TensorESH_SH_EERKSH_lbbbEUlllE1_EE10hipError_tPvRmT2_T3_mT4_P12ihipStream_tbEUlmE_lEESB_NS0_8identityIvEEEESM_SP_SQ_mSR_ST_bEUlT_E_NS1_11comp_targetILNS1_3genE8ELNS1_11target_archE1030ELNS1_3gpuE2ELNS1_3repE0EEENS1_30default_config_static_selectorELNS0_4arch9wavefront6targetE0EEEvT1_ ; -- Begin function _ZN7rocprim17ROCPRIM_400000_NS6detail17trampoline_kernelINS0_14default_configENS1_25transform_config_selectorIlLb0EEEZNS1_14transform_implILb0ES3_S5_NS0_18transform_iteratorINS0_17counting_iteratorImlEEZNS1_24adjacent_difference_implIS3_Lb1ELb0EPlSB_ZN2at6native12_GLOBAL__N_124unique_dim_cuda_templateItEESt5tupleIJNSC_6TensorESH_SH_EERKSH_lbbbEUlllE1_EE10hipError_tPvRmT2_T3_mT4_P12ihipStream_tbEUlmE_lEESB_NS0_8identityIvEEEESM_SP_SQ_mSR_ST_bEUlT_E_NS1_11comp_targetILNS1_3genE8ELNS1_11target_archE1030ELNS1_3gpuE2ELNS1_3repE0EEENS1_30default_config_static_selectorELNS0_4arch9wavefront6targetE0EEEvT1_
	.p2align	8
	.type	_ZN7rocprim17ROCPRIM_400000_NS6detail17trampoline_kernelINS0_14default_configENS1_25transform_config_selectorIlLb0EEEZNS1_14transform_implILb0ES3_S5_NS0_18transform_iteratorINS0_17counting_iteratorImlEEZNS1_24adjacent_difference_implIS3_Lb1ELb0EPlSB_ZN2at6native12_GLOBAL__N_124unique_dim_cuda_templateItEESt5tupleIJNSC_6TensorESH_SH_EERKSH_lbbbEUlllE1_EE10hipError_tPvRmT2_T3_mT4_P12ihipStream_tbEUlmE_lEESB_NS0_8identityIvEEEESM_SP_SQ_mSR_ST_bEUlT_E_NS1_11comp_targetILNS1_3genE8ELNS1_11target_archE1030ELNS1_3gpuE2ELNS1_3repE0EEENS1_30default_config_static_selectorELNS0_4arch9wavefront6targetE0EEEvT1_,@function
_ZN7rocprim17ROCPRIM_400000_NS6detail17trampoline_kernelINS0_14default_configENS1_25transform_config_selectorIlLb0EEEZNS1_14transform_implILb0ES3_S5_NS0_18transform_iteratorINS0_17counting_iteratorImlEEZNS1_24adjacent_difference_implIS3_Lb1ELb0EPlSB_ZN2at6native12_GLOBAL__N_124unique_dim_cuda_templateItEESt5tupleIJNSC_6TensorESH_SH_EERKSH_lbbbEUlllE1_EE10hipError_tPvRmT2_T3_mT4_P12ihipStream_tbEUlmE_lEESB_NS0_8identityIvEEEESM_SP_SQ_mSR_ST_bEUlT_E_NS1_11comp_targetILNS1_3genE8ELNS1_11target_archE1030ELNS1_3gpuE2ELNS1_3repE0EEENS1_30default_config_static_selectorELNS0_4arch9wavefront6targetE0EEEvT1_: ; @_ZN7rocprim17ROCPRIM_400000_NS6detail17trampoline_kernelINS0_14default_configENS1_25transform_config_selectorIlLb0EEEZNS1_14transform_implILb0ES3_S5_NS0_18transform_iteratorINS0_17counting_iteratorImlEEZNS1_24adjacent_difference_implIS3_Lb1ELb0EPlSB_ZN2at6native12_GLOBAL__N_124unique_dim_cuda_templateItEESt5tupleIJNSC_6TensorESH_SH_EERKSH_lbbbEUlllE1_EE10hipError_tPvRmT2_T3_mT4_P12ihipStream_tbEUlmE_lEESB_NS0_8identityIvEEEESM_SP_SQ_mSR_ST_bEUlT_E_NS1_11comp_targetILNS1_3genE8ELNS1_11target_archE1030ELNS1_3gpuE2ELNS1_3repE0EEENS1_30default_config_static_selectorELNS0_4arch9wavefront6targetE0EEEvT1_
; %bb.0:
	.section	.rodata,"a",@progbits
	.p2align	6, 0x0
	.amdhsa_kernel _ZN7rocprim17ROCPRIM_400000_NS6detail17trampoline_kernelINS0_14default_configENS1_25transform_config_selectorIlLb0EEEZNS1_14transform_implILb0ES3_S5_NS0_18transform_iteratorINS0_17counting_iteratorImlEEZNS1_24adjacent_difference_implIS3_Lb1ELb0EPlSB_ZN2at6native12_GLOBAL__N_124unique_dim_cuda_templateItEESt5tupleIJNSC_6TensorESH_SH_EERKSH_lbbbEUlllE1_EE10hipError_tPvRmT2_T3_mT4_P12ihipStream_tbEUlmE_lEESB_NS0_8identityIvEEEESM_SP_SQ_mSR_ST_bEUlT_E_NS1_11comp_targetILNS1_3genE8ELNS1_11target_archE1030ELNS1_3gpuE2ELNS1_3repE0EEENS1_30default_config_static_selectorELNS0_4arch9wavefront6targetE0EEEvT1_
		.amdhsa_group_segment_fixed_size 0
		.amdhsa_private_segment_fixed_size 0
		.amdhsa_kernarg_size 56
		.amdhsa_user_sgpr_count 15
		.amdhsa_user_sgpr_dispatch_ptr 0
		.amdhsa_user_sgpr_queue_ptr 0
		.amdhsa_user_sgpr_kernarg_segment_ptr 1
		.amdhsa_user_sgpr_dispatch_id 0
		.amdhsa_user_sgpr_private_segment_size 0
		.amdhsa_wavefront_size32 1
		.amdhsa_uses_dynamic_stack 0
		.amdhsa_enable_private_segment 0
		.amdhsa_system_sgpr_workgroup_id_x 1
		.amdhsa_system_sgpr_workgroup_id_y 0
		.amdhsa_system_sgpr_workgroup_id_z 0
		.amdhsa_system_sgpr_workgroup_info 0
		.amdhsa_system_vgpr_workitem_id 0
		.amdhsa_next_free_vgpr 1
		.amdhsa_next_free_sgpr 1
		.amdhsa_reserve_vcc 0
		.amdhsa_float_round_mode_32 0
		.amdhsa_float_round_mode_16_64 0
		.amdhsa_float_denorm_mode_32 3
		.amdhsa_float_denorm_mode_16_64 3
		.amdhsa_dx10_clamp 1
		.amdhsa_ieee_mode 1
		.amdhsa_fp16_overflow 0
		.amdhsa_workgroup_processor_mode 1
		.amdhsa_memory_ordered 1
		.amdhsa_forward_progress 0
		.amdhsa_shared_vgpr_count 0
		.amdhsa_exception_fp_ieee_invalid_op 0
		.amdhsa_exception_fp_denorm_src 0
		.amdhsa_exception_fp_ieee_div_zero 0
		.amdhsa_exception_fp_ieee_overflow 0
		.amdhsa_exception_fp_ieee_underflow 0
		.amdhsa_exception_fp_ieee_inexact 0
		.amdhsa_exception_int_div_zero 0
	.end_amdhsa_kernel
	.section	.text._ZN7rocprim17ROCPRIM_400000_NS6detail17trampoline_kernelINS0_14default_configENS1_25transform_config_selectorIlLb0EEEZNS1_14transform_implILb0ES3_S5_NS0_18transform_iteratorINS0_17counting_iteratorImlEEZNS1_24adjacent_difference_implIS3_Lb1ELb0EPlSB_ZN2at6native12_GLOBAL__N_124unique_dim_cuda_templateItEESt5tupleIJNSC_6TensorESH_SH_EERKSH_lbbbEUlllE1_EE10hipError_tPvRmT2_T3_mT4_P12ihipStream_tbEUlmE_lEESB_NS0_8identityIvEEEESM_SP_SQ_mSR_ST_bEUlT_E_NS1_11comp_targetILNS1_3genE8ELNS1_11target_archE1030ELNS1_3gpuE2ELNS1_3repE0EEENS1_30default_config_static_selectorELNS0_4arch9wavefront6targetE0EEEvT1_,"axG",@progbits,_ZN7rocprim17ROCPRIM_400000_NS6detail17trampoline_kernelINS0_14default_configENS1_25transform_config_selectorIlLb0EEEZNS1_14transform_implILb0ES3_S5_NS0_18transform_iteratorINS0_17counting_iteratorImlEEZNS1_24adjacent_difference_implIS3_Lb1ELb0EPlSB_ZN2at6native12_GLOBAL__N_124unique_dim_cuda_templateItEESt5tupleIJNSC_6TensorESH_SH_EERKSH_lbbbEUlllE1_EE10hipError_tPvRmT2_T3_mT4_P12ihipStream_tbEUlmE_lEESB_NS0_8identityIvEEEESM_SP_SQ_mSR_ST_bEUlT_E_NS1_11comp_targetILNS1_3genE8ELNS1_11target_archE1030ELNS1_3gpuE2ELNS1_3repE0EEENS1_30default_config_static_selectorELNS0_4arch9wavefront6targetE0EEEvT1_,comdat
.Lfunc_end1408:
	.size	_ZN7rocprim17ROCPRIM_400000_NS6detail17trampoline_kernelINS0_14default_configENS1_25transform_config_selectorIlLb0EEEZNS1_14transform_implILb0ES3_S5_NS0_18transform_iteratorINS0_17counting_iteratorImlEEZNS1_24adjacent_difference_implIS3_Lb1ELb0EPlSB_ZN2at6native12_GLOBAL__N_124unique_dim_cuda_templateItEESt5tupleIJNSC_6TensorESH_SH_EERKSH_lbbbEUlllE1_EE10hipError_tPvRmT2_T3_mT4_P12ihipStream_tbEUlmE_lEESB_NS0_8identityIvEEEESM_SP_SQ_mSR_ST_bEUlT_E_NS1_11comp_targetILNS1_3genE8ELNS1_11target_archE1030ELNS1_3gpuE2ELNS1_3repE0EEENS1_30default_config_static_selectorELNS0_4arch9wavefront6targetE0EEEvT1_, .Lfunc_end1408-_ZN7rocprim17ROCPRIM_400000_NS6detail17trampoline_kernelINS0_14default_configENS1_25transform_config_selectorIlLb0EEEZNS1_14transform_implILb0ES3_S5_NS0_18transform_iteratorINS0_17counting_iteratorImlEEZNS1_24adjacent_difference_implIS3_Lb1ELb0EPlSB_ZN2at6native12_GLOBAL__N_124unique_dim_cuda_templateItEESt5tupleIJNSC_6TensorESH_SH_EERKSH_lbbbEUlllE1_EE10hipError_tPvRmT2_T3_mT4_P12ihipStream_tbEUlmE_lEESB_NS0_8identityIvEEEESM_SP_SQ_mSR_ST_bEUlT_E_NS1_11comp_targetILNS1_3genE8ELNS1_11target_archE1030ELNS1_3gpuE2ELNS1_3repE0EEENS1_30default_config_static_selectorELNS0_4arch9wavefront6targetE0EEEvT1_
                                        ; -- End function
	.section	.AMDGPU.csdata,"",@progbits
; Kernel info:
; codeLenInByte = 0
; NumSgprs: 0
; NumVgprs: 0
; ScratchSize: 0
; MemoryBound: 0
; FloatMode: 240
; IeeeMode: 1
; LDSByteSize: 0 bytes/workgroup (compile time only)
; SGPRBlocks: 0
; VGPRBlocks: 0
; NumSGPRsForWavesPerEU: 1
; NumVGPRsForWavesPerEU: 1
; Occupancy: 16
; WaveLimiterHint : 0
; COMPUTE_PGM_RSRC2:SCRATCH_EN: 0
; COMPUTE_PGM_RSRC2:USER_SGPR: 15
; COMPUTE_PGM_RSRC2:TRAP_HANDLER: 0
; COMPUTE_PGM_RSRC2:TGID_X_EN: 1
; COMPUTE_PGM_RSRC2:TGID_Y_EN: 0
; COMPUTE_PGM_RSRC2:TGID_Z_EN: 0
; COMPUTE_PGM_RSRC2:TIDIG_COMP_CNT: 0
	.section	.text._ZN7rocprim17ROCPRIM_400000_NS6detail17trampoline_kernelINS0_14default_configENS1_35adjacent_difference_config_selectorILb1ElEEZNS1_24adjacent_difference_implIS3_Lb1ELb0EPlS7_ZN2at6native12_GLOBAL__N_124unique_dim_cuda_templateItEESt5tupleIJNS8_6TensorESD_SD_EERKSD_lbbbEUlllE1_EE10hipError_tPvRmT2_T3_mT4_P12ihipStream_tbEUlT_E_NS1_11comp_targetILNS1_3genE0ELNS1_11target_archE4294967295ELNS1_3gpuE0ELNS1_3repE0EEENS1_30default_config_static_selectorELNS0_4arch9wavefront6targetE0EEEvT1_,"axG",@progbits,_ZN7rocprim17ROCPRIM_400000_NS6detail17trampoline_kernelINS0_14default_configENS1_35adjacent_difference_config_selectorILb1ElEEZNS1_24adjacent_difference_implIS3_Lb1ELb0EPlS7_ZN2at6native12_GLOBAL__N_124unique_dim_cuda_templateItEESt5tupleIJNS8_6TensorESD_SD_EERKSD_lbbbEUlllE1_EE10hipError_tPvRmT2_T3_mT4_P12ihipStream_tbEUlT_E_NS1_11comp_targetILNS1_3genE0ELNS1_11target_archE4294967295ELNS1_3gpuE0ELNS1_3repE0EEENS1_30default_config_static_selectorELNS0_4arch9wavefront6targetE0EEEvT1_,comdat
	.globl	_ZN7rocprim17ROCPRIM_400000_NS6detail17trampoline_kernelINS0_14default_configENS1_35adjacent_difference_config_selectorILb1ElEEZNS1_24adjacent_difference_implIS3_Lb1ELb0EPlS7_ZN2at6native12_GLOBAL__N_124unique_dim_cuda_templateItEESt5tupleIJNS8_6TensorESD_SD_EERKSD_lbbbEUlllE1_EE10hipError_tPvRmT2_T3_mT4_P12ihipStream_tbEUlT_E_NS1_11comp_targetILNS1_3genE0ELNS1_11target_archE4294967295ELNS1_3gpuE0ELNS1_3repE0EEENS1_30default_config_static_selectorELNS0_4arch9wavefront6targetE0EEEvT1_ ; -- Begin function _ZN7rocprim17ROCPRIM_400000_NS6detail17trampoline_kernelINS0_14default_configENS1_35adjacent_difference_config_selectorILb1ElEEZNS1_24adjacent_difference_implIS3_Lb1ELb0EPlS7_ZN2at6native12_GLOBAL__N_124unique_dim_cuda_templateItEESt5tupleIJNS8_6TensorESD_SD_EERKSD_lbbbEUlllE1_EE10hipError_tPvRmT2_T3_mT4_P12ihipStream_tbEUlT_E_NS1_11comp_targetILNS1_3genE0ELNS1_11target_archE4294967295ELNS1_3gpuE0ELNS1_3repE0EEENS1_30default_config_static_selectorELNS0_4arch9wavefront6targetE0EEEvT1_
	.p2align	8
	.type	_ZN7rocprim17ROCPRIM_400000_NS6detail17trampoline_kernelINS0_14default_configENS1_35adjacent_difference_config_selectorILb1ElEEZNS1_24adjacent_difference_implIS3_Lb1ELb0EPlS7_ZN2at6native12_GLOBAL__N_124unique_dim_cuda_templateItEESt5tupleIJNS8_6TensorESD_SD_EERKSD_lbbbEUlllE1_EE10hipError_tPvRmT2_T3_mT4_P12ihipStream_tbEUlT_E_NS1_11comp_targetILNS1_3genE0ELNS1_11target_archE4294967295ELNS1_3gpuE0ELNS1_3repE0EEENS1_30default_config_static_selectorELNS0_4arch9wavefront6targetE0EEEvT1_,@function
_ZN7rocprim17ROCPRIM_400000_NS6detail17trampoline_kernelINS0_14default_configENS1_35adjacent_difference_config_selectorILb1ElEEZNS1_24adjacent_difference_implIS3_Lb1ELb0EPlS7_ZN2at6native12_GLOBAL__N_124unique_dim_cuda_templateItEESt5tupleIJNS8_6TensorESD_SD_EERKSD_lbbbEUlllE1_EE10hipError_tPvRmT2_T3_mT4_P12ihipStream_tbEUlT_E_NS1_11comp_targetILNS1_3genE0ELNS1_11target_archE4294967295ELNS1_3gpuE0ELNS1_3repE0EEENS1_30default_config_static_selectorELNS0_4arch9wavefront6targetE0EEEvT1_: ; @_ZN7rocprim17ROCPRIM_400000_NS6detail17trampoline_kernelINS0_14default_configENS1_35adjacent_difference_config_selectorILb1ElEEZNS1_24adjacent_difference_implIS3_Lb1ELb0EPlS7_ZN2at6native12_GLOBAL__N_124unique_dim_cuda_templateItEESt5tupleIJNS8_6TensorESD_SD_EERKSD_lbbbEUlllE1_EE10hipError_tPvRmT2_T3_mT4_P12ihipStream_tbEUlT_E_NS1_11comp_targetILNS1_3genE0ELNS1_11target_archE4294967295ELNS1_3gpuE0ELNS1_3repE0EEENS1_30default_config_static_selectorELNS0_4arch9wavefront6targetE0EEEvT1_
; %bb.0:
	.section	.rodata,"a",@progbits
	.p2align	6, 0x0
	.amdhsa_kernel _ZN7rocprim17ROCPRIM_400000_NS6detail17trampoline_kernelINS0_14default_configENS1_35adjacent_difference_config_selectorILb1ElEEZNS1_24adjacent_difference_implIS3_Lb1ELb0EPlS7_ZN2at6native12_GLOBAL__N_124unique_dim_cuda_templateItEESt5tupleIJNS8_6TensorESD_SD_EERKSD_lbbbEUlllE1_EE10hipError_tPvRmT2_T3_mT4_P12ihipStream_tbEUlT_E_NS1_11comp_targetILNS1_3genE0ELNS1_11target_archE4294967295ELNS1_3gpuE0ELNS1_3repE0EEENS1_30default_config_static_selectorELNS0_4arch9wavefront6targetE0EEEvT1_
		.amdhsa_group_segment_fixed_size 0
		.amdhsa_private_segment_fixed_size 0
		.amdhsa_kernarg_size 64
		.amdhsa_user_sgpr_count 15
		.amdhsa_user_sgpr_dispatch_ptr 0
		.amdhsa_user_sgpr_queue_ptr 0
		.amdhsa_user_sgpr_kernarg_segment_ptr 1
		.amdhsa_user_sgpr_dispatch_id 0
		.amdhsa_user_sgpr_private_segment_size 0
		.amdhsa_wavefront_size32 1
		.amdhsa_uses_dynamic_stack 0
		.amdhsa_enable_private_segment 0
		.amdhsa_system_sgpr_workgroup_id_x 1
		.amdhsa_system_sgpr_workgroup_id_y 0
		.amdhsa_system_sgpr_workgroup_id_z 0
		.amdhsa_system_sgpr_workgroup_info 0
		.amdhsa_system_vgpr_workitem_id 0
		.amdhsa_next_free_vgpr 1
		.amdhsa_next_free_sgpr 1
		.amdhsa_reserve_vcc 0
		.amdhsa_float_round_mode_32 0
		.amdhsa_float_round_mode_16_64 0
		.amdhsa_float_denorm_mode_32 3
		.amdhsa_float_denorm_mode_16_64 3
		.amdhsa_dx10_clamp 1
		.amdhsa_ieee_mode 1
		.amdhsa_fp16_overflow 0
		.amdhsa_workgroup_processor_mode 1
		.amdhsa_memory_ordered 1
		.amdhsa_forward_progress 0
		.amdhsa_shared_vgpr_count 0
		.amdhsa_exception_fp_ieee_invalid_op 0
		.amdhsa_exception_fp_denorm_src 0
		.amdhsa_exception_fp_ieee_div_zero 0
		.amdhsa_exception_fp_ieee_overflow 0
		.amdhsa_exception_fp_ieee_underflow 0
		.amdhsa_exception_fp_ieee_inexact 0
		.amdhsa_exception_int_div_zero 0
	.end_amdhsa_kernel
	.section	.text._ZN7rocprim17ROCPRIM_400000_NS6detail17trampoline_kernelINS0_14default_configENS1_35adjacent_difference_config_selectorILb1ElEEZNS1_24adjacent_difference_implIS3_Lb1ELb0EPlS7_ZN2at6native12_GLOBAL__N_124unique_dim_cuda_templateItEESt5tupleIJNS8_6TensorESD_SD_EERKSD_lbbbEUlllE1_EE10hipError_tPvRmT2_T3_mT4_P12ihipStream_tbEUlT_E_NS1_11comp_targetILNS1_3genE0ELNS1_11target_archE4294967295ELNS1_3gpuE0ELNS1_3repE0EEENS1_30default_config_static_selectorELNS0_4arch9wavefront6targetE0EEEvT1_,"axG",@progbits,_ZN7rocprim17ROCPRIM_400000_NS6detail17trampoline_kernelINS0_14default_configENS1_35adjacent_difference_config_selectorILb1ElEEZNS1_24adjacent_difference_implIS3_Lb1ELb0EPlS7_ZN2at6native12_GLOBAL__N_124unique_dim_cuda_templateItEESt5tupleIJNS8_6TensorESD_SD_EERKSD_lbbbEUlllE1_EE10hipError_tPvRmT2_T3_mT4_P12ihipStream_tbEUlT_E_NS1_11comp_targetILNS1_3genE0ELNS1_11target_archE4294967295ELNS1_3gpuE0ELNS1_3repE0EEENS1_30default_config_static_selectorELNS0_4arch9wavefront6targetE0EEEvT1_,comdat
.Lfunc_end1409:
	.size	_ZN7rocprim17ROCPRIM_400000_NS6detail17trampoline_kernelINS0_14default_configENS1_35adjacent_difference_config_selectorILb1ElEEZNS1_24adjacent_difference_implIS3_Lb1ELb0EPlS7_ZN2at6native12_GLOBAL__N_124unique_dim_cuda_templateItEESt5tupleIJNS8_6TensorESD_SD_EERKSD_lbbbEUlllE1_EE10hipError_tPvRmT2_T3_mT4_P12ihipStream_tbEUlT_E_NS1_11comp_targetILNS1_3genE0ELNS1_11target_archE4294967295ELNS1_3gpuE0ELNS1_3repE0EEENS1_30default_config_static_selectorELNS0_4arch9wavefront6targetE0EEEvT1_, .Lfunc_end1409-_ZN7rocprim17ROCPRIM_400000_NS6detail17trampoline_kernelINS0_14default_configENS1_35adjacent_difference_config_selectorILb1ElEEZNS1_24adjacent_difference_implIS3_Lb1ELb0EPlS7_ZN2at6native12_GLOBAL__N_124unique_dim_cuda_templateItEESt5tupleIJNS8_6TensorESD_SD_EERKSD_lbbbEUlllE1_EE10hipError_tPvRmT2_T3_mT4_P12ihipStream_tbEUlT_E_NS1_11comp_targetILNS1_3genE0ELNS1_11target_archE4294967295ELNS1_3gpuE0ELNS1_3repE0EEENS1_30default_config_static_selectorELNS0_4arch9wavefront6targetE0EEEvT1_
                                        ; -- End function
	.section	.AMDGPU.csdata,"",@progbits
; Kernel info:
; codeLenInByte = 0
; NumSgprs: 0
; NumVgprs: 0
; ScratchSize: 0
; MemoryBound: 0
; FloatMode: 240
; IeeeMode: 1
; LDSByteSize: 0 bytes/workgroup (compile time only)
; SGPRBlocks: 0
; VGPRBlocks: 0
; NumSGPRsForWavesPerEU: 1
; NumVGPRsForWavesPerEU: 1
; Occupancy: 16
; WaveLimiterHint : 0
; COMPUTE_PGM_RSRC2:SCRATCH_EN: 0
; COMPUTE_PGM_RSRC2:USER_SGPR: 15
; COMPUTE_PGM_RSRC2:TRAP_HANDLER: 0
; COMPUTE_PGM_RSRC2:TGID_X_EN: 1
; COMPUTE_PGM_RSRC2:TGID_Y_EN: 0
; COMPUTE_PGM_RSRC2:TGID_Z_EN: 0
; COMPUTE_PGM_RSRC2:TIDIG_COMP_CNT: 0
	.section	.text._ZN7rocprim17ROCPRIM_400000_NS6detail17trampoline_kernelINS0_14default_configENS1_35adjacent_difference_config_selectorILb1ElEEZNS1_24adjacent_difference_implIS3_Lb1ELb0EPlS7_ZN2at6native12_GLOBAL__N_124unique_dim_cuda_templateItEESt5tupleIJNS8_6TensorESD_SD_EERKSD_lbbbEUlllE1_EE10hipError_tPvRmT2_T3_mT4_P12ihipStream_tbEUlT_E_NS1_11comp_targetILNS1_3genE10ELNS1_11target_archE1201ELNS1_3gpuE5ELNS1_3repE0EEENS1_30default_config_static_selectorELNS0_4arch9wavefront6targetE0EEEvT1_,"axG",@progbits,_ZN7rocprim17ROCPRIM_400000_NS6detail17trampoline_kernelINS0_14default_configENS1_35adjacent_difference_config_selectorILb1ElEEZNS1_24adjacent_difference_implIS3_Lb1ELb0EPlS7_ZN2at6native12_GLOBAL__N_124unique_dim_cuda_templateItEESt5tupleIJNS8_6TensorESD_SD_EERKSD_lbbbEUlllE1_EE10hipError_tPvRmT2_T3_mT4_P12ihipStream_tbEUlT_E_NS1_11comp_targetILNS1_3genE10ELNS1_11target_archE1201ELNS1_3gpuE5ELNS1_3repE0EEENS1_30default_config_static_selectorELNS0_4arch9wavefront6targetE0EEEvT1_,comdat
	.globl	_ZN7rocprim17ROCPRIM_400000_NS6detail17trampoline_kernelINS0_14default_configENS1_35adjacent_difference_config_selectorILb1ElEEZNS1_24adjacent_difference_implIS3_Lb1ELb0EPlS7_ZN2at6native12_GLOBAL__N_124unique_dim_cuda_templateItEESt5tupleIJNS8_6TensorESD_SD_EERKSD_lbbbEUlllE1_EE10hipError_tPvRmT2_T3_mT4_P12ihipStream_tbEUlT_E_NS1_11comp_targetILNS1_3genE10ELNS1_11target_archE1201ELNS1_3gpuE5ELNS1_3repE0EEENS1_30default_config_static_selectorELNS0_4arch9wavefront6targetE0EEEvT1_ ; -- Begin function _ZN7rocprim17ROCPRIM_400000_NS6detail17trampoline_kernelINS0_14default_configENS1_35adjacent_difference_config_selectorILb1ElEEZNS1_24adjacent_difference_implIS3_Lb1ELb0EPlS7_ZN2at6native12_GLOBAL__N_124unique_dim_cuda_templateItEESt5tupleIJNS8_6TensorESD_SD_EERKSD_lbbbEUlllE1_EE10hipError_tPvRmT2_T3_mT4_P12ihipStream_tbEUlT_E_NS1_11comp_targetILNS1_3genE10ELNS1_11target_archE1201ELNS1_3gpuE5ELNS1_3repE0EEENS1_30default_config_static_selectorELNS0_4arch9wavefront6targetE0EEEvT1_
	.p2align	8
	.type	_ZN7rocprim17ROCPRIM_400000_NS6detail17trampoline_kernelINS0_14default_configENS1_35adjacent_difference_config_selectorILb1ElEEZNS1_24adjacent_difference_implIS3_Lb1ELb0EPlS7_ZN2at6native12_GLOBAL__N_124unique_dim_cuda_templateItEESt5tupleIJNS8_6TensorESD_SD_EERKSD_lbbbEUlllE1_EE10hipError_tPvRmT2_T3_mT4_P12ihipStream_tbEUlT_E_NS1_11comp_targetILNS1_3genE10ELNS1_11target_archE1201ELNS1_3gpuE5ELNS1_3repE0EEENS1_30default_config_static_selectorELNS0_4arch9wavefront6targetE0EEEvT1_,@function
_ZN7rocprim17ROCPRIM_400000_NS6detail17trampoline_kernelINS0_14default_configENS1_35adjacent_difference_config_selectorILb1ElEEZNS1_24adjacent_difference_implIS3_Lb1ELb0EPlS7_ZN2at6native12_GLOBAL__N_124unique_dim_cuda_templateItEESt5tupleIJNS8_6TensorESD_SD_EERKSD_lbbbEUlllE1_EE10hipError_tPvRmT2_T3_mT4_P12ihipStream_tbEUlT_E_NS1_11comp_targetILNS1_3genE10ELNS1_11target_archE1201ELNS1_3gpuE5ELNS1_3repE0EEENS1_30default_config_static_selectorELNS0_4arch9wavefront6targetE0EEEvT1_: ; @_ZN7rocprim17ROCPRIM_400000_NS6detail17trampoline_kernelINS0_14default_configENS1_35adjacent_difference_config_selectorILb1ElEEZNS1_24adjacent_difference_implIS3_Lb1ELb0EPlS7_ZN2at6native12_GLOBAL__N_124unique_dim_cuda_templateItEESt5tupleIJNS8_6TensorESD_SD_EERKSD_lbbbEUlllE1_EE10hipError_tPvRmT2_T3_mT4_P12ihipStream_tbEUlT_E_NS1_11comp_targetILNS1_3genE10ELNS1_11target_archE1201ELNS1_3gpuE5ELNS1_3repE0EEENS1_30default_config_static_selectorELNS0_4arch9wavefront6targetE0EEEvT1_
; %bb.0:
	.section	.rodata,"a",@progbits
	.p2align	6, 0x0
	.amdhsa_kernel _ZN7rocprim17ROCPRIM_400000_NS6detail17trampoline_kernelINS0_14default_configENS1_35adjacent_difference_config_selectorILb1ElEEZNS1_24adjacent_difference_implIS3_Lb1ELb0EPlS7_ZN2at6native12_GLOBAL__N_124unique_dim_cuda_templateItEESt5tupleIJNS8_6TensorESD_SD_EERKSD_lbbbEUlllE1_EE10hipError_tPvRmT2_T3_mT4_P12ihipStream_tbEUlT_E_NS1_11comp_targetILNS1_3genE10ELNS1_11target_archE1201ELNS1_3gpuE5ELNS1_3repE0EEENS1_30default_config_static_selectorELNS0_4arch9wavefront6targetE0EEEvT1_
		.amdhsa_group_segment_fixed_size 0
		.amdhsa_private_segment_fixed_size 0
		.amdhsa_kernarg_size 64
		.amdhsa_user_sgpr_count 15
		.amdhsa_user_sgpr_dispatch_ptr 0
		.amdhsa_user_sgpr_queue_ptr 0
		.amdhsa_user_sgpr_kernarg_segment_ptr 1
		.amdhsa_user_sgpr_dispatch_id 0
		.amdhsa_user_sgpr_private_segment_size 0
		.amdhsa_wavefront_size32 1
		.amdhsa_uses_dynamic_stack 0
		.amdhsa_enable_private_segment 0
		.amdhsa_system_sgpr_workgroup_id_x 1
		.amdhsa_system_sgpr_workgroup_id_y 0
		.amdhsa_system_sgpr_workgroup_id_z 0
		.amdhsa_system_sgpr_workgroup_info 0
		.amdhsa_system_vgpr_workitem_id 0
		.amdhsa_next_free_vgpr 1
		.amdhsa_next_free_sgpr 1
		.amdhsa_reserve_vcc 0
		.amdhsa_float_round_mode_32 0
		.amdhsa_float_round_mode_16_64 0
		.amdhsa_float_denorm_mode_32 3
		.amdhsa_float_denorm_mode_16_64 3
		.amdhsa_dx10_clamp 1
		.amdhsa_ieee_mode 1
		.amdhsa_fp16_overflow 0
		.amdhsa_workgroup_processor_mode 1
		.amdhsa_memory_ordered 1
		.amdhsa_forward_progress 0
		.amdhsa_shared_vgpr_count 0
		.amdhsa_exception_fp_ieee_invalid_op 0
		.amdhsa_exception_fp_denorm_src 0
		.amdhsa_exception_fp_ieee_div_zero 0
		.amdhsa_exception_fp_ieee_overflow 0
		.amdhsa_exception_fp_ieee_underflow 0
		.amdhsa_exception_fp_ieee_inexact 0
		.amdhsa_exception_int_div_zero 0
	.end_amdhsa_kernel
	.section	.text._ZN7rocprim17ROCPRIM_400000_NS6detail17trampoline_kernelINS0_14default_configENS1_35adjacent_difference_config_selectorILb1ElEEZNS1_24adjacent_difference_implIS3_Lb1ELb0EPlS7_ZN2at6native12_GLOBAL__N_124unique_dim_cuda_templateItEESt5tupleIJNS8_6TensorESD_SD_EERKSD_lbbbEUlllE1_EE10hipError_tPvRmT2_T3_mT4_P12ihipStream_tbEUlT_E_NS1_11comp_targetILNS1_3genE10ELNS1_11target_archE1201ELNS1_3gpuE5ELNS1_3repE0EEENS1_30default_config_static_selectorELNS0_4arch9wavefront6targetE0EEEvT1_,"axG",@progbits,_ZN7rocprim17ROCPRIM_400000_NS6detail17trampoline_kernelINS0_14default_configENS1_35adjacent_difference_config_selectorILb1ElEEZNS1_24adjacent_difference_implIS3_Lb1ELb0EPlS7_ZN2at6native12_GLOBAL__N_124unique_dim_cuda_templateItEESt5tupleIJNS8_6TensorESD_SD_EERKSD_lbbbEUlllE1_EE10hipError_tPvRmT2_T3_mT4_P12ihipStream_tbEUlT_E_NS1_11comp_targetILNS1_3genE10ELNS1_11target_archE1201ELNS1_3gpuE5ELNS1_3repE0EEENS1_30default_config_static_selectorELNS0_4arch9wavefront6targetE0EEEvT1_,comdat
.Lfunc_end1410:
	.size	_ZN7rocprim17ROCPRIM_400000_NS6detail17trampoline_kernelINS0_14default_configENS1_35adjacent_difference_config_selectorILb1ElEEZNS1_24adjacent_difference_implIS3_Lb1ELb0EPlS7_ZN2at6native12_GLOBAL__N_124unique_dim_cuda_templateItEESt5tupleIJNS8_6TensorESD_SD_EERKSD_lbbbEUlllE1_EE10hipError_tPvRmT2_T3_mT4_P12ihipStream_tbEUlT_E_NS1_11comp_targetILNS1_3genE10ELNS1_11target_archE1201ELNS1_3gpuE5ELNS1_3repE0EEENS1_30default_config_static_selectorELNS0_4arch9wavefront6targetE0EEEvT1_, .Lfunc_end1410-_ZN7rocprim17ROCPRIM_400000_NS6detail17trampoline_kernelINS0_14default_configENS1_35adjacent_difference_config_selectorILb1ElEEZNS1_24adjacent_difference_implIS3_Lb1ELb0EPlS7_ZN2at6native12_GLOBAL__N_124unique_dim_cuda_templateItEESt5tupleIJNS8_6TensorESD_SD_EERKSD_lbbbEUlllE1_EE10hipError_tPvRmT2_T3_mT4_P12ihipStream_tbEUlT_E_NS1_11comp_targetILNS1_3genE10ELNS1_11target_archE1201ELNS1_3gpuE5ELNS1_3repE0EEENS1_30default_config_static_selectorELNS0_4arch9wavefront6targetE0EEEvT1_
                                        ; -- End function
	.section	.AMDGPU.csdata,"",@progbits
; Kernel info:
; codeLenInByte = 0
; NumSgprs: 0
; NumVgprs: 0
; ScratchSize: 0
; MemoryBound: 0
; FloatMode: 240
; IeeeMode: 1
; LDSByteSize: 0 bytes/workgroup (compile time only)
; SGPRBlocks: 0
; VGPRBlocks: 0
; NumSGPRsForWavesPerEU: 1
; NumVGPRsForWavesPerEU: 1
; Occupancy: 16
; WaveLimiterHint : 0
; COMPUTE_PGM_RSRC2:SCRATCH_EN: 0
; COMPUTE_PGM_RSRC2:USER_SGPR: 15
; COMPUTE_PGM_RSRC2:TRAP_HANDLER: 0
; COMPUTE_PGM_RSRC2:TGID_X_EN: 1
; COMPUTE_PGM_RSRC2:TGID_Y_EN: 0
; COMPUTE_PGM_RSRC2:TGID_Z_EN: 0
; COMPUTE_PGM_RSRC2:TIDIG_COMP_CNT: 0
	.section	.text._ZN7rocprim17ROCPRIM_400000_NS6detail17trampoline_kernelINS0_14default_configENS1_35adjacent_difference_config_selectorILb1ElEEZNS1_24adjacent_difference_implIS3_Lb1ELb0EPlS7_ZN2at6native12_GLOBAL__N_124unique_dim_cuda_templateItEESt5tupleIJNS8_6TensorESD_SD_EERKSD_lbbbEUlllE1_EE10hipError_tPvRmT2_T3_mT4_P12ihipStream_tbEUlT_E_NS1_11comp_targetILNS1_3genE5ELNS1_11target_archE942ELNS1_3gpuE9ELNS1_3repE0EEENS1_30default_config_static_selectorELNS0_4arch9wavefront6targetE0EEEvT1_,"axG",@progbits,_ZN7rocprim17ROCPRIM_400000_NS6detail17trampoline_kernelINS0_14default_configENS1_35adjacent_difference_config_selectorILb1ElEEZNS1_24adjacent_difference_implIS3_Lb1ELb0EPlS7_ZN2at6native12_GLOBAL__N_124unique_dim_cuda_templateItEESt5tupleIJNS8_6TensorESD_SD_EERKSD_lbbbEUlllE1_EE10hipError_tPvRmT2_T3_mT4_P12ihipStream_tbEUlT_E_NS1_11comp_targetILNS1_3genE5ELNS1_11target_archE942ELNS1_3gpuE9ELNS1_3repE0EEENS1_30default_config_static_selectorELNS0_4arch9wavefront6targetE0EEEvT1_,comdat
	.globl	_ZN7rocprim17ROCPRIM_400000_NS6detail17trampoline_kernelINS0_14default_configENS1_35adjacent_difference_config_selectorILb1ElEEZNS1_24adjacent_difference_implIS3_Lb1ELb0EPlS7_ZN2at6native12_GLOBAL__N_124unique_dim_cuda_templateItEESt5tupleIJNS8_6TensorESD_SD_EERKSD_lbbbEUlllE1_EE10hipError_tPvRmT2_T3_mT4_P12ihipStream_tbEUlT_E_NS1_11comp_targetILNS1_3genE5ELNS1_11target_archE942ELNS1_3gpuE9ELNS1_3repE0EEENS1_30default_config_static_selectorELNS0_4arch9wavefront6targetE0EEEvT1_ ; -- Begin function _ZN7rocprim17ROCPRIM_400000_NS6detail17trampoline_kernelINS0_14default_configENS1_35adjacent_difference_config_selectorILb1ElEEZNS1_24adjacent_difference_implIS3_Lb1ELb0EPlS7_ZN2at6native12_GLOBAL__N_124unique_dim_cuda_templateItEESt5tupleIJNS8_6TensorESD_SD_EERKSD_lbbbEUlllE1_EE10hipError_tPvRmT2_T3_mT4_P12ihipStream_tbEUlT_E_NS1_11comp_targetILNS1_3genE5ELNS1_11target_archE942ELNS1_3gpuE9ELNS1_3repE0EEENS1_30default_config_static_selectorELNS0_4arch9wavefront6targetE0EEEvT1_
	.p2align	8
	.type	_ZN7rocprim17ROCPRIM_400000_NS6detail17trampoline_kernelINS0_14default_configENS1_35adjacent_difference_config_selectorILb1ElEEZNS1_24adjacent_difference_implIS3_Lb1ELb0EPlS7_ZN2at6native12_GLOBAL__N_124unique_dim_cuda_templateItEESt5tupleIJNS8_6TensorESD_SD_EERKSD_lbbbEUlllE1_EE10hipError_tPvRmT2_T3_mT4_P12ihipStream_tbEUlT_E_NS1_11comp_targetILNS1_3genE5ELNS1_11target_archE942ELNS1_3gpuE9ELNS1_3repE0EEENS1_30default_config_static_selectorELNS0_4arch9wavefront6targetE0EEEvT1_,@function
_ZN7rocprim17ROCPRIM_400000_NS6detail17trampoline_kernelINS0_14default_configENS1_35adjacent_difference_config_selectorILb1ElEEZNS1_24adjacent_difference_implIS3_Lb1ELb0EPlS7_ZN2at6native12_GLOBAL__N_124unique_dim_cuda_templateItEESt5tupleIJNS8_6TensorESD_SD_EERKSD_lbbbEUlllE1_EE10hipError_tPvRmT2_T3_mT4_P12ihipStream_tbEUlT_E_NS1_11comp_targetILNS1_3genE5ELNS1_11target_archE942ELNS1_3gpuE9ELNS1_3repE0EEENS1_30default_config_static_selectorELNS0_4arch9wavefront6targetE0EEEvT1_: ; @_ZN7rocprim17ROCPRIM_400000_NS6detail17trampoline_kernelINS0_14default_configENS1_35adjacent_difference_config_selectorILb1ElEEZNS1_24adjacent_difference_implIS3_Lb1ELb0EPlS7_ZN2at6native12_GLOBAL__N_124unique_dim_cuda_templateItEESt5tupleIJNS8_6TensorESD_SD_EERKSD_lbbbEUlllE1_EE10hipError_tPvRmT2_T3_mT4_P12ihipStream_tbEUlT_E_NS1_11comp_targetILNS1_3genE5ELNS1_11target_archE942ELNS1_3gpuE9ELNS1_3repE0EEENS1_30default_config_static_selectorELNS0_4arch9wavefront6targetE0EEEvT1_
; %bb.0:
	.section	.rodata,"a",@progbits
	.p2align	6, 0x0
	.amdhsa_kernel _ZN7rocprim17ROCPRIM_400000_NS6detail17trampoline_kernelINS0_14default_configENS1_35adjacent_difference_config_selectorILb1ElEEZNS1_24adjacent_difference_implIS3_Lb1ELb0EPlS7_ZN2at6native12_GLOBAL__N_124unique_dim_cuda_templateItEESt5tupleIJNS8_6TensorESD_SD_EERKSD_lbbbEUlllE1_EE10hipError_tPvRmT2_T3_mT4_P12ihipStream_tbEUlT_E_NS1_11comp_targetILNS1_3genE5ELNS1_11target_archE942ELNS1_3gpuE9ELNS1_3repE0EEENS1_30default_config_static_selectorELNS0_4arch9wavefront6targetE0EEEvT1_
		.amdhsa_group_segment_fixed_size 0
		.amdhsa_private_segment_fixed_size 0
		.amdhsa_kernarg_size 64
		.amdhsa_user_sgpr_count 15
		.amdhsa_user_sgpr_dispatch_ptr 0
		.amdhsa_user_sgpr_queue_ptr 0
		.amdhsa_user_sgpr_kernarg_segment_ptr 1
		.amdhsa_user_sgpr_dispatch_id 0
		.amdhsa_user_sgpr_private_segment_size 0
		.amdhsa_wavefront_size32 1
		.amdhsa_uses_dynamic_stack 0
		.amdhsa_enable_private_segment 0
		.amdhsa_system_sgpr_workgroup_id_x 1
		.amdhsa_system_sgpr_workgroup_id_y 0
		.amdhsa_system_sgpr_workgroup_id_z 0
		.amdhsa_system_sgpr_workgroup_info 0
		.amdhsa_system_vgpr_workitem_id 0
		.amdhsa_next_free_vgpr 1
		.amdhsa_next_free_sgpr 1
		.amdhsa_reserve_vcc 0
		.amdhsa_float_round_mode_32 0
		.amdhsa_float_round_mode_16_64 0
		.amdhsa_float_denorm_mode_32 3
		.amdhsa_float_denorm_mode_16_64 3
		.amdhsa_dx10_clamp 1
		.amdhsa_ieee_mode 1
		.amdhsa_fp16_overflow 0
		.amdhsa_workgroup_processor_mode 1
		.amdhsa_memory_ordered 1
		.amdhsa_forward_progress 0
		.amdhsa_shared_vgpr_count 0
		.amdhsa_exception_fp_ieee_invalid_op 0
		.amdhsa_exception_fp_denorm_src 0
		.amdhsa_exception_fp_ieee_div_zero 0
		.amdhsa_exception_fp_ieee_overflow 0
		.amdhsa_exception_fp_ieee_underflow 0
		.amdhsa_exception_fp_ieee_inexact 0
		.amdhsa_exception_int_div_zero 0
	.end_amdhsa_kernel
	.section	.text._ZN7rocprim17ROCPRIM_400000_NS6detail17trampoline_kernelINS0_14default_configENS1_35adjacent_difference_config_selectorILb1ElEEZNS1_24adjacent_difference_implIS3_Lb1ELb0EPlS7_ZN2at6native12_GLOBAL__N_124unique_dim_cuda_templateItEESt5tupleIJNS8_6TensorESD_SD_EERKSD_lbbbEUlllE1_EE10hipError_tPvRmT2_T3_mT4_P12ihipStream_tbEUlT_E_NS1_11comp_targetILNS1_3genE5ELNS1_11target_archE942ELNS1_3gpuE9ELNS1_3repE0EEENS1_30default_config_static_selectorELNS0_4arch9wavefront6targetE0EEEvT1_,"axG",@progbits,_ZN7rocprim17ROCPRIM_400000_NS6detail17trampoline_kernelINS0_14default_configENS1_35adjacent_difference_config_selectorILb1ElEEZNS1_24adjacent_difference_implIS3_Lb1ELb0EPlS7_ZN2at6native12_GLOBAL__N_124unique_dim_cuda_templateItEESt5tupleIJNS8_6TensorESD_SD_EERKSD_lbbbEUlllE1_EE10hipError_tPvRmT2_T3_mT4_P12ihipStream_tbEUlT_E_NS1_11comp_targetILNS1_3genE5ELNS1_11target_archE942ELNS1_3gpuE9ELNS1_3repE0EEENS1_30default_config_static_selectorELNS0_4arch9wavefront6targetE0EEEvT1_,comdat
.Lfunc_end1411:
	.size	_ZN7rocprim17ROCPRIM_400000_NS6detail17trampoline_kernelINS0_14default_configENS1_35adjacent_difference_config_selectorILb1ElEEZNS1_24adjacent_difference_implIS3_Lb1ELb0EPlS7_ZN2at6native12_GLOBAL__N_124unique_dim_cuda_templateItEESt5tupleIJNS8_6TensorESD_SD_EERKSD_lbbbEUlllE1_EE10hipError_tPvRmT2_T3_mT4_P12ihipStream_tbEUlT_E_NS1_11comp_targetILNS1_3genE5ELNS1_11target_archE942ELNS1_3gpuE9ELNS1_3repE0EEENS1_30default_config_static_selectorELNS0_4arch9wavefront6targetE0EEEvT1_, .Lfunc_end1411-_ZN7rocprim17ROCPRIM_400000_NS6detail17trampoline_kernelINS0_14default_configENS1_35adjacent_difference_config_selectorILb1ElEEZNS1_24adjacent_difference_implIS3_Lb1ELb0EPlS7_ZN2at6native12_GLOBAL__N_124unique_dim_cuda_templateItEESt5tupleIJNS8_6TensorESD_SD_EERKSD_lbbbEUlllE1_EE10hipError_tPvRmT2_T3_mT4_P12ihipStream_tbEUlT_E_NS1_11comp_targetILNS1_3genE5ELNS1_11target_archE942ELNS1_3gpuE9ELNS1_3repE0EEENS1_30default_config_static_selectorELNS0_4arch9wavefront6targetE0EEEvT1_
                                        ; -- End function
	.section	.AMDGPU.csdata,"",@progbits
; Kernel info:
; codeLenInByte = 0
; NumSgprs: 0
; NumVgprs: 0
; ScratchSize: 0
; MemoryBound: 0
; FloatMode: 240
; IeeeMode: 1
; LDSByteSize: 0 bytes/workgroup (compile time only)
; SGPRBlocks: 0
; VGPRBlocks: 0
; NumSGPRsForWavesPerEU: 1
; NumVGPRsForWavesPerEU: 1
; Occupancy: 16
; WaveLimiterHint : 0
; COMPUTE_PGM_RSRC2:SCRATCH_EN: 0
; COMPUTE_PGM_RSRC2:USER_SGPR: 15
; COMPUTE_PGM_RSRC2:TRAP_HANDLER: 0
; COMPUTE_PGM_RSRC2:TGID_X_EN: 1
; COMPUTE_PGM_RSRC2:TGID_Y_EN: 0
; COMPUTE_PGM_RSRC2:TGID_Z_EN: 0
; COMPUTE_PGM_RSRC2:TIDIG_COMP_CNT: 0
	.section	.text._ZN7rocprim17ROCPRIM_400000_NS6detail17trampoline_kernelINS0_14default_configENS1_35adjacent_difference_config_selectorILb1ElEEZNS1_24adjacent_difference_implIS3_Lb1ELb0EPlS7_ZN2at6native12_GLOBAL__N_124unique_dim_cuda_templateItEESt5tupleIJNS8_6TensorESD_SD_EERKSD_lbbbEUlllE1_EE10hipError_tPvRmT2_T3_mT4_P12ihipStream_tbEUlT_E_NS1_11comp_targetILNS1_3genE4ELNS1_11target_archE910ELNS1_3gpuE8ELNS1_3repE0EEENS1_30default_config_static_selectorELNS0_4arch9wavefront6targetE0EEEvT1_,"axG",@progbits,_ZN7rocprim17ROCPRIM_400000_NS6detail17trampoline_kernelINS0_14default_configENS1_35adjacent_difference_config_selectorILb1ElEEZNS1_24adjacent_difference_implIS3_Lb1ELb0EPlS7_ZN2at6native12_GLOBAL__N_124unique_dim_cuda_templateItEESt5tupleIJNS8_6TensorESD_SD_EERKSD_lbbbEUlllE1_EE10hipError_tPvRmT2_T3_mT4_P12ihipStream_tbEUlT_E_NS1_11comp_targetILNS1_3genE4ELNS1_11target_archE910ELNS1_3gpuE8ELNS1_3repE0EEENS1_30default_config_static_selectorELNS0_4arch9wavefront6targetE0EEEvT1_,comdat
	.globl	_ZN7rocprim17ROCPRIM_400000_NS6detail17trampoline_kernelINS0_14default_configENS1_35adjacent_difference_config_selectorILb1ElEEZNS1_24adjacent_difference_implIS3_Lb1ELb0EPlS7_ZN2at6native12_GLOBAL__N_124unique_dim_cuda_templateItEESt5tupleIJNS8_6TensorESD_SD_EERKSD_lbbbEUlllE1_EE10hipError_tPvRmT2_T3_mT4_P12ihipStream_tbEUlT_E_NS1_11comp_targetILNS1_3genE4ELNS1_11target_archE910ELNS1_3gpuE8ELNS1_3repE0EEENS1_30default_config_static_selectorELNS0_4arch9wavefront6targetE0EEEvT1_ ; -- Begin function _ZN7rocprim17ROCPRIM_400000_NS6detail17trampoline_kernelINS0_14default_configENS1_35adjacent_difference_config_selectorILb1ElEEZNS1_24adjacent_difference_implIS3_Lb1ELb0EPlS7_ZN2at6native12_GLOBAL__N_124unique_dim_cuda_templateItEESt5tupleIJNS8_6TensorESD_SD_EERKSD_lbbbEUlllE1_EE10hipError_tPvRmT2_T3_mT4_P12ihipStream_tbEUlT_E_NS1_11comp_targetILNS1_3genE4ELNS1_11target_archE910ELNS1_3gpuE8ELNS1_3repE0EEENS1_30default_config_static_selectorELNS0_4arch9wavefront6targetE0EEEvT1_
	.p2align	8
	.type	_ZN7rocprim17ROCPRIM_400000_NS6detail17trampoline_kernelINS0_14default_configENS1_35adjacent_difference_config_selectorILb1ElEEZNS1_24adjacent_difference_implIS3_Lb1ELb0EPlS7_ZN2at6native12_GLOBAL__N_124unique_dim_cuda_templateItEESt5tupleIJNS8_6TensorESD_SD_EERKSD_lbbbEUlllE1_EE10hipError_tPvRmT2_T3_mT4_P12ihipStream_tbEUlT_E_NS1_11comp_targetILNS1_3genE4ELNS1_11target_archE910ELNS1_3gpuE8ELNS1_3repE0EEENS1_30default_config_static_selectorELNS0_4arch9wavefront6targetE0EEEvT1_,@function
_ZN7rocprim17ROCPRIM_400000_NS6detail17trampoline_kernelINS0_14default_configENS1_35adjacent_difference_config_selectorILb1ElEEZNS1_24adjacent_difference_implIS3_Lb1ELb0EPlS7_ZN2at6native12_GLOBAL__N_124unique_dim_cuda_templateItEESt5tupleIJNS8_6TensorESD_SD_EERKSD_lbbbEUlllE1_EE10hipError_tPvRmT2_T3_mT4_P12ihipStream_tbEUlT_E_NS1_11comp_targetILNS1_3genE4ELNS1_11target_archE910ELNS1_3gpuE8ELNS1_3repE0EEENS1_30default_config_static_selectorELNS0_4arch9wavefront6targetE0EEEvT1_: ; @_ZN7rocprim17ROCPRIM_400000_NS6detail17trampoline_kernelINS0_14default_configENS1_35adjacent_difference_config_selectorILb1ElEEZNS1_24adjacent_difference_implIS3_Lb1ELb0EPlS7_ZN2at6native12_GLOBAL__N_124unique_dim_cuda_templateItEESt5tupleIJNS8_6TensorESD_SD_EERKSD_lbbbEUlllE1_EE10hipError_tPvRmT2_T3_mT4_P12ihipStream_tbEUlT_E_NS1_11comp_targetILNS1_3genE4ELNS1_11target_archE910ELNS1_3gpuE8ELNS1_3repE0EEENS1_30default_config_static_selectorELNS0_4arch9wavefront6targetE0EEEvT1_
; %bb.0:
	.section	.rodata,"a",@progbits
	.p2align	6, 0x0
	.amdhsa_kernel _ZN7rocprim17ROCPRIM_400000_NS6detail17trampoline_kernelINS0_14default_configENS1_35adjacent_difference_config_selectorILb1ElEEZNS1_24adjacent_difference_implIS3_Lb1ELb0EPlS7_ZN2at6native12_GLOBAL__N_124unique_dim_cuda_templateItEESt5tupleIJNS8_6TensorESD_SD_EERKSD_lbbbEUlllE1_EE10hipError_tPvRmT2_T3_mT4_P12ihipStream_tbEUlT_E_NS1_11comp_targetILNS1_3genE4ELNS1_11target_archE910ELNS1_3gpuE8ELNS1_3repE0EEENS1_30default_config_static_selectorELNS0_4arch9wavefront6targetE0EEEvT1_
		.amdhsa_group_segment_fixed_size 0
		.amdhsa_private_segment_fixed_size 0
		.amdhsa_kernarg_size 64
		.amdhsa_user_sgpr_count 15
		.amdhsa_user_sgpr_dispatch_ptr 0
		.amdhsa_user_sgpr_queue_ptr 0
		.amdhsa_user_sgpr_kernarg_segment_ptr 1
		.amdhsa_user_sgpr_dispatch_id 0
		.amdhsa_user_sgpr_private_segment_size 0
		.amdhsa_wavefront_size32 1
		.amdhsa_uses_dynamic_stack 0
		.amdhsa_enable_private_segment 0
		.amdhsa_system_sgpr_workgroup_id_x 1
		.amdhsa_system_sgpr_workgroup_id_y 0
		.amdhsa_system_sgpr_workgroup_id_z 0
		.amdhsa_system_sgpr_workgroup_info 0
		.amdhsa_system_vgpr_workitem_id 0
		.amdhsa_next_free_vgpr 1
		.amdhsa_next_free_sgpr 1
		.amdhsa_reserve_vcc 0
		.amdhsa_float_round_mode_32 0
		.amdhsa_float_round_mode_16_64 0
		.amdhsa_float_denorm_mode_32 3
		.amdhsa_float_denorm_mode_16_64 3
		.amdhsa_dx10_clamp 1
		.amdhsa_ieee_mode 1
		.amdhsa_fp16_overflow 0
		.amdhsa_workgroup_processor_mode 1
		.amdhsa_memory_ordered 1
		.amdhsa_forward_progress 0
		.amdhsa_shared_vgpr_count 0
		.amdhsa_exception_fp_ieee_invalid_op 0
		.amdhsa_exception_fp_denorm_src 0
		.amdhsa_exception_fp_ieee_div_zero 0
		.amdhsa_exception_fp_ieee_overflow 0
		.amdhsa_exception_fp_ieee_underflow 0
		.amdhsa_exception_fp_ieee_inexact 0
		.amdhsa_exception_int_div_zero 0
	.end_amdhsa_kernel
	.section	.text._ZN7rocprim17ROCPRIM_400000_NS6detail17trampoline_kernelINS0_14default_configENS1_35adjacent_difference_config_selectorILb1ElEEZNS1_24adjacent_difference_implIS3_Lb1ELb0EPlS7_ZN2at6native12_GLOBAL__N_124unique_dim_cuda_templateItEESt5tupleIJNS8_6TensorESD_SD_EERKSD_lbbbEUlllE1_EE10hipError_tPvRmT2_T3_mT4_P12ihipStream_tbEUlT_E_NS1_11comp_targetILNS1_3genE4ELNS1_11target_archE910ELNS1_3gpuE8ELNS1_3repE0EEENS1_30default_config_static_selectorELNS0_4arch9wavefront6targetE0EEEvT1_,"axG",@progbits,_ZN7rocprim17ROCPRIM_400000_NS6detail17trampoline_kernelINS0_14default_configENS1_35adjacent_difference_config_selectorILb1ElEEZNS1_24adjacent_difference_implIS3_Lb1ELb0EPlS7_ZN2at6native12_GLOBAL__N_124unique_dim_cuda_templateItEESt5tupleIJNS8_6TensorESD_SD_EERKSD_lbbbEUlllE1_EE10hipError_tPvRmT2_T3_mT4_P12ihipStream_tbEUlT_E_NS1_11comp_targetILNS1_3genE4ELNS1_11target_archE910ELNS1_3gpuE8ELNS1_3repE0EEENS1_30default_config_static_selectorELNS0_4arch9wavefront6targetE0EEEvT1_,comdat
.Lfunc_end1412:
	.size	_ZN7rocprim17ROCPRIM_400000_NS6detail17trampoline_kernelINS0_14default_configENS1_35adjacent_difference_config_selectorILb1ElEEZNS1_24adjacent_difference_implIS3_Lb1ELb0EPlS7_ZN2at6native12_GLOBAL__N_124unique_dim_cuda_templateItEESt5tupleIJNS8_6TensorESD_SD_EERKSD_lbbbEUlllE1_EE10hipError_tPvRmT2_T3_mT4_P12ihipStream_tbEUlT_E_NS1_11comp_targetILNS1_3genE4ELNS1_11target_archE910ELNS1_3gpuE8ELNS1_3repE0EEENS1_30default_config_static_selectorELNS0_4arch9wavefront6targetE0EEEvT1_, .Lfunc_end1412-_ZN7rocprim17ROCPRIM_400000_NS6detail17trampoline_kernelINS0_14default_configENS1_35adjacent_difference_config_selectorILb1ElEEZNS1_24adjacent_difference_implIS3_Lb1ELb0EPlS7_ZN2at6native12_GLOBAL__N_124unique_dim_cuda_templateItEESt5tupleIJNS8_6TensorESD_SD_EERKSD_lbbbEUlllE1_EE10hipError_tPvRmT2_T3_mT4_P12ihipStream_tbEUlT_E_NS1_11comp_targetILNS1_3genE4ELNS1_11target_archE910ELNS1_3gpuE8ELNS1_3repE0EEENS1_30default_config_static_selectorELNS0_4arch9wavefront6targetE0EEEvT1_
                                        ; -- End function
	.section	.AMDGPU.csdata,"",@progbits
; Kernel info:
; codeLenInByte = 0
; NumSgprs: 0
; NumVgprs: 0
; ScratchSize: 0
; MemoryBound: 0
; FloatMode: 240
; IeeeMode: 1
; LDSByteSize: 0 bytes/workgroup (compile time only)
; SGPRBlocks: 0
; VGPRBlocks: 0
; NumSGPRsForWavesPerEU: 1
; NumVGPRsForWavesPerEU: 1
; Occupancy: 16
; WaveLimiterHint : 0
; COMPUTE_PGM_RSRC2:SCRATCH_EN: 0
; COMPUTE_PGM_RSRC2:USER_SGPR: 15
; COMPUTE_PGM_RSRC2:TRAP_HANDLER: 0
; COMPUTE_PGM_RSRC2:TGID_X_EN: 1
; COMPUTE_PGM_RSRC2:TGID_Y_EN: 0
; COMPUTE_PGM_RSRC2:TGID_Z_EN: 0
; COMPUTE_PGM_RSRC2:TIDIG_COMP_CNT: 0
	.section	.text._ZN7rocprim17ROCPRIM_400000_NS6detail17trampoline_kernelINS0_14default_configENS1_35adjacent_difference_config_selectorILb1ElEEZNS1_24adjacent_difference_implIS3_Lb1ELb0EPlS7_ZN2at6native12_GLOBAL__N_124unique_dim_cuda_templateItEESt5tupleIJNS8_6TensorESD_SD_EERKSD_lbbbEUlllE1_EE10hipError_tPvRmT2_T3_mT4_P12ihipStream_tbEUlT_E_NS1_11comp_targetILNS1_3genE3ELNS1_11target_archE908ELNS1_3gpuE7ELNS1_3repE0EEENS1_30default_config_static_selectorELNS0_4arch9wavefront6targetE0EEEvT1_,"axG",@progbits,_ZN7rocprim17ROCPRIM_400000_NS6detail17trampoline_kernelINS0_14default_configENS1_35adjacent_difference_config_selectorILb1ElEEZNS1_24adjacent_difference_implIS3_Lb1ELb0EPlS7_ZN2at6native12_GLOBAL__N_124unique_dim_cuda_templateItEESt5tupleIJNS8_6TensorESD_SD_EERKSD_lbbbEUlllE1_EE10hipError_tPvRmT2_T3_mT4_P12ihipStream_tbEUlT_E_NS1_11comp_targetILNS1_3genE3ELNS1_11target_archE908ELNS1_3gpuE7ELNS1_3repE0EEENS1_30default_config_static_selectorELNS0_4arch9wavefront6targetE0EEEvT1_,comdat
	.globl	_ZN7rocprim17ROCPRIM_400000_NS6detail17trampoline_kernelINS0_14default_configENS1_35adjacent_difference_config_selectorILb1ElEEZNS1_24adjacent_difference_implIS3_Lb1ELb0EPlS7_ZN2at6native12_GLOBAL__N_124unique_dim_cuda_templateItEESt5tupleIJNS8_6TensorESD_SD_EERKSD_lbbbEUlllE1_EE10hipError_tPvRmT2_T3_mT4_P12ihipStream_tbEUlT_E_NS1_11comp_targetILNS1_3genE3ELNS1_11target_archE908ELNS1_3gpuE7ELNS1_3repE0EEENS1_30default_config_static_selectorELNS0_4arch9wavefront6targetE0EEEvT1_ ; -- Begin function _ZN7rocprim17ROCPRIM_400000_NS6detail17trampoline_kernelINS0_14default_configENS1_35adjacent_difference_config_selectorILb1ElEEZNS1_24adjacent_difference_implIS3_Lb1ELb0EPlS7_ZN2at6native12_GLOBAL__N_124unique_dim_cuda_templateItEESt5tupleIJNS8_6TensorESD_SD_EERKSD_lbbbEUlllE1_EE10hipError_tPvRmT2_T3_mT4_P12ihipStream_tbEUlT_E_NS1_11comp_targetILNS1_3genE3ELNS1_11target_archE908ELNS1_3gpuE7ELNS1_3repE0EEENS1_30default_config_static_selectorELNS0_4arch9wavefront6targetE0EEEvT1_
	.p2align	8
	.type	_ZN7rocprim17ROCPRIM_400000_NS6detail17trampoline_kernelINS0_14default_configENS1_35adjacent_difference_config_selectorILb1ElEEZNS1_24adjacent_difference_implIS3_Lb1ELb0EPlS7_ZN2at6native12_GLOBAL__N_124unique_dim_cuda_templateItEESt5tupleIJNS8_6TensorESD_SD_EERKSD_lbbbEUlllE1_EE10hipError_tPvRmT2_T3_mT4_P12ihipStream_tbEUlT_E_NS1_11comp_targetILNS1_3genE3ELNS1_11target_archE908ELNS1_3gpuE7ELNS1_3repE0EEENS1_30default_config_static_selectorELNS0_4arch9wavefront6targetE0EEEvT1_,@function
_ZN7rocprim17ROCPRIM_400000_NS6detail17trampoline_kernelINS0_14default_configENS1_35adjacent_difference_config_selectorILb1ElEEZNS1_24adjacent_difference_implIS3_Lb1ELb0EPlS7_ZN2at6native12_GLOBAL__N_124unique_dim_cuda_templateItEESt5tupleIJNS8_6TensorESD_SD_EERKSD_lbbbEUlllE1_EE10hipError_tPvRmT2_T3_mT4_P12ihipStream_tbEUlT_E_NS1_11comp_targetILNS1_3genE3ELNS1_11target_archE908ELNS1_3gpuE7ELNS1_3repE0EEENS1_30default_config_static_selectorELNS0_4arch9wavefront6targetE0EEEvT1_: ; @_ZN7rocprim17ROCPRIM_400000_NS6detail17trampoline_kernelINS0_14default_configENS1_35adjacent_difference_config_selectorILb1ElEEZNS1_24adjacent_difference_implIS3_Lb1ELb0EPlS7_ZN2at6native12_GLOBAL__N_124unique_dim_cuda_templateItEESt5tupleIJNS8_6TensorESD_SD_EERKSD_lbbbEUlllE1_EE10hipError_tPvRmT2_T3_mT4_P12ihipStream_tbEUlT_E_NS1_11comp_targetILNS1_3genE3ELNS1_11target_archE908ELNS1_3gpuE7ELNS1_3repE0EEENS1_30default_config_static_selectorELNS0_4arch9wavefront6targetE0EEEvT1_
; %bb.0:
	.section	.rodata,"a",@progbits
	.p2align	6, 0x0
	.amdhsa_kernel _ZN7rocprim17ROCPRIM_400000_NS6detail17trampoline_kernelINS0_14default_configENS1_35adjacent_difference_config_selectorILb1ElEEZNS1_24adjacent_difference_implIS3_Lb1ELb0EPlS7_ZN2at6native12_GLOBAL__N_124unique_dim_cuda_templateItEESt5tupleIJNS8_6TensorESD_SD_EERKSD_lbbbEUlllE1_EE10hipError_tPvRmT2_T3_mT4_P12ihipStream_tbEUlT_E_NS1_11comp_targetILNS1_3genE3ELNS1_11target_archE908ELNS1_3gpuE7ELNS1_3repE0EEENS1_30default_config_static_selectorELNS0_4arch9wavefront6targetE0EEEvT1_
		.amdhsa_group_segment_fixed_size 0
		.amdhsa_private_segment_fixed_size 0
		.amdhsa_kernarg_size 64
		.amdhsa_user_sgpr_count 15
		.amdhsa_user_sgpr_dispatch_ptr 0
		.amdhsa_user_sgpr_queue_ptr 0
		.amdhsa_user_sgpr_kernarg_segment_ptr 1
		.amdhsa_user_sgpr_dispatch_id 0
		.amdhsa_user_sgpr_private_segment_size 0
		.amdhsa_wavefront_size32 1
		.amdhsa_uses_dynamic_stack 0
		.amdhsa_enable_private_segment 0
		.amdhsa_system_sgpr_workgroup_id_x 1
		.amdhsa_system_sgpr_workgroup_id_y 0
		.amdhsa_system_sgpr_workgroup_id_z 0
		.amdhsa_system_sgpr_workgroup_info 0
		.amdhsa_system_vgpr_workitem_id 0
		.amdhsa_next_free_vgpr 1
		.amdhsa_next_free_sgpr 1
		.amdhsa_reserve_vcc 0
		.amdhsa_float_round_mode_32 0
		.amdhsa_float_round_mode_16_64 0
		.amdhsa_float_denorm_mode_32 3
		.amdhsa_float_denorm_mode_16_64 3
		.amdhsa_dx10_clamp 1
		.amdhsa_ieee_mode 1
		.amdhsa_fp16_overflow 0
		.amdhsa_workgroup_processor_mode 1
		.amdhsa_memory_ordered 1
		.amdhsa_forward_progress 0
		.amdhsa_shared_vgpr_count 0
		.amdhsa_exception_fp_ieee_invalid_op 0
		.amdhsa_exception_fp_denorm_src 0
		.amdhsa_exception_fp_ieee_div_zero 0
		.amdhsa_exception_fp_ieee_overflow 0
		.amdhsa_exception_fp_ieee_underflow 0
		.amdhsa_exception_fp_ieee_inexact 0
		.amdhsa_exception_int_div_zero 0
	.end_amdhsa_kernel
	.section	.text._ZN7rocprim17ROCPRIM_400000_NS6detail17trampoline_kernelINS0_14default_configENS1_35adjacent_difference_config_selectorILb1ElEEZNS1_24adjacent_difference_implIS3_Lb1ELb0EPlS7_ZN2at6native12_GLOBAL__N_124unique_dim_cuda_templateItEESt5tupleIJNS8_6TensorESD_SD_EERKSD_lbbbEUlllE1_EE10hipError_tPvRmT2_T3_mT4_P12ihipStream_tbEUlT_E_NS1_11comp_targetILNS1_3genE3ELNS1_11target_archE908ELNS1_3gpuE7ELNS1_3repE0EEENS1_30default_config_static_selectorELNS0_4arch9wavefront6targetE0EEEvT1_,"axG",@progbits,_ZN7rocprim17ROCPRIM_400000_NS6detail17trampoline_kernelINS0_14default_configENS1_35adjacent_difference_config_selectorILb1ElEEZNS1_24adjacent_difference_implIS3_Lb1ELb0EPlS7_ZN2at6native12_GLOBAL__N_124unique_dim_cuda_templateItEESt5tupleIJNS8_6TensorESD_SD_EERKSD_lbbbEUlllE1_EE10hipError_tPvRmT2_T3_mT4_P12ihipStream_tbEUlT_E_NS1_11comp_targetILNS1_3genE3ELNS1_11target_archE908ELNS1_3gpuE7ELNS1_3repE0EEENS1_30default_config_static_selectorELNS0_4arch9wavefront6targetE0EEEvT1_,comdat
.Lfunc_end1413:
	.size	_ZN7rocprim17ROCPRIM_400000_NS6detail17trampoline_kernelINS0_14default_configENS1_35adjacent_difference_config_selectorILb1ElEEZNS1_24adjacent_difference_implIS3_Lb1ELb0EPlS7_ZN2at6native12_GLOBAL__N_124unique_dim_cuda_templateItEESt5tupleIJNS8_6TensorESD_SD_EERKSD_lbbbEUlllE1_EE10hipError_tPvRmT2_T3_mT4_P12ihipStream_tbEUlT_E_NS1_11comp_targetILNS1_3genE3ELNS1_11target_archE908ELNS1_3gpuE7ELNS1_3repE0EEENS1_30default_config_static_selectorELNS0_4arch9wavefront6targetE0EEEvT1_, .Lfunc_end1413-_ZN7rocprim17ROCPRIM_400000_NS6detail17trampoline_kernelINS0_14default_configENS1_35adjacent_difference_config_selectorILb1ElEEZNS1_24adjacent_difference_implIS3_Lb1ELb0EPlS7_ZN2at6native12_GLOBAL__N_124unique_dim_cuda_templateItEESt5tupleIJNS8_6TensorESD_SD_EERKSD_lbbbEUlllE1_EE10hipError_tPvRmT2_T3_mT4_P12ihipStream_tbEUlT_E_NS1_11comp_targetILNS1_3genE3ELNS1_11target_archE908ELNS1_3gpuE7ELNS1_3repE0EEENS1_30default_config_static_selectorELNS0_4arch9wavefront6targetE0EEEvT1_
                                        ; -- End function
	.section	.AMDGPU.csdata,"",@progbits
; Kernel info:
; codeLenInByte = 0
; NumSgprs: 0
; NumVgprs: 0
; ScratchSize: 0
; MemoryBound: 0
; FloatMode: 240
; IeeeMode: 1
; LDSByteSize: 0 bytes/workgroup (compile time only)
; SGPRBlocks: 0
; VGPRBlocks: 0
; NumSGPRsForWavesPerEU: 1
; NumVGPRsForWavesPerEU: 1
; Occupancy: 16
; WaveLimiterHint : 0
; COMPUTE_PGM_RSRC2:SCRATCH_EN: 0
; COMPUTE_PGM_RSRC2:USER_SGPR: 15
; COMPUTE_PGM_RSRC2:TRAP_HANDLER: 0
; COMPUTE_PGM_RSRC2:TGID_X_EN: 1
; COMPUTE_PGM_RSRC2:TGID_Y_EN: 0
; COMPUTE_PGM_RSRC2:TGID_Z_EN: 0
; COMPUTE_PGM_RSRC2:TIDIG_COMP_CNT: 0
	.section	.text._ZN7rocprim17ROCPRIM_400000_NS6detail17trampoline_kernelINS0_14default_configENS1_35adjacent_difference_config_selectorILb1ElEEZNS1_24adjacent_difference_implIS3_Lb1ELb0EPlS7_ZN2at6native12_GLOBAL__N_124unique_dim_cuda_templateItEESt5tupleIJNS8_6TensorESD_SD_EERKSD_lbbbEUlllE1_EE10hipError_tPvRmT2_T3_mT4_P12ihipStream_tbEUlT_E_NS1_11comp_targetILNS1_3genE2ELNS1_11target_archE906ELNS1_3gpuE6ELNS1_3repE0EEENS1_30default_config_static_selectorELNS0_4arch9wavefront6targetE0EEEvT1_,"axG",@progbits,_ZN7rocprim17ROCPRIM_400000_NS6detail17trampoline_kernelINS0_14default_configENS1_35adjacent_difference_config_selectorILb1ElEEZNS1_24adjacent_difference_implIS3_Lb1ELb0EPlS7_ZN2at6native12_GLOBAL__N_124unique_dim_cuda_templateItEESt5tupleIJNS8_6TensorESD_SD_EERKSD_lbbbEUlllE1_EE10hipError_tPvRmT2_T3_mT4_P12ihipStream_tbEUlT_E_NS1_11comp_targetILNS1_3genE2ELNS1_11target_archE906ELNS1_3gpuE6ELNS1_3repE0EEENS1_30default_config_static_selectorELNS0_4arch9wavefront6targetE0EEEvT1_,comdat
	.globl	_ZN7rocprim17ROCPRIM_400000_NS6detail17trampoline_kernelINS0_14default_configENS1_35adjacent_difference_config_selectorILb1ElEEZNS1_24adjacent_difference_implIS3_Lb1ELb0EPlS7_ZN2at6native12_GLOBAL__N_124unique_dim_cuda_templateItEESt5tupleIJNS8_6TensorESD_SD_EERKSD_lbbbEUlllE1_EE10hipError_tPvRmT2_T3_mT4_P12ihipStream_tbEUlT_E_NS1_11comp_targetILNS1_3genE2ELNS1_11target_archE906ELNS1_3gpuE6ELNS1_3repE0EEENS1_30default_config_static_selectorELNS0_4arch9wavefront6targetE0EEEvT1_ ; -- Begin function _ZN7rocprim17ROCPRIM_400000_NS6detail17trampoline_kernelINS0_14default_configENS1_35adjacent_difference_config_selectorILb1ElEEZNS1_24adjacent_difference_implIS3_Lb1ELb0EPlS7_ZN2at6native12_GLOBAL__N_124unique_dim_cuda_templateItEESt5tupleIJNS8_6TensorESD_SD_EERKSD_lbbbEUlllE1_EE10hipError_tPvRmT2_T3_mT4_P12ihipStream_tbEUlT_E_NS1_11comp_targetILNS1_3genE2ELNS1_11target_archE906ELNS1_3gpuE6ELNS1_3repE0EEENS1_30default_config_static_selectorELNS0_4arch9wavefront6targetE0EEEvT1_
	.p2align	8
	.type	_ZN7rocprim17ROCPRIM_400000_NS6detail17trampoline_kernelINS0_14default_configENS1_35adjacent_difference_config_selectorILb1ElEEZNS1_24adjacent_difference_implIS3_Lb1ELb0EPlS7_ZN2at6native12_GLOBAL__N_124unique_dim_cuda_templateItEESt5tupleIJNS8_6TensorESD_SD_EERKSD_lbbbEUlllE1_EE10hipError_tPvRmT2_T3_mT4_P12ihipStream_tbEUlT_E_NS1_11comp_targetILNS1_3genE2ELNS1_11target_archE906ELNS1_3gpuE6ELNS1_3repE0EEENS1_30default_config_static_selectorELNS0_4arch9wavefront6targetE0EEEvT1_,@function
_ZN7rocprim17ROCPRIM_400000_NS6detail17trampoline_kernelINS0_14default_configENS1_35adjacent_difference_config_selectorILb1ElEEZNS1_24adjacent_difference_implIS3_Lb1ELb0EPlS7_ZN2at6native12_GLOBAL__N_124unique_dim_cuda_templateItEESt5tupleIJNS8_6TensorESD_SD_EERKSD_lbbbEUlllE1_EE10hipError_tPvRmT2_T3_mT4_P12ihipStream_tbEUlT_E_NS1_11comp_targetILNS1_3genE2ELNS1_11target_archE906ELNS1_3gpuE6ELNS1_3repE0EEENS1_30default_config_static_selectorELNS0_4arch9wavefront6targetE0EEEvT1_: ; @_ZN7rocprim17ROCPRIM_400000_NS6detail17trampoline_kernelINS0_14default_configENS1_35adjacent_difference_config_selectorILb1ElEEZNS1_24adjacent_difference_implIS3_Lb1ELb0EPlS7_ZN2at6native12_GLOBAL__N_124unique_dim_cuda_templateItEESt5tupleIJNS8_6TensorESD_SD_EERKSD_lbbbEUlllE1_EE10hipError_tPvRmT2_T3_mT4_P12ihipStream_tbEUlT_E_NS1_11comp_targetILNS1_3genE2ELNS1_11target_archE906ELNS1_3gpuE6ELNS1_3repE0EEENS1_30default_config_static_selectorELNS0_4arch9wavefront6targetE0EEEvT1_
; %bb.0:
	.section	.rodata,"a",@progbits
	.p2align	6, 0x0
	.amdhsa_kernel _ZN7rocprim17ROCPRIM_400000_NS6detail17trampoline_kernelINS0_14default_configENS1_35adjacent_difference_config_selectorILb1ElEEZNS1_24adjacent_difference_implIS3_Lb1ELb0EPlS7_ZN2at6native12_GLOBAL__N_124unique_dim_cuda_templateItEESt5tupleIJNS8_6TensorESD_SD_EERKSD_lbbbEUlllE1_EE10hipError_tPvRmT2_T3_mT4_P12ihipStream_tbEUlT_E_NS1_11comp_targetILNS1_3genE2ELNS1_11target_archE906ELNS1_3gpuE6ELNS1_3repE0EEENS1_30default_config_static_selectorELNS0_4arch9wavefront6targetE0EEEvT1_
		.amdhsa_group_segment_fixed_size 0
		.amdhsa_private_segment_fixed_size 0
		.amdhsa_kernarg_size 64
		.amdhsa_user_sgpr_count 15
		.amdhsa_user_sgpr_dispatch_ptr 0
		.amdhsa_user_sgpr_queue_ptr 0
		.amdhsa_user_sgpr_kernarg_segment_ptr 1
		.amdhsa_user_sgpr_dispatch_id 0
		.amdhsa_user_sgpr_private_segment_size 0
		.amdhsa_wavefront_size32 1
		.amdhsa_uses_dynamic_stack 0
		.amdhsa_enable_private_segment 0
		.amdhsa_system_sgpr_workgroup_id_x 1
		.amdhsa_system_sgpr_workgroup_id_y 0
		.amdhsa_system_sgpr_workgroup_id_z 0
		.amdhsa_system_sgpr_workgroup_info 0
		.amdhsa_system_vgpr_workitem_id 0
		.amdhsa_next_free_vgpr 1
		.amdhsa_next_free_sgpr 1
		.amdhsa_reserve_vcc 0
		.amdhsa_float_round_mode_32 0
		.amdhsa_float_round_mode_16_64 0
		.amdhsa_float_denorm_mode_32 3
		.amdhsa_float_denorm_mode_16_64 3
		.amdhsa_dx10_clamp 1
		.amdhsa_ieee_mode 1
		.amdhsa_fp16_overflow 0
		.amdhsa_workgroup_processor_mode 1
		.amdhsa_memory_ordered 1
		.amdhsa_forward_progress 0
		.amdhsa_shared_vgpr_count 0
		.amdhsa_exception_fp_ieee_invalid_op 0
		.amdhsa_exception_fp_denorm_src 0
		.amdhsa_exception_fp_ieee_div_zero 0
		.amdhsa_exception_fp_ieee_overflow 0
		.amdhsa_exception_fp_ieee_underflow 0
		.amdhsa_exception_fp_ieee_inexact 0
		.amdhsa_exception_int_div_zero 0
	.end_amdhsa_kernel
	.section	.text._ZN7rocprim17ROCPRIM_400000_NS6detail17trampoline_kernelINS0_14default_configENS1_35adjacent_difference_config_selectorILb1ElEEZNS1_24adjacent_difference_implIS3_Lb1ELb0EPlS7_ZN2at6native12_GLOBAL__N_124unique_dim_cuda_templateItEESt5tupleIJNS8_6TensorESD_SD_EERKSD_lbbbEUlllE1_EE10hipError_tPvRmT2_T3_mT4_P12ihipStream_tbEUlT_E_NS1_11comp_targetILNS1_3genE2ELNS1_11target_archE906ELNS1_3gpuE6ELNS1_3repE0EEENS1_30default_config_static_selectorELNS0_4arch9wavefront6targetE0EEEvT1_,"axG",@progbits,_ZN7rocprim17ROCPRIM_400000_NS6detail17trampoline_kernelINS0_14default_configENS1_35adjacent_difference_config_selectorILb1ElEEZNS1_24adjacent_difference_implIS3_Lb1ELb0EPlS7_ZN2at6native12_GLOBAL__N_124unique_dim_cuda_templateItEESt5tupleIJNS8_6TensorESD_SD_EERKSD_lbbbEUlllE1_EE10hipError_tPvRmT2_T3_mT4_P12ihipStream_tbEUlT_E_NS1_11comp_targetILNS1_3genE2ELNS1_11target_archE906ELNS1_3gpuE6ELNS1_3repE0EEENS1_30default_config_static_selectorELNS0_4arch9wavefront6targetE0EEEvT1_,comdat
.Lfunc_end1414:
	.size	_ZN7rocprim17ROCPRIM_400000_NS6detail17trampoline_kernelINS0_14default_configENS1_35adjacent_difference_config_selectorILb1ElEEZNS1_24adjacent_difference_implIS3_Lb1ELb0EPlS7_ZN2at6native12_GLOBAL__N_124unique_dim_cuda_templateItEESt5tupleIJNS8_6TensorESD_SD_EERKSD_lbbbEUlllE1_EE10hipError_tPvRmT2_T3_mT4_P12ihipStream_tbEUlT_E_NS1_11comp_targetILNS1_3genE2ELNS1_11target_archE906ELNS1_3gpuE6ELNS1_3repE0EEENS1_30default_config_static_selectorELNS0_4arch9wavefront6targetE0EEEvT1_, .Lfunc_end1414-_ZN7rocprim17ROCPRIM_400000_NS6detail17trampoline_kernelINS0_14default_configENS1_35adjacent_difference_config_selectorILb1ElEEZNS1_24adjacent_difference_implIS3_Lb1ELb0EPlS7_ZN2at6native12_GLOBAL__N_124unique_dim_cuda_templateItEESt5tupleIJNS8_6TensorESD_SD_EERKSD_lbbbEUlllE1_EE10hipError_tPvRmT2_T3_mT4_P12ihipStream_tbEUlT_E_NS1_11comp_targetILNS1_3genE2ELNS1_11target_archE906ELNS1_3gpuE6ELNS1_3repE0EEENS1_30default_config_static_selectorELNS0_4arch9wavefront6targetE0EEEvT1_
                                        ; -- End function
	.section	.AMDGPU.csdata,"",@progbits
; Kernel info:
; codeLenInByte = 0
; NumSgprs: 0
; NumVgprs: 0
; ScratchSize: 0
; MemoryBound: 0
; FloatMode: 240
; IeeeMode: 1
; LDSByteSize: 0 bytes/workgroup (compile time only)
; SGPRBlocks: 0
; VGPRBlocks: 0
; NumSGPRsForWavesPerEU: 1
; NumVGPRsForWavesPerEU: 1
; Occupancy: 16
; WaveLimiterHint : 0
; COMPUTE_PGM_RSRC2:SCRATCH_EN: 0
; COMPUTE_PGM_RSRC2:USER_SGPR: 15
; COMPUTE_PGM_RSRC2:TRAP_HANDLER: 0
; COMPUTE_PGM_RSRC2:TGID_X_EN: 1
; COMPUTE_PGM_RSRC2:TGID_Y_EN: 0
; COMPUTE_PGM_RSRC2:TGID_Z_EN: 0
; COMPUTE_PGM_RSRC2:TIDIG_COMP_CNT: 0
	.section	.text._ZN7rocprim17ROCPRIM_400000_NS6detail17trampoline_kernelINS0_14default_configENS1_35adjacent_difference_config_selectorILb1ElEEZNS1_24adjacent_difference_implIS3_Lb1ELb0EPlS7_ZN2at6native12_GLOBAL__N_124unique_dim_cuda_templateItEESt5tupleIJNS8_6TensorESD_SD_EERKSD_lbbbEUlllE1_EE10hipError_tPvRmT2_T3_mT4_P12ihipStream_tbEUlT_E_NS1_11comp_targetILNS1_3genE9ELNS1_11target_archE1100ELNS1_3gpuE3ELNS1_3repE0EEENS1_30default_config_static_selectorELNS0_4arch9wavefront6targetE0EEEvT1_,"axG",@progbits,_ZN7rocprim17ROCPRIM_400000_NS6detail17trampoline_kernelINS0_14default_configENS1_35adjacent_difference_config_selectorILb1ElEEZNS1_24adjacent_difference_implIS3_Lb1ELb0EPlS7_ZN2at6native12_GLOBAL__N_124unique_dim_cuda_templateItEESt5tupleIJNS8_6TensorESD_SD_EERKSD_lbbbEUlllE1_EE10hipError_tPvRmT2_T3_mT4_P12ihipStream_tbEUlT_E_NS1_11comp_targetILNS1_3genE9ELNS1_11target_archE1100ELNS1_3gpuE3ELNS1_3repE0EEENS1_30default_config_static_selectorELNS0_4arch9wavefront6targetE0EEEvT1_,comdat
	.globl	_ZN7rocprim17ROCPRIM_400000_NS6detail17trampoline_kernelINS0_14default_configENS1_35adjacent_difference_config_selectorILb1ElEEZNS1_24adjacent_difference_implIS3_Lb1ELb0EPlS7_ZN2at6native12_GLOBAL__N_124unique_dim_cuda_templateItEESt5tupleIJNS8_6TensorESD_SD_EERKSD_lbbbEUlllE1_EE10hipError_tPvRmT2_T3_mT4_P12ihipStream_tbEUlT_E_NS1_11comp_targetILNS1_3genE9ELNS1_11target_archE1100ELNS1_3gpuE3ELNS1_3repE0EEENS1_30default_config_static_selectorELNS0_4arch9wavefront6targetE0EEEvT1_ ; -- Begin function _ZN7rocprim17ROCPRIM_400000_NS6detail17trampoline_kernelINS0_14default_configENS1_35adjacent_difference_config_selectorILb1ElEEZNS1_24adjacent_difference_implIS3_Lb1ELb0EPlS7_ZN2at6native12_GLOBAL__N_124unique_dim_cuda_templateItEESt5tupleIJNS8_6TensorESD_SD_EERKSD_lbbbEUlllE1_EE10hipError_tPvRmT2_T3_mT4_P12ihipStream_tbEUlT_E_NS1_11comp_targetILNS1_3genE9ELNS1_11target_archE1100ELNS1_3gpuE3ELNS1_3repE0EEENS1_30default_config_static_selectorELNS0_4arch9wavefront6targetE0EEEvT1_
	.p2align	8
	.type	_ZN7rocprim17ROCPRIM_400000_NS6detail17trampoline_kernelINS0_14default_configENS1_35adjacent_difference_config_selectorILb1ElEEZNS1_24adjacent_difference_implIS3_Lb1ELb0EPlS7_ZN2at6native12_GLOBAL__N_124unique_dim_cuda_templateItEESt5tupleIJNS8_6TensorESD_SD_EERKSD_lbbbEUlllE1_EE10hipError_tPvRmT2_T3_mT4_P12ihipStream_tbEUlT_E_NS1_11comp_targetILNS1_3genE9ELNS1_11target_archE1100ELNS1_3gpuE3ELNS1_3repE0EEENS1_30default_config_static_selectorELNS0_4arch9wavefront6targetE0EEEvT1_,@function
_ZN7rocprim17ROCPRIM_400000_NS6detail17trampoline_kernelINS0_14default_configENS1_35adjacent_difference_config_selectorILb1ElEEZNS1_24adjacent_difference_implIS3_Lb1ELb0EPlS7_ZN2at6native12_GLOBAL__N_124unique_dim_cuda_templateItEESt5tupleIJNS8_6TensorESD_SD_EERKSD_lbbbEUlllE1_EE10hipError_tPvRmT2_T3_mT4_P12ihipStream_tbEUlT_E_NS1_11comp_targetILNS1_3genE9ELNS1_11target_archE1100ELNS1_3gpuE3ELNS1_3repE0EEENS1_30default_config_static_selectorELNS0_4arch9wavefront6targetE0EEEvT1_: ; @_ZN7rocprim17ROCPRIM_400000_NS6detail17trampoline_kernelINS0_14default_configENS1_35adjacent_difference_config_selectorILb1ElEEZNS1_24adjacent_difference_implIS3_Lb1ELb0EPlS7_ZN2at6native12_GLOBAL__N_124unique_dim_cuda_templateItEESt5tupleIJNS8_6TensorESD_SD_EERKSD_lbbbEUlllE1_EE10hipError_tPvRmT2_T3_mT4_P12ihipStream_tbEUlT_E_NS1_11comp_targetILNS1_3genE9ELNS1_11target_archE1100ELNS1_3gpuE3ELNS1_3repE0EEENS1_30default_config_static_selectorELNS0_4arch9wavefront6targetE0EEEvT1_
; %bb.0:
	s_mov_b32 s22, s15
	s_load_b512 s[0:15], s[0:1], 0x0
	s_waitcnt lgkmcnt(0)
	s_lshl_b64 s[16:17], s[2:3], 3
	s_mov_b32 s2, 0x411a7a30
	s_add_u32 s27, s0, s16
	s_addc_u32 s28, s1, s17
	s_add_u32 s0, 0x76, s2
	s_addc_u32 s1, 0, 0
	v_add_co_u32 v1, s0, 0x20000000, s0
	s_delay_alu instid0(VALU_DEP_1) | instskip(SKIP_1) | instid1(VALU_DEP_1)
	s_cmp_lg_u32 s0, 0
	s_addc_u32 s1, s1, 0x11a7b9
	v_readfirstlane_b32 s0, v1
	s_mul_i32 s2, s1, 0xfffff180
	s_delay_alu instid0(VALU_DEP_1)
	s_mul_hi_u32 s3, s0, 0xfffff180
	s_mul_i32 s18, s0, 0xfffff180
	s_sub_i32 s3, s3, s0
	s_mul_hi_u32 s19, s0, s18
	s_add_i32 s3, s3, s2
	s_mul_hi_u32 s20, s1, s18
	s_mul_i32 s2, s1, s18
	s_mul_hi_u32 s18, s0, s3
	s_mul_i32 s0, s0, s3
	s_mul_hi_u32 s21, s1, s3
	s_add_u32 s0, s19, s0
	s_addc_u32 s18, 0, s18
	s_add_u32 s0, s0, s2
	s_mul_i32 s3, s1, s3
	s_addc_u32 s0, s18, s20
	s_addc_u32 s2, s21, 0
	s_add_u32 s0, s0, s3
	s_addc_u32 s2, 0, s2
	v_add_co_u32 v1, s0, v1, s0
	s_delay_alu instid0(VALU_DEP_1) | instskip(SKIP_1) | instid1(VALU_DEP_1)
	s_cmp_lg_u32 s0, 0
	s_addc_u32 s0, s1, s2
	v_readfirstlane_b32 s1, v1
	s_mul_i32 s3, s6, s0
	s_mul_hi_u32 s2, s6, s0
	s_mul_hi_u32 s18, s7, s0
	s_mul_i32 s0, s7, s0
	s_mul_hi_u32 s19, s6, s1
	s_mul_hi_u32 s20, s7, s1
	s_mul_i32 s1, s7, s1
	s_add_u32 s3, s19, s3
	s_addc_u32 s2, 0, s2
	s_add_u32 s1, s3, s1
	s_addc_u32 s1, s2, s20
	s_addc_u32 s2, s18, 0
	s_add_u32 s0, s1, s0
	s_addc_u32 s1, 0, s2
	s_mul_i32 s3, s0, 0xe80
	s_add_u32 s2, s0, 1
	v_sub_co_u32 v1, s3, s6, s3
	s_mul_hi_u32 s18, s0, 0xe80
	s_addc_u32 s19, s1, 0
	s_mul_i32 s20, s1, 0xe80
	s_delay_alu instid0(VALU_DEP_1)
	v_subrev_co_u32 v2, s21, 0xe80, v1
	s_add_u32 s23, s0, 2
	s_addc_u32 s24, s1, 0
	s_add_i32 s18, s18, s20
	s_cmp_lg_u32 s3, 0
	v_readfirstlane_b32 s3, v2
	s_subb_u32 s18, s7, s18
	s_cmp_lg_u32 s21, 0
	s_subb_u32 s20, s18, 0
	s_delay_alu instid0(VALU_DEP_1) | instskip(SKIP_4) | instid1(SALU_CYCLE_1)
	s_cmpk_gt_u32 s3, 0xe7f
	s_cselect_b32 s3, -1, 0
	s_cmp_eq_u32 s20, 0
	v_readfirstlane_b32 s20, v1
	s_cselect_b32 s3, s3, -1
	s_cmp_lg_u32 s3, 0
	s_cselect_b32 s2, s23, s2
	s_cselect_b32 s3, s24, s19
	s_cmpk_gt_u32 s20, 0xe7f
	s_mov_b32 s23, 0
	s_cselect_b32 s19, -1, 0
	s_cmp_eq_u32 s18, 0
	s_cselect_b32 s18, s19, -1
	s_delay_alu instid0(SALU_CYCLE_1)
	s_cmp_lg_u32 s18, 0
	s_cselect_b32 s3, s3, s1
	s_cselect_b32 s2, s2, s0
	s_mul_i32 s0, s3, 0xe80
	s_mul_hi_u32 s1, s2, 0xe80
	s_mul_i32 s18, s2, 0xe80
	s_add_i32 s1, s1, s0
	s_sub_u32 s0, s6, s18
	s_subb_u32 s1, s7, s1
	s_delay_alu instid0(SALU_CYCLE_1) | instskip(SKIP_1) | instid1(SALU_CYCLE_1)
	s_cmp_lg_u64 s[0:1], 0
	s_cselect_b32 s0, -1, 0
	v_cndmask_b32_e64 v1, 0, 1, s0
	s_delay_alu instid0(VALU_DEP_1) | instskip(NEXT) | instid1(VALU_DEP_1)
	v_readfirstlane_b32 s0, v1
	s_add_u32 s18, s2, s0
	s_addc_u32 s19, s3, 0
	s_add_u32 s20, s14, s22
	s_addc_u32 s21, s15, 0
	s_add_u32 s0, s18, -1
	s_addc_u32 s1, s19, -1
	s_mul_i32 s2, s22, 0xe80
	v_cmp_ge_u64_e64 s26, s[20:21], s[0:1]
	s_mov_b32 s3, -1
	s_mul_i32 s7, s0, 0xfffff180
	s_delay_alu instid0(VALU_DEP_1)
	s_and_b32 vcc_lo, exec_lo, s26
	s_cbranch_vccz .LBB1415_60
; %bb.1:
	s_mov_b32 s3, s23
	s_add_i32 s29, s7, s6
	s_lshl_b64 s[24:25], s[2:3], 3
	s_mov_b32 s3, exec_lo
	s_add_u32 s24, s27, s24
	s_addc_u32 s25, s28, s25
                                        ; implicit-def: $vgpr1_vgpr2
	v_cmpx_gt_u32_e64 s29, v0
	s_cbranch_execz .LBB1415_3
; %bb.2:
	v_lshlrev_b32_e32 v1, 3, v0
	global_load_b64 v[1:2], v1, s[24:25]
.LBB1415_3:
	s_or_b32 exec_lo, exec_lo, s3
	v_or_b32_e32 v3, 0x80, v0
	s_delay_alu instid0(VALU_DEP_1)
	v_cmp_gt_u32_e32 vcc_lo, s29, v3
                                        ; implicit-def: $vgpr3_vgpr4
	s_and_saveexec_b32 s3, vcc_lo
	s_cbranch_execz .LBB1415_5
; %bb.4:
	v_lshlrev_b32_e32 v3, 3, v0
	global_load_b64 v[3:4], v3, s[24:25] offset:1024
.LBB1415_5:
	s_or_b32 exec_lo, exec_lo, s3
	v_or_b32_e32 v5, 0x100, v0
	s_delay_alu instid0(VALU_DEP_1)
	v_cmp_gt_u32_e32 vcc_lo, s29, v5
                                        ; implicit-def: $vgpr5_vgpr6
	s_and_saveexec_b32 s3, vcc_lo
	s_cbranch_execz .LBB1415_7
; %bb.6:
	v_lshlrev_b32_e32 v5, 3, v0
	global_load_b64 v[5:6], v5, s[24:25] offset:2048
.LBB1415_7:
	s_or_b32 exec_lo, exec_lo, s3
	v_or_b32_e32 v7, 0x180, v0
	s_delay_alu instid0(VALU_DEP_1)
	v_cmp_gt_u32_e32 vcc_lo, s29, v7
                                        ; implicit-def: $vgpr7_vgpr8
	s_and_saveexec_b32 s3, vcc_lo
	s_cbranch_execz .LBB1415_9
; %bb.8:
	v_lshlrev_b32_e32 v7, 3, v0
	global_load_b64 v[7:8], v7, s[24:25] offset:3072
.LBB1415_9:
	s_or_b32 exec_lo, exec_lo, s3
	v_or_b32_e32 v11, 0x200, v0
	s_mov_b32 s3, exec_lo
                                        ; implicit-def: $vgpr9_vgpr10
	s_delay_alu instid0(VALU_DEP_1)
	v_cmpx_gt_u32_e64 s29, v11
	s_cbranch_execz .LBB1415_11
; %bb.10:
	v_lshlrev_b32_e32 v9, 3, v11
	global_load_b64 v[9:10], v9, s[24:25]
.LBB1415_11:
	s_or_b32 exec_lo, exec_lo, s3
	v_or_b32_e32 v13, 0x280, v0
	s_mov_b32 s3, exec_lo
                                        ; implicit-def: $vgpr11_vgpr12
	s_delay_alu instid0(VALU_DEP_1)
	v_cmpx_gt_u32_e64 s29, v13
	s_cbranch_execz .LBB1415_13
; %bb.12:
	v_lshlrev_b32_e32 v11, 3, v13
	global_load_b64 v[11:12], v11, s[24:25]
.LBB1415_13:
	s_or_b32 exec_lo, exec_lo, s3
	v_or_b32_e32 v15, 0x300, v0
	s_mov_b32 s3, exec_lo
                                        ; implicit-def: $vgpr13_vgpr14
	s_delay_alu instid0(VALU_DEP_1)
	v_cmpx_gt_u32_e64 s29, v15
	s_cbranch_execz .LBB1415_15
; %bb.14:
	v_lshlrev_b32_e32 v13, 3, v15
	global_load_b64 v[13:14], v13, s[24:25]
.LBB1415_15:
	s_or_b32 exec_lo, exec_lo, s3
	v_or_b32_e32 v17, 0x380, v0
	s_mov_b32 s3, exec_lo
                                        ; implicit-def: $vgpr15_vgpr16
	s_delay_alu instid0(VALU_DEP_1)
	v_cmpx_gt_u32_e64 s29, v17
	s_cbranch_execz .LBB1415_17
; %bb.16:
	v_lshlrev_b32_e32 v15, 3, v17
	global_load_b64 v[15:16], v15, s[24:25]
.LBB1415_17:
	s_or_b32 exec_lo, exec_lo, s3
	v_or_b32_e32 v19, 0x400, v0
	s_mov_b32 s3, exec_lo
                                        ; implicit-def: $vgpr17_vgpr18
	s_delay_alu instid0(VALU_DEP_1)
	v_cmpx_gt_u32_e64 s29, v19
	s_cbranch_execz .LBB1415_19
; %bb.18:
	v_lshlrev_b32_e32 v17, 3, v19
	global_load_b64 v[17:18], v17, s[24:25]
.LBB1415_19:
	s_or_b32 exec_lo, exec_lo, s3
	v_or_b32_e32 v21, 0x480, v0
	s_mov_b32 s3, exec_lo
                                        ; implicit-def: $vgpr19_vgpr20
	s_delay_alu instid0(VALU_DEP_1)
	v_cmpx_gt_u32_e64 s29, v21
	s_cbranch_execz .LBB1415_21
; %bb.20:
	v_lshlrev_b32_e32 v19, 3, v21
	global_load_b64 v[19:20], v19, s[24:25]
.LBB1415_21:
	s_or_b32 exec_lo, exec_lo, s3
	v_or_b32_e32 v23, 0x500, v0
	s_mov_b32 s3, exec_lo
                                        ; implicit-def: $vgpr21_vgpr22
	s_delay_alu instid0(VALU_DEP_1)
	v_cmpx_gt_u32_e64 s29, v23
	s_cbranch_execz .LBB1415_23
; %bb.22:
	v_lshlrev_b32_e32 v21, 3, v23
	global_load_b64 v[21:22], v21, s[24:25]
.LBB1415_23:
	s_or_b32 exec_lo, exec_lo, s3
	v_or_b32_e32 v25, 0x580, v0
	s_mov_b32 s3, exec_lo
                                        ; implicit-def: $vgpr23_vgpr24
	s_delay_alu instid0(VALU_DEP_1)
	v_cmpx_gt_u32_e64 s29, v25
	s_cbranch_execz .LBB1415_25
; %bb.24:
	v_lshlrev_b32_e32 v23, 3, v25
	global_load_b64 v[23:24], v23, s[24:25]
.LBB1415_25:
	s_or_b32 exec_lo, exec_lo, s3
	v_or_b32_e32 v27, 0x600, v0
	s_mov_b32 s3, exec_lo
                                        ; implicit-def: $vgpr25_vgpr26
	s_delay_alu instid0(VALU_DEP_1)
	v_cmpx_gt_u32_e64 s29, v27
	s_cbranch_execz .LBB1415_27
; %bb.26:
	v_lshlrev_b32_e32 v25, 3, v27
	global_load_b64 v[25:26], v25, s[24:25]
.LBB1415_27:
	s_or_b32 exec_lo, exec_lo, s3
	v_or_b32_e32 v29, 0x680, v0
	s_mov_b32 s3, exec_lo
                                        ; implicit-def: $vgpr27_vgpr28
	s_delay_alu instid0(VALU_DEP_1)
	v_cmpx_gt_u32_e64 s29, v29
	s_cbranch_execz .LBB1415_29
; %bb.28:
	v_lshlrev_b32_e32 v27, 3, v29
	global_load_b64 v[27:28], v27, s[24:25]
.LBB1415_29:
	s_or_b32 exec_lo, exec_lo, s3
	v_or_b32_e32 v31, 0x700, v0
	s_mov_b32 s3, exec_lo
                                        ; implicit-def: $vgpr29_vgpr30
	s_delay_alu instid0(VALU_DEP_1)
	v_cmpx_gt_u32_e64 s29, v31
	s_cbranch_execz .LBB1415_31
; %bb.30:
	v_lshlrev_b32_e32 v29, 3, v31
	global_load_b64 v[29:30], v29, s[24:25]
.LBB1415_31:
	s_or_b32 exec_lo, exec_lo, s3
	v_or_b32_e32 v33, 0x780, v0
	s_mov_b32 s3, exec_lo
                                        ; implicit-def: $vgpr31_vgpr32
	s_delay_alu instid0(VALU_DEP_1)
	v_cmpx_gt_u32_e64 s29, v33
	s_cbranch_execz .LBB1415_33
; %bb.32:
	v_lshlrev_b32_e32 v31, 3, v33
	global_load_b64 v[31:32], v31, s[24:25]
.LBB1415_33:
	s_or_b32 exec_lo, exec_lo, s3
	v_or_b32_e32 v35, 0x800, v0
	s_mov_b32 s3, exec_lo
                                        ; implicit-def: $vgpr33_vgpr34
	s_delay_alu instid0(VALU_DEP_1)
	v_cmpx_gt_u32_e64 s29, v35
	s_cbranch_execz .LBB1415_35
; %bb.34:
	v_lshlrev_b32_e32 v33, 3, v35
	global_load_b64 v[33:34], v33, s[24:25]
.LBB1415_35:
	s_or_b32 exec_lo, exec_lo, s3
	v_or_b32_e32 v37, 0x880, v0
	s_mov_b32 s3, exec_lo
                                        ; implicit-def: $vgpr35_vgpr36
	s_delay_alu instid0(VALU_DEP_1)
	v_cmpx_gt_u32_e64 s29, v37
	s_cbranch_execz .LBB1415_37
; %bb.36:
	v_lshlrev_b32_e32 v35, 3, v37
	global_load_b64 v[35:36], v35, s[24:25]
.LBB1415_37:
	s_or_b32 exec_lo, exec_lo, s3
	v_or_b32_e32 v39, 0x900, v0
	s_mov_b32 s3, exec_lo
                                        ; implicit-def: $vgpr37_vgpr38
	s_delay_alu instid0(VALU_DEP_1)
	v_cmpx_gt_u32_e64 s29, v39
	s_cbranch_execz .LBB1415_39
; %bb.38:
	v_lshlrev_b32_e32 v37, 3, v39
	global_load_b64 v[37:38], v37, s[24:25]
.LBB1415_39:
	s_or_b32 exec_lo, exec_lo, s3
	v_or_b32_e32 v41, 0x980, v0
	s_mov_b32 s3, exec_lo
                                        ; implicit-def: $vgpr39_vgpr40
	s_delay_alu instid0(VALU_DEP_1)
	v_cmpx_gt_u32_e64 s29, v41
	s_cbranch_execz .LBB1415_41
; %bb.40:
	v_lshlrev_b32_e32 v39, 3, v41
	global_load_b64 v[39:40], v39, s[24:25]
.LBB1415_41:
	s_or_b32 exec_lo, exec_lo, s3
	v_or_b32_e32 v43, 0xa00, v0
	s_mov_b32 s3, exec_lo
                                        ; implicit-def: $vgpr41_vgpr42
	s_delay_alu instid0(VALU_DEP_1)
	v_cmpx_gt_u32_e64 s29, v43
	s_cbranch_execz .LBB1415_43
; %bb.42:
	v_lshlrev_b32_e32 v41, 3, v43
	global_load_b64 v[41:42], v41, s[24:25]
.LBB1415_43:
	s_or_b32 exec_lo, exec_lo, s3
	v_or_b32_e32 v45, 0xa80, v0
	s_mov_b32 s3, exec_lo
                                        ; implicit-def: $vgpr43_vgpr44
	s_delay_alu instid0(VALU_DEP_1)
	v_cmpx_gt_u32_e64 s29, v45
	s_cbranch_execz .LBB1415_45
; %bb.44:
	v_lshlrev_b32_e32 v43, 3, v45
	global_load_b64 v[43:44], v43, s[24:25]
.LBB1415_45:
	s_or_b32 exec_lo, exec_lo, s3
	v_or_b32_e32 v47, 0xb00, v0
	s_mov_b32 s3, exec_lo
                                        ; implicit-def: $vgpr45_vgpr46
	s_delay_alu instid0(VALU_DEP_1)
	v_cmpx_gt_u32_e64 s29, v47
	s_cbranch_execz .LBB1415_47
; %bb.46:
	v_lshlrev_b32_e32 v45, 3, v47
	global_load_b64 v[45:46], v45, s[24:25]
.LBB1415_47:
	s_or_b32 exec_lo, exec_lo, s3
	v_or_b32_e32 v49, 0xb80, v0
	s_mov_b32 s3, exec_lo
                                        ; implicit-def: $vgpr47_vgpr48
	s_delay_alu instid0(VALU_DEP_1)
	v_cmpx_gt_u32_e64 s29, v49
	s_cbranch_execz .LBB1415_49
; %bb.48:
	v_lshlrev_b32_e32 v47, 3, v49
	global_load_b64 v[47:48], v47, s[24:25]
.LBB1415_49:
	s_or_b32 exec_lo, exec_lo, s3
	v_or_b32_e32 v51, 0xc00, v0
	s_mov_b32 s3, exec_lo
                                        ; implicit-def: $vgpr49_vgpr50
	s_delay_alu instid0(VALU_DEP_1)
	v_cmpx_gt_u32_e64 s29, v51
	s_cbranch_execz .LBB1415_51
; %bb.50:
	v_lshlrev_b32_e32 v49, 3, v51
	global_load_b64 v[49:50], v49, s[24:25]
.LBB1415_51:
	s_or_b32 exec_lo, exec_lo, s3
	v_or_b32_e32 v53, 0xc80, v0
	s_mov_b32 s3, exec_lo
                                        ; implicit-def: $vgpr51_vgpr52
	s_delay_alu instid0(VALU_DEP_1)
	v_cmpx_gt_u32_e64 s29, v53
	s_cbranch_execz .LBB1415_53
; %bb.52:
	v_lshlrev_b32_e32 v51, 3, v53
	global_load_b64 v[51:52], v51, s[24:25]
.LBB1415_53:
	s_or_b32 exec_lo, exec_lo, s3
	v_or_b32_e32 v55, 0xd00, v0
	s_mov_b32 s3, exec_lo
                                        ; implicit-def: $vgpr53_vgpr54
	s_delay_alu instid0(VALU_DEP_1)
	v_cmpx_gt_u32_e64 s29, v55
	s_cbranch_execz .LBB1415_55
; %bb.54:
	v_lshlrev_b32_e32 v53, 3, v55
	global_load_b64 v[53:54], v53, s[24:25]
.LBB1415_55:
	s_or_b32 exec_lo, exec_lo, s3
	v_or_b32_e32 v57, 0xd80, v0
	s_mov_b32 s3, exec_lo
                                        ; implicit-def: $vgpr55_vgpr56
	s_delay_alu instid0(VALU_DEP_1)
	v_cmpx_gt_u32_e64 s29, v57
	s_cbranch_execz .LBB1415_57
; %bb.56:
	v_lshlrev_b32_e32 v55, 3, v57
	global_load_b64 v[55:56], v55, s[24:25]
.LBB1415_57:
	s_or_b32 exec_lo, exec_lo, s3
	v_or_b32_e32 v59, 0xe00, v0
	s_mov_b32 s3, exec_lo
                                        ; implicit-def: $vgpr57_vgpr58
	s_delay_alu instid0(VALU_DEP_1)
	v_cmpx_gt_u32_e64 s29, v59
	s_cbranch_execz .LBB1415_59
; %bb.58:
	v_lshlrev_b32_e32 v57, 3, v59
	global_load_b64 v[57:58], v57, s[24:25]
.LBB1415_59:
	s_or_b32 exec_lo, exec_lo, s3
	v_lshlrev_b32_e32 v59, 3, v0
	s_mov_b32 s3, 0
	s_waitcnt vmcnt(0)
	ds_store_2addr_stride64_b64 v59, v[1:2], v[3:4] offset1:2
	ds_store_2addr_stride64_b64 v59, v[5:6], v[7:8] offset0:4 offset1:6
	ds_store_2addr_stride64_b64 v59, v[9:10], v[11:12] offset0:8 offset1:10
	;; [unrolled: 1-line block ×13, first 2 shown]
	ds_store_b64 v59, v[57:58] offset:28672
	s_waitcnt lgkmcnt(0)
	s_barrier
.LBB1415_60:
	v_lshlrev_b32_e32 v195, 3, v0
	s_and_b32 vcc_lo, exec_lo, s3
	s_cbranch_vccz .LBB1415_62
; %bb.61:
	s_mov_b32 s3, 0
	s_delay_alu instid0(SALU_CYCLE_1) | instskip(NEXT) | instid1(SALU_CYCLE_1)
	s_lshl_b64 s[24:25], s[2:3], 3
	s_add_u32 s24, s27, s24
	s_addc_u32 s25, s28, s25
	v_add_co_u32 v49, s3, s24, v195
	s_delay_alu instid0(VALU_DEP_1)
	v_add_co_ci_u32_e64 v50, null, s25, 0, s3
	s_clause 0x3
	global_load_b64 v[1:2], v195, s[24:25]
	global_load_b64 v[3:4], v195, s[24:25] offset:1024
	global_load_b64 v[5:6], v195, s[24:25] offset:2048
	;; [unrolled: 1-line block ×3, first 2 shown]
	v_add_co_u32 v9, vcc_lo, 0x1000, v49
	v_add_co_ci_u32_e32 v10, vcc_lo, 0, v50, vcc_lo
	v_add_co_u32 v11, vcc_lo, v49, 0x2000
	v_add_co_ci_u32_e32 v12, vcc_lo, 0, v50, vcc_lo
	;; [unrolled: 2-line block ×10, first 2 shown]
	s_clause 0x18
	global_load_b64 v[15:16], v[11:12], off offset:-4096
	global_load_b64 v[17:18], v[9:10], off offset:1024
	global_load_b64 v[19:20], v[9:10], off offset:2048
	;; [unrolled: 1-line block ×12, first 2 shown]
	global_load_b64 v[11:12], v[11:12], off
	global_load_b64 v[43:44], v[25:26], off offset:-4096
	global_load_b64 v[25:26], v[25:26], off
	global_load_b64 v[45:46], v[39:40], off offset:-4096
	global_load_b64 v[39:40], v[39:40], off
	global_load_b64 v[51:52], v[41:42], off offset:1024
	global_load_b64 v[53:54], v[41:42], off offset:2048
	;; [unrolled: 1-line block ×6, first 2 shown]
	global_load_b64 v[49:50], v[49:50], off
	s_waitcnt vmcnt(27)
	ds_store_2addr_stride64_b64 v195, v[1:2], v[3:4] offset1:2
	s_waitcnt vmcnt(25)
	ds_store_2addr_stride64_b64 v195, v[5:6], v[7:8] offset0:4 offset1:6
	s_waitcnt vmcnt(23)
	ds_store_2addr_stride64_b64 v195, v[15:16], v[17:18] offset0:8 offset1:10
	;; [unrolled: 2-line block ×4, first 2 shown]
	ds_store_2addr_stride64_b64 v195, v[29:30], v[13:14] offset0:20 offset1:22
	s_waitcnt vmcnt(10)
	ds_store_2addr_stride64_b64 v195, v[43:44], v[31:32] offset0:24 offset1:26
	ds_store_2addr_stride64_b64 v195, v[33:34], v[23:24] offset0:28 offset1:30
	s_waitcnt vmcnt(9)
	ds_store_2addr_stride64_b64 v195, v[25:26], v[35:36] offset0:32 offset1:34
	;; [unrolled: 3-line block ×3, first 2 shown]
	s_waitcnt vmcnt(4)
	ds_store_2addr_stride64_b64 v195, v[53:54], v[41:42] offset0:44 offset1:46
	s_waitcnt vmcnt(3)
	ds_store_2addr_stride64_b64 v195, v[39:40], v[55:56] offset0:48 offset1:50
	;; [unrolled: 2-line block ×3, first 2 shown]
	s_waitcnt vmcnt(0)
	ds_store_b64 v195, v[49:50] offset:28672
	s_waitcnt lgkmcnt(0)
	s_barrier
.LBB1415_62:
	v_mul_u32_u24_e32 v1, 29, v0
	buffer_gl0_inv
	s_cmp_eq_u64 s[20:21], 0
	v_lshlrev_b32_e32 v53, 3, v1
	ds_load_b64 v[109:110], v53 offset:224
	ds_load_2addr_b64 v[5:8], v53 offset0:26 offset1:27
	ds_load_2addr_b64 v[9:12], v53 offset0:24 offset1:25
	ds_load_2addr_b64 v[1:4], v53 offset1:1
	ds_load_2addr_b64 v[13:16], v53 offset0:2 offset1:3
	ds_load_2addr_b64 v[17:20], v53 offset0:4 offset1:5
	;; [unrolled: 1-line block ×11, first 2 shown]
	s_waitcnt lgkmcnt(0)
	s_barrier
	buffer_gl0_inv
	s_cbranch_scc1 .LBB1415_71
; %bb.63:
	s_lshl_b64 s[14:15], s[14:15], 3
	s_delay_alu instid0(SALU_CYCLE_1) | instskip(SKIP_2) | instid1(SALU_CYCLE_1)
	s_add_u32 s3, s12, s14
	s_addc_u32 s14, s13, s15
	s_lshl_b64 s[12:13], s[22:23], 3
	s_add_u32 s3, s3, s12
	s_addc_u32 s13, s14, s13
	s_add_u32 s12, s3, -8
	s_addc_u32 s13, s13, -1
	s_cmp_lg_u64 s[20:21], s[0:1]
	s_load_b64 s[12:13], s[12:13], 0x0
	s_cbranch_scc0 .LBB1415_72
; %bb.64:
	v_mul_lo_u32 v59, v8, s8
	v_mul_lo_u32 v60, v7, s9
	v_mad_u64_u32 v[57:58], null, v7, s8, 0
	v_mov_b32_e32 v113, 0
	v_mov_b32_e32 v114, 0
	v_cmp_lt_i64_e64 s0, s[8:9], 1
	v_cmp_gt_i64_e64 s1, s[8:9], 0
	s_delay_alu instid0(VALU_DEP_4) | instskip(SKIP_4) | instid1(VALU_DEP_1)
	v_mov_b32_e32 v111, v113
	ds_store_b64 v195, v[109:110]
	v_mov_b32_e32 v112, v114
	v_add3_u32 v58, v58, v60, v59
	s_and_b32 vcc_lo, exec_lo, s0
	v_lshlrev_b64 v[57:58], 1, v[57:58]
	s_cbranch_vccnz .LBB1415_76
; %bb.65:
	v_mul_lo_u32 v61, v110, s8
	v_mul_lo_u32 v62, v109, s9
	v_mad_u64_u32 v[59:60], null, v109, s8, 0
	v_mov_b32_e32 v111, 1
	v_mov_b32_e32 v112, 0
	s_mov_b32 s3, exec_lo
	s_delay_alu instid0(VALU_DEP_3) | instskip(NEXT) | instid1(VALU_DEP_1)
	v_add3_u32 v60, v60, v62, v61
	v_lshlrev_b64 v[59:60], 1, v[59:60]
	s_delay_alu instid0(VALU_DEP_1) | instskip(NEXT) | instid1(VALU_DEP_2)
	v_add_co_u32 v61, vcc_lo, s10, v59
	v_add_co_ci_u32_e32 v62, vcc_lo, s11, v60, vcc_lo
	v_add_co_u32 v59, vcc_lo, s10, v57
	v_add_co_ci_u32_e32 v60, vcc_lo, s11, v58, vcc_lo
	s_clause 0x1
	global_load_u16 v63, v[61:62], off
	global_load_u16 v64, v[59:60], off
	s_waitcnt vmcnt(0)
	v_cmpx_eq_u16_e64 v63, v64
	s_cbranch_execz .LBB1415_75
; %bb.66:
	v_add_co_u32 v59, vcc_lo, v59, 2
	v_add_co_ci_u32_e32 v60, vcc_lo, 0, v60, vcc_lo
	v_add_co_u32 v61, vcc_lo, v61, 2
	v_add_co_ci_u32_e32 v62, vcc_lo, 0, v62, vcc_lo
	s_add_u32 s14, s8, -1
	s_addc_u32 s15, s9, -1
	s_mov_b64 s[22:23], 0
	s_mov_b32 s21, 0
                                        ; implicit-def: $sgpr24
	s_set_inst_prefetch_distance 0x1
	s_branch .LBB1415_69
	.p2align	6
.LBB1415_67:                            ;   in Loop: Header=BB1415_69 Depth=1
	global_load_u16 v63, v[61:62], off
	global_load_u16 v64, v[59:60], off
	v_add_co_u32 v59, vcc_lo, v59, 2
	v_add_co_ci_u32_e32 v60, vcc_lo, 0, v60, vcc_lo
	v_add_co_u32 v61, s0, v61, 2
	s_delay_alu instid0(VALU_DEP_1)
	v_add_co_ci_u32_e64 v62, s0, 0, v62, s0
	s_add_u32 s22, s22, 1
	s_addc_u32 s23, s23, 0
	s_and_not1_b32 s0, s24, exec_lo
	s_waitcnt vmcnt(0)
	v_cmp_ne_u16_e32 vcc_lo, v63, v64
	s_and_b32 s24, vcc_lo, exec_lo
	s_delay_alu instid0(SALU_CYCLE_1)
	s_or_b32 s24, s0, s24
.LBB1415_68:                            ;   in Loop: Header=BB1415_69 Depth=1
	v_dual_mov_b32 v64, s23 :: v_dual_mov_b32 v63, s22
	s_and_b32 s0, exec_lo, s24
	s_delay_alu instid0(SALU_CYCLE_1) | instskip(NEXT) | instid1(SALU_CYCLE_1)
	s_or_b32 s21, s0, s21
	s_and_not1_b32 exec_lo, exec_lo, s21
	s_cbranch_execz .LBB1415_74
.LBB1415_69:                            ; =>This Inner Loop Header: Depth=1
	s_or_b32 s24, s24, exec_lo
	s_cmp_eq_u64 s[14:15], s[22:23]
	s_cbranch_scc0 .LBB1415_67
; %bb.70:                               ;   in Loop: Header=BB1415_69 Depth=1
	s_mov_b64 s[22:23], s[8:9]
                                        ; implicit-def: $vgpr59_vgpr60
                                        ; implicit-def: $vgpr61_vgpr62
	s_branch .LBB1415_68
.LBB1415_71:
	s_mov_b32 s1, 0
                                        ; implicit-def: $sgpr0
                                        ; implicit-def: $vgpr165_vgpr166
                                        ; implicit-def: $vgpr163_vgpr164
                                        ; implicit-def: $vgpr161_vgpr162
                                        ; implicit-def: $vgpr159_vgpr160
                                        ; implicit-def: $vgpr157_vgpr158
                                        ; implicit-def: $vgpr155_vgpr156
                                        ; implicit-def: $vgpr153_vgpr154
                                        ; implicit-def: $vgpr151_vgpr152
                                        ; implicit-def: $vgpr149_vgpr150
                                        ; implicit-def: $vgpr147_vgpr148
                                        ; implicit-def: $vgpr145_vgpr146
                                        ; implicit-def: $vgpr143_vgpr144
                                        ; implicit-def: $vgpr141_vgpr142
                                        ; implicit-def: $vgpr139_vgpr140
                                        ; implicit-def: $vgpr137_vgpr138
                                        ; implicit-def: $vgpr135_vgpr136
                                        ; implicit-def: $vgpr133_vgpr134
                                        ; implicit-def: $vgpr131_vgpr132
                                        ; implicit-def: $vgpr129_vgpr130
                                        ; implicit-def: $vgpr127_vgpr128
                                        ; implicit-def: $vgpr125_vgpr126
                                        ; implicit-def: $vgpr123_vgpr124
                                        ; implicit-def: $vgpr121_vgpr122
                                        ; implicit-def: $vgpr119_vgpr120
                                        ; implicit-def: $vgpr117_vgpr118
                                        ; implicit-def: $vgpr113_vgpr114
                                        ; implicit-def: $vgpr115_vgpr116
                                        ; implicit-def: $vgpr111_vgpr112
                                        ; implicit-def: $vgpr181_vgpr182
                                        ; implicit-def: $vgpr167_vgpr168
                                        ; implicit-def: $vgpr169_vgpr170
                                        ; implicit-def: $vgpr171_vgpr172
                                        ; implicit-def: $vgpr173_vgpr174
                                        ; implicit-def: $vgpr175_vgpr176
                                        ; implicit-def: $vgpr177_vgpr178
                                        ; implicit-def: $vgpr179_vgpr180
                                        ; implicit-def: $vgpr183_vgpr184
                                        ; implicit-def: $vgpr185_vgpr186
                                        ; implicit-def: $vgpr187_vgpr188
                                        ; implicit-def: $vgpr189_vgpr190
                                        ; implicit-def: $vgpr191_vgpr192
                                        ; implicit-def: $vgpr193_vgpr194
                                        ; implicit-def: $vgpr57_vgpr58_vgpr59_vgpr60
                                        ; implicit-def: $vgpr61_vgpr62_vgpr63_vgpr64
                                        ; implicit-def: $vgpr65_vgpr66_vgpr67_vgpr68
                                        ; implicit-def: $vgpr69_vgpr70_vgpr71_vgpr72
                                        ; implicit-def: $vgpr73_vgpr74_vgpr75_vgpr76
                                        ; implicit-def: $vgpr77_vgpr78_vgpr79_vgpr80
                                        ; implicit-def: $vgpr81_vgpr82_vgpr83_vgpr84
                                        ; implicit-def: $vgpr85_vgpr86_vgpr87_vgpr88
                                        ; implicit-def: $vgpr89_vgpr90_vgpr91_vgpr92
                                        ; implicit-def: $vgpr93_vgpr94_vgpr95_vgpr96
                                        ; implicit-def: $vgpr97_vgpr98_vgpr99_vgpr100
                                        ; implicit-def: $vgpr101_vgpr102_vgpr103_vgpr104
                                        ; implicit-def: $vgpr105_vgpr106_vgpr107_vgpr108
	s_cbranch_execnz .LBB1415_655
	s_branch .LBB1415_1243
.LBB1415_72:
	s_mov_b32 s1, 0
                                        ; implicit-def: $sgpr0
                                        ; implicit-def: $vgpr165_vgpr166
                                        ; implicit-def: $vgpr163_vgpr164
                                        ; implicit-def: $vgpr161_vgpr162
                                        ; implicit-def: $vgpr159_vgpr160
                                        ; implicit-def: $vgpr157_vgpr158
                                        ; implicit-def: $vgpr155_vgpr156
                                        ; implicit-def: $vgpr153_vgpr154
                                        ; implicit-def: $vgpr151_vgpr152
                                        ; implicit-def: $vgpr149_vgpr150
                                        ; implicit-def: $vgpr147_vgpr148
                                        ; implicit-def: $vgpr145_vgpr146
                                        ; implicit-def: $vgpr143_vgpr144
                                        ; implicit-def: $vgpr141_vgpr142
                                        ; implicit-def: $vgpr139_vgpr140
                                        ; implicit-def: $vgpr137_vgpr138
                                        ; implicit-def: $vgpr135_vgpr136
                                        ; implicit-def: $vgpr133_vgpr134
                                        ; implicit-def: $vgpr131_vgpr132
                                        ; implicit-def: $vgpr129_vgpr130
                                        ; implicit-def: $vgpr127_vgpr128
                                        ; implicit-def: $vgpr125_vgpr126
                                        ; implicit-def: $vgpr123_vgpr124
                                        ; implicit-def: $vgpr121_vgpr122
                                        ; implicit-def: $vgpr119_vgpr120
                                        ; implicit-def: $vgpr117_vgpr118
                                        ; implicit-def: $vgpr113_vgpr114
                                        ; implicit-def: $vgpr115_vgpr116
                                        ; implicit-def: $vgpr111_vgpr112
	s_cbranch_execnz .LBB1415_332
.LBB1415_73:
                                        ; implicit-def: $vgpr181_vgpr182
                                        ; implicit-def: $vgpr167_vgpr168
                                        ; implicit-def: $vgpr169_vgpr170
                                        ; implicit-def: $vgpr171_vgpr172
                                        ; implicit-def: $vgpr173_vgpr174
                                        ; implicit-def: $vgpr175_vgpr176
                                        ; implicit-def: $vgpr177_vgpr178
                                        ; implicit-def: $vgpr179_vgpr180
                                        ; implicit-def: $vgpr183_vgpr184
                                        ; implicit-def: $vgpr185_vgpr186
                                        ; implicit-def: $vgpr187_vgpr188
                                        ; implicit-def: $vgpr189_vgpr190
                                        ; implicit-def: $vgpr191_vgpr192
                                        ; implicit-def: $vgpr193_vgpr194
                                        ; implicit-def: $vgpr57_vgpr58_vgpr59_vgpr60
                                        ; implicit-def: $vgpr61_vgpr62_vgpr63_vgpr64
                                        ; implicit-def: $vgpr65_vgpr66_vgpr67_vgpr68
                                        ; implicit-def: $vgpr69_vgpr70_vgpr71_vgpr72
                                        ; implicit-def: $vgpr73_vgpr74_vgpr75_vgpr76
                                        ; implicit-def: $vgpr77_vgpr78_vgpr79_vgpr80
                                        ; implicit-def: $vgpr81_vgpr82_vgpr83_vgpr84
                                        ; implicit-def: $vgpr85_vgpr86_vgpr87_vgpr88
                                        ; implicit-def: $vgpr89_vgpr90_vgpr91_vgpr92
                                        ; implicit-def: $vgpr93_vgpr94_vgpr95_vgpr96
                                        ; implicit-def: $vgpr97_vgpr98_vgpr99_vgpr100
                                        ; implicit-def: $vgpr101_vgpr102_vgpr103_vgpr104
                                        ; implicit-def: $vgpr105_vgpr106_vgpr107_vgpr108
	s_branch .LBB1415_1243
.LBB1415_74:
	s_set_inst_prefetch_distance 0x2
	s_or_b32 exec_lo, exec_lo, s21
	v_cmp_gt_i64_e32 vcc_lo, s[8:9], v[63:64]
	s_mov_b32 s0, 0
	s_delay_alu instid0(SALU_CYCLE_1)
	v_mov_b32_e32 v112, s0
	v_cndmask_b32_e64 v111, 0, 1, vcc_lo
.LBB1415_75:
	s_or_b32 exec_lo, exec_lo, s3
.LBB1415_76:
	v_mul_lo_u32 v61, v6, s8
	v_mul_lo_u32 v62, v5, s9
	v_mad_u64_u32 v[59:60], null, v5, s8, 0
	v_cndmask_b32_e64 v65, 0, 1, s1
	v_dual_mov_b32 v116, v114 :: v_dual_mov_b32 v115, v113
	s_and_not1_b32 vcc_lo, exec_lo, s1
	s_delay_alu instid0(VALU_DEP_3) | instskip(NEXT) | instid1(VALU_DEP_1)
	v_add3_u32 v60, v60, v62, v61
	v_lshlrev_b64 v[59:60], 1, v[59:60]
	s_cbranch_vccnz .LBB1415_85
; %bb.77:
	v_add_co_u32 v61, vcc_lo, s10, v57
	v_add_co_ci_u32_e32 v62, vcc_lo, s11, v58, vcc_lo
	s_delay_alu instid0(VALU_DEP_3) | instskip(NEXT) | instid1(VALU_DEP_4)
	v_add_co_u32 v57, vcc_lo, s10, v59
	v_add_co_ci_u32_e32 v58, vcc_lo, s11, v60, vcc_lo
	v_mov_b32_e32 v115, 1
	s_clause 0x1
	global_load_u16 v63, v[61:62], off
	global_load_u16 v64, v[57:58], off
	v_mov_b32_e32 v116, 0
	s_mov_b32 s1, exec_lo
	s_waitcnt vmcnt(0)
	v_cmpx_eq_u16_e64 v63, v64
	s_cbranch_execz .LBB1415_84
; %bb.78:
	v_add_co_u32 v57, vcc_lo, v57, 2
	v_add_co_ci_u32_e32 v58, vcc_lo, 0, v58, vcc_lo
	v_add_co_u32 v61, vcc_lo, v61, 2
	v_add_co_ci_u32_e32 v62, vcc_lo, 0, v62, vcc_lo
	s_add_u32 s14, s8, -1
	s_addc_u32 s15, s9, -1
	s_mov_b64 s[22:23], 0
	s_mov_b32 s3, 0
                                        ; implicit-def: $sgpr21
	s_set_inst_prefetch_distance 0x1
	s_branch .LBB1415_81
	.p2align	6
.LBB1415_79:                            ;   in Loop: Header=BB1415_81 Depth=1
	global_load_u16 v63, v[61:62], off
	global_load_u16 v64, v[57:58], off
	v_add_co_u32 v57, vcc_lo, v57, 2
	v_add_co_ci_u32_e32 v58, vcc_lo, 0, v58, vcc_lo
	v_add_co_u32 v61, s0, v61, 2
	s_delay_alu instid0(VALU_DEP_1)
	v_add_co_ci_u32_e64 v62, s0, 0, v62, s0
	s_add_u32 s22, s22, 1
	s_addc_u32 s23, s23, 0
	s_and_not1_b32 s0, s21, exec_lo
	s_waitcnt vmcnt(0)
	v_cmp_ne_u16_e32 vcc_lo, v63, v64
	s_and_b32 s21, vcc_lo, exec_lo
	s_delay_alu instid0(SALU_CYCLE_1)
	s_or_b32 s21, s0, s21
.LBB1415_80:                            ;   in Loop: Header=BB1415_81 Depth=1
	v_dual_mov_b32 v64, s23 :: v_dual_mov_b32 v63, s22
	s_and_b32 s0, exec_lo, s21
	s_delay_alu instid0(SALU_CYCLE_1) | instskip(NEXT) | instid1(SALU_CYCLE_1)
	s_or_b32 s3, s0, s3
	s_and_not1_b32 exec_lo, exec_lo, s3
	s_cbranch_execz .LBB1415_83
.LBB1415_81:                            ; =>This Inner Loop Header: Depth=1
	s_or_b32 s21, s21, exec_lo
	s_cmp_eq_u64 s[14:15], s[22:23]
	s_cbranch_scc0 .LBB1415_79
; %bb.82:                               ;   in Loop: Header=BB1415_81 Depth=1
	s_mov_b64 s[22:23], s[8:9]
                                        ; implicit-def: $vgpr57_vgpr58
                                        ; implicit-def: $vgpr61_vgpr62
	s_branch .LBB1415_80
.LBB1415_83:
	s_set_inst_prefetch_distance 0x2
	s_or_b32 exec_lo, exec_lo, s3
	v_cmp_gt_i64_e32 vcc_lo, s[8:9], v[63:64]
	s_mov_b32 s0, 0
	s_delay_alu instid0(SALU_CYCLE_1)
	v_mov_b32_e32 v116, s0
	v_cndmask_b32_e64 v115, 0, 1, vcc_lo
.LBB1415_84:
	s_or_b32 exec_lo, exec_lo, s1
.LBB1415_85:
	v_mul_lo_u32 v61, v12, s8
	v_mul_lo_u32 v62, v11, s9
	v_mad_u64_u32 v[57:58], null, v11, s8, 0
	v_cmp_ne_u32_e32 vcc_lo, 1, v65
	s_delay_alu instid0(VALU_DEP_2) | instskip(NEXT) | instid1(VALU_DEP_1)
	v_add3_u32 v58, v58, v62, v61
	v_lshlrev_b64 v[57:58], 1, v[57:58]
	s_cbranch_vccnz .LBB1415_94
; %bb.86:
	v_add_co_u32 v61, vcc_lo, s10, v59
	v_add_co_ci_u32_e32 v62, vcc_lo, s11, v60, vcc_lo
	s_delay_alu instid0(VALU_DEP_3) | instskip(NEXT) | instid1(VALU_DEP_4)
	v_add_co_u32 v59, vcc_lo, s10, v57
	v_add_co_ci_u32_e32 v60, vcc_lo, s11, v58, vcc_lo
	v_mov_b32_e32 v113, 1
	s_clause 0x1
	global_load_u16 v63, v[61:62], off
	global_load_u16 v64, v[59:60], off
	v_mov_b32_e32 v114, 0
	s_mov_b32 s1, exec_lo
	s_waitcnt vmcnt(0)
	v_cmpx_eq_u16_e64 v63, v64
	s_cbranch_execz .LBB1415_93
; %bb.87:
	v_add_co_u32 v59, vcc_lo, v59, 2
	v_add_co_ci_u32_e32 v60, vcc_lo, 0, v60, vcc_lo
	v_add_co_u32 v61, vcc_lo, v61, 2
	v_add_co_ci_u32_e32 v62, vcc_lo, 0, v62, vcc_lo
	s_add_u32 s14, s8, -1
	s_addc_u32 s15, s9, -1
	s_mov_b64 s[22:23], 0
	s_mov_b32 s3, 0
                                        ; implicit-def: $sgpr21
	s_set_inst_prefetch_distance 0x1
	s_branch .LBB1415_90
	.p2align	6
.LBB1415_88:                            ;   in Loop: Header=BB1415_90 Depth=1
	global_load_u16 v63, v[61:62], off
	global_load_u16 v64, v[59:60], off
	v_add_co_u32 v59, vcc_lo, v59, 2
	v_add_co_ci_u32_e32 v60, vcc_lo, 0, v60, vcc_lo
	v_add_co_u32 v61, s0, v61, 2
	s_delay_alu instid0(VALU_DEP_1)
	v_add_co_ci_u32_e64 v62, s0, 0, v62, s0
	s_add_u32 s22, s22, 1
	s_addc_u32 s23, s23, 0
	s_and_not1_b32 s0, s21, exec_lo
	s_waitcnt vmcnt(0)
	v_cmp_ne_u16_e32 vcc_lo, v63, v64
	s_and_b32 s21, vcc_lo, exec_lo
	s_delay_alu instid0(SALU_CYCLE_1)
	s_or_b32 s21, s0, s21
.LBB1415_89:                            ;   in Loop: Header=BB1415_90 Depth=1
	v_dual_mov_b32 v64, s23 :: v_dual_mov_b32 v63, s22
	s_and_b32 s0, exec_lo, s21
	s_delay_alu instid0(SALU_CYCLE_1) | instskip(NEXT) | instid1(SALU_CYCLE_1)
	s_or_b32 s3, s0, s3
	s_and_not1_b32 exec_lo, exec_lo, s3
	s_cbranch_execz .LBB1415_92
.LBB1415_90:                            ; =>This Inner Loop Header: Depth=1
	s_or_b32 s21, s21, exec_lo
	s_cmp_eq_u64 s[14:15], s[22:23]
	s_cbranch_scc0 .LBB1415_88
; %bb.91:                               ;   in Loop: Header=BB1415_90 Depth=1
	s_mov_b64 s[22:23], s[8:9]
                                        ; implicit-def: $vgpr59_vgpr60
                                        ; implicit-def: $vgpr61_vgpr62
	s_branch .LBB1415_89
.LBB1415_92:
	s_set_inst_prefetch_distance 0x2
	s_or_b32 exec_lo, exec_lo, s3
	v_cmp_gt_i64_e32 vcc_lo, s[8:9], v[63:64]
	s_mov_b32 s0, 0
	s_delay_alu instid0(SALU_CYCLE_1)
	v_mov_b32_e32 v114, s0
	v_cndmask_b32_e64 v113, 0, 1, vcc_lo
.LBB1415_93:
	s_or_b32 exec_lo, exec_lo, s1
.LBB1415_94:
	v_mul_lo_u32 v61, v10, s8
	v_mul_lo_u32 v62, v9, s9
	v_mad_u64_u32 v[59:60], null, v9, s8, 0
	v_mov_b32_e32 v119, 0
	v_mov_b32_e32 v120, 0
	v_cmp_ne_u32_e32 vcc_lo, 1, v65
	s_delay_alu instid0(VALU_DEP_2) | instskip(SKIP_1) | instid1(VALU_DEP_1)
	v_dual_mov_b32 v117, v119 :: v_dual_mov_b32 v118, v120
	v_add3_u32 v60, v60, v62, v61
	v_lshlrev_b64 v[59:60], 1, v[59:60]
	s_cbranch_vccnz .LBB1415_103
; %bb.95:
	v_add_co_u32 v61, vcc_lo, s10, v57
	v_add_co_ci_u32_e32 v62, vcc_lo, s11, v58, vcc_lo
	s_delay_alu instid0(VALU_DEP_3) | instskip(NEXT) | instid1(VALU_DEP_4)
	v_add_co_u32 v57, vcc_lo, s10, v59
	v_add_co_ci_u32_e32 v58, vcc_lo, s11, v60, vcc_lo
	v_mov_b32_e32 v117, 1
	s_clause 0x1
	global_load_u16 v63, v[61:62], off
	global_load_u16 v64, v[57:58], off
	v_mov_b32_e32 v118, 0
	s_mov_b32 s1, exec_lo
	s_waitcnt vmcnt(0)
	v_cmpx_eq_u16_e64 v63, v64
	s_cbranch_execz .LBB1415_102
; %bb.96:
	v_add_co_u32 v57, vcc_lo, v57, 2
	v_add_co_ci_u32_e32 v58, vcc_lo, 0, v58, vcc_lo
	v_add_co_u32 v61, vcc_lo, v61, 2
	v_add_co_ci_u32_e32 v62, vcc_lo, 0, v62, vcc_lo
	s_add_u32 s14, s8, -1
	s_addc_u32 s15, s9, -1
	s_mov_b64 s[22:23], 0
	s_mov_b32 s3, 0
                                        ; implicit-def: $sgpr21
	s_set_inst_prefetch_distance 0x1
	s_branch .LBB1415_99
	.p2align	6
.LBB1415_97:                            ;   in Loop: Header=BB1415_99 Depth=1
	global_load_u16 v63, v[61:62], off
	global_load_u16 v64, v[57:58], off
	v_add_co_u32 v57, vcc_lo, v57, 2
	v_add_co_ci_u32_e32 v58, vcc_lo, 0, v58, vcc_lo
	v_add_co_u32 v61, s0, v61, 2
	s_delay_alu instid0(VALU_DEP_1)
	v_add_co_ci_u32_e64 v62, s0, 0, v62, s0
	s_add_u32 s22, s22, 1
	s_addc_u32 s23, s23, 0
	s_and_not1_b32 s0, s21, exec_lo
	s_waitcnt vmcnt(0)
	v_cmp_ne_u16_e32 vcc_lo, v63, v64
	s_and_b32 s21, vcc_lo, exec_lo
	s_delay_alu instid0(SALU_CYCLE_1)
	s_or_b32 s21, s0, s21
.LBB1415_98:                            ;   in Loop: Header=BB1415_99 Depth=1
	v_dual_mov_b32 v64, s23 :: v_dual_mov_b32 v63, s22
	s_and_b32 s0, exec_lo, s21
	s_delay_alu instid0(SALU_CYCLE_1) | instskip(NEXT) | instid1(SALU_CYCLE_1)
	s_or_b32 s3, s0, s3
	s_and_not1_b32 exec_lo, exec_lo, s3
	s_cbranch_execz .LBB1415_101
.LBB1415_99:                            ; =>This Inner Loop Header: Depth=1
	s_or_b32 s21, s21, exec_lo
	s_cmp_eq_u64 s[14:15], s[22:23]
	s_cbranch_scc0 .LBB1415_97
; %bb.100:                              ;   in Loop: Header=BB1415_99 Depth=1
	s_mov_b64 s[22:23], s[8:9]
                                        ; implicit-def: $vgpr57_vgpr58
                                        ; implicit-def: $vgpr61_vgpr62
	s_branch .LBB1415_98
.LBB1415_101:
	s_set_inst_prefetch_distance 0x2
	s_or_b32 exec_lo, exec_lo, s3
	v_cmp_gt_i64_e32 vcc_lo, s[8:9], v[63:64]
	s_mov_b32 s0, 0
	s_delay_alu instid0(SALU_CYCLE_1)
	v_mov_b32_e32 v118, s0
	v_cndmask_b32_e64 v117, 0, 1, vcc_lo
.LBB1415_102:
	s_or_b32 exec_lo, exec_lo, s1
.LBB1415_103:
	v_mul_lo_u32 v61, v56, s8
	v_mul_lo_u32 v62, v55, s9
	v_mad_u64_u32 v[57:58], null, v55, s8, 0
	v_cmp_ne_u32_e32 vcc_lo, 1, v65
	s_delay_alu instid0(VALU_DEP_2) | instskip(NEXT) | instid1(VALU_DEP_1)
	v_add3_u32 v58, v58, v62, v61
	v_lshlrev_b64 v[57:58], 1, v[57:58]
	s_cbranch_vccnz .LBB1415_112
; %bb.104:
	v_add_co_u32 v61, vcc_lo, s10, v59
	v_add_co_ci_u32_e32 v62, vcc_lo, s11, v60, vcc_lo
	s_delay_alu instid0(VALU_DEP_3) | instskip(NEXT) | instid1(VALU_DEP_4)
	v_add_co_u32 v59, vcc_lo, s10, v57
	v_add_co_ci_u32_e32 v60, vcc_lo, s11, v58, vcc_lo
	v_mov_b32_e32 v119, 1
	s_clause 0x1
	global_load_u16 v63, v[61:62], off
	global_load_u16 v64, v[59:60], off
	v_mov_b32_e32 v120, 0
	s_mov_b32 s1, exec_lo
	s_waitcnt vmcnt(0)
	v_cmpx_eq_u16_e64 v63, v64
	s_cbranch_execz .LBB1415_111
; %bb.105:
	v_add_co_u32 v59, vcc_lo, v59, 2
	v_add_co_ci_u32_e32 v60, vcc_lo, 0, v60, vcc_lo
	v_add_co_u32 v61, vcc_lo, v61, 2
	v_add_co_ci_u32_e32 v62, vcc_lo, 0, v62, vcc_lo
	s_add_u32 s14, s8, -1
	s_addc_u32 s15, s9, -1
	s_mov_b64 s[22:23], 0
	s_mov_b32 s3, 0
                                        ; implicit-def: $sgpr21
	s_set_inst_prefetch_distance 0x1
	s_branch .LBB1415_108
	.p2align	6
.LBB1415_106:                           ;   in Loop: Header=BB1415_108 Depth=1
	global_load_u16 v63, v[61:62], off
	global_load_u16 v64, v[59:60], off
	v_add_co_u32 v59, vcc_lo, v59, 2
	v_add_co_ci_u32_e32 v60, vcc_lo, 0, v60, vcc_lo
	v_add_co_u32 v61, s0, v61, 2
	s_delay_alu instid0(VALU_DEP_1)
	v_add_co_ci_u32_e64 v62, s0, 0, v62, s0
	s_add_u32 s22, s22, 1
	s_addc_u32 s23, s23, 0
	s_and_not1_b32 s0, s21, exec_lo
	s_waitcnt vmcnt(0)
	v_cmp_ne_u16_e32 vcc_lo, v63, v64
	s_and_b32 s21, vcc_lo, exec_lo
	s_delay_alu instid0(SALU_CYCLE_1)
	s_or_b32 s21, s0, s21
.LBB1415_107:                           ;   in Loop: Header=BB1415_108 Depth=1
	v_dual_mov_b32 v64, s23 :: v_dual_mov_b32 v63, s22
	s_and_b32 s0, exec_lo, s21
	s_delay_alu instid0(SALU_CYCLE_1) | instskip(NEXT) | instid1(SALU_CYCLE_1)
	s_or_b32 s3, s0, s3
	s_and_not1_b32 exec_lo, exec_lo, s3
	s_cbranch_execz .LBB1415_110
.LBB1415_108:                           ; =>This Inner Loop Header: Depth=1
	s_or_b32 s21, s21, exec_lo
	s_cmp_eq_u64 s[14:15], s[22:23]
	s_cbranch_scc0 .LBB1415_106
; %bb.109:                              ;   in Loop: Header=BB1415_108 Depth=1
	s_mov_b64 s[22:23], s[8:9]
                                        ; implicit-def: $vgpr59_vgpr60
                                        ; implicit-def: $vgpr61_vgpr62
	s_branch .LBB1415_107
.LBB1415_110:
	s_set_inst_prefetch_distance 0x2
	s_or_b32 exec_lo, exec_lo, s3
	v_cmp_gt_i64_e32 vcc_lo, s[8:9], v[63:64]
	s_mov_b32 s0, 0
	s_delay_alu instid0(SALU_CYCLE_1)
	v_mov_b32_e32 v120, s0
	v_cndmask_b32_e64 v119, 0, 1, vcc_lo
.LBB1415_111:
	s_or_b32 exec_lo, exec_lo, s1
.LBB1415_112:
	v_mul_lo_u32 v61, v54, s8
	v_mul_lo_u32 v62, v53, s9
	v_mad_u64_u32 v[59:60], null, v53, s8, 0
	v_mov_b32_e32 v123, 0
	v_mov_b32_e32 v124, 0
	v_cmp_ne_u32_e32 vcc_lo, 1, v65
	s_delay_alu instid0(VALU_DEP_2) | instskip(SKIP_1) | instid1(VALU_DEP_1)
	v_dual_mov_b32 v121, v123 :: v_dual_mov_b32 v122, v124
	v_add3_u32 v60, v60, v62, v61
	v_lshlrev_b64 v[59:60], 1, v[59:60]
	s_cbranch_vccnz .LBB1415_121
; %bb.113:
	v_add_co_u32 v61, vcc_lo, s10, v57
	v_add_co_ci_u32_e32 v62, vcc_lo, s11, v58, vcc_lo
	s_delay_alu instid0(VALU_DEP_3) | instskip(NEXT) | instid1(VALU_DEP_4)
	v_add_co_u32 v57, vcc_lo, s10, v59
	v_add_co_ci_u32_e32 v58, vcc_lo, s11, v60, vcc_lo
	v_mov_b32_e32 v121, 1
	s_clause 0x1
	global_load_u16 v63, v[61:62], off
	global_load_u16 v64, v[57:58], off
	v_mov_b32_e32 v122, 0
	s_mov_b32 s1, exec_lo
	s_waitcnt vmcnt(0)
	v_cmpx_eq_u16_e64 v63, v64
	s_cbranch_execz .LBB1415_120
; %bb.114:
	v_add_co_u32 v57, vcc_lo, v57, 2
	v_add_co_ci_u32_e32 v58, vcc_lo, 0, v58, vcc_lo
	v_add_co_u32 v61, vcc_lo, v61, 2
	v_add_co_ci_u32_e32 v62, vcc_lo, 0, v62, vcc_lo
	s_add_u32 s14, s8, -1
	s_addc_u32 s15, s9, -1
	s_mov_b64 s[22:23], 0
	s_mov_b32 s3, 0
                                        ; implicit-def: $sgpr21
	s_set_inst_prefetch_distance 0x1
	s_branch .LBB1415_117
	.p2align	6
.LBB1415_115:                           ;   in Loop: Header=BB1415_117 Depth=1
	global_load_u16 v63, v[61:62], off
	global_load_u16 v64, v[57:58], off
	v_add_co_u32 v57, vcc_lo, v57, 2
	v_add_co_ci_u32_e32 v58, vcc_lo, 0, v58, vcc_lo
	v_add_co_u32 v61, s0, v61, 2
	s_delay_alu instid0(VALU_DEP_1)
	v_add_co_ci_u32_e64 v62, s0, 0, v62, s0
	s_add_u32 s22, s22, 1
	s_addc_u32 s23, s23, 0
	s_and_not1_b32 s0, s21, exec_lo
	s_waitcnt vmcnt(0)
	v_cmp_ne_u16_e32 vcc_lo, v63, v64
	s_and_b32 s21, vcc_lo, exec_lo
	s_delay_alu instid0(SALU_CYCLE_1)
	s_or_b32 s21, s0, s21
.LBB1415_116:                           ;   in Loop: Header=BB1415_117 Depth=1
	v_dual_mov_b32 v64, s23 :: v_dual_mov_b32 v63, s22
	s_and_b32 s0, exec_lo, s21
	s_delay_alu instid0(SALU_CYCLE_1) | instskip(NEXT) | instid1(SALU_CYCLE_1)
	s_or_b32 s3, s0, s3
	s_and_not1_b32 exec_lo, exec_lo, s3
	s_cbranch_execz .LBB1415_119
.LBB1415_117:                           ; =>This Inner Loop Header: Depth=1
	s_or_b32 s21, s21, exec_lo
	s_cmp_eq_u64 s[14:15], s[22:23]
	s_cbranch_scc0 .LBB1415_115
; %bb.118:                              ;   in Loop: Header=BB1415_117 Depth=1
	s_mov_b64 s[22:23], s[8:9]
                                        ; implicit-def: $vgpr57_vgpr58
                                        ; implicit-def: $vgpr61_vgpr62
	s_branch .LBB1415_116
.LBB1415_119:
	s_set_inst_prefetch_distance 0x2
	s_or_b32 exec_lo, exec_lo, s3
	v_cmp_gt_i64_e32 vcc_lo, s[8:9], v[63:64]
	s_mov_b32 s0, 0
	s_delay_alu instid0(SALU_CYCLE_1)
	v_mov_b32_e32 v122, s0
	v_cndmask_b32_e64 v121, 0, 1, vcc_lo
.LBB1415_120:
	s_or_b32 exec_lo, exec_lo, s1
.LBB1415_121:
	v_mul_lo_u32 v61, v52, s8
	v_mul_lo_u32 v62, v51, s9
	v_mad_u64_u32 v[57:58], null, v51, s8, 0
	v_cmp_ne_u32_e32 vcc_lo, 1, v65
	s_delay_alu instid0(VALU_DEP_2) | instskip(NEXT) | instid1(VALU_DEP_1)
	v_add3_u32 v58, v58, v62, v61
	v_lshlrev_b64 v[57:58], 1, v[57:58]
	s_cbranch_vccnz .LBB1415_130
; %bb.122:
	v_add_co_u32 v61, vcc_lo, s10, v59
	v_add_co_ci_u32_e32 v62, vcc_lo, s11, v60, vcc_lo
	s_delay_alu instid0(VALU_DEP_3) | instskip(NEXT) | instid1(VALU_DEP_4)
	v_add_co_u32 v59, vcc_lo, s10, v57
	v_add_co_ci_u32_e32 v60, vcc_lo, s11, v58, vcc_lo
	v_mov_b32_e32 v123, 1
	s_clause 0x1
	global_load_u16 v63, v[61:62], off
	global_load_u16 v64, v[59:60], off
	v_mov_b32_e32 v124, 0
	s_mov_b32 s1, exec_lo
	s_waitcnt vmcnt(0)
	v_cmpx_eq_u16_e64 v63, v64
	s_cbranch_execz .LBB1415_129
; %bb.123:
	v_add_co_u32 v59, vcc_lo, v59, 2
	v_add_co_ci_u32_e32 v60, vcc_lo, 0, v60, vcc_lo
	v_add_co_u32 v61, vcc_lo, v61, 2
	v_add_co_ci_u32_e32 v62, vcc_lo, 0, v62, vcc_lo
	s_add_u32 s14, s8, -1
	s_addc_u32 s15, s9, -1
	s_mov_b64 s[22:23], 0
	s_mov_b32 s3, 0
                                        ; implicit-def: $sgpr21
	s_set_inst_prefetch_distance 0x1
	s_branch .LBB1415_126
	.p2align	6
.LBB1415_124:                           ;   in Loop: Header=BB1415_126 Depth=1
	global_load_u16 v63, v[61:62], off
	global_load_u16 v64, v[59:60], off
	v_add_co_u32 v59, vcc_lo, v59, 2
	v_add_co_ci_u32_e32 v60, vcc_lo, 0, v60, vcc_lo
	v_add_co_u32 v61, s0, v61, 2
	s_delay_alu instid0(VALU_DEP_1)
	v_add_co_ci_u32_e64 v62, s0, 0, v62, s0
	s_add_u32 s22, s22, 1
	s_addc_u32 s23, s23, 0
	s_and_not1_b32 s0, s21, exec_lo
	s_waitcnt vmcnt(0)
	v_cmp_ne_u16_e32 vcc_lo, v63, v64
	s_and_b32 s21, vcc_lo, exec_lo
	s_delay_alu instid0(SALU_CYCLE_1)
	s_or_b32 s21, s0, s21
.LBB1415_125:                           ;   in Loop: Header=BB1415_126 Depth=1
	v_dual_mov_b32 v64, s23 :: v_dual_mov_b32 v63, s22
	s_and_b32 s0, exec_lo, s21
	s_delay_alu instid0(SALU_CYCLE_1) | instskip(NEXT) | instid1(SALU_CYCLE_1)
	s_or_b32 s3, s0, s3
	s_and_not1_b32 exec_lo, exec_lo, s3
	s_cbranch_execz .LBB1415_128
.LBB1415_126:                           ; =>This Inner Loop Header: Depth=1
	s_or_b32 s21, s21, exec_lo
	s_cmp_eq_u64 s[14:15], s[22:23]
	s_cbranch_scc0 .LBB1415_124
; %bb.127:                              ;   in Loop: Header=BB1415_126 Depth=1
	s_mov_b64 s[22:23], s[8:9]
                                        ; implicit-def: $vgpr59_vgpr60
                                        ; implicit-def: $vgpr61_vgpr62
	s_branch .LBB1415_125
.LBB1415_128:
	s_set_inst_prefetch_distance 0x2
	s_or_b32 exec_lo, exec_lo, s3
	v_cmp_gt_i64_e32 vcc_lo, s[8:9], v[63:64]
	s_mov_b32 s0, 0
	s_delay_alu instid0(SALU_CYCLE_1)
	v_mov_b32_e32 v124, s0
	v_cndmask_b32_e64 v123, 0, 1, vcc_lo
.LBB1415_129:
	s_or_b32 exec_lo, exec_lo, s1
.LBB1415_130:
	v_mul_lo_u32 v61, v50, s8
	v_mul_lo_u32 v62, v49, s9
	v_mad_u64_u32 v[59:60], null, v49, s8, 0
	v_mov_b32_e32 v127, 0
	v_mov_b32_e32 v128, 0
	v_cmp_ne_u32_e32 vcc_lo, 1, v65
	s_delay_alu instid0(VALU_DEP_2) | instskip(SKIP_1) | instid1(VALU_DEP_1)
	v_dual_mov_b32 v125, v127 :: v_dual_mov_b32 v126, v128
	v_add3_u32 v60, v60, v62, v61
	v_lshlrev_b64 v[59:60], 1, v[59:60]
	s_cbranch_vccnz .LBB1415_139
; %bb.131:
	v_add_co_u32 v61, vcc_lo, s10, v57
	v_add_co_ci_u32_e32 v62, vcc_lo, s11, v58, vcc_lo
	s_delay_alu instid0(VALU_DEP_3) | instskip(NEXT) | instid1(VALU_DEP_4)
	v_add_co_u32 v57, vcc_lo, s10, v59
	v_add_co_ci_u32_e32 v58, vcc_lo, s11, v60, vcc_lo
	v_mov_b32_e32 v125, 1
	s_clause 0x1
	global_load_u16 v63, v[61:62], off
	global_load_u16 v64, v[57:58], off
	v_mov_b32_e32 v126, 0
	s_mov_b32 s1, exec_lo
	s_waitcnt vmcnt(0)
	v_cmpx_eq_u16_e64 v63, v64
	s_cbranch_execz .LBB1415_138
; %bb.132:
	v_add_co_u32 v57, vcc_lo, v57, 2
	v_add_co_ci_u32_e32 v58, vcc_lo, 0, v58, vcc_lo
	v_add_co_u32 v61, vcc_lo, v61, 2
	v_add_co_ci_u32_e32 v62, vcc_lo, 0, v62, vcc_lo
	s_add_u32 s14, s8, -1
	s_addc_u32 s15, s9, -1
	s_mov_b64 s[22:23], 0
	s_mov_b32 s3, 0
                                        ; implicit-def: $sgpr21
	s_set_inst_prefetch_distance 0x1
	s_branch .LBB1415_135
	.p2align	6
.LBB1415_133:                           ;   in Loop: Header=BB1415_135 Depth=1
	global_load_u16 v63, v[61:62], off
	global_load_u16 v64, v[57:58], off
	v_add_co_u32 v57, vcc_lo, v57, 2
	v_add_co_ci_u32_e32 v58, vcc_lo, 0, v58, vcc_lo
	v_add_co_u32 v61, s0, v61, 2
	s_delay_alu instid0(VALU_DEP_1)
	v_add_co_ci_u32_e64 v62, s0, 0, v62, s0
	s_add_u32 s22, s22, 1
	s_addc_u32 s23, s23, 0
	s_and_not1_b32 s0, s21, exec_lo
	s_waitcnt vmcnt(0)
	v_cmp_ne_u16_e32 vcc_lo, v63, v64
	s_and_b32 s21, vcc_lo, exec_lo
	s_delay_alu instid0(SALU_CYCLE_1)
	s_or_b32 s21, s0, s21
.LBB1415_134:                           ;   in Loop: Header=BB1415_135 Depth=1
	v_dual_mov_b32 v64, s23 :: v_dual_mov_b32 v63, s22
	s_and_b32 s0, exec_lo, s21
	s_delay_alu instid0(SALU_CYCLE_1) | instskip(NEXT) | instid1(SALU_CYCLE_1)
	s_or_b32 s3, s0, s3
	s_and_not1_b32 exec_lo, exec_lo, s3
	s_cbranch_execz .LBB1415_137
.LBB1415_135:                           ; =>This Inner Loop Header: Depth=1
	s_or_b32 s21, s21, exec_lo
	s_cmp_eq_u64 s[14:15], s[22:23]
	s_cbranch_scc0 .LBB1415_133
; %bb.136:                              ;   in Loop: Header=BB1415_135 Depth=1
	s_mov_b64 s[22:23], s[8:9]
                                        ; implicit-def: $vgpr57_vgpr58
                                        ; implicit-def: $vgpr61_vgpr62
	s_branch .LBB1415_134
.LBB1415_137:
	s_set_inst_prefetch_distance 0x2
	s_or_b32 exec_lo, exec_lo, s3
	v_cmp_gt_i64_e32 vcc_lo, s[8:9], v[63:64]
	s_mov_b32 s0, 0
	s_delay_alu instid0(SALU_CYCLE_1)
	v_mov_b32_e32 v126, s0
	v_cndmask_b32_e64 v125, 0, 1, vcc_lo
.LBB1415_138:
	s_or_b32 exec_lo, exec_lo, s1
.LBB1415_139:
	v_mul_lo_u32 v61, v48, s8
	v_mul_lo_u32 v62, v47, s9
	v_mad_u64_u32 v[57:58], null, v47, s8, 0
	v_cmp_ne_u32_e32 vcc_lo, 1, v65
	s_delay_alu instid0(VALU_DEP_2) | instskip(NEXT) | instid1(VALU_DEP_1)
	v_add3_u32 v58, v58, v62, v61
	v_lshlrev_b64 v[57:58], 1, v[57:58]
	s_cbranch_vccnz .LBB1415_148
; %bb.140:
	v_add_co_u32 v61, vcc_lo, s10, v59
	v_add_co_ci_u32_e32 v62, vcc_lo, s11, v60, vcc_lo
	s_delay_alu instid0(VALU_DEP_3) | instskip(NEXT) | instid1(VALU_DEP_4)
	v_add_co_u32 v59, vcc_lo, s10, v57
	v_add_co_ci_u32_e32 v60, vcc_lo, s11, v58, vcc_lo
	v_mov_b32_e32 v127, 1
	s_clause 0x1
	global_load_u16 v63, v[61:62], off
	global_load_u16 v64, v[59:60], off
	v_mov_b32_e32 v128, 0
	s_mov_b32 s1, exec_lo
	s_waitcnt vmcnt(0)
	v_cmpx_eq_u16_e64 v63, v64
	s_cbranch_execz .LBB1415_147
; %bb.141:
	v_add_co_u32 v59, vcc_lo, v59, 2
	v_add_co_ci_u32_e32 v60, vcc_lo, 0, v60, vcc_lo
	v_add_co_u32 v61, vcc_lo, v61, 2
	v_add_co_ci_u32_e32 v62, vcc_lo, 0, v62, vcc_lo
	s_add_u32 s14, s8, -1
	s_addc_u32 s15, s9, -1
	s_mov_b64 s[22:23], 0
	s_mov_b32 s3, 0
                                        ; implicit-def: $sgpr21
	s_set_inst_prefetch_distance 0x1
	s_branch .LBB1415_144
	.p2align	6
.LBB1415_142:                           ;   in Loop: Header=BB1415_144 Depth=1
	global_load_u16 v63, v[61:62], off
	global_load_u16 v64, v[59:60], off
	v_add_co_u32 v59, vcc_lo, v59, 2
	v_add_co_ci_u32_e32 v60, vcc_lo, 0, v60, vcc_lo
	v_add_co_u32 v61, s0, v61, 2
	s_delay_alu instid0(VALU_DEP_1)
	v_add_co_ci_u32_e64 v62, s0, 0, v62, s0
	s_add_u32 s22, s22, 1
	s_addc_u32 s23, s23, 0
	s_and_not1_b32 s0, s21, exec_lo
	s_waitcnt vmcnt(0)
	v_cmp_ne_u16_e32 vcc_lo, v63, v64
	s_and_b32 s21, vcc_lo, exec_lo
	s_delay_alu instid0(SALU_CYCLE_1)
	s_or_b32 s21, s0, s21
.LBB1415_143:                           ;   in Loop: Header=BB1415_144 Depth=1
	v_dual_mov_b32 v64, s23 :: v_dual_mov_b32 v63, s22
	s_and_b32 s0, exec_lo, s21
	s_delay_alu instid0(SALU_CYCLE_1) | instskip(NEXT) | instid1(SALU_CYCLE_1)
	s_or_b32 s3, s0, s3
	s_and_not1_b32 exec_lo, exec_lo, s3
	s_cbranch_execz .LBB1415_146
.LBB1415_144:                           ; =>This Inner Loop Header: Depth=1
	s_or_b32 s21, s21, exec_lo
	s_cmp_eq_u64 s[14:15], s[22:23]
	s_cbranch_scc0 .LBB1415_142
; %bb.145:                              ;   in Loop: Header=BB1415_144 Depth=1
	s_mov_b64 s[22:23], s[8:9]
                                        ; implicit-def: $vgpr59_vgpr60
                                        ; implicit-def: $vgpr61_vgpr62
	s_branch .LBB1415_143
.LBB1415_146:
	s_set_inst_prefetch_distance 0x2
	s_or_b32 exec_lo, exec_lo, s3
	v_cmp_gt_i64_e32 vcc_lo, s[8:9], v[63:64]
	s_mov_b32 s0, 0
	s_delay_alu instid0(SALU_CYCLE_1)
	v_mov_b32_e32 v128, s0
	v_cndmask_b32_e64 v127, 0, 1, vcc_lo
.LBB1415_147:
	s_or_b32 exec_lo, exec_lo, s1
.LBB1415_148:
	v_mul_lo_u32 v61, v46, s8
	v_mul_lo_u32 v62, v45, s9
	v_mad_u64_u32 v[59:60], null, v45, s8, 0
	v_mov_b32_e32 v131, 0
	v_mov_b32_e32 v132, 0
	v_cmp_ne_u32_e32 vcc_lo, 1, v65
	s_delay_alu instid0(VALU_DEP_2) | instskip(SKIP_1) | instid1(VALU_DEP_1)
	v_dual_mov_b32 v129, v131 :: v_dual_mov_b32 v130, v132
	v_add3_u32 v60, v60, v62, v61
	v_lshlrev_b64 v[59:60], 1, v[59:60]
	s_cbranch_vccnz .LBB1415_157
; %bb.149:
	v_add_co_u32 v61, vcc_lo, s10, v57
	v_add_co_ci_u32_e32 v62, vcc_lo, s11, v58, vcc_lo
	s_delay_alu instid0(VALU_DEP_3) | instskip(NEXT) | instid1(VALU_DEP_4)
	v_add_co_u32 v57, vcc_lo, s10, v59
	v_add_co_ci_u32_e32 v58, vcc_lo, s11, v60, vcc_lo
	v_mov_b32_e32 v129, 1
	s_clause 0x1
	global_load_u16 v63, v[61:62], off
	global_load_u16 v64, v[57:58], off
	v_mov_b32_e32 v130, 0
	s_mov_b32 s1, exec_lo
	s_waitcnt vmcnt(0)
	v_cmpx_eq_u16_e64 v63, v64
	s_cbranch_execz .LBB1415_156
; %bb.150:
	v_add_co_u32 v57, vcc_lo, v57, 2
	v_add_co_ci_u32_e32 v58, vcc_lo, 0, v58, vcc_lo
	v_add_co_u32 v61, vcc_lo, v61, 2
	v_add_co_ci_u32_e32 v62, vcc_lo, 0, v62, vcc_lo
	s_add_u32 s14, s8, -1
	s_addc_u32 s15, s9, -1
	s_mov_b64 s[22:23], 0
	s_mov_b32 s3, 0
                                        ; implicit-def: $sgpr21
	s_set_inst_prefetch_distance 0x1
	s_branch .LBB1415_153
	.p2align	6
.LBB1415_151:                           ;   in Loop: Header=BB1415_153 Depth=1
	global_load_u16 v63, v[61:62], off
	global_load_u16 v64, v[57:58], off
	v_add_co_u32 v57, vcc_lo, v57, 2
	v_add_co_ci_u32_e32 v58, vcc_lo, 0, v58, vcc_lo
	v_add_co_u32 v61, s0, v61, 2
	s_delay_alu instid0(VALU_DEP_1)
	v_add_co_ci_u32_e64 v62, s0, 0, v62, s0
	s_add_u32 s22, s22, 1
	s_addc_u32 s23, s23, 0
	s_and_not1_b32 s0, s21, exec_lo
	s_waitcnt vmcnt(0)
	v_cmp_ne_u16_e32 vcc_lo, v63, v64
	s_and_b32 s21, vcc_lo, exec_lo
	s_delay_alu instid0(SALU_CYCLE_1)
	s_or_b32 s21, s0, s21
.LBB1415_152:                           ;   in Loop: Header=BB1415_153 Depth=1
	v_dual_mov_b32 v64, s23 :: v_dual_mov_b32 v63, s22
	s_and_b32 s0, exec_lo, s21
	s_delay_alu instid0(SALU_CYCLE_1) | instskip(NEXT) | instid1(SALU_CYCLE_1)
	s_or_b32 s3, s0, s3
	s_and_not1_b32 exec_lo, exec_lo, s3
	s_cbranch_execz .LBB1415_155
.LBB1415_153:                           ; =>This Inner Loop Header: Depth=1
	s_or_b32 s21, s21, exec_lo
	s_cmp_eq_u64 s[14:15], s[22:23]
	s_cbranch_scc0 .LBB1415_151
; %bb.154:                              ;   in Loop: Header=BB1415_153 Depth=1
	s_mov_b64 s[22:23], s[8:9]
                                        ; implicit-def: $vgpr57_vgpr58
                                        ; implicit-def: $vgpr61_vgpr62
	s_branch .LBB1415_152
.LBB1415_155:
	s_set_inst_prefetch_distance 0x2
	s_or_b32 exec_lo, exec_lo, s3
	v_cmp_gt_i64_e32 vcc_lo, s[8:9], v[63:64]
	s_mov_b32 s0, 0
	s_delay_alu instid0(SALU_CYCLE_1)
	v_mov_b32_e32 v130, s0
	v_cndmask_b32_e64 v129, 0, 1, vcc_lo
.LBB1415_156:
	s_or_b32 exec_lo, exec_lo, s1
.LBB1415_157:
	v_mul_lo_u32 v61, v44, s8
	v_mul_lo_u32 v62, v43, s9
	v_mad_u64_u32 v[57:58], null, v43, s8, 0
	v_cmp_ne_u32_e32 vcc_lo, 1, v65
	s_delay_alu instid0(VALU_DEP_2) | instskip(NEXT) | instid1(VALU_DEP_1)
	v_add3_u32 v58, v58, v62, v61
	v_lshlrev_b64 v[57:58], 1, v[57:58]
	s_cbranch_vccnz .LBB1415_166
; %bb.158:
	v_add_co_u32 v61, vcc_lo, s10, v59
	v_add_co_ci_u32_e32 v62, vcc_lo, s11, v60, vcc_lo
	s_delay_alu instid0(VALU_DEP_3) | instskip(NEXT) | instid1(VALU_DEP_4)
	v_add_co_u32 v59, vcc_lo, s10, v57
	v_add_co_ci_u32_e32 v60, vcc_lo, s11, v58, vcc_lo
	v_mov_b32_e32 v131, 1
	s_clause 0x1
	global_load_u16 v63, v[61:62], off
	global_load_u16 v64, v[59:60], off
	v_mov_b32_e32 v132, 0
	s_mov_b32 s1, exec_lo
	s_waitcnt vmcnt(0)
	v_cmpx_eq_u16_e64 v63, v64
	s_cbranch_execz .LBB1415_165
; %bb.159:
	v_add_co_u32 v59, vcc_lo, v59, 2
	v_add_co_ci_u32_e32 v60, vcc_lo, 0, v60, vcc_lo
	v_add_co_u32 v61, vcc_lo, v61, 2
	v_add_co_ci_u32_e32 v62, vcc_lo, 0, v62, vcc_lo
	s_add_u32 s14, s8, -1
	s_addc_u32 s15, s9, -1
	s_mov_b64 s[22:23], 0
	s_mov_b32 s3, 0
                                        ; implicit-def: $sgpr21
	s_set_inst_prefetch_distance 0x1
	s_branch .LBB1415_162
	.p2align	6
.LBB1415_160:                           ;   in Loop: Header=BB1415_162 Depth=1
	global_load_u16 v63, v[61:62], off
	global_load_u16 v64, v[59:60], off
	v_add_co_u32 v59, vcc_lo, v59, 2
	v_add_co_ci_u32_e32 v60, vcc_lo, 0, v60, vcc_lo
	v_add_co_u32 v61, s0, v61, 2
	s_delay_alu instid0(VALU_DEP_1)
	v_add_co_ci_u32_e64 v62, s0, 0, v62, s0
	s_add_u32 s22, s22, 1
	s_addc_u32 s23, s23, 0
	s_and_not1_b32 s0, s21, exec_lo
	s_waitcnt vmcnt(0)
	v_cmp_ne_u16_e32 vcc_lo, v63, v64
	s_and_b32 s21, vcc_lo, exec_lo
	s_delay_alu instid0(SALU_CYCLE_1)
	s_or_b32 s21, s0, s21
.LBB1415_161:                           ;   in Loop: Header=BB1415_162 Depth=1
	v_dual_mov_b32 v64, s23 :: v_dual_mov_b32 v63, s22
	s_and_b32 s0, exec_lo, s21
	s_delay_alu instid0(SALU_CYCLE_1) | instskip(NEXT) | instid1(SALU_CYCLE_1)
	s_or_b32 s3, s0, s3
	s_and_not1_b32 exec_lo, exec_lo, s3
	s_cbranch_execz .LBB1415_164
.LBB1415_162:                           ; =>This Inner Loop Header: Depth=1
	s_or_b32 s21, s21, exec_lo
	s_cmp_eq_u64 s[14:15], s[22:23]
	s_cbranch_scc0 .LBB1415_160
; %bb.163:                              ;   in Loop: Header=BB1415_162 Depth=1
	s_mov_b64 s[22:23], s[8:9]
                                        ; implicit-def: $vgpr59_vgpr60
                                        ; implicit-def: $vgpr61_vgpr62
	s_branch .LBB1415_161
.LBB1415_164:
	s_set_inst_prefetch_distance 0x2
	s_or_b32 exec_lo, exec_lo, s3
	v_cmp_gt_i64_e32 vcc_lo, s[8:9], v[63:64]
	s_mov_b32 s0, 0
	s_delay_alu instid0(SALU_CYCLE_1)
	v_mov_b32_e32 v132, s0
	v_cndmask_b32_e64 v131, 0, 1, vcc_lo
.LBB1415_165:
	s_or_b32 exec_lo, exec_lo, s1
.LBB1415_166:
	v_mul_lo_u32 v61, v42, s8
	v_mul_lo_u32 v62, v41, s9
	v_mad_u64_u32 v[59:60], null, v41, s8, 0
	v_mov_b32_e32 v135, 0
	v_mov_b32_e32 v136, 0
	v_cmp_ne_u32_e32 vcc_lo, 1, v65
	s_delay_alu instid0(VALU_DEP_2) | instskip(SKIP_1) | instid1(VALU_DEP_1)
	v_dual_mov_b32 v133, v135 :: v_dual_mov_b32 v134, v136
	v_add3_u32 v60, v60, v62, v61
	v_lshlrev_b64 v[59:60], 1, v[59:60]
	s_cbranch_vccnz .LBB1415_175
; %bb.167:
	v_add_co_u32 v61, vcc_lo, s10, v57
	v_add_co_ci_u32_e32 v62, vcc_lo, s11, v58, vcc_lo
	s_delay_alu instid0(VALU_DEP_3) | instskip(NEXT) | instid1(VALU_DEP_4)
	v_add_co_u32 v57, vcc_lo, s10, v59
	v_add_co_ci_u32_e32 v58, vcc_lo, s11, v60, vcc_lo
	v_mov_b32_e32 v133, 1
	s_clause 0x1
	global_load_u16 v63, v[61:62], off
	global_load_u16 v64, v[57:58], off
	v_mov_b32_e32 v134, 0
	s_mov_b32 s1, exec_lo
	s_waitcnt vmcnt(0)
	v_cmpx_eq_u16_e64 v63, v64
	s_cbranch_execz .LBB1415_174
; %bb.168:
	v_add_co_u32 v57, vcc_lo, v57, 2
	v_add_co_ci_u32_e32 v58, vcc_lo, 0, v58, vcc_lo
	v_add_co_u32 v61, vcc_lo, v61, 2
	v_add_co_ci_u32_e32 v62, vcc_lo, 0, v62, vcc_lo
	s_add_u32 s14, s8, -1
	s_addc_u32 s15, s9, -1
	s_mov_b64 s[22:23], 0
	s_mov_b32 s3, 0
                                        ; implicit-def: $sgpr21
	s_set_inst_prefetch_distance 0x1
	s_branch .LBB1415_171
	.p2align	6
.LBB1415_169:                           ;   in Loop: Header=BB1415_171 Depth=1
	global_load_u16 v63, v[61:62], off
	global_load_u16 v64, v[57:58], off
	v_add_co_u32 v57, vcc_lo, v57, 2
	v_add_co_ci_u32_e32 v58, vcc_lo, 0, v58, vcc_lo
	v_add_co_u32 v61, s0, v61, 2
	s_delay_alu instid0(VALU_DEP_1)
	v_add_co_ci_u32_e64 v62, s0, 0, v62, s0
	s_add_u32 s22, s22, 1
	s_addc_u32 s23, s23, 0
	s_and_not1_b32 s0, s21, exec_lo
	s_waitcnt vmcnt(0)
	v_cmp_ne_u16_e32 vcc_lo, v63, v64
	s_and_b32 s21, vcc_lo, exec_lo
	s_delay_alu instid0(SALU_CYCLE_1)
	s_or_b32 s21, s0, s21
.LBB1415_170:                           ;   in Loop: Header=BB1415_171 Depth=1
	v_dual_mov_b32 v64, s23 :: v_dual_mov_b32 v63, s22
	s_and_b32 s0, exec_lo, s21
	s_delay_alu instid0(SALU_CYCLE_1) | instskip(NEXT) | instid1(SALU_CYCLE_1)
	s_or_b32 s3, s0, s3
	s_and_not1_b32 exec_lo, exec_lo, s3
	s_cbranch_execz .LBB1415_173
.LBB1415_171:                           ; =>This Inner Loop Header: Depth=1
	s_or_b32 s21, s21, exec_lo
	s_cmp_eq_u64 s[14:15], s[22:23]
	s_cbranch_scc0 .LBB1415_169
; %bb.172:                              ;   in Loop: Header=BB1415_171 Depth=1
	s_mov_b64 s[22:23], s[8:9]
                                        ; implicit-def: $vgpr57_vgpr58
                                        ; implicit-def: $vgpr61_vgpr62
	s_branch .LBB1415_170
.LBB1415_173:
	s_set_inst_prefetch_distance 0x2
	s_or_b32 exec_lo, exec_lo, s3
	v_cmp_gt_i64_e32 vcc_lo, s[8:9], v[63:64]
	s_mov_b32 s0, 0
	s_delay_alu instid0(SALU_CYCLE_1)
	v_mov_b32_e32 v134, s0
	v_cndmask_b32_e64 v133, 0, 1, vcc_lo
.LBB1415_174:
	s_or_b32 exec_lo, exec_lo, s1
.LBB1415_175:
	v_mul_lo_u32 v61, v40, s8
	v_mul_lo_u32 v62, v39, s9
	v_mad_u64_u32 v[57:58], null, v39, s8, 0
	v_cmp_ne_u32_e32 vcc_lo, 1, v65
	s_delay_alu instid0(VALU_DEP_2) | instskip(NEXT) | instid1(VALU_DEP_1)
	v_add3_u32 v58, v58, v62, v61
	v_lshlrev_b64 v[57:58], 1, v[57:58]
	s_cbranch_vccnz .LBB1415_184
; %bb.176:
	v_add_co_u32 v61, vcc_lo, s10, v59
	v_add_co_ci_u32_e32 v62, vcc_lo, s11, v60, vcc_lo
	s_delay_alu instid0(VALU_DEP_3) | instskip(NEXT) | instid1(VALU_DEP_4)
	v_add_co_u32 v59, vcc_lo, s10, v57
	v_add_co_ci_u32_e32 v60, vcc_lo, s11, v58, vcc_lo
	v_mov_b32_e32 v135, 1
	s_clause 0x1
	global_load_u16 v63, v[61:62], off
	global_load_u16 v64, v[59:60], off
	v_mov_b32_e32 v136, 0
	s_mov_b32 s1, exec_lo
	s_waitcnt vmcnt(0)
	v_cmpx_eq_u16_e64 v63, v64
	s_cbranch_execz .LBB1415_183
; %bb.177:
	v_add_co_u32 v59, vcc_lo, v59, 2
	v_add_co_ci_u32_e32 v60, vcc_lo, 0, v60, vcc_lo
	v_add_co_u32 v61, vcc_lo, v61, 2
	v_add_co_ci_u32_e32 v62, vcc_lo, 0, v62, vcc_lo
	s_add_u32 s14, s8, -1
	s_addc_u32 s15, s9, -1
	s_mov_b64 s[22:23], 0
	s_mov_b32 s3, 0
                                        ; implicit-def: $sgpr21
	s_set_inst_prefetch_distance 0x1
	s_branch .LBB1415_180
	.p2align	6
.LBB1415_178:                           ;   in Loop: Header=BB1415_180 Depth=1
	global_load_u16 v63, v[61:62], off
	global_load_u16 v64, v[59:60], off
	v_add_co_u32 v59, vcc_lo, v59, 2
	v_add_co_ci_u32_e32 v60, vcc_lo, 0, v60, vcc_lo
	v_add_co_u32 v61, s0, v61, 2
	s_delay_alu instid0(VALU_DEP_1)
	v_add_co_ci_u32_e64 v62, s0, 0, v62, s0
	s_add_u32 s22, s22, 1
	s_addc_u32 s23, s23, 0
	s_and_not1_b32 s0, s21, exec_lo
	s_waitcnt vmcnt(0)
	v_cmp_ne_u16_e32 vcc_lo, v63, v64
	s_and_b32 s21, vcc_lo, exec_lo
	s_delay_alu instid0(SALU_CYCLE_1)
	s_or_b32 s21, s0, s21
.LBB1415_179:                           ;   in Loop: Header=BB1415_180 Depth=1
	v_dual_mov_b32 v64, s23 :: v_dual_mov_b32 v63, s22
	s_and_b32 s0, exec_lo, s21
	s_delay_alu instid0(SALU_CYCLE_1) | instskip(NEXT) | instid1(SALU_CYCLE_1)
	s_or_b32 s3, s0, s3
	s_and_not1_b32 exec_lo, exec_lo, s3
	s_cbranch_execz .LBB1415_182
.LBB1415_180:                           ; =>This Inner Loop Header: Depth=1
	s_or_b32 s21, s21, exec_lo
	s_cmp_eq_u64 s[14:15], s[22:23]
	s_cbranch_scc0 .LBB1415_178
; %bb.181:                              ;   in Loop: Header=BB1415_180 Depth=1
	s_mov_b64 s[22:23], s[8:9]
                                        ; implicit-def: $vgpr59_vgpr60
                                        ; implicit-def: $vgpr61_vgpr62
	s_branch .LBB1415_179
.LBB1415_182:
	s_set_inst_prefetch_distance 0x2
	s_or_b32 exec_lo, exec_lo, s3
	v_cmp_gt_i64_e32 vcc_lo, s[8:9], v[63:64]
	s_mov_b32 s0, 0
	s_delay_alu instid0(SALU_CYCLE_1)
	v_mov_b32_e32 v136, s0
	v_cndmask_b32_e64 v135, 0, 1, vcc_lo
.LBB1415_183:
	s_or_b32 exec_lo, exec_lo, s1
.LBB1415_184:
	v_mul_lo_u32 v61, v38, s8
	v_mul_lo_u32 v62, v37, s9
	v_mad_u64_u32 v[59:60], null, v37, s8, 0
	v_mov_b32_e32 v139, 0
	v_mov_b32_e32 v140, 0
	v_cmp_ne_u32_e32 vcc_lo, 1, v65
	s_delay_alu instid0(VALU_DEP_2) | instskip(SKIP_1) | instid1(VALU_DEP_1)
	v_dual_mov_b32 v137, v139 :: v_dual_mov_b32 v138, v140
	v_add3_u32 v60, v60, v62, v61
	v_lshlrev_b64 v[59:60], 1, v[59:60]
	s_cbranch_vccnz .LBB1415_193
; %bb.185:
	v_add_co_u32 v61, vcc_lo, s10, v57
	v_add_co_ci_u32_e32 v62, vcc_lo, s11, v58, vcc_lo
	s_delay_alu instid0(VALU_DEP_3) | instskip(NEXT) | instid1(VALU_DEP_4)
	v_add_co_u32 v57, vcc_lo, s10, v59
	v_add_co_ci_u32_e32 v58, vcc_lo, s11, v60, vcc_lo
	v_mov_b32_e32 v137, 1
	s_clause 0x1
	global_load_u16 v63, v[61:62], off
	global_load_u16 v64, v[57:58], off
	v_mov_b32_e32 v138, 0
	s_mov_b32 s1, exec_lo
	s_waitcnt vmcnt(0)
	v_cmpx_eq_u16_e64 v63, v64
	s_cbranch_execz .LBB1415_192
; %bb.186:
	v_add_co_u32 v57, vcc_lo, v57, 2
	v_add_co_ci_u32_e32 v58, vcc_lo, 0, v58, vcc_lo
	v_add_co_u32 v61, vcc_lo, v61, 2
	v_add_co_ci_u32_e32 v62, vcc_lo, 0, v62, vcc_lo
	s_add_u32 s14, s8, -1
	s_addc_u32 s15, s9, -1
	s_mov_b64 s[22:23], 0
	s_mov_b32 s3, 0
                                        ; implicit-def: $sgpr21
	s_set_inst_prefetch_distance 0x1
	s_branch .LBB1415_189
	.p2align	6
.LBB1415_187:                           ;   in Loop: Header=BB1415_189 Depth=1
	global_load_u16 v63, v[61:62], off
	global_load_u16 v64, v[57:58], off
	v_add_co_u32 v57, vcc_lo, v57, 2
	v_add_co_ci_u32_e32 v58, vcc_lo, 0, v58, vcc_lo
	v_add_co_u32 v61, s0, v61, 2
	s_delay_alu instid0(VALU_DEP_1)
	v_add_co_ci_u32_e64 v62, s0, 0, v62, s0
	s_add_u32 s22, s22, 1
	s_addc_u32 s23, s23, 0
	s_and_not1_b32 s0, s21, exec_lo
	s_waitcnt vmcnt(0)
	v_cmp_ne_u16_e32 vcc_lo, v63, v64
	s_and_b32 s21, vcc_lo, exec_lo
	s_delay_alu instid0(SALU_CYCLE_1)
	s_or_b32 s21, s0, s21
.LBB1415_188:                           ;   in Loop: Header=BB1415_189 Depth=1
	v_dual_mov_b32 v64, s23 :: v_dual_mov_b32 v63, s22
	s_and_b32 s0, exec_lo, s21
	s_delay_alu instid0(SALU_CYCLE_1) | instskip(NEXT) | instid1(SALU_CYCLE_1)
	s_or_b32 s3, s0, s3
	s_and_not1_b32 exec_lo, exec_lo, s3
	s_cbranch_execz .LBB1415_191
.LBB1415_189:                           ; =>This Inner Loop Header: Depth=1
	s_or_b32 s21, s21, exec_lo
	s_cmp_eq_u64 s[14:15], s[22:23]
	s_cbranch_scc0 .LBB1415_187
; %bb.190:                              ;   in Loop: Header=BB1415_189 Depth=1
	s_mov_b64 s[22:23], s[8:9]
                                        ; implicit-def: $vgpr57_vgpr58
                                        ; implicit-def: $vgpr61_vgpr62
	s_branch .LBB1415_188
.LBB1415_191:
	s_set_inst_prefetch_distance 0x2
	s_or_b32 exec_lo, exec_lo, s3
	v_cmp_gt_i64_e32 vcc_lo, s[8:9], v[63:64]
	s_mov_b32 s0, 0
	s_delay_alu instid0(SALU_CYCLE_1)
	v_mov_b32_e32 v138, s0
	v_cndmask_b32_e64 v137, 0, 1, vcc_lo
.LBB1415_192:
	s_or_b32 exec_lo, exec_lo, s1
.LBB1415_193:
	v_mul_lo_u32 v61, v36, s8
	v_mul_lo_u32 v62, v35, s9
	v_mad_u64_u32 v[57:58], null, v35, s8, 0
	v_cmp_ne_u32_e32 vcc_lo, 1, v65
	s_delay_alu instid0(VALU_DEP_2) | instskip(NEXT) | instid1(VALU_DEP_1)
	v_add3_u32 v58, v58, v62, v61
	v_lshlrev_b64 v[57:58], 1, v[57:58]
	s_cbranch_vccnz .LBB1415_202
; %bb.194:
	v_add_co_u32 v61, vcc_lo, s10, v59
	v_add_co_ci_u32_e32 v62, vcc_lo, s11, v60, vcc_lo
	s_delay_alu instid0(VALU_DEP_3) | instskip(NEXT) | instid1(VALU_DEP_4)
	v_add_co_u32 v59, vcc_lo, s10, v57
	v_add_co_ci_u32_e32 v60, vcc_lo, s11, v58, vcc_lo
	v_mov_b32_e32 v139, 1
	s_clause 0x1
	global_load_u16 v63, v[61:62], off
	global_load_u16 v64, v[59:60], off
	v_mov_b32_e32 v140, 0
	s_mov_b32 s1, exec_lo
	s_waitcnt vmcnt(0)
	v_cmpx_eq_u16_e64 v63, v64
	s_cbranch_execz .LBB1415_201
; %bb.195:
	v_add_co_u32 v59, vcc_lo, v59, 2
	v_add_co_ci_u32_e32 v60, vcc_lo, 0, v60, vcc_lo
	v_add_co_u32 v61, vcc_lo, v61, 2
	v_add_co_ci_u32_e32 v62, vcc_lo, 0, v62, vcc_lo
	s_add_u32 s14, s8, -1
	s_addc_u32 s15, s9, -1
	s_mov_b64 s[22:23], 0
	s_mov_b32 s3, 0
                                        ; implicit-def: $sgpr21
	s_set_inst_prefetch_distance 0x1
	s_branch .LBB1415_198
	.p2align	6
.LBB1415_196:                           ;   in Loop: Header=BB1415_198 Depth=1
	global_load_u16 v63, v[61:62], off
	global_load_u16 v64, v[59:60], off
	v_add_co_u32 v59, vcc_lo, v59, 2
	v_add_co_ci_u32_e32 v60, vcc_lo, 0, v60, vcc_lo
	v_add_co_u32 v61, s0, v61, 2
	s_delay_alu instid0(VALU_DEP_1)
	v_add_co_ci_u32_e64 v62, s0, 0, v62, s0
	s_add_u32 s22, s22, 1
	s_addc_u32 s23, s23, 0
	s_and_not1_b32 s0, s21, exec_lo
	s_waitcnt vmcnt(0)
	v_cmp_ne_u16_e32 vcc_lo, v63, v64
	s_and_b32 s21, vcc_lo, exec_lo
	s_delay_alu instid0(SALU_CYCLE_1)
	s_or_b32 s21, s0, s21
.LBB1415_197:                           ;   in Loop: Header=BB1415_198 Depth=1
	v_dual_mov_b32 v64, s23 :: v_dual_mov_b32 v63, s22
	s_and_b32 s0, exec_lo, s21
	s_delay_alu instid0(SALU_CYCLE_1) | instskip(NEXT) | instid1(SALU_CYCLE_1)
	s_or_b32 s3, s0, s3
	s_and_not1_b32 exec_lo, exec_lo, s3
	s_cbranch_execz .LBB1415_200
.LBB1415_198:                           ; =>This Inner Loop Header: Depth=1
	s_or_b32 s21, s21, exec_lo
	s_cmp_eq_u64 s[14:15], s[22:23]
	s_cbranch_scc0 .LBB1415_196
; %bb.199:                              ;   in Loop: Header=BB1415_198 Depth=1
	s_mov_b64 s[22:23], s[8:9]
                                        ; implicit-def: $vgpr59_vgpr60
                                        ; implicit-def: $vgpr61_vgpr62
	s_branch .LBB1415_197
.LBB1415_200:
	s_set_inst_prefetch_distance 0x2
	s_or_b32 exec_lo, exec_lo, s3
	v_cmp_gt_i64_e32 vcc_lo, s[8:9], v[63:64]
	s_mov_b32 s0, 0
	s_delay_alu instid0(SALU_CYCLE_1)
	v_mov_b32_e32 v140, s0
	v_cndmask_b32_e64 v139, 0, 1, vcc_lo
.LBB1415_201:
	s_or_b32 exec_lo, exec_lo, s1
.LBB1415_202:
	v_mul_lo_u32 v61, v34, s8
	v_mul_lo_u32 v62, v33, s9
	v_mad_u64_u32 v[59:60], null, v33, s8, 0
	v_mov_b32_e32 v143, 0
	v_mov_b32_e32 v144, 0
	v_cmp_ne_u32_e32 vcc_lo, 1, v65
	s_delay_alu instid0(VALU_DEP_2) | instskip(SKIP_1) | instid1(VALU_DEP_1)
	v_dual_mov_b32 v141, v143 :: v_dual_mov_b32 v142, v144
	v_add3_u32 v60, v60, v62, v61
	v_lshlrev_b64 v[59:60], 1, v[59:60]
	s_cbranch_vccnz .LBB1415_211
; %bb.203:
	v_add_co_u32 v61, vcc_lo, s10, v57
	v_add_co_ci_u32_e32 v62, vcc_lo, s11, v58, vcc_lo
	s_delay_alu instid0(VALU_DEP_3) | instskip(NEXT) | instid1(VALU_DEP_4)
	v_add_co_u32 v57, vcc_lo, s10, v59
	v_add_co_ci_u32_e32 v58, vcc_lo, s11, v60, vcc_lo
	v_mov_b32_e32 v141, 1
	s_clause 0x1
	global_load_u16 v63, v[61:62], off
	global_load_u16 v64, v[57:58], off
	v_mov_b32_e32 v142, 0
	s_mov_b32 s1, exec_lo
	s_waitcnt vmcnt(0)
	v_cmpx_eq_u16_e64 v63, v64
	s_cbranch_execz .LBB1415_210
; %bb.204:
	v_add_co_u32 v57, vcc_lo, v57, 2
	v_add_co_ci_u32_e32 v58, vcc_lo, 0, v58, vcc_lo
	v_add_co_u32 v61, vcc_lo, v61, 2
	v_add_co_ci_u32_e32 v62, vcc_lo, 0, v62, vcc_lo
	s_add_u32 s14, s8, -1
	s_addc_u32 s15, s9, -1
	s_mov_b64 s[22:23], 0
	s_mov_b32 s3, 0
                                        ; implicit-def: $sgpr21
	s_set_inst_prefetch_distance 0x1
	s_branch .LBB1415_207
	.p2align	6
.LBB1415_205:                           ;   in Loop: Header=BB1415_207 Depth=1
	global_load_u16 v63, v[61:62], off
	global_load_u16 v64, v[57:58], off
	v_add_co_u32 v57, vcc_lo, v57, 2
	v_add_co_ci_u32_e32 v58, vcc_lo, 0, v58, vcc_lo
	v_add_co_u32 v61, s0, v61, 2
	s_delay_alu instid0(VALU_DEP_1)
	v_add_co_ci_u32_e64 v62, s0, 0, v62, s0
	s_add_u32 s22, s22, 1
	s_addc_u32 s23, s23, 0
	s_and_not1_b32 s0, s21, exec_lo
	s_waitcnt vmcnt(0)
	v_cmp_ne_u16_e32 vcc_lo, v63, v64
	s_and_b32 s21, vcc_lo, exec_lo
	s_delay_alu instid0(SALU_CYCLE_1)
	s_or_b32 s21, s0, s21
.LBB1415_206:                           ;   in Loop: Header=BB1415_207 Depth=1
	v_dual_mov_b32 v64, s23 :: v_dual_mov_b32 v63, s22
	s_and_b32 s0, exec_lo, s21
	s_delay_alu instid0(SALU_CYCLE_1) | instskip(NEXT) | instid1(SALU_CYCLE_1)
	s_or_b32 s3, s0, s3
	s_and_not1_b32 exec_lo, exec_lo, s3
	s_cbranch_execz .LBB1415_209
.LBB1415_207:                           ; =>This Inner Loop Header: Depth=1
	s_or_b32 s21, s21, exec_lo
	s_cmp_eq_u64 s[14:15], s[22:23]
	s_cbranch_scc0 .LBB1415_205
; %bb.208:                              ;   in Loop: Header=BB1415_207 Depth=1
	s_mov_b64 s[22:23], s[8:9]
                                        ; implicit-def: $vgpr57_vgpr58
                                        ; implicit-def: $vgpr61_vgpr62
	s_branch .LBB1415_206
.LBB1415_209:
	s_set_inst_prefetch_distance 0x2
	s_or_b32 exec_lo, exec_lo, s3
	v_cmp_gt_i64_e32 vcc_lo, s[8:9], v[63:64]
	s_mov_b32 s0, 0
	s_delay_alu instid0(SALU_CYCLE_1)
	v_mov_b32_e32 v142, s0
	v_cndmask_b32_e64 v141, 0, 1, vcc_lo
.LBB1415_210:
	s_or_b32 exec_lo, exec_lo, s1
.LBB1415_211:
	v_mul_lo_u32 v61, v32, s8
	v_mul_lo_u32 v62, v31, s9
	v_mad_u64_u32 v[57:58], null, v31, s8, 0
	v_cmp_ne_u32_e32 vcc_lo, 1, v65
	s_delay_alu instid0(VALU_DEP_2) | instskip(NEXT) | instid1(VALU_DEP_1)
	v_add3_u32 v58, v58, v62, v61
	v_lshlrev_b64 v[57:58], 1, v[57:58]
	s_cbranch_vccnz .LBB1415_220
; %bb.212:
	v_add_co_u32 v61, vcc_lo, s10, v59
	v_add_co_ci_u32_e32 v62, vcc_lo, s11, v60, vcc_lo
	s_delay_alu instid0(VALU_DEP_3) | instskip(NEXT) | instid1(VALU_DEP_4)
	v_add_co_u32 v59, vcc_lo, s10, v57
	v_add_co_ci_u32_e32 v60, vcc_lo, s11, v58, vcc_lo
	v_mov_b32_e32 v143, 1
	s_clause 0x1
	global_load_u16 v63, v[61:62], off
	global_load_u16 v64, v[59:60], off
	v_mov_b32_e32 v144, 0
	s_mov_b32 s1, exec_lo
	s_waitcnt vmcnt(0)
	v_cmpx_eq_u16_e64 v63, v64
	s_cbranch_execz .LBB1415_219
; %bb.213:
	v_add_co_u32 v59, vcc_lo, v59, 2
	v_add_co_ci_u32_e32 v60, vcc_lo, 0, v60, vcc_lo
	v_add_co_u32 v61, vcc_lo, v61, 2
	v_add_co_ci_u32_e32 v62, vcc_lo, 0, v62, vcc_lo
	s_add_u32 s14, s8, -1
	s_addc_u32 s15, s9, -1
	s_mov_b64 s[22:23], 0
	s_mov_b32 s3, 0
                                        ; implicit-def: $sgpr21
	s_set_inst_prefetch_distance 0x1
	s_branch .LBB1415_216
	.p2align	6
.LBB1415_214:                           ;   in Loop: Header=BB1415_216 Depth=1
	global_load_u16 v63, v[61:62], off
	global_load_u16 v64, v[59:60], off
	v_add_co_u32 v59, vcc_lo, v59, 2
	v_add_co_ci_u32_e32 v60, vcc_lo, 0, v60, vcc_lo
	v_add_co_u32 v61, s0, v61, 2
	s_delay_alu instid0(VALU_DEP_1)
	v_add_co_ci_u32_e64 v62, s0, 0, v62, s0
	s_add_u32 s22, s22, 1
	s_addc_u32 s23, s23, 0
	s_and_not1_b32 s0, s21, exec_lo
	s_waitcnt vmcnt(0)
	v_cmp_ne_u16_e32 vcc_lo, v63, v64
	s_and_b32 s21, vcc_lo, exec_lo
	s_delay_alu instid0(SALU_CYCLE_1)
	s_or_b32 s21, s0, s21
.LBB1415_215:                           ;   in Loop: Header=BB1415_216 Depth=1
	v_dual_mov_b32 v64, s23 :: v_dual_mov_b32 v63, s22
	s_and_b32 s0, exec_lo, s21
	s_delay_alu instid0(SALU_CYCLE_1) | instskip(NEXT) | instid1(SALU_CYCLE_1)
	s_or_b32 s3, s0, s3
	s_and_not1_b32 exec_lo, exec_lo, s3
	s_cbranch_execz .LBB1415_218
.LBB1415_216:                           ; =>This Inner Loop Header: Depth=1
	s_or_b32 s21, s21, exec_lo
	s_cmp_eq_u64 s[14:15], s[22:23]
	s_cbranch_scc0 .LBB1415_214
; %bb.217:                              ;   in Loop: Header=BB1415_216 Depth=1
	s_mov_b64 s[22:23], s[8:9]
                                        ; implicit-def: $vgpr59_vgpr60
                                        ; implicit-def: $vgpr61_vgpr62
	s_branch .LBB1415_215
.LBB1415_218:
	s_set_inst_prefetch_distance 0x2
	s_or_b32 exec_lo, exec_lo, s3
	v_cmp_gt_i64_e32 vcc_lo, s[8:9], v[63:64]
	s_mov_b32 s0, 0
	s_delay_alu instid0(SALU_CYCLE_1)
	v_mov_b32_e32 v144, s0
	v_cndmask_b32_e64 v143, 0, 1, vcc_lo
.LBB1415_219:
	s_or_b32 exec_lo, exec_lo, s1
.LBB1415_220:
	v_mul_lo_u32 v61, v30, s8
	v_mul_lo_u32 v62, v29, s9
	v_mad_u64_u32 v[59:60], null, v29, s8, 0
	v_mov_b32_e32 v147, 0
	v_mov_b32_e32 v148, 0
	v_cmp_ne_u32_e32 vcc_lo, 1, v65
	s_delay_alu instid0(VALU_DEP_2) | instskip(SKIP_1) | instid1(VALU_DEP_1)
	v_dual_mov_b32 v145, v147 :: v_dual_mov_b32 v146, v148
	v_add3_u32 v60, v60, v62, v61
	v_lshlrev_b64 v[59:60], 1, v[59:60]
	s_cbranch_vccnz .LBB1415_229
; %bb.221:
	v_add_co_u32 v61, vcc_lo, s10, v57
	v_add_co_ci_u32_e32 v62, vcc_lo, s11, v58, vcc_lo
	s_delay_alu instid0(VALU_DEP_3) | instskip(NEXT) | instid1(VALU_DEP_4)
	v_add_co_u32 v57, vcc_lo, s10, v59
	v_add_co_ci_u32_e32 v58, vcc_lo, s11, v60, vcc_lo
	v_mov_b32_e32 v145, 1
	s_clause 0x1
	global_load_u16 v63, v[61:62], off
	global_load_u16 v64, v[57:58], off
	v_mov_b32_e32 v146, 0
	s_mov_b32 s1, exec_lo
	s_waitcnt vmcnt(0)
	v_cmpx_eq_u16_e64 v63, v64
	s_cbranch_execz .LBB1415_228
; %bb.222:
	v_add_co_u32 v57, vcc_lo, v57, 2
	v_add_co_ci_u32_e32 v58, vcc_lo, 0, v58, vcc_lo
	v_add_co_u32 v61, vcc_lo, v61, 2
	v_add_co_ci_u32_e32 v62, vcc_lo, 0, v62, vcc_lo
	s_add_u32 s14, s8, -1
	s_addc_u32 s15, s9, -1
	s_mov_b64 s[22:23], 0
	s_mov_b32 s3, 0
                                        ; implicit-def: $sgpr21
	s_set_inst_prefetch_distance 0x1
	s_branch .LBB1415_225
	.p2align	6
.LBB1415_223:                           ;   in Loop: Header=BB1415_225 Depth=1
	global_load_u16 v63, v[61:62], off
	global_load_u16 v64, v[57:58], off
	v_add_co_u32 v57, vcc_lo, v57, 2
	v_add_co_ci_u32_e32 v58, vcc_lo, 0, v58, vcc_lo
	v_add_co_u32 v61, s0, v61, 2
	s_delay_alu instid0(VALU_DEP_1)
	v_add_co_ci_u32_e64 v62, s0, 0, v62, s0
	s_add_u32 s22, s22, 1
	s_addc_u32 s23, s23, 0
	s_and_not1_b32 s0, s21, exec_lo
	s_waitcnt vmcnt(0)
	v_cmp_ne_u16_e32 vcc_lo, v63, v64
	s_and_b32 s21, vcc_lo, exec_lo
	s_delay_alu instid0(SALU_CYCLE_1)
	s_or_b32 s21, s0, s21
.LBB1415_224:                           ;   in Loop: Header=BB1415_225 Depth=1
	v_dual_mov_b32 v64, s23 :: v_dual_mov_b32 v63, s22
	s_and_b32 s0, exec_lo, s21
	s_delay_alu instid0(SALU_CYCLE_1) | instskip(NEXT) | instid1(SALU_CYCLE_1)
	s_or_b32 s3, s0, s3
	s_and_not1_b32 exec_lo, exec_lo, s3
	s_cbranch_execz .LBB1415_227
.LBB1415_225:                           ; =>This Inner Loop Header: Depth=1
	s_or_b32 s21, s21, exec_lo
	s_cmp_eq_u64 s[14:15], s[22:23]
	s_cbranch_scc0 .LBB1415_223
; %bb.226:                              ;   in Loop: Header=BB1415_225 Depth=1
	s_mov_b64 s[22:23], s[8:9]
                                        ; implicit-def: $vgpr57_vgpr58
                                        ; implicit-def: $vgpr61_vgpr62
	s_branch .LBB1415_224
.LBB1415_227:
	s_set_inst_prefetch_distance 0x2
	s_or_b32 exec_lo, exec_lo, s3
	v_cmp_gt_i64_e32 vcc_lo, s[8:9], v[63:64]
	s_mov_b32 s0, 0
	s_delay_alu instid0(SALU_CYCLE_1)
	v_mov_b32_e32 v146, s0
	v_cndmask_b32_e64 v145, 0, 1, vcc_lo
.LBB1415_228:
	s_or_b32 exec_lo, exec_lo, s1
.LBB1415_229:
	v_mul_lo_u32 v61, v28, s8
	v_mul_lo_u32 v62, v27, s9
	v_mad_u64_u32 v[57:58], null, v27, s8, 0
	v_cmp_ne_u32_e32 vcc_lo, 1, v65
	s_delay_alu instid0(VALU_DEP_2) | instskip(NEXT) | instid1(VALU_DEP_1)
	v_add3_u32 v58, v58, v62, v61
	v_lshlrev_b64 v[57:58], 1, v[57:58]
	s_cbranch_vccnz .LBB1415_238
; %bb.230:
	v_add_co_u32 v61, vcc_lo, s10, v59
	v_add_co_ci_u32_e32 v62, vcc_lo, s11, v60, vcc_lo
	s_delay_alu instid0(VALU_DEP_3) | instskip(NEXT) | instid1(VALU_DEP_4)
	v_add_co_u32 v59, vcc_lo, s10, v57
	v_add_co_ci_u32_e32 v60, vcc_lo, s11, v58, vcc_lo
	v_mov_b32_e32 v147, 1
	s_clause 0x1
	global_load_u16 v63, v[61:62], off
	global_load_u16 v64, v[59:60], off
	v_mov_b32_e32 v148, 0
	s_mov_b32 s1, exec_lo
	s_waitcnt vmcnt(0)
	v_cmpx_eq_u16_e64 v63, v64
	s_cbranch_execz .LBB1415_237
; %bb.231:
	v_add_co_u32 v59, vcc_lo, v59, 2
	v_add_co_ci_u32_e32 v60, vcc_lo, 0, v60, vcc_lo
	v_add_co_u32 v61, vcc_lo, v61, 2
	v_add_co_ci_u32_e32 v62, vcc_lo, 0, v62, vcc_lo
	s_add_u32 s14, s8, -1
	s_addc_u32 s15, s9, -1
	s_mov_b64 s[22:23], 0
	s_mov_b32 s3, 0
                                        ; implicit-def: $sgpr21
	s_set_inst_prefetch_distance 0x1
	s_branch .LBB1415_234
	.p2align	6
.LBB1415_232:                           ;   in Loop: Header=BB1415_234 Depth=1
	global_load_u16 v63, v[61:62], off
	global_load_u16 v64, v[59:60], off
	v_add_co_u32 v59, vcc_lo, v59, 2
	v_add_co_ci_u32_e32 v60, vcc_lo, 0, v60, vcc_lo
	v_add_co_u32 v61, s0, v61, 2
	s_delay_alu instid0(VALU_DEP_1)
	v_add_co_ci_u32_e64 v62, s0, 0, v62, s0
	s_add_u32 s22, s22, 1
	s_addc_u32 s23, s23, 0
	s_and_not1_b32 s0, s21, exec_lo
	s_waitcnt vmcnt(0)
	v_cmp_ne_u16_e32 vcc_lo, v63, v64
	s_and_b32 s21, vcc_lo, exec_lo
	s_delay_alu instid0(SALU_CYCLE_1)
	s_or_b32 s21, s0, s21
.LBB1415_233:                           ;   in Loop: Header=BB1415_234 Depth=1
	v_dual_mov_b32 v64, s23 :: v_dual_mov_b32 v63, s22
	s_and_b32 s0, exec_lo, s21
	s_delay_alu instid0(SALU_CYCLE_1) | instskip(NEXT) | instid1(SALU_CYCLE_1)
	s_or_b32 s3, s0, s3
	s_and_not1_b32 exec_lo, exec_lo, s3
	s_cbranch_execz .LBB1415_236
.LBB1415_234:                           ; =>This Inner Loop Header: Depth=1
	s_or_b32 s21, s21, exec_lo
	s_cmp_eq_u64 s[14:15], s[22:23]
	s_cbranch_scc0 .LBB1415_232
; %bb.235:                              ;   in Loop: Header=BB1415_234 Depth=1
	s_mov_b64 s[22:23], s[8:9]
                                        ; implicit-def: $vgpr59_vgpr60
                                        ; implicit-def: $vgpr61_vgpr62
	s_branch .LBB1415_233
.LBB1415_236:
	s_set_inst_prefetch_distance 0x2
	s_or_b32 exec_lo, exec_lo, s3
	v_cmp_gt_i64_e32 vcc_lo, s[8:9], v[63:64]
	s_mov_b32 s0, 0
	s_delay_alu instid0(SALU_CYCLE_1)
	v_mov_b32_e32 v148, s0
	v_cndmask_b32_e64 v147, 0, 1, vcc_lo
.LBB1415_237:
	s_or_b32 exec_lo, exec_lo, s1
.LBB1415_238:
	v_mul_lo_u32 v61, v26, s8
	v_mul_lo_u32 v62, v25, s9
	v_mad_u64_u32 v[59:60], null, v25, s8, 0
	v_mov_b32_e32 v151, 0
	v_mov_b32_e32 v152, 0
	v_cmp_ne_u32_e32 vcc_lo, 1, v65
	s_delay_alu instid0(VALU_DEP_2) | instskip(SKIP_1) | instid1(VALU_DEP_1)
	v_dual_mov_b32 v149, v151 :: v_dual_mov_b32 v150, v152
	v_add3_u32 v60, v60, v62, v61
	v_lshlrev_b64 v[59:60], 1, v[59:60]
	s_cbranch_vccnz .LBB1415_247
; %bb.239:
	v_add_co_u32 v61, vcc_lo, s10, v57
	v_add_co_ci_u32_e32 v62, vcc_lo, s11, v58, vcc_lo
	s_delay_alu instid0(VALU_DEP_3) | instskip(NEXT) | instid1(VALU_DEP_4)
	v_add_co_u32 v57, vcc_lo, s10, v59
	v_add_co_ci_u32_e32 v58, vcc_lo, s11, v60, vcc_lo
	v_mov_b32_e32 v149, 1
	s_clause 0x1
	global_load_u16 v63, v[61:62], off
	global_load_u16 v64, v[57:58], off
	v_mov_b32_e32 v150, 0
	s_mov_b32 s1, exec_lo
	s_waitcnt vmcnt(0)
	v_cmpx_eq_u16_e64 v63, v64
	s_cbranch_execz .LBB1415_246
; %bb.240:
	v_add_co_u32 v57, vcc_lo, v57, 2
	v_add_co_ci_u32_e32 v58, vcc_lo, 0, v58, vcc_lo
	v_add_co_u32 v61, vcc_lo, v61, 2
	v_add_co_ci_u32_e32 v62, vcc_lo, 0, v62, vcc_lo
	s_add_u32 s14, s8, -1
	s_addc_u32 s15, s9, -1
	s_mov_b64 s[22:23], 0
	s_mov_b32 s3, 0
                                        ; implicit-def: $sgpr21
	s_set_inst_prefetch_distance 0x1
	s_branch .LBB1415_243
	.p2align	6
.LBB1415_241:                           ;   in Loop: Header=BB1415_243 Depth=1
	global_load_u16 v63, v[61:62], off
	global_load_u16 v64, v[57:58], off
	v_add_co_u32 v57, vcc_lo, v57, 2
	v_add_co_ci_u32_e32 v58, vcc_lo, 0, v58, vcc_lo
	v_add_co_u32 v61, s0, v61, 2
	s_delay_alu instid0(VALU_DEP_1)
	v_add_co_ci_u32_e64 v62, s0, 0, v62, s0
	s_add_u32 s22, s22, 1
	s_addc_u32 s23, s23, 0
	s_and_not1_b32 s0, s21, exec_lo
	s_waitcnt vmcnt(0)
	v_cmp_ne_u16_e32 vcc_lo, v63, v64
	s_and_b32 s21, vcc_lo, exec_lo
	s_delay_alu instid0(SALU_CYCLE_1)
	s_or_b32 s21, s0, s21
.LBB1415_242:                           ;   in Loop: Header=BB1415_243 Depth=1
	v_dual_mov_b32 v64, s23 :: v_dual_mov_b32 v63, s22
	s_and_b32 s0, exec_lo, s21
	s_delay_alu instid0(SALU_CYCLE_1) | instskip(NEXT) | instid1(SALU_CYCLE_1)
	s_or_b32 s3, s0, s3
	s_and_not1_b32 exec_lo, exec_lo, s3
	s_cbranch_execz .LBB1415_245
.LBB1415_243:                           ; =>This Inner Loop Header: Depth=1
	s_or_b32 s21, s21, exec_lo
	s_cmp_eq_u64 s[14:15], s[22:23]
	s_cbranch_scc0 .LBB1415_241
; %bb.244:                              ;   in Loop: Header=BB1415_243 Depth=1
	s_mov_b64 s[22:23], s[8:9]
                                        ; implicit-def: $vgpr57_vgpr58
                                        ; implicit-def: $vgpr61_vgpr62
	s_branch .LBB1415_242
.LBB1415_245:
	s_set_inst_prefetch_distance 0x2
	s_or_b32 exec_lo, exec_lo, s3
	v_cmp_gt_i64_e32 vcc_lo, s[8:9], v[63:64]
	s_mov_b32 s0, 0
	s_delay_alu instid0(SALU_CYCLE_1)
	v_mov_b32_e32 v150, s0
	v_cndmask_b32_e64 v149, 0, 1, vcc_lo
.LBB1415_246:
	s_or_b32 exec_lo, exec_lo, s1
.LBB1415_247:
	v_mul_lo_u32 v61, v24, s8
	v_mul_lo_u32 v62, v23, s9
	v_mad_u64_u32 v[57:58], null, v23, s8, 0
	v_cmp_ne_u32_e32 vcc_lo, 1, v65
	s_delay_alu instid0(VALU_DEP_2) | instskip(NEXT) | instid1(VALU_DEP_1)
	v_add3_u32 v58, v58, v62, v61
	v_lshlrev_b64 v[57:58], 1, v[57:58]
	s_cbranch_vccnz .LBB1415_256
; %bb.248:
	v_add_co_u32 v61, vcc_lo, s10, v59
	v_add_co_ci_u32_e32 v62, vcc_lo, s11, v60, vcc_lo
	s_delay_alu instid0(VALU_DEP_3) | instskip(NEXT) | instid1(VALU_DEP_4)
	v_add_co_u32 v59, vcc_lo, s10, v57
	v_add_co_ci_u32_e32 v60, vcc_lo, s11, v58, vcc_lo
	v_mov_b32_e32 v151, 1
	s_clause 0x1
	global_load_u16 v63, v[61:62], off
	global_load_u16 v64, v[59:60], off
	v_mov_b32_e32 v152, 0
	s_mov_b32 s1, exec_lo
	s_waitcnt vmcnt(0)
	v_cmpx_eq_u16_e64 v63, v64
	s_cbranch_execz .LBB1415_255
; %bb.249:
	v_add_co_u32 v59, vcc_lo, v59, 2
	v_add_co_ci_u32_e32 v60, vcc_lo, 0, v60, vcc_lo
	v_add_co_u32 v61, vcc_lo, v61, 2
	v_add_co_ci_u32_e32 v62, vcc_lo, 0, v62, vcc_lo
	s_add_u32 s14, s8, -1
	s_addc_u32 s15, s9, -1
	s_mov_b64 s[22:23], 0
	s_mov_b32 s3, 0
                                        ; implicit-def: $sgpr21
	s_set_inst_prefetch_distance 0x1
	s_branch .LBB1415_252
	.p2align	6
.LBB1415_250:                           ;   in Loop: Header=BB1415_252 Depth=1
	global_load_u16 v63, v[61:62], off
	global_load_u16 v64, v[59:60], off
	v_add_co_u32 v59, vcc_lo, v59, 2
	v_add_co_ci_u32_e32 v60, vcc_lo, 0, v60, vcc_lo
	v_add_co_u32 v61, s0, v61, 2
	s_delay_alu instid0(VALU_DEP_1)
	v_add_co_ci_u32_e64 v62, s0, 0, v62, s0
	s_add_u32 s22, s22, 1
	s_addc_u32 s23, s23, 0
	s_and_not1_b32 s0, s21, exec_lo
	s_waitcnt vmcnt(0)
	v_cmp_ne_u16_e32 vcc_lo, v63, v64
	s_and_b32 s21, vcc_lo, exec_lo
	s_delay_alu instid0(SALU_CYCLE_1)
	s_or_b32 s21, s0, s21
.LBB1415_251:                           ;   in Loop: Header=BB1415_252 Depth=1
	v_dual_mov_b32 v64, s23 :: v_dual_mov_b32 v63, s22
	s_and_b32 s0, exec_lo, s21
	s_delay_alu instid0(SALU_CYCLE_1) | instskip(NEXT) | instid1(SALU_CYCLE_1)
	s_or_b32 s3, s0, s3
	s_and_not1_b32 exec_lo, exec_lo, s3
	s_cbranch_execz .LBB1415_254
.LBB1415_252:                           ; =>This Inner Loop Header: Depth=1
	s_or_b32 s21, s21, exec_lo
	s_cmp_eq_u64 s[14:15], s[22:23]
	s_cbranch_scc0 .LBB1415_250
; %bb.253:                              ;   in Loop: Header=BB1415_252 Depth=1
	s_mov_b64 s[22:23], s[8:9]
                                        ; implicit-def: $vgpr59_vgpr60
                                        ; implicit-def: $vgpr61_vgpr62
	s_branch .LBB1415_251
.LBB1415_254:
	s_set_inst_prefetch_distance 0x2
	s_or_b32 exec_lo, exec_lo, s3
	v_cmp_gt_i64_e32 vcc_lo, s[8:9], v[63:64]
	s_mov_b32 s0, 0
	s_delay_alu instid0(SALU_CYCLE_1)
	v_mov_b32_e32 v152, s0
	v_cndmask_b32_e64 v151, 0, 1, vcc_lo
.LBB1415_255:
	s_or_b32 exec_lo, exec_lo, s1
.LBB1415_256:
	v_mul_lo_u32 v61, v22, s8
	v_mul_lo_u32 v62, v21, s9
	v_mad_u64_u32 v[59:60], null, v21, s8, 0
	v_mov_b32_e32 v155, 0
	v_mov_b32_e32 v156, 0
	v_cmp_ne_u32_e32 vcc_lo, 1, v65
	s_delay_alu instid0(VALU_DEP_2) | instskip(SKIP_1) | instid1(VALU_DEP_1)
	v_dual_mov_b32 v153, v155 :: v_dual_mov_b32 v154, v156
	v_add3_u32 v60, v60, v62, v61
	v_lshlrev_b64 v[59:60], 1, v[59:60]
	s_cbranch_vccnz .LBB1415_265
; %bb.257:
	v_add_co_u32 v61, vcc_lo, s10, v57
	v_add_co_ci_u32_e32 v62, vcc_lo, s11, v58, vcc_lo
	s_delay_alu instid0(VALU_DEP_3) | instskip(NEXT) | instid1(VALU_DEP_4)
	v_add_co_u32 v57, vcc_lo, s10, v59
	v_add_co_ci_u32_e32 v58, vcc_lo, s11, v60, vcc_lo
	v_mov_b32_e32 v153, 1
	s_clause 0x1
	global_load_u16 v63, v[61:62], off
	global_load_u16 v64, v[57:58], off
	v_mov_b32_e32 v154, 0
	s_mov_b32 s1, exec_lo
	s_waitcnt vmcnt(0)
	v_cmpx_eq_u16_e64 v63, v64
	s_cbranch_execz .LBB1415_264
; %bb.258:
	v_add_co_u32 v57, vcc_lo, v57, 2
	v_add_co_ci_u32_e32 v58, vcc_lo, 0, v58, vcc_lo
	v_add_co_u32 v61, vcc_lo, v61, 2
	v_add_co_ci_u32_e32 v62, vcc_lo, 0, v62, vcc_lo
	s_add_u32 s14, s8, -1
	s_addc_u32 s15, s9, -1
	s_mov_b64 s[22:23], 0
	s_mov_b32 s3, 0
                                        ; implicit-def: $sgpr21
	s_set_inst_prefetch_distance 0x1
	s_branch .LBB1415_261
	.p2align	6
.LBB1415_259:                           ;   in Loop: Header=BB1415_261 Depth=1
	global_load_u16 v63, v[61:62], off
	global_load_u16 v64, v[57:58], off
	v_add_co_u32 v57, vcc_lo, v57, 2
	v_add_co_ci_u32_e32 v58, vcc_lo, 0, v58, vcc_lo
	v_add_co_u32 v61, s0, v61, 2
	s_delay_alu instid0(VALU_DEP_1)
	v_add_co_ci_u32_e64 v62, s0, 0, v62, s0
	s_add_u32 s22, s22, 1
	s_addc_u32 s23, s23, 0
	s_and_not1_b32 s0, s21, exec_lo
	s_waitcnt vmcnt(0)
	v_cmp_ne_u16_e32 vcc_lo, v63, v64
	s_and_b32 s21, vcc_lo, exec_lo
	s_delay_alu instid0(SALU_CYCLE_1)
	s_or_b32 s21, s0, s21
.LBB1415_260:                           ;   in Loop: Header=BB1415_261 Depth=1
	v_dual_mov_b32 v64, s23 :: v_dual_mov_b32 v63, s22
	s_and_b32 s0, exec_lo, s21
	s_delay_alu instid0(SALU_CYCLE_1) | instskip(NEXT) | instid1(SALU_CYCLE_1)
	s_or_b32 s3, s0, s3
	s_and_not1_b32 exec_lo, exec_lo, s3
	s_cbranch_execz .LBB1415_263
.LBB1415_261:                           ; =>This Inner Loop Header: Depth=1
	s_or_b32 s21, s21, exec_lo
	s_cmp_eq_u64 s[14:15], s[22:23]
	s_cbranch_scc0 .LBB1415_259
; %bb.262:                              ;   in Loop: Header=BB1415_261 Depth=1
	s_mov_b64 s[22:23], s[8:9]
                                        ; implicit-def: $vgpr57_vgpr58
                                        ; implicit-def: $vgpr61_vgpr62
	s_branch .LBB1415_260
.LBB1415_263:
	s_set_inst_prefetch_distance 0x2
	s_or_b32 exec_lo, exec_lo, s3
	v_cmp_gt_i64_e32 vcc_lo, s[8:9], v[63:64]
	s_mov_b32 s0, 0
	s_delay_alu instid0(SALU_CYCLE_1)
	v_mov_b32_e32 v154, s0
	v_cndmask_b32_e64 v153, 0, 1, vcc_lo
.LBB1415_264:
	s_or_b32 exec_lo, exec_lo, s1
.LBB1415_265:
	v_mul_lo_u32 v61, v20, s8
	v_mul_lo_u32 v62, v19, s9
	v_mad_u64_u32 v[57:58], null, v19, s8, 0
	v_cmp_ne_u32_e32 vcc_lo, 1, v65
	s_delay_alu instid0(VALU_DEP_2) | instskip(NEXT) | instid1(VALU_DEP_1)
	v_add3_u32 v58, v58, v62, v61
	v_lshlrev_b64 v[57:58], 1, v[57:58]
	s_cbranch_vccnz .LBB1415_274
; %bb.266:
	v_add_co_u32 v61, vcc_lo, s10, v59
	v_add_co_ci_u32_e32 v62, vcc_lo, s11, v60, vcc_lo
	s_delay_alu instid0(VALU_DEP_3) | instskip(NEXT) | instid1(VALU_DEP_4)
	v_add_co_u32 v59, vcc_lo, s10, v57
	v_add_co_ci_u32_e32 v60, vcc_lo, s11, v58, vcc_lo
	v_mov_b32_e32 v155, 1
	s_clause 0x1
	global_load_u16 v63, v[61:62], off
	global_load_u16 v64, v[59:60], off
	v_mov_b32_e32 v156, 0
	s_mov_b32 s1, exec_lo
	s_waitcnt vmcnt(0)
	v_cmpx_eq_u16_e64 v63, v64
	s_cbranch_execz .LBB1415_273
; %bb.267:
	v_add_co_u32 v59, vcc_lo, v59, 2
	v_add_co_ci_u32_e32 v60, vcc_lo, 0, v60, vcc_lo
	v_add_co_u32 v61, vcc_lo, v61, 2
	v_add_co_ci_u32_e32 v62, vcc_lo, 0, v62, vcc_lo
	s_add_u32 s14, s8, -1
	s_addc_u32 s15, s9, -1
	s_mov_b64 s[22:23], 0
	s_mov_b32 s3, 0
                                        ; implicit-def: $sgpr21
	s_set_inst_prefetch_distance 0x1
	s_branch .LBB1415_270
	.p2align	6
.LBB1415_268:                           ;   in Loop: Header=BB1415_270 Depth=1
	global_load_u16 v63, v[61:62], off
	global_load_u16 v64, v[59:60], off
	v_add_co_u32 v59, vcc_lo, v59, 2
	v_add_co_ci_u32_e32 v60, vcc_lo, 0, v60, vcc_lo
	v_add_co_u32 v61, s0, v61, 2
	s_delay_alu instid0(VALU_DEP_1)
	v_add_co_ci_u32_e64 v62, s0, 0, v62, s0
	s_add_u32 s22, s22, 1
	s_addc_u32 s23, s23, 0
	s_and_not1_b32 s0, s21, exec_lo
	s_waitcnt vmcnt(0)
	v_cmp_ne_u16_e32 vcc_lo, v63, v64
	s_and_b32 s21, vcc_lo, exec_lo
	s_delay_alu instid0(SALU_CYCLE_1)
	s_or_b32 s21, s0, s21
.LBB1415_269:                           ;   in Loop: Header=BB1415_270 Depth=1
	v_dual_mov_b32 v64, s23 :: v_dual_mov_b32 v63, s22
	s_and_b32 s0, exec_lo, s21
	s_delay_alu instid0(SALU_CYCLE_1) | instskip(NEXT) | instid1(SALU_CYCLE_1)
	s_or_b32 s3, s0, s3
	s_and_not1_b32 exec_lo, exec_lo, s3
	s_cbranch_execz .LBB1415_272
.LBB1415_270:                           ; =>This Inner Loop Header: Depth=1
	s_or_b32 s21, s21, exec_lo
	s_cmp_eq_u64 s[14:15], s[22:23]
	s_cbranch_scc0 .LBB1415_268
; %bb.271:                              ;   in Loop: Header=BB1415_270 Depth=1
	s_mov_b64 s[22:23], s[8:9]
                                        ; implicit-def: $vgpr59_vgpr60
                                        ; implicit-def: $vgpr61_vgpr62
	s_branch .LBB1415_269
.LBB1415_272:
	s_set_inst_prefetch_distance 0x2
	s_or_b32 exec_lo, exec_lo, s3
	v_cmp_gt_i64_e32 vcc_lo, s[8:9], v[63:64]
	s_mov_b32 s0, 0
	s_delay_alu instid0(SALU_CYCLE_1)
	v_mov_b32_e32 v156, s0
	v_cndmask_b32_e64 v155, 0, 1, vcc_lo
.LBB1415_273:
	s_or_b32 exec_lo, exec_lo, s1
.LBB1415_274:
	v_mul_lo_u32 v61, v18, s8
	v_mul_lo_u32 v62, v17, s9
	v_mad_u64_u32 v[59:60], null, v17, s8, 0
	v_mov_b32_e32 v159, 0
	v_mov_b32_e32 v160, 0
	v_cmp_ne_u32_e32 vcc_lo, 1, v65
	s_delay_alu instid0(VALU_DEP_2) | instskip(SKIP_1) | instid1(VALU_DEP_1)
	v_dual_mov_b32 v157, v159 :: v_dual_mov_b32 v158, v160
	v_add3_u32 v60, v60, v62, v61
	v_lshlrev_b64 v[59:60], 1, v[59:60]
	s_cbranch_vccnz .LBB1415_283
; %bb.275:
	v_add_co_u32 v61, vcc_lo, s10, v57
	v_add_co_ci_u32_e32 v62, vcc_lo, s11, v58, vcc_lo
	s_delay_alu instid0(VALU_DEP_3) | instskip(NEXT) | instid1(VALU_DEP_4)
	v_add_co_u32 v57, vcc_lo, s10, v59
	v_add_co_ci_u32_e32 v58, vcc_lo, s11, v60, vcc_lo
	v_mov_b32_e32 v157, 1
	s_clause 0x1
	global_load_u16 v63, v[61:62], off
	global_load_u16 v64, v[57:58], off
	v_mov_b32_e32 v158, 0
	s_mov_b32 s1, exec_lo
	s_waitcnt vmcnt(0)
	v_cmpx_eq_u16_e64 v63, v64
	s_cbranch_execz .LBB1415_282
; %bb.276:
	v_add_co_u32 v57, vcc_lo, v57, 2
	v_add_co_ci_u32_e32 v58, vcc_lo, 0, v58, vcc_lo
	v_add_co_u32 v61, vcc_lo, v61, 2
	v_add_co_ci_u32_e32 v62, vcc_lo, 0, v62, vcc_lo
	s_add_u32 s14, s8, -1
	s_addc_u32 s15, s9, -1
	s_mov_b64 s[22:23], 0
	s_mov_b32 s3, 0
                                        ; implicit-def: $sgpr21
	s_set_inst_prefetch_distance 0x1
	s_branch .LBB1415_279
	.p2align	6
.LBB1415_277:                           ;   in Loop: Header=BB1415_279 Depth=1
	global_load_u16 v63, v[61:62], off
	global_load_u16 v64, v[57:58], off
	v_add_co_u32 v57, vcc_lo, v57, 2
	v_add_co_ci_u32_e32 v58, vcc_lo, 0, v58, vcc_lo
	v_add_co_u32 v61, s0, v61, 2
	s_delay_alu instid0(VALU_DEP_1)
	v_add_co_ci_u32_e64 v62, s0, 0, v62, s0
	s_add_u32 s22, s22, 1
	s_addc_u32 s23, s23, 0
	s_and_not1_b32 s0, s21, exec_lo
	s_waitcnt vmcnt(0)
	v_cmp_ne_u16_e32 vcc_lo, v63, v64
	s_and_b32 s21, vcc_lo, exec_lo
	s_delay_alu instid0(SALU_CYCLE_1)
	s_or_b32 s21, s0, s21
.LBB1415_278:                           ;   in Loop: Header=BB1415_279 Depth=1
	v_dual_mov_b32 v64, s23 :: v_dual_mov_b32 v63, s22
	s_and_b32 s0, exec_lo, s21
	s_delay_alu instid0(SALU_CYCLE_1) | instskip(NEXT) | instid1(SALU_CYCLE_1)
	s_or_b32 s3, s0, s3
	s_and_not1_b32 exec_lo, exec_lo, s3
	s_cbranch_execz .LBB1415_281
.LBB1415_279:                           ; =>This Inner Loop Header: Depth=1
	s_or_b32 s21, s21, exec_lo
	s_cmp_eq_u64 s[14:15], s[22:23]
	s_cbranch_scc0 .LBB1415_277
; %bb.280:                              ;   in Loop: Header=BB1415_279 Depth=1
	s_mov_b64 s[22:23], s[8:9]
                                        ; implicit-def: $vgpr57_vgpr58
                                        ; implicit-def: $vgpr61_vgpr62
	s_branch .LBB1415_278
.LBB1415_281:
	s_set_inst_prefetch_distance 0x2
	s_or_b32 exec_lo, exec_lo, s3
	v_cmp_gt_i64_e32 vcc_lo, s[8:9], v[63:64]
	s_mov_b32 s0, 0
	s_delay_alu instid0(SALU_CYCLE_1)
	v_mov_b32_e32 v158, s0
	v_cndmask_b32_e64 v157, 0, 1, vcc_lo
.LBB1415_282:
	s_or_b32 exec_lo, exec_lo, s1
.LBB1415_283:
	v_mul_lo_u32 v61, v16, s8
	v_mul_lo_u32 v62, v15, s9
	v_mad_u64_u32 v[57:58], null, v15, s8, 0
	v_cmp_ne_u32_e32 vcc_lo, 1, v65
	s_delay_alu instid0(VALU_DEP_2) | instskip(NEXT) | instid1(VALU_DEP_1)
	v_add3_u32 v58, v58, v62, v61
	v_lshlrev_b64 v[57:58], 1, v[57:58]
	s_cbranch_vccnz .LBB1415_292
; %bb.284:
	v_add_co_u32 v61, vcc_lo, s10, v59
	v_add_co_ci_u32_e32 v62, vcc_lo, s11, v60, vcc_lo
	s_delay_alu instid0(VALU_DEP_3) | instskip(NEXT) | instid1(VALU_DEP_4)
	v_add_co_u32 v59, vcc_lo, s10, v57
	v_add_co_ci_u32_e32 v60, vcc_lo, s11, v58, vcc_lo
	v_mov_b32_e32 v159, 1
	s_clause 0x1
	global_load_u16 v63, v[61:62], off
	global_load_u16 v64, v[59:60], off
	v_mov_b32_e32 v160, 0
	s_mov_b32 s1, exec_lo
	s_waitcnt vmcnt(0)
	v_cmpx_eq_u16_e64 v63, v64
	s_cbranch_execz .LBB1415_291
; %bb.285:
	v_add_co_u32 v59, vcc_lo, v59, 2
	v_add_co_ci_u32_e32 v60, vcc_lo, 0, v60, vcc_lo
	v_add_co_u32 v61, vcc_lo, v61, 2
	v_add_co_ci_u32_e32 v62, vcc_lo, 0, v62, vcc_lo
	s_add_u32 s14, s8, -1
	s_addc_u32 s15, s9, -1
	s_mov_b64 s[22:23], 0
	s_mov_b32 s3, 0
                                        ; implicit-def: $sgpr21
	s_set_inst_prefetch_distance 0x1
	s_branch .LBB1415_288
	.p2align	6
.LBB1415_286:                           ;   in Loop: Header=BB1415_288 Depth=1
	global_load_u16 v63, v[61:62], off
	global_load_u16 v64, v[59:60], off
	v_add_co_u32 v59, vcc_lo, v59, 2
	v_add_co_ci_u32_e32 v60, vcc_lo, 0, v60, vcc_lo
	v_add_co_u32 v61, s0, v61, 2
	s_delay_alu instid0(VALU_DEP_1)
	v_add_co_ci_u32_e64 v62, s0, 0, v62, s0
	s_add_u32 s22, s22, 1
	s_addc_u32 s23, s23, 0
	s_and_not1_b32 s0, s21, exec_lo
	s_waitcnt vmcnt(0)
	v_cmp_ne_u16_e32 vcc_lo, v63, v64
	s_and_b32 s21, vcc_lo, exec_lo
	s_delay_alu instid0(SALU_CYCLE_1)
	s_or_b32 s21, s0, s21
.LBB1415_287:                           ;   in Loop: Header=BB1415_288 Depth=1
	v_dual_mov_b32 v64, s23 :: v_dual_mov_b32 v63, s22
	s_and_b32 s0, exec_lo, s21
	s_delay_alu instid0(SALU_CYCLE_1) | instskip(NEXT) | instid1(SALU_CYCLE_1)
	s_or_b32 s3, s0, s3
	s_and_not1_b32 exec_lo, exec_lo, s3
	s_cbranch_execz .LBB1415_290
.LBB1415_288:                           ; =>This Inner Loop Header: Depth=1
	s_or_b32 s21, s21, exec_lo
	s_cmp_eq_u64 s[14:15], s[22:23]
	s_cbranch_scc0 .LBB1415_286
; %bb.289:                              ;   in Loop: Header=BB1415_288 Depth=1
	s_mov_b64 s[22:23], s[8:9]
                                        ; implicit-def: $vgpr59_vgpr60
                                        ; implicit-def: $vgpr61_vgpr62
	s_branch .LBB1415_287
.LBB1415_290:
	s_set_inst_prefetch_distance 0x2
	s_or_b32 exec_lo, exec_lo, s3
	v_cmp_gt_i64_e32 vcc_lo, s[8:9], v[63:64]
	s_mov_b32 s0, 0
	s_delay_alu instid0(SALU_CYCLE_1)
	v_mov_b32_e32 v160, s0
	v_cndmask_b32_e64 v159, 0, 1, vcc_lo
.LBB1415_291:
	s_or_b32 exec_lo, exec_lo, s1
.LBB1415_292:
	v_mul_lo_u32 v61, v14, s8
	v_mul_lo_u32 v62, v13, s9
	v_mad_u64_u32 v[59:60], null, v13, s8, 0
	v_mov_b32_e32 v163, 0
	v_mov_b32_e32 v164, 0
	v_cmp_ne_u32_e32 vcc_lo, 1, v65
	s_delay_alu instid0(VALU_DEP_2) | instskip(SKIP_1) | instid1(VALU_DEP_1)
	v_dual_mov_b32 v161, v163 :: v_dual_mov_b32 v162, v164
	v_add3_u32 v60, v60, v62, v61
	v_lshlrev_b64 v[59:60], 1, v[59:60]
	s_cbranch_vccnz .LBB1415_301
; %bb.293:
	v_add_co_u32 v61, vcc_lo, s10, v57
	v_add_co_ci_u32_e32 v62, vcc_lo, s11, v58, vcc_lo
	s_delay_alu instid0(VALU_DEP_3) | instskip(NEXT) | instid1(VALU_DEP_4)
	v_add_co_u32 v57, vcc_lo, s10, v59
	v_add_co_ci_u32_e32 v58, vcc_lo, s11, v60, vcc_lo
	v_mov_b32_e32 v161, 1
	s_clause 0x1
	global_load_u16 v63, v[61:62], off
	global_load_u16 v64, v[57:58], off
	v_mov_b32_e32 v162, 0
	s_mov_b32 s1, exec_lo
	s_waitcnt vmcnt(0)
	v_cmpx_eq_u16_e64 v63, v64
	s_cbranch_execz .LBB1415_300
; %bb.294:
	v_add_co_u32 v57, vcc_lo, v57, 2
	v_add_co_ci_u32_e32 v58, vcc_lo, 0, v58, vcc_lo
	v_add_co_u32 v61, vcc_lo, v61, 2
	v_add_co_ci_u32_e32 v62, vcc_lo, 0, v62, vcc_lo
	s_add_u32 s14, s8, -1
	s_addc_u32 s15, s9, -1
	s_mov_b64 s[22:23], 0
	s_mov_b32 s3, 0
                                        ; implicit-def: $sgpr21
	s_set_inst_prefetch_distance 0x1
	s_branch .LBB1415_297
	.p2align	6
.LBB1415_295:                           ;   in Loop: Header=BB1415_297 Depth=1
	global_load_u16 v63, v[61:62], off
	global_load_u16 v64, v[57:58], off
	v_add_co_u32 v57, vcc_lo, v57, 2
	v_add_co_ci_u32_e32 v58, vcc_lo, 0, v58, vcc_lo
	v_add_co_u32 v61, s0, v61, 2
	s_delay_alu instid0(VALU_DEP_1)
	v_add_co_ci_u32_e64 v62, s0, 0, v62, s0
	s_add_u32 s22, s22, 1
	s_addc_u32 s23, s23, 0
	s_and_not1_b32 s0, s21, exec_lo
	s_waitcnt vmcnt(0)
	v_cmp_ne_u16_e32 vcc_lo, v63, v64
	s_and_b32 s21, vcc_lo, exec_lo
	s_delay_alu instid0(SALU_CYCLE_1)
	s_or_b32 s21, s0, s21
.LBB1415_296:                           ;   in Loop: Header=BB1415_297 Depth=1
	v_dual_mov_b32 v64, s23 :: v_dual_mov_b32 v63, s22
	s_and_b32 s0, exec_lo, s21
	s_delay_alu instid0(SALU_CYCLE_1) | instskip(NEXT) | instid1(SALU_CYCLE_1)
	s_or_b32 s3, s0, s3
	s_and_not1_b32 exec_lo, exec_lo, s3
	s_cbranch_execz .LBB1415_299
.LBB1415_297:                           ; =>This Inner Loop Header: Depth=1
	s_or_b32 s21, s21, exec_lo
	s_cmp_eq_u64 s[14:15], s[22:23]
	s_cbranch_scc0 .LBB1415_295
; %bb.298:                              ;   in Loop: Header=BB1415_297 Depth=1
	s_mov_b64 s[22:23], s[8:9]
                                        ; implicit-def: $vgpr57_vgpr58
                                        ; implicit-def: $vgpr61_vgpr62
	s_branch .LBB1415_296
.LBB1415_299:
	s_set_inst_prefetch_distance 0x2
	s_or_b32 exec_lo, exec_lo, s3
	v_cmp_gt_i64_e32 vcc_lo, s[8:9], v[63:64]
	s_mov_b32 s0, 0
	s_delay_alu instid0(SALU_CYCLE_1)
	v_mov_b32_e32 v162, s0
	v_cndmask_b32_e64 v161, 0, 1, vcc_lo
.LBB1415_300:
	s_or_b32 exec_lo, exec_lo, s1
.LBB1415_301:
	v_mul_lo_u32 v61, v4, s8
	v_mul_lo_u32 v62, v3, s9
	v_mad_u64_u32 v[57:58], null, v3, s8, 0
	v_cmp_ne_u32_e32 vcc_lo, 1, v65
	s_delay_alu instid0(VALU_DEP_2) | instskip(NEXT) | instid1(VALU_DEP_1)
	v_add3_u32 v58, v58, v62, v61
	v_lshlrev_b64 v[57:58], 1, v[57:58]
	s_cbranch_vccnz .LBB1415_310
; %bb.302:
	v_add_co_u32 v61, vcc_lo, s10, v59
	v_add_co_ci_u32_e32 v62, vcc_lo, s11, v60, vcc_lo
	s_delay_alu instid0(VALU_DEP_3) | instskip(NEXT) | instid1(VALU_DEP_4)
	v_add_co_u32 v59, vcc_lo, s10, v57
	v_add_co_ci_u32_e32 v60, vcc_lo, s11, v58, vcc_lo
	v_mov_b32_e32 v163, 1
	s_clause 0x1
	global_load_u16 v63, v[61:62], off
	global_load_u16 v64, v[59:60], off
	v_mov_b32_e32 v164, 0
	s_mov_b32 s1, exec_lo
	s_waitcnt vmcnt(0)
	v_cmpx_eq_u16_e64 v63, v64
	s_cbranch_execz .LBB1415_309
; %bb.303:
	v_add_co_u32 v59, vcc_lo, v59, 2
	v_add_co_ci_u32_e32 v60, vcc_lo, 0, v60, vcc_lo
	v_add_co_u32 v61, vcc_lo, v61, 2
	v_add_co_ci_u32_e32 v62, vcc_lo, 0, v62, vcc_lo
	s_add_u32 s14, s8, -1
	s_addc_u32 s15, s9, -1
	s_mov_b64 s[22:23], 0
	s_mov_b32 s3, 0
                                        ; implicit-def: $sgpr21
	s_set_inst_prefetch_distance 0x1
	s_branch .LBB1415_306
	.p2align	6
.LBB1415_304:                           ;   in Loop: Header=BB1415_306 Depth=1
	global_load_u16 v63, v[61:62], off
	global_load_u16 v64, v[59:60], off
	v_add_co_u32 v59, vcc_lo, v59, 2
	v_add_co_ci_u32_e32 v60, vcc_lo, 0, v60, vcc_lo
	v_add_co_u32 v61, s0, v61, 2
	s_delay_alu instid0(VALU_DEP_1)
	v_add_co_ci_u32_e64 v62, s0, 0, v62, s0
	s_add_u32 s22, s22, 1
	s_addc_u32 s23, s23, 0
	s_and_not1_b32 s0, s21, exec_lo
	s_waitcnt vmcnt(0)
	v_cmp_ne_u16_e32 vcc_lo, v63, v64
	s_and_b32 s21, vcc_lo, exec_lo
	s_delay_alu instid0(SALU_CYCLE_1)
	s_or_b32 s21, s0, s21
.LBB1415_305:                           ;   in Loop: Header=BB1415_306 Depth=1
	v_dual_mov_b32 v64, s23 :: v_dual_mov_b32 v63, s22
	s_and_b32 s0, exec_lo, s21
	s_delay_alu instid0(SALU_CYCLE_1) | instskip(NEXT) | instid1(SALU_CYCLE_1)
	s_or_b32 s3, s0, s3
	s_and_not1_b32 exec_lo, exec_lo, s3
	s_cbranch_execz .LBB1415_308
.LBB1415_306:                           ; =>This Inner Loop Header: Depth=1
	s_or_b32 s21, s21, exec_lo
	s_cmp_eq_u64 s[14:15], s[22:23]
	s_cbranch_scc0 .LBB1415_304
; %bb.307:                              ;   in Loop: Header=BB1415_306 Depth=1
	s_mov_b64 s[22:23], s[8:9]
                                        ; implicit-def: $vgpr59_vgpr60
                                        ; implicit-def: $vgpr61_vgpr62
	s_branch .LBB1415_305
.LBB1415_308:
	s_set_inst_prefetch_distance 0x2
	s_or_b32 exec_lo, exec_lo, s3
	v_cmp_gt_i64_e32 vcc_lo, s[8:9], v[63:64]
	s_mov_b32 s0, 0
	s_delay_alu instid0(SALU_CYCLE_1)
	v_mov_b32_e32 v164, s0
	v_cndmask_b32_e64 v163, 0, 1, vcc_lo
.LBB1415_309:
	s_or_b32 exec_lo, exec_lo, s1
.LBB1415_310:
	v_cmp_ne_u32_e32 vcc_lo, 1, v65
	s_cbranch_vccnz .LBB1415_317
; %bb.311:
	v_mul_lo_u32 v61, v2, s8
	v_mul_lo_u32 v62, v1, s9
	v_mad_u64_u32 v[59:60], null, v1, s8, 0
	v_mov_b32_e32 v165, 1
	v_mov_b32_e32 v166, 0
	s_mov_b32 s1, exec_lo
	s_delay_alu instid0(VALU_DEP_3) | instskip(NEXT) | instid1(VALU_DEP_1)
	v_add3_u32 v60, v60, v62, v61
	v_lshlrev_b64 v[61:62], 1, v[59:60]
	v_add_co_u32 v59, vcc_lo, s10, v57
	v_add_co_ci_u32_e32 v60, vcc_lo, s11, v58, vcc_lo
	s_delay_alu instid0(VALU_DEP_3) | instskip(NEXT) | instid1(VALU_DEP_4)
	v_add_co_u32 v57, vcc_lo, s10, v61
	v_add_co_ci_u32_e32 v58, vcc_lo, s11, v62, vcc_lo
	s_clause 0x1
	global_load_u16 v61, v[59:60], off
	global_load_u16 v62, v[57:58], off
	s_waitcnt vmcnt(0)
	v_cmpx_eq_u16_e64 v61, v62
	s_cbranch_execz .LBB1415_319
; %bb.312:
	v_add_co_u32 v57, vcc_lo, v57, 2
	v_add_co_ci_u32_e32 v58, vcc_lo, 0, v58, vcc_lo
	v_add_co_u32 v59, vcc_lo, v59, 2
	v_add_co_ci_u32_e32 v60, vcc_lo, 0, v60, vcc_lo
	s_add_u32 s14, s8, -1
	s_addc_u32 s15, s9, -1
	s_mov_b64 s[22:23], 0
	s_mov_b32 s3, 0
                                        ; implicit-def: $sgpr21
	s_set_inst_prefetch_distance 0x1
	s_branch .LBB1415_315
	.p2align	6
.LBB1415_313:                           ;   in Loop: Header=BB1415_315 Depth=1
	global_load_u16 v61, v[59:60], off
	global_load_u16 v62, v[57:58], off
	v_add_co_u32 v57, vcc_lo, v57, 2
	v_add_co_ci_u32_e32 v58, vcc_lo, 0, v58, vcc_lo
	v_add_co_u32 v59, s0, v59, 2
	s_delay_alu instid0(VALU_DEP_1)
	v_add_co_ci_u32_e64 v60, s0, 0, v60, s0
	s_add_u32 s22, s22, 1
	s_addc_u32 s23, s23, 0
	s_and_not1_b32 s0, s21, exec_lo
	s_waitcnt vmcnt(0)
	v_cmp_ne_u16_e32 vcc_lo, v61, v62
	s_and_b32 s21, vcc_lo, exec_lo
	s_delay_alu instid0(SALU_CYCLE_1)
	s_or_b32 s21, s0, s21
.LBB1415_314:                           ;   in Loop: Header=BB1415_315 Depth=1
	v_dual_mov_b32 v62, s23 :: v_dual_mov_b32 v61, s22
	s_and_b32 s0, exec_lo, s21
	s_delay_alu instid0(SALU_CYCLE_1) | instskip(NEXT) | instid1(SALU_CYCLE_1)
	s_or_b32 s3, s0, s3
	s_and_not1_b32 exec_lo, exec_lo, s3
	s_cbranch_execz .LBB1415_318
.LBB1415_315:                           ; =>This Inner Loop Header: Depth=1
	s_or_b32 s21, s21, exec_lo
	s_cmp_eq_u64 s[14:15], s[22:23]
	s_cbranch_scc0 .LBB1415_313
; %bb.316:                              ;   in Loop: Header=BB1415_315 Depth=1
	s_mov_b64 s[22:23], s[8:9]
                                        ; implicit-def: $vgpr57_vgpr58
                                        ; implicit-def: $vgpr59_vgpr60
	s_branch .LBB1415_314
.LBB1415_317:
	v_mov_b32_e32 v165, 0
	v_mov_b32_e32 v166, 0
	s_branch .LBB1415_320
.LBB1415_318:
	s_set_inst_prefetch_distance 0x2
	s_or_b32 exec_lo, exec_lo, s3
	v_cmp_gt_i64_e32 vcc_lo, s[8:9], v[61:62]
	s_mov_b32 s0, 0
	s_delay_alu instid0(SALU_CYCLE_1)
	v_mov_b32_e32 v166, s0
	v_cndmask_b32_e64 v165, 0, 1, vcc_lo
.LBB1415_319:
	s_or_b32 exec_lo, exec_lo, s1
.LBB1415_320:
	s_waitcnt lgkmcnt(0)
	v_dual_mov_b32 v58, s13 :: v_dual_mov_b32 v57, s12
	s_mov_b32 s0, 0
	s_mov_b32 s1, exec_lo
	s_barrier
	buffer_gl0_inv
	v_cmpx_ne_u32_e32 0, v0
	s_cbranch_execz .LBB1415_322
; %bb.321:
	v_add_nc_u32_e32 v57, -8, v195
	ds_load_b64 v[57:58], v57
.LBB1415_322:
	s_or_b32 exec_lo, exec_lo, s1
	v_cmp_ne_u32_e32 vcc_lo, 1, v65
	s_cbranch_vccnz .LBB1415_331
; %bb.323:
	v_mul_lo_u32 v63, v2, s8
	v_mul_lo_u32 v64, v1, s9
	v_mad_u64_u32 v[59:60], null, v1, s8, 0
	s_waitcnt lgkmcnt(0)
	v_mul_lo_u32 v58, v58, s8
	v_mul_lo_u32 v65, v57, s9
	v_mad_u64_u32 v[61:62], null, v57, s8, 0
	s_mov_b32 s0, -1
	s_mov_b32 s1, exec_lo
	s_delay_alu instid0(VALU_DEP_4) | instskip(NEXT) | instid1(VALU_DEP_2)
	v_add3_u32 v60, v60, v64, v63
	v_add3_u32 v62, v62, v65, v58
	s_delay_alu instid0(VALU_DEP_2) | instskip(NEXT) | instid1(VALU_DEP_2)
	v_lshlrev_b64 v[57:58], 1, v[59:60]
	v_lshlrev_b64 v[61:62], 1, v[61:62]
	s_delay_alu instid0(VALU_DEP_2) | instskip(NEXT) | instid1(VALU_DEP_3)
	v_add_co_u32 v59, vcc_lo, s10, v57
	v_add_co_ci_u32_e32 v60, vcc_lo, s11, v58, vcc_lo
	s_delay_alu instid0(VALU_DEP_3) | instskip(NEXT) | instid1(VALU_DEP_4)
	v_add_co_u32 v57, vcc_lo, s10, v61
	v_add_co_ci_u32_e32 v58, vcc_lo, s11, v62, vcc_lo
	s_clause 0x1
	global_load_u16 v61, v[59:60], off
	global_load_u16 v62, v[57:58], off
	s_waitcnt vmcnt(0)
	v_cmpx_eq_u16_e64 v61, v62
	s_cbranch_execz .LBB1415_330
; %bb.324:
	v_add_co_u32 v57, vcc_lo, v57, 2
	v_add_co_ci_u32_e32 v58, vcc_lo, 0, v58, vcc_lo
	v_add_co_u32 v59, vcc_lo, v59, 2
	v_add_co_ci_u32_e32 v60, vcc_lo, 0, v60, vcc_lo
	s_add_u32 s14, s8, -1
	s_addc_u32 s15, s9, -1
	s_mov_b64 s[22:23], 0
	s_mov_b32 s3, 0
                                        ; implicit-def: $sgpr21
	s_set_inst_prefetch_distance 0x1
	s_branch .LBB1415_327
	.p2align	6
.LBB1415_325:                           ;   in Loop: Header=BB1415_327 Depth=1
	global_load_u16 v61, v[59:60], off
	global_load_u16 v62, v[57:58], off
	v_add_co_u32 v57, vcc_lo, v57, 2
	v_add_co_ci_u32_e32 v58, vcc_lo, 0, v58, vcc_lo
	v_add_co_u32 v59, s0, v59, 2
	s_delay_alu instid0(VALU_DEP_1)
	v_add_co_ci_u32_e64 v60, s0, 0, v60, s0
	s_add_u32 s22, s22, 1
	s_addc_u32 s23, s23, 0
	s_and_not1_b32 s0, s21, exec_lo
	s_waitcnt vmcnt(0)
	v_cmp_ne_u16_e32 vcc_lo, v61, v62
	s_and_b32 s21, vcc_lo, exec_lo
	s_delay_alu instid0(SALU_CYCLE_1)
	s_or_b32 s21, s0, s21
.LBB1415_326:                           ;   in Loop: Header=BB1415_327 Depth=1
	v_dual_mov_b32 v62, s23 :: v_dual_mov_b32 v61, s22
	s_and_b32 s0, exec_lo, s21
	s_delay_alu instid0(SALU_CYCLE_1) | instskip(NEXT) | instid1(SALU_CYCLE_1)
	s_or_b32 s3, s0, s3
	s_and_not1_b32 exec_lo, exec_lo, s3
	s_cbranch_execz .LBB1415_329
.LBB1415_327:                           ; =>This Inner Loop Header: Depth=1
	s_or_b32 s21, s21, exec_lo
	s_cmp_eq_u64 s[14:15], s[22:23]
	s_cbranch_scc0 .LBB1415_325
; %bb.328:                              ;   in Loop: Header=BB1415_327 Depth=1
	s_mov_b64 s[22:23], s[8:9]
                                        ; implicit-def: $vgpr57_vgpr58
                                        ; implicit-def: $vgpr59_vgpr60
	s_branch .LBB1415_326
.LBB1415_329:
	s_set_inst_prefetch_distance 0x2
	s_or_b32 exec_lo, exec_lo, s3
	v_cmp_gt_i64_e32 vcc_lo, s[8:9], v[61:62]
	s_or_not1_b32 s0, vcc_lo, exec_lo
.LBB1415_330:
	s_or_b32 exec_lo, exec_lo, s1
.LBB1415_331:
	s_mov_b32 s1, -1
	s_branch .LBB1415_73
.LBB1415_332:
	v_cmp_gt_i64_e64 s0, s[8:9], 0
	s_waitcnt lgkmcnt(0)
	v_mad_u32_u24 v57, v0, 29, 28
	v_mul_u32_u24_e32 v64, 29, v0
	v_dual_mov_b32 v112, v110 :: v_dual_mov_b32 v111, v109
	s_mul_i32 s3, s20, 0xfffff180
	v_cndmask_b32_e64 v63, 0, 1, s0
	s_add_i32 s3, s3, s6
	s_mov_b32 s22, exec_lo
	ds_store_b64 v195, v[109:110]
	v_cmpx_gt_u32_e64 s3, v57
	s_cbranch_execz .LBB1415_343
; %bb.333:
	s_and_not1_b32 vcc_lo, exec_lo, s0
	s_cbranch_vccnz .LBB1415_340
; %bb.334:
	v_mul_lo_u32 v61, v110, s8
	v_mul_lo_u32 v62, v109, s9
	v_mad_u64_u32 v[57:58], null, v109, s8, 0
	v_mul_lo_u32 v65, v8, s8
	v_mul_lo_u32 v66, v7, s9
	v_mad_u64_u32 v[59:60], null, v7, s8, 0
	v_mov_b32_e32 v111, 1
	v_mov_b32_e32 v112, 0
	v_add3_u32 v58, v58, v62, v61
	s_mov_b32 s23, exec_lo
	s_delay_alu instid0(VALU_DEP_4) | instskip(NEXT) | instid1(VALU_DEP_2)
	v_add3_u32 v60, v60, v66, v65
	v_lshlrev_b64 v[57:58], 1, v[57:58]
	s_delay_alu instid0(VALU_DEP_2) | instskip(NEXT) | instid1(VALU_DEP_2)
	v_lshlrev_b64 v[61:62], 1, v[59:60]
	v_add_co_u32 v59, vcc_lo, s10, v57
	s_delay_alu instid0(VALU_DEP_3) | instskip(NEXT) | instid1(VALU_DEP_3)
	v_add_co_ci_u32_e32 v60, vcc_lo, s11, v58, vcc_lo
	v_add_co_u32 v57, vcc_lo, s10, v61
	s_delay_alu instid0(VALU_DEP_4)
	v_add_co_ci_u32_e32 v58, vcc_lo, s11, v62, vcc_lo
	s_clause 0x1
	global_load_u16 v61, v[59:60], off
	global_load_u16 v62, v[57:58], off
	s_waitcnt vmcnt(0)
	v_cmpx_eq_u16_e64 v61, v62
	s_cbranch_execz .LBB1415_342
; %bb.335:
	v_add_co_u32 v57, vcc_lo, v57, 2
	v_add_co_ci_u32_e32 v58, vcc_lo, 0, v58, vcc_lo
	v_add_co_u32 v59, vcc_lo, v59, 2
	v_add_co_ci_u32_e32 v60, vcc_lo, 0, v60, vcc_lo
	s_add_u32 s14, s8, -1
	s_addc_u32 s15, s9, -1
	s_mov_b64 s[20:21], 0
	s_mov_b32 s24, 0
                                        ; implicit-def: $sgpr25
	s_set_inst_prefetch_distance 0x1
	s_branch .LBB1415_338
	.p2align	6
.LBB1415_336:                           ;   in Loop: Header=BB1415_338 Depth=1
	global_load_u16 v61, v[59:60], off
	global_load_u16 v62, v[57:58], off
	v_add_co_u32 v57, vcc_lo, v57, 2
	v_add_co_ci_u32_e32 v58, vcc_lo, 0, v58, vcc_lo
	v_add_co_u32 v59, s0, v59, 2
	s_delay_alu instid0(VALU_DEP_1)
	v_add_co_ci_u32_e64 v60, s0, 0, v60, s0
	s_add_u32 s20, s20, 1
	s_addc_u32 s21, s21, 0
	s_and_not1_b32 s0, s25, exec_lo
	s_waitcnt vmcnt(0)
	v_cmp_ne_u16_e32 vcc_lo, v61, v62
	s_and_b32 s25, vcc_lo, exec_lo
	s_delay_alu instid0(SALU_CYCLE_1)
	s_or_b32 s25, s0, s25
.LBB1415_337:                           ;   in Loop: Header=BB1415_338 Depth=1
	v_dual_mov_b32 v62, s21 :: v_dual_mov_b32 v61, s20
	s_and_b32 s0, exec_lo, s25
	s_delay_alu instid0(SALU_CYCLE_1) | instskip(NEXT) | instid1(SALU_CYCLE_1)
	s_or_b32 s24, s0, s24
	s_and_not1_b32 exec_lo, exec_lo, s24
	s_cbranch_execz .LBB1415_341
.LBB1415_338:                           ; =>This Inner Loop Header: Depth=1
	s_or_b32 s25, s25, exec_lo
	s_cmp_eq_u64 s[14:15], s[20:21]
	s_cbranch_scc0 .LBB1415_336
; %bb.339:                              ;   in Loop: Header=BB1415_338 Depth=1
	s_mov_b64 s[20:21], s[8:9]
                                        ; implicit-def: $vgpr57_vgpr58
                                        ; implicit-def: $vgpr59_vgpr60
	s_branch .LBB1415_337
.LBB1415_340:
	v_mov_b32_e32 v111, 0
	v_mov_b32_e32 v112, 0
	s_branch .LBB1415_343
.LBB1415_341:
	s_set_inst_prefetch_distance 0x2
	s_or_b32 exec_lo, exec_lo, s24
	v_cmp_gt_i64_e32 vcc_lo, s[8:9], v[61:62]
	s_mov_b32 s0, 0
	s_delay_alu instid0(SALU_CYCLE_1)
	v_mov_b32_e32 v112, s0
	v_cndmask_b32_e64 v111, 0, 1, vcc_lo
.LBB1415_342:
	s_or_b32 exec_lo, exec_lo, s23
.LBB1415_343:
	s_delay_alu instid0(SALU_CYCLE_1) | instskip(SKIP_3) | instid1(VALU_DEP_2)
	s_or_b32 exec_lo, exec_lo, s22
	v_dual_mov_b32 v116, v8 :: v_dual_add_nc_u32 v57, 27, v64
	v_mov_b32_e32 v115, v7
	s_mov_b32 s22, exec_lo
	v_cmpx_gt_u32_e64 s3, v57
	s_cbranch_execz .LBB1415_354
; %bb.344:
	v_cmp_ne_u32_e32 vcc_lo, 1, v63
	s_cbranch_vccnz .LBB1415_351
; %bb.345:
	v_mul_lo_u32 v61, v8, s8
	v_mul_lo_u32 v62, v7, s9
	v_mad_u64_u32 v[57:58], null, v7, s8, 0
	v_mul_lo_u32 v65, v6, s8
	v_mul_lo_u32 v66, v5, s9
	v_mad_u64_u32 v[59:60], null, v5, s8, 0
	v_mov_b32_e32 v115, 1
	v_mov_b32_e32 v116, 0
	v_add3_u32 v58, v58, v62, v61
	s_mov_b32 s23, exec_lo
	s_delay_alu instid0(VALU_DEP_4) | instskip(NEXT) | instid1(VALU_DEP_2)
	v_add3_u32 v60, v60, v66, v65
	v_lshlrev_b64 v[57:58], 1, v[57:58]
	s_delay_alu instid0(VALU_DEP_2) | instskip(NEXT) | instid1(VALU_DEP_2)
	v_lshlrev_b64 v[61:62], 1, v[59:60]
	v_add_co_u32 v59, vcc_lo, s10, v57
	s_delay_alu instid0(VALU_DEP_3) | instskip(NEXT) | instid1(VALU_DEP_3)
	v_add_co_ci_u32_e32 v60, vcc_lo, s11, v58, vcc_lo
	v_add_co_u32 v57, vcc_lo, s10, v61
	s_delay_alu instid0(VALU_DEP_4)
	v_add_co_ci_u32_e32 v58, vcc_lo, s11, v62, vcc_lo
	s_clause 0x1
	global_load_u16 v61, v[59:60], off
	global_load_u16 v62, v[57:58], off
	s_waitcnt vmcnt(0)
	v_cmpx_eq_u16_e64 v61, v62
	s_cbranch_execz .LBB1415_353
; %bb.346:
	v_add_co_u32 v57, vcc_lo, v57, 2
	v_add_co_ci_u32_e32 v58, vcc_lo, 0, v58, vcc_lo
	v_add_co_u32 v59, vcc_lo, v59, 2
	v_add_co_ci_u32_e32 v60, vcc_lo, 0, v60, vcc_lo
	s_add_u32 s14, s8, -1
	s_addc_u32 s15, s9, -1
	s_mov_b64 s[20:21], 0
	s_mov_b32 s24, 0
                                        ; implicit-def: $sgpr25
	s_set_inst_prefetch_distance 0x1
	s_branch .LBB1415_349
	.p2align	6
.LBB1415_347:                           ;   in Loop: Header=BB1415_349 Depth=1
	global_load_u16 v61, v[59:60], off
	global_load_u16 v62, v[57:58], off
	v_add_co_u32 v57, vcc_lo, v57, 2
	v_add_co_ci_u32_e32 v58, vcc_lo, 0, v58, vcc_lo
	v_add_co_u32 v59, s0, v59, 2
	s_delay_alu instid0(VALU_DEP_1)
	v_add_co_ci_u32_e64 v60, s0, 0, v60, s0
	s_add_u32 s20, s20, 1
	s_addc_u32 s21, s21, 0
	s_and_not1_b32 s0, s25, exec_lo
	s_waitcnt vmcnt(0)
	v_cmp_ne_u16_e32 vcc_lo, v61, v62
	s_and_b32 s25, vcc_lo, exec_lo
	s_delay_alu instid0(SALU_CYCLE_1)
	s_or_b32 s25, s0, s25
.LBB1415_348:                           ;   in Loop: Header=BB1415_349 Depth=1
	v_dual_mov_b32 v62, s21 :: v_dual_mov_b32 v61, s20
	s_and_b32 s0, exec_lo, s25
	s_delay_alu instid0(SALU_CYCLE_1) | instskip(NEXT) | instid1(SALU_CYCLE_1)
	s_or_b32 s24, s0, s24
	s_and_not1_b32 exec_lo, exec_lo, s24
	s_cbranch_execz .LBB1415_352
.LBB1415_349:                           ; =>This Inner Loop Header: Depth=1
	s_or_b32 s25, s25, exec_lo
	s_cmp_eq_u64 s[14:15], s[20:21]
	s_cbranch_scc0 .LBB1415_347
; %bb.350:                              ;   in Loop: Header=BB1415_349 Depth=1
	s_mov_b64 s[20:21], s[8:9]
                                        ; implicit-def: $vgpr57_vgpr58
                                        ; implicit-def: $vgpr59_vgpr60
	s_branch .LBB1415_348
.LBB1415_351:
	v_mov_b32_e32 v115, 0
	v_mov_b32_e32 v116, 0
	s_branch .LBB1415_354
.LBB1415_352:
	s_set_inst_prefetch_distance 0x2
	s_or_b32 exec_lo, exec_lo, s24
	v_cmp_gt_i64_e32 vcc_lo, s[8:9], v[61:62]
	s_mov_b32 s0, 0
	s_delay_alu instid0(SALU_CYCLE_1)
	v_mov_b32_e32 v116, s0
	v_cndmask_b32_e64 v115, 0, 1, vcc_lo
.LBB1415_353:
	s_or_b32 exec_lo, exec_lo, s23
.LBB1415_354:
	s_delay_alu instid0(SALU_CYCLE_1) | instskip(SKIP_3) | instid1(VALU_DEP_2)
	s_or_b32 exec_lo, exec_lo, s22
	v_dual_mov_b32 v114, v6 :: v_dual_add_nc_u32 v57, 26, v64
	v_mov_b32_e32 v113, v5
	s_mov_b32 s22, exec_lo
	v_cmpx_gt_u32_e64 s3, v57
	s_cbranch_execz .LBB1415_365
; %bb.355:
	v_cmp_ne_u32_e32 vcc_lo, 1, v63
	s_cbranch_vccnz .LBB1415_362
; %bb.356:
	v_mul_lo_u32 v61, v6, s8
	v_mul_lo_u32 v62, v5, s9
	v_mad_u64_u32 v[57:58], null, v5, s8, 0
	v_mul_lo_u32 v65, v12, s8
	v_mul_lo_u32 v66, v11, s9
	v_mad_u64_u32 v[59:60], null, v11, s8, 0
	v_mov_b32_e32 v113, 1
	v_mov_b32_e32 v114, 0
	v_add3_u32 v58, v58, v62, v61
	s_mov_b32 s23, exec_lo
	s_delay_alu instid0(VALU_DEP_4) | instskip(NEXT) | instid1(VALU_DEP_2)
	v_add3_u32 v60, v60, v66, v65
	v_lshlrev_b64 v[57:58], 1, v[57:58]
	s_delay_alu instid0(VALU_DEP_2) | instskip(NEXT) | instid1(VALU_DEP_2)
	v_lshlrev_b64 v[61:62], 1, v[59:60]
	v_add_co_u32 v59, vcc_lo, s10, v57
	s_delay_alu instid0(VALU_DEP_3) | instskip(NEXT) | instid1(VALU_DEP_3)
	v_add_co_ci_u32_e32 v60, vcc_lo, s11, v58, vcc_lo
	v_add_co_u32 v57, vcc_lo, s10, v61
	s_delay_alu instid0(VALU_DEP_4)
	v_add_co_ci_u32_e32 v58, vcc_lo, s11, v62, vcc_lo
	s_clause 0x1
	global_load_u16 v61, v[59:60], off
	global_load_u16 v62, v[57:58], off
	s_waitcnt vmcnt(0)
	v_cmpx_eq_u16_e64 v61, v62
	s_cbranch_execz .LBB1415_364
; %bb.357:
	v_add_co_u32 v57, vcc_lo, v57, 2
	v_add_co_ci_u32_e32 v58, vcc_lo, 0, v58, vcc_lo
	v_add_co_u32 v59, vcc_lo, v59, 2
	v_add_co_ci_u32_e32 v60, vcc_lo, 0, v60, vcc_lo
	s_add_u32 s14, s8, -1
	s_addc_u32 s15, s9, -1
	s_mov_b64 s[20:21], 0
	s_mov_b32 s24, 0
                                        ; implicit-def: $sgpr25
	s_set_inst_prefetch_distance 0x1
	s_branch .LBB1415_360
	.p2align	6
.LBB1415_358:                           ;   in Loop: Header=BB1415_360 Depth=1
	global_load_u16 v61, v[59:60], off
	global_load_u16 v62, v[57:58], off
	v_add_co_u32 v57, vcc_lo, v57, 2
	v_add_co_ci_u32_e32 v58, vcc_lo, 0, v58, vcc_lo
	v_add_co_u32 v59, s0, v59, 2
	s_delay_alu instid0(VALU_DEP_1)
	v_add_co_ci_u32_e64 v60, s0, 0, v60, s0
	s_add_u32 s20, s20, 1
	s_addc_u32 s21, s21, 0
	s_and_not1_b32 s0, s25, exec_lo
	s_waitcnt vmcnt(0)
	v_cmp_ne_u16_e32 vcc_lo, v61, v62
	s_and_b32 s25, vcc_lo, exec_lo
	s_delay_alu instid0(SALU_CYCLE_1)
	s_or_b32 s25, s0, s25
.LBB1415_359:                           ;   in Loop: Header=BB1415_360 Depth=1
	v_dual_mov_b32 v62, s21 :: v_dual_mov_b32 v61, s20
	s_and_b32 s0, exec_lo, s25
	s_delay_alu instid0(SALU_CYCLE_1) | instskip(NEXT) | instid1(SALU_CYCLE_1)
	s_or_b32 s24, s0, s24
	s_and_not1_b32 exec_lo, exec_lo, s24
	s_cbranch_execz .LBB1415_363
.LBB1415_360:                           ; =>This Inner Loop Header: Depth=1
	s_or_b32 s25, s25, exec_lo
	s_cmp_eq_u64 s[14:15], s[20:21]
	s_cbranch_scc0 .LBB1415_358
; %bb.361:                              ;   in Loop: Header=BB1415_360 Depth=1
	s_mov_b64 s[20:21], s[8:9]
                                        ; implicit-def: $vgpr57_vgpr58
                                        ; implicit-def: $vgpr59_vgpr60
	s_branch .LBB1415_359
.LBB1415_362:
	v_mov_b32_e32 v113, 0
	v_mov_b32_e32 v114, 0
	s_branch .LBB1415_365
.LBB1415_363:
	s_set_inst_prefetch_distance 0x2
	s_or_b32 exec_lo, exec_lo, s24
	v_cmp_gt_i64_e32 vcc_lo, s[8:9], v[61:62]
	s_mov_b32 s0, 0
	s_delay_alu instid0(SALU_CYCLE_1)
	v_mov_b32_e32 v114, s0
	v_cndmask_b32_e64 v113, 0, 1, vcc_lo
.LBB1415_364:
	s_or_b32 exec_lo, exec_lo, s23
.LBB1415_365:
	s_delay_alu instid0(SALU_CYCLE_1) | instskip(SKIP_3) | instid1(VALU_DEP_2)
	s_or_b32 exec_lo, exec_lo, s22
	v_dual_mov_b32 v118, v12 :: v_dual_add_nc_u32 v57, 25, v64
	v_mov_b32_e32 v117, v11
	s_mov_b32 s22, exec_lo
	v_cmpx_gt_u32_e64 s3, v57
	s_cbranch_execz .LBB1415_376
; %bb.366:
	v_cmp_ne_u32_e32 vcc_lo, 1, v63
	s_cbranch_vccnz .LBB1415_373
; %bb.367:
	v_mul_lo_u32 v61, v12, s8
	v_mul_lo_u32 v62, v11, s9
	v_mad_u64_u32 v[57:58], null, v11, s8, 0
	v_mul_lo_u32 v65, v10, s8
	v_mul_lo_u32 v66, v9, s9
	v_mad_u64_u32 v[59:60], null, v9, s8, 0
	v_mov_b32_e32 v117, 1
	v_mov_b32_e32 v118, 0
	v_add3_u32 v58, v58, v62, v61
	s_mov_b32 s23, exec_lo
	s_delay_alu instid0(VALU_DEP_4) | instskip(NEXT) | instid1(VALU_DEP_2)
	v_add3_u32 v60, v60, v66, v65
	v_lshlrev_b64 v[57:58], 1, v[57:58]
	s_delay_alu instid0(VALU_DEP_2) | instskip(NEXT) | instid1(VALU_DEP_2)
	v_lshlrev_b64 v[61:62], 1, v[59:60]
	v_add_co_u32 v59, vcc_lo, s10, v57
	s_delay_alu instid0(VALU_DEP_3) | instskip(NEXT) | instid1(VALU_DEP_3)
	v_add_co_ci_u32_e32 v60, vcc_lo, s11, v58, vcc_lo
	v_add_co_u32 v57, vcc_lo, s10, v61
	s_delay_alu instid0(VALU_DEP_4)
	v_add_co_ci_u32_e32 v58, vcc_lo, s11, v62, vcc_lo
	s_clause 0x1
	global_load_u16 v61, v[59:60], off
	global_load_u16 v62, v[57:58], off
	s_waitcnt vmcnt(0)
	v_cmpx_eq_u16_e64 v61, v62
	s_cbranch_execz .LBB1415_375
; %bb.368:
	v_add_co_u32 v57, vcc_lo, v57, 2
	v_add_co_ci_u32_e32 v58, vcc_lo, 0, v58, vcc_lo
	v_add_co_u32 v59, vcc_lo, v59, 2
	v_add_co_ci_u32_e32 v60, vcc_lo, 0, v60, vcc_lo
	s_add_u32 s14, s8, -1
	s_addc_u32 s15, s9, -1
	s_mov_b64 s[20:21], 0
	s_mov_b32 s24, 0
                                        ; implicit-def: $sgpr25
	s_set_inst_prefetch_distance 0x1
	s_branch .LBB1415_371
	.p2align	6
.LBB1415_369:                           ;   in Loop: Header=BB1415_371 Depth=1
	global_load_u16 v61, v[59:60], off
	global_load_u16 v62, v[57:58], off
	v_add_co_u32 v57, vcc_lo, v57, 2
	v_add_co_ci_u32_e32 v58, vcc_lo, 0, v58, vcc_lo
	v_add_co_u32 v59, s0, v59, 2
	s_delay_alu instid0(VALU_DEP_1)
	v_add_co_ci_u32_e64 v60, s0, 0, v60, s0
	s_add_u32 s20, s20, 1
	s_addc_u32 s21, s21, 0
	s_and_not1_b32 s0, s25, exec_lo
	s_waitcnt vmcnt(0)
	v_cmp_ne_u16_e32 vcc_lo, v61, v62
	s_and_b32 s25, vcc_lo, exec_lo
	s_delay_alu instid0(SALU_CYCLE_1)
	s_or_b32 s25, s0, s25
.LBB1415_370:                           ;   in Loop: Header=BB1415_371 Depth=1
	v_dual_mov_b32 v62, s21 :: v_dual_mov_b32 v61, s20
	s_and_b32 s0, exec_lo, s25
	s_delay_alu instid0(SALU_CYCLE_1) | instskip(NEXT) | instid1(SALU_CYCLE_1)
	s_or_b32 s24, s0, s24
	s_and_not1_b32 exec_lo, exec_lo, s24
	s_cbranch_execz .LBB1415_374
.LBB1415_371:                           ; =>This Inner Loop Header: Depth=1
	s_or_b32 s25, s25, exec_lo
	s_cmp_eq_u64 s[14:15], s[20:21]
	s_cbranch_scc0 .LBB1415_369
; %bb.372:                              ;   in Loop: Header=BB1415_371 Depth=1
	s_mov_b64 s[20:21], s[8:9]
                                        ; implicit-def: $vgpr57_vgpr58
                                        ; implicit-def: $vgpr59_vgpr60
	s_branch .LBB1415_370
.LBB1415_373:
	v_mov_b32_e32 v117, 0
	v_mov_b32_e32 v118, 0
	s_branch .LBB1415_376
.LBB1415_374:
	s_set_inst_prefetch_distance 0x2
	s_or_b32 exec_lo, exec_lo, s24
	v_cmp_gt_i64_e32 vcc_lo, s[8:9], v[61:62]
	s_mov_b32 s0, 0
	s_delay_alu instid0(SALU_CYCLE_1)
	v_mov_b32_e32 v118, s0
	v_cndmask_b32_e64 v117, 0, 1, vcc_lo
.LBB1415_375:
	s_or_b32 exec_lo, exec_lo, s23
.LBB1415_376:
	s_delay_alu instid0(SALU_CYCLE_1) | instskip(SKIP_3) | instid1(VALU_DEP_2)
	s_or_b32 exec_lo, exec_lo, s22
	v_dual_mov_b32 v120, v10 :: v_dual_add_nc_u32 v57, 24, v64
	v_mov_b32_e32 v119, v9
	s_mov_b32 s22, exec_lo
	v_cmpx_gt_u32_e64 s3, v57
	s_cbranch_execz .LBB1415_387
; %bb.377:
	v_cmp_ne_u32_e32 vcc_lo, 1, v63
	s_cbranch_vccnz .LBB1415_384
; %bb.378:
	v_mul_lo_u32 v61, v10, s8
	v_mul_lo_u32 v62, v9, s9
	v_mad_u64_u32 v[57:58], null, v9, s8, 0
	v_mul_lo_u32 v65, v56, s8
	v_mul_lo_u32 v66, v55, s9
	v_mad_u64_u32 v[59:60], null, v55, s8, 0
	v_mov_b32_e32 v119, 1
	v_mov_b32_e32 v120, 0
	v_add3_u32 v58, v58, v62, v61
	s_mov_b32 s23, exec_lo
	s_delay_alu instid0(VALU_DEP_4) | instskip(NEXT) | instid1(VALU_DEP_2)
	v_add3_u32 v60, v60, v66, v65
	v_lshlrev_b64 v[57:58], 1, v[57:58]
	s_delay_alu instid0(VALU_DEP_2) | instskip(NEXT) | instid1(VALU_DEP_2)
	v_lshlrev_b64 v[61:62], 1, v[59:60]
	v_add_co_u32 v59, vcc_lo, s10, v57
	s_delay_alu instid0(VALU_DEP_3) | instskip(NEXT) | instid1(VALU_DEP_3)
	v_add_co_ci_u32_e32 v60, vcc_lo, s11, v58, vcc_lo
	v_add_co_u32 v57, vcc_lo, s10, v61
	s_delay_alu instid0(VALU_DEP_4)
	v_add_co_ci_u32_e32 v58, vcc_lo, s11, v62, vcc_lo
	s_clause 0x1
	global_load_u16 v61, v[59:60], off
	global_load_u16 v62, v[57:58], off
	s_waitcnt vmcnt(0)
	v_cmpx_eq_u16_e64 v61, v62
	s_cbranch_execz .LBB1415_386
; %bb.379:
	v_add_co_u32 v57, vcc_lo, v57, 2
	v_add_co_ci_u32_e32 v58, vcc_lo, 0, v58, vcc_lo
	v_add_co_u32 v59, vcc_lo, v59, 2
	v_add_co_ci_u32_e32 v60, vcc_lo, 0, v60, vcc_lo
	s_add_u32 s14, s8, -1
	s_addc_u32 s15, s9, -1
	s_mov_b64 s[20:21], 0
	s_mov_b32 s24, 0
                                        ; implicit-def: $sgpr25
	s_set_inst_prefetch_distance 0x1
	s_branch .LBB1415_382
	.p2align	6
.LBB1415_380:                           ;   in Loop: Header=BB1415_382 Depth=1
	global_load_u16 v61, v[59:60], off
	global_load_u16 v62, v[57:58], off
	v_add_co_u32 v57, vcc_lo, v57, 2
	v_add_co_ci_u32_e32 v58, vcc_lo, 0, v58, vcc_lo
	v_add_co_u32 v59, s0, v59, 2
	s_delay_alu instid0(VALU_DEP_1)
	v_add_co_ci_u32_e64 v60, s0, 0, v60, s0
	s_add_u32 s20, s20, 1
	s_addc_u32 s21, s21, 0
	s_and_not1_b32 s0, s25, exec_lo
	s_waitcnt vmcnt(0)
	v_cmp_ne_u16_e32 vcc_lo, v61, v62
	s_and_b32 s25, vcc_lo, exec_lo
	s_delay_alu instid0(SALU_CYCLE_1)
	s_or_b32 s25, s0, s25
.LBB1415_381:                           ;   in Loop: Header=BB1415_382 Depth=1
	v_dual_mov_b32 v62, s21 :: v_dual_mov_b32 v61, s20
	s_and_b32 s0, exec_lo, s25
	s_delay_alu instid0(SALU_CYCLE_1) | instskip(NEXT) | instid1(SALU_CYCLE_1)
	s_or_b32 s24, s0, s24
	s_and_not1_b32 exec_lo, exec_lo, s24
	s_cbranch_execz .LBB1415_385
.LBB1415_382:                           ; =>This Inner Loop Header: Depth=1
	s_or_b32 s25, s25, exec_lo
	s_cmp_eq_u64 s[14:15], s[20:21]
	s_cbranch_scc0 .LBB1415_380
; %bb.383:                              ;   in Loop: Header=BB1415_382 Depth=1
	s_mov_b64 s[20:21], s[8:9]
                                        ; implicit-def: $vgpr57_vgpr58
                                        ; implicit-def: $vgpr59_vgpr60
	s_branch .LBB1415_381
.LBB1415_384:
	v_mov_b32_e32 v119, 0
	v_mov_b32_e32 v120, 0
	s_branch .LBB1415_387
.LBB1415_385:
	s_set_inst_prefetch_distance 0x2
	s_or_b32 exec_lo, exec_lo, s24
	v_cmp_gt_i64_e32 vcc_lo, s[8:9], v[61:62]
	s_mov_b32 s0, 0
	s_delay_alu instid0(SALU_CYCLE_1)
	v_mov_b32_e32 v120, s0
	v_cndmask_b32_e64 v119, 0, 1, vcc_lo
.LBB1415_386:
	s_or_b32 exec_lo, exec_lo, s23
.LBB1415_387:
	s_delay_alu instid0(SALU_CYCLE_1) | instskip(SKIP_3) | instid1(VALU_DEP_2)
	s_or_b32 exec_lo, exec_lo, s22
	v_dual_mov_b32 v122, v56 :: v_dual_add_nc_u32 v57, 23, v64
	v_mov_b32_e32 v121, v55
	s_mov_b32 s22, exec_lo
	v_cmpx_gt_u32_e64 s3, v57
	s_cbranch_execz .LBB1415_398
; %bb.388:
	v_cmp_ne_u32_e32 vcc_lo, 1, v63
	s_cbranch_vccnz .LBB1415_395
; %bb.389:
	v_mul_lo_u32 v61, v56, s8
	v_mul_lo_u32 v62, v55, s9
	v_mad_u64_u32 v[57:58], null, v55, s8, 0
	v_mul_lo_u32 v65, v54, s8
	v_mul_lo_u32 v66, v53, s9
	v_mad_u64_u32 v[59:60], null, v53, s8, 0
	v_mov_b32_e32 v121, 1
	v_mov_b32_e32 v122, 0
	v_add3_u32 v58, v58, v62, v61
	s_mov_b32 s23, exec_lo
	s_delay_alu instid0(VALU_DEP_4) | instskip(NEXT) | instid1(VALU_DEP_2)
	v_add3_u32 v60, v60, v66, v65
	v_lshlrev_b64 v[57:58], 1, v[57:58]
	s_delay_alu instid0(VALU_DEP_2) | instskip(NEXT) | instid1(VALU_DEP_2)
	v_lshlrev_b64 v[61:62], 1, v[59:60]
	v_add_co_u32 v59, vcc_lo, s10, v57
	s_delay_alu instid0(VALU_DEP_3) | instskip(NEXT) | instid1(VALU_DEP_3)
	v_add_co_ci_u32_e32 v60, vcc_lo, s11, v58, vcc_lo
	v_add_co_u32 v57, vcc_lo, s10, v61
	s_delay_alu instid0(VALU_DEP_4)
	v_add_co_ci_u32_e32 v58, vcc_lo, s11, v62, vcc_lo
	s_clause 0x1
	global_load_u16 v61, v[59:60], off
	global_load_u16 v62, v[57:58], off
	s_waitcnt vmcnt(0)
	v_cmpx_eq_u16_e64 v61, v62
	s_cbranch_execz .LBB1415_397
; %bb.390:
	v_add_co_u32 v57, vcc_lo, v57, 2
	v_add_co_ci_u32_e32 v58, vcc_lo, 0, v58, vcc_lo
	v_add_co_u32 v59, vcc_lo, v59, 2
	v_add_co_ci_u32_e32 v60, vcc_lo, 0, v60, vcc_lo
	s_add_u32 s14, s8, -1
	s_addc_u32 s15, s9, -1
	s_mov_b64 s[20:21], 0
	s_mov_b32 s24, 0
                                        ; implicit-def: $sgpr25
	s_set_inst_prefetch_distance 0x1
	s_branch .LBB1415_393
	.p2align	6
.LBB1415_391:                           ;   in Loop: Header=BB1415_393 Depth=1
	global_load_u16 v61, v[59:60], off
	global_load_u16 v62, v[57:58], off
	v_add_co_u32 v57, vcc_lo, v57, 2
	v_add_co_ci_u32_e32 v58, vcc_lo, 0, v58, vcc_lo
	v_add_co_u32 v59, s0, v59, 2
	s_delay_alu instid0(VALU_DEP_1)
	v_add_co_ci_u32_e64 v60, s0, 0, v60, s0
	s_add_u32 s20, s20, 1
	s_addc_u32 s21, s21, 0
	s_and_not1_b32 s0, s25, exec_lo
	s_waitcnt vmcnt(0)
	v_cmp_ne_u16_e32 vcc_lo, v61, v62
	s_and_b32 s25, vcc_lo, exec_lo
	s_delay_alu instid0(SALU_CYCLE_1)
	s_or_b32 s25, s0, s25
.LBB1415_392:                           ;   in Loop: Header=BB1415_393 Depth=1
	v_dual_mov_b32 v62, s21 :: v_dual_mov_b32 v61, s20
	s_and_b32 s0, exec_lo, s25
	s_delay_alu instid0(SALU_CYCLE_1) | instskip(NEXT) | instid1(SALU_CYCLE_1)
	s_or_b32 s24, s0, s24
	s_and_not1_b32 exec_lo, exec_lo, s24
	s_cbranch_execz .LBB1415_396
.LBB1415_393:                           ; =>This Inner Loop Header: Depth=1
	s_or_b32 s25, s25, exec_lo
	s_cmp_eq_u64 s[14:15], s[20:21]
	s_cbranch_scc0 .LBB1415_391
; %bb.394:                              ;   in Loop: Header=BB1415_393 Depth=1
	s_mov_b64 s[20:21], s[8:9]
                                        ; implicit-def: $vgpr57_vgpr58
                                        ; implicit-def: $vgpr59_vgpr60
	s_branch .LBB1415_392
.LBB1415_395:
	v_mov_b32_e32 v121, 0
	v_mov_b32_e32 v122, 0
	s_branch .LBB1415_398
.LBB1415_396:
	s_set_inst_prefetch_distance 0x2
	s_or_b32 exec_lo, exec_lo, s24
	v_cmp_gt_i64_e32 vcc_lo, s[8:9], v[61:62]
	s_mov_b32 s0, 0
	s_delay_alu instid0(SALU_CYCLE_1)
	v_mov_b32_e32 v122, s0
	v_cndmask_b32_e64 v121, 0, 1, vcc_lo
.LBB1415_397:
	s_or_b32 exec_lo, exec_lo, s23
.LBB1415_398:
	s_delay_alu instid0(SALU_CYCLE_1) | instskip(SKIP_3) | instid1(VALU_DEP_2)
	s_or_b32 exec_lo, exec_lo, s22
	v_dual_mov_b32 v124, v54 :: v_dual_add_nc_u32 v57, 22, v64
	v_mov_b32_e32 v123, v53
	s_mov_b32 s22, exec_lo
	v_cmpx_gt_u32_e64 s3, v57
	s_cbranch_execz .LBB1415_409
; %bb.399:
	v_cmp_ne_u32_e32 vcc_lo, 1, v63
	s_cbranch_vccnz .LBB1415_406
; %bb.400:
	v_mul_lo_u32 v61, v54, s8
	v_mul_lo_u32 v62, v53, s9
	v_mad_u64_u32 v[57:58], null, v53, s8, 0
	v_mul_lo_u32 v65, v52, s8
	v_mul_lo_u32 v66, v51, s9
	v_mad_u64_u32 v[59:60], null, v51, s8, 0
	v_mov_b32_e32 v123, 1
	v_mov_b32_e32 v124, 0
	v_add3_u32 v58, v58, v62, v61
	s_mov_b32 s23, exec_lo
	s_delay_alu instid0(VALU_DEP_4) | instskip(NEXT) | instid1(VALU_DEP_2)
	v_add3_u32 v60, v60, v66, v65
	v_lshlrev_b64 v[57:58], 1, v[57:58]
	s_delay_alu instid0(VALU_DEP_2) | instskip(NEXT) | instid1(VALU_DEP_2)
	v_lshlrev_b64 v[61:62], 1, v[59:60]
	v_add_co_u32 v59, vcc_lo, s10, v57
	s_delay_alu instid0(VALU_DEP_3) | instskip(NEXT) | instid1(VALU_DEP_3)
	v_add_co_ci_u32_e32 v60, vcc_lo, s11, v58, vcc_lo
	v_add_co_u32 v57, vcc_lo, s10, v61
	s_delay_alu instid0(VALU_DEP_4)
	v_add_co_ci_u32_e32 v58, vcc_lo, s11, v62, vcc_lo
	s_clause 0x1
	global_load_u16 v61, v[59:60], off
	global_load_u16 v62, v[57:58], off
	s_waitcnt vmcnt(0)
	v_cmpx_eq_u16_e64 v61, v62
	s_cbranch_execz .LBB1415_408
; %bb.401:
	v_add_co_u32 v57, vcc_lo, v57, 2
	v_add_co_ci_u32_e32 v58, vcc_lo, 0, v58, vcc_lo
	v_add_co_u32 v59, vcc_lo, v59, 2
	v_add_co_ci_u32_e32 v60, vcc_lo, 0, v60, vcc_lo
	s_add_u32 s14, s8, -1
	s_addc_u32 s15, s9, -1
	s_mov_b64 s[20:21], 0
	s_mov_b32 s24, 0
                                        ; implicit-def: $sgpr25
	s_set_inst_prefetch_distance 0x1
	s_branch .LBB1415_404
	.p2align	6
.LBB1415_402:                           ;   in Loop: Header=BB1415_404 Depth=1
	global_load_u16 v61, v[59:60], off
	global_load_u16 v62, v[57:58], off
	v_add_co_u32 v57, vcc_lo, v57, 2
	v_add_co_ci_u32_e32 v58, vcc_lo, 0, v58, vcc_lo
	v_add_co_u32 v59, s0, v59, 2
	s_delay_alu instid0(VALU_DEP_1)
	v_add_co_ci_u32_e64 v60, s0, 0, v60, s0
	s_add_u32 s20, s20, 1
	s_addc_u32 s21, s21, 0
	s_and_not1_b32 s0, s25, exec_lo
	s_waitcnt vmcnt(0)
	v_cmp_ne_u16_e32 vcc_lo, v61, v62
	s_and_b32 s25, vcc_lo, exec_lo
	s_delay_alu instid0(SALU_CYCLE_1)
	s_or_b32 s25, s0, s25
.LBB1415_403:                           ;   in Loop: Header=BB1415_404 Depth=1
	v_dual_mov_b32 v62, s21 :: v_dual_mov_b32 v61, s20
	s_and_b32 s0, exec_lo, s25
	s_delay_alu instid0(SALU_CYCLE_1) | instskip(NEXT) | instid1(SALU_CYCLE_1)
	s_or_b32 s24, s0, s24
	s_and_not1_b32 exec_lo, exec_lo, s24
	s_cbranch_execz .LBB1415_407
.LBB1415_404:                           ; =>This Inner Loop Header: Depth=1
	s_or_b32 s25, s25, exec_lo
	s_cmp_eq_u64 s[14:15], s[20:21]
	s_cbranch_scc0 .LBB1415_402
; %bb.405:                              ;   in Loop: Header=BB1415_404 Depth=1
	s_mov_b64 s[20:21], s[8:9]
                                        ; implicit-def: $vgpr57_vgpr58
                                        ; implicit-def: $vgpr59_vgpr60
	s_branch .LBB1415_403
.LBB1415_406:
	v_mov_b32_e32 v123, 0
	v_mov_b32_e32 v124, 0
	s_branch .LBB1415_409
.LBB1415_407:
	s_set_inst_prefetch_distance 0x2
	s_or_b32 exec_lo, exec_lo, s24
	v_cmp_gt_i64_e32 vcc_lo, s[8:9], v[61:62]
	s_mov_b32 s0, 0
	s_delay_alu instid0(SALU_CYCLE_1)
	v_mov_b32_e32 v124, s0
	v_cndmask_b32_e64 v123, 0, 1, vcc_lo
.LBB1415_408:
	s_or_b32 exec_lo, exec_lo, s23
.LBB1415_409:
	s_delay_alu instid0(SALU_CYCLE_1) | instskip(SKIP_3) | instid1(VALU_DEP_2)
	s_or_b32 exec_lo, exec_lo, s22
	v_dual_mov_b32 v126, v52 :: v_dual_add_nc_u32 v57, 21, v64
	v_mov_b32_e32 v125, v51
	s_mov_b32 s22, exec_lo
	v_cmpx_gt_u32_e64 s3, v57
	s_cbranch_execz .LBB1415_420
; %bb.410:
	v_cmp_ne_u32_e32 vcc_lo, 1, v63
	s_cbranch_vccnz .LBB1415_417
; %bb.411:
	v_mul_lo_u32 v61, v52, s8
	v_mul_lo_u32 v62, v51, s9
	v_mad_u64_u32 v[57:58], null, v51, s8, 0
	v_mul_lo_u32 v65, v50, s8
	v_mul_lo_u32 v66, v49, s9
	v_mad_u64_u32 v[59:60], null, v49, s8, 0
	v_mov_b32_e32 v125, 1
	v_mov_b32_e32 v126, 0
	v_add3_u32 v58, v58, v62, v61
	s_mov_b32 s23, exec_lo
	s_delay_alu instid0(VALU_DEP_4) | instskip(NEXT) | instid1(VALU_DEP_2)
	v_add3_u32 v60, v60, v66, v65
	v_lshlrev_b64 v[57:58], 1, v[57:58]
	s_delay_alu instid0(VALU_DEP_2) | instskip(NEXT) | instid1(VALU_DEP_2)
	v_lshlrev_b64 v[61:62], 1, v[59:60]
	v_add_co_u32 v59, vcc_lo, s10, v57
	s_delay_alu instid0(VALU_DEP_3) | instskip(NEXT) | instid1(VALU_DEP_3)
	v_add_co_ci_u32_e32 v60, vcc_lo, s11, v58, vcc_lo
	v_add_co_u32 v57, vcc_lo, s10, v61
	s_delay_alu instid0(VALU_DEP_4)
	v_add_co_ci_u32_e32 v58, vcc_lo, s11, v62, vcc_lo
	s_clause 0x1
	global_load_u16 v61, v[59:60], off
	global_load_u16 v62, v[57:58], off
	s_waitcnt vmcnt(0)
	v_cmpx_eq_u16_e64 v61, v62
	s_cbranch_execz .LBB1415_419
; %bb.412:
	v_add_co_u32 v57, vcc_lo, v57, 2
	v_add_co_ci_u32_e32 v58, vcc_lo, 0, v58, vcc_lo
	v_add_co_u32 v59, vcc_lo, v59, 2
	v_add_co_ci_u32_e32 v60, vcc_lo, 0, v60, vcc_lo
	s_add_u32 s14, s8, -1
	s_addc_u32 s15, s9, -1
	s_mov_b64 s[20:21], 0
	s_mov_b32 s24, 0
                                        ; implicit-def: $sgpr25
	s_set_inst_prefetch_distance 0x1
	s_branch .LBB1415_415
	.p2align	6
.LBB1415_413:                           ;   in Loop: Header=BB1415_415 Depth=1
	global_load_u16 v61, v[59:60], off
	global_load_u16 v62, v[57:58], off
	v_add_co_u32 v57, vcc_lo, v57, 2
	v_add_co_ci_u32_e32 v58, vcc_lo, 0, v58, vcc_lo
	v_add_co_u32 v59, s0, v59, 2
	s_delay_alu instid0(VALU_DEP_1)
	v_add_co_ci_u32_e64 v60, s0, 0, v60, s0
	s_add_u32 s20, s20, 1
	s_addc_u32 s21, s21, 0
	s_and_not1_b32 s0, s25, exec_lo
	s_waitcnt vmcnt(0)
	v_cmp_ne_u16_e32 vcc_lo, v61, v62
	s_and_b32 s25, vcc_lo, exec_lo
	s_delay_alu instid0(SALU_CYCLE_1)
	s_or_b32 s25, s0, s25
.LBB1415_414:                           ;   in Loop: Header=BB1415_415 Depth=1
	v_dual_mov_b32 v62, s21 :: v_dual_mov_b32 v61, s20
	s_and_b32 s0, exec_lo, s25
	s_delay_alu instid0(SALU_CYCLE_1) | instskip(NEXT) | instid1(SALU_CYCLE_1)
	s_or_b32 s24, s0, s24
	s_and_not1_b32 exec_lo, exec_lo, s24
	s_cbranch_execz .LBB1415_418
.LBB1415_415:                           ; =>This Inner Loop Header: Depth=1
	s_or_b32 s25, s25, exec_lo
	s_cmp_eq_u64 s[14:15], s[20:21]
	s_cbranch_scc0 .LBB1415_413
; %bb.416:                              ;   in Loop: Header=BB1415_415 Depth=1
	s_mov_b64 s[20:21], s[8:9]
                                        ; implicit-def: $vgpr57_vgpr58
                                        ; implicit-def: $vgpr59_vgpr60
	s_branch .LBB1415_414
.LBB1415_417:
	v_mov_b32_e32 v125, 0
	v_mov_b32_e32 v126, 0
	s_branch .LBB1415_420
.LBB1415_418:
	s_set_inst_prefetch_distance 0x2
	s_or_b32 exec_lo, exec_lo, s24
	v_cmp_gt_i64_e32 vcc_lo, s[8:9], v[61:62]
	s_mov_b32 s0, 0
	s_delay_alu instid0(SALU_CYCLE_1)
	v_mov_b32_e32 v126, s0
	v_cndmask_b32_e64 v125, 0, 1, vcc_lo
.LBB1415_419:
	s_or_b32 exec_lo, exec_lo, s23
.LBB1415_420:
	s_delay_alu instid0(SALU_CYCLE_1) | instskip(SKIP_3) | instid1(VALU_DEP_2)
	s_or_b32 exec_lo, exec_lo, s22
	v_dual_mov_b32 v128, v50 :: v_dual_add_nc_u32 v57, 20, v64
	v_mov_b32_e32 v127, v49
	s_mov_b32 s22, exec_lo
	v_cmpx_gt_u32_e64 s3, v57
	s_cbranch_execz .LBB1415_431
; %bb.421:
	v_cmp_ne_u32_e32 vcc_lo, 1, v63
	s_cbranch_vccnz .LBB1415_428
; %bb.422:
	v_mul_lo_u32 v61, v50, s8
	v_mul_lo_u32 v62, v49, s9
	v_mad_u64_u32 v[57:58], null, v49, s8, 0
	v_mul_lo_u32 v65, v48, s8
	v_mul_lo_u32 v66, v47, s9
	v_mad_u64_u32 v[59:60], null, v47, s8, 0
	v_mov_b32_e32 v127, 1
	v_mov_b32_e32 v128, 0
	v_add3_u32 v58, v58, v62, v61
	s_mov_b32 s23, exec_lo
	s_delay_alu instid0(VALU_DEP_4) | instskip(NEXT) | instid1(VALU_DEP_2)
	v_add3_u32 v60, v60, v66, v65
	v_lshlrev_b64 v[57:58], 1, v[57:58]
	s_delay_alu instid0(VALU_DEP_2) | instskip(NEXT) | instid1(VALU_DEP_2)
	v_lshlrev_b64 v[61:62], 1, v[59:60]
	v_add_co_u32 v59, vcc_lo, s10, v57
	s_delay_alu instid0(VALU_DEP_3) | instskip(NEXT) | instid1(VALU_DEP_3)
	v_add_co_ci_u32_e32 v60, vcc_lo, s11, v58, vcc_lo
	v_add_co_u32 v57, vcc_lo, s10, v61
	s_delay_alu instid0(VALU_DEP_4)
	v_add_co_ci_u32_e32 v58, vcc_lo, s11, v62, vcc_lo
	s_clause 0x1
	global_load_u16 v61, v[59:60], off
	global_load_u16 v62, v[57:58], off
	s_waitcnt vmcnt(0)
	v_cmpx_eq_u16_e64 v61, v62
	s_cbranch_execz .LBB1415_430
; %bb.423:
	v_add_co_u32 v57, vcc_lo, v57, 2
	v_add_co_ci_u32_e32 v58, vcc_lo, 0, v58, vcc_lo
	v_add_co_u32 v59, vcc_lo, v59, 2
	v_add_co_ci_u32_e32 v60, vcc_lo, 0, v60, vcc_lo
	s_add_u32 s14, s8, -1
	s_addc_u32 s15, s9, -1
	s_mov_b64 s[20:21], 0
	s_mov_b32 s24, 0
                                        ; implicit-def: $sgpr25
	s_set_inst_prefetch_distance 0x1
	s_branch .LBB1415_426
	.p2align	6
.LBB1415_424:                           ;   in Loop: Header=BB1415_426 Depth=1
	global_load_u16 v61, v[59:60], off
	global_load_u16 v62, v[57:58], off
	v_add_co_u32 v57, vcc_lo, v57, 2
	v_add_co_ci_u32_e32 v58, vcc_lo, 0, v58, vcc_lo
	v_add_co_u32 v59, s0, v59, 2
	s_delay_alu instid0(VALU_DEP_1)
	v_add_co_ci_u32_e64 v60, s0, 0, v60, s0
	s_add_u32 s20, s20, 1
	s_addc_u32 s21, s21, 0
	s_and_not1_b32 s0, s25, exec_lo
	s_waitcnt vmcnt(0)
	v_cmp_ne_u16_e32 vcc_lo, v61, v62
	s_and_b32 s25, vcc_lo, exec_lo
	s_delay_alu instid0(SALU_CYCLE_1)
	s_or_b32 s25, s0, s25
.LBB1415_425:                           ;   in Loop: Header=BB1415_426 Depth=1
	v_dual_mov_b32 v62, s21 :: v_dual_mov_b32 v61, s20
	s_and_b32 s0, exec_lo, s25
	s_delay_alu instid0(SALU_CYCLE_1) | instskip(NEXT) | instid1(SALU_CYCLE_1)
	s_or_b32 s24, s0, s24
	s_and_not1_b32 exec_lo, exec_lo, s24
	s_cbranch_execz .LBB1415_429
.LBB1415_426:                           ; =>This Inner Loop Header: Depth=1
	s_or_b32 s25, s25, exec_lo
	s_cmp_eq_u64 s[14:15], s[20:21]
	s_cbranch_scc0 .LBB1415_424
; %bb.427:                              ;   in Loop: Header=BB1415_426 Depth=1
	s_mov_b64 s[20:21], s[8:9]
                                        ; implicit-def: $vgpr57_vgpr58
                                        ; implicit-def: $vgpr59_vgpr60
	s_branch .LBB1415_425
.LBB1415_428:
	v_mov_b32_e32 v127, 0
	v_mov_b32_e32 v128, 0
	s_branch .LBB1415_431
.LBB1415_429:
	s_set_inst_prefetch_distance 0x2
	s_or_b32 exec_lo, exec_lo, s24
	v_cmp_gt_i64_e32 vcc_lo, s[8:9], v[61:62]
	s_mov_b32 s0, 0
	s_delay_alu instid0(SALU_CYCLE_1)
	v_mov_b32_e32 v128, s0
	v_cndmask_b32_e64 v127, 0, 1, vcc_lo
.LBB1415_430:
	s_or_b32 exec_lo, exec_lo, s23
.LBB1415_431:
	s_delay_alu instid0(SALU_CYCLE_1) | instskip(SKIP_3) | instid1(VALU_DEP_2)
	s_or_b32 exec_lo, exec_lo, s22
	v_dual_mov_b32 v130, v48 :: v_dual_add_nc_u32 v57, 19, v64
	v_mov_b32_e32 v129, v47
	s_mov_b32 s22, exec_lo
	v_cmpx_gt_u32_e64 s3, v57
	s_cbranch_execz .LBB1415_442
; %bb.432:
	v_cmp_ne_u32_e32 vcc_lo, 1, v63
	s_cbranch_vccnz .LBB1415_439
; %bb.433:
	v_mul_lo_u32 v61, v48, s8
	v_mul_lo_u32 v62, v47, s9
	v_mad_u64_u32 v[57:58], null, v47, s8, 0
	v_mul_lo_u32 v65, v46, s8
	v_mul_lo_u32 v66, v45, s9
	v_mad_u64_u32 v[59:60], null, v45, s8, 0
	v_mov_b32_e32 v129, 1
	v_mov_b32_e32 v130, 0
	v_add3_u32 v58, v58, v62, v61
	s_mov_b32 s23, exec_lo
	s_delay_alu instid0(VALU_DEP_4) | instskip(NEXT) | instid1(VALU_DEP_2)
	v_add3_u32 v60, v60, v66, v65
	v_lshlrev_b64 v[57:58], 1, v[57:58]
	s_delay_alu instid0(VALU_DEP_2) | instskip(NEXT) | instid1(VALU_DEP_2)
	v_lshlrev_b64 v[61:62], 1, v[59:60]
	v_add_co_u32 v59, vcc_lo, s10, v57
	s_delay_alu instid0(VALU_DEP_3) | instskip(NEXT) | instid1(VALU_DEP_3)
	v_add_co_ci_u32_e32 v60, vcc_lo, s11, v58, vcc_lo
	v_add_co_u32 v57, vcc_lo, s10, v61
	s_delay_alu instid0(VALU_DEP_4)
	v_add_co_ci_u32_e32 v58, vcc_lo, s11, v62, vcc_lo
	s_clause 0x1
	global_load_u16 v61, v[59:60], off
	global_load_u16 v62, v[57:58], off
	s_waitcnt vmcnt(0)
	v_cmpx_eq_u16_e64 v61, v62
	s_cbranch_execz .LBB1415_441
; %bb.434:
	v_add_co_u32 v57, vcc_lo, v57, 2
	v_add_co_ci_u32_e32 v58, vcc_lo, 0, v58, vcc_lo
	v_add_co_u32 v59, vcc_lo, v59, 2
	v_add_co_ci_u32_e32 v60, vcc_lo, 0, v60, vcc_lo
	s_add_u32 s14, s8, -1
	s_addc_u32 s15, s9, -1
	s_mov_b64 s[20:21], 0
	s_mov_b32 s24, 0
                                        ; implicit-def: $sgpr25
	s_set_inst_prefetch_distance 0x1
	s_branch .LBB1415_437
	.p2align	6
.LBB1415_435:                           ;   in Loop: Header=BB1415_437 Depth=1
	global_load_u16 v61, v[59:60], off
	global_load_u16 v62, v[57:58], off
	v_add_co_u32 v57, vcc_lo, v57, 2
	v_add_co_ci_u32_e32 v58, vcc_lo, 0, v58, vcc_lo
	v_add_co_u32 v59, s0, v59, 2
	s_delay_alu instid0(VALU_DEP_1)
	v_add_co_ci_u32_e64 v60, s0, 0, v60, s0
	s_add_u32 s20, s20, 1
	s_addc_u32 s21, s21, 0
	s_and_not1_b32 s0, s25, exec_lo
	s_waitcnt vmcnt(0)
	v_cmp_ne_u16_e32 vcc_lo, v61, v62
	s_and_b32 s25, vcc_lo, exec_lo
	s_delay_alu instid0(SALU_CYCLE_1)
	s_or_b32 s25, s0, s25
.LBB1415_436:                           ;   in Loop: Header=BB1415_437 Depth=1
	v_dual_mov_b32 v62, s21 :: v_dual_mov_b32 v61, s20
	s_and_b32 s0, exec_lo, s25
	s_delay_alu instid0(SALU_CYCLE_1) | instskip(NEXT) | instid1(SALU_CYCLE_1)
	s_or_b32 s24, s0, s24
	s_and_not1_b32 exec_lo, exec_lo, s24
	s_cbranch_execz .LBB1415_440
.LBB1415_437:                           ; =>This Inner Loop Header: Depth=1
	s_or_b32 s25, s25, exec_lo
	s_cmp_eq_u64 s[14:15], s[20:21]
	s_cbranch_scc0 .LBB1415_435
; %bb.438:                              ;   in Loop: Header=BB1415_437 Depth=1
	s_mov_b64 s[20:21], s[8:9]
                                        ; implicit-def: $vgpr57_vgpr58
                                        ; implicit-def: $vgpr59_vgpr60
	s_branch .LBB1415_436
.LBB1415_439:
	v_mov_b32_e32 v129, 0
	v_mov_b32_e32 v130, 0
	s_branch .LBB1415_442
.LBB1415_440:
	s_set_inst_prefetch_distance 0x2
	s_or_b32 exec_lo, exec_lo, s24
	v_cmp_gt_i64_e32 vcc_lo, s[8:9], v[61:62]
	s_mov_b32 s0, 0
	s_delay_alu instid0(SALU_CYCLE_1)
	v_mov_b32_e32 v130, s0
	v_cndmask_b32_e64 v129, 0, 1, vcc_lo
.LBB1415_441:
	s_or_b32 exec_lo, exec_lo, s23
.LBB1415_442:
	s_delay_alu instid0(SALU_CYCLE_1) | instskip(SKIP_3) | instid1(VALU_DEP_2)
	s_or_b32 exec_lo, exec_lo, s22
	v_dual_mov_b32 v132, v46 :: v_dual_add_nc_u32 v57, 18, v64
	v_mov_b32_e32 v131, v45
	s_mov_b32 s22, exec_lo
	v_cmpx_gt_u32_e64 s3, v57
	s_cbranch_execz .LBB1415_453
; %bb.443:
	v_cmp_ne_u32_e32 vcc_lo, 1, v63
	s_cbranch_vccnz .LBB1415_450
; %bb.444:
	v_mul_lo_u32 v61, v46, s8
	v_mul_lo_u32 v62, v45, s9
	v_mad_u64_u32 v[57:58], null, v45, s8, 0
	v_mul_lo_u32 v65, v44, s8
	v_mul_lo_u32 v66, v43, s9
	v_mad_u64_u32 v[59:60], null, v43, s8, 0
	v_mov_b32_e32 v131, 1
	v_mov_b32_e32 v132, 0
	v_add3_u32 v58, v58, v62, v61
	s_mov_b32 s23, exec_lo
	s_delay_alu instid0(VALU_DEP_4) | instskip(NEXT) | instid1(VALU_DEP_2)
	v_add3_u32 v60, v60, v66, v65
	v_lshlrev_b64 v[57:58], 1, v[57:58]
	s_delay_alu instid0(VALU_DEP_2) | instskip(NEXT) | instid1(VALU_DEP_2)
	v_lshlrev_b64 v[61:62], 1, v[59:60]
	v_add_co_u32 v59, vcc_lo, s10, v57
	s_delay_alu instid0(VALU_DEP_3) | instskip(NEXT) | instid1(VALU_DEP_3)
	v_add_co_ci_u32_e32 v60, vcc_lo, s11, v58, vcc_lo
	v_add_co_u32 v57, vcc_lo, s10, v61
	s_delay_alu instid0(VALU_DEP_4)
	v_add_co_ci_u32_e32 v58, vcc_lo, s11, v62, vcc_lo
	s_clause 0x1
	global_load_u16 v61, v[59:60], off
	global_load_u16 v62, v[57:58], off
	s_waitcnt vmcnt(0)
	v_cmpx_eq_u16_e64 v61, v62
	s_cbranch_execz .LBB1415_452
; %bb.445:
	v_add_co_u32 v57, vcc_lo, v57, 2
	v_add_co_ci_u32_e32 v58, vcc_lo, 0, v58, vcc_lo
	v_add_co_u32 v59, vcc_lo, v59, 2
	v_add_co_ci_u32_e32 v60, vcc_lo, 0, v60, vcc_lo
	s_add_u32 s14, s8, -1
	s_addc_u32 s15, s9, -1
	s_mov_b64 s[20:21], 0
	s_mov_b32 s24, 0
                                        ; implicit-def: $sgpr25
	s_set_inst_prefetch_distance 0x1
	s_branch .LBB1415_448
	.p2align	6
.LBB1415_446:                           ;   in Loop: Header=BB1415_448 Depth=1
	global_load_u16 v61, v[59:60], off
	global_load_u16 v62, v[57:58], off
	v_add_co_u32 v57, vcc_lo, v57, 2
	v_add_co_ci_u32_e32 v58, vcc_lo, 0, v58, vcc_lo
	v_add_co_u32 v59, s0, v59, 2
	s_delay_alu instid0(VALU_DEP_1)
	v_add_co_ci_u32_e64 v60, s0, 0, v60, s0
	s_add_u32 s20, s20, 1
	s_addc_u32 s21, s21, 0
	s_and_not1_b32 s0, s25, exec_lo
	s_waitcnt vmcnt(0)
	v_cmp_ne_u16_e32 vcc_lo, v61, v62
	s_and_b32 s25, vcc_lo, exec_lo
	s_delay_alu instid0(SALU_CYCLE_1)
	s_or_b32 s25, s0, s25
.LBB1415_447:                           ;   in Loop: Header=BB1415_448 Depth=1
	v_dual_mov_b32 v62, s21 :: v_dual_mov_b32 v61, s20
	s_and_b32 s0, exec_lo, s25
	s_delay_alu instid0(SALU_CYCLE_1) | instskip(NEXT) | instid1(SALU_CYCLE_1)
	s_or_b32 s24, s0, s24
	s_and_not1_b32 exec_lo, exec_lo, s24
	s_cbranch_execz .LBB1415_451
.LBB1415_448:                           ; =>This Inner Loop Header: Depth=1
	s_or_b32 s25, s25, exec_lo
	s_cmp_eq_u64 s[14:15], s[20:21]
	s_cbranch_scc0 .LBB1415_446
; %bb.449:                              ;   in Loop: Header=BB1415_448 Depth=1
	s_mov_b64 s[20:21], s[8:9]
                                        ; implicit-def: $vgpr57_vgpr58
                                        ; implicit-def: $vgpr59_vgpr60
	s_branch .LBB1415_447
.LBB1415_450:
	v_mov_b32_e32 v131, 0
	v_mov_b32_e32 v132, 0
	s_branch .LBB1415_453
.LBB1415_451:
	s_set_inst_prefetch_distance 0x2
	s_or_b32 exec_lo, exec_lo, s24
	v_cmp_gt_i64_e32 vcc_lo, s[8:9], v[61:62]
	s_mov_b32 s0, 0
	s_delay_alu instid0(SALU_CYCLE_1)
	v_mov_b32_e32 v132, s0
	v_cndmask_b32_e64 v131, 0, 1, vcc_lo
.LBB1415_452:
	s_or_b32 exec_lo, exec_lo, s23
.LBB1415_453:
	s_delay_alu instid0(SALU_CYCLE_1) | instskip(SKIP_3) | instid1(VALU_DEP_2)
	s_or_b32 exec_lo, exec_lo, s22
	v_dual_mov_b32 v134, v44 :: v_dual_add_nc_u32 v57, 17, v64
	v_mov_b32_e32 v133, v43
	s_mov_b32 s22, exec_lo
	v_cmpx_gt_u32_e64 s3, v57
	s_cbranch_execz .LBB1415_464
; %bb.454:
	v_cmp_ne_u32_e32 vcc_lo, 1, v63
	s_cbranch_vccnz .LBB1415_461
; %bb.455:
	v_mul_lo_u32 v61, v44, s8
	v_mul_lo_u32 v62, v43, s9
	v_mad_u64_u32 v[57:58], null, v43, s8, 0
	v_mul_lo_u32 v65, v42, s8
	v_mul_lo_u32 v66, v41, s9
	v_mad_u64_u32 v[59:60], null, v41, s8, 0
	v_mov_b32_e32 v133, 1
	v_mov_b32_e32 v134, 0
	v_add3_u32 v58, v58, v62, v61
	s_mov_b32 s23, exec_lo
	s_delay_alu instid0(VALU_DEP_4) | instskip(NEXT) | instid1(VALU_DEP_2)
	v_add3_u32 v60, v60, v66, v65
	v_lshlrev_b64 v[57:58], 1, v[57:58]
	s_delay_alu instid0(VALU_DEP_2) | instskip(NEXT) | instid1(VALU_DEP_2)
	v_lshlrev_b64 v[61:62], 1, v[59:60]
	v_add_co_u32 v59, vcc_lo, s10, v57
	s_delay_alu instid0(VALU_DEP_3) | instskip(NEXT) | instid1(VALU_DEP_3)
	v_add_co_ci_u32_e32 v60, vcc_lo, s11, v58, vcc_lo
	v_add_co_u32 v57, vcc_lo, s10, v61
	s_delay_alu instid0(VALU_DEP_4)
	v_add_co_ci_u32_e32 v58, vcc_lo, s11, v62, vcc_lo
	s_clause 0x1
	global_load_u16 v61, v[59:60], off
	global_load_u16 v62, v[57:58], off
	s_waitcnt vmcnt(0)
	v_cmpx_eq_u16_e64 v61, v62
	s_cbranch_execz .LBB1415_463
; %bb.456:
	v_add_co_u32 v57, vcc_lo, v57, 2
	v_add_co_ci_u32_e32 v58, vcc_lo, 0, v58, vcc_lo
	v_add_co_u32 v59, vcc_lo, v59, 2
	v_add_co_ci_u32_e32 v60, vcc_lo, 0, v60, vcc_lo
	s_add_u32 s14, s8, -1
	s_addc_u32 s15, s9, -1
	s_mov_b64 s[20:21], 0
	s_mov_b32 s24, 0
                                        ; implicit-def: $sgpr25
	s_set_inst_prefetch_distance 0x1
	s_branch .LBB1415_459
	.p2align	6
.LBB1415_457:                           ;   in Loop: Header=BB1415_459 Depth=1
	global_load_u16 v61, v[59:60], off
	global_load_u16 v62, v[57:58], off
	v_add_co_u32 v57, vcc_lo, v57, 2
	v_add_co_ci_u32_e32 v58, vcc_lo, 0, v58, vcc_lo
	v_add_co_u32 v59, s0, v59, 2
	s_delay_alu instid0(VALU_DEP_1)
	v_add_co_ci_u32_e64 v60, s0, 0, v60, s0
	s_add_u32 s20, s20, 1
	s_addc_u32 s21, s21, 0
	s_and_not1_b32 s0, s25, exec_lo
	s_waitcnt vmcnt(0)
	v_cmp_ne_u16_e32 vcc_lo, v61, v62
	s_and_b32 s25, vcc_lo, exec_lo
	s_delay_alu instid0(SALU_CYCLE_1)
	s_or_b32 s25, s0, s25
.LBB1415_458:                           ;   in Loop: Header=BB1415_459 Depth=1
	v_dual_mov_b32 v62, s21 :: v_dual_mov_b32 v61, s20
	s_and_b32 s0, exec_lo, s25
	s_delay_alu instid0(SALU_CYCLE_1) | instskip(NEXT) | instid1(SALU_CYCLE_1)
	s_or_b32 s24, s0, s24
	s_and_not1_b32 exec_lo, exec_lo, s24
	s_cbranch_execz .LBB1415_462
.LBB1415_459:                           ; =>This Inner Loop Header: Depth=1
	s_or_b32 s25, s25, exec_lo
	s_cmp_eq_u64 s[14:15], s[20:21]
	s_cbranch_scc0 .LBB1415_457
; %bb.460:                              ;   in Loop: Header=BB1415_459 Depth=1
	s_mov_b64 s[20:21], s[8:9]
                                        ; implicit-def: $vgpr57_vgpr58
                                        ; implicit-def: $vgpr59_vgpr60
	s_branch .LBB1415_458
.LBB1415_461:
	v_mov_b32_e32 v133, 0
	v_mov_b32_e32 v134, 0
	s_branch .LBB1415_464
.LBB1415_462:
	s_set_inst_prefetch_distance 0x2
	s_or_b32 exec_lo, exec_lo, s24
	v_cmp_gt_i64_e32 vcc_lo, s[8:9], v[61:62]
	s_mov_b32 s0, 0
	s_delay_alu instid0(SALU_CYCLE_1)
	v_mov_b32_e32 v134, s0
	v_cndmask_b32_e64 v133, 0, 1, vcc_lo
.LBB1415_463:
	s_or_b32 exec_lo, exec_lo, s23
.LBB1415_464:
	s_delay_alu instid0(SALU_CYCLE_1) | instskip(SKIP_3) | instid1(VALU_DEP_2)
	s_or_b32 exec_lo, exec_lo, s22
	v_dual_mov_b32 v136, v42 :: v_dual_add_nc_u32 v57, 16, v64
	v_mov_b32_e32 v135, v41
	s_mov_b32 s22, exec_lo
	v_cmpx_gt_u32_e64 s3, v57
	s_cbranch_execz .LBB1415_475
; %bb.465:
	v_cmp_ne_u32_e32 vcc_lo, 1, v63
	s_cbranch_vccnz .LBB1415_472
; %bb.466:
	v_mul_lo_u32 v61, v42, s8
	v_mul_lo_u32 v62, v41, s9
	v_mad_u64_u32 v[57:58], null, v41, s8, 0
	v_mul_lo_u32 v65, v40, s8
	v_mul_lo_u32 v66, v39, s9
	v_mad_u64_u32 v[59:60], null, v39, s8, 0
	v_mov_b32_e32 v135, 1
	v_mov_b32_e32 v136, 0
	v_add3_u32 v58, v58, v62, v61
	s_mov_b32 s23, exec_lo
	s_delay_alu instid0(VALU_DEP_4) | instskip(NEXT) | instid1(VALU_DEP_2)
	v_add3_u32 v60, v60, v66, v65
	v_lshlrev_b64 v[57:58], 1, v[57:58]
	s_delay_alu instid0(VALU_DEP_2) | instskip(NEXT) | instid1(VALU_DEP_2)
	v_lshlrev_b64 v[61:62], 1, v[59:60]
	v_add_co_u32 v59, vcc_lo, s10, v57
	s_delay_alu instid0(VALU_DEP_3) | instskip(NEXT) | instid1(VALU_DEP_3)
	v_add_co_ci_u32_e32 v60, vcc_lo, s11, v58, vcc_lo
	v_add_co_u32 v57, vcc_lo, s10, v61
	s_delay_alu instid0(VALU_DEP_4)
	v_add_co_ci_u32_e32 v58, vcc_lo, s11, v62, vcc_lo
	s_clause 0x1
	global_load_u16 v61, v[59:60], off
	global_load_u16 v62, v[57:58], off
	s_waitcnt vmcnt(0)
	v_cmpx_eq_u16_e64 v61, v62
	s_cbranch_execz .LBB1415_474
; %bb.467:
	v_add_co_u32 v57, vcc_lo, v57, 2
	v_add_co_ci_u32_e32 v58, vcc_lo, 0, v58, vcc_lo
	v_add_co_u32 v59, vcc_lo, v59, 2
	v_add_co_ci_u32_e32 v60, vcc_lo, 0, v60, vcc_lo
	s_add_u32 s14, s8, -1
	s_addc_u32 s15, s9, -1
	s_mov_b64 s[20:21], 0
	s_mov_b32 s24, 0
                                        ; implicit-def: $sgpr25
	s_set_inst_prefetch_distance 0x1
	s_branch .LBB1415_470
	.p2align	6
.LBB1415_468:                           ;   in Loop: Header=BB1415_470 Depth=1
	global_load_u16 v61, v[59:60], off
	global_load_u16 v62, v[57:58], off
	v_add_co_u32 v57, vcc_lo, v57, 2
	v_add_co_ci_u32_e32 v58, vcc_lo, 0, v58, vcc_lo
	v_add_co_u32 v59, s0, v59, 2
	s_delay_alu instid0(VALU_DEP_1)
	v_add_co_ci_u32_e64 v60, s0, 0, v60, s0
	s_add_u32 s20, s20, 1
	s_addc_u32 s21, s21, 0
	s_and_not1_b32 s0, s25, exec_lo
	s_waitcnt vmcnt(0)
	v_cmp_ne_u16_e32 vcc_lo, v61, v62
	s_and_b32 s25, vcc_lo, exec_lo
	s_delay_alu instid0(SALU_CYCLE_1)
	s_or_b32 s25, s0, s25
.LBB1415_469:                           ;   in Loop: Header=BB1415_470 Depth=1
	v_dual_mov_b32 v62, s21 :: v_dual_mov_b32 v61, s20
	s_and_b32 s0, exec_lo, s25
	s_delay_alu instid0(SALU_CYCLE_1) | instskip(NEXT) | instid1(SALU_CYCLE_1)
	s_or_b32 s24, s0, s24
	s_and_not1_b32 exec_lo, exec_lo, s24
	s_cbranch_execz .LBB1415_473
.LBB1415_470:                           ; =>This Inner Loop Header: Depth=1
	s_or_b32 s25, s25, exec_lo
	s_cmp_eq_u64 s[14:15], s[20:21]
	s_cbranch_scc0 .LBB1415_468
; %bb.471:                              ;   in Loop: Header=BB1415_470 Depth=1
	s_mov_b64 s[20:21], s[8:9]
                                        ; implicit-def: $vgpr57_vgpr58
                                        ; implicit-def: $vgpr59_vgpr60
	s_branch .LBB1415_469
.LBB1415_472:
	v_mov_b32_e32 v135, 0
	v_mov_b32_e32 v136, 0
	s_branch .LBB1415_475
.LBB1415_473:
	s_set_inst_prefetch_distance 0x2
	s_or_b32 exec_lo, exec_lo, s24
	v_cmp_gt_i64_e32 vcc_lo, s[8:9], v[61:62]
	s_mov_b32 s0, 0
	s_delay_alu instid0(SALU_CYCLE_1)
	v_mov_b32_e32 v136, s0
	v_cndmask_b32_e64 v135, 0, 1, vcc_lo
.LBB1415_474:
	s_or_b32 exec_lo, exec_lo, s23
.LBB1415_475:
	s_delay_alu instid0(SALU_CYCLE_1) | instskip(SKIP_3) | instid1(VALU_DEP_2)
	s_or_b32 exec_lo, exec_lo, s22
	v_dual_mov_b32 v138, v40 :: v_dual_add_nc_u32 v57, 15, v64
	v_mov_b32_e32 v137, v39
	s_mov_b32 s22, exec_lo
	v_cmpx_gt_u32_e64 s3, v57
	s_cbranch_execz .LBB1415_486
; %bb.476:
	v_cmp_ne_u32_e32 vcc_lo, 1, v63
	s_cbranch_vccnz .LBB1415_483
; %bb.477:
	v_mul_lo_u32 v61, v40, s8
	v_mul_lo_u32 v62, v39, s9
	v_mad_u64_u32 v[57:58], null, v39, s8, 0
	v_mul_lo_u32 v65, v38, s8
	v_mul_lo_u32 v66, v37, s9
	v_mad_u64_u32 v[59:60], null, v37, s8, 0
	v_mov_b32_e32 v137, 1
	v_mov_b32_e32 v138, 0
	v_add3_u32 v58, v58, v62, v61
	s_mov_b32 s23, exec_lo
	s_delay_alu instid0(VALU_DEP_4) | instskip(NEXT) | instid1(VALU_DEP_2)
	v_add3_u32 v60, v60, v66, v65
	v_lshlrev_b64 v[57:58], 1, v[57:58]
	s_delay_alu instid0(VALU_DEP_2) | instskip(NEXT) | instid1(VALU_DEP_2)
	v_lshlrev_b64 v[61:62], 1, v[59:60]
	v_add_co_u32 v59, vcc_lo, s10, v57
	s_delay_alu instid0(VALU_DEP_3) | instskip(NEXT) | instid1(VALU_DEP_3)
	v_add_co_ci_u32_e32 v60, vcc_lo, s11, v58, vcc_lo
	v_add_co_u32 v57, vcc_lo, s10, v61
	s_delay_alu instid0(VALU_DEP_4)
	v_add_co_ci_u32_e32 v58, vcc_lo, s11, v62, vcc_lo
	s_clause 0x1
	global_load_u16 v61, v[59:60], off
	global_load_u16 v62, v[57:58], off
	s_waitcnt vmcnt(0)
	v_cmpx_eq_u16_e64 v61, v62
	s_cbranch_execz .LBB1415_485
; %bb.478:
	v_add_co_u32 v57, vcc_lo, v57, 2
	v_add_co_ci_u32_e32 v58, vcc_lo, 0, v58, vcc_lo
	v_add_co_u32 v59, vcc_lo, v59, 2
	v_add_co_ci_u32_e32 v60, vcc_lo, 0, v60, vcc_lo
	s_add_u32 s14, s8, -1
	s_addc_u32 s15, s9, -1
	s_mov_b64 s[20:21], 0
	s_mov_b32 s24, 0
                                        ; implicit-def: $sgpr25
	s_set_inst_prefetch_distance 0x1
	s_branch .LBB1415_481
	.p2align	6
.LBB1415_479:                           ;   in Loop: Header=BB1415_481 Depth=1
	global_load_u16 v61, v[59:60], off
	global_load_u16 v62, v[57:58], off
	v_add_co_u32 v57, vcc_lo, v57, 2
	v_add_co_ci_u32_e32 v58, vcc_lo, 0, v58, vcc_lo
	v_add_co_u32 v59, s0, v59, 2
	s_delay_alu instid0(VALU_DEP_1)
	v_add_co_ci_u32_e64 v60, s0, 0, v60, s0
	s_add_u32 s20, s20, 1
	s_addc_u32 s21, s21, 0
	s_and_not1_b32 s0, s25, exec_lo
	s_waitcnt vmcnt(0)
	v_cmp_ne_u16_e32 vcc_lo, v61, v62
	s_and_b32 s25, vcc_lo, exec_lo
	s_delay_alu instid0(SALU_CYCLE_1)
	s_or_b32 s25, s0, s25
.LBB1415_480:                           ;   in Loop: Header=BB1415_481 Depth=1
	v_dual_mov_b32 v62, s21 :: v_dual_mov_b32 v61, s20
	s_and_b32 s0, exec_lo, s25
	s_delay_alu instid0(SALU_CYCLE_1) | instskip(NEXT) | instid1(SALU_CYCLE_1)
	s_or_b32 s24, s0, s24
	s_and_not1_b32 exec_lo, exec_lo, s24
	s_cbranch_execz .LBB1415_484
.LBB1415_481:                           ; =>This Inner Loop Header: Depth=1
	s_or_b32 s25, s25, exec_lo
	s_cmp_eq_u64 s[14:15], s[20:21]
	s_cbranch_scc0 .LBB1415_479
; %bb.482:                              ;   in Loop: Header=BB1415_481 Depth=1
	s_mov_b64 s[20:21], s[8:9]
                                        ; implicit-def: $vgpr57_vgpr58
                                        ; implicit-def: $vgpr59_vgpr60
	s_branch .LBB1415_480
.LBB1415_483:
	v_mov_b32_e32 v137, 0
	v_mov_b32_e32 v138, 0
	s_branch .LBB1415_486
.LBB1415_484:
	s_set_inst_prefetch_distance 0x2
	s_or_b32 exec_lo, exec_lo, s24
	v_cmp_gt_i64_e32 vcc_lo, s[8:9], v[61:62]
	s_mov_b32 s0, 0
	s_delay_alu instid0(SALU_CYCLE_1)
	v_mov_b32_e32 v138, s0
	v_cndmask_b32_e64 v137, 0, 1, vcc_lo
.LBB1415_485:
	s_or_b32 exec_lo, exec_lo, s23
.LBB1415_486:
	s_delay_alu instid0(SALU_CYCLE_1) | instskip(SKIP_3) | instid1(VALU_DEP_2)
	s_or_b32 exec_lo, exec_lo, s22
	v_dual_mov_b32 v140, v38 :: v_dual_add_nc_u32 v57, 14, v64
	v_mov_b32_e32 v139, v37
	s_mov_b32 s22, exec_lo
	v_cmpx_gt_u32_e64 s3, v57
	s_cbranch_execz .LBB1415_497
; %bb.487:
	v_cmp_ne_u32_e32 vcc_lo, 1, v63
	s_cbranch_vccnz .LBB1415_494
; %bb.488:
	v_mul_lo_u32 v61, v38, s8
	v_mul_lo_u32 v62, v37, s9
	v_mad_u64_u32 v[57:58], null, v37, s8, 0
	v_mul_lo_u32 v65, v36, s8
	v_mul_lo_u32 v66, v35, s9
	v_mad_u64_u32 v[59:60], null, v35, s8, 0
	v_mov_b32_e32 v139, 1
	v_mov_b32_e32 v140, 0
	v_add3_u32 v58, v58, v62, v61
	s_mov_b32 s23, exec_lo
	s_delay_alu instid0(VALU_DEP_4) | instskip(NEXT) | instid1(VALU_DEP_2)
	v_add3_u32 v60, v60, v66, v65
	v_lshlrev_b64 v[57:58], 1, v[57:58]
	s_delay_alu instid0(VALU_DEP_2) | instskip(NEXT) | instid1(VALU_DEP_2)
	v_lshlrev_b64 v[61:62], 1, v[59:60]
	v_add_co_u32 v59, vcc_lo, s10, v57
	s_delay_alu instid0(VALU_DEP_3) | instskip(NEXT) | instid1(VALU_DEP_3)
	v_add_co_ci_u32_e32 v60, vcc_lo, s11, v58, vcc_lo
	v_add_co_u32 v57, vcc_lo, s10, v61
	s_delay_alu instid0(VALU_DEP_4)
	v_add_co_ci_u32_e32 v58, vcc_lo, s11, v62, vcc_lo
	s_clause 0x1
	global_load_u16 v61, v[59:60], off
	global_load_u16 v62, v[57:58], off
	s_waitcnt vmcnt(0)
	v_cmpx_eq_u16_e64 v61, v62
	s_cbranch_execz .LBB1415_496
; %bb.489:
	v_add_co_u32 v57, vcc_lo, v57, 2
	v_add_co_ci_u32_e32 v58, vcc_lo, 0, v58, vcc_lo
	v_add_co_u32 v59, vcc_lo, v59, 2
	v_add_co_ci_u32_e32 v60, vcc_lo, 0, v60, vcc_lo
	s_add_u32 s14, s8, -1
	s_addc_u32 s15, s9, -1
	s_mov_b64 s[20:21], 0
	s_mov_b32 s24, 0
                                        ; implicit-def: $sgpr25
	s_set_inst_prefetch_distance 0x1
	s_branch .LBB1415_492
	.p2align	6
.LBB1415_490:                           ;   in Loop: Header=BB1415_492 Depth=1
	global_load_u16 v61, v[59:60], off
	global_load_u16 v62, v[57:58], off
	v_add_co_u32 v57, vcc_lo, v57, 2
	v_add_co_ci_u32_e32 v58, vcc_lo, 0, v58, vcc_lo
	v_add_co_u32 v59, s0, v59, 2
	s_delay_alu instid0(VALU_DEP_1)
	v_add_co_ci_u32_e64 v60, s0, 0, v60, s0
	s_add_u32 s20, s20, 1
	s_addc_u32 s21, s21, 0
	s_and_not1_b32 s0, s25, exec_lo
	s_waitcnt vmcnt(0)
	v_cmp_ne_u16_e32 vcc_lo, v61, v62
	s_and_b32 s25, vcc_lo, exec_lo
	s_delay_alu instid0(SALU_CYCLE_1)
	s_or_b32 s25, s0, s25
.LBB1415_491:                           ;   in Loop: Header=BB1415_492 Depth=1
	v_dual_mov_b32 v62, s21 :: v_dual_mov_b32 v61, s20
	s_and_b32 s0, exec_lo, s25
	s_delay_alu instid0(SALU_CYCLE_1) | instskip(NEXT) | instid1(SALU_CYCLE_1)
	s_or_b32 s24, s0, s24
	s_and_not1_b32 exec_lo, exec_lo, s24
	s_cbranch_execz .LBB1415_495
.LBB1415_492:                           ; =>This Inner Loop Header: Depth=1
	s_or_b32 s25, s25, exec_lo
	s_cmp_eq_u64 s[14:15], s[20:21]
	s_cbranch_scc0 .LBB1415_490
; %bb.493:                              ;   in Loop: Header=BB1415_492 Depth=1
	s_mov_b64 s[20:21], s[8:9]
                                        ; implicit-def: $vgpr57_vgpr58
                                        ; implicit-def: $vgpr59_vgpr60
	s_branch .LBB1415_491
.LBB1415_494:
	v_mov_b32_e32 v139, 0
	v_mov_b32_e32 v140, 0
	s_branch .LBB1415_497
.LBB1415_495:
	s_set_inst_prefetch_distance 0x2
	s_or_b32 exec_lo, exec_lo, s24
	v_cmp_gt_i64_e32 vcc_lo, s[8:9], v[61:62]
	s_mov_b32 s0, 0
	s_delay_alu instid0(SALU_CYCLE_1)
	v_mov_b32_e32 v140, s0
	v_cndmask_b32_e64 v139, 0, 1, vcc_lo
.LBB1415_496:
	s_or_b32 exec_lo, exec_lo, s23
.LBB1415_497:
	s_delay_alu instid0(SALU_CYCLE_1) | instskip(SKIP_3) | instid1(VALU_DEP_2)
	s_or_b32 exec_lo, exec_lo, s22
	v_dual_mov_b32 v142, v36 :: v_dual_add_nc_u32 v57, 13, v64
	v_mov_b32_e32 v141, v35
	s_mov_b32 s22, exec_lo
	v_cmpx_gt_u32_e64 s3, v57
	s_cbranch_execz .LBB1415_508
; %bb.498:
	v_cmp_ne_u32_e32 vcc_lo, 1, v63
	s_cbranch_vccnz .LBB1415_505
; %bb.499:
	v_mul_lo_u32 v61, v36, s8
	v_mul_lo_u32 v62, v35, s9
	v_mad_u64_u32 v[57:58], null, v35, s8, 0
	v_mul_lo_u32 v65, v34, s8
	v_mul_lo_u32 v66, v33, s9
	v_mad_u64_u32 v[59:60], null, v33, s8, 0
	v_mov_b32_e32 v141, 1
	v_mov_b32_e32 v142, 0
	v_add3_u32 v58, v58, v62, v61
	s_mov_b32 s23, exec_lo
	s_delay_alu instid0(VALU_DEP_4) | instskip(NEXT) | instid1(VALU_DEP_2)
	v_add3_u32 v60, v60, v66, v65
	v_lshlrev_b64 v[57:58], 1, v[57:58]
	s_delay_alu instid0(VALU_DEP_2) | instskip(NEXT) | instid1(VALU_DEP_2)
	v_lshlrev_b64 v[61:62], 1, v[59:60]
	v_add_co_u32 v59, vcc_lo, s10, v57
	s_delay_alu instid0(VALU_DEP_3) | instskip(NEXT) | instid1(VALU_DEP_3)
	v_add_co_ci_u32_e32 v60, vcc_lo, s11, v58, vcc_lo
	v_add_co_u32 v57, vcc_lo, s10, v61
	s_delay_alu instid0(VALU_DEP_4)
	v_add_co_ci_u32_e32 v58, vcc_lo, s11, v62, vcc_lo
	s_clause 0x1
	global_load_u16 v61, v[59:60], off
	global_load_u16 v62, v[57:58], off
	s_waitcnt vmcnt(0)
	v_cmpx_eq_u16_e64 v61, v62
	s_cbranch_execz .LBB1415_507
; %bb.500:
	v_add_co_u32 v57, vcc_lo, v57, 2
	v_add_co_ci_u32_e32 v58, vcc_lo, 0, v58, vcc_lo
	v_add_co_u32 v59, vcc_lo, v59, 2
	v_add_co_ci_u32_e32 v60, vcc_lo, 0, v60, vcc_lo
	s_add_u32 s14, s8, -1
	s_addc_u32 s15, s9, -1
	s_mov_b64 s[20:21], 0
	s_mov_b32 s24, 0
                                        ; implicit-def: $sgpr25
	s_set_inst_prefetch_distance 0x1
	s_branch .LBB1415_503
	.p2align	6
.LBB1415_501:                           ;   in Loop: Header=BB1415_503 Depth=1
	global_load_u16 v61, v[59:60], off
	global_load_u16 v62, v[57:58], off
	v_add_co_u32 v57, vcc_lo, v57, 2
	v_add_co_ci_u32_e32 v58, vcc_lo, 0, v58, vcc_lo
	v_add_co_u32 v59, s0, v59, 2
	s_delay_alu instid0(VALU_DEP_1)
	v_add_co_ci_u32_e64 v60, s0, 0, v60, s0
	s_add_u32 s20, s20, 1
	s_addc_u32 s21, s21, 0
	s_and_not1_b32 s0, s25, exec_lo
	s_waitcnt vmcnt(0)
	v_cmp_ne_u16_e32 vcc_lo, v61, v62
	s_and_b32 s25, vcc_lo, exec_lo
	s_delay_alu instid0(SALU_CYCLE_1)
	s_or_b32 s25, s0, s25
.LBB1415_502:                           ;   in Loop: Header=BB1415_503 Depth=1
	v_dual_mov_b32 v62, s21 :: v_dual_mov_b32 v61, s20
	s_and_b32 s0, exec_lo, s25
	s_delay_alu instid0(SALU_CYCLE_1) | instskip(NEXT) | instid1(SALU_CYCLE_1)
	s_or_b32 s24, s0, s24
	s_and_not1_b32 exec_lo, exec_lo, s24
	s_cbranch_execz .LBB1415_506
.LBB1415_503:                           ; =>This Inner Loop Header: Depth=1
	s_or_b32 s25, s25, exec_lo
	s_cmp_eq_u64 s[14:15], s[20:21]
	s_cbranch_scc0 .LBB1415_501
; %bb.504:                              ;   in Loop: Header=BB1415_503 Depth=1
	s_mov_b64 s[20:21], s[8:9]
                                        ; implicit-def: $vgpr57_vgpr58
                                        ; implicit-def: $vgpr59_vgpr60
	s_branch .LBB1415_502
.LBB1415_505:
	v_mov_b32_e32 v141, 0
	v_mov_b32_e32 v142, 0
	s_branch .LBB1415_508
.LBB1415_506:
	s_set_inst_prefetch_distance 0x2
	s_or_b32 exec_lo, exec_lo, s24
	v_cmp_gt_i64_e32 vcc_lo, s[8:9], v[61:62]
	s_mov_b32 s0, 0
	s_delay_alu instid0(SALU_CYCLE_1)
	v_mov_b32_e32 v142, s0
	v_cndmask_b32_e64 v141, 0, 1, vcc_lo
.LBB1415_507:
	s_or_b32 exec_lo, exec_lo, s23
.LBB1415_508:
	s_delay_alu instid0(SALU_CYCLE_1) | instskip(SKIP_3) | instid1(VALU_DEP_2)
	s_or_b32 exec_lo, exec_lo, s22
	v_dual_mov_b32 v144, v34 :: v_dual_add_nc_u32 v57, 12, v64
	v_mov_b32_e32 v143, v33
	s_mov_b32 s22, exec_lo
	v_cmpx_gt_u32_e64 s3, v57
	s_cbranch_execz .LBB1415_519
; %bb.509:
	v_cmp_ne_u32_e32 vcc_lo, 1, v63
	s_cbranch_vccnz .LBB1415_516
; %bb.510:
	v_mul_lo_u32 v61, v34, s8
	v_mul_lo_u32 v62, v33, s9
	v_mad_u64_u32 v[57:58], null, v33, s8, 0
	v_mul_lo_u32 v65, v32, s8
	v_mul_lo_u32 v66, v31, s9
	v_mad_u64_u32 v[59:60], null, v31, s8, 0
	v_mov_b32_e32 v143, 1
	v_mov_b32_e32 v144, 0
	v_add3_u32 v58, v58, v62, v61
	s_mov_b32 s23, exec_lo
	s_delay_alu instid0(VALU_DEP_4) | instskip(NEXT) | instid1(VALU_DEP_2)
	v_add3_u32 v60, v60, v66, v65
	v_lshlrev_b64 v[57:58], 1, v[57:58]
	s_delay_alu instid0(VALU_DEP_2) | instskip(NEXT) | instid1(VALU_DEP_2)
	v_lshlrev_b64 v[61:62], 1, v[59:60]
	v_add_co_u32 v59, vcc_lo, s10, v57
	s_delay_alu instid0(VALU_DEP_3) | instskip(NEXT) | instid1(VALU_DEP_3)
	v_add_co_ci_u32_e32 v60, vcc_lo, s11, v58, vcc_lo
	v_add_co_u32 v57, vcc_lo, s10, v61
	s_delay_alu instid0(VALU_DEP_4)
	v_add_co_ci_u32_e32 v58, vcc_lo, s11, v62, vcc_lo
	s_clause 0x1
	global_load_u16 v61, v[59:60], off
	global_load_u16 v62, v[57:58], off
	s_waitcnt vmcnt(0)
	v_cmpx_eq_u16_e64 v61, v62
	s_cbranch_execz .LBB1415_518
; %bb.511:
	v_add_co_u32 v57, vcc_lo, v57, 2
	v_add_co_ci_u32_e32 v58, vcc_lo, 0, v58, vcc_lo
	v_add_co_u32 v59, vcc_lo, v59, 2
	v_add_co_ci_u32_e32 v60, vcc_lo, 0, v60, vcc_lo
	s_add_u32 s14, s8, -1
	s_addc_u32 s15, s9, -1
	s_mov_b64 s[20:21], 0
	s_mov_b32 s24, 0
                                        ; implicit-def: $sgpr25
	s_set_inst_prefetch_distance 0x1
	s_branch .LBB1415_514
	.p2align	6
.LBB1415_512:                           ;   in Loop: Header=BB1415_514 Depth=1
	global_load_u16 v61, v[59:60], off
	global_load_u16 v62, v[57:58], off
	v_add_co_u32 v57, vcc_lo, v57, 2
	v_add_co_ci_u32_e32 v58, vcc_lo, 0, v58, vcc_lo
	v_add_co_u32 v59, s0, v59, 2
	s_delay_alu instid0(VALU_DEP_1)
	v_add_co_ci_u32_e64 v60, s0, 0, v60, s0
	s_add_u32 s20, s20, 1
	s_addc_u32 s21, s21, 0
	s_and_not1_b32 s0, s25, exec_lo
	s_waitcnt vmcnt(0)
	v_cmp_ne_u16_e32 vcc_lo, v61, v62
	s_and_b32 s25, vcc_lo, exec_lo
	s_delay_alu instid0(SALU_CYCLE_1)
	s_or_b32 s25, s0, s25
.LBB1415_513:                           ;   in Loop: Header=BB1415_514 Depth=1
	v_dual_mov_b32 v62, s21 :: v_dual_mov_b32 v61, s20
	s_and_b32 s0, exec_lo, s25
	s_delay_alu instid0(SALU_CYCLE_1) | instskip(NEXT) | instid1(SALU_CYCLE_1)
	s_or_b32 s24, s0, s24
	s_and_not1_b32 exec_lo, exec_lo, s24
	s_cbranch_execz .LBB1415_517
.LBB1415_514:                           ; =>This Inner Loop Header: Depth=1
	s_or_b32 s25, s25, exec_lo
	s_cmp_eq_u64 s[14:15], s[20:21]
	s_cbranch_scc0 .LBB1415_512
; %bb.515:                              ;   in Loop: Header=BB1415_514 Depth=1
	s_mov_b64 s[20:21], s[8:9]
                                        ; implicit-def: $vgpr57_vgpr58
                                        ; implicit-def: $vgpr59_vgpr60
	s_branch .LBB1415_513
.LBB1415_516:
	v_mov_b32_e32 v143, 0
	v_mov_b32_e32 v144, 0
	s_branch .LBB1415_519
.LBB1415_517:
	s_set_inst_prefetch_distance 0x2
	s_or_b32 exec_lo, exec_lo, s24
	v_cmp_gt_i64_e32 vcc_lo, s[8:9], v[61:62]
	s_mov_b32 s0, 0
	s_delay_alu instid0(SALU_CYCLE_1)
	v_mov_b32_e32 v144, s0
	v_cndmask_b32_e64 v143, 0, 1, vcc_lo
.LBB1415_518:
	s_or_b32 exec_lo, exec_lo, s23
.LBB1415_519:
	s_delay_alu instid0(SALU_CYCLE_1) | instskip(SKIP_3) | instid1(VALU_DEP_2)
	s_or_b32 exec_lo, exec_lo, s22
	v_dual_mov_b32 v146, v32 :: v_dual_add_nc_u32 v57, 11, v64
	v_mov_b32_e32 v145, v31
	s_mov_b32 s22, exec_lo
	v_cmpx_gt_u32_e64 s3, v57
	s_cbranch_execz .LBB1415_530
; %bb.520:
	v_cmp_ne_u32_e32 vcc_lo, 1, v63
	s_cbranch_vccnz .LBB1415_527
; %bb.521:
	v_mul_lo_u32 v61, v32, s8
	v_mul_lo_u32 v62, v31, s9
	v_mad_u64_u32 v[57:58], null, v31, s8, 0
	v_mul_lo_u32 v65, v30, s8
	v_mul_lo_u32 v66, v29, s9
	v_mad_u64_u32 v[59:60], null, v29, s8, 0
	v_mov_b32_e32 v145, 1
	v_mov_b32_e32 v146, 0
	v_add3_u32 v58, v58, v62, v61
	s_mov_b32 s23, exec_lo
	s_delay_alu instid0(VALU_DEP_4) | instskip(NEXT) | instid1(VALU_DEP_2)
	v_add3_u32 v60, v60, v66, v65
	v_lshlrev_b64 v[57:58], 1, v[57:58]
	s_delay_alu instid0(VALU_DEP_2) | instskip(NEXT) | instid1(VALU_DEP_2)
	v_lshlrev_b64 v[61:62], 1, v[59:60]
	v_add_co_u32 v59, vcc_lo, s10, v57
	s_delay_alu instid0(VALU_DEP_3) | instskip(NEXT) | instid1(VALU_DEP_3)
	v_add_co_ci_u32_e32 v60, vcc_lo, s11, v58, vcc_lo
	v_add_co_u32 v57, vcc_lo, s10, v61
	s_delay_alu instid0(VALU_DEP_4)
	v_add_co_ci_u32_e32 v58, vcc_lo, s11, v62, vcc_lo
	s_clause 0x1
	global_load_u16 v61, v[59:60], off
	global_load_u16 v62, v[57:58], off
	s_waitcnt vmcnt(0)
	v_cmpx_eq_u16_e64 v61, v62
	s_cbranch_execz .LBB1415_529
; %bb.522:
	v_add_co_u32 v57, vcc_lo, v57, 2
	v_add_co_ci_u32_e32 v58, vcc_lo, 0, v58, vcc_lo
	v_add_co_u32 v59, vcc_lo, v59, 2
	v_add_co_ci_u32_e32 v60, vcc_lo, 0, v60, vcc_lo
	s_add_u32 s14, s8, -1
	s_addc_u32 s15, s9, -1
	s_mov_b64 s[20:21], 0
	s_mov_b32 s24, 0
                                        ; implicit-def: $sgpr25
	s_set_inst_prefetch_distance 0x1
	s_branch .LBB1415_525
	.p2align	6
.LBB1415_523:                           ;   in Loop: Header=BB1415_525 Depth=1
	global_load_u16 v61, v[59:60], off
	global_load_u16 v62, v[57:58], off
	v_add_co_u32 v57, vcc_lo, v57, 2
	v_add_co_ci_u32_e32 v58, vcc_lo, 0, v58, vcc_lo
	v_add_co_u32 v59, s0, v59, 2
	s_delay_alu instid0(VALU_DEP_1)
	v_add_co_ci_u32_e64 v60, s0, 0, v60, s0
	s_add_u32 s20, s20, 1
	s_addc_u32 s21, s21, 0
	s_and_not1_b32 s0, s25, exec_lo
	s_waitcnt vmcnt(0)
	v_cmp_ne_u16_e32 vcc_lo, v61, v62
	s_and_b32 s25, vcc_lo, exec_lo
	s_delay_alu instid0(SALU_CYCLE_1)
	s_or_b32 s25, s0, s25
.LBB1415_524:                           ;   in Loop: Header=BB1415_525 Depth=1
	v_dual_mov_b32 v62, s21 :: v_dual_mov_b32 v61, s20
	s_and_b32 s0, exec_lo, s25
	s_delay_alu instid0(SALU_CYCLE_1) | instskip(NEXT) | instid1(SALU_CYCLE_1)
	s_or_b32 s24, s0, s24
	s_and_not1_b32 exec_lo, exec_lo, s24
	s_cbranch_execz .LBB1415_528
.LBB1415_525:                           ; =>This Inner Loop Header: Depth=1
	s_or_b32 s25, s25, exec_lo
	s_cmp_eq_u64 s[14:15], s[20:21]
	s_cbranch_scc0 .LBB1415_523
; %bb.526:                              ;   in Loop: Header=BB1415_525 Depth=1
	s_mov_b64 s[20:21], s[8:9]
                                        ; implicit-def: $vgpr57_vgpr58
                                        ; implicit-def: $vgpr59_vgpr60
	s_branch .LBB1415_524
.LBB1415_527:
	v_mov_b32_e32 v145, 0
	v_mov_b32_e32 v146, 0
	s_branch .LBB1415_530
.LBB1415_528:
	s_set_inst_prefetch_distance 0x2
	s_or_b32 exec_lo, exec_lo, s24
	v_cmp_gt_i64_e32 vcc_lo, s[8:9], v[61:62]
	s_mov_b32 s0, 0
	s_delay_alu instid0(SALU_CYCLE_1)
	v_mov_b32_e32 v146, s0
	v_cndmask_b32_e64 v145, 0, 1, vcc_lo
.LBB1415_529:
	s_or_b32 exec_lo, exec_lo, s23
.LBB1415_530:
	s_delay_alu instid0(SALU_CYCLE_1) | instskip(SKIP_3) | instid1(VALU_DEP_2)
	s_or_b32 exec_lo, exec_lo, s22
	v_dual_mov_b32 v148, v30 :: v_dual_add_nc_u32 v57, 10, v64
	v_mov_b32_e32 v147, v29
	s_mov_b32 s22, exec_lo
	v_cmpx_gt_u32_e64 s3, v57
	s_cbranch_execz .LBB1415_541
; %bb.531:
	v_cmp_ne_u32_e32 vcc_lo, 1, v63
	s_cbranch_vccnz .LBB1415_538
; %bb.532:
	v_mul_lo_u32 v61, v30, s8
	v_mul_lo_u32 v62, v29, s9
	v_mad_u64_u32 v[57:58], null, v29, s8, 0
	v_mul_lo_u32 v65, v28, s8
	v_mul_lo_u32 v66, v27, s9
	v_mad_u64_u32 v[59:60], null, v27, s8, 0
	v_mov_b32_e32 v147, 1
	v_mov_b32_e32 v148, 0
	v_add3_u32 v58, v58, v62, v61
	s_mov_b32 s23, exec_lo
	s_delay_alu instid0(VALU_DEP_4) | instskip(NEXT) | instid1(VALU_DEP_2)
	v_add3_u32 v60, v60, v66, v65
	v_lshlrev_b64 v[57:58], 1, v[57:58]
	s_delay_alu instid0(VALU_DEP_2) | instskip(NEXT) | instid1(VALU_DEP_2)
	v_lshlrev_b64 v[61:62], 1, v[59:60]
	v_add_co_u32 v59, vcc_lo, s10, v57
	s_delay_alu instid0(VALU_DEP_3) | instskip(NEXT) | instid1(VALU_DEP_3)
	v_add_co_ci_u32_e32 v60, vcc_lo, s11, v58, vcc_lo
	v_add_co_u32 v57, vcc_lo, s10, v61
	s_delay_alu instid0(VALU_DEP_4)
	v_add_co_ci_u32_e32 v58, vcc_lo, s11, v62, vcc_lo
	s_clause 0x1
	global_load_u16 v61, v[59:60], off
	global_load_u16 v62, v[57:58], off
	s_waitcnt vmcnt(0)
	v_cmpx_eq_u16_e64 v61, v62
	s_cbranch_execz .LBB1415_540
; %bb.533:
	v_add_co_u32 v57, vcc_lo, v57, 2
	v_add_co_ci_u32_e32 v58, vcc_lo, 0, v58, vcc_lo
	v_add_co_u32 v59, vcc_lo, v59, 2
	v_add_co_ci_u32_e32 v60, vcc_lo, 0, v60, vcc_lo
	s_add_u32 s14, s8, -1
	s_addc_u32 s15, s9, -1
	s_mov_b64 s[20:21], 0
	s_mov_b32 s24, 0
                                        ; implicit-def: $sgpr25
	s_set_inst_prefetch_distance 0x1
	s_branch .LBB1415_536
	.p2align	6
.LBB1415_534:                           ;   in Loop: Header=BB1415_536 Depth=1
	global_load_u16 v61, v[59:60], off
	global_load_u16 v62, v[57:58], off
	v_add_co_u32 v57, vcc_lo, v57, 2
	v_add_co_ci_u32_e32 v58, vcc_lo, 0, v58, vcc_lo
	v_add_co_u32 v59, s0, v59, 2
	s_delay_alu instid0(VALU_DEP_1)
	v_add_co_ci_u32_e64 v60, s0, 0, v60, s0
	s_add_u32 s20, s20, 1
	s_addc_u32 s21, s21, 0
	s_and_not1_b32 s0, s25, exec_lo
	s_waitcnt vmcnt(0)
	v_cmp_ne_u16_e32 vcc_lo, v61, v62
	s_and_b32 s25, vcc_lo, exec_lo
	s_delay_alu instid0(SALU_CYCLE_1)
	s_or_b32 s25, s0, s25
.LBB1415_535:                           ;   in Loop: Header=BB1415_536 Depth=1
	v_dual_mov_b32 v62, s21 :: v_dual_mov_b32 v61, s20
	s_and_b32 s0, exec_lo, s25
	s_delay_alu instid0(SALU_CYCLE_1) | instskip(NEXT) | instid1(SALU_CYCLE_1)
	s_or_b32 s24, s0, s24
	s_and_not1_b32 exec_lo, exec_lo, s24
	s_cbranch_execz .LBB1415_539
.LBB1415_536:                           ; =>This Inner Loop Header: Depth=1
	s_or_b32 s25, s25, exec_lo
	s_cmp_eq_u64 s[14:15], s[20:21]
	s_cbranch_scc0 .LBB1415_534
; %bb.537:                              ;   in Loop: Header=BB1415_536 Depth=1
	s_mov_b64 s[20:21], s[8:9]
                                        ; implicit-def: $vgpr57_vgpr58
                                        ; implicit-def: $vgpr59_vgpr60
	s_branch .LBB1415_535
.LBB1415_538:
	v_mov_b32_e32 v147, 0
	v_mov_b32_e32 v148, 0
	s_branch .LBB1415_541
.LBB1415_539:
	s_set_inst_prefetch_distance 0x2
	s_or_b32 exec_lo, exec_lo, s24
	v_cmp_gt_i64_e32 vcc_lo, s[8:9], v[61:62]
	s_mov_b32 s0, 0
	s_delay_alu instid0(SALU_CYCLE_1)
	v_mov_b32_e32 v148, s0
	v_cndmask_b32_e64 v147, 0, 1, vcc_lo
.LBB1415_540:
	s_or_b32 exec_lo, exec_lo, s23
.LBB1415_541:
	s_delay_alu instid0(SALU_CYCLE_1) | instskip(SKIP_3) | instid1(VALU_DEP_2)
	s_or_b32 exec_lo, exec_lo, s22
	v_dual_mov_b32 v150, v28 :: v_dual_add_nc_u32 v57, 9, v64
	v_mov_b32_e32 v149, v27
	s_mov_b32 s22, exec_lo
	v_cmpx_gt_u32_e64 s3, v57
	s_cbranch_execz .LBB1415_552
; %bb.542:
	v_cmp_ne_u32_e32 vcc_lo, 1, v63
	s_cbranch_vccnz .LBB1415_549
; %bb.543:
	v_mul_lo_u32 v61, v28, s8
	v_mul_lo_u32 v62, v27, s9
	v_mad_u64_u32 v[57:58], null, v27, s8, 0
	v_mul_lo_u32 v65, v26, s8
	v_mul_lo_u32 v66, v25, s9
	v_mad_u64_u32 v[59:60], null, v25, s8, 0
	v_mov_b32_e32 v149, 1
	v_mov_b32_e32 v150, 0
	v_add3_u32 v58, v58, v62, v61
	s_mov_b32 s23, exec_lo
	s_delay_alu instid0(VALU_DEP_4) | instskip(NEXT) | instid1(VALU_DEP_2)
	v_add3_u32 v60, v60, v66, v65
	v_lshlrev_b64 v[57:58], 1, v[57:58]
	s_delay_alu instid0(VALU_DEP_2) | instskip(NEXT) | instid1(VALU_DEP_2)
	v_lshlrev_b64 v[61:62], 1, v[59:60]
	v_add_co_u32 v59, vcc_lo, s10, v57
	s_delay_alu instid0(VALU_DEP_3) | instskip(NEXT) | instid1(VALU_DEP_3)
	v_add_co_ci_u32_e32 v60, vcc_lo, s11, v58, vcc_lo
	v_add_co_u32 v57, vcc_lo, s10, v61
	s_delay_alu instid0(VALU_DEP_4)
	v_add_co_ci_u32_e32 v58, vcc_lo, s11, v62, vcc_lo
	s_clause 0x1
	global_load_u16 v61, v[59:60], off
	global_load_u16 v62, v[57:58], off
	s_waitcnt vmcnt(0)
	v_cmpx_eq_u16_e64 v61, v62
	s_cbranch_execz .LBB1415_551
; %bb.544:
	v_add_co_u32 v57, vcc_lo, v57, 2
	v_add_co_ci_u32_e32 v58, vcc_lo, 0, v58, vcc_lo
	v_add_co_u32 v59, vcc_lo, v59, 2
	v_add_co_ci_u32_e32 v60, vcc_lo, 0, v60, vcc_lo
	s_add_u32 s14, s8, -1
	s_addc_u32 s15, s9, -1
	s_mov_b64 s[20:21], 0
	s_mov_b32 s24, 0
                                        ; implicit-def: $sgpr25
	s_set_inst_prefetch_distance 0x1
	s_branch .LBB1415_547
	.p2align	6
.LBB1415_545:                           ;   in Loop: Header=BB1415_547 Depth=1
	global_load_u16 v61, v[59:60], off
	global_load_u16 v62, v[57:58], off
	v_add_co_u32 v57, vcc_lo, v57, 2
	v_add_co_ci_u32_e32 v58, vcc_lo, 0, v58, vcc_lo
	v_add_co_u32 v59, s0, v59, 2
	s_delay_alu instid0(VALU_DEP_1)
	v_add_co_ci_u32_e64 v60, s0, 0, v60, s0
	s_add_u32 s20, s20, 1
	s_addc_u32 s21, s21, 0
	s_and_not1_b32 s0, s25, exec_lo
	s_waitcnt vmcnt(0)
	v_cmp_ne_u16_e32 vcc_lo, v61, v62
	s_and_b32 s25, vcc_lo, exec_lo
	s_delay_alu instid0(SALU_CYCLE_1)
	s_or_b32 s25, s0, s25
.LBB1415_546:                           ;   in Loop: Header=BB1415_547 Depth=1
	v_dual_mov_b32 v62, s21 :: v_dual_mov_b32 v61, s20
	s_and_b32 s0, exec_lo, s25
	s_delay_alu instid0(SALU_CYCLE_1) | instskip(NEXT) | instid1(SALU_CYCLE_1)
	s_or_b32 s24, s0, s24
	s_and_not1_b32 exec_lo, exec_lo, s24
	s_cbranch_execz .LBB1415_550
.LBB1415_547:                           ; =>This Inner Loop Header: Depth=1
	s_or_b32 s25, s25, exec_lo
	s_cmp_eq_u64 s[14:15], s[20:21]
	s_cbranch_scc0 .LBB1415_545
; %bb.548:                              ;   in Loop: Header=BB1415_547 Depth=1
	s_mov_b64 s[20:21], s[8:9]
                                        ; implicit-def: $vgpr57_vgpr58
                                        ; implicit-def: $vgpr59_vgpr60
	s_branch .LBB1415_546
.LBB1415_549:
	v_mov_b32_e32 v149, 0
	v_mov_b32_e32 v150, 0
	s_branch .LBB1415_552
.LBB1415_550:
	s_set_inst_prefetch_distance 0x2
	s_or_b32 exec_lo, exec_lo, s24
	v_cmp_gt_i64_e32 vcc_lo, s[8:9], v[61:62]
	s_mov_b32 s0, 0
	s_delay_alu instid0(SALU_CYCLE_1)
	v_mov_b32_e32 v150, s0
	v_cndmask_b32_e64 v149, 0, 1, vcc_lo
.LBB1415_551:
	s_or_b32 exec_lo, exec_lo, s23
.LBB1415_552:
	s_delay_alu instid0(SALU_CYCLE_1) | instskip(SKIP_3) | instid1(VALU_DEP_2)
	s_or_b32 exec_lo, exec_lo, s22
	v_dual_mov_b32 v152, v26 :: v_dual_add_nc_u32 v57, 8, v64
	v_mov_b32_e32 v151, v25
	s_mov_b32 s22, exec_lo
	v_cmpx_gt_u32_e64 s3, v57
	s_cbranch_execz .LBB1415_563
; %bb.553:
	v_cmp_ne_u32_e32 vcc_lo, 1, v63
	s_cbranch_vccnz .LBB1415_560
; %bb.554:
	v_mul_lo_u32 v61, v26, s8
	v_mul_lo_u32 v62, v25, s9
	v_mad_u64_u32 v[57:58], null, v25, s8, 0
	v_mul_lo_u32 v65, v24, s8
	v_mul_lo_u32 v66, v23, s9
	v_mad_u64_u32 v[59:60], null, v23, s8, 0
	v_mov_b32_e32 v151, 1
	v_mov_b32_e32 v152, 0
	v_add3_u32 v58, v58, v62, v61
	s_mov_b32 s23, exec_lo
	s_delay_alu instid0(VALU_DEP_4) | instskip(NEXT) | instid1(VALU_DEP_2)
	v_add3_u32 v60, v60, v66, v65
	v_lshlrev_b64 v[57:58], 1, v[57:58]
	s_delay_alu instid0(VALU_DEP_2) | instskip(NEXT) | instid1(VALU_DEP_2)
	v_lshlrev_b64 v[61:62], 1, v[59:60]
	v_add_co_u32 v59, vcc_lo, s10, v57
	s_delay_alu instid0(VALU_DEP_3) | instskip(NEXT) | instid1(VALU_DEP_3)
	v_add_co_ci_u32_e32 v60, vcc_lo, s11, v58, vcc_lo
	v_add_co_u32 v57, vcc_lo, s10, v61
	s_delay_alu instid0(VALU_DEP_4)
	v_add_co_ci_u32_e32 v58, vcc_lo, s11, v62, vcc_lo
	s_clause 0x1
	global_load_u16 v61, v[59:60], off
	global_load_u16 v62, v[57:58], off
	s_waitcnt vmcnt(0)
	v_cmpx_eq_u16_e64 v61, v62
	s_cbranch_execz .LBB1415_562
; %bb.555:
	v_add_co_u32 v57, vcc_lo, v57, 2
	v_add_co_ci_u32_e32 v58, vcc_lo, 0, v58, vcc_lo
	v_add_co_u32 v59, vcc_lo, v59, 2
	v_add_co_ci_u32_e32 v60, vcc_lo, 0, v60, vcc_lo
	s_add_u32 s14, s8, -1
	s_addc_u32 s15, s9, -1
	s_mov_b64 s[20:21], 0
	s_mov_b32 s24, 0
                                        ; implicit-def: $sgpr25
	s_set_inst_prefetch_distance 0x1
	s_branch .LBB1415_558
	.p2align	6
.LBB1415_556:                           ;   in Loop: Header=BB1415_558 Depth=1
	global_load_u16 v61, v[59:60], off
	global_load_u16 v62, v[57:58], off
	v_add_co_u32 v57, vcc_lo, v57, 2
	v_add_co_ci_u32_e32 v58, vcc_lo, 0, v58, vcc_lo
	v_add_co_u32 v59, s0, v59, 2
	s_delay_alu instid0(VALU_DEP_1)
	v_add_co_ci_u32_e64 v60, s0, 0, v60, s0
	s_add_u32 s20, s20, 1
	s_addc_u32 s21, s21, 0
	s_and_not1_b32 s0, s25, exec_lo
	s_waitcnt vmcnt(0)
	v_cmp_ne_u16_e32 vcc_lo, v61, v62
	s_and_b32 s25, vcc_lo, exec_lo
	s_delay_alu instid0(SALU_CYCLE_1)
	s_or_b32 s25, s0, s25
.LBB1415_557:                           ;   in Loop: Header=BB1415_558 Depth=1
	v_dual_mov_b32 v62, s21 :: v_dual_mov_b32 v61, s20
	s_and_b32 s0, exec_lo, s25
	s_delay_alu instid0(SALU_CYCLE_1) | instskip(NEXT) | instid1(SALU_CYCLE_1)
	s_or_b32 s24, s0, s24
	s_and_not1_b32 exec_lo, exec_lo, s24
	s_cbranch_execz .LBB1415_561
.LBB1415_558:                           ; =>This Inner Loop Header: Depth=1
	s_or_b32 s25, s25, exec_lo
	s_cmp_eq_u64 s[14:15], s[20:21]
	s_cbranch_scc0 .LBB1415_556
; %bb.559:                              ;   in Loop: Header=BB1415_558 Depth=1
	s_mov_b64 s[20:21], s[8:9]
                                        ; implicit-def: $vgpr57_vgpr58
                                        ; implicit-def: $vgpr59_vgpr60
	s_branch .LBB1415_557
.LBB1415_560:
	v_mov_b32_e32 v151, 0
	v_mov_b32_e32 v152, 0
	s_branch .LBB1415_563
.LBB1415_561:
	s_set_inst_prefetch_distance 0x2
	s_or_b32 exec_lo, exec_lo, s24
	v_cmp_gt_i64_e32 vcc_lo, s[8:9], v[61:62]
	s_mov_b32 s0, 0
	s_delay_alu instid0(SALU_CYCLE_1)
	v_mov_b32_e32 v152, s0
	v_cndmask_b32_e64 v151, 0, 1, vcc_lo
.LBB1415_562:
	s_or_b32 exec_lo, exec_lo, s23
.LBB1415_563:
	s_delay_alu instid0(SALU_CYCLE_1) | instskip(SKIP_3) | instid1(VALU_DEP_2)
	s_or_b32 exec_lo, exec_lo, s22
	v_dual_mov_b32 v154, v24 :: v_dual_add_nc_u32 v57, 7, v64
	v_mov_b32_e32 v153, v23
	s_mov_b32 s22, exec_lo
	v_cmpx_gt_u32_e64 s3, v57
	s_cbranch_execz .LBB1415_574
; %bb.564:
	v_cmp_ne_u32_e32 vcc_lo, 1, v63
	s_cbranch_vccnz .LBB1415_571
; %bb.565:
	v_mul_lo_u32 v61, v24, s8
	v_mul_lo_u32 v62, v23, s9
	v_mad_u64_u32 v[57:58], null, v23, s8, 0
	v_mul_lo_u32 v65, v22, s8
	v_mul_lo_u32 v66, v21, s9
	v_mad_u64_u32 v[59:60], null, v21, s8, 0
	v_mov_b32_e32 v153, 1
	v_mov_b32_e32 v154, 0
	v_add3_u32 v58, v58, v62, v61
	s_mov_b32 s23, exec_lo
	s_delay_alu instid0(VALU_DEP_4) | instskip(NEXT) | instid1(VALU_DEP_2)
	v_add3_u32 v60, v60, v66, v65
	v_lshlrev_b64 v[57:58], 1, v[57:58]
	s_delay_alu instid0(VALU_DEP_2) | instskip(NEXT) | instid1(VALU_DEP_2)
	v_lshlrev_b64 v[61:62], 1, v[59:60]
	v_add_co_u32 v59, vcc_lo, s10, v57
	s_delay_alu instid0(VALU_DEP_3) | instskip(NEXT) | instid1(VALU_DEP_3)
	v_add_co_ci_u32_e32 v60, vcc_lo, s11, v58, vcc_lo
	v_add_co_u32 v57, vcc_lo, s10, v61
	s_delay_alu instid0(VALU_DEP_4)
	v_add_co_ci_u32_e32 v58, vcc_lo, s11, v62, vcc_lo
	s_clause 0x1
	global_load_u16 v61, v[59:60], off
	global_load_u16 v62, v[57:58], off
	s_waitcnt vmcnt(0)
	v_cmpx_eq_u16_e64 v61, v62
	s_cbranch_execz .LBB1415_573
; %bb.566:
	v_add_co_u32 v57, vcc_lo, v57, 2
	v_add_co_ci_u32_e32 v58, vcc_lo, 0, v58, vcc_lo
	v_add_co_u32 v59, vcc_lo, v59, 2
	v_add_co_ci_u32_e32 v60, vcc_lo, 0, v60, vcc_lo
	s_add_u32 s14, s8, -1
	s_addc_u32 s15, s9, -1
	s_mov_b64 s[20:21], 0
	s_mov_b32 s24, 0
                                        ; implicit-def: $sgpr25
	s_set_inst_prefetch_distance 0x1
	s_branch .LBB1415_569
	.p2align	6
.LBB1415_567:                           ;   in Loop: Header=BB1415_569 Depth=1
	global_load_u16 v61, v[59:60], off
	global_load_u16 v62, v[57:58], off
	v_add_co_u32 v57, vcc_lo, v57, 2
	v_add_co_ci_u32_e32 v58, vcc_lo, 0, v58, vcc_lo
	v_add_co_u32 v59, s0, v59, 2
	s_delay_alu instid0(VALU_DEP_1)
	v_add_co_ci_u32_e64 v60, s0, 0, v60, s0
	s_add_u32 s20, s20, 1
	s_addc_u32 s21, s21, 0
	s_and_not1_b32 s0, s25, exec_lo
	s_waitcnt vmcnt(0)
	v_cmp_ne_u16_e32 vcc_lo, v61, v62
	s_and_b32 s25, vcc_lo, exec_lo
	s_delay_alu instid0(SALU_CYCLE_1)
	s_or_b32 s25, s0, s25
.LBB1415_568:                           ;   in Loop: Header=BB1415_569 Depth=1
	v_dual_mov_b32 v62, s21 :: v_dual_mov_b32 v61, s20
	s_and_b32 s0, exec_lo, s25
	s_delay_alu instid0(SALU_CYCLE_1) | instskip(NEXT) | instid1(SALU_CYCLE_1)
	s_or_b32 s24, s0, s24
	s_and_not1_b32 exec_lo, exec_lo, s24
	s_cbranch_execz .LBB1415_572
.LBB1415_569:                           ; =>This Inner Loop Header: Depth=1
	s_or_b32 s25, s25, exec_lo
	s_cmp_eq_u64 s[14:15], s[20:21]
	s_cbranch_scc0 .LBB1415_567
; %bb.570:                              ;   in Loop: Header=BB1415_569 Depth=1
	s_mov_b64 s[20:21], s[8:9]
                                        ; implicit-def: $vgpr57_vgpr58
                                        ; implicit-def: $vgpr59_vgpr60
	s_branch .LBB1415_568
.LBB1415_571:
	v_mov_b32_e32 v153, 0
	v_mov_b32_e32 v154, 0
	s_branch .LBB1415_574
.LBB1415_572:
	s_set_inst_prefetch_distance 0x2
	s_or_b32 exec_lo, exec_lo, s24
	v_cmp_gt_i64_e32 vcc_lo, s[8:9], v[61:62]
	s_mov_b32 s0, 0
	s_delay_alu instid0(SALU_CYCLE_1)
	v_mov_b32_e32 v154, s0
	v_cndmask_b32_e64 v153, 0, 1, vcc_lo
.LBB1415_573:
	s_or_b32 exec_lo, exec_lo, s23
.LBB1415_574:
	s_delay_alu instid0(SALU_CYCLE_1) | instskip(SKIP_3) | instid1(VALU_DEP_2)
	s_or_b32 exec_lo, exec_lo, s22
	v_dual_mov_b32 v156, v22 :: v_dual_add_nc_u32 v57, 6, v64
	v_mov_b32_e32 v155, v21
	s_mov_b32 s22, exec_lo
	v_cmpx_gt_u32_e64 s3, v57
	s_cbranch_execz .LBB1415_585
; %bb.575:
	v_cmp_ne_u32_e32 vcc_lo, 1, v63
	s_cbranch_vccnz .LBB1415_582
; %bb.576:
	v_mul_lo_u32 v61, v22, s8
	v_mul_lo_u32 v62, v21, s9
	v_mad_u64_u32 v[57:58], null, v21, s8, 0
	v_mul_lo_u32 v65, v20, s8
	v_mul_lo_u32 v66, v19, s9
	v_mad_u64_u32 v[59:60], null, v19, s8, 0
	v_mov_b32_e32 v155, 1
	v_mov_b32_e32 v156, 0
	v_add3_u32 v58, v58, v62, v61
	s_mov_b32 s23, exec_lo
	s_delay_alu instid0(VALU_DEP_4) | instskip(NEXT) | instid1(VALU_DEP_2)
	v_add3_u32 v60, v60, v66, v65
	v_lshlrev_b64 v[57:58], 1, v[57:58]
	s_delay_alu instid0(VALU_DEP_2) | instskip(NEXT) | instid1(VALU_DEP_2)
	v_lshlrev_b64 v[61:62], 1, v[59:60]
	v_add_co_u32 v59, vcc_lo, s10, v57
	s_delay_alu instid0(VALU_DEP_3) | instskip(NEXT) | instid1(VALU_DEP_3)
	v_add_co_ci_u32_e32 v60, vcc_lo, s11, v58, vcc_lo
	v_add_co_u32 v57, vcc_lo, s10, v61
	s_delay_alu instid0(VALU_DEP_4)
	v_add_co_ci_u32_e32 v58, vcc_lo, s11, v62, vcc_lo
	s_clause 0x1
	global_load_u16 v61, v[59:60], off
	global_load_u16 v62, v[57:58], off
	s_waitcnt vmcnt(0)
	v_cmpx_eq_u16_e64 v61, v62
	s_cbranch_execz .LBB1415_584
; %bb.577:
	v_add_co_u32 v57, vcc_lo, v57, 2
	v_add_co_ci_u32_e32 v58, vcc_lo, 0, v58, vcc_lo
	v_add_co_u32 v59, vcc_lo, v59, 2
	v_add_co_ci_u32_e32 v60, vcc_lo, 0, v60, vcc_lo
	s_add_u32 s14, s8, -1
	s_addc_u32 s15, s9, -1
	s_mov_b64 s[20:21], 0
	s_mov_b32 s24, 0
                                        ; implicit-def: $sgpr25
	s_set_inst_prefetch_distance 0x1
	s_branch .LBB1415_580
	.p2align	6
.LBB1415_578:                           ;   in Loop: Header=BB1415_580 Depth=1
	global_load_u16 v61, v[59:60], off
	global_load_u16 v62, v[57:58], off
	v_add_co_u32 v57, vcc_lo, v57, 2
	v_add_co_ci_u32_e32 v58, vcc_lo, 0, v58, vcc_lo
	v_add_co_u32 v59, s0, v59, 2
	s_delay_alu instid0(VALU_DEP_1)
	v_add_co_ci_u32_e64 v60, s0, 0, v60, s0
	s_add_u32 s20, s20, 1
	s_addc_u32 s21, s21, 0
	s_and_not1_b32 s0, s25, exec_lo
	s_waitcnt vmcnt(0)
	v_cmp_ne_u16_e32 vcc_lo, v61, v62
	s_and_b32 s25, vcc_lo, exec_lo
	s_delay_alu instid0(SALU_CYCLE_1)
	s_or_b32 s25, s0, s25
.LBB1415_579:                           ;   in Loop: Header=BB1415_580 Depth=1
	v_dual_mov_b32 v62, s21 :: v_dual_mov_b32 v61, s20
	s_and_b32 s0, exec_lo, s25
	s_delay_alu instid0(SALU_CYCLE_1) | instskip(NEXT) | instid1(SALU_CYCLE_1)
	s_or_b32 s24, s0, s24
	s_and_not1_b32 exec_lo, exec_lo, s24
	s_cbranch_execz .LBB1415_583
.LBB1415_580:                           ; =>This Inner Loop Header: Depth=1
	s_or_b32 s25, s25, exec_lo
	s_cmp_eq_u64 s[14:15], s[20:21]
	s_cbranch_scc0 .LBB1415_578
; %bb.581:                              ;   in Loop: Header=BB1415_580 Depth=1
	s_mov_b64 s[20:21], s[8:9]
                                        ; implicit-def: $vgpr57_vgpr58
                                        ; implicit-def: $vgpr59_vgpr60
	s_branch .LBB1415_579
.LBB1415_582:
	v_mov_b32_e32 v155, 0
	v_mov_b32_e32 v156, 0
	s_branch .LBB1415_585
.LBB1415_583:
	s_set_inst_prefetch_distance 0x2
	s_or_b32 exec_lo, exec_lo, s24
	v_cmp_gt_i64_e32 vcc_lo, s[8:9], v[61:62]
	s_mov_b32 s0, 0
	s_delay_alu instid0(SALU_CYCLE_1)
	v_mov_b32_e32 v156, s0
	v_cndmask_b32_e64 v155, 0, 1, vcc_lo
.LBB1415_584:
	s_or_b32 exec_lo, exec_lo, s23
.LBB1415_585:
	s_delay_alu instid0(SALU_CYCLE_1) | instskip(SKIP_3) | instid1(VALU_DEP_2)
	s_or_b32 exec_lo, exec_lo, s22
	v_dual_mov_b32 v158, v20 :: v_dual_add_nc_u32 v57, 5, v64
	v_mov_b32_e32 v157, v19
	s_mov_b32 s22, exec_lo
	v_cmpx_gt_u32_e64 s3, v57
	s_cbranch_execz .LBB1415_596
; %bb.586:
	v_cmp_ne_u32_e32 vcc_lo, 1, v63
	s_cbranch_vccnz .LBB1415_593
; %bb.587:
	v_mul_lo_u32 v61, v20, s8
	v_mul_lo_u32 v62, v19, s9
	v_mad_u64_u32 v[57:58], null, v19, s8, 0
	v_mul_lo_u32 v65, v18, s8
	v_mul_lo_u32 v66, v17, s9
	v_mad_u64_u32 v[59:60], null, v17, s8, 0
	v_mov_b32_e32 v157, 1
	v_mov_b32_e32 v158, 0
	v_add3_u32 v58, v58, v62, v61
	s_mov_b32 s23, exec_lo
	s_delay_alu instid0(VALU_DEP_4) | instskip(NEXT) | instid1(VALU_DEP_2)
	v_add3_u32 v60, v60, v66, v65
	v_lshlrev_b64 v[57:58], 1, v[57:58]
	s_delay_alu instid0(VALU_DEP_2) | instskip(NEXT) | instid1(VALU_DEP_2)
	v_lshlrev_b64 v[61:62], 1, v[59:60]
	v_add_co_u32 v59, vcc_lo, s10, v57
	s_delay_alu instid0(VALU_DEP_3) | instskip(NEXT) | instid1(VALU_DEP_3)
	v_add_co_ci_u32_e32 v60, vcc_lo, s11, v58, vcc_lo
	v_add_co_u32 v57, vcc_lo, s10, v61
	s_delay_alu instid0(VALU_DEP_4)
	v_add_co_ci_u32_e32 v58, vcc_lo, s11, v62, vcc_lo
	s_clause 0x1
	global_load_u16 v61, v[59:60], off
	global_load_u16 v62, v[57:58], off
	s_waitcnt vmcnt(0)
	v_cmpx_eq_u16_e64 v61, v62
	s_cbranch_execz .LBB1415_595
; %bb.588:
	v_add_co_u32 v57, vcc_lo, v57, 2
	v_add_co_ci_u32_e32 v58, vcc_lo, 0, v58, vcc_lo
	v_add_co_u32 v59, vcc_lo, v59, 2
	v_add_co_ci_u32_e32 v60, vcc_lo, 0, v60, vcc_lo
	s_add_u32 s14, s8, -1
	s_addc_u32 s15, s9, -1
	s_mov_b64 s[20:21], 0
	s_mov_b32 s24, 0
                                        ; implicit-def: $sgpr25
	s_set_inst_prefetch_distance 0x1
	s_branch .LBB1415_591
	.p2align	6
.LBB1415_589:                           ;   in Loop: Header=BB1415_591 Depth=1
	global_load_u16 v61, v[59:60], off
	global_load_u16 v62, v[57:58], off
	v_add_co_u32 v57, vcc_lo, v57, 2
	v_add_co_ci_u32_e32 v58, vcc_lo, 0, v58, vcc_lo
	v_add_co_u32 v59, s0, v59, 2
	s_delay_alu instid0(VALU_DEP_1)
	v_add_co_ci_u32_e64 v60, s0, 0, v60, s0
	s_add_u32 s20, s20, 1
	s_addc_u32 s21, s21, 0
	s_and_not1_b32 s0, s25, exec_lo
	s_waitcnt vmcnt(0)
	v_cmp_ne_u16_e32 vcc_lo, v61, v62
	s_and_b32 s25, vcc_lo, exec_lo
	s_delay_alu instid0(SALU_CYCLE_1)
	s_or_b32 s25, s0, s25
.LBB1415_590:                           ;   in Loop: Header=BB1415_591 Depth=1
	v_dual_mov_b32 v62, s21 :: v_dual_mov_b32 v61, s20
	s_and_b32 s0, exec_lo, s25
	s_delay_alu instid0(SALU_CYCLE_1) | instskip(NEXT) | instid1(SALU_CYCLE_1)
	s_or_b32 s24, s0, s24
	s_and_not1_b32 exec_lo, exec_lo, s24
	s_cbranch_execz .LBB1415_594
.LBB1415_591:                           ; =>This Inner Loop Header: Depth=1
	s_or_b32 s25, s25, exec_lo
	s_cmp_eq_u64 s[14:15], s[20:21]
	s_cbranch_scc0 .LBB1415_589
; %bb.592:                              ;   in Loop: Header=BB1415_591 Depth=1
	s_mov_b64 s[20:21], s[8:9]
                                        ; implicit-def: $vgpr57_vgpr58
                                        ; implicit-def: $vgpr59_vgpr60
	s_branch .LBB1415_590
.LBB1415_593:
	v_mov_b32_e32 v157, 0
	v_mov_b32_e32 v158, 0
	s_branch .LBB1415_596
.LBB1415_594:
	s_set_inst_prefetch_distance 0x2
	s_or_b32 exec_lo, exec_lo, s24
	v_cmp_gt_i64_e32 vcc_lo, s[8:9], v[61:62]
	s_mov_b32 s0, 0
	s_delay_alu instid0(SALU_CYCLE_1)
	v_mov_b32_e32 v158, s0
	v_cndmask_b32_e64 v157, 0, 1, vcc_lo
.LBB1415_595:
	s_or_b32 exec_lo, exec_lo, s23
.LBB1415_596:
	s_delay_alu instid0(SALU_CYCLE_1) | instskip(SKIP_3) | instid1(VALU_DEP_2)
	s_or_b32 exec_lo, exec_lo, s22
	v_dual_mov_b32 v160, v18 :: v_dual_add_nc_u32 v57, 4, v64
	v_mov_b32_e32 v159, v17
	s_mov_b32 s22, exec_lo
	v_cmpx_gt_u32_e64 s3, v57
	s_cbranch_execz .LBB1415_607
; %bb.597:
	v_cmp_ne_u32_e32 vcc_lo, 1, v63
	s_cbranch_vccnz .LBB1415_604
; %bb.598:
	v_mul_lo_u32 v61, v18, s8
	v_mul_lo_u32 v62, v17, s9
	v_mad_u64_u32 v[57:58], null, v17, s8, 0
	v_mul_lo_u32 v65, v16, s8
	v_mul_lo_u32 v66, v15, s9
	v_mad_u64_u32 v[59:60], null, v15, s8, 0
	v_mov_b32_e32 v159, 1
	v_mov_b32_e32 v160, 0
	v_add3_u32 v58, v58, v62, v61
	s_mov_b32 s23, exec_lo
	s_delay_alu instid0(VALU_DEP_4) | instskip(NEXT) | instid1(VALU_DEP_2)
	v_add3_u32 v60, v60, v66, v65
	v_lshlrev_b64 v[57:58], 1, v[57:58]
	s_delay_alu instid0(VALU_DEP_2) | instskip(NEXT) | instid1(VALU_DEP_2)
	v_lshlrev_b64 v[61:62], 1, v[59:60]
	v_add_co_u32 v59, vcc_lo, s10, v57
	s_delay_alu instid0(VALU_DEP_3) | instskip(NEXT) | instid1(VALU_DEP_3)
	v_add_co_ci_u32_e32 v60, vcc_lo, s11, v58, vcc_lo
	v_add_co_u32 v57, vcc_lo, s10, v61
	s_delay_alu instid0(VALU_DEP_4)
	v_add_co_ci_u32_e32 v58, vcc_lo, s11, v62, vcc_lo
	s_clause 0x1
	global_load_u16 v61, v[59:60], off
	global_load_u16 v62, v[57:58], off
	s_waitcnt vmcnt(0)
	v_cmpx_eq_u16_e64 v61, v62
	s_cbranch_execz .LBB1415_606
; %bb.599:
	v_add_co_u32 v57, vcc_lo, v57, 2
	v_add_co_ci_u32_e32 v58, vcc_lo, 0, v58, vcc_lo
	v_add_co_u32 v59, vcc_lo, v59, 2
	v_add_co_ci_u32_e32 v60, vcc_lo, 0, v60, vcc_lo
	s_add_u32 s14, s8, -1
	s_addc_u32 s15, s9, -1
	s_mov_b64 s[20:21], 0
	s_mov_b32 s24, 0
                                        ; implicit-def: $sgpr25
	s_set_inst_prefetch_distance 0x1
	s_branch .LBB1415_602
	.p2align	6
.LBB1415_600:                           ;   in Loop: Header=BB1415_602 Depth=1
	global_load_u16 v61, v[59:60], off
	global_load_u16 v62, v[57:58], off
	v_add_co_u32 v57, vcc_lo, v57, 2
	v_add_co_ci_u32_e32 v58, vcc_lo, 0, v58, vcc_lo
	v_add_co_u32 v59, s0, v59, 2
	s_delay_alu instid0(VALU_DEP_1)
	v_add_co_ci_u32_e64 v60, s0, 0, v60, s0
	s_add_u32 s20, s20, 1
	s_addc_u32 s21, s21, 0
	s_and_not1_b32 s0, s25, exec_lo
	s_waitcnt vmcnt(0)
	v_cmp_ne_u16_e32 vcc_lo, v61, v62
	s_and_b32 s25, vcc_lo, exec_lo
	s_delay_alu instid0(SALU_CYCLE_1)
	s_or_b32 s25, s0, s25
.LBB1415_601:                           ;   in Loop: Header=BB1415_602 Depth=1
	v_dual_mov_b32 v62, s21 :: v_dual_mov_b32 v61, s20
	s_and_b32 s0, exec_lo, s25
	s_delay_alu instid0(SALU_CYCLE_1) | instskip(NEXT) | instid1(SALU_CYCLE_1)
	s_or_b32 s24, s0, s24
	s_and_not1_b32 exec_lo, exec_lo, s24
	s_cbranch_execz .LBB1415_605
.LBB1415_602:                           ; =>This Inner Loop Header: Depth=1
	s_or_b32 s25, s25, exec_lo
	s_cmp_eq_u64 s[14:15], s[20:21]
	s_cbranch_scc0 .LBB1415_600
; %bb.603:                              ;   in Loop: Header=BB1415_602 Depth=1
	s_mov_b64 s[20:21], s[8:9]
                                        ; implicit-def: $vgpr57_vgpr58
                                        ; implicit-def: $vgpr59_vgpr60
	s_branch .LBB1415_601
.LBB1415_604:
	v_mov_b32_e32 v159, 0
	v_mov_b32_e32 v160, 0
	s_branch .LBB1415_607
.LBB1415_605:
	s_set_inst_prefetch_distance 0x2
	s_or_b32 exec_lo, exec_lo, s24
	v_cmp_gt_i64_e32 vcc_lo, s[8:9], v[61:62]
	s_mov_b32 s0, 0
	s_delay_alu instid0(SALU_CYCLE_1)
	v_mov_b32_e32 v160, s0
	v_cndmask_b32_e64 v159, 0, 1, vcc_lo
.LBB1415_606:
	s_or_b32 exec_lo, exec_lo, s23
.LBB1415_607:
	s_delay_alu instid0(SALU_CYCLE_1) | instskip(SKIP_3) | instid1(VALU_DEP_2)
	s_or_b32 exec_lo, exec_lo, s22
	v_dual_mov_b32 v162, v16 :: v_dual_add_nc_u32 v57, 3, v64
	v_mov_b32_e32 v161, v15
	s_mov_b32 s22, exec_lo
	v_cmpx_gt_u32_e64 s3, v57
	s_cbranch_execz .LBB1415_618
; %bb.608:
	v_cmp_ne_u32_e32 vcc_lo, 1, v63
	s_cbranch_vccnz .LBB1415_615
; %bb.609:
	v_mul_lo_u32 v61, v16, s8
	v_mul_lo_u32 v62, v15, s9
	v_mad_u64_u32 v[57:58], null, v15, s8, 0
	v_mul_lo_u32 v65, v14, s8
	v_mul_lo_u32 v66, v13, s9
	v_mad_u64_u32 v[59:60], null, v13, s8, 0
	v_mov_b32_e32 v161, 1
	v_mov_b32_e32 v162, 0
	v_add3_u32 v58, v58, v62, v61
	s_mov_b32 s23, exec_lo
	s_delay_alu instid0(VALU_DEP_4) | instskip(NEXT) | instid1(VALU_DEP_2)
	v_add3_u32 v60, v60, v66, v65
	v_lshlrev_b64 v[57:58], 1, v[57:58]
	s_delay_alu instid0(VALU_DEP_2) | instskip(NEXT) | instid1(VALU_DEP_2)
	v_lshlrev_b64 v[61:62], 1, v[59:60]
	v_add_co_u32 v59, vcc_lo, s10, v57
	s_delay_alu instid0(VALU_DEP_3) | instskip(NEXT) | instid1(VALU_DEP_3)
	v_add_co_ci_u32_e32 v60, vcc_lo, s11, v58, vcc_lo
	v_add_co_u32 v57, vcc_lo, s10, v61
	s_delay_alu instid0(VALU_DEP_4)
	v_add_co_ci_u32_e32 v58, vcc_lo, s11, v62, vcc_lo
	s_clause 0x1
	global_load_u16 v61, v[59:60], off
	global_load_u16 v62, v[57:58], off
	s_waitcnt vmcnt(0)
	v_cmpx_eq_u16_e64 v61, v62
	s_cbranch_execz .LBB1415_617
; %bb.610:
	v_add_co_u32 v57, vcc_lo, v57, 2
	v_add_co_ci_u32_e32 v58, vcc_lo, 0, v58, vcc_lo
	v_add_co_u32 v59, vcc_lo, v59, 2
	v_add_co_ci_u32_e32 v60, vcc_lo, 0, v60, vcc_lo
	s_add_u32 s14, s8, -1
	s_addc_u32 s15, s9, -1
	s_mov_b64 s[20:21], 0
	s_mov_b32 s24, 0
                                        ; implicit-def: $sgpr25
	s_set_inst_prefetch_distance 0x1
	s_branch .LBB1415_613
	.p2align	6
.LBB1415_611:                           ;   in Loop: Header=BB1415_613 Depth=1
	global_load_u16 v61, v[59:60], off
	global_load_u16 v62, v[57:58], off
	v_add_co_u32 v57, vcc_lo, v57, 2
	v_add_co_ci_u32_e32 v58, vcc_lo, 0, v58, vcc_lo
	v_add_co_u32 v59, s0, v59, 2
	s_delay_alu instid0(VALU_DEP_1)
	v_add_co_ci_u32_e64 v60, s0, 0, v60, s0
	s_add_u32 s20, s20, 1
	s_addc_u32 s21, s21, 0
	s_and_not1_b32 s0, s25, exec_lo
	s_waitcnt vmcnt(0)
	v_cmp_ne_u16_e32 vcc_lo, v61, v62
	s_and_b32 s25, vcc_lo, exec_lo
	s_delay_alu instid0(SALU_CYCLE_1)
	s_or_b32 s25, s0, s25
.LBB1415_612:                           ;   in Loop: Header=BB1415_613 Depth=1
	v_dual_mov_b32 v62, s21 :: v_dual_mov_b32 v61, s20
	s_and_b32 s0, exec_lo, s25
	s_delay_alu instid0(SALU_CYCLE_1) | instskip(NEXT) | instid1(SALU_CYCLE_1)
	s_or_b32 s24, s0, s24
	s_and_not1_b32 exec_lo, exec_lo, s24
	s_cbranch_execz .LBB1415_616
.LBB1415_613:                           ; =>This Inner Loop Header: Depth=1
	s_or_b32 s25, s25, exec_lo
	s_cmp_eq_u64 s[14:15], s[20:21]
	s_cbranch_scc0 .LBB1415_611
; %bb.614:                              ;   in Loop: Header=BB1415_613 Depth=1
	s_mov_b64 s[20:21], s[8:9]
                                        ; implicit-def: $vgpr57_vgpr58
                                        ; implicit-def: $vgpr59_vgpr60
	s_branch .LBB1415_612
.LBB1415_615:
	v_mov_b32_e32 v161, 0
	v_mov_b32_e32 v162, 0
	s_branch .LBB1415_618
.LBB1415_616:
	s_set_inst_prefetch_distance 0x2
	s_or_b32 exec_lo, exec_lo, s24
	v_cmp_gt_i64_e32 vcc_lo, s[8:9], v[61:62]
	s_mov_b32 s0, 0
	s_delay_alu instid0(SALU_CYCLE_1)
	v_mov_b32_e32 v162, s0
	v_cndmask_b32_e64 v161, 0, 1, vcc_lo
.LBB1415_617:
	s_or_b32 exec_lo, exec_lo, s23
.LBB1415_618:
	s_delay_alu instid0(SALU_CYCLE_1) | instskip(SKIP_3) | instid1(VALU_DEP_2)
	s_or_b32 exec_lo, exec_lo, s22
	v_dual_mov_b32 v164, v14 :: v_dual_add_nc_u32 v57, 2, v64
	v_mov_b32_e32 v163, v13
	s_mov_b32 s22, exec_lo
	v_cmpx_gt_u32_e64 s3, v57
	s_cbranch_execz .LBB1415_629
; %bb.619:
	v_cmp_ne_u32_e32 vcc_lo, 1, v63
	s_cbranch_vccnz .LBB1415_626
; %bb.620:
	v_mul_lo_u32 v61, v14, s8
	v_mul_lo_u32 v62, v13, s9
	v_mad_u64_u32 v[57:58], null, v13, s8, 0
	v_mul_lo_u32 v65, v4, s8
	v_mul_lo_u32 v66, v3, s9
	v_mad_u64_u32 v[59:60], null, v3, s8, 0
	v_mov_b32_e32 v163, 1
	v_mov_b32_e32 v164, 0
	v_add3_u32 v58, v58, v62, v61
	s_mov_b32 s23, exec_lo
	s_delay_alu instid0(VALU_DEP_4) | instskip(NEXT) | instid1(VALU_DEP_2)
	v_add3_u32 v60, v60, v66, v65
	v_lshlrev_b64 v[57:58], 1, v[57:58]
	s_delay_alu instid0(VALU_DEP_2) | instskip(NEXT) | instid1(VALU_DEP_2)
	v_lshlrev_b64 v[61:62], 1, v[59:60]
	v_add_co_u32 v59, vcc_lo, s10, v57
	s_delay_alu instid0(VALU_DEP_3) | instskip(NEXT) | instid1(VALU_DEP_3)
	v_add_co_ci_u32_e32 v60, vcc_lo, s11, v58, vcc_lo
	v_add_co_u32 v57, vcc_lo, s10, v61
	s_delay_alu instid0(VALU_DEP_4)
	v_add_co_ci_u32_e32 v58, vcc_lo, s11, v62, vcc_lo
	s_clause 0x1
	global_load_u16 v61, v[59:60], off
	global_load_u16 v62, v[57:58], off
	s_waitcnt vmcnt(0)
	v_cmpx_eq_u16_e64 v61, v62
	s_cbranch_execz .LBB1415_628
; %bb.621:
	v_add_co_u32 v57, vcc_lo, v57, 2
	v_add_co_ci_u32_e32 v58, vcc_lo, 0, v58, vcc_lo
	v_add_co_u32 v59, vcc_lo, v59, 2
	v_add_co_ci_u32_e32 v60, vcc_lo, 0, v60, vcc_lo
	s_add_u32 s14, s8, -1
	s_addc_u32 s15, s9, -1
	s_mov_b64 s[20:21], 0
	s_mov_b32 s24, 0
                                        ; implicit-def: $sgpr25
	s_set_inst_prefetch_distance 0x1
	s_branch .LBB1415_624
	.p2align	6
.LBB1415_622:                           ;   in Loop: Header=BB1415_624 Depth=1
	global_load_u16 v61, v[59:60], off
	global_load_u16 v62, v[57:58], off
	v_add_co_u32 v57, vcc_lo, v57, 2
	v_add_co_ci_u32_e32 v58, vcc_lo, 0, v58, vcc_lo
	v_add_co_u32 v59, s0, v59, 2
	s_delay_alu instid0(VALU_DEP_1)
	v_add_co_ci_u32_e64 v60, s0, 0, v60, s0
	s_add_u32 s20, s20, 1
	s_addc_u32 s21, s21, 0
	s_and_not1_b32 s0, s25, exec_lo
	s_waitcnt vmcnt(0)
	v_cmp_ne_u16_e32 vcc_lo, v61, v62
	s_and_b32 s25, vcc_lo, exec_lo
	s_delay_alu instid0(SALU_CYCLE_1)
	s_or_b32 s25, s0, s25
.LBB1415_623:                           ;   in Loop: Header=BB1415_624 Depth=1
	v_dual_mov_b32 v62, s21 :: v_dual_mov_b32 v61, s20
	s_and_b32 s0, exec_lo, s25
	s_delay_alu instid0(SALU_CYCLE_1) | instskip(NEXT) | instid1(SALU_CYCLE_1)
	s_or_b32 s24, s0, s24
	s_and_not1_b32 exec_lo, exec_lo, s24
	s_cbranch_execz .LBB1415_627
.LBB1415_624:                           ; =>This Inner Loop Header: Depth=1
	s_or_b32 s25, s25, exec_lo
	s_cmp_eq_u64 s[14:15], s[20:21]
	s_cbranch_scc0 .LBB1415_622
; %bb.625:                              ;   in Loop: Header=BB1415_624 Depth=1
	s_mov_b64 s[20:21], s[8:9]
                                        ; implicit-def: $vgpr57_vgpr58
                                        ; implicit-def: $vgpr59_vgpr60
	s_branch .LBB1415_623
.LBB1415_626:
	v_mov_b32_e32 v163, 0
	v_mov_b32_e32 v164, 0
	s_branch .LBB1415_629
.LBB1415_627:
	s_set_inst_prefetch_distance 0x2
	s_or_b32 exec_lo, exec_lo, s24
	v_cmp_gt_i64_e32 vcc_lo, s[8:9], v[61:62]
	s_mov_b32 s0, 0
	s_delay_alu instid0(SALU_CYCLE_1)
	v_mov_b32_e32 v164, s0
	v_cndmask_b32_e64 v163, 0, 1, vcc_lo
.LBB1415_628:
	s_or_b32 exec_lo, exec_lo, s23
.LBB1415_629:
	s_delay_alu instid0(SALU_CYCLE_1) | instskip(SKIP_3) | instid1(VALU_DEP_2)
	s_or_b32 exec_lo, exec_lo, s22
	v_dual_mov_b32 v166, v4 :: v_dual_add_nc_u32 v57, 1, v64
	v_mov_b32_e32 v165, v3
	s_mov_b32 s22, exec_lo
	v_cmpx_gt_u32_e64 s3, v57
	s_cbranch_execz .LBB1415_640
; %bb.630:
	v_cmp_ne_u32_e32 vcc_lo, 1, v63
	s_cbranch_vccnz .LBB1415_637
; %bb.631:
	v_mul_lo_u32 v61, v4, s8
	v_mul_lo_u32 v62, v3, s9
	v_mad_u64_u32 v[57:58], null, v3, s8, 0
	v_mul_lo_u32 v65, v2, s8
	v_mul_lo_u32 v66, v1, s9
	v_mad_u64_u32 v[59:60], null, v1, s8, 0
	v_mov_b32_e32 v165, 1
	v_mov_b32_e32 v166, 0
	v_add3_u32 v58, v58, v62, v61
	s_mov_b32 s23, exec_lo
	s_delay_alu instid0(VALU_DEP_4) | instskip(NEXT) | instid1(VALU_DEP_2)
	v_add3_u32 v60, v60, v66, v65
	v_lshlrev_b64 v[57:58], 1, v[57:58]
	s_delay_alu instid0(VALU_DEP_2) | instskip(NEXT) | instid1(VALU_DEP_2)
	v_lshlrev_b64 v[61:62], 1, v[59:60]
	v_add_co_u32 v59, vcc_lo, s10, v57
	s_delay_alu instid0(VALU_DEP_3) | instskip(NEXT) | instid1(VALU_DEP_3)
	v_add_co_ci_u32_e32 v60, vcc_lo, s11, v58, vcc_lo
	v_add_co_u32 v57, vcc_lo, s10, v61
	s_delay_alu instid0(VALU_DEP_4)
	v_add_co_ci_u32_e32 v58, vcc_lo, s11, v62, vcc_lo
	s_clause 0x1
	global_load_u16 v61, v[59:60], off
	global_load_u16 v62, v[57:58], off
	s_waitcnt vmcnt(0)
	v_cmpx_eq_u16_e64 v61, v62
	s_cbranch_execz .LBB1415_639
; %bb.632:
	v_add_co_u32 v57, vcc_lo, v57, 2
	v_add_co_ci_u32_e32 v58, vcc_lo, 0, v58, vcc_lo
	v_add_co_u32 v59, vcc_lo, v59, 2
	v_add_co_ci_u32_e32 v60, vcc_lo, 0, v60, vcc_lo
	s_add_u32 s14, s8, -1
	s_addc_u32 s15, s9, -1
	s_mov_b64 s[20:21], 0
	s_mov_b32 s24, 0
                                        ; implicit-def: $sgpr25
	s_set_inst_prefetch_distance 0x1
	s_branch .LBB1415_635
	.p2align	6
.LBB1415_633:                           ;   in Loop: Header=BB1415_635 Depth=1
	global_load_u16 v61, v[59:60], off
	global_load_u16 v62, v[57:58], off
	v_add_co_u32 v57, vcc_lo, v57, 2
	v_add_co_ci_u32_e32 v58, vcc_lo, 0, v58, vcc_lo
	v_add_co_u32 v59, s0, v59, 2
	s_delay_alu instid0(VALU_DEP_1)
	v_add_co_ci_u32_e64 v60, s0, 0, v60, s0
	s_add_u32 s20, s20, 1
	s_addc_u32 s21, s21, 0
	s_and_not1_b32 s0, s25, exec_lo
	s_waitcnt vmcnt(0)
	v_cmp_ne_u16_e32 vcc_lo, v61, v62
	s_and_b32 s25, vcc_lo, exec_lo
	s_delay_alu instid0(SALU_CYCLE_1)
	s_or_b32 s25, s0, s25
.LBB1415_634:                           ;   in Loop: Header=BB1415_635 Depth=1
	v_dual_mov_b32 v62, s21 :: v_dual_mov_b32 v61, s20
	s_and_b32 s0, exec_lo, s25
	s_delay_alu instid0(SALU_CYCLE_1) | instskip(NEXT) | instid1(SALU_CYCLE_1)
	s_or_b32 s24, s0, s24
	s_and_not1_b32 exec_lo, exec_lo, s24
	s_cbranch_execz .LBB1415_638
.LBB1415_635:                           ; =>This Inner Loop Header: Depth=1
	s_or_b32 s25, s25, exec_lo
	s_cmp_eq_u64 s[14:15], s[20:21]
	s_cbranch_scc0 .LBB1415_633
; %bb.636:                              ;   in Loop: Header=BB1415_635 Depth=1
	s_mov_b64 s[20:21], s[8:9]
                                        ; implicit-def: $vgpr57_vgpr58
                                        ; implicit-def: $vgpr59_vgpr60
	s_branch .LBB1415_634
.LBB1415_637:
	v_mov_b32_e32 v165, 0
	v_mov_b32_e32 v166, 0
	s_branch .LBB1415_640
.LBB1415_638:
	s_set_inst_prefetch_distance 0x2
	s_or_b32 exec_lo, exec_lo, s24
	v_cmp_gt_i64_e32 vcc_lo, s[8:9], v[61:62]
	s_mov_b32 s0, 0
	s_delay_alu instid0(SALU_CYCLE_1)
	v_mov_b32_e32 v166, s0
	v_cndmask_b32_e64 v165, 0, 1, vcc_lo
.LBB1415_639:
	s_or_b32 exec_lo, exec_lo, s23
.LBB1415_640:
	s_delay_alu instid0(SALU_CYCLE_1)
	s_or_b32 exec_lo, exec_lo, s22
	v_dual_mov_b32 v58, s13 :: v_dual_mov_b32 v57, s12
	s_mov_b32 s0, exec_lo
	s_waitcnt lgkmcnt(0)
	s_barrier
	buffer_gl0_inv
	v_cmpx_ne_u32_e32 0, v0
	s_cbranch_execz .LBB1415_642
; %bb.641:
	v_add_nc_u32_e32 v57, -8, v195
	ds_load_b64 v[57:58], v57
.LBB1415_642:
	s_or_b32 exec_lo, exec_lo, s0
	v_cmp_gt_u32_e32 vcc_lo, s3, v64
                                        ; implicit-def: $sgpr0
	s_and_saveexec_b32 s3, vcc_lo
	s_cbranch_execz .LBB1415_654
; %bb.643:
	v_cmp_ne_u32_e32 vcc_lo, 1, v63
	s_cbranch_vccnz .LBB1415_650
; %bb.644:
	v_mul_lo_u32 v63, v2, s8
	v_mul_lo_u32 v64, v1, s9
	v_mad_u64_u32 v[59:60], null, v1, s8, 0
	s_waitcnt lgkmcnt(0)
	v_mul_lo_u32 v58, v58, s8
	v_mul_lo_u32 v65, v57, s9
	v_mad_u64_u32 v[61:62], null, v57, s8, 0
	s_mov_b32 s0, -1
	s_mov_b32 s20, exec_lo
	s_delay_alu instid0(VALU_DEP_4) | instskip(NEXT) | instid1(VALU_DEP_2)
	v_add3_u32 v60, v60, v64, v63
	v_add3_u32 v62, v62, v65, v58
	s_delay_alu instid0(VALU_DEP_2) | instskip(NEXT) | instid1(VALU_DEP_2)
	v_lshlrev_b64 v[57:58], 1, v[59:60]
	v_lshlrev_b64 v[61:62], 1, v[61:62]
	s_delay_alu instid0(VALU_DEP_2) | instskip(NEXT) | instid1(VALU_DEP_3)
	v_add_co_u32 v59, vcc_lo, s10, v57
	v_add_co_ci_u32_e32 v60, vcc_lo, s11, v58, vcc_lo
	s_delay_alu instid0(VALU_DEP_3) | instskip(NEXT) | instid1(VALU_DEP_4)
	v_add_co_u32 v57, vcc_lo, s10, v61
	v_add_co_ci_u32_e32 v58, vcc_lo, s11, v62, vcc_lo
	s_clause 0x1
	global_load_u16 v61, v[59:60], off
	global_load_u16 v62, v[57:58], off
	s_waitcnt vmcnt(0)
	v_cmpx_eq_u16_e64 v61, v62
	s_cbranch_execz .LBB1415_652
; %bb.645:
	v_add_co_u32 v57, vcc_lo, v57, 2
	v_add_co_ci_u32_e32 v58, vcc_lo, 0, v58, vcc_lo
	v_add_co_u32 v59, vcc_lo, v59, 2
	v_add_co_ci_u32_e32 v60, vcc_lo, 0, v60, vcc_lo
	s_add_u32 s12, s8, -1
	s_addc_u32 s13, s9, -1
	s_mov_b64 s[14:15], 0
	s_mov_b32 s21, 0
                                        ; implicit-def: $sgpr22
	s_set_inst_prefetch_distance 0x1
	s_branch .LBB1415_648
	.p2align	6
.LBB1415_646:                           ;   in Loop: Header=BB1415_648 Depth=1
	global_load_u16 v61, v[59:60], off
	global_load_u16 v62, v[57:58], off
	v_add_co_u32 v57, vcc_lo, v57, 2
	v_add_co_ci_u32_e32 v58, vcc_lo, 0, v58, vcc_lo
	v_add_co_u32 v59, s0, v59, 2
	s_delay_alu instid0(VALU_DEP_1)
	v_add_co_ci_u32_e64 v60, s0, 0, v60, s0
	s_add_u32 s14, s14, 1
	s_addc_u32 s15, s15, 0
	s_and_not1_b32 s0, s22, exec_lo
	s_waitcnt vmcnt(0)
	v_cmp_ne_u16_e32 vcc_lo, v61, v62
	s_and_b32 s22, vcc_lo, exec_lo
	s_delay_alu instid0(SALU_CYCLE_1)
	s_or_b32 s22, s0, s22
.LBB1415_647:                           ;   in Loop: Header=BB1415_648 Depth=1
	v_dual_mov_b32 v62, s15 :: v_dual_mov_b32 v61, s14
	s_and_b32 s0, exec_lo, s22
	s_delay_alu instid0(SALU_CYCLE_1) | instskip(NEXT) | instid1(SALU_CYCLE_1)
	s_or_b32 s21, s0, s21
	s_and_not1_b32 exec_lo, exec_lo, s21
	s_cbranch_execz .LBB1415_651
.LBB1415_648:                           ; =>This Inner Loop Header: Depth=1
	s_or_b32 s22, s22, exec_lo
	s_cmp_eq_u64 s[12:13], s[14:15]
	s_cbranch_scc0 .LBB1415_646
; %bb.649:                              ;   in Loop: Header=BB1415_648 Depth=1
	s_mov_b64 s[14:15], s[8:9]
                                        ; implicit-def: $vgpr57_vgpr58
                                        ; implicit-def: $vgpr59_vgpr60
	s_branch .LBB1415_647
.LBB1415_650:
	s_mov_b32 s0, 0
	s_branch .LBB1415_653
.LBB1415_651:
	s_set_inst_prefetch_distance 0x2
	s_or_b32 exec_lo, exec_lo, s21
	v_cmp_gt_i64_e32 vcc_lo, s[8:9], v[61:62]
	s_or_not1_b32 s0, vcc_lo, exec_lo
.LBB1415_652:
	s_or_b32 exec_lo, exec_lo, s20
.LBB1415_653:
	s_delay_alu instid0(SALU_CYCLE_1)
	s_and_b32 s0, s0, exec_lo
	s_or_b32 s1, s1, exec_lo
.LBB1415_654:
	s_or_b32 exec_lo, exec_lo, s3
	v_dual_mov_b32 v182, v166 :: v_dual_mov_b32 v181, v165
	v_dual_mov_b32 v168, v164 :: v_dual_mov_b32 v167, v163
	;; [unrolled: 1-line block ×27, first 2 shown]
	s_branch .LBB1415_1243
.LBB1415_655:
	s_cmp_lg_u64 s[18:19], 1
	s_cbranch_scc0 .LBB1415_663
; %bb.656:
	v_mul_lo_u32 v59, v8, s8
	v_mul_lo_u32 v60, v7, s9
	s_waitcnt lgkmcnt(0)
	v_mad_u64_u32 v[57:58], null, v7, s8, 0
	v_mov_b32_e32 v113, 0
	v_mov_b32_e32 v114, 0
	v_cmp_lt_i64_e64 s0, s[8:9], 1
	v_cmp_gt_i64_e64 s3, s[8:9], 0
	s_delay_alu instid0(VALU_DEP_4) | instskip(SKIP_4) | instid1(VALU_DEP_1)
	v_mov_b32_e32 v111, v113
	ds_store_b64 v195, v[109:110]
	v_mov_b32_e32 v112, v114
	v_add3_u32 v58, v58, v60, v59
	s_and_b32 vcc_lo, exec_lo, s0
	v_lshlrev_b64 v[57:58], 1, v[57:58]
	s_cbranch_vccnz .LBB1415_666
; %bb.657:
	v_mul_lo_u32 v61, v110, s8
	v_mul_lo_u32 v62, v109, s9
	v_mad_u64_u32 v[59:60], null, v109, s8, 0
	v_mov_b32_e32 v111, 1
	v_mov_b32_e32 v112, 0
	s_mov_b32 s18, exec_lo
	s_delay_alu instid0(VALU_DEP_3) | instskip(NEXT) | instid1(VALU_DEP_1)
	v_add3_u32 v60, v60, v62, v61
	v_lshlrev_b64 v[59:60], 1, v[59:60]
	s_delay_alu instid0(VALU_DEP_1) | instskip(NEXT) | instid1(VALU_DEP_2)
	v_add_co_u32 v61, vcc_lo, s10, v59
	v_add_co_ci_u32_e32 v62, vcc_lo, s11, v60, vcc_lo
	v_add_co_u32 v59, vcc_lo, s10, v57
	v_add_co_ci_u32_e32 v60, vcc_lo, s11, v58, vcc_lo
	s_clause 0x1
	global_load_u16 v63, v[61:62], off
	global_load_u16 v64, v[59:60], off
	s_waitcnt vmcnt(0)
	v_cmpx_eq_u16_e64 v63, v64
	s_cbranch_execz .LBB1415_665
; %bb.658:
	v_add_co_u32 v59, vcc_lo, v59, 2
	v_add_co_ci_u32_e32 v60, vcc_lo, 0, v60, vcc_lo
	v_add_co_u32 v61, vcc_lo, v61, 2
	v_add_co_ci_u32_e32 v62, vcc_lo, 0, v62, vcc_lo
	s_add_u32 s12, s8, -1
	s_addc_u32 s13, s9, -1
	s_mov_b64 s[14:15], 0
	s_mov_b32 s19, 0
                                        ; implicit-def: $sgpr20
	s_set_inst_prefetch_distance 0x1
	s_branch .LBB1415_661
	.p2align	6
.LBB1415_659:                           ;   in Loop: Header=BB1415_661 Depth=1
	global_load_u16 v63, v[61:62], off
	global_load_u16 v64, v[59:60], off
	v_add_co_u32 v59, vcc_lo, v59, 2
	v_add_co_ci_u32_e32 v60, vcc_lo, 0, v60, vcc_lo
	v_add_co_u32 v61, s0, v61, 2
	s_delay_alu instid0(VALU_DEP_1)
	v_add_co_ci_u32_e64 v62, s0, 0, v62, s0
	s_add_u32 s14, s14, 1
	s_addc_u32 s15, s15, 0
	s_and_not1_b32 s0, s20, exec_lo
	s_waitcnt vmcnt(0)
	v_cmp_ne_u16_e32 vcc_lo, v63, v64
	s_and_b32 s20, vcc_lo, exec_lo
	s_delay_alu instid0(SALU_CYCLE_1)
	s_or_b32 s20, s0, s20
.LBB1415_660:                           ;   in Loop: Header=BB1415_661 Depth=1
	v_dual_mov_b32 v64, s15 :: v_dual_mov_b32 v63, s14
	s_and_b32 s0, exec_lo, s20
	s_delay_alu instid0(SALU_CYCLE_1) | instskip(NEXT) | instid1(SALU_CYCLE_1)
	s_or_b32 s19, s0, s19
	s_and_not1_b32 exec_lo, exec_lo, s19
	s_cbranch_execz .LBB1415_664
.LBB1415_661:                           ; =>This Inner Loop Header: Depth=1
	s_or_b32 s20, s20, exec_lo
	s_cmp_eq_u64 s[12:13], s[14:15]
	s_cbranch_scc0 .LBB1415_659
; %bb.662:                              ;   in Loop: Header=BB1415_661 Depth=1
	s_mov_b64 s[14:15], s[8:9]
                                        ; implicit-def: $vgpr59_vgpr60
                                        ; implicit-def: $vgpr61_vgpr62
	s_branch .LBB1415_660
.LBB1415_663:
                                        ; implicit-def: $sgpr0
                                        ; implicit-def: $vgpr165_vgpr166
                                        ; implicit-def: $vgpr163_vgpr164
                                        ; implicit-def: $vgpr161_vgpr162
                                        ; implicit-def: $vgpr159_vgpr160
                                        ; implicit-def: $vgpr157_vgpr158
                                        ; implicit-def: $vgpr155_vgpr156
                                        ; implicit-def: $vgpr153_vgpr154
                                        ; implicit-def: $vgpr151_vgpr152
                                        ; implicit-def: $vgpr149_vgpr150
                                        ; implicit-def: $vgpr147_vgpr148
                                        ; implicit-def: $vgpr145_vgpr146
                                        ; implicit-def: $vgpr143_vgpr144
                                        ; implicit-def: $vgpr141_vgpr142
                                        ; implicit-def: $vgpr139_vgpr140
                                        ; implicit-def: $vgpr137_vgpr138
                                        ; implicit-def: $vgpr135_vgpr136
                                        ; implicit-def: $vgpr133_vgpr134
                                        ; implicit-def: $vgpr131_vgpr132
                                        ; implicit-def: $vgpr129_vgpr130
                                        ; implicit-def: $vgpr127_vgpr128
                                        ; implicit-def: $vgpr125_vgpr126
                                        ; implicit-def: $vgpr123_vgpr124
                                        ; implicit-def: $vgpr121_vgpr122
                                        ; implicit-def: $vgpr119_vgpr120
                                        ; implicit-def: $vgpr117_vgpr118
                                        ; implicit-def: $vgpr113_vgpr114
                                        ; implicit-def: $vgpr115_vgpr116
                                        ; implicit-def: $vgpr111_vgpr112
                                        ; implicit-def: $vgpr181_vgpr182
                                        ; implicit-def: $vgpr167_vgpr168
                                        ; implicit-def: $vgpr169_vgpr170
                                        ; implicit-def: $vgpr171_vgpr172
                                        ; implicit-def: $vgpr173_vgpr174
                                        ; implicit-def: $vgpr175_vgpr176
                                        ; implicit-def: $vgpr177_vgpr178
                                        ; implicit-def: $vgpr179_vgpr180
                                        ; implicit-def: $vgpr183_vgpr184
                                        ; implicit-def: $vgpr185_vgpr186
                                        ; implicit-def: $vgpr187_vgpr188
                                        ; implicit-def: $vgpr189_vgpr190
                                        ; implicit-def: $vgpr191_vgpr192
                                        ; implicit-def: $vgpr193_vgpr194
                                        ; implicit-def: $vgpr57_vgpr58_vgpr59_vgpr60
                                        ; implicit-def: $vgpr61_vgpr62_vgpr63_vgpr64
                                        ; implicit-def: $vgpr65_vgpr66_vgpr67_vgpr68
                                        ; implicit-def: $vgpr69_vgpr70_vgpr71_vgpr72
                                        ; implicit-def: $vgpr73_vgpr74_vgpr75_vgpr76
                                        ; implicit-def: $vgpr77_vgpr78_vgpr79_vgpr80
                                        ; implicit-def: $vgpr81_vgpr82_vgpr83_vgpr84
                                        ; implicit-def: $vgpr85_vgpr86_vgpr87_vgpr88
                                        ; implicit-def: $vgpr89_vgpr90_vgpr91_vgpr92
                                        ; implicit-def: $vgpr93_vgpr94_vgpr95_vgpr96
                                        ; implicit-def: $vgpr97_vgpr98_vgpr99_vgpr100
                                        ; implicit-def: $vgpr101_vgpr102_vgpr103_vgpr104
                                        ; implicit-def: $vgpr105_vgpr106_vgpr107_vgpr108
	s_cbranch_execnz .LBB1415_923
	s_branch .LBB1415_1243
.LBB1415_664:
	s_set_inst_prefetch_distance 0x2
	s_or_b32 exec_lo, exec_lo, s19
	v_cmp_gt_i64_e32 vcc_lo, s[8:9], v[63:64]
	s_mov_b32 s0, 0
	s_delay_alu instid0(SALU_CYCLE_1)
	v_mov_b32_e32 v112, s0
	v_cndmask_b32_e64 v111, 0, 1, vcc_lo
.LBB1415_665:
	s_or_b32 exec_lo, exec_lo, s18
.LBB1415_666:
	v_mul_lo_u32 v61, v6, s8
	v_mul_lo_u32 v62, v5, s9
	v_mad_u64_u32 v[59:60], null, v5, s8, 0
	v_cndmask_b32_e64 v65, 0, 1, s3
	v_dual_mov_b32 v116, v114 :: v_dual_mov_b32 v115, v113
	s_and_not1_b32 vcc_lo, exec_lo, s3
	s_delay_alu instid0(VALU_DEP_3) | instskip(NEXT) | instid1(VALU_DEP_1)
	v_add3_u32 v60, v60, v62, v61
	v_lshlrev_b64 v[59:60], 1, v[59:60]
	s_cbranch_vccnz .LBB1415_675
; %bb.667:
	v_add_co_u32 v61, vcc_lo, s10, v57
	v_add_co_ci_u32_e32 v62, vcc_lo, s11, v58, vcc_lo
	s_delay_alu instid0(VALU_DEP_3) | instskip(NEXT) | instid1(VALU_DEP_4)
	v_add_co_u32 v57, vcc_lo, s10, v59
	v_add_co_ci_u32_e32 v58, vcc_lo, s11, v60, vcc_lo
	v_mov_b32_e32 v115, 1
	s_clause 0x1
	global_load_u16 v63, v[61:62], off
	global_load_u16 v64, v[57:58], off
	v_mov_b32_e32 v116, 0
	s_mov_b32 s3, exec_lo
	s_waitcnt vmcnt(0)
	v_cmpx_eq_u16_e64 v63, v64
	s_cbranch_execz .LBB1415_674
; %bb.668:
	v_add_co_u32 v57, vcc_lo, v57, 2
	v_add_co_ci_u32_e32 v58, vcc_lo, 0, v58, vcc_lo
	v_add_co_u32 v61, vcc_lo, v61, 2
	v_add_co_ci_u32_e32 v62, vcc_lo, 0, v62, vcc_lo
	s_add_u32 s12, s8, -1
	s_addc_u32 s13, s9, -1
	s_mov_b64 s[14:15], 0
	s_mov_b32 s18, 0
                                        ; implicit-def: $sgpr19
	s_set_inst_prefetch_distance 0x1
	s_branch .LBB1415_671
	.p2align	6
.LBB1415_669:                           ;   in Loop: Header=BB1415_671 Depth=1
	global_load_u16 v63, v[61:62], off
	global_load_u16 v64, v[57:58], off
	v_add_co_u32 v57, vcc_lo, v57, 2
	v_add_co_ci_u32_e32 v58, vcc_lo, 0, v58, vcc_lo
	v_add_co_u32 v61, s0, v61, 2
	s_delay_alu instid0(VALU_DEP_1)
	v_add_co_ci_u32_e64 v62, s0, 0, v62, s0
	s_add_u32 s14, s14, 1
	s_addc_u32 s15, s15, 0
	s_and_not1_b32 s0, s19, exec_lo
	s_waitcnt vmcnt(0)
	v_cmp_ne_u16_e32 vcc_lo, v63, v64
	s_and_b32 s19, vcc_lo, exec_lo
	s_delay_alu instid0(SALU_CYCLE_1)
	s_or_b32 s19, s0, s19
.LBB1415_670:                           ;   in Loop: Header=BB1415_671 Depth=1
	v_dual_mov_b32 v64, s15 :: v_dual_mov_b32 v63, s14
	s_and_b32 s0, exec_lo, s19
	s_delay_alu instid0(SALU_CYCLE_1) | instskip(NEXT) | instid1(SALU_CYCLE_1)
	s_or_b32 s18, s0, s18
	s_and_not1_b32 exec_lo, exec_lo, s18
	s_cbranch_execz .LBB1415_673
.LBB1415_671:                           ; =>This Inner Loop Header: Depth=1
	s_or_b32 s19, s19, exec_lo
	s_cmp_eq_u64 s[12:13], s[14:15]
	s_cbranch_scc0 .LBB1415_669
; %bb.672:                              ;   in Loop: Header=BB1415_671 Depth=1
	s_mov_b64 s[14:15], s[8:9]
                                        ; implicit-def: $vgpr57_vgpr58
                                        ; implicit-def: $vgpr61_vgpr62
	s_branch .LBB1415_670
.LBB1415_673:
	s_set_inst_prefetch_distance 0x2
	s_or_b32 exec_lo, exec_lo, s18
	v_cmp_gt_i64_e32 vcc_lo, s[8:9], v[63:64]
	s_mov_b32 s0, 0
	s_delay_alu instid0(SALU_CYCLE_1)
	v_mov_b32_e32 v116, s0
	v_cndmask_b32_e64 v115, 0, 1, vcc_lo
.LBB1415_674:
	s_or_b32 exec_lo, exec_lo, s3
.LBB1415_675:
	v_mul_lo_u32 v61, v12, s8
	v_mul_lo_u32 v62, v11, s9
	v_mad_u64_u32 v[57:58], null, v11, s8, 0
	v_cmp_ne_u32_e32 vcc_lo, 1, v65
	s_delay_alu instid0(VALU_DEP_2) | instskip(NEXT) | instid1(VALU_DEP_1)
	v_add3_u32 v58, v58, v62, v61
	v_lshlrev_b64 v[57:58], 1, v[57:58]
	s_cbranch_vccnz .LBB1415_684
; %bb.676:
	v_add_co_u32 v61, vcc_lo, s10, v59
	v_add_co_ci_u32_e32 v62, vcc_lo, s11, v60, vcc_lo
	s_delay_alu instid0(VALU_DEP_3) | instskip(NEXT) | instid1(VALU_DEP_4)
	v_add_co_u32 v59, vcc_lo, s10, v57
	v_add_co_ci_u32_e32 v60, vcc_lo, s11, v58, vcc_lo
	v_mov_b32_e32 v113, 1
	s_clause 0x1
	global_load_u16 v63, v[61:62], off
	global_load_u16 v64, v[59:60], off
	v_mov_b32_e32 v114, 0
	s_mov_b32 s3, exec_lo
	s_waitcnt vmcnt(0)
	v_cmpx_eq_u16_e64 v63, v64
	s_cbranch_execz .LBB1415_683
; %bb.677:
	v_add_co_u32 v59, vcc_lo, v59, 2
	v_add_co_ci_u32_e32 v60, vcc_lo, 0, v60, vcc_lo
	v_add_co_u32 v61, vcc_lo, v61, 2
	v_add_co_ci_u32_e32 v62, vcc_lo, 0, v62, vcc_lo
	s_add_u32 s12, s8, -1
	s_addc_u32 s13, s9, -1
	s_mov_b64 s[14:15], 0
	s_mov_b32 s18, 0
                                        ; implicit-def: $sgpr19
	s_set_inst_prefetch_distance 0x1
	s_branch .LBB1415_680
	.p2align	6
.LBB1415_678:                           ;   in Loop: Header=BB1415_680 Depth=1
	global_load_u16 v63, v[61:62], off
	global_load_u16 v64, v[59:60], off
	v_add_co_u32 v59, vcc_lo, v59, 2
	v_add_co_ci_u32_e32 v60, vcc_lo, 0, v60, vcc_lo
	v_add_co_u32 v61, s0, v61, 2
	s_delay_alu instid0(VALU_DEP_1)
	v_add_co_ci_u32_e64 v62, s0, 0, v62, s0
	s_add_u32 s14, s14, 1
	s_addc_u32 s15, s15, 0
	s_and_not1_b32 s0, s19, exec_lo
	s_waitcnt vmcnt(0)
	v_cmp_ne_u16_e32 vcc_lo, v63, v64
	s_and_b32 s19, vcc_lo, exec_lo
	s_delay_alu instid0(SALU_CYCLE_1)
	s_or_b32 s19, s0, s19
.LBB1415_679:                           ;   in Loop: Header=BB1415_680 Depth=1
	v_dual_mov_b32 v64, s15 :: v_dual_mov_b32 v63, s14
	s_and_b32 s0, exec_lo, s19
	s_delay_alu instid0(SALU_CYCLE_1) | instskip(NEXT) | instid1(SALU_CYCLE_1)
	s_or_b32 s18, s0, s18
	s_and_not1_b32 exec_lo, exec_lo, s18
	s_cbranch_execz .LBB1415_682
.LBB1415_680:                           ; =>This Inner Loop Header: Depth=1
	s_or_b32 s19, s19, exec_lo
	s_cmp_eq_u64 s[12:13], s[14:15]
	s_cbranch_scc0 .LBB1415_678
; %bb.681:                              ;   in Loop: Header=BB1415_680 Depth=1
	s_mov_b64 s[14:15], s[8:9]
                                        ; implicit-def: $vgpr59_vgpr60
                                        ; implicit-def: $vgpr61_vgpr62
	s_branch .LBB1415_679
.LBB1415_682:
	s_set_inst_prefetch_distance 0x2
	s_or_b32 exec_lo, exec_lo, s18
	v_cmp_gt_i64_e32 vcc_lo, s[8:9], v[63:64]
	s_mov_b32 s0, 0
	s_delay_alu instid0(SALU_CYCLE_1)
	v_mov_b32_e32 v114, s0
	v_cndmask_b32_e64 v113, 0, 1, vcc_lo
.LBB1415_683:
	s_or_b32 exec_lo, exec_lo, s3
.LBB1415_684:
	v_mul_lo_u32 v61, v10, s8
	v_mul_lo_u32 v62, v9, s9
	v_mad_u64_u32 v[59:60], null, v9, s8, 0
	v_mov_b32_e32 v119, 0
	v_mov_b32_e32 v120, 0
	v_cmp_ne_u32_e32 vcc_lo, 1, v65
	s_delay_alu instid0(VALU_DEP_2) | instskip(SKIP_1) | instid1(VALU_DEP_1)
	v_dual_mov_b32 v117, v119 :: v_dual_mov_b32 v118, v120
	v_add3_u32 v60, v60, v62, v61
	v_lshlrev_b64 v[59:60], 1, v[59:60]
	s_cbranch_vccnz .LBB1415_693
; %bb.685:
	v_add_co_u32 v61, vcc_lo, s10, v57
	v_add_co_ci_u32_e32 v62, vcc_lo, s11, v58, vcc_lo
	s_delay_alu instid0(VALU_DEP_3) | instskip(NEXT) | instid1(VALU_DEP_4)
	v_add_co_u32 v57, vcc_lo, s10, v59
	v_add_co_ci_u32_e32 v58, vcc_lo, s11, v60, vcc_lo
	v_mov_b32_e32 v117, 1
	s_clause 0x1
	global_load_u16 v63, v[61:62], off
	global_load_u16 v64, v[57:58], off
	v_mov_b32_e32 v118, 0
	s_mov_b32 s3, exec_lo
	s_waitcnt vmcnt(0)
	v_cmpx_eq_u16_e64 v63, v64
	s_cbranch_execz .LBB1415_692
; %bb.686:
	v_add_co_u32 v57, vcc_lo, v57, 2
	v_add_co_ci_u32_e32 v58, vcc_lo, 0, v58, vcc_lo
	v_add_co_u32 v61, vcc_lo, v61, 2
	v_add_co_ci_u32_e32 v62, vcc_lo, 0, v62, vcc_lo
	s_add_u32 s12, s8, -1
	s_addc_u32 s13, s9, -1
	s_mov_b64 s[14:15], 0
	s_mov_b32 s18, 0
                                        ; implicit-def: $sgpr19
	s_set_inst_prefetch_distance 0x1
	s_branch .LBB1415_689
	.p2align	6
.LBB1415_687:                           ;   in Loop: Header=BB1415_689 Depth=1
	global_load_u16 v63, v[61:62], off
	global_load_u16 v64, v[57:58], off
	v_add_co_u32 v57, vcc_lo, v57, 2
	v_add_co_ci_u32_e32 v58, vcc_lo, 0, v58, vcc_lo
	v_add_co_u32 v61, s0, v61, 2
	s_delay_alu instid0(VALU_DEP_1)
	v_add_co_ci_u32_e64 v62, s0, 0, v62, s0
	s_add_u32 s14, s14, 1
	s_addc_u32 s15, s15, 0
	s_and_not1_b32 s0, s19, exec_lo
	s_waitcnt vmcnt(0)
	v_cmp_ne_u16_e32 vcc_lo, v63, v64
	s_and_b32 s19, vcc_lo, exec_lo
	s_delay_alu instid0(SALU_CYCLE_1)
	s_or_b32 s19, s0, s19
.LBB1415_688:                           ;   in Loop: Header=BB1415_689 Depth=1
	v_dual_mov_b32 v64, s15 :: v_dual_mov_b32 v63, s14
	s_and_b32 s0, exec_lo, s19
	s_delay_alu instid0(SALU_CYCLE_1) | instskip(NEXT) | instid1(SALU_CYCLE_1)
	s_or_b32 s18, s0, s18
	s_and_not1_b32 exec_lo, exec_lo, s18
	s_cbranch_execz .LBB1415_691
.LBB1415_689:                           ; =>This Inner Loop Header: Depth=1
	s_or_b32 s19, s19, exec_lo
	s_cmp_eq_u64 s[12:13], s[14:15]
	s_cbranch_scc0 .LBB1415_687
; %bb.690:                              ;   in Loop: Header=BB1415_689 Depth=1
	s_mov_b64 s[14:15], s[8:9]
                                        ; implicit-def: $vgpr57_vgpr58
                                        ; implicit-def: $vgpr61_vgpr62
	s_branch .LBB1415_688
.LBB1415_691:
	s_set_inst_prefetch_distance 0x2
	s_or_b32 exec_lo, exec_lo, s18
	v_cmp_gt_i64_e32 vcc_lo, s[8:9], v[63:64]
	s_mov_b32 s0, 0
	s_delay_alu instid0(SALU_CYCLE_1)
	v_mov_b32_e32 v118, s0
	v_cndmask_b32_e64 v117, 0, 1, vcc_lo
.LBB1415_692:
	s_or_b32 exec_lo, exec_lo, s3
.LBB1415_693:
	v_mul_lo_u32 v61, v56, s8
	v_mul_lo_u32 v62, v55, s9
	v_mad_u64_u32 v[57:58], null, v55, s8, 0
	v_cmp_ne_u32_e32 vcc_lo, 1, v65
	s_delay_alu instid0(VALU_DEP_2) | instskip(NEXT) | instid1(VALU_DEP_1)
	v_add3_u32 v58, v58, v62, v61
	v_lshlrev_b64 v[57:58], 1, v[57:58]
	s_cbranch_vccnz .LBB1415_702
; %bb.694:
	v_add_co_u32 v61, vcc_lo, s10, v59
	v_add_co_ci_u32_e32 v62, vcc_lo, s11, v60, vcc_lo
	s_delay_alu instid0(VALU_DEP_3) | instskip(NEXT) | instid1(VALU_DEP_4)
	v_add_co_u32 v59, vcc_lo, s10, v57
	v_add_co_ci_u32_e32 v60, vcc_lo, s11, v58, vcc_lo
	v_mov_b32_e32 v119, 1
	s_clause 0x1
	global_load_u16 v63, v[61:62], off
	global_load_u16 v64, v[59:60], off
	v_mov_b32_e32 v120, 0
	s_mov_b32 s3, exec_lo
	s_waitcnt vmcnt(0)
	v_cmpx_eq_u16_e64 v63, v64
	s_cbranch_execz .LBB1415_701
; %bb.695:
	v_add_co_u32 v59, vcc_lo, v59, 2
	v_add_co_ci_u32_e32 v60, vcc_lo, 0, v60, vcc_lo
	v_add_co_u32 v61, vcc_lo, v61, 2
	v_add_co_ci_u32_e32 v62, vcc_lo, 0, v62, vcc_lo
	s_add_u32 s12, s8, -1
	s_addc_u32 s13, s9, -1
	s_mov_b64 s[14:15], 0
	s_mov_b32 s18, 0
                                        ; implicit-def: $sgpr19
	s_set_inst_prefetch_distance 0x1
	s_branch .LBB1415_698
	.p2align	6
.LBB1415_696:                           ;   in Loop: Header=BB1415_698 Depth=1
	global_load_u16 v63, v[61:62], off
	global_load_u16 v64, v[59:60], off
	v_add_co_u32 v59, vcc_lo, v59, 2
	v_add_co_ci_u32_e32 v60, vcc_lo, 0, v60, vcc_lo
	v_add_co_u32 v61, s0, v61, 2
	s_delay_alu instid0(VALU_DEP_1)
	v_add_co_ci_u32_e64 v62, s0, 0, v62, s0
	s_add_u32 s14, s14, 1
	s_addc_u32 s15, s15, 0
	s_and_not1_b32 s0, s19, exec_lo
	s_waitcnt vmcnt(0)
	v_cmp_ne_u16_e32 vcc_lo, v63, v64
	s_and_b32 s19, vcc_lo, exec_lo
	s_delay_alu instid0(SALU_CYCLE_1)
	s_or_b32 s19, s0, s19
.LBB1415_697:                           ;   in Loop: Header=BB1415_698 Depth=1
	v_dual_mov_b32 v64, s15 :: v_dual_mov_b32 v63, s14
	s_and_b32 s0, exec_lo, s19
	s_delay_alu instid0(SALU_CYCLE_1) | instskip(NEXT) | instid1(SALU_CYCLE_1)
	s_or_b32 s18, s0, s18
	s_and_not1_b32 exec_lo, exec_lo, s18
	s_cbranch_execz .LBB1415_700
.LBB1415_698:                           ; =>This Inner Loop Header: Depth=1
	s_or_b32 s19, s19, exec_lo
	s_cmp_eq_u64 s[12:13], s[14:15]
	s_cbranch_scc0 .LBB1415_696
; %bb.699:                              ;   in Loop: Header=BB1415_698 Depth=1
	s_mov_b64 s[14:15], s[8:9]
                                        ; implicit-def: $vgpr59_vgpr60
                                        ; implicit-def: $vgpr61_vgpr62
	s_branch .LBB1415_697
.LBB1415_700:
	s_set_inst_prefetch_distance 0x2
	s_or_b32 exec_lo, exec_lo, s18
	v_cmp_gt_i64_e32 vcc_lo, s[8:9], v[63:64]
	s_mov_b32 s0, 0
	s_delay_alu instid0(SALU_CYCLE_1)
	v_mov_b32_e32 v120, s0
	v_cndmask_b32_e64 v119, 0, 1, vcc_lo
.LBB1415_701:
	s_or_b32 exec_lo, exec_lo, s3
.LBB1415_702:
	v_mul_lo_u32 v61, v54, s8
	v_mul_lo_u32 v62, v53, s9
	v_mad_u64_u32 v[59:60], null, v53, s8, 0
	v_mov_b32_e32 v123, 0
	v_mov_b32_e32 v124, 0
	v_cmp_ne_u32_e32 vcc_lo, 1, v65
	s_delay_alu instid0(VALU_DEP_2) | instskip(SKIP_1) | instid1(VALU_DEP_1)
	v_dual_mov_b32 v121, v123 :: v_dual_mov_b32 v122, v124
	v_add3_u32 v60, v60, v62, v61
	v_lshlrev_b64 v[59:60], 1, v[59:60]
	s_cbranch_vccnz .LBB1415_711
; %bb.703:
	v_add_co_u32 v61, vcc_lo, s10, v57
	v_add_co_ci_u32_e32 v62, vcc_lo, s11, v58, vcc_lo
	s_delay_alu instid0(VALU_DEP_3) | instskip(NEXT) | instid1(VALU_DEP_4)
	v_add_co_u32 v57, vcc_lo, s10, v59
	v_add_co_ci_u32_e32 v58, vcc_lo, s11, v60, vcc_lo
	v_mov_b32_e32 v121, 1
	s_clause 0x1
	global_load_u16 v63, v[61:62], off
	global_load_u16 v64, v[57:58], off
	v_mov_b32_e32 v122, 0
	s_mov_b32 s3, exec_lo
	s_waitcnt vmcnt(0)
	v_cmpx_eq_u16_e64 v63, v64
	s_cbranch_execz .LBB1415_710
; %bb.704:
	v_add_co_u32 v57, vcc_lo, v57, 2
	v_add_co_ci_u32_e32 v58, vcc_lo, 0, v58, vcc_lo
	v_add_co_u32 v61, vcc_lo, v61, 2
	v_add_co_ci_u32_e32 v62, vcc_lo, 0, v62, vcc_lo
	s_add_u32 s12, s8, -1
	s_addc_u32 s13, s9, -1
	s_mov_b64 s[14:15], 0
	s_mov_b32 s18, 0
                                        ; implicit-def: $sgpr19
	s_set_inst_prefetch_distance 0x1
	s_branch .LBB1415_707
	.p2align	6
.LBB1415_705:                           ;   in Loop: Header=BB1415_707 Depth=1
	global_load_u16 v63, v[61:62], off
	global_load_u16 v64, v[57:58], off
	v_add_co_u32 v57, vcc_lo, v57, 2
	v_add_co_ci_u32_e32 v58, vcc_lo, 0, v58, vcc_lo
	v_add_co_u32 v61, s0, v61, 2
	s_delay_alu instid0(VALU_DEP_1)
	v_add_co_ci_u32_e64 v62, s0, 0, v62, s0
	s_add_u32 s14, s14, 1
	s_addc_u32 s15, s15, 0
	s_and_not1_b32 s0, s19, exec_lo
	s_waitcnt vmcnt(0)
	v_cmp_ne_u16_e32 vcc_lo, v63, v64
	s_and_b32 s19, vcc_lo, exec_lo
	s_delay_alu instid0(SALU_CYCLE_1)
	s_or_b32 s19, s0, s19
.LBB1415_706:                           ;   in Loop: Header=BB1415_707 Depth=1
	v_dual_mov_b32 v64, s15 :: v_dual_mov_b32 v63, s14
	s_and_b32 s0, exec_lo, s19
	s_delay_alu instid0(SALU_CYCLE_1) | instskip(NEXT) | instid1(SALU_CYCLE_1)
	s_or_b32 s18, s0, s18
	s_and_not1_b32 exec_lo, exec_lo, s18
	s_cbranch_execz .LBB1415_709
.LBB1415_707:                           ; =>This Inner Loop Header: Depth=1
	s_or_b32 s19, s19, exec_lo
	s_cmp_eq_u64 s[12:13], s[14:15]
	s_cbranch_scc0 .LBB1415_705
; %bb.708:                              ;   in Loop: Header=BB1415_707 Depth=1
	s_mov_b64 s[14:15], s[8:9]
                                        ; implicit-def: $vgpr57_vgpr58
                                        ; implicit-def: $vgpr61_vgpr62
	s_branch .LBB1415_706
.LBB1415_709:
	s_set_inst_prefetch_distance 0x2
	s_or_b32 exec_lo, exec_lo, s18
	v_cmp_gt_i64_e32 vcc_lo, s[8:9], v[63:64]
	s_mov_b32 s0, 0
	s_delay_alu instid0(SALU_CYCLE_1)
	v_mov_b32_e32 v122, s0
	v_cndmask_b32_e64 v121, 0, 1, vcc_lo
.LBB1415_710:
	s_or_b32 exec_lo, exec_lo, s3
.LBB1415_711:
	v_mul_lo_u32 v61, v52, s8
	v_mul_lo_u32 v62, v51, s9
	v_mad_u64_u32 v[57:58], null, v51, s8, 0
	v_cmp_ne_u32_e32 vcc_lo, 1, v65
	s_delay_alu instid0(VALU_DEP_2) | instskip(NEXT) | instid1(VALU_DEP_1)
	v_add3_u32 v58, v58, v62, v61
	v_lshlrev_b64 v[57:58], 1, v[57:58]
	s_cbranch_vccnz .LBB1415_720
; %bb.712:
	v_add_co_u32 v61, vcc_lo, s10, v59
	v_add_co_ci_u32_e32 v62, vcc_lo, s11, v60, vcc_lo
	s_delay_alu instid0(VALU_DEP_3) | instskip(NEXT) | instid1(VALU_DEP_4)
	v_add_co_u32 v59, vcc_lo, s10, v57
	v_add_co_ci_u32_e32 v60, vcc_lo, s11, v58, vcc_lo
	v_mov_b32_e32 v123, 1
	s_clause 0x1
	global_load_u16 v63, v[61:62], off
	global_load_u16 v64, v[59:60], off
	v_mov_b32_e32 v124, 0
	s_mov_b32 s3, exec_lo
	s_waitcnt vmcnt(0)
	v_cmpx_eq_u16_e64 v63, v64
	s_cbranch_execz .LBB1415_719
; %bb.713:
	v_add_co_u32 v59, vcc_lo, v59, 2
	v_add_co_ci_u32_e32 v60, vcc_lo, 0, v60, vcc_lo
	v_add_co_u32 v61, vcc_lo, v61, 2
	v_add_co_ci_u32_e32 v62, vcc_lo, 0, v62, vcc_lo
	s_add_u32 s12, s8, -1
	s_addc_u32 s13, s9, -1
	s_mov_b64 s[14:15], 0
	s_mov_b32 s18, 0
                                        ; implicit-def: $sgpr19
	s_set_inst_prefetch_distance 0x1
	s_branch .LBB1415_716
	.p2align	6
.LBB1415_714:                           ;   in Loop: Header=BB1415_716 Depth=1
	global_load_u16 v63, v[61:62], off
	global_load_u16 v64, v[59:60], off
	v_add_co_u32 v59, vcc_lo, v59, 2
	v_add_co_ci_u32_e32 v60, vcc_lo, 0, v60, vcc_lo
	v_add_co_u32 v61, s0, v61, 2
	s_delay_alu instid0(VALU_DEP_1)
	v_add_co_ci_u32_e64 v62, s0, 0, v62, s0
	s_add_u32 s14, s14, 1
	s_addc_u32 s15, s15, 0
	s_and_not1_b32 s0, s19, exec_lo
	s_waitcnt vmcnt(0)
	v_cmp_ne_u16_e32 vcc_lo, v63, v64
	s_and_b32 s19, vcc_lo, exec_lo
	s_delay_alu instid0(SALU_CYCLE_1)
	s_or_b32 s19, s0, s19
.LBB1415_715:                           ;   in Loop: Header=BB1415_716 Depth=1
	v_dual_mov_b32 v64, s15 :: v_dual_mov_b32 v63, s14
	s_and_b32 s0, exec_lo, s19
	s_delay_alu instid0(SALU_CYCLE_1) | instskip(NEXT) | instid1(SALU_CYCLE_1)
	s_or_b32 s18, s0, s18
	s_and_not1_b32 exec_lo, exec_lo, s18
	s_cbranch_execz .LBB1415_718
.LBB1415_716:                           ; =>This Inner Loop Header: Depth=1
	s_or_b32 s19, s19, exec_lo
	s_cmp_eq_u64 s[12:13], s[14:15]
	s_cbranch_scc0 .LBB1415_714
; %bb.717:                              ;   in Loop: Header=BB1415_716 Depth=1
	s_mov_b64 s[14:15], s[8:9]
                                        ; implicit-def: $vgpr59_vgpr60
                                        ; implicit-def: $vgpr61_vgpr62
	s_branch .LBB1415_715
.LBB1415_718:
	s_set_inst_prefetch_distance 0x2
	s_or_b32 exec_lo, exec_lo, s18
	v_cmp_gt_i64_e32 vcc_lo, s[8:9], v[63:64]
	s_mov_b32 s0, 0
	s_delay_alu instid0(SALU_CYCLE_1)
	v_mov_b32_e32 v124, s0
	v_cndmask_b32_e64 v123, 0, 1, vcc_lo
.LBB1415_719:
	s_or_b32 exec_lo, exec_lo, s3
.LBB1415_720:
	v_mul_lo_u32 v61, v50, s8
	v_mul_lo_u32 v62, v49, s9
	v_mad_u64_u32 v[59:60], null, v49, s8, 0
	v_mov_b32_e32 v127, 0
	v_mov_b32_e32 v128, 0
	v_cmp_ne_u32_e32 vcc_lo, 1, v65
	s_delay_alu instid0(VALU_DEP_2) | instskip(SKIP_1) | instid1(VALU_DEP_1)
	v_dual_mov_b32 v125, v127 :: v_dual_mov_b32 v126, v128
	v_add3_u32 v60, v60, v62, v61
	v_lshlrev_b64 v[59:60], 1, v[59:60]
	s_cbranch_vccnz .LBB1415_729
; %bb.721:
	v_add_co_u32 v61, vcc_lo, s10, v57
	v_add_co_ci_u32_e32 v62, vcc_lo, s11, v58, vcc_lo
	s_delay_alu instid0(VALU_DEP_3) | instskip(NEXT) | instid1(VALU_DEP_4)
	v_add_co_u32 v57, vcc_lo, s10, v59
	v_add_co_ci_u32_e32 v58, vcc_lo, s11, v60, vcc_lo
	v_mov_b32_e32 v125, 1
	s_clause 0x1
	global_load_u16 v63, v[61:62], off
	global_load_u16 v64, v[57:58], off
	v_mov_b32_e32 v126, 0
	s_mov_b32 s3, exec_lo
	s_waitcnt vmcnt(0)
	v_cmpx_eq_u16_e64 v63, v64
	s_cbranch_execz .LBB1415_728
; %bb.722:
	v_add_co_u32 v57, vcc_lo, v57, 2
	v_add_co_ci_u32_e32 v58, vcc_lo, 0, v58, vcc_lo
	v_add_co_u32 v61, vcc_lo, v61, 2
	v_add_co_ci_u32_e32 v62, vcc_lo, 0, v62, vcc_lo
	s_add_u32 s12, s8, -1
	s_addc_u32 s13, s9, -1
	s_mov_b64 s[14:15], 0
	s_mov_b32 s18, 0
                                        ; implicit-def: $sgpr19
	s_set_inst_prefetch_distance 0x1
	s_branch .LBB1415_725
	.p2align	6
.LBB1415_723:                           ;   in Loop: Header=BB1415_725 Depth=1
	global_load_u16 v63, v[61:62], off
	global_load_u16 v64, v[57:58], off
	v_add_co_u32 v57, vcc_lo, v57, 2
	v_add_co_ci_u32_e32 v58, vcc_lo, 0, v58, vcc_lo
	v_add_co_u32 v61, s0, v61, 2
	s_delay_alu instid0(VALU_DEP_1)
	v_add_co_ci_u32_e64 v62, s0, 0, v62, s0
	s_add_u32 s14, s14, 1
	s_addc_u32 s15, s15, 0
	s_and_not1_b32 s0, s19, exec_lo
	s_waitcnt vmcnt(0)
	v_cmp_ne_u16_e32 vcc_lo, v63, v64
	s_and_b32 s19, vcc_lo, exec_lo
	s_delay_alu instid0(SALU_CYCLE_1)
	s_or_b32 s19, s0, s19
.LBB1415_724:                           ;   in Loop: Header=BB1415_725 Depth=1
	v_dual_mov_b32 v64, s15 :: v_dual_mov_b32 v63, s14
	s_and_b32 s0, exec_lo, s19
	s_delay_alu instid0(SALU_CYCLE_1) | instskip(NEXT) | instid1(SALU_CYCLE_1)
	s_or_b32 s18, s0, s18
	s_and_not1_b32 exec_lo, exec_lo, s18
	s_cbranch_execz .LBB1415_727
.LBB1415_725:                           ; =>This Inner Loop Header: Depth=1
	s_or_b32 s19, s19, exec_lo
	s_cmp_eq_u64 s[12:13], s[14:15]
	s_cbranch_scc0 .LBB1415_723
; %bb.726:                              ;   in Loop: Header=BB1415_725 Depth=1
	s_mov_b64 s[14:15], s[8:9]
                                        ; implicit-def: $vgpr57_vgpr58
                                        ; implicit-def: $vgpr61_vgpr62
	s_branch .LBB1415_724
.LBB1415_727:
	s_set_inst_prefetch_distance 0x2
	s_or_b32 exec_lo, exec_lo, s18
	v_cmp_gt_i64_e32 vcc_lo, s[8:9], v[63:64]
	s_mov_b32 s0, 0
	s_delay_alu instid0(SALU_CYCLE_1)
	v_mov_b32_e32 v126, s0
	v_cndmask_b32_e64 v125, 0, 1, vcc_lo
.LBB1415_728:
	s_or_b32 exec_lo, exec_lo, s3
.LBB1415_729:
	v_mul_lo_u32 v61, v48, s8
	v_mul_lo_u32 v62, v47, s9
	v_mad_u64_u32 v[57:58], null, v47, s8, 0
	v_cmp_ne_u32_e32 vcc_lo, 1, v65
	s_delay_alu instid0(VALU_DEP_2) | instskip(NEXT) | instid1(VALU_DEP_1)
	v_add3_u32 v58, v58, v62, v61
	v_lshlrev_b64 v[57:58], 1, v[57:58]
	s_cbranch_vccnz .LBB1415_738
; %bb.730:
	v_add_co_u32 v61, vcc_lo, s10, v59
	v_add_co_ci_u32_e32 v62, vcc_lo, s11, v60, vcc_lo
	s_delay_alu instid0(VALU_DEP_3) | instskip(NEXT) | instid1(VALU_DEP_4)
	v_add_co_u32 v59, vcc_lo, s10, v57
	v_add_co_ci_u32_e32 v60, vcc_lo, s11, v58, vcc_lo
	v_mov_b32_e32 v127, 1
	s_clause 0x1
	global_load_u16 v63, v[61:62], off
	global_load_u16 v64, v[59:60], off
	v_mov_b32_e32 v128, 0
	s_mov_b32 s3, exec_lo
	s_waitcnt vmcnt(0)
	v_cmpx_eq_u16_e64 v63, v64
	s_cbranch_execz .LBB1415_737
; %bb.731:
	v_add_co_u32 v59, vcc_lo, v59, 2
	v_add_co_ci_u32_e32 v60, vcc_lo, 0, v60, vcc_lo
	v_add_co_u32 v61, vcc_lo, v61, 2
	v_add_co_ci_u32_e32 v62, vcc_lo, 0, v62, vcc_lo
	s_add_u32 s12, s8, -1
	s_addc_u32 s13, s9, -1
	s_mov_b64 s[14:15], 0
	s_mov_b32 s18, 0
                                        ; implicit-def: $sgpr19
	s_set_inst_prefetch_distance 0x1
	s_branch .LBB1415_734
	.p2align	6
.LBB1415_732:                           ;   in Loop: Header=BB1415_734 Depth=1
	global_load_u16 v63, v[61:62], off
	global_load_u16 v64, v[59:60], off
	v_add_co_u32 v59, vcc_lo, v59, 2
	v_add_co_ci_u32_e32 v60, vcc_lo, 0, v60, vcc_lo
	v_add_co_u32 v61, s0, v61, 2
	s_delay_alu instid0(VALU_DEP_1)
	v_add_co_ci_u32_e64 v62, s0, 0, v62, s0
	s_add_u32 s14, s14, 1
	s_addc_u32 s15, s15, 0
	s_and_not1_b32 s0, s19, exec_lo
	s_waitcnt vmcnt(0)
	v_cmp_ne_u16_e32 vcc_lo, v63, v64
	s_and_b32 s19, vcc_lo, exec_lo
	s_delay_alu instid0(SALU_CYCLE_1)
	s_or_b32 s19, s0, s19
.LBB1415_733:                           ;   in Loop: Header=BB1415_734 Depth=1
	v_dual_mov_b32 v64, s15 :: v_dual_mov_b32 v63, s14
	s_and_b32 s0, exec_lo, s19
	s_delay_alu instid0(SALU_CYCLE_1) | instskip(NEXT) | instid1(SALU_CYCLE_1)
	s_or_b32 s18, s0, s18
	s_and_not1_b32 exec_lo, exec_lo, s18
	s_cbranch_execz .LBB1415_736
.LBB1415_734:                           ; =>This Inner Loop Header: Depth=1
	s_or_b32 s19, s19, exec_lo
	s_cmp_eq_u64 s[12:13], s[14:15]
	s_cbranch_scc0 .LBB1415_732
; %bb.735:                              ;   in Loop: Header=BB1415_734 Depth=1
	s_mov_b64 s[14:15], s[8:9]
                                        ; implicit-def: $vgpr59_vgpr60
                                        ; implicit-def: $vgpr61_vgpr62
	s_branch .LBB1415_733
.LBB1415_736:
	s_set_inst_prefetch_distance 0x2
	s_or_b32 exec_lo, exec_lo, s18
	v_cmp_gt_i64_e32 vcc_lo, s[8:9], v[63:64]
	s_mov_b32 s0, 0
	s_delay_alu instid0(SALU_CYCLE_1)
	v_mov_b32_e32 v128, s0
	v_cndmask_b32_e64 v127, 0, 1, vcc_lo
.LBB1415_737:
	s_or_b32 exec_lo, exec_lo, s3
.LBB1415_738:
	v_mul_lo_u32 v61, v46, s8
	v_mul_lo_u32 v62, v45, s9
	v_mad_u64_u32 v[59:60], null, v45, s8, 0
	v_mov_b32_e32 v131, 0
	v_mov_b32_e32 v132, 0
	v_cmp_ne_u32_e32 vcc_lo, 1, v65
	s_delay_alu instid0(VALU_DEP_2) | instskip(SKIP_1) | instid1(VALU_DEP_1)
	v_dual_mov_b32 v129, v131 :: v_dual_mov_b32 v130, v132
	v_add3_u32 v60, v60, v62, v61
	v_lshlrev_b64 v[59:60], 1, v[59:60]
	s_cbranch_vccnz .LBB1415_747
; %bb.739:
	v_add_co_u32 v61, vcc_lo, s10, v57
	v_add_co_ci_u32_e32 v62, vcc_lo, s11, v58, vcc_lo
	s_delay_alu instid0(VALU_DEP_3) | instskip(NEXT) | instid1(VALU_DEP_4)
	v_add_co_u32 v57, vcc_lo, s10, v59
	v_add_co_ci_u32_e32 v58, vcc_lo, s11, v60, vcc_lo
	v_mov_b32_e32 v129, 1
	s_clause 0x1
	global_load_u16 v63, v[61:62], off
	global_load_u16 v64, v[57:58], off
	v_mov_b32_e32 v130, 0
	s_mov_b32 s3, exec_lo
	s_waitcnt vmcnt(0)
	v_cmpx_eq_u16_e64 v63, v64
	s_cbranch_execz .LBB1415_746
; %bb.740:
	v_add_co_u32 v57, vcc_lo, v57, 2
	v_add_co_ci_u32_e32 v58, vcc_lo, 0, v58, vcc_lo
	v_add_co_u32 v61, vcc_lo, v61, 2
	v_add_co_ci_u32_e32 v62, vcc_lo, 0, v62, vcc_lo
	s_add_u32 s12, s8, -1
	s_addc_u32 s13, s9, -1
	s_mov_b64 s[14:15], 0
	s_mov_b32 s18, 0
                                        ; implicit-def: $sgpr19
	s_set_inst_prefetch_distance 0x1
	s_branch .LBB1415_743
	.p2align	6
.LBB1415_741:                           ;   in Loop: Header=BB1415_743 Depth=1
	global_load_u16 v63, v[61:62], off
	global_load_u16 v64, v[57:58], off
	v_add_co_u32 v57, vcc_lo, v57, 2
	v_add_co_ci_u32_e32 v58, vcc_lo, 0, v58, vcc_lo
	v_add_co_u32 v61, s0, v61, 2
	s_delay_alu instid0(VALU_DEP_1)
	v_add_co_ci_u32_e64 v62, s0, 0, v62, s0
	s_add_u32 s14, s14, 1
	s_addc_u32 s15, s15, 0
	s_and_not1_b32 s0, s19, exec_lo
	s_waitcnt vmcnt(0)
	v_cmp_ne_u16_e32 vcc_lo, v63, v64
	s_and_b32 s19, vcc_lo, exec_lo
	s_delay_alu instid0(SALU_CYCLE_1)
	s_or_b32 s19, s0, s19
.LBB1415_742:                           ;   in Loop: Header=BB1415_743 Depth=1
	v_dual_mov_b32 v64, s15 :: v_dual_mov_b32 v63, s14
	s_and_b32 s0, exec_lo, s19
	s_delay_alu instid0(SALU_CYCLE_1) | instskip(NEXT) | instid1(SALU_CYCLE_1)
	s_or_b32 s18, s0, s18
	s_and_not1_b32 exec_lo, exec_lo, s18
	s_cbranch_execz .LBB1415_745
.LBB1415_743:                           ; =>This Inner Loop Header: Depth=1
	s_or_b32 s19, s19, exec_lo
	s_cmp_eq_u64 s[12:13], s[14:15]
	s_cbranch_scc0 .LBB1415_741
; %bb.744:                              ;   in Loop: Header=BB1415_743 Depth=1
	s_mov_b64 s[14:15], s[8:9]
                                        ; implicit-def: $vgpr57_vgpr58
                                        ; implicit-def: $vgpr61_vgpr62
	s_branch .LBB1415_742
.LBB1415_745:
	s_set_inst_prefetch_distance 0x2
	s_or_b32 exec_lo, exec_lo, s18
	v_cmp_gt_i64_e32 vcc_lo, s[8:9], v[63:64]
	s_mov_b32 s0, 0
	s_delay_alu instid0(SALU_CYCLE_1)
	v_mov_b32_e32 v130, s0
	v_cndmask_b32_e64 v129, 0, 1, vcc_lo
.LBB1415_746:
	s_or_b32 exec_lo, exec_lo, s3
.LBB1415_747:
	v_mul_lo_u32 v61, v44, s8
	v_mul_lo_u32 v62, v43, s9
	v_mad_u64_u32 v[57:58], null, v43, s8, 0
	v_cmp_ne_u32_e32 vcc_lo, 1, v65
	s_delay_alu instid0(VALU_DEP_2) | instskip(NEXT) | instid1(VALU_DEP_1)
	v_add3_u32 v58, v58, v62, v61
	v_lshlrev_b64 v[57:58], 1, v[57:58]
	s_cbranch_vccnz .LBB1415_756
; %bb.748:
	v_add_co_u32 v61, vcc_lo, s10, v59
	v_add_co_ci_u32_e32 v62, vcc_lo, s11, v60, vcc_lo
	s_delay_alu instid0(VALU_DEP_3) | instskip(NEXT) | instid1(VALU_DEP_4)
	v_add_co_u32 v59, vcc_lo, s10, v57
	v_add_co_ci_u32_e32 v60, vcc_lo, s11, v58, vcc_lo
	v_mov_b32_e32 v131, 1
	s_clause 0x1
	global_load_u16 v63, v[61:62], off
	global_load_u16 v64, v[59:60], off
	v_mov_b32_e32 v132, 0
	s_mov_b32 s3, exec_lo
	s_waitcnt vmcnt(0)
	v_cmpx_eq_u16_e64 v63, v64
	s_cbranch_execz .LBB1415_755
; %bb.749:
	v_add_co_u32 v59, vcc_lo, v59, 2
	v_add_co_ci_u32_e32 v60, vcc_lo, 0, v60, vcc_lo
	v_add_co_u32 v61, vcc_lo, v61, 2
	v_add_co_ci_u32_e32 v62, vcc_lo, 0, v62, vcc_lo
	s_add_u32 s12, s8, -1
	s_addc_u32 s13, s9, -1
	s_mov_b64 s[14:15], 0
	s_mov_b32 s18, 0
                                        ; implicit-def: $sgpr19
	s_set_inst_prefetch_distance 0x1
	s_branch .LBB1415_752
	.p2align	6
.LBB1415_750:                           ;   in Loop: Header=BB1415_752 Depth=1
	global_load_u16 v63, v[61:62], off
	global_load_u16 v64, v[59:60], off
	v_add_co_u32 v59, vcc_lo, v59, 2
	v_add_co_ci_u32_e32 v60, vcc_lo, 0, v60, vcc_lo
	v_add_co_u32 v61, s0, v61, 2
	s_delay_alu instid0(VALU_DEP_1)
	v_add_co_ci_u32_e64 v62, s0, 0, v62, s0
	s_add_u32 s14, s14, 1
	s_addc_u32 s15, s15, 0
	s_and_not1_b32 s0, s19, exec_lo
	s_waitcnt vmcnt(0)
	v_cmp_ne_u16_e32 vcc_lo, v63, v64
	s_and_b32 s19, vcc_lo, exec_lo
	s_delay_alu instid0(SALU_CYCLE_1)
	s_or_b32 s19, s0, s19
.LBB1415_751:                           ;   in Loop: Header=BB1415_752 Depth=1
	v_dual_mov_b32 v64, s15 :: v_dual_mov_b32 v63, s14
	s_and_b32 s0, exec_lo, s19
	s_delay_alu instid0(SALU_CYCLE_1) | instskip(NEXT) | instid1(SALU_CYCLE_1)
	s_or_b32 s18, s0, s18
	s_and_not1_b32 exec_lo, exec_lo, s18
	s_cbranch_execz .LBB1415_754
.LBB1415_752:                           ; =>This Inner Loop Header: Depth=1
	s_or_b32 s19, s19, exec_lo
	s_cmp_eq_u64 s[12:13], s[14:15]
	s_cbranch_scc0 .LBB1415_750
; %bb.753:                              ;   in Loop: Header=BB1415_752 Depth=1
	s_mov_b64 s[14:15], s[8:9]
                                        ; implicit-def: $vgpr59_vgpr60
                                        ; implicit-def: $vgpr61_vgpr62
	s_branch .LBB1415_751
.LBB1415_754:
	s_set_inst_prefetch_distance 0x2
	s_or_b32 exec_lo, exec_lo, s18
	v_cmp_gt_i64_e32 vcc_lo, s[8:9], v[63:64]
	s_mov_b32 s0, 0
	s_delay_alu instid0(SALU_CYCLE_1)
	v_mov_b32_e32 v132, s0
	v_cndmask_b32_e64 v131, 0, 1, vcc_lo
.LBB1415_755:
	s_or_b32 exec_lo, exec_lo, s3
.LBB1415_756:
	v_mul_lo_u32 v61, v42, s8
	v_mul_lo_u32 v62, v41, s9
	v_mad_u64_u32 v[59:60], null, v41, s8, 0
	v_mov_b32_e32 v135, 0
	v_mov_b32_e32 v136, 0
	v_cmp_ne_u32_e32 vcc_lo, 1, v65
	s_delay_alu instid0(VALU_DEP_2) | instskip(SKIP_1) | instid1(VALU_DEP_1)
	v_dual_mov_b32 v133, v135 :: v_dual_mov_b32 v134, v136
	v_add3_u32 v60, v60, v62, v61
	v_lshlrev_b64 v[59:60], 1, v[59:60]
	s_cbranch_vccnz .LBB1415_765
; %bb.757:
	v_add_co_u32 v61, vcc_lo, s10, v57
	v_add_co_ci_u32_e32 v62, vcc_lo, s11, v58, vcc_lo
	s_delay_alu instid0(VALU_DEP_3) | instskip(NEXT) | instid1(VALU_DEP_4)
	v_add_co_u32 v57, vcc_lo, s10, v59
	v_add_co_ci_u32_e32 v58, vcc_lo, s11, v60, vcc_lo
	v_mov_b32_e32 v133, 1
	s_clause 0x1
	global_load_u16 v63, v[61:62], off
	global_load_u16 v64, v[57:58], off
	v_mov_b32_e32 v134, 0
	s_mov_b32 s3, exec_lo
	s_waitcnt vmcnt(0)
	v_cmpx_eq_u16_e64 v63, v64
	s_cbranch_execz .LBB1415_764
; %bb.758:
	v_add_co_u32 v57, vcc_lo, v57, 2
	v_add_co_ci_u32_e32 v58, vcc_lo, 0, v58, vcc_lo
	v_add_co_u32 v61, vcc_lo, v61, 2
	v_add_co_ci_u32_e32 v62, vcc_lo, 0, v62, vcc_lo
	s_add_u32 s12, s8, -1
	s_addc_u32 s13, s9, -1
	s_mov_b64 s[14:15], 0
	s_mov_b32 s18, 0
                                        ; implicit-def: $sgpr19
	s_set_inst_prefetch_distance 0x1
	s_branch .LBB1415_761
	.p2align	6
.LBB1415_759:                           ;   in Loop: Header=BB1415_761 Depth=1
	global_load_u16 v63, v[61:62], off
	global_load_u16 v64, v[57:58], off
	v_add_co_u32 v57, vcc_lo, v57, 2
	v_add_co_ci_u32_e32 v58, vcc_lo, 0, v58, vcc_lo
	v_add_co_u32 v61, s0, v61, 2
	s_delay_alu instid0(VALU_DEP_1)
	v_add_co_ci_u32_e64 v62, s0, 0, v62, s0
	s_add_u32 s14, s14, 1
	s_addc_u32 s15, s15, 0
	s_and_not1_b32 s0, s19, exec_lo
	s_waitcnt vmcnt(0)
	v_cmp_ne_u16_e32 vcc_lo, v63, v64
	s_and_b32 s19, vcc_lo, exec_lo
	s_delay_alu instid0(SALU_CYCLE_1)
	s_or_b32 s19, s0, s19
.LBB1415_760:                           ;   in Loop: Header=BB1415_761 Depth=1
	v_dual_mov_b32 v64, s15 :: v_dual_mov_b32 v63, s14
	s_and_b32 s0, exec_lo, s19
	s_delay_alu instid0(SALU_CYCLE_1) | instskip(NEXT) | instid1(SALU_CYCLE_1)
	s_or_b32 s18, s0, s18
	s_and_not1_b32 exec_lo, exec_lo, s18
	s_cbranch_execz .LBB1415_763
.LBB1415_761:                           ; =>This Inner Loop Header: Depth=1
	s_or_b32 s19, s19, exec_lo
	s_cmp_eq_u64 s[12:13], s[14:15]
	s_cbranch_scc0 .LBB1415_759
; %bb.762:                              ;   in Loop: Header=BB1415_761 Depth=1
	s_mov_b64 s[14:15], s[8:9]
                                        ; implicit-def: $vgpr57_vgpr58
                                        ; implicit-def: $vgpr61_vgpr62
	s_branch .LBB1415_760
.LBB1415_763:
	s_set_inst_prefetch_distance 0x2
	s_or_b32 exec_lo, exec_lo, s18
	v_cmp_gt_i64_e32 vcc_lo, s[8:9], v[63:64]
	s_mov_b32 s0, 0
	s_delay_alu instid0(SALU_CYCLE_1)
	v_mov_b32_e32 v134, s0
	v_cndmask_b32_e64 v133, 0, 1, vcc_lo
.LBB1415_764:
	s_or_b32 exec_lo, exec_lo, s3
.LBB1415_765:
	v_mul_lo_u32 v61, v40, s8
	v_mul_lo_u32 v62, v39, s9
	v_mad_u64_u32 v[57:58], null, v39, s8, 0
	v_cmp_ne_u32_e32 vcc_lo, 1, v65
	s_delay_alu instid0(VALU_DEP_2) | instskip(NEXT) | instid1(VALU_DEP_1)
	v_add3_u32 v58, v58, v62, v61
	v_lshlrev_b64 v[57:58], 1, v[57:58]
	s_cbranch_vccnz .LBB1415_774
; %bb.766:
	v_add_co_u32 v61, vcc_lo, s10, v59
	v_add_co_ci_u32_e32 v62, vcc_lo, s11, v60, vcc_lo
	s_delay_alu instid0(VALU_DEP_3) | instskip(NEXT) | instid1(VALU_DEP_4)
	v_add_co_u32 v59, vcc_lo, s10, v57
	v_add_co_ci_u32_e32 v60, vcc_lo, s11, v58, vcc_lo
	v_mov_b32_e32 v135, 1
	s_clause 0x1
	global_load_u16 v63, v[61:62], off
	global_load_u16 v64, v[59:60], off
	v_mov_b32_e32 v136, 0
	s_mov_b32 s3, exec_lo
	s_waitcnt vmcnt(0)
	v_cmpx_eq_u16_e64 v63, v64
	s_cbranch_execz .LBB1415_773
; %bb.767:
	v_add_co_u32 v59, vcc_lo, v59, 2
	v_add_co_ci_u32_e32 v60, vcc_lo, 0, v60, vcc_lo
	v_add_co_u32 v61, vcc_lo, v61, 2
	v_add_co_ci_u32_e32 v62, vcc_lo, 0, v62, vcc_lo
	s_add_u32 s12, s8, -1
	s_addc_u32 s13, s9, -1
	s_mov_b64 s[14:15], 0
	s_mov_b32 s18, 0
                                        ; implicit-def: $sgpr19
	s_set_inst_prefetch_distance 0x1
	s_branch .LBB1415_770
	.p2align	6
.LBB1415_768:                           ;   in Loop: Header=BB1415_770 Depth=1
	global_load_u16 v63, v[61:62], off
	global_load_u16 v64, v[59:60], off
	v_add_co_u32 v59, vcc_lo, v59, 2
	v_add_co_ci_u32_e32 v60, vcc_lo, 0, v60, vcc_lo
	v_add_co_u32 v61, s0, v61, 2
	s_delay_alu instid0(VALU_DEP_1)
	v_add_co_ci_u32_e64 v62, s0, 0, v62, s0
	s_add_u32 s14, s14, 1
	s_addc_u32 s15, s15, 0
	s_and_not1_b32 s0, s19, exec_lo
	s_waitcnt vmcnt(0)
	v_cmp_ne_u16_e32 vcc_lo, v63, v64
	s_and_b32 s19, vcc_lo, exec_lo
	s_delay_alu instid0(SALU_CYCLE_1)
	s_or_b32 s19, s0, s19
.LBB1415_769:                           ;   in Loop: Header=BB1415_770 Depth=1
	v_dual_mov_b32 v64, s15 :: v_dual_mov_b32 v63, s14
	s_and_b32 s0, exec_lo, s19
	s_delay_alu instid0(SALU_CYCLE_1) | instskip(NEXT) | instid1(SALU_CYCLE_1)
	s_or_b32 s18, s0, s18
	s_and_not1_b32 exec_lo, exec_lo, s18
	s_cbranch_execz .LBB1415_772
.LBB1415_770:                           ; =>This Inner Loop Header: Depth=1
	s_or_b32 s19, s19, exec_lo
	s_cmp_eq_u64 s[12:13], s[14:15]
	s_cbranch_scc0 .LBB1415_768
; %bb.771:                              ;   in Loop: Header=BB1415_770 Depth=1
	s_mov_b64 s[14:15], s[8:9]
                                        ; implicit-def: $vgpr59_vgpr60
                                        ; implicit-def: $vgpr61_vgpr62
	s_branch .LBB1415_769
.LBB1415_772:
	s_set_inst_prefetch_distance 0x2
	s_or_b32 exec_lo, exec_lo, s18
	v_cmp_gt_i64_e32 vcc_lo, s[8:9], v[63:64]
	s_mov_b32 s0, 0
	s_delay_alu instid0(SALU_CYCLE_1)
	v_mov_b32_e32 v136, s0
	v_cndmask_b32_e64 v135, 0, 1, vcc_lo
.LBB1415_773:
	s_or_b32 exec_lo, exec_lo, s3
.LBB1415_774:
	v_mul_lo_u32 v61, v38, s8
	v_mul_lo_u32 v62, v37, s9
	v_mad_u64_u32 v[59:60], null, v37, s8, 0
	v_mov_b32_e32 v139, 0
	v_mov_b32_e32 v140, 0
	v_cmp_ne_u32_e32 vcc_lo, 1, v65
	s_delay_alu instid0(VALU_DEP_2) | instskip(SKIP_1) | instid1(VALU_DEP_1)
	v_dual_mov_b32 v137, v139 :: v_dual_mov_b32 v138, v140
	v_add3_u32 v60, v60, v62, v61
	v_lshlrev_b64 v[59:60], 1, v[59:60]
	s_cbranch_vccnz .LBB1415_783
; %bb.775:
	v_add_co_u32 v61, vcc_lo, s10, v57
	v_add_co_ci_u32_e32 v62, vcc_lo, s11, v58, vcc_lo
	s_delay_alu instid0(VALU_DEP_3) | instskip(NEXT) | instid1(VALU_DEP_4)
	v_add_co_u32 v57, vcc_lo, s10, v59
	v_add_co_ci_u32_e32 v58, vcc_lo, s11, v60, vcc_lo
	v_mov_b32_e32 v137, 1
	s_clause 0x1
	global_load_u16 v63, v[61:62], off
	global_load_u16 v64, v[57:58], off
	v_mov_b32_e32 v138, 0
	s_mov_b32 s3, exec_lo
	s_waitcnt vmcnt(0)
	v_cmpx_eq_u16_e64 v63, v64
	s_cbranch_execz .LBB1415_782
; %bb.776:
	v_add_co_u32 v57, vcc_lo, v57, 2
	v_add_co_ci_u32_e32 v58, vcc_lo, 0, v58, vcc_lo
	v_add_co_u32 v61, vcc_lo, v61, 2
	v_add_co_ci_u32_e32 v62, vcc_lo, 0, v62, vcc_lo
	s_add_u32 s12, s8, -1
	s_addc_u32 s13, s9, -1
	s_mov_b64 s[14:15], 0
	s_mov_b32 s18, 0
                                        ; implicit-def: $sgpr19
	s_set_inst_prefetch_distance 0x1
	s_branch .LBB1415_779
	.p2align	6
.LBB1415_777:                           ;   in Loop: Header=BB1415_779 Depth=1
	global_load_u16 v63, v[61:62], off
	global_load_u16 v64, v[57:58], off
	v_add_co_u32 v57, vcc_lo, v57, 2
	v_add_co_ci_u32_e32 v58, vcc_lo, 0, v58, vcc_lo
	v_add_co_u32 v61, s0, v61, 2
	s_delay_alu instid0(VALU_DEP_1)
	v_add_co_ci_u32_e64 v62, s0, 0, v62, s0
	s_add_u32 s14, s14, 1
	s_addc_u32 s15, s15, 0
	s_and_not1_b32 s0, s19, exec_lo
	s_waitcnt vmcnt(0)
	v_cmp_ne_u16_e32 vcc_lo, v63, v64
	s_and_b32 s19, vcc_lo, exec_lo
	s_delay_alu instid0(SALU_CYCLE_1)
	s_or_b32 s19, s0, s19
.LBB1415_778:                           ;   in Loop: Header=BB1415_779 Depth=1
	v_dual_mov_b32 v64, s15 :: v_dual_mov_b32 v63, s14
	s_and_b32 s0, exec_lo, s19
	s_delay_alu instid0(SALU_CYCLE_1) | instskip(NEXT) | instid1(SALU_CYCLE_1)
	s_or_b32 s18, s0, s18
	s_and_not1_b32 exec_lo, exec_lo, s18
	s_cbranch_execz .LBB1415_781
.LBB1415_779:                           ; =>This Inner Loop Header: Depth=1
	s_or_b32 s19, s19, exec_lo
	s_cmp_eq_u64 s[12:13], s[14:15]
	s_cbranch_scc0 .LBB1415_777
; %bb.780:                              ;   in Loop: Header=BB1415_779 Depth=1
	s_mov_b64 s[14:15], s[8:9]
                                        ; implicit-def: $vgpr57_vgpr58
                                        ; implicit-def: $vgpr61_vgpr62
	s_branch .LBB1415_778
.LBB1415_781:
	s_set_inst_prefetch_distance 0x2
	s_or_b32 exec_lo, exec_lo, s18
	v_cmp_gt_i64_e32 vcc_lo, s[8:9], v[63:64]
	s_mov_b32 s0, 0
	s_delay_alu instid0(SALU_CYCLE_1)
	v_mov_b32_e32 v138, s0
	v_cndmask_b32_e64 v137, 0, 1, vcc_lo
.LBB1415_782:
	s_or_b32 exec_lo, exec_lo, s3
.LBB1415_783:
	v_mul_lo_u32 v61, v36, s8
	v_mul_lo_u32 v62, v35, s9
	v_mad_u64_u32 v[57:58], null, v35, s8, 0
	v_cmp_ne_u32_e32 vcc_lo, 1, v65
	s_delay_alu instid0(VALU_DEP_2) | instskip(NEXT) | instid1(VALU_DEP_1)
	v_add3_u32 v58, v58, v62, v61
	v_lshlrev_b64 v[57:58], 1, v[57:58]
	s_cbranch_vccnz .LBB1415_792
; %bb.784:
	v_add_co_u32 v61, vcc_lo, s10, v59
	v_add_co_ci_u32_e32 v62, vcc_lo, s11, v60, vcc_lo
	s_delay_alu instid0(VALU_DEP_3) | instskip(NEXT) | instid1(VALU_DEP_4)
	v_add_co_u32 v59, vcc_lo, s10, v57
	v_add_co_ci_u32_e32 v60, vcc_lo, s11, v58, vcc_lo
	v_mov_b32_e32 v139, 1
	s_clause 0x1
	global_load_u16 v63, v[61:62], off
	global_load_u16 v64, v[59:60], off
	v_mov_b32_e32 v140, 0
	s_mov_b32 s3, exec_lo
	s_waitcnt vmcnt(0)
	v_cmpx_eq_u16_e64 v63, v64
	s_cbranch_execz .LBB1415_791
; %bb.785:
	v_add_co_u32 v59, vcc_lo, v59, 2
	v_add_co_ci_u32_e32 v60, vcc_lo, 0, v60, vcc_lo
	v_add_co_u32 v61, vcc_lo, v61, 2
	v_add_co_ci_u32_e32 v62, vcc_lo, 0, v62, vcc_lo
	s_add_u32 s12, s8, -1
	s_addc_u32 s13, s9, -1
	s_mov_b64 s[14:15], 0
	s_mov_b32 s18, 0
                                        ; implicit-def: $sgpr19
	s_set_inst_prefetch_distance 0x1
	s_branch .LBB1415_788
	.p2align	6
.LBB1415_786:                           ;   in Loop: Header=BB1415_788 Depth=1
	global_load_u16 v63, v[61:62], off
	global_load_u16 v64, v[59:60], off
	v_add_co_u32 v59, vcc_lo, v59, 2
	v_add_co_ci_u32_e32 v60, vcc_lo, 0, v60, vcc_lo
	v_add_co_u32 v61, s0, v61, 2
	s_delay_alu instid0(VALU_DEP_1)
	v_add_co_ci_u32_e64 v62, s0, 0, v62, s0
	s_add_u32 s14, s14, 1
	s_addc_u32 s15, s15, 0
	s_and_not1_b32 s0, s19, exec_lo
	s_waitcnt vmcnt(0)
	v_cmp_ne_u16_e32 vcc_lo, v63, v64
	s_and_b32 s19, vcc_lo, exec_lo
	s_delay_alu instid0(SALU_CYCLE_1)
	s_or_b32 s19, s0, s19
.LBB1415_787:                           ;   in Loop: Header=BB1415_788 Depth=1
	v_dual_mov_b32 v64, s15 :: v_dual_mov_b32 v63, s14
	s_and_b32 s0, exec_lo, s19
	s_delay_alu instid0(SALU_CYCLE_1) | instskip(NEXT) | instid1(SALU_CYCLE_1)
	s_or_b32 s18, s0, s18
	s_and_not1_b32 exec_lo, exec_lo, s18
	s_cbranch_execz .LBB1415_790
.LBB1415_788:                           ; =>This Inner Loop Header: Depth=1
	s_or_b32 s19, s19, exec_lo
	s_cmp_eq_u64 s[12:13], s[14:15]
	s_cbranch_scc0 .LBB1415_786
; %bb.789:                              ;   in Loop: Header=BB1415_788 Depth=1
	s_mov_b64 s[14:15], s[8:9]
                                        ; implicit-def: $vgpr59_vgpr60
                                        ; implicit-def: $vgpr61_vgpr62
	s_branch .LBB1415_787
.LBB1415_790:
	s_set_inst_prefetch_distance 0x2
	s_or_b32 exec_lo, exec_lo, s18
	v_cmp_gt_i64_e32 vcc_lo, s[8:9], v[63:64]
	s_mov_b32 s0, 0
	s_delay_alu instid0(SALU_CYCLE_1)
	v_mov_b32_e32 v140, s0
	v_cndmask_b32_e64 v139, 0, 1, vcc_lo
.LBB1415_791:
	s_or_b32 exec_lo, exec_lo, s3
.LBB1415_792:
	v_mul_lo_u32 v61, v34, s8
	v_mul_lo_u32 v62, v33, s9
	v_mad_u64_u32 v[59:60], null, v33, s8, 0
	v_mov_b32_e32 v143, 0
	v_mov_b32_e32 v144, 0
	v_cmp_ne_u32_e32 vcc_lo, 1, v65
	s_delay_alu instid0(VALU_DEP_2) | instskip(SKIP_1) | instid1(VALU_DEP_1)
	v_dual_mov_b32 v141, v143 :: v_dual_mov_b32 v142, v144
	v_add3_u32 v60, v60, v62, v61
	v_lshlrev_b64 v[59:60], 1, v[59:60]
	s_cbranch_vccnz .LBB1415_801
; %bb.793:
	v_add_co_u32 v61, vcc_lo, s10, v57
	v_add_co_ci_u32_e32 v62, vcc_lo, s11, v58, vcc_lo
	s_delay_alu instid0(VALU_DEP_3) | instskip(NEXT) | instid1(VALU_DEP_4)
	v_add_co_u32 v57, vcc_lo, s10, v59
	v_add_co_ci_u32_e32 v58, vcc_lo, s11, v60, vcc_lo
	v_mov_b32_e32 v141, 1
	s_clause 0x1
	global_load_u16 v63, v[61:62], off
	global_load_u16 v64, v[57:58], off
	v_mov_b32_e32 v142, 0
	s_mov_b32 s3, exec_lo
	s_waitcnt vmcnt(0)
	v_cmpx_eq_u16_e64 v63, v64
	s_cbranch_execz .LBB1415_800
; %bb.794:
	v_add_co_u32 v57, vcc_lo, v57, 2
	v_add_co_ci_u32_e32 v58, vcc_lo, 0, v58, vcc_lo
	v_add_co_u32 v61, vcc_lo, v61, 2
	v_add_co_ci_u32_e32 v62, vcc_lo, 0, v62, vcc_lo
	s_add_u32 s12, s8, -1
	s_addc_u32 s13, s9, -1
	s_mov_b64 s[14:15], 0
	s_mov_b32 s18, 0
                                        ; implicit-def: $sgpr19
	s_set_inst_prefetch_distance 0x1
	s_branch .LBB1415_797
	.p2align	6
.LBB1415_795:                           ;   in Loop: Header=BB1415_797 Depth=1
	global_load_u16 v63, v[61:62], off
	global_load_u16 v64, v[57:58], off
	v_add_co_u32 v57, vcc_lo, v57, 2
	v_add_co_ci_u32_e32 v58, vcc_lo, 0, v58, vcc_lo
	v_add_co_u32 v61, s0, v61, 2
	s_delay_alu instid0(VALU_DEP_1)
	v_add_co_ci_u32_e64 v62, s0, 0, v62, s0
	s_add_u32 s14, s14, 1
	s_addc_u32 s15, s15, 0
	s_and_not1_b32 s0, s19, exec_lo
	s_waitcnt vmcnt(0)
	v_cmp_ne_u16_e32 vcc_lo, v63, v64
	s_and_b32 s19, vcc_lo, exec_lo
	s_delay_alu instid0(SALU_CYCLE_1)
	s_or_b32 s19, s0, s19
.LBB1415_796:                           ;   in Loop: Header=BB1415_797 Depth=1
	v_dual_mov_b32 v64, s15 :: v_dual_mov_b32 v63, s14
	s_and_b32 s0, exec_lo, s19
	s_delay_alu instid0(SALU_CYCLE_1) | instskip(NEXT) | instid1(SALU_CYCLE_1)
	s_or_b32 s18, s0, s18
	s_and_not1_b32 exec_lo, exec_lo, s18
	s_cbranch_execz .LBB1415_799
.LBB1415_797:                           ; =>This Inner Loop Header: Depth=1
	s_or_b32 s19, s19, exec_lo
	s_cmp_eq_u64 s[12:13], s[14:15]
	s_cbranch_scc0 .LBB1415_795
; %bb.798:                              ;   in Loop: Header=BB1415_797 Depth=1
	s_mov_b64 s[14:15], s[8:9]
                                        ; implicit-def: $vgpr57_vgpr58
                                        ; implicit-def: $vgpr61_vgpr62
	s_branch .LBB1415_796
.LBB1415_799:
	s_set_inst_prefetch_distance 0x2
	s_or_b32 exec_lo, exec_lo, s18
	v_cmp_gt_i64_e32 vcc_lo, s[8:9], v[63:64]
	s_mov_b32 s0, 0
	s_delay_alu instid0(SALU_CYCLE_1)
	v_mov_b32_e32 v142, s0
	v_cndmask_b32_e64 v141, 0, 1, vcc_lo
.LBB1415_800:
	s_or_b32 exec_lo, exec_lo, s3
.LBB1415_801:
	v_mul_lo_u32 v61, v32, s8
	v_mul_lo_u32 v62, v31, s9
	v_mad_u64_u32 v[57:58], null, v31, s8, 0
	v_cmp_ne_u32_e32 vcc_lo, 1, v65
	s_delay_alu instid0(VALU_DEP_2) | instskip(NEXT) | instid1(VALU_DEP_1)
	v_add3_u32 v58, v58, v62, v61
	v_lshlrev_b64 v[57:58], 1, v[57:58]
	s_cbranch_vccnz .LBB1415_810
; %bb.802:
	v_add_co_u32 v61, vcc_lo, s10, v59
	v_add_co_ci_u32_e32 v62, vcc_lo, s11, v60, vcc_lo
	s_delay_alu instid0(VALU_DEP_3) | instskip(NEXT) | instid1(VALU_DEP_4)
	v_add_co_u32 v59, vcc_lo, s10, v57
	v_add_co_ci_u32_e32 v60, vcc_lo, s11, v58, vcc_lo
	v_mov_b32_e32 v143, 1
	s_clause 0x1
	global_load_u16 v63, v[61:62], off
	global_load_u16 v64, v[59:60], off
	v_mov_b32_e32 v144, 0
	s_mov_b32 s3, exec_lo
	s_waitcnt vmcnt(0)
	v_cmpx_eq_u16_e64 v63, v64
	s_cbranch_execz .LBB1415_809
; %bb.803:
	v_add_co_u32 v59, vcc_lo, v59, 2
	v_add_co_ci_u32_e32 v60, vcc_lo, 0, v60, vcc_lo
	v_add_co_u32 v61, vcc_lo, v61, 2
	v_add_co_ci_u32_e32 v62, vcc_lo, 0, v62, vcc_lo
	s_add_u32 s12, s8, -1
	s_addc_u32 s13, s9, -1
	s_mov_b64 s[14:15], 0
	s_mov_b32 s18, 0
                                        ; implicit-def: $sgpr19
	s_set_inst_prefetch_distance 0x1
	s_branch .LBB1415_806
	.p2align	6
.LBB1415_804:                           ;   in Loop: Header=BB1415_806 Depth=1
	global_load_u16 v63, v[61:62], off
	global_load_u16 v64, v[59:60], off
	v_add_co_u32 v59, vcc_lo, v59, 2
	v_add_co_ci_u32_e32 v60, vcc_lo, 0, v60, vcc_lo
	v_add_co_u32 v61, s0, v61, 2
	s_delay_alu instid0(VALU_DEP_1)
	v_add_co_ci_u32_e64 v62, s0, 0, v62, s0
	s_add_u32 s14, s14, 1
	s_addc_u32 s15, s15, 0
	s_and_not1_b32 s0, s19, exec_lo
	s_waitcnt vmcnt(0)
	v_cmp_ne_u16_e32 vcc_lo, v63, v64
	s_and_b32 s19, vcc_lo, exec_lo
	s_delay_alu instid0(SALU_CYCLE_1)
	s_or_b32 s19, s0, s19
.LBB1415_805:                           ;   in Loop: Header=BB1415_806 Depth=1
	v_dual_mov_b32 v64, s15 :: v_dual_mov_b32 v63, s14
	s_and_b32 s0, exec_lo, s19
	s_delay_alu instid0(SALU_CYCLE_1) | instskip(NEXT) | instid1(SALU_CYCLE_1)
	s_or_b32 s18, s0, s18
	s_and_not1_b32 exec_lo, exec_lo, s18
	s_cbranch_execz .LBB1415_808
.LBB1415_806:                           ; =>This Inner Loop Header: Depth=1
	s_or_b32 s19, s19, exec_lo
	s_cmp_eq_u64 s[12:13], s[14:15]
	s_cbranch_scc0 .LBB1415_804
; %bb.807:                              ;   in Loop: Header=BB1415_806 Depth=1
	s_mov_b64 s[14:15], s[8:9]
                                        ; implicit-def: $vgpr59_vgpr60
                                        ; implicit-def: $vgpr61_vgpr62
	s_branch .LBB1415_805
.LBB1415_808:
	s_set_inst_prefetch_distance 0x2
	s_or_b32 exec_lo, exec_lo, s18
	v_cmp_gt_i64_e32 vcc_lo, s[8:9], v[63:64]
	s_mov_b32 s0, 0
	s_delay_alu instid0(SALU_CYCLE_1)
	v_mov_b32_e32 v144, s0
	v_cndmask_b32_e64 v143, 0, 1, vcc_lo
.LBB1415_809:
	s_or_b32 exec_lo, exec_lo, s3
.LBB1415_810:
	v_mul_lo_u32 v61, v30, s8
	v_mul_lo_u32 v62, v29, s9
	v_mad_u64_u32 v[59:60], null, v29, s8, 0
	v_mov_b32_e32 v147, 0
	v_mov_b32_e32 v148, 0
	v_cmp_ne_u32_e32 vcc_lo, 1, v65
	s_delay_alu instid0(VALU_DEP_2) | instskip(SKIP_1) | instid1(VALU_DEP_1)
	v_dual_mov_b32 v145, v147 :: v_dual_mov_b32 v146, v148
	v_add3_u32 v60, v60, v62, v61
	v_lshlrev_b64 v[59:60], 1, v[59:60]
	s_cbranch_vccnz .LBB1415_819
; %bb.811:
	v_add_co_u32 v61, vcc_lo, s10, v57
	v_add_co_ci_u32_e32 v62, vcc_lo, s11, v58, vcc_lo
	s_delay_alu instid0(VALU_DEP_3) | instskip(NEXT) | instid1(VALU_DEP_4)
	v_add_co_u32 v57, vcc_lo, s10, v59
	v_add_co_ci_u32_e32 v58, vcc_lo, s11, v60, vcc_lo
	v_mov_b32_e32 v145, 1
	s_clause 0x1
	global_load_u16 v63, v[61:62], off
	global_load_u16 v64, v[57:58], off
	v_mov_b32_e32 v146, 0
	s_mov_b32 s3, exec_lo
	s_waitcnt vmcnt(0)
	v_cmpx_eq_u16_e64 v63, v64
	s_cbranch_execz .LBB1415_818
; %bb.812:
	v_add_co_u32 v57, vcc_lo, v57, 2
	v_add_co_ci_u32_e32 v58, vcc_lo, 0, v58, vcc_lo
	v_add_co_u32 v61, vcc_lo, v61, 2
	v_add_co_ci_u32_e32 v62, vcc_lo, 0, v62, vcc_lo
	s_add_u32 s12, s8, -1
	s_addc_u32 s13, s9, -1
	s_mov_b64 s[14:15], 0
	s_mov_b32 s18, 0
                                        ; implicit-def: $sgpr19
	s_set_inst_prefetch_distance 0x1
	s_branch .LBB1415_815
	.p2align	6
.LBB1415_813:                           ;   in Loop: Header=BB1415_815 Depth=1
	global_load_u16 v63, v[61:62], off
	global_load_u16 v64, v[57:58], off
	v_add_co_u32 v57, vcc_lo, v57, 2
	v_add_co_ci_u32_e32 v58, vcc_lo, 0, v58, vcc_lo
	v_add_co_u32 v61, s0, v61, 2
	s_delay_alu instid0(VALU_DEP_1)
	v_add_co_ci_u32_e64 v62, s0, 0, v62, s0
	s_add_u32 s14, s14, 1
	s_addc_u32 s15, s15, 0
	s_and_not1_b32 s0, s19, exec_lo
	s_waitcnt vmcnt(0)
	v_cmp_ne_u16_e32 vcc_lo, v63, v64
	s_and_b32 s19, vcc_lo, exec_lo
	s_delay_alu instid0(SALU_CYCLE_1)
	s_or_b32 s19, s0, s19
.LBB1415_814:                           ;   in Loop: Header=BB1415_815 Depth=1
	v_dual_mov_b32 v64, s15 :: v_dual_mov_b32 v63, s14
	s_and_b32 s0, exec_lo, s19
	s_delay_alu instid0(SALU_CYCLE_1) | instskip(NEXT) | instid1(SALU_CYCLE_1)
	s_or_b32 s18, s0, s18
	s_and_not1_b32 exec_lo, exec_lo, s18
	s_cbranch_execz .LBB1415_817
.LBB1415_815:                           ; =>This Inner Loop Header: Depth=1
	s_or_b32 s19, s19, exec_lo
	s_cmp_eq_u64 s[12:13], s[14:15]
	s_cbranch_scc0 .LBB1415_813
; %bb.816:                              ;   in Loop: Header=BB1415_815 Depth=1
	s_mov_b64 s[14:15], s[8:9]
                                        ; implicit-def: $vgpr57_vgpr58
                                        ; implicit-def: $vgpr61_vgpr62
	s_branch .LBB1415_814
.LBB1415_817:
	s_set_inst_prefetch_distance 0x2
	s_or_b32 exec_lo, exec_lo, s18
	v_cmp_gt_i64_e32 vcc_lo, s[8:9], v[63:64]
	s_mov_b32 s0, 0
	s_delay_alu instid0(SALU_CYCLE_1)
	v_mov_b32_e32 v146, s0
	v_cndmask_b32_e64 v145, 0, 1, vcc_lo
.LBB1415_818:
	s_or_b32 exec_lo, exec_lo, s3
.LBB1415_819:
	v_mul_lo_u32 v61, v28, s8
	v_mul_lo_u32 v62, v27, s9
	v_mad_u64_u32 v[57:58], null, v27, s8, 0
	v_cmp_ne_u32_e32 vcc_lo, 1, v65
	s_delay_alu instid0(VALU_DEP_2) | instskip(NEXT) | instid1(VALU_DEP_1)
	v_add3_u32 v58, v58, v62, v61
	v_lshlrev_b64 v[57:58], 1, v[57:58]
	s_cbranch_vccnz .LBB1415_828
; %bb.820:
	v_add_co_u32 v61, vcc_lo, s10, v59
	v_add_co_ci_u32_e32 v62, vcc_lo, s11, v60, vcc_lo
	s_delay_alu instid0(VALU_DEP_3) | instskip(NEXT) | instid1(VALU_DEP_4)
	v_add_co_u32 v59, vcc_lo, s10, v57
	v_add_co_ci_u32_e32 v60, vcc_lo, s11, v58, vcc_lo
	v_mov_b32_e32 v147, 1
	s_clause 0x1
	global_load_u16 v63, v[61:62], off
	global_load_u16 v64, v[59:60], off
	v_mov_b32_e32 v148, 0
	s_mov_b32 s3, exec_lo
	s_waitcnt vmcnt(0)
	v_cmpx_eq_u16_e64 v63, v64
	s_cbranch_execz .LBB1415_827
; %bb.821:
	v_add_co_u32 v59, vcc_lo, v59, 2
	v_add_co_ci_u32_e32 v60, vcc_lo, 0, v60, vcc_lo
	v_add_co_u32 v61, vcc_lo, v61, 2
	v_add_co_ci_u32_e32 v62, vcc_lo, 0, v62, vcc_lo
	s_add_u32 s12, s8, -1
	s_addc_u32 s13, s9, -1
	s_mov_b64 s[14:15], 0
	s_mov_b32 s18, 0
                                        ; implicit-def: $sgpr19
	s_set_inst_prefetch_distance 0x1
	s_branch .LBB1415_824
	.p2align	6
.LBB1415_822:                           ;   in Loop: Header=BB1415_824 Depth=1
	global_load_u16 v63, v[61:62], off
	global_load_u16 v64, v[59:60], off
	v_add_co_u32 v59, vcc_lo, v59, 2
	v_add_co_ci_u32_e32 v60, vcc_lo, 0, v60, vcc_lo
	v_add_co_u32 v61, s0, v61, 2
	s_delay_alu instid0(VALU_DEP_1)
	v_add_co_ci_u32_e64 v62, s0, 0, v62, s0
	s_add_u32 s14, s14, 1
	s_addc_u32 s15, s15, 0
	s_and_not1_b32 s0, s19, exec_lo
	s_waitcnt vmcnt(0)
	v_cmp_ne_u16_e32 vcc_lo, v63, v64
	s_and_b32 s19, vcc_lo, exec_lo
	s_delay_alu instid0(SALU_CYCLE_1)
	s_or_b32 s19, s0, s19
.LBB1415_823:                           ;   in Loop: Header=BB1415_824 Depth=1
	v_dual_mov_b32 v64, s15 :: v_dual_mov_b32 v63, s14
	s_and_b32 s0, exec_lo, s19
	s_delay_alu instid0(SALU_CYCLE_1) | instskip(NEXT) | instid1(SALU_CYCLE_1)
	s_or_b32 s18, s0, s18
	s_and_not1_b32 exec_lo, exec_lo, s18
	s_cbranch_execz .LBB1415_826
.LBB1415_824:                           ; =>This Inner Loop Header: Depth=1
	s_or_b32 s19, s19, exec_lo
	s_cmp_eq_u64 s[12:13], s[14:15]
	s_cbranch_scc0 .LBB1415_822
; %bb.825:                              ;   in Loop: Header=BB1415_824 Depth=1
	s_mov_b64 s[14:15], s[8:9]
                                        ; implicit-def: $vgpr59_vgpr60
                                        ; implicit-def: $vgpr61_vgpr62
	s_branch .LBB1415_823
.LBB1415_826:
	s_set_inst_prefetch_distance 0x2
	s_or_b32 exec_lo, exec_lo, s18
	v_cmp_gt_i64_e32 vcc_lo, s[8:9], v[63:64]
	s_mov_b32 s0, 0
	s_delay_alu instid0(SALU_CYCLE_1)
	v_mov_b32_e32 v148, s0
	v_cndmask_b32_e64 v147, 0, 1, vcc_lo
.LBB1415_827:
	s_or_b32 exec_lo, exec_lo, s3
.LBB1415_828:
	v_mul_lo_u32 v61, v26, s8
	v_mul_lo_u32 v62, v25, s9
	v_mad_u64_u32 v[59:60], null, v25, s8, 0
	v_mov_b32_e32 v151, 0
	v_mov_b32_e32 v152, 0
	v_cmp_ne_u32_e32 vcc_lo, 1, v65
	s_delay_alu instid0(VALU_DEP_2) | instskip(SKIP_1) | instid1(VALU_DEP_1)
	v_dual_mov_b32 v149, v151 :: v_dual_mov_b32 v150, v152
	v_add3_u32 v60, v60, v62, v61
	v_lshlrev_b64 v[59:60], 1, v[59:60]
	s_cbranch_vccnz .LBB1415_837
; %bb.829:
	v_add_co_u32 v61, vcc_lo, s10, v57
	v_add_co_ci_u32_e32 v62, vcc_lo, s11, v58, vcc_lo
	s_delay_alu instid0(VALU_DEP_3) | instskip(NEXT) | instid1(VALU_DEP_4)
	v_add_co_u32 v57, vcc_lo, s10, v59
	v_add_co_ci_u32_e32 v58, vcc_lo, s11, v60, vcc_lo
	v_mov_b32_e32 v149, 1
	s_clause 0x1
	global_load_u16 v63, v[61:62], off
	global_load_u16 v64, v[57:58], off
	v_mov_b32_e32 v150, 0
	s_mov_b32 s3, exec_lo
	s_waitcnt vmcnt(0)
	v_cmpx_eq_u16_e64 v63, v64
	s_cbranch_execz .LBB1415_836
; %bb.830:
	v_add_co_u32 v57, vcc_lo, v57, 2
	v_add_co_ci_u32_e32 v58, vcc_lo, 0, v58, vcc_lo
	v_add_co_u32 v61, vcc_lo, v61, 2
	v_add_co_ci_u32_e32 v62, vcc_lo, 0, v62, vcc_lo
	s_add_u32 s12, s8, -1
	s_addc_u32 s13, s9, -1
	s_mov_b64 s[14:15], 0
	s_mov_b32 s18, 0
                                        ; implicit-def: $sgpr19
	s_set_inst_prefetch_distance 0x1
	s_branch .LBB1415_833
	.p2align	6
.LBB1415_831:                           ;   in Loop: Header=BB1415_833 Depth=1
	global_load_u16 v63, v[61:62], off
	global_load_u16 v64, v[57:58], off
	v_add_co_u32 v57, vcc_lo, v57, 2
	v_add_co_ci_u32_e32 v58, vcc_lo, 0, v58, vcc_lo
	v_add_co_u32 v61, s0, v61, 2
	s_delay_alu instid0(VALU_DEP_1)
	v_add_co_ci_u32_e64 v62, s0, 0, v62, s0
	s_add_u32 s14, s14, 1
	s_addc_u32 s15, s15, 0
	s_and_not1_b32 s0, s19, exec_lo
	s_waitcnt vmcnt(0)
	v_cmp_ne_u16_e32 vcc_lo, v63, v64
	s_and_b32 s19, vcc_lo, exec_lo
	s_delay_alu instid0(SALU_CYCLE_1)
	s_or_b32 s19, s0, s19
.LBB1415_832:                           ;   in Loop: Header=BB1415_833 Depth=1
	v_dual_mov_b32 v64, s15 :: v_dual_mov_b32 v63, s14
	s_and_b32 s0, exec_lo, s19
	s_delay_alu instid0(SALU_CYCLE_1) | instskip(NEXT) | instid1(SALU_CYCLE_1)
	s_or_b32 s18, s0, s18
	s_and_not1_b32 exec_lo, exec_lo, s18
	s_cbranch_execz .LBB1415_835
.LBB1415_833:                           ; =>This Inner Loop Header: Depth=1
	s_or_b32 s19, s19, exec_lo
	s_cmp_eq_u64 s[12:13], s[14:15]
	s_cbranch_scc0 .LBB1415_831
; %bb.834:                              ;   in Loop: Header=BB1415_833 Depth=1
	s_mov_b64 s[14:15], s[8:9]
                                        ; implicit-def: $vgpr57_vgpr58
                                        ; implicit-def: $vgpr61_vgpr62
	s_branch .LBB1415_832
.LBB1415_835:
	s_set_inst_prefetch_distance 0x2
	s_or_b32 exec_lo, exec_lo, s18
	v_cmp_gt_i64_e32 vcc_lo, s[8:9], v[63:64]
	s_mov_b32 s0, 0
	s_delay_alu instid0(SALU_CYCLE_1)
	v_mov_b32_e32 v150, s0
	v_cndmask_b32_e64 v149, 0, 1, vcc_lo
.LBB1415_836:
	s_or_b32 exec_lo, exec_lo, s3
.LBB1415_837:
	v_mul_lo_u32 v61, v24, s8
	v_mul_lo_u32 v62, v23, s9
	v_mad_u64_u32 v[57:58], null, v23, s8, 0
	v_cmp_ne_u32_e32 vcc_lo, 1, v65
	s_delay_alu instid0(VALU_DEP_2) | instskip(NEXT) | instid1(VALU_DEP_1)
	v_add3_u32 v58, v58, v62, v61
	v_lshlrev_b64 v[57:58], 1, v[57:58]
	s_cbranch_vccnz .LBB1415_846
; %bb.838:
	v_add_co_u32 v61, vcc_lo, s10, v59
	v_add_co_ci_u32_e32 v62, vcc_lo, s11, v60, vcc_lo
	s_delay_alu instid0(VALU_DEP_3) | instskip(NEXT) | instid1(VALU_DEP_4)
	v_add_co_u32 v59, vcc_lo, s10, v57
	v_add_co_ci_u32_e32 v60, vcc_lo, s11, v58, vcc_lo
	v_mov_b32_e32 v151, 1
	s_clause 0x1
	global_load_u16 v63, v[61:62], off
	global_load_u16 v64, v[59:60], off
	v_mov_b32_e32 v152, 0
	s_mov_b32 s3, exec_lo
	s_waitcnt vmcnt(0)
	v_cmpx_eq_u16_e64 v63, v64
	s_cbranch_execz .LBB1415_845
; %bb.839:
	v_add_co_u32 v59, vcc_lo, v59, 2
	v_add_co_ci_u32_e32 v60, vcc_lo, 0, v60, vcc_lo
	v_add_co_u32 v61, vcc_lo, v61, 2
	v_add_co_ci_u32_e32 v62, vcc_lo, 0, v62, vcc_lo
	s_add_u32 s12, s8, -1
	s_addc_u32 s13, s9, -1
	s_mov_b64 s[14:15], 0
	s_mov_b32 s18, 0
                                        ; implicit-def: $sgpr19
	s_set_inst_prefetch_distance 0x1
	s_branch .LBB1415_842
	.p2align	6
.LBB1415_840:                           ;   in Loop: Header=BB1415_842 Depth=1
	global_load_u16 v63, v[61:62], off
	global_load_u16 v64, v[59:60], off
	v_add_co_u32 v59, vcc_lo, v59, 2
	v_add_co_ci_u32_e32 v60, vcc_lo, 0, v60, vcc_lo
	v_add_co_u32 v61, s0, v61, 2
	s_delay_alu instid0(VALU_DEP_1)
	v_add_co_ci_u32_e64 v62, s0, 0, v62, s0
	s_add_u32 s14, s14, 1
	s_addc_u32 s15, s15, 0
	s_and_not1_b32 s0, s19, exec_lo
	s_waitcnt vmcnt(0)
	v_cmp_ne_u16_e32 vcc_lo, v63, v64
	s_and_b32 s19, vcc_lo, exec_lo
	s_delay_alu instid0(SALU_CYCLE_1)
	s_or_b32 s19, s0, s19
.LBB1415_841:                           ;   in Loop: Header=BB1415_842 Depth=1
	v_dual_mov_b32 v64, s15 :: v_dual_mov_b32 v63, s14
	s_and_b32 s0, exec_lo, s19
	s_delay_alu instid0(SALU_CYCLE_1) | instskip(NEXT) | instid1(SALU_CYCLE_1)
	s_or_b32 s18, s0, s18
	s_and_not1_b32 exec_lo, exec_lo, s18
	s_cbranch_execz .LBB1415_844
.LBB1415_842:                           ; =>This Inner Loop Header: Depth=1
	s_or_b32 s19, s19, exec_lo
	s_cmp_eq_u64 s[12:13], s[14:15]
	s_cbranch_scc0 .LBB1415_840
; %bb.843:                              ;   in Loop: Header=BB1415_842 Depth=1
	s_mov_b64 s[14:15], s[8:9]
                                        ; implicit-def: $vgpr59_vgpr60
                                        ; implicit-def: $vgpr61_vgpr62
	s_branch .LBB1415_841
.LBB1415_844:
	s_set_inst_prefetch_distance 0x2
	s_or_b32 exec_lo, exec_lo, s18
	v_cmp_gt_i64_e32 vcc_lo, s[8:9], v[63:64]
	s_mov_b32 s0, 0
	s_delay_alu instid0(SALU_CYCLE_1)
	v_mov_b32_e32 v152, s0
	v_cndmask_b32_e64 v151, 0, 1, vcc_lo
.LBB1415_845:
	s_or_b32 exec_lo, exec_lo, s3
.LBB1415_846:
	v_mul_lo_u32 v61, v22, s8
	v_mul_lo_u32 v62, v21, s9
	v_mad_u64_u32 v[59:60], null, v21, s8, 0
	v_mov_b32_e32 v155, 0
	v_mov_b32_e32 v156, 0
	v_cmp_ne_u32_e32 vcc_lo, 1, v65
	s_delay_alu instid0(VALU_DEP_2) | instskip(SKIP_1) | instid1(VALU_DEP_1)
	v_dual_mov_b32 v153, v155 :: v_dual_mov_b32 v154, v156
	v_add3_u32 v60, v60, v62, v61
	v_lshlrev_b64 v[59:60], 1, v[59:60]
	s_cbranch_vccnz .LBB1415_855
; %bb.847:
	v_add_co_u32 v61, vcc_lo, s10, v57
	v_add_co_ci_u32_e32 v62, vcc_lo, s11, v58, vcc_lo
	s_delay_alu instid0(VALU_DEP_3) | instskip(NEXT) | instid1(VALU_DEP_4)
	v_add_co_u32 v57, vcc_lo, s10, v59
	v_add_co_ci_u32_e32 v58, vcc_lo, s11, v60, vcc_lo
	v_mov_b32_e32 v153, 1
	s_clause 0x1
	global_load_u16 v63, v[61:62], off
	global_load_u16 v64, v[57:58], off
	v_mov_b32_e32 v154, 0
	s_mov_b32 s3, exec_lo
	s_waitcnt vmcnt(0)
	v_cmpx_eq_u16_e64 v63, v64
	s_cbranch_execz .LBB1415_854
; %bb.848:
	v_add_co_u32 v57, vcc_lo, v57, 2
	v_add_co_ci_u32_e32 v58, vcc_lo, 0, v58, vcc_lo
	v_add_co_u32 v61, vcc_lo, v61, 2
	v_add_co_ci_u32_e32 v62, vcc_lo, 0, v62, vcc_lo
	s_add_u32 s12, s8, -1
	s_addc_u32 s13, s9, -1
	s_mov_b64 s[14:15], 0
	s_mov_b32 s18, 0
                                        ; implicit-def: $sgpr19
	s_set_inst_prefetch_distance 0x1
	s_branch .LBB1415_851
	.p2align	6
.LBB1415_849:                           ;   in Loop: Header=BB1415_851 Depth=1
	global_load_u16 v63, v[61:62], off
	global_load_u16 v64, v[57:58], off
	v_add_co_u32 v57, vcc_lo, v57, 2
	v_add_co_ci_u32_e32 v58, vcc_lo, 0, v58, vcc_lo
	v_add_co_u32 v61, s0, v61, 2
	s_delay_alu instid0(VALU_DEP_1)
	v_add_co_ci_u32_e64 v62, s0, 0, v62, s0
	s_add_u32 s14, s14, 1
	s_addc_u32 s15, s15, 0
	s_and_not1_b32 s0, s19, exec_lo
	s_waitcnt vmcnt(0)
	v_cmp_ne_u16_e32 vcc_lo, v63, v64
	s_and_b32 s19, vcc_lo, exec_lo
	s_delay_alu instid0(SALU_CYCLE_1)
	s_or_b32 s19, s0, s19
.LBB1415_850:                           ;   in Loop: Header=BB1415_851 Depth=1
	v_dual_mov_b32 v64, s15 :: v_dual_mov_b32 v63, s14
	s_and_b32 s0, exec_lo, s19
	s_delay_alu instid0(SALU_CYCLE_1) | instskip(NEXT) | instid1(SALU_CYCLE_1)
	s_or_b32 s18, s0, s18
	s_and_not1_b32 exec_lo, exec_lo, s18
	s_cbranch_execz .LBB1415_853
.LBB1415_851:                           ; =>This Inner Loop Header: Depth=1
	s_or_b32 s19, s19, exec_lo
	s_cmp_eq_u64 s[12:13], s[14:15]
	s_cbranch_scc0 .LBB1415_849
; %bb.852:                              ;   in Loop: Header=BB1415_851 Depth=1
	s_mov_b64 s[14:15], s[8:9]
                                        ; implicit-def: $vgpr57_vgpr58
                                        ; implicit-def: $vgpr61_vgpr62
	s_branch .LBB1415_850
.LBB1415_853:
	s_set_inst_prefetch_distance 0x2
	s_or_b32 exec_lo, exec_lo, s18
	v_cmp_gt_i64_e32 vcc_lo, s[8:9], v[63:64]
	s_mov_b32 s0, 0
	s_delay_alu instid0(SALU_CYCLE_1)
	v_mov_b32_e32 v154, s0
	v_cndmask_b32_e64 v153, 0, 1, vcc_lo
.LBB1415_854:
	s_or_b32 exec_lo, exec_lo, s3
.LBB1415_855:
	v_mul_lo_u32 v61, v20, s8
	v_mul_lo_u32 v62, v19, s9
	v_mad_u64_u32 v[57:58], null, v19, s8, 0
	v_cmp_ne_u32_e32 vcc_lo, 1, v65
	s_delay_alu instid0(VALU_DEP_2) | instskip(NEXT) | instid1(VALU_DEP_1)
	v_add3_u32 v58, v58, v62, v61
	v_lshlrev_b64 v[57:58], 1, v[57:58]
	s_cbranch_vccnz .LBB1415_864
; %bb.856:
	v_add_co_u32 v61, vcc_lo, s10, v59
	v_add_co_ci_u32_e32 v62, vcc_lo, s11, v60, vcc_lo
	s_delay_alu instid0(VALU_DEP_3) | instskip(NEXT) | instid1(VALU_DEP_4)
	v_add_co_u32 v59, vcc_lo, s10, v57
	v_add_co_ci_u32_e32 v60, vcc_lo, s11, v58, vcc_lo
	v_mov_b32_e32 v155, 1
	s_clause 0x1
	global_load_u16 v63, v[61:62], off
	global_load_u16 v64, v[59:60], off
	v_mov_b32_e32 v156, 0
	s_mov_b32 s3, exec_lo
	s_waitcnt vmcnt(0)
	v_cmpx_eq_u16_e64 v63, v64
	s_cbranch_execz .LBB1415_863
; %bb.857:
	v_add_co_u32 v59, vcc_lo, v59, 2
	v_add_co_ci_u32_e32 v60, vcc_lo, 0, v60, vcc_lo
	v_add_co_u32 v61, vcc_lo, v61, 2
	v_add_co_ci_u32_e32 v62, vcc_lo, 0, v62, vcc_lo
	s_add_u32 s12, s8, -1
	s_addc_u32 s13, s9, -1
	s_mov_b64 s[14:15], 0
	s_mov_b32 s18, 0
                                        ; implicit-def: $sgpr19
	s_set_inst_prefetch_distance 0x1
	s_branch .LBB1415_860
	.p2align	6
.LBB1415_858:                           ;   in Loop: Header=BB1415_860 Depth=1
	global_load_u16 v63, v[61:62], off
	global_load_u16 v64, v[59:60], off
	v_add_co_u32 v59, vcc_lo, v59, 2
	v_add_co_ci_u32_e32 v60, vcc_lo, 0, v60, vcc_lo
	v_add_co_u32 v61, s0, v61, 2
	s_delay_alu instid0(VALU_DEP_1)
	v_add_co_ci_u32_e64 v62, s0, 0, v62, s0
	s_add_u32 s14, s14, 1
	s_addc_u32 s15, s15, 0
	s_and_not1_b32 s0, s19, exec_lo
	s_waitcnt vmcnt(0)
	v_cmp_ne_u16_e32 vcc_lo, v63, v64
	s_and_b32 s19, vcc_lo, exec_lo
	s_delay_alu instid0(SALU_CYCLE_1)
	s_or_b32 s19, s0, s19
.LBB1415_859:                           ;   in Loop: Header=BB1415_860 Depth=1
	v_dual_mov_b32 v64, s15 :: v_dual_mov_b32 v63, s14
	s_and_b32 s0, exec_lo, s19
	s_delay_alu instid0(SALU_CYCLE_1) | instskip(NEXT) | instid1(SALU_CYCLE_1)
	s_or_b32 s18, s0, s18
	s_and_not1_b32 exec_lo, exec_lo, s18
	s_cbranch_execz .LBB1415_862
.LBB1415_860:                           ; =>This Inner Loop Header: Depth=1
	s_or_b32 s19, s19, exec_lo
	s_cmp_eq_u64 s[12:13], s[14:15]
	s_cbranch_scc0 .LBB1415_858
; %bb.861:                              ;   in Loop: Header=BB1415_860 Depth=1
	s_mov_b64 s[14:15], s[8:9]
                                        ; implicit-def: $vgpr59_vgpr60
                                        ; implicit-def: $vgpr61_vgpr62
	s_branch .LBB1415_859
.LBB1415_862:
	s_set_inst_prefetch_distance 0x2
	s_or_b32 exec_lo, exec_lo, s18
	v_cmp_gt_i64_e32 vcc_lo, s[8:9], v[63:64]
	s_mov_b32 s0, 0
	s_delay_alu instid0(SALU_CYCLE_1)
	v_mov_b32_e32 v156, s0
	v_cndmask_b32_e64 v155, 0, 1, vcc_lo
.LBB1415_863:
	s_or_b32 exec_lo, exec_lo, s3
.LBB1415_864:
	v_mul_lo_u32 v61, v18, s8
	v_mul_lo_u32 v62, v17, s9
	v_mad_u64_u32 v[59:60], null, v17, s8, 0
	v_mov_b32_e32 v159, 0
	v_mov_b32_e32 v160, 0
	v_cmp_ne_u32_e32 vcc_lo, 1, v65
	s_delay_alu instid0(VALU_DEP_2) | instskip(SKIP_1) | instid1(VALU_DEP_1)
	v_dual_mov_b32 v157, v159 :: v_dual_mov_b32 v158, v160
	v_add3_u32 v60, v60, v62, v61
	v_lshlrev_b64 v[59:60], 1, v[59:60]
	s_cbranch_vccnz .LBB1415_873
; %bb.865:
	v_add_co_u32 v61, vcc_lo, s10, v57
	v_add_co_ci_u32_e32 v62, vcc_lo, s11, v58, vcc_lo
	s_delay_alu instid0(VALU_DEP_3) | instskip(NEXT) | instid1(VALU_DEP_4)
	v_add_co_u32 v57, vcc_lo, s10, v59
	v_add_co_ci_u32_e32 v58, vcc_lo, s11, v60, vcc_lo
	v_mov_b32_e32 v157, 1
	s_clause 0x1
	global_load_u16 v63, v[61:62], off
	global_load_u16 v64, v[57:58], off
	v_mov_b32_e32 v158, 0
	s_mov_b32 s3, exec_lo
	s_waitcnt vmcnt(0)
	v_cmpx_eq_u16_e64 v63, v64
	s_cbranch_execz .LBB1415_872
; %bb.866:
	v_add_co_u32 v57, vcc_lo, v57, 2
	v_add_co_ci_u32_e32 v58, vcc_lo, 0, v58, vcc_lo
	v_add_co_u32 v61, vcc_lo, v61, 2
	v_add_co_ci_u32_e32 v62, vcc_lo, 0, v62, vcc_lo
	s_add_u32 s12, s8, -1
	s_addc_u32 s13, s9, -1
	s_mov_b64 s[14:15], 0
	s_mov_b32 s18, 0
                                        ; implicit-def: $sgpr19
	s_set_inst_prefetch_distance 0x1
	s_branch .LBB1415_869
	.p2align	6
.LBB1415_867:                           ;   in Loop: Header=BB1415_869 Depth=1
	global_load_u16 v63, v[61:62], off
	global_load_u16 v64, v[57:58], off
	v_add_co_u32 v57, vcc_lo, v57, 2
	v_add_co_ci_u32_e32 v58, vcc_lo, 0, v58, vcc_lo
	v_add_co_u32 v61, s0, v61, 2
	s_delay_alu instid0(VALU_DEP_1)
	v_add_co_ci_u32_e64 v62, s0, 0, v62, s0
	s_add_u32 s14, s14, 1
	s_addc_u32 s15, s15, 0
	s_and_not1_b32 s0, s19, exec_lo
	s_waitcnt vmcnt(0)
	v_cmp_ne_u16_e32 vcc_lo, v63, v64
	s_and_b32 s19, vcc_lo, exec_lo
	s_delay_alu instid0(SALU_CYCLE_1)
	s_or_b32 s19, s0, s19
.LBB1415_868:                           ;   in Loop: Header=BB1415_869 Depth=1
	v_dual_mov_b32 v64, s15 :: v_dual_mov_b32 v63, s14
	s_and_b32 s0, exec_lo, s19
	s_delay_alu instid0(SALU_CYCLE_1) | instskip(NEXT) | instid1(SALU_CYCLE_1)
	s_or_b32 s18, s0, s18
	s_and_not1_b32 exec_lo, exec_lo, s18
	s_cbranch_execz .LBB1415_871
.LBB1415_869:                           ; =>This Inner Loop Header: Depth=1
	s_or_b32 s19, s19, exec_lo
	s_cmp_eq_u64 s[12:13], s[14:15]
	s_cbranch_scc0 .LBB1415_867
; %bb.870:                              ;   in Loop: Header=BB1415_869 Depth=1
	s_mov_b64 s[14:15], s[8:9]
                                        ; implicit-def: $vgpr57_vgpr58
                                        ; implicit-def: $vgpr61_vgpr62
	s_branch .LBB1415_868
.LBB1415_871:
	s_set_inst_prefetch_distance 0x2
	s_or_b32 exec_lo, exec_lo, s18
	v_cmp_gt_i64_e32 vcc_lo, s[8:9], v[63:64]
	s_mov_b32 s0, 0
	s_delay_alu instid0(SALU_CYCLE_1)
	v_mov_b32_e32 v158, s0
	v_cndmask_b32_e64 v157, 0, 1, vcc_lo
.LBB1415_872:
	s_or_b32 exec_lo, exec_lo, s3
.LBB1415_873:
	v_mul_lo_u32 v61, v16, s8
	v_mul_lo_u32 v62, v15, s9
	v_mad_u64_u32 v[57:58], null, v15, s8, 0
	v_cmp_ne_u32_e32 vcc_lo, 1, v65
	s_delay_alu instid0(VALU_DEP_2) | instskip(NEXT) | instid1(VALU_DEP_1)
	v_add3_u32 v58, v58, v62, v61
	v_lshlrev_b64 v[57:58], 1, v[57:58]
	s_cbranch_vccnz .LBB1415_882
; %bb.874:
	v_add_co_u32 v61, vcc_lo, s10, v59
	v_add_co_ci_u32_e32 v62, vcc_lo, s11, v60, vcc_lo
	s_delay_alu instid0(VALU_DEP_3) | instskip(NEXT) | instid1(VALU_DEP_4)
	v_add_co_u32 v59, vcc_lo, s10, v57
	v_add_co_ci_u32_e32 v60, vcc_lo, s11, v58, vcc_lo
	v_mov_b32_e32 v159, 1
	s_clause 0x1
	global_load_u16 v63, v[61:62], off
	global_load_u16 v64, v[59:60], off
	v_mov_b32_e32 v160, 0
	s_mov_b32 s3, exec_lo
	s_waitcnt vmcnt(0)
	v_cmpx_eq_u16_e64 v63, v64
	s_cbranch_execz .LBB1415_881
; %bb.875:
	v_add_co_u32 v59, vcc_lo, v59, 2
	v_add_co_ci_u32_e32 v60, vcc_lo, 0, v60, vcc_lo
	v_add_co_u32 v61, vcc_lo, v61, 2
	v_add_co_ci_u32_e32 v62, vcc_lo, 0, v62, vcc_lo
	s_add_u32 s12, s8, -1
	s_addc_u32 s13, s9, -1
	s_mov_b64 s[14:15], 0
	s_mov_b32 s18, 0
                                        ; implicit-def: $sgpr19
	s_set_inst_prefetch_distance 0x1
	s_branch .LBB1415_878
	.p2align	6
.LBB1415_876:                           ;   in Loop: Header=BB1415_878 Depth=1
	global_load_u16 v63, v[61:62], off
	global_load_u16 v64, v[59:60], off
	v_add_co_u32 v59, vcc_lo, v59, 2
	v_add_co_ci_u32_e32 v60, vcc_lo, 0, v60, vcc_lo
	v_add_co_u32 v61, s0, v61, 2
	s_delay_alu instid0(VALU_DEP_1)
	v_add_co_ci_u32_e64 v62, s0, 0, v62, s0
	s_add_u32 s14, s14, 1
	s_addc_u32 s15, s15, 0
	s_and_not1_b32 s0, s19, exec_lo
	s_waitcnt vmcnt(0)
	v_cmp_ne_u16_e32 vcc_lo, v63, v64
	s_and_b32 s19, vcc_lo, exec_lo
	s_delay_alu instid0(SALU_CYCLE_1)
	s_or_b32 s19, s0, s19
.LBB1415_877:                           ;   in Loop: Header=BB1415_878 Depth=1
	v_dual_mov_b32 v64, s15 :: v_dual_mov_b32 v63, s14
	s_and_b32 s0, exec_lo, s19
	s_delay_alu instid0(SALU_CYCLE_1) | instskip(NEXT) | instid1(SALU_CYCLE_1)
	s_or_b32 s18, s0, s18
	s_and_not1_b32 exec_lo, exec_lo, s18
	s_cbranch_execz .LBB1415_880
.LBB1415_878:                           ; =>This Inner Loop Header: Depth=1
	s_or_b32 s19, s19, exec_lo
	s_cmp_eq_u64 s[12:13], s[14:15]
	s_cbranch_scc0 .LBB1415_876
; %bb.879:                              ;   in Loop: Header=BB1415_878 Depth=1
	s_mov_b64 s[14:15], s[8:9]
                                        ; implicit-def: $vgpr59_vgpr60
                                        ; implicit-def: $vgpr61_vgpr62
	s_branch .LBB1415_877
.LBB1415_880:
	s_set_inst_prefetch_distance 0x2
	s_or_b32 exec_lo, exec_lo, s18
	v_cmp_gt_i64_e32 vcc_lo, s[8:9], v[63:64]
	s_mov_b32 s0, 0
	s_delay_alu instid0(SALU_CYCLE_1)
	v_mov_b32_e32 v160, s0
	v_cndmask_b32_e64 v159, 0, 1, vcc_lo
.LBB1415_881:
	s_or_b32 exec_lo, exec_lo, s3
.LBB1415_882:
	v_mul_lo_u32 v61, v14, s8
	v_mul_lo_u32 v62, v13, s9
	v_mad_u64_u32 v[59:60], null, v13, s8, 0
	v_mov_b32_e32 v163, 0
	v_mov_b32_e32 v164, 0
	v_cmp_ne_u32_e32 vcc_lo, 1, v65
	s_delay_alu instid0(VALU_DEP_2) | instskip(SKIP_1) | instid1(VALU_DEP_1)
	v_dual_mov_b32 v161, v163 :: v_dual_mov_b32 v162, v164
	v_add3_u32 v60, v60, v62, v61
	v_lshlrev_b64 v[59:60], 1, v[59:60]
	s_cbranch_vccnz .LBB1415_891
; %bb.883:
	v_add_co_u32 v61, vcc_lo, s10, v57
	v_add_co_ci_u32_e32 v62, vcc_lo, s11, v58, vcc_lo
	s_delay_alu instid0(VALU_DEP_3) | instskip(NEXT) | instid1(VALU_DEP_4)
	v_add_co_u32 v57, vcc_lo, s10, v59
	v_add_co_ci_u32_e32 v58, vcc_lo, s11, v60, vcc_lo
	v_mov_b32_e32 v161, 1
	s_clause 0x1
	global_load_u16 v63, v[61:62], off
	global_load_u16 v64, v[57:58], off
	v_mov_b32_e32 v162, 0
	s_mov_b32 s3, exec_lo
	s_waitcnt vmcnt(0)
	v_cmpx_eq_u16_e64 v63, v64
	s_cbranch_execz .LBB1415_890
; %bb.884:
	v_add_co_u32 v57, vcc_lo, v57, 2
	v_add_co_ci_u32_e32 v58, vcc_lo, 0, v58, vcc_lo
	v_add_co_u32 v61, vcc_lo, v61, 2
	v_add_co_ci_u32_e32 v62, vcc_lo, 0, v62, vcc_lo
	s_add_u32 s12, s8, -1
	s_addc_u32 s13, s9, -1
	s_mov_b64 s[14:15], 0
	s_mov_b32 s18, 0
                                        ; implicit-def: $sgpr19
	s_set_inst_prefetch_distance 0x1
	s_branch .LBB1415_887
	.p2align	6
.LBB1415_885:                           ;   in Loop: Header=BB1415_887 Depth=1
	global_load_u16 v63, v[61:62], off
	global_load_u16 v64, v[57:58], off
	v_add_co_u32 v57, vcc_lo, v57, 2
	v_add_co_ci_u32_e32 v58, vcc_lo, 0, v58, vcc_lo
	v_add_co_u32 v61, s0, v61, 2
	s_delay_alu instid0(VALU_DEP_1)
	v_add_co_ci_u32_e64 v62, s0, 0, v62, s0
	s_add_u32 s14, s14, 1
	s_addc_u32 s15, s15, 0
	s_and_not1_b32 s0, s19, exec_lo
	s_waitcnt vmcnt(0)
	v_cmp_ne_u16_e32 vcc_lo, v63, v64
	s_and_b32 s19, vcc_lo, exec_lo
	s_delay_alu instid0(SALU_CYCLE_1)
	s_or_b32 s19, s0, s19
.LBB1415_886:                           ;   in Loop: Header=BB1415_887 Depth=1
	v_dual_mov_b32 v64, s15 :: v_dual_mov_b32 v63, s14
	s_and_b32 s0, exec_lo, s19
	s_delay_alu instid0(SALU_CYCLE_1) | instskip(NEXT) | instid1(SALU_CYCLE_1)
	s_or_b32 s18, s0, s18
	s_and_not1_b32 exec_lo, exec_lo, s18
	s_cbranch_execz .LBB1415_889
.LBB1415_887:                           ; =>This Inner Loop Header: Depth=1
	s_or_b32 s19, s19, exec_lo
	s_cmp_eq_u64 s[12:13], s[14:15]
	s_cbranch_scc0 .LBB1415_885
; %bb.888:                              ;   in Loop: Header=BB1415_887 Depth=1
	s_mov_b64 s[14:15], s[8:9]
                                        ; implicit-def: $vgpr57_vgpr58
                                        ; implicit-def: $vgpr61_vgpr62
	s_branch .LBB1415_886
.LBB1415_889:
	s_set_inst_prefetch_distance 0x2
	s_or_b32 exec_lo, exec_lo, s18
	v_cmp_gt_i64_e32 vcc_lo, s[8:9], v[63:64]
	s_mov_b32 s0, 0
	s_delay_alu instid0(SALU_CYCLE_1)
	v_mov_b32_e32 v162, s0
	v_cndmask_b32_e64 v161, 0, 1, vcc_lo
.LBB1415_890:
	s_or_b32 exec_lo, exec_lo, s3
.LBB1415_891:
	v_mul_lo_u32 v61, v4, s8
	v_mul_lo_u32 v62, v3, s9
	v_mad_u64_u32 v[57:58], null, v3, s8, 0
	v_cmp_ne_u32_e32 vcc_lo, 1, v65
	s_delay_alu instid0(VALU_DEP_2) | instskip(NEXT) | instid1(VALU_DEP_1)
	v_add3_u32 v58, v58, v62, v61
	v_lshlrev_b64 v[57:58], 1, v[57:58]
	s_cbranch_vccnz .LBB1415_900
; %bb.892:
	v_add_co_u32 v61, vcc_lo, s10, v59
	v_add_co_ci_u32_e32 v62, vcc_lo, s11, v60, vcc_lo
	s_delay_alu instid0(VALU_DEP_3) | instskip(NEXT) | instid1(VALU_DEP_4)
	v_add_co_u32 v59, vcc_lo, s10, v57
	v_add_co_ci_u32_e32 v60, vcc_lo, s11, v58, vcc_lo
	v_mov_b32_e32 v163, 1
	s_clause 0x1
	global_load_u16 v63, v[61:62], off
	global_load_u16 v64, v[59:60], off
	v_mov_b32_e32 v164, 0
	s_mov_b32 s3, exec_lo
	s_waitcnt vmcnt(0)
	v_cmpx_eq_u16_e64 v63, v64
	s_cbranch_execz .LBB1415_899
; %bb.893:
	v_add_co_u32 v59, vcc_lo, v59, 2
	v_add_co_ci_u32_e32 v60, vcc_lo, 0, v60, vcc_lo
	v_add_co_u32 v61, vcc_lo, v61, 2
	v_add_co_ci_u32_e32 v62, vcc_lo, 0, v62, vcc_lo
	s_add_u32 s12, s8, -1
	s_addc_u32 s13, s9, -1
	s_mov_b64 s[14:15], 0
	s_mov_b32 s18, 0
                                        ; implicit-def: $sgpr19
	s_set_inst_prefetch_distance 0x1
	s_branch .LBB1415_896
	.p2align	6
.LBB1415_894:                           ;   in Loop: Header=BB1415_896 Depth=1
	global_load_u16 v63, v[61:62], off
	global_load_u16 v64, v[59:60], off
	v_add_co_u32 v59, vcc_lo, v59, 2
	v_add_co_ci_u32_e32 v60, vcc_lo, 0, v60, vcc_lo
	v_add_co_u32 v61, s0, v61, 2
	s_delay_alu instid0(VALU_DEP_1)
	v_add_co_ci_u32_e64 v62, s0, 0, v62, s0
	s_add_u32 s14, s14, 1
	s_addc_u32 s15, s15, 0
	s_and_not1_b32 s0, s19, exec_lo
	s_waitcnt vmcnt(0)
	v_cmp_ne_u16_e32 vcc_lo, v63, v64
	s_and_b32 s19, vcc_lo, exec_lo
	s_delay_alu instid0(SALU_CYCLE_1)
	s_or_b32 s19, s0, s19
.LBB1415_895:                           ;   in Loop: Header=BB1415_896 Depth=1
	v_dual_mov_b32 v64, s15 :: v_dual_mov_b32 v63, s14
	s_and_b32 s0, exec_lo, s19
	s_delay_alu instid0(SALU_CYCLE_1) | instskip(NEXT) | instid1(SALU_CYCLE_1)
	s_or_b32 s18, s0, s18
	s_and_not1_b32 exec_lo, exec_lo, s18
	s_cbranch_execz .LBB1415_898
.LBB1415_896:                           ; =>This Inner Loop Header: Depth=1
	s_or_b32 s19, s19, exec_lo
	s_cmp_eq_u64 s[12:13], s[14:15]
	s_cbranch_scc0 .LBB1415_894
; %bb.897:                              ;   in Loop: Header=BB1415_896 Depth=1
	s_mov_b64 s[14:15], s[8:9]
                                        ; implicit-def: $vgpr59_vgpr60
                                        ; implicit-def: $vgpr61_vgpr62
	s_branch .LBB1415_895
.LBB1415_898:
	s_set_inst_prefetch_distance 0x2
	s_or_b32 exec_lo, exec_lo, s18
	v_cmp_gt_i64_e32 vcc_lo, s[8:9], v[63:64]
	s_mov_b32 s0, 0
	s_delay_alu instid0(SALU_CYCLE_1)
	v_mov_b32_e32 v164, s0
	v_cndmask_b32_e64 v163, 0, 1, vcc_lo
.LBB1415_899:
	s_or_b32 exec_lo, exec_lo, s3
.LBB1415_900:
	v_cmp_ne_u32_e32 vcc_lo, 1, v65
	s_cbranch_vccnz .LBB1415_907
; %bb.901:
	v_mul_lo_u32 v61, v2, s8
	v_mul_lo_u32 v62, v1, s9
	v_mad_u64_u32 v[59:60], null, v1, s8, 0
	v_mov_b32_e32 v165, 1
	v_mov_b32_e32 v166, 0
	s_mov_b32 s3, exec_lo
	s_delay_alu instid0(VALU_DEP_3) | instskip(NEXT) | instid1(VALU_DEP_1)
	v_add3_u32 v60, v60, v62, v61
	v_lshlrev_b64 v[61:62], 1, v[59:60]
	v_add_co_u32 v59, vcc_lo, s10, v57
	v_add_co_ci_u32_e32 v60, vcc_lo, s11, v58, vcc_lo
	s_delay_alu instid0(VALU_DEP_3) | instskip(NEXT) | instid1(VALU_DEP_4)
	v_add_co_u32 v57, vcc_lo, s10, v61
	v_add_co_ci_u32_e32 v58, vcc_lo, s11, v62, vcc_lo
	s_clause 0x1
	global_load_u16 v61, v[59:60], off
	global_load_u16 v62, v[57:58], off
	s_waitcnt vmcnt(0)
	v_cmpx_eq_u16_e64 v61, v62
	s_cbranch_execz .LBB1415_909
; %bb.902:
	v_add_co_u32 v57, vcc_lo, v57, 2
	v_add_co_ci_u32_e32 v58, vcc_lo, 0, v58, vcc_lo
	v_add_co_u32 v59, vcc_lo, v59, 2
	v_add_co_ci_u32_e32 v60, vcc_lo, 0, v60, vcc_lo
	s_add_u32 s12, s8, -1
	s_addc_u32 s13, s9, -1
	s_mov_b64 s[14:15], 0
	s_mov_b32 s18, 0
                                        ; implicit-def: $sgpr19
	s_set_inst_prefetch_distance 0x1
	s_branch .LBB1415_905
	.p2align	6
.LBB1415_903:                           ;   in Loop: Header=BB1415_905 Depth=1
	global_load_u16 v61, v[59:60], off
	global_load_u16 v62, v[57:58], off
	v_add_co_u32 v57, vcc_lo, v57, 2
	v_add_co_ci_u32_e32 v58, vcc_lo, 0, v58, vcc_lo
	v_add_co_u32 v59, s0, v59, 2
	s_delay_alu instid0(VALU_DEP_1)
	v_add_co_ci_u32_e64 v60, s0, 0, v60, s0
	s_add_u32 s14, s14, 1
	s_addc_u32 s15, s15, 0
	s_and_not1_b32 s0, s19, exec_lo
	s_waitcnt vmcnt(0)
	v_cmp_ne_u16_e32 vcc_lo, v61, v62
	s_and_b32 s19, vcc_lo, exec_lo
	s_delay_alu instid0(SALU_CYCLE_1)
	s_or_b32 s19, s0, s19
.LBB1415_904:                           ;   in Loop: Header=BB1415_905 Depth=1
	v_dual_mov_b32 v62, s15 :: v_dual_mov_b32 v61, s14
	s_and_b32 s0, exec_lo, s19
	s_delay_alu instid0(SALU_CYCLE_1) | instskip(NEXT) | instid1(SALU_CYCLE_1)
	s_or_b32 s18, s0, s18
	s_and_not1_b32 exec_lo, exec_lo, s18
	s_cbranch_execz .LBB1415_908
.LBB1415_905:                           ; =>This Inner Loop Header: Depth=1
	s_or_b32 s19, s19, exec_lo
	s_cmp_eq_u64 s[12:13], s[14:15]
	s_cbranch_scc0 .LBB1415_903
; %bb.906:                              ;   in Loop: Header=BB1415_905 Depth=1
	s_mov_b64 s[14:15], s[8:9]
                                        ; implicit-def: $vgpr57_vgpr58
                                        ; implicit-def: $vgpr59_vgpr60
	s_branch .LBB1415_904
.LBB1415_907:
	v_mov_b32_e32 v165, 0
	v_mov_b32_e32 v166, 0
	s_branch .LBB1415_910
.LBB1415_908:
	s_set_inst_prefetch_distance 0x2
	s_or_b32 exec_lo, exec_lo, s18
	v_cmp_gt_i64_e32 vcc_lo, s[8:9], v[61:62]
	s_mov_b32 s0, 0
	s_delay_alu instid0(SALU_CYCLE_1)
	v_mov_b32_e32 v166, s0
	v_cndmask_b32_e64 v165, 0, 1, vcc_lo
.LBB1415_909:
	s_or_b32 exec_lo, exec_lo, s3
.LBB1415_910:
	s_mov_b32 s3, 0
	s_mov_b32 s18, exec_lo
	s_waitcnt lgkmcnt(0)
	s_barrier
	buffer_gl0_inv
                                        ; implicit-def: $sgpr0
	v_cmpx_ne_u32_e32 0, v0
	s_cbranch_execz .LBB1415_922
; %bb.911:
	v_cmp_ne_u32_e32 vcc_lo, 1, v65
	s_cbranch_vccnz .LBB1415_918
; %bb.912:
	v_add_nc_u32_e32 v57, -8, v195
	v_mul_lo_u32 v63, v2, s8
	v_mul_lo_u32 v64, v1, s9
	v_mad_u64_u32 v[59:60], null, v1, s8, 0
	ds_load_b64 v[57:58], v57
	s_mov_b32 s0, -1
	s_mov_b32 s19, exec_lo
	v_add3_u32 v60, v60, v64, v63
	s_waitcnt lgkmcnt(0)
	v_mul_lo_u32 v58, v58, s8
	v_mul_lo_u32 v65, v57, s9
	v_mad_u64_u32 v[61:62], null, v57, s8, 0
	s_delay_alu instid0(VALU_DEP_1) | instskip(SKIP_1) | instid1(VALU_DEP_2)
	v_add3_u32 v62, v62, v65, v58
	v_lshlrev_b64 v[57:58], 1, v[59:60]
	v_lshlrev_b64 v[61:62], 1, v[61:62]
	s_delay_alu instid0(VALU_DEP_2) | instskip(NEXT) | instid1(VALU_DEP_3)
	v_add_co_u32 v59, vcc_lo, s10, v57
	v_add_co_ci_u32_e32 v60, vcc_lo, s11, v58, vcc_lo
	s_delay_alu instid0(VALU_DEP_3) | instskip(NEXT) | instid1(VALU_DEP_4)
	v_add_co_u32 v57, vcc_lo, s10, v61
	v_add_co_ci_u32_e32 v58, vcc_lo, s11, v62, vcc_lo
	s_clause 0x1
	global_load_u16 v61, v[59:60], off
	global_load_u16 v62, v[57:58], off
	s_waitcnt vmcnt(0)
	v_cmpx_eq_u16_e64 v61, v62
	s_cbranch_execz .LBB1415_920
; %bb.913:
	v_add_co_u32 v57, vcc_lo, v57, 2
	v_add_co_ci_u32_e32 v58, vcc_lo, 0, v58, vcc_lo
	v_add_co_u32 v59, vcc_lo, v59, 2
	v_add_co_ci_u32_e32 v60, vcc_lo, 0, v60, vcc_lo
	s_add_u32 s12, s8, -1
	s_addc_u32 s13, s9, -1
	s_mov_b64 s[14:15], 0
	s_mov_b32 s20, 0
                                        ; implicit-def: $sgpr21
	s_set_inst_prefetch_distance 0x1
	s_branch .LBB1415_916
	.p2align	6
.LBB1415_914:                           ;   in Loop: Header=BB1415_916 Depth=1
	global_load_u16 v61, v[59:60], off
	global_load_u16 v62, v[57:58], off
	v_add_co_u32 v57, vcc_lo, v57, 2
	v_add_co_ci_u32_e32 v58, vcc_lo, 0, v58, vcc_lo
	v_add_co_u32 v59, s0, v59, 2
	s_delay_alu instid0(VALU_DEP_1)
	v_add_co_ci_u32_e64 v60, s0, 0, v60, s0
	s_add_u32 s14, s14, 1
	s_addc_u32 s15, s15, 0
	s_and_not1_b32 s0, s21, exec_lo
	s_waitcnt vmcnt(0)
	v_cmp_ne_u16_e32 vcc_lo, v61, v62
	s_and_b32 s21, vcc_lo, exec_lo
	s_delay_alu instid0(SALU_CYCLE_1)
	s_or_b32 s21, s0, s21
.LBB1415_915:                           ;   in Loop: Header=BB1415_916 Depth=1
	v_dual_mov_b32 v62, s15 :: v_dual_mov_b32 v61, s14
	s_and_b32 s0, exec_lo, s21
	s_delay_alu instid0(SALU_CYCLE_1) | instskip(NEXT) | instid1(SALU_CYCLE_1)
	s_or_b32 s20, s0, s20
	s_and_not1_b32 exec_lo, exec_lo, s20
	s_cbranch_execz .LBB1415_919
.LBB1415_916:                           ; =>This Inner Loop Header: Depth=1
	s_or_b32 s21, s21, exec_lo
	s_cmp_eq_u64 s[12:13], s[14:15]
	s_cbranch_scc0 .LBB1415_914
; %bb.917:                              ;   in Loop: Header=BB1415_916 Depth=1
	s_mov_b64 s[14:15], s[8:9]
                                        ; implicit-def: $vgpr57_vgpr58
                                        ; implicit-def: $vgpr59_vgpr60
	s_branch .LBB1415_915
.LBB1415_918:
	s_mov_b32 s0, 0
	s_branch .LBB1415_921
.LBB1415_919:
	s_set_inst_prefetch_distance 0x2
	s_or_b32 exec_lo, exec_lo, s20
	v_cmp_gt_i64_e32 vcc_lo, s[8:9], v[61:62]
	s_or_not1_b32 s0, vcc_lo, exec_lo
.LBB1415_920:
	s_or_b32 exec_lo, exec_lo, s19
.LBB1415_921:
	s_delay_alu instid0(SALU_CYCLE_1)
	s_and_b32 s0, s0, exec_lo
	s_or_b32 s1, s1, exec_lo
.LBB1415_922:
	s_or_b32 exec_lo, exec_lo, s18
	v_dual_mov_b32 v182, v166 :: v_dual_mov_b32 v181, v165
	v_dual_mov_b32 v168, v164 :: v_dual_mov_b32 v167, v163
	;; [unrolled: 1-line block ×27, first 2 shown]
	s_and_b32 vcc_lo, exec_lo, s3
	s_cbranch_vccz .LBB1415_1243
.LBB1415_923:
	v_cmp_gt_i64_e64 s0, s[8:9], 0
	s_waitcnt lgkmcnt(0)
	v_mad_u32_u24 v57, v0, 29, 28
	v_mul_u32_u24_e32 v64, 29, v0
	s_mov_b32 s3, exec_lo
	ds_store_b64 v195, v[109:110]
	v_cndmask_b32_e64 v63, 0, 1, s0
	v_cmpx_gt_u32_e64 s6, v57
	s_cbranch_execz .LBB1415_934
; %bb.924:
	s_and_not1_b32 vcc_lo, exec_lo, s0
	s_cbranch_vccnz .LBB1415_931
; %bb.925:
	v_mul_lo_u32 v61, v110, s8
	v_mul_lo_u32 v62, v109, s9
	v_mad_u64_u32 v[57:58], null, v109, s8, 0
	v_mul_lo_u32 v65, v8, s8
	v_mul_lo_u32 v66, v7, s9
	v_mad_u64_u32 v[59:60], null, v7, s8, 0
	v_mov_b32_e32 v109, 1
	v_mov_b32_e32 v110, 0
	v_add3_u32 v58, v58, v62, v61
	s_mov_b32 s18, exec_lo
	s_delay_alu instid0(VALU_DEP_4) | instskip(NEXT) | instid1(VALU_DEP_2)
	v_add3_u32 v60, v60, v66, v65
	v_lshlrev_b64 v[57:58], 1, v[57:58]
	s_delay_alu instid0(VALU_DEP_2) | instskip(NEXT) | instid1(VALU_DEP_2)
	v_lshlrev_b64 v[61:62], 1, v[59:60]
	v_add_co_u32 v59, vcc_lo, s10, v57
	s_delay_alu instid0(VALU_DEP_3) | instskip(NEXT) | instid1(VALU_DEP_3)
	v_add_co_ci_u32_e32 v60, vcc_lo, s11, v58, vcc_lo
	v_add_co_u32 v57, vcc_lo, s10, v61
	s_delay_alu instid0(VALU_DEP_4)
	v_add_co_ci_u32_e32 v58, vcc_lo, s11, v62, vcc_lo
	s_clause 0x1
	global_load_u16 v61, v[59:60], off
	global_load_u16 v62, v[57:58], off
	s_waitcnt vmcnt(0)
	v_cmpx_eq_u16_e64 v61, v62
	s_cbranch_execz .LBB1415_933
; %bb.926:
	v_add_co_u32 v57, vcc_lo, v57, 2
	v_add_co_ci_u32_e32 v58, vcc_lo, 0, v58, vcc_lo
	v_add_co_u32 v59, vcc_lo, v59, 2
	v_add_co_ci_u32_e32 v60, vcc_lo, 0, v60, vcc_lo
	s_add_u32 s12, s8, -1
	s_addc_u32 s13, s9, -1
	s_mov_b64 s[14:15], 0
	s_mov_b32 s19, 0
                                        ; implicit-def: $sgpr20
	s_set_inst_prefetch_distance 0x1
	s_branch .LBB1415_929
	.p2align	6
.LBB1415_927:                           ;   in Loop: Header=BB1415_929 Depth=1
	global_load_u16 v61, v[59:60], off
	global_load_u16 v62, v[57:58], off
	v_add_co_u32 v57, vcc_lo, v57, 2
	v_add_co_ci_u32_e32 v58, vcc_lo, 0, v58, vcc_lo
	v_add_co_u32 v59, s0, v59, 2
	s_delay_alu instid0(VALU_DEP_1)
	v_add_co_ci_u32_e64 v60, s0, 0, v60, s0
	s_add_u32 s14, s14, 1
	s_addc_u32 s15, s15, 0
	s_and_not1_b32 s0, s20, exec_lo
	s_waitcnt vmcnt(0)
	v_cmp_ne_u16_e32 vcc_lo, v61, v62
	s_and_b32 s20, vcc_lo, exec_lo
	s_delay_alu instid0(SALU_CYCLE_1)
	s_or_b32 s20, s0, s20
.LBB1415_928:                           ;   in Loop: Header=BB1415_929 Depth=1
	v_dual_mov_b32 v62, s15 :: v_dual_mov_b32 v61, s14
	s_and_b32 s0, exec_lo, s20
	s_delay_alu instid0(SALU_CYCLE_1) | instskip(NEXT) | instid1(SALU_CYCLE_1)
	s_or_b32 s19, s0, s19
	s_and_not1_b32 exec_lo, exec_lo, s19
	s_cbranch_execz .LBB1415_932
.LBB1415_929:                           ; =>This Inner Loop Header: Depth=1
	s_or_b32 s20, s20, exec_lo
	s_cmp_eq_u64 s[12:13], s[14:15]
	s_cbranch_scc0 .LBB1415_927
; %bb.930:                              ;   in Loop: Header=BB1415_929 Depth=1
	s_mov_b64 s[14:15], s[8:9]
                                        ; implicit-def: $vgpr57_vgpr58
                                        ; implicit-def: $vgpr59_vgpr60
	s_branch .LBB1415_928
.LBB1415_931:
	v_mov_b32_e32 v109, 0
	v_mov_b32_e32 v110, 0
	s_branch .LBB1415_934
.LBB1415_932:
	s_set_inst_prefetch_distance 0x2
	s_or_b32 exec_lo, exec_lo, s19
	v_cmp_gt_i64_e32 vcc_lo, s[8:9], v[61:62]
	s_mov_b32 s0, 0
	s_delay_alu instid0(SALU_CYCLE_1)
	v_mov_b32_e32 v110, s0
	v_cndmask_b32_e64 v109, 0, 1, vcc_lo
.LBB1415_933:
	s_or_b32 exec_lo, exec_lo, s18
.LBB1415_934:
	s_delay_alu instid0(SALU_CYCLE_1) | instskip(SKIP_2) | instid1(VALU_DEP_1)
	s_or_b32 exec_lo, exec_lo, s3
	v_add_nc_u32_e32 v57, 27, v64
	s_mov_b32 s3, exec_lo
	v_cmpx_gt_u32_e64 s6, v57
	s_cbranch_execz .LBB1415_945
; %bb.935:
	v_cmp_ne_u32_e32 vcc_lo, 1, v63
	s_cbranch_vccnz .LBB1415_942
; %bb.936:
	v_mul_lo_u32 v59, v8, s8
	v_mul_lo_u32 v60, v7, s9
	v_mad_u64_u32 v[57:58], null, v7, s8, 0
	v_mul_lo_u32 v61, v6, s8
	v_mul_lo_u32 v62, v5, s9
	v_mad_u64_u32 v[7:8], null, v5, s8, 0
	s_mov_b32 s18, exec_lo
	s_delay_alu instid0(VALU_DEP_4) | instskip(NEXT) | instid1(VALU_DEP_2)
	v_add3_u32 v58, v58, v60, v59
	v_add3_u32 v8, v8, v62, v61
	s_delay_alu instid0(VALU_DEP_2) | instskip(NEXT) | instid1(VALU_DEP_2)
	v_lshlrev_b64 v[57:58], 1, v[57:58]
	v_lshlrev_b64 v[7:8], 1, v[7:8]
	s_delay_alu instid0(VALU_DEP_2) | instskip(NEXT) | instid1(VALU_DEP_3)
	v_add_co_u32 v57, vcc_lo, s10, v57
	v_add_co_ci_u32_e32 v58, vcc_lo, s11, v58, vcc_lo
	s_delay_alu instid0(VALU_DEP_3) | instskip(NEXT) | instid1(VALU_DEP_4)
	v_add_co_u32 v59, vcc_lo, s10, v7
	v_add_co_ci_u32_e32 v60, vcc_lo, s11, v8, vcc_lo
	s_clause 0x1
	global_load_u16 v61, v[57:58], off
	global_load_u16 v62, v[59:60], off
	v_mov_b32_e32 v7, 1
	v_mov_b32_e32 v8, 0
	s_waitcnt vmcnt(0)
	v_cmpx_eq_u16_e64 v61, v62
	s_cbranch_execz .LBB1415_944
; %bb.937:
	v_add_co_u32 v7, vcc_lo, v59, 2
	v_add_co_ci_u32_e32 v8, vcc_lo, 0, v60, vcc_lo
	v_add_co_u32 v57, vcc_lo, v57, 2
	v_add_co_ci_u32_e32 v58, vcc_lo, 0, v58, vcc_lo
	s_add_u32 s12, s8, -1
	s_addc_u32 s13, s9, -1
	s_mov_b64 s[14:15], 0
	s_mov_b32 s19, 0
                                        ; implicit-def: $sgpr20
	s_set_inst_prefetch_distance 0x1
	s_branch .LBB1415_940
	.p2align	6
.LBB1415_938:                           ;   in Loop: Header=BB1415_940 Depth=1
	global_load_u16 v59, v[57:58], off
	global_load_u16 v60, v[7:8], off
	v_add_co_u32 v7, vcc_lo, v7, 2
	v_add_co_ci_u32_e32 v8, vcc_lo, 0, v8, vcc_lo
	v_add_co_u32 v57, s0, v57, 2
	s_delay_alu instid0(VALU_DEP_1)
	v_add_co_ci_u32_e64 v58, s0, 0, v58, s0
	s_add_u32 s14, s14, 1
	s_addc_u32 s15, s15, 0
	s_and_not1_b32 s0, s20, exec_lo
	s_waitcnt vmcnt(0)
	v_cmp_ne_u16_e32 vcc_lo, v59, v60
	s_and_b32 s20, vcc_lo, exec_lo
	s_delay_alu instid0(SALU_CYCLE_1)
	s_or_b32 s20, s0, s20
.LBB1415_939:                           ;   in Loop: Header=BB1415_940 Depth=1
	v_dual_mov_b32 v60, s15 :: v_dual_mov_b32 v59, s14
	s_and_b32 s0, exec_lo, s20
	s_delay_alu instid0(SALU_CYCLE_1) | instskip(NEXT) | instid1(SALU_CYCLE_1)
	s_or_b32 s19, s0, s19
	s_and_not1_b32 exec_lo, exec_lo, s19
	s_cbranch_execz .LBB1415_943
.LBB1415_940:                           ; =>This Inner Loop Header: Depth=1
	s_or_b32 s20, s20, exec_lo
	s_cmp_eq_u64 s[12:13], s[14:15]
	s_cbranch_scc0 .LBB1415_938
; %bb.941:                              ;   in Loop: Header=BB1415_940 Depth=1
	s_mov_b64 s[14:15], s[8:9]
                                        ; implicit-def: $vgpr7_vgpr8
                                        ; implicit-def: $vgpr57_vgpr58
	s_branch .LBB1415_939
.LBB1415_942:
	v_mov_b32_e32 v7, 0
	v_mov_b32_e32 v8, 0
	s_branch .LBB1415_945
.LBB1415_943:
	s_set_inst_prefetch_distance 0x2
	s_or_b32 exec_lo, exec_lo, s19
	v_cmp_gt_i64_e32 vcc_lo, s[8:9], v[59:60]
	s_mov_b32 s0, 0
	s_delay_alu instid0(SALU_CYCLE_1)
	v_mov_b32_e32 v8, s0
	v_cndmask_b32_e64 v7, 0, 1, vcc_lo
.LBB1415_944:
	s_or_b32 exec_lo, exec_lo, s18
.LBB1415_945:
	s_delay_alu instid0(SALU_CYCLE_1) | instskip(SKIP_2) | instid1(VALU_DEP_1)
	s_or_b32 exec_lo, exec_lo, s3
	v_add_nc_u32_e32 v57, 26, v64
	s_mov_b32 s3, exec_lo
	v_cmpx_gt_u32_e64 s6, v57
	s_cbranch_execz .LBB1415_956
; %bb.946:
	v_cmp_ne_u32_e32 vcc_lo, 1, v63
	s_cbranch_vccnz .LBB1415_953
; %bb.947:
	v_mul_lo_u32 v59, v6, s8
	v_mul_lo_u32 v60, v5, s9
	v_mad_u64_u32 v[57:58], null, v5, s8, 0
	v_mul_lo_u32 v61, v12, s8
	v_mul_lo_u32 v62, v11, s9
	v_mad_u64_u32 v[5:6], null, v11, s8, 0
	s_mov_b32 s18, exec_lo
	s_delay_alu instid0(VALU_DEP_4) | instskip(NEXT) | instid1(VALU_DEP_2)
	v_add3_u32 v58, v58, v60, v59
	v_add3_u32 v6, v6, v62, v61
	s_delay_alu instid0(VALU_DEP_2) | instskip(NEXT) | instid1(VALU_DEP_2)
	v_lshlrev_b64 v[57:58], 1, v[57:58]
	v_lshlrev_b64 v[5:6], 1, v[5:6]
	s_delay_alu instid0(VALU_DEP_2) | instskip(NEXT) | instid1(VALU_DEP_3)
	v_add_co_u32 v57, vcc_lo, s10, v57
	v_add_co_ci_u32_e32 v58, vcc_lo, s11, v58, vcc_lo
	s_delay_alu instid0(VALU_DEP_3) | instskip(NEXT) | instid1(VALU_DEP_4)
	v_add_co_u32 v59, vcc_lo, s10, v5
	v_add_co_ci_u32_e32 v60, vcc_lo, s11, v6, vcc_lo
	s_clause 0x1
	global_load_u16 v61, v[57:58], off
	global_load_u16 v62, v[59:60], off
	v_mov_b32_e32 v5, 1
	v_mov_b32_e32 v6, 0
	s_waitcnt vmcnt(0)
	v_cmpx_eq_u16_e64 v61, v62
	s_cbranch_execz .LBB1415_955
; %bb.948:
	v_add_co_u32 v5, vcc_lo, v59, 2
	v_add_co_ci_u32_e32 v6, vcc_lo, 0, v60, vcc_lo
	v_add_co_u32 v57, vcc_lo, v57, 2
	v_add_co_ci_u32_e32 v58, vcc_lo, 0, v58, vcc_lo
	s_add_u32 s12, s8, -1
	s_addc_u32 s13, s9, -1
	s_mov_b64 s[14:15], 0
	s_mov_b32 s19, 0
                                        ; implicit-def: $sgpr20
	s_set_inst_prefetch_distance 0x1
	s_branch .LBB1415_951
	.p2align	6
.LBB1415_949:                           ;   in Loop: Header=BB1415_951 Depth=1
	global_load_u16 v59, v[57:58], off
	global_load_u16 v60, v[5:6], off
	v_add_co_u32 v5, vcc_lo, v5, 2
	v_add_co_ci_u32_e32 v6, vcc_lo, 0, v6, vcc_lo
	v_add_co_u32 v57, s0, v57, 2
	s_delay_alu instid0(VALU_DEP_1)
	v_add_co_ci_u32_e64 v58, s0, 0, v58, s0
	s_add_u32 s14, s14, 1
	s_addc_u32 s15, s15, 0
	s_and_not1_b32 s0, s20, exec_lo
	s_waitcnt vmcnt(0)
	v_cmp_ne_u16_e32 vcc_lo, v59, v60
	s_and_b32 s20, vcc_lo, exec_lo
	s_delay_alu instid0(SALU_CYCLE_1)
	s_or_b32 s20, s0, s20
.LBB1415_950:                           ;   in Loop: Header=BB1415_951 Depth=1
	v_dual_mov_b32 v60, s15 :: v_dual_mov_b32 v59, s14
	s_and_b32 s0, exec_lo, s20
	s_delay_alu instid0(SALU_CYCLE_1) | instskip(NEXT) | instid1(SALU_CYCLE_1)
	s_or_b32 s19, s0, s19
	s_and_not1_b32 exec_lo, exec_lo, s19
	s_cbranch_execz .LBB1415_954
.LBB1415_951:                           ; =>This Inner Loop Header: Depth=1
	s_or_b32 s20, s20, exec_lo
	s_cmp_eq_u64 s[12:13], s[14:15]
	s_cbranch_scc0 .LBB1415_949
; %bb.952:                              ;   in Loop: Header=BB1415_951 Depth=1
	s_mov_b64 s[14:15], s[8:9]
                                        ; implicit-def: $vgpr5_vgpr6
                                        ; implicit-def: $vgpr57_vgpr58
	s_branch .LBB1415_950
.LBB1415_953:
	v_mov_b32_e32 v5, 0
	v_mov_b32_e32 v6, 0
	s_branch .LBB1415_956
.LBB1415_954:
	s_set_inst_prefetch_distance 0x2
	s_or_b32 exec_lo, exec_lo, s19
	v_cmp_gt_i64_e32 vcc_lo, s[8:9], v[59:60]
	s_mov_b32 s0, 0
	s_delay_alu instid0(SALU_CYCLE_1)
	v_mov_b32_e32 v6, s0
	v_cndmask_b32_e64 v5, 0, 1, vcc_lo
.LBB1415_955:
	s_or_b32 exec_lo, exec_lo, s18
.LBB1415_956:
	s_delay_alu instid0(SALU_CYCLE_1) | instskip(SKIP_2) | instid1(VALU_DEP_1)
	s_or_b32 exec_lo, exec_lo, s3
	v_add_nc_u32_e32 v57, 25, v64
	s_mov_b32 s3, exec_lo
	v_cmpx_gt_u32_e64 s6, v57
	s_cbranch_execz .LBB1415_967
; %bb.957:
	v_cmp_ne_u32_e32 vcc_lo, 1, v63
	s_cbranch_vccnz .LBB1415_964
; %bb.958:
	v_mul_lo_u32 v59, v12, s8
	v_mul_lo_u32 v60, v11, s9
	v_mad_u64_u32 v[57:58], null, v11, s8, 0
	v_mul_lo_u32 v61, v10, s8
	v_mul_lo_u32 v62, v9, s9
	v_mad_u64_u32 v[11:12], null, v9, s8, 0
	s_mov_b32 s18, exec_lo
	s_delay_alu instid0(VALU_DEP_4) | instskip(NEXT) | instid1(VALU_DEP_2)
	v_add3_u32 v58, v58, v60, v59
	v_add3_u32 v12, v12, v62, v61
	s_delay_alu instid0(VALU_DEP_2) | instskip(NEXT) | instid1(VALU_DEP_2)
	v_lshlrev_b64 v[57:58], 1, v[57:58]
	v_lshlrev_b64 v[11:12], 1, v[11:12]
	s_delay_alu instid0(VALU_DEP_2) | instskip(NEXT) | instid1(VALU_DEP_3)
	v_add_co_u32 v57, vcc_lo, s10, v57
	v_add_co_ci_u32_e32 v58, vcc_lo, s11, v58, vcc_lo
	s_delay_alu instid0(VALU_DEP_3) | instskip(NEXT) | instid1(VALU_DEP_4)
	v_add_co_u32 v59, vcc_lo, s10, v11
	v_add_co_ci_u32_e32 v60, vcc_lo, s11, v12, vcc_lo
	s_clause 0x1
	global_load_u16 v61, v[57:58], off
	global_load_u16 v62, v[59:60], off
	v_mov_b32_e32 v11, 1
	v_mov_b32_e32 v12, 0
	s_waitcnt vmcnt(0)
	v_cmpx_eq_u16_e64 v61, v62
	s_cbranch_execz .LBB1415_966
; %bb.959:
	v_add_co_u32 v11, vcc_lo, v59, 2
	v_add_co_ci_u32_e32 v12, vcc_lo, 0, v60, vcc_lo
	v_add_co_u32 v57, vcc_lo, v57, 2
	v_add_co_ci_u32_e32 v58, vcc_lo, 0, v58, vcc_lo
	s_add_u32 s12, s8, -1
	s_addc_u32 s13, s9, -1
	s_mov_b64 s[14:15], 0
	s_mov_b32 s19, 0
                                        ; implicit-def: $sgpr20
	s_set_inst_prefetch_distance 0x1
	s_branch .LBB1415_962
	.p2align	6
.LBB1415_960:                           ;   in Loop: Header=BB1415_962 Depth=1
	global_load_u16 v59, v[57:58], off
	global_load_u16 v60, v[11:12], off
	v_add_co_u32 v11, vcc_lo, v11, 2
	v_add_co_ci_u32_e32 v12, vcc_lo, 0, v12, vcc_lo
	v_add_co_u32 v57, s0, v57, 2
	s_delay_alu instid0(VALU_DEP_1)
	v_add_co_ci_u32_e64 v58, s0, 0, v58, s0
	s_add_u32 s14, s14, 1
	s_addc_u32 s15, s15, 0
	s_and_not1_b32 s0, s20, exec_lo
	s_waitcnt vmcnt(0)
	v_cmp_ne_u16_e32 vcc_lo, v59, v60
	s_and_b32 s20, vcc_lo, exec_lo
	s_delay_alu instid0(SALU_CYCLE_1)
	s_or_b32 s20, s0, s20
.LBB1415_961:                           ;   in Loop: Header=BB1415_962 Depth=1
	v_dual_mov_b32 v60, s15 :: v_dual_mov_b32 v59, s14
	s_and_b32 s0, exec_lo, s20
	s_delay_alu instid0(SALU_CYCLE_1) | instskip(NEXT) | instid1(SALU_CYCLE_1)
	s_or_b32 s19, s0, s19
	s_and_not1_b32 exec_lo, exec_lo, s19
	s_cbranch_execz .LBB1415_965
.LBB1415_962:                           ; =>This Inner Loop Header: Depth=1
	s_or_b32 s20, s20, exec_lo
	s_cmp_eq_u64 s[12:13], s[14:15]
	s_cbranch_scc0 .LBB1415_960
; %bb.963:                              ;   in Loop: Header=BB1415_962 Depth=1
	s_mov_b64 s[14:15], s[8:9]
                                        ; implicit-def: $vgpr11_vgpr12
                                        ; implicit-def: $vgpr57_vgpr58
	s_branch .LBB1415_961
.LBB1415_964:
	v_mov_b32_e32 v11, 0
	v_mov_b32_e32 v12, 0
	s_branch .LBB1415_967
.LBB1415_965:
	s_set_inst_prefetch_distance 0x2
	s_or_b32 exec_lo, exec_lo, s19
	v_cmp_gt_i64_e32 vcc_lo, s[8:9], v[59:60]
	s_mov_b32 s0, 0
	s_delay_alu instid0(SALU_CYCLE_1)
	v_mov_b32_e32 v12, s0
	v_cndmask_b32_e64 v11, 0, 1, vcc_lo
.LBB1415_966:
	s_or_b32 exec_lo, exec_lo, s18
.LBB1415_967:
	s_delay_alu instid0(SALU_CYCLE_1) | instskip(SKIP_2) | instid1(VALU_DEP_1)
	s_or_b32 exec_lo, exec_lo, s3
	v_add_nc_u32_e32 v57, 24, v64
	s_mov_b32 s3, exec_lo
	v_cmpx_gt_u32_e64 s6, v57
	s_cbranch_execz .LBB1415_978
; %bb.968:
	v_cmp_ne_u32_e32 vcc_lo, 1, v63
	s_cbranch_vccnz .LBB1415_975
; %bb.969:
	v_mul_lo_u32 v59, v10, s8
	v_mul_lo_u32 v60, v9, s9
	v_mad_u64_u32 v[57:58], null, v9, s8, 0
	v_mul_lo_u32 v61, v56, s8
	v_mul_lo_u32 v62, v55, s9
	v_mad_u64_u32 v[9:10], null, v55, s8, 0
	s_mov_b32 s18, exec_lo
	s_delay_alu instid0(VALU_DEP_4) | instskip(NEXT) | instid1(VALU_DEP_2)
	v_add3_u32 v58, v58, v60, v59
	v_add3_u32 v10, v10, v62, v61
	s_delay_alu instid0(VALU_DEP_2) | instskip(NEXT) | instid1(VALU_DEP_2)
	v_lshlrev_b64 v[57:58], 1, v[57:58]
	v_lshlrev_b64 v[9:10], 1, v[9:10]
	s_delay_alu instid0(VALU_DEP_2) | instskip(NEXT) | instid1(VALU_DEP_3)
	v_add_co_u32 v57, vcc_lo, s10, v57
	v_add_co_ci_u32_e32 v58, vcc_lo, s11, v58, vcc_lo
	s_delay_alu instid0(VALU_DEP_3) | instskip(NEXT) | instid1(VALU_DEP_4)
	v_add_co_u32 v59, vcc_lo, s10, v9
	v_add_co_ci_u32_e32 v60, vcc_lo, s11, v10, vcc_lo
	s_clause 0x1
	global_load_u16 v61, v[57:58], off
	global_load_u16 v62, v[59:60], off
	v_mov_b32_e32 v9, 1
	v_mov_b32_e32 v10, 0
	s_waitcnt vmcnt(0)
	v_cmpx_eq_u16_e64 v61, v62
	s_cbranch_execz .LBB1415_977
; %bb.970:
	v_add_co_u32 v9, vcc_lo, v59, 2
	v_add_co_ci_u32_e32 v10, vcc_lo, 0, v60, vcc_lo
	v_add_co_u32 v57, vcc_lo, v57, 2
	v_add_co_ci_u32_e32 v58, vcc_lo, 0, v58, vcc_lo
	s_add_u32 s12, s8, -1
	s_addc_u32 s13, s9, -1
	s_mov_b64 s[14:15], 0
	s_mov_b32 s19, 0
                                        ; implicit-def: $sgpr20
	s_set_inst_prefetch_distance 0x1
	s_branch .LBB1415_973
	.p2align	6
.LBB1415_971:                           ;   in Loop: Header=BB1415_973 Depth=1
	global_load_u16 v59, v[57:58], off
	global_load_u16 v60, v[9:10], off
	v_add_co_u32 v9, vcc_lo, v9, 2
	v_add_co_ci_u32_e32 v10, vcc_lo, 0, v10, vcc_lo
	v_add_co_u32 v57, s0, v57, 2
	s_delay_alu instid0(VALU_DEP_1)
	v_add_co_ci_u32_e64 v58, s0, 0, v58, s0
	s_add_u32 s14, s14, 1
	s_addc_u32 s15, s15, 0
	s_and_not1_b32 s0, s20, exec_lo
	s_waitcnt vmcnt(0)
	v_cmp_ne_u16_e32 vcc_lo, v59, v60
	s_and_b32 s20, vcc_lo, exec_lo
	s_delay_alu instid0(SALU_CYCLE_1)
	s_or_b32 s20, s0, s20
.LBB1415_972:                           ;   in Loop: Header=BB1415_973 Depth=1
	v_dual_mov_b32 v60, s15 :: v_dual_mov_b32 v59, s14
	s_and_b32 s0, exec_lo, s20
	s_delay_alu instid0(SALU_CYCLE_1) | instskip(NEXT) | instid1(SALU_CYCLE_1)
	s_or_b32 s19, s0, s19
	s_and_not1_b32 exec_lo, exec_lo, s19
	s_cbranch_execz .LBB1415_976
.LBB1415_973:                           ; =>This Inner Loop Header: Depth=1
	s_or_b32 s20, s20, exec_lo
	s_cmp_eq_u64 s[12:13], s[14:15]
	s_cbranch_scc0 .LBB1415_971
; %bb.974:                              ;   in Loop: Header=BB1415_973 Depth=1
	s_mov_b64 s[14:15], s[8:9]
                                        ; implicit-def: $vgpr9_vgpr10
                                        ; implicit-def: $vgpr57_vgpr58
	s_branch .LBB1415_972
.LBB1415_975:
	v_mov_b32_e32 v9, 0
	v_mov_b32_e32 v10, 0
	s_branch .LBB1415_978
.LBB1415_976:
	s_set_inst_prefetch_distance 0x2
	s_or_b32 exec_lo, exec_lo, s19
	v_cmp_gt_i64_e32 vcc_lo, s[8:9], v[59:60]
	s_mov_b32 s0, 0
	s_delay_alu instid0(SALU_CYCLE_1)
	v_mov_b32_e32 v10, s0
	v_cndmask_b32_e64 v9, 0, 1, vcc_lo
.LBB1415_977:
	s_or_b32 exec_lo, exec_lo, s18
.LBB1415_978:
	s_delay_alu instid0(SALU_CYCLE_1) | instskip(SKIP_2) | instid1(VALU_DEP_1)
	s_or_b32 exec_lo, exec_lo, s3
	v_add_nc_u32_e32 v57, 23, v64
	s_mov_b32 s3, exec_lo
	v_cmpx_gt_u32_e64 s6, v57
	s_cbranch_execz .LBB1415_989
; %bb.979:
	v_cmp_ne_u32_e32 vcc_lo, 1, v63
	s_cbranch_vccnz .LBB1415_986
; %bb.980:
	v_mul_lo_u32 v60, v56, s8
	v_mul_lo_u32 v61, v55, s9
	v_mad_u64_u32 v[56:57], null, v55, s8, 0
	v_mul_lo_u32 v55, v54, s8
	v_mul_lo_u32 v62, v53, s9
	v_mad_u64_u32 v[58:59], null, v53, s8, 0
	s_mov_b32 s18, exec_lo
	s_delay_alu instid0(VALU_DEP_4) | instskip(NEXT) | instid1(VALU_DEP_2)
	v_add3_u32 v57, v57, v61, v60
	v_add3_u32 v59, v59, v62, v55
	s_delay_alu instid0(VALU_DEP_2) | instskip(NEXT) | instid1(VALU_DEP_2)
	v_lshlrev_b64 v[55:56], 1, v[56:57]
	v_lshlrev_b64 v[59:60], 1, v[58:59]
	s_delay_alu instid0(VALU_DEP_2) | instskip(NEXT) | instid1(VALU_DEP_3)
	v_add_co_u32 v57, vcc_lo, s10, v55
	v_add_co_ci_u32_e32 v58, vcc_lo, s11, v56, vcc_lo
	s_delay_alu instid0(VALU_DEP_3) | instskip(NEXT) | instid1(VALU_DEP_4)
	v_add_co_u32 v59, vcc_lo, s10, v59
	v_add_co_ci_u32_e32 v60, vcc_lo, s11, v60, vcc_lo
	s_clause 0x1
	global_load_u16 v61, v[57:58], off
	global_load_u16 v62, v[59:60], off
	v_mov_b32_e32 v55, 1
	v_mov_b32_e32 v56, 0
	s_waitcnt vmcnt(0)
	v_cmpx_eq_u16_e64 v61, v62
	s_cbranch_execz .LBB1415_988
; %bb.981:
	v_add_co_u32 v55, vcc_lo, v59, 2
	v_add_co_ci_u32_e32 v56, vcc_lo, 0, v60, vcc_lo
	v_add_co_u32 v57, vcc_lo, v57, 2
	v_add_co_ci_u32_e32 v58, vcc_lo, 0, v58, vcc_lo
	s_add_u32 s12, s8, -1
	s_addc_u32 s13, s9, -1
	s_mov_b64 s[14:15], 0
	s_mov_b32 s19, 0
                                        ; implicit-def: $sgpr20
	s_set_inst_prefetch_distance 0x1
	s_branch .LBB1415_984
	.p2align	6
.LBB1415_982:                           ;   in Loop: Header=BB1415_984 Depth=1
	global_load_u16 v59, v[57:58], off
	global_load_u16 v60, v[55:56], off
	v_add_co_u32 v55, vcc_lo, v55, 2
	v_add_co_ci_u32_e32 v56, vcc_lo, 0, v56, vcc_lo
	v_add_co_u32 v57, s0, v57, 2
	s_delay_alu instid0(VALU_DEP_1)
	v_add_co_ci_u32_e64 v58, s0, 0, v58, s0
	s_add_u32 s14, s14, 1
	s_addc_u32 s15, s15, 0
	s_and_not1_b32 s0, s20, exec_lo
	s_waitcnt vmcnt(0)
	v_cmp_ne_u16_e32 vcc_lo, v59, v60
	s_and_b32 s20, vcc_lo, exec_lo
	s_delay_alu instid0(SALU_CYCLE_1)
	s_or_b32 s20, s0, s20
.LBB1415_983:                           ;   in Loop: Header=BB1415_984 Depth=1
	v_dual_mov_b32 v60, s15 :: v_dual_mov_b32 v59, s14
	s_and_b32 s0, exec_lo, s20
	s_delay_alu instid0(SALU_CYCLE_1) | instskip(NEXT) | instid1(SALU_CYCLE_1)
	s_or_b32 s19, s0, s19
	s_and_not1_b32 exec_lo, exec_lo, s19
	s_cbranch_execz .LBB1415_987
.LBB1415_984:                           ; =>This Inner Loop Header: Depth=1
	s_or_b32 s20, s20, exec_lo
	s_cmp_eq_u64 s[12:13], s[14:15]
	s_cbranch_scc0 .LBB1415_982
; %bb.985:                              ;   in Loop: Header=BB1415_984 Depth=1
	s_mov_b64 s[14:15], s[8:9]
                                        ; implicit-def: $vgpr55_vgpr56
                                        ; implicit-def: $vgpr57_vgpr58
	s_branch .LBB1415_983
.LBB1415_986:
	v_mov_b32_e32 v55, 0
	v_mov_b32_e32 v56, 0
	s_branch .LBB1415_989
.LBB1415_987:
	s_set_inst_prefetch_distance 0x2
	s_or_b32 exec_lo, exec_lo, s19
	v_cmp_gt_i64_e32 vcc_lo, s[8:9], v[59:60]
	s_mov_b32 s0, 0
	s_delay_alu instid0(SALU_CYCLE_1)
	v_mov_b32_e32 v56, s0
	v_cndmask_b32_e64 v55, 0, 1, vcc_lo
.LBB1415_988:
	s_or_b32 exec_lo, exec_lo, s18
.LBB1415_989:
	s_delay_alu instid0(SALU_CYCLE_1) | instskip(SKIP_2) | instid1(VALU_DEP_1)
	s_or_b32 exec_lo, exec_lo, s3
	v_add_nc_u32_e32 v57, 22, v64
	s_mov_b32 s3, exec_lo
	v_cmpx_gt_u32_e64 s6, v57
	s_cbranch_execz .LBB1415_1000
; %bb.990:
	v_cmp_ne_u32_e32 vcc_lo, 1, v63
	s_cbranch_vccnz .LBB1415_997
; %bb.991:
	v_mul_lo_u32 v59, v54, s8
	v_mul_lo_u32 v60, v53, s9
	v_mad_u64_u32 v[57:58], null, v53, s8, 0
	v_mul_lo_u32 v61, v52, s8
	v_mul_lo_u32 v62, v51, s9
	v_mad_u64_u32 v[53:54], null, v51, s8, 0
	s_mov_b32 s18, exec_lo
	s_delay_alu instid0(VALU_DEP_4) | instskip(NEXT) | instid1(VALU_DEP_2)
	v_add3_u32 v58, v58, v60, v59
	v_add3_u32 v54, v54, v62, v61
	s_delay_alu instid0(VALU_DEP_2) | instskip(NEXT) | instid1(VALU_DEP_2)
	v_lshlrev_b64 v[57:58], 1, v[57:58]
	v_lshlrev_b64 v[53:54], 1, v[53:54]
	s_delay_alu instid0(VALU_DEP_2) | instskip(NEXT) | instid1(VALU_DEP_3)
	v_add_co_u32 v57, vcc_lo, s10, v57
	v_add_co_ci_u32_e32 v58, vcc_lo, s11, v58, vcc_lo
	s_delay_alu instid0(VALU_DEP_3) | instskip(NEXT) | instid1(VALU_DEP_4)
	v_add_co_u32 v59, vcc_lo, s10, v53
	v_add_co_ci_u32_e32 v60, vcc_lo, s11, v54, vcc_lo
	s_clause 0x1
	global_load_u16 v61, v[57:58], off
	global_load_u16 v62, v[59:60], off
	v_mov_b32_e32 v53, 1
	v_mov_b32_e32 v54, 0
	s_waitcnt vmcnt(0)
	v_cmpx_eq_u16_e64 v61, v62
	s_cbranch_execz .LBB1415_999
; %bb.992:
	v_add_co_u32 v53, vcc_lo, v59, 2
	v_add_co_ci_u32_e32 v54, vcc_lo, 0, v60, vcc_lo
	v_add_co_u32 v57, vcc_lo, v57, 2
	v_add_co_ci_u32_e32 v58, vcc_lo, 0, v58, vcc_lo
	s_add_u32 s12, s8, -1
	s_addc_u32 s13, s9, -1
	s_mov_b64 s[14:15], 0
	s_mov_b32 s19, 0
                                        ; implicit-def: $sgpr20
	s_set_inst_prefetch_distance 0x1
	s_branch .LBB1415_995
	.p2align	6
.LBB1415_993:                           ;   in Loop: Header=BB1415_995 Depth=1
	global_load_u16 v59, v[57:58], off
	global_load_u16 v60, v[53:54], off
	v_add_co_u32 v53, vcc_lo, v53, 2
	v_add_co_ci_u32_e32 v54, vcc_lo, 0, v54, vcc_lo
	v_add_co_u32 v57, s0, v57, 2
	s_delay_alu instid0(VALU_DEP_1)
	v_add_co_ci_u32_e64 v58, s0, 0, v58, s0
	s_add_u32 s14, s14, 1
	s_addc_u32 s15, s15, 0
	s_and_not1_b32 s0, s20, exec_lo
	s_waitcnt vmcnt(0)
	v_cmp_ne_u16_e32 vcc_lo, v59, v60
	s_and_b32 s20, vcc_lo, exec_lo
	s_delay_alu instid0(SALU_CYCLE_1)
	s_or_b32 s20, s0, s20
.LBB1415_994:                           ;   in Loop: Header=BB1415_995 Depth=1
	v_dual_mov_b32 v60, s15 :: v_dual_mov_b32 v59, s14
	s_and_b32 s0, exec_lo, s20
	s_delay_alu instid0(SALU_CYCLE_1) | instskip(NEXT) | instid1(SALU_CYCLE_1)
	s_or_b32 s19, s0, s19
	s_and_not1_b32 exec_lo, exec_lo, s19
	s_cbranch_execz .LBB1415_998
.LBB1415_995:                           ; =>This Inner Loop Header: Depth=1
	s_or_b32 s20, s20, exec_lo
	s_cmp_eq_u64 s[12:13], s[14:15]
	s_cbranch_scc0 .LBB1415_993
; %bb.996:                              ;   in Loop: Header=BB1415_995 Depth=1
	s_mov_b64 s[14:15], s[8:9]
                                        ; implicit-def: $vgpr53_vgpr54
                                        ; implicit-def: $vgpr57_vgpr58
	s_branch .LBB1415_994
.LBB1415_997:
	v_mov_b32_e32 v53, 0
	v_mov_b32_e32 v54, 0
	s_branch .LBB1415_1000
.LBB1415_998:
	s_set_inst_prefetch_distance 0x2
	s_or_b32 exec_lo, exec_lo, s19
	v_cmp_gt_i64_e32 vcc_lo, s[8:9], v[59:60]
	s_mov_b32 s0, 0
	s_delay_alu instid0(SALU_CYCLE_1)
	v_mov_b32_e32 v54, s0
	v_cndmask_b32_e64 v53, 0, 1, vcc_lo
.LBB1415_999:
	s_or_b32 exec_lo, exec_lo, s18
.LBB1415_1000:
	s_delay_alu instid0(SALU_CYCLE_1) | instskip(SKIP_2) | instid1(VALU_DEP_1)
	s_or_b32 exec_lo, exec_lo, s3
	v_add_nc_u32_e32 v57, 21, v64
	s_mov_b32 s3, exec_lo
	v_cmpx_gt_u32_e64 s6, v57
	s_cbranch_execz .LBB1415_1011
; %bb.1001:
	v_cmp_ne_u32_e32 vcc_lo, 1, v63
	s_cbranch_vccnz .LBB1415_1008
; %bb.1002:
	v_mul_lo_u32 v59, v52, s8
	v_mul_lo_u32 v60, v51, s9
	v_mad_u64_u32 v[57:58], null, v51, s8, 0
	v_mul_lo_u32 v61, v50, s8
	v_mul_lo_u32 v62, v49, s9
	v_mad_u64_u32 v[51:52], null, v49, s8, 0
	s_mov_b32 s18, exec_lo
	s_delay_alu instid0(VALU_DEP_4) | instskip(NEXT) | instid1(VALU_DEP_2)
	v_add3_u32 v58, v58, v60, v59
	v_add3_u32 v52, v52, v62, v61
	s_delay_alu instid0(VALU_DEP_2) | instskip(NEXT) | instid1(VALU_DEP_2)
	v_lshlrev_b64 v[57:58], 1, v[57:58]
	v_lshlrev_b64 v[51:52], 1, v[51:52]
	s_delay_alu instid0(VALU_DEP_2) | instskip(NEXT) | instid1(VALU_DEP_3)
	v_add_co_u32 v57, vcc_lo, s10, v57
	v_add_co_ci_u32_e32 v58, vcc_lo, s11, v58, vcc_lo
	s_delay_alu instid0(VALU_DEP_3) | instskip(NEXT) | instid1(VALU_DEP_4)
	v_add_co_u32 v59, vcc_lo, s10, v51
	v_add_co_ci_u32_e32 v60, vcc_lo, s11, v52, vcc_lo
	s_clause 0x1
	global_load_u16 v61, v[57:58], off
	global_load_u16 v62, v[59:60], off
	v_mov_b32_e32 v51, 1
	v_mov_b32_e32 v52, 0
	s_waitcnt vmcnt(0)
	v_cmpx_eq_u16_e64 v61, v62
	s_cbranch_execz .LBB1415_1010
; %bb.1003:
	v_add_co_u32 v51, vcc_lo, v59, 2
	v_add_co_ci_u32_e32 v52, vcc_lo, 0, v60, vcc_lo
	v_add_co_u32 v57, vcc_lo, v57, 2
	v_add_co_ci_u32_e32 v58, vcc_lo, 0, v58, vcc_lo
	s_add_u32 s12, s8, -1
	s_addc_u32 s13, s9, -1
	s_mov_b64 s[14:15], 0
	s_mov_b32 s19, 0
                                        ; implicit-def: $sgpr20
	s_set_inst_prefetch_distance 0x1
	s_branch .LBB1415_1006
	.p2align	6
.LBB1415_1004:                          ;   in Loop: Header=BB1415_1006 Depth=1
	global_load_u16 v59, v[57:58], off
	global_load_u16 v60, v[51:52], off
	v_add_co_u32 v51, vcc_lo, v51, 2
	v_add_co_ci_u32_e32 v52, vcc_lo, 0, v52, vcc_lo
	v_add_co_u32 v57, s0, v57, 2
	s_delay_alu instid0(VALU_DEP_1)
	v_add_co_ci_u32_e64 v58, s0, 0, v58, s0
	s_add_u32 s14, s14, 1
	s_addc_u32 s15, s15, 0
	s_and_not1_b32 s0, s20, exec_lo
	s_waitcnt vmcnt(0)
	v_cmp_ne_u16_e32 vcc_lo, v59, v60
	s_and_b32 s20, vcc_lo, exec_lo
	s_delay_alu instid0(SALU_CYCLE_1)
	s_or_b32 s20, s0, s20
.LBB1415_1005:                          ;   in Loop: Header=BB1415_1006 Depth=1
	v_dual_mov_b32 v60, s15 :: v_dual_mov_b32 v59, s14
	s_and_b32 s0, exec_lo, s20
	s_delay_alu instid0(SALU_CYCLE_1) | instskip(NEXT) | instid1(SALU_CYCLE_1)
	s_or_b32 s19, s0, s19
	s_and_not1_b32 exec_lo, exec_lo, s19
	s_cbranch_execz .LBB1415_1009
.LBB1415_1006:                          ; =>This Inner Loop Header: Depth=1
	s_or_b32 s20, s20, exec_lo
	s_cmp_eq_u64 s[12:13], s[14:15]
	s_cbranch_scc0 .LBB1415_1004
; %bb.1007:                             ;   in Loop: Header=BB1415_1006 Depth=1
	s_mov_b64 s[14:15], s[8:9]
                                        ; implicit-def: $vgpr51_vgpr52
                                        ; implicit-def: $vgpr57_vgpr58
	s_branch .LBB1415_1005
.LBB1415_1008:
	v_mov_b32_e32 v51, 0
	v_mov_b32_e32 v52, 0
	s_branch .LBB1415_1011
.LBB1415_1009:
	s_set_inst_prefetch_distance 0x2
	s_or_b32 exec_lo, exec_lo, s19
	v_cmp_gt_i64_e32 vcc_lo, s[8:9], v[59:60]
	s_mov_b32 s0, 0
	s_delay_alu instid0(SALU_CYCLE_1)
	v_mov_b32_e32 v52, s0
	v_cndmask_b32_e64 v51, 0, 1, vcc_lo
.LBB1415_1010:
	s_or_b32 exec_lo, exec_lo, s18
.LBB1415_1011:
	s_delay_alu instid0(SALU_CYCLE_1) | instskip(SKIP_2) | instid1(VALU_DEP_1)
	s_or_b32 exec_lo, exec_lo, s3
	v_add_nc_u32_e32 v57, 20, v64
	s_mov_b32 s3, exec_lo
	v_cmpx_gt_u32_e64 s6, v57
	s_cbranch_execz .LBB1415_1022
; %bb.1012:
	v_cmp_ne_u32_e32 vcc_lo, 1, v63
	s_cbranch_vccnz .LBB1415_1019
; %bb.1013:
	v_mul_lo_u32 v59, v50, s8
	v_mul_lo_u32 v60, v49, s9
	v_mad_u64_u32 v[57:58], null, v49, s8, 0
	v_mul_lo_u32 v61, v48, s8
	v_mul_lo_u32 v62, v47, s9
	v_mad_u64_u32 v[49:50], null, v47, s8, 0
	s_mov_b32 s18, exec_lo
	s_delay_alu instid0(VALU_DEP_4) | instskip(NEXT) | instid1(VALU_DEP_2)
	v_add3_u32 v58, v58, v60, v59
	v_add3_u32 v50, v50, v62, v61
	s_delay_alu instid0(VALU_DEP_2) | instskip(NEXT) | instid1(VALU_DEP_2)
	v_lshlrev_b64 v[57:58], 1, v[57:58]
	v_lshlrev_b64 v[49:50], 1, v[49:50]
	s_delay_alu instid0(VALU_DEP_2) | instskip(NEXT) | instid1(VALU_DEP_3)
	v_add_co_u32 v57, vcc_lo, s10, v57
	v_add_co_ci_u32_e32 v58, vcc_lo, s11, v58, vcc_lo
	s_delay_alu instid0(VALU_DEP_3) | instskip(NEXT) | instid1(VALU_DEP_4)
	v_add_co_u32 v59, vcc_lo, s10, v49
	v_add_co_ci_u32_e32 v60, vcc_lo, s11, v50, vcc_lo
	s_clause 0x1
	global_load_u16 v61, v[57:58], off
	global_load_u16 v62, v[59:60], off
	v_mov_b32_e32 v49, 1
	v_mov_b32_e32 v50, 0
	s_waitcnt vmcnt(0)
	v_cmpx_eq_u16_e64 v61, v62
	s_cbranch_execz .LBB1415_1021
; %bb.1014:
	v_add_co_u32 v49, vcc_lo, v59, 2
	v_add_co_ci_u32_e32 v50, vcc_lo, 0, v60, vcc_lo
	v_add_co_u32 v57, vcc_lo, v57, 2
	v_add_co_ci_u32_e32 v58, vcc_lo, 0, v58, vcc_lo
	s_add_u32 s12, s8, -1
	s_addc_u32 s13, s9, -1
	s_mov_b64 s[14:15], 0
	s_mov_b32 s19, 0
                                        ; implicit-def: $sgpr20
	s_set_inst_prefetch_distance 0x1
	s_branch .LBB1415_1017
	.p2align	6
.LBB1415_1015:                          ;   in Loop: Header=BB1415_1017 Depth=1
	global_load_u16 v59, v[57:58], off
	global_load_u16 v60, v[49:50], off
	v_add_co_u32 v49, vcc_lo, v49, 2
	v_add_co_ci_u32_e32 v50, vcc_lo, 0, v50, vcc_lo
	v_add_co_u32 v57, s0, v57, 2
	s_delay_alu instid0(VALU_DEP_1)
	v_add_co_ci_u32_e64 v58, s0, 0, v58, s0
	s_add_u32 s14, s14, 1
	s_addc_u32 s15, s15, 0
	s_and_not1_b32 s0, s20, exec_lo
	s_waitcnt vmcnt(0)
	v_cmp_ne_u16_e32 vcc_lo, v59, v60
	s_and_b32 s20, vcc_lo, exec_lo
	s_delay_alu instid0(SALU_CYCLE_1)
	s_or_b32 s20, s0, s20
.LBB1415_1016:                          ;   in Loop: Header=BB1415_1017 Depth=1
	v_dual_mov_b32 v60, s15 :: v_dual_mov_b32 v59, s14
	s_and_b32 s0, exec_lo, s20
	s_delay_alu instid0(SALU_CYCLE_1) | instskip(NEXT) | instid1(SALU_CYCLE_1)
	s_or_b32 s19, s0, s19
	s_and_not1_b32 exec_lo, exec_lo, s19
	s_cbranch_execz .LBB1415_1020
.LBB1415_1017:                          ; =>This Inner Loop Header: Depth=1
	s_or_b32 s20, s20, exec_lo
	s_cmp_eq_u64 s[12:13], s[14:15]
	s_cbranch_scc0 .LBB1415_1015
; %bb.1018:                             ;   in Loop: Header=BB1415_1017 Depth=1
	s_mov_b64 s[14:15], s[8:9]
                                        ; implicit-def: $vgpr49_vgpr50
                                        ; implicit-def: $vgpr57_vgpr58
	s_branch .LBB1415_1016
.LBB1415_1019:
	v_mov_b32_e32 v49, 0
	v_mov_b32_e32 v50, 0
	s_branch .LBB1415_1022
.LBB1415_1020:
	s_set_inst_prefetch_distance 0x2
	s_or_b32 exec_lo, exec_lo, s19
	v_cmp_gt_i64_e32 vcc_lo, s[8:9], v[59:60]
	s_mov_b32 s0, 0
	s_delay_alu instid0(SALU_CYCLE_1)
	v_mov_b32_e32 v50, s0
	v_cndmask_b32_e64 v49, 0, 1, vcc_lo
.LBB1415_1021:
	s_or_b32 exec_lo, exec_lo, s18
.LBB1415_1022:
	s_delay_alu instid0(SALU_CYCLE_1) | instskip(SKIP_2) | instid1(VALU_DEP_1)
	s_or_b32 exec_lo, exec_lo, s3
	v_add_nc_u32_e32 v57, 19, v64
	s_mov_b32 s3, exec_lo
	v_cmpx_gt_u32_e64 s6, v57
	s_cbranch_execz .LBB1415_1033
; %bb.1023:
	v_cmp_ne_u32_e32 vcc_lo, 1, v63
	s_cbranch_vccnz .LBB1415_1030
; %bb.1024:
	v_mul_lo_u32 v59, v48, s8
	v_mul_lo_u32 v60, v47, s9
	v_mad_u64_u32 v[57:58], null, v47, s8, 0
	v_mul_lo_u32 v61, v46, s8
	v_mul_lo_u32 v62, v45, s9
	v_mad_u64_u32 v[47:48], null, v45, s8, 0
	s_mov_b32 s18, exec_lo
	s_delay_alu instid0(VALU_DEP_4) | instskip(NEXT) | instid1(VALU_DEP_2)
	v_add3_u32 v58, v58, v60, v59
	v_add3_u32 v48, v48, v62, v61
	s_delay_alu instid0(VALU_DEP_2) | instskip(NEXT) | instid1(VALU_DEP_2)
	v_lshlrev_b64 v[57:58], 1, v[57:58]
	v_lshlrev_b64 v[47:48], 1, v[47:48]
	s_delay_alu instid0(VALU_DEP_2) | instskip(NEXT) | instid1(VALU_DEP_3)
	v_add_co_u32 v57, vcc_lo, s10, v57
	v_add_co_ci_u32_e32 v58, vcc_lo, s11, v58, vcc_lo
	s_delay_alu instid0(VALU_DEP_3) | instskip(NEXT) | instid1(VALU_DEP_4)
	v_add_co_u32 v59, vcc_lo, s10, v47
	v_add_co_ci_u32_e32 v60, vcc_lo, s11, v48, vcc_lo
	s_clause 0x1
	global_load_u16 v61, v[57:58], off
	global_load_u16 v62, v[59:60], off
	v_mov_b32_e32 v47, 1
	v_mov_b32_e32 v48, 0
	s_waitcnt vmcnt(0)
	v_cmpx_eq_u16_e64 v61, v62
	s_cbranch_execz .LBB1415_1032
; %bb.1025:
	v_add_co_u32 v47, vcc_lo, v59, 2
	v_add_co_ci_u32_e32 v48, vcc_lo, 0, v60, vcc_lo
	v_add_co_u32 v57, vcc_lo, v57, 2
	v_add_co_ci_u32_e32 v58, vcc_lo, 0, v58, vcc_lo
	s_add_u32 s12, s8, -1
	s_addc_u32 s13, s9, -1
	s_mov_b64 s[14:15], 0
	s_mov_b32 s19, 0
                                        ; implicit-def: $sgpr20
	s_set_inst_prefetch_distance 0x1
	s_branch .LBB1415_1028
	.p2align	6
.LBB1415_1026:                          ;   in Loop: Header=BB1415_1028 Depth=1
	global_load_u16 v59, v[57:58], off
	global_load_u16 v60, v[47:48], off
	v_add_co_u32 v47, vcc_lo, v47, 2
	v_add_co_ci_u32_e32 v48, vcc_lo, 0, v48, vcc_lo
	v_add_co_u32 v57, s0, v57, 2
	s_delay_alu instid0(VALU_DEP_1)
	v_add_co_ci_u32_e64 v58, s0, 0, v58, s0
	s_add_u32 s14, s14, 1
	s_addc_u32 s15, s15, 0
	s_and_not1_b32 s0, s20, exec_lo
	s_waitcnt vmcnt(0)
	v_cmp_ne_u16_e32 vcc_lo, v59, v60
	s_and_b32 s20, vcc_lo, exec_lo
	s_delay_alu instid0(SALU_CYCLE_1)
	s_or_b32 s20, s0, s20
.LBB1415_1027:                          ;   in Loop: Header=BB1415_1028 Depth=1
	v_dual_mov_b32 v60, s15 :: v_dual_mov_b32 v59, s14
	s_and_b32 s0, exec_lo, s20
	s_delay_alu instid0(SALU_CYCLE_1) | instskip(NEXT) | instid1(SALU_CYCLE_1)
	s_or_b32 s19, s0, s19
	s_and_not1_b32 exec_lo, exec_lo, s19
	s_cbranch_execz .LBB1415_1031
.LBB1415_1028:                          ; =>This Inner Loop Header: Depth=1
	s_or_b32 s20, s20, exec_lo
	s_cmp_eq_u64 s[12:13], s[14:15]
	s_cbranch_scc0 .LBB1415_1026
; %bb.1029:                             ;   in Loop: Header=BB1415_1028 Depth=1
	s_mov_b64 s[14:15], s[8:9]
                                        ; implicit-def: $vgpr47_vgpr48
                                        ; implicit-def: $vgpr57_vgpr58
	s_branch .LBB1415_1027
.LBB1415_1030:
	v_mov_b32_e32 v47, 0
	v_mov_b32_e32 v48, 0
	s_branch .LBB1415_1033
.LBB1415_1031:
	s_set_inst_prefetch_distance 0x2
	s_or_b32 exec_lo, exec_lo, s19
	v_cmp_gt_i64_e32 vcc_lo, s[8:9], v[59:60]
	s_mov_b32 s0, 0
	s_delay_alu instid0(SALU_CYCLE_1)
	v_mov_b32_e32 v48, s0
	v_cndmask_b32_e64 v47, 0, 1, vcc_lo
.LBB1415_1032:
	s_or_b32 exec_lo, exec_lo, s18
.LBB1415_1033:
	s_delay_alu instid0(SALU_CYCLE_1) | instskip(SKIP_2) | instid1(VALU_DEP_1)
	s_or_b32 exec_lo, exec_lo, s3
	v_add_nc_u32_e32 v57, 18, v64
	s_mov_b32 s3, exec_lo
	v_cmpx_gt_u32_e64 s6, v57
	s_cbranch_execz .LBB1415_1044
; %bb.1034:
	v_cmp_ne_u32_e32 vcc_lo, 1, v63
	s_cbranch_vccnz .LBB1415_1041
; %bb.1035:
	v_mul_lo_u32 v59, v46, s8
	v_mul_lo_u32 v60, v45, s9
	v_mad_u64_u32 v[57:58], null, v45, s8, 0
	v_mul_lo_u32 v61, v44, s8
	v_mul_lo_u32 v62, v43, s9
	v_mad_u64_u32 v[45:46], null, v43, s8, 0
	s_mov_b32 s18, exec_lo
	s_delay_alu instid0(VALU_DEP_4) | instskip(NEXT) | instid1(VALU_DEP_2)
	v_add3_u32 v58, v58, v60, v59
	v_add3_u32 v46, v46, v62, v61
	s_delay_alu instid0(VALU_DEP_2) | instskip(NEXT) | instid1(VALU_DEP_2)
	v_lshlrev_b64 v[57:58], 1, v[57:58]
	v_lshlrev_b64 v[45:46], 1, v[45:46]
	s_delay_alu instid0(VALU_DEP_2) | instskip(NEXT) | instid1(VALU_DEP_3)
	v_add_co_u32 v57, vcc_lo, s10, v57
	v_add_co_ci_u32_e32 v58, vcc_lo, s11, v58, vcc_lo
	s_delay_alu instid0(VALU_DEP_3) | instskip(NEXT) | instid1(VALU_DEP_4)
	v_add_co_u32 v59, vcc_lo, s10, v45
	v_add_co_ci_u32_e32 v60, vcc_lo, s11, v46, vcc_lo
	s_clause 0x1
	global_load_u16 v61, v[57:58], off
	global_load_u16 v62, v[59:60], off
	v_mov_b32_e32 v45, 1
	v_mov_b32_e32 v46, 0
	s_waitcnt vmcnt(0)
	v_cmpx_eq_u16_e64 v61, v62
	s_cbranch_execz .LBB1415_1043
; %bb.1036:
	v_add_co_u32 v45, vcc_lo, v59, 2
	v_add_co_ci_u32_e32 v46, vcc_lo, 0, v60, vcc_lo
	v_add_co_u32 v57, vcc_lo, v57, 2
	v_add_co_ci_u32_e32 v58, vcc_lo, 0, v58, vcc_lo
	s_add_u32 s12, s8, -1
	s_addc_u32 s13, s9, -1
	s_mov_b64 s[14:15], 0
	s_mov_b32 s19, 0
                                        ; implicit-def: $sgpr20
	s_set_inst_prefetch_distance 0x1
	s_branch .LBB1415_1039
	.p2align	6
.LBB1415_1037:                          ;   in Loop: Header=BB1415_1039 Depth=1
	global_load_u16 v59, v[57:58], off
	global_load_u16 v60, v[45:46], off
	v_add_co_u32 v45, vcc_lo, v45, 2
	v_add_co_ci_u32_e32 v46, vcc_lo, 0, v46, vcc_lo
	v_add_co_u32 v57, s0, v57, 2
	s_delay_alu instid0(VALU_DEP_1)
	v_add_co_ci_u32_e64 v58, s0, 0, v58, s0
	s_add_u32 s14, s14, 1
	s_addc_u32 s15, s15, 0
	s_and_not1_b32 s0, s20, exec_lo
	s_waitcnt vmcnt(0)
	v_cmp_ne_u16_e32 vcc_lo, v59, v60
	s_and_b32 s20, vcc_lo, exec_lo
	s_delay_alu instid0(SALU_CYCLE_1)
	s_or_b32 s20, s0, s20
.LBB1415_1038:                          ;   in Loop: Header=BB1415_1039 Depth=1
	v_dual_mov_b32 v60, s15 :: v_dual_mov_b32 v59, s14
	s_and_b32 s0, exec_lo, s20
	s_delay_alu instid0(SALU_CYCLE_1) | instskip(NEXT) | instid1(SALU_CYCLE_1)
	s_or_b32 s19, s0, s19
	s_and_not1_b32 exec_lo, exec_lo, s19
	s_cbranch_execz .LBB1415_1042
.LBB1415_1039:                          ; =>This Inner Loop Header: Depth=1
	s_or_b32 s20, s20, exec_lo
	s_cmp_eq_u64 s[12:13], s[14:15]
	s_cbranch_scc0 .LBB1415_1037
; %bb.1040:                             ;   in Loop: Header=BB1415_1039 Depth=1
	s_mov_b64 s[14:15], s[8:9]
                                        ; implicit-def: $vgpr45_vgpr46
                                        ; implicit-def: $vgpr57_vgpr58
	s_branch .LBB1415_1038
.LBB1415_1041:
	v_mov_b32_e32 v45, 0
	v_mov_b32_e32 v46, 0
	s_branch .LBB1415_1044
.LBB1415_1042:
	s_set_inst_prefetch_distance 0x2
	s_or_b32 exec_lo, exec_lo, s19
	v_cmp_gt_i64_e32 vcc_lo, s[8:9], v[59:60]
	s_mov_b32 s0, 0
	s_delay_alu instid0(SALU_CYCLE_1)
	v_mov_b32_e32 v46, s0
	v_cndmask_b32_e64 v45, 0, 1, vcc_lo
.LBB1415_1043:
	s_or_b32 exec_lo, exec_lo, s18
.LBB1415_1044:
	s_delay_alu instid0(SALU_CYCLE_1) | instskip(SKIP_2) | instid1(VALU_DEP_1)
	s_or_b32 exec_lo, exec_lo, s3
	v_add_nc_u32_e32 v57, 17, v64
	s_mov_b32 s3, exec_lo
	v_cmpx_gt_u32_e64 s6, v57
	s_cbranch_execz .LBB1415_1055
; %bb.1045:
	v_cmp_ne_u32_e32 vcc_lo, 1, v63
	s_cbranch_vccnz .LBB1415_1052
; %bb.1046:
	v_mul_lo_u32 v59, v44, s8
	v_mul_lo_u32 v60, v43, s9
	v_mad_u64_u32 v[57:58], null, v43, s8, 0
	v_mul_lo_u32 v61, v42, s8
	v_mul_lo_u32 v62, v41, s9
	v_mad_u64_u32 v[43:44], null, v41, s8, 0
	s_mov_b32 s18, exec_lo
	s_delay_alu instid0(VALU_DEP_4) | instskip(NEXT) | instid1(VALU_DEP_2)
	v_add3_u32 v58, v58, v60, v59
	v_add3_u32 v44, v44, v62, v61
	s_delay_alu instid0(VALU_DEP_2) | instskip(NEXT) | instid1(VALU_DEP_2)
	v_lshlrev_b64 v[57:58], 1, v[57:58]
	v_lshlrev_b64 v[43:44], 1, v[43:44]
	s_delay_alu instid0(VALU_DEP_2) | instskip(NEXT) | instid1(VALU_DEP_3)
	v_add_co_u32 v57, vcc_lo, s10, v57
	v_add_co_ci_u32_e32 v58, vcc_lo, s11, v58, vcc_lo
	s_delay_alu instid0(VALU_DEP_3) | instskip(NEXT) | instid1(VALU_DEP_4)
	v_add_co_u32 v59, vcc_lo, s10, v43
	v_add_co_ci_u32_e32 v60, vcc_lo, s11, v44, vcc_lo
	s_clause 0x1
	global_load_u16 v61, v[57:58], off
	global_load_u16 v62, v[59:60], off
	v_mov_b32_e32 v43, 1
	v_mov_b32_e32 v44, 0
	s_waitcnt vmcnt(0)
	v_cmpx_eq_u16_e64 v61, v62
	s_cbranch_execz .LBB1415_1054
; %bb.1047:
	v_add_co_u32 v43, vcc_lo, v59, 2
	v_add_co_ci_u32_e32 v44, vcc_lo, 0, v60, vcc_lo
	v_add_co_u32 v57, vcc_lo, v57, 2
	v_add_co_ci_u32_e32 v58, vcc_lo, 0, v58, vcc_lo
	s_add_u32 s12, s8, -1
	s_addc_u32 s13, s9, -1
	s_mov_b64 s[14:15], 0
	s_mov_b32 s19, 0
                                        ; implicit-def: $sgpr20
	s_set_inst_prefetch_distance 0x1
	s_branch .LBB1415_1050
	.p2align	6
.LBB1415_1048:                          ;   in Loop: Header=BB1415_1050 Depth=1
	global_load_u16 v59, v[57:58], off
	global_load_u16 v60, v[43:44], off
	v_add_co_u32 v43, vcc_lo, v43, 2
	v_add_co_ci_u32_e32 v44, vcc_lo, 0, v44, vcc_lo
	v_add_co_u32 v57, s0, v57, 2
	s_delay_alu instid0(VALU_DEP_1)
	v_add_co_ci_u32_e64 v58, s0, 0, v58, s0
	s_add_u32 s14, s14, 1
	s_addc_u32 s15, s15, 0
	s_and_not1_b32 s0, s20, exec_lo
	s_waitcnt vmcnt(0)
	v_cmp_ne_u16_e32 vcc_lo, v59, v60
	s_and_b32 s20, vcc_lo, exec_lo
	s_delay_alu instid0(SALU_CYCLE_1)
	s_or_b32 s20, s0, s20
.LBB1415_1049:                          ;   in Loop: Header=BB1415_1050 Depth=1
	v_dual_mov_b32 v60, s15 :: v_dual_mov_b32 v59, s14
	s_and_b32 s0, exec_lo, s20
	s_delay_alu instid0(SALU_CYCLE_1) | instskip(NEXT) | instid1(SALU_CYCLE_1)
	s_or_b32 s19, s0, s19
	s_and_not1_b32 exec_lo, exec_lo, s19
	s_cbranch_execz .LBB1415_1053
.LBB1415_1050:                          ; =>This Inner Loop Header: Depth=1
	s_or_b32 s20, s20, exec_lo
	s_cmp_eq_u64 s[12:13], s[14:15]
	s_cbranch_scc0 .LBB1415_1048
; %bb.1051:                             ;   in Loop: Header=BB1415_1050 Depth=1
	s_mov_b64 s[14:15], s[8:9]
                                        ; implicit-def: $vgpr43_vgpr44
                                        ; implicit-def: $vgpr57_vgpr58
	s_branch .LBB1415_1049
.LBB1415_1052:
	v_mov_b32_e32 v43, 0
	v_mov_b32_e32 v44, 0
	s_branch .LBB1415_1055
.LBB1415_1053:
	s_set_inst_prefetch_distance 0x2
	s_or_b32 exec_lo, exec_lo, s19
	v_cmp_gt_i64_e32 vcc_lo, s[8:9], v[59:60]
	s_mov_b32 s0, 0
	s_delay_alu instid0(SALU_CYCLE_1)
	v_mov_b32_e32 v44, s0
	v_cndmask_b32_e64 v43, 0, 1, vcc_lo
.LBB1415_1054:
	s_or_b32 exec_lo, exec_lo, s18
.LBB1415_1055:
	s_delay_alu instid0(SALU_CYCLE_1) | instskip(SKIP_2) | instid1(VALU_DEP_1)
	s_or_b32 exec_lo, exec_lo, s3
	v_add_nc_u32_e32 v57, 16, v64
	s_mov_b32 s3, exec_lo
	v_cmpx_gt_u32_e64 s6, v57
	s_cbranch_execz .LBB1415_1066
; %bb.1056:
	v_cmp_ne_u32_e32 vcc_lo, 1, v63
	s_cbranch_vccnz .LBB1415_1063
; %bb.1057:
	v_mul_lo_u32 v59, v42, s8
	v_mul_lo_u32 v60, v41, s9
	v_mad_u64_u32 v[57:58], null, v41, s8, 0
	v_mul_lo_u32 v61, v40, s8
	v_mul_lo_u32 v62, v39, s9
	v_mad_u64_u32 v[41:42], null, v39, s8, 0
	s_mov_b32 s18, exec_lo
	s_delay_alu instid0(VALU_DEP_4) | instskip(NEXT) | instid1(VALU_DEP_2)
	v_add3_u32 v58, v58, v60, v59
	v_add3_u32 v42, v42, v62, v61
	s_delay_alu instid0(VALU_DEP_2) | instskip(NEXT) | instid1(VALU_DEP_2)
	v_lshlrev_b64 v[57:58], 1, v[57:58]
	v_lshlrev_b64 v[41:42], 1, v[41:42]
	s_delay_alu instid0(VALU_DEP_2) | instskip(NEXT) | instid1(VALU_DEP_3)
	v_add_co_u32 v57, vcc_lo, s10, v57
	v_add_co_ci_u32_e32 v58, vcc_lo, s11, v58, vcc_lo
	s_delay_alu instid0(VALU_DEP_3) | instskip(NEXT) | instid1(VALU_DEP_4)
	v_add_co_u32 v59, vcc_lo, s10, v41
	v_add_co_ci_u32_e32 v60, vcc_lo, s11, v42, vcc_lo
	s_clause 0x1
	global_load_u16 v61, v[57:58], off
	global_load_u16 v62, v[59:60], off
	v_mov_b32_e32 v41, 1
	v_mov_b32_e32 v42, 0
	s_waitcnt vmcnt(0)
	v_cmpx_eq_u16_e64 v61, v62
	s_cbranch_execz .LBB1415_1065
; %bb.1058:
	v_add_co_u32 v41, vcc_lo, v59, 2
	v_add_co_ci_u32_e32 v42, vcc_lo, 0, v60, vcc_lo
	v_add_co_u32 v57, vcc_lo, v57, 2
	v_add_co_ci_u32_e32 v58, vcc_lo, 0, v58, vcc_lo
	s_add_u32 s12, s8, -1
	s_addc_u32 s13, s9, -1
	s_mov_b64 s[14:15], 0
	s_mov_b32 s19, 0
                                        ; implicit-def: $sgpr20
	s_set_inst_prefetch_distance 0x1
	s_branch .LBB1415_1061
	.p2align	6
.LBB1415_1059:                          ;   in Loop: Header=BB1415_1061 Depth=1
	global_load_u16 v59, v[57:58], off
	global_load_u16 v60, v[41:42], off
	v_add_co_u32 v41, vcc_lo, v41, 2
	v_add_co_ci_u32_e32 v42, vcc_lo, 0, v42, vcc_lo
	v_add_co_u32 v57, s0, v57, 2
	s_delay_alu instid0(VALU_DEP_1)
	v_add_co_ci_u32_e64 v58, s0, 0, v58, s0
	s_add_u32 s14, s14, 1
	s_addc_u32 s15, s15, 0
	s_and_not1_b32 s0, s20, exec_lo
	s_waitcnt vmcnt(0)
	v_cmp_ne_u16_e32 vcc_lo, v59, v60
	s_and_b32 s20, vcc_lo, exec_lo
	s_delay_alu instid0(SALU_CYCLE_1)
	s_or_b32 s20, s0, s20
.LBB1415_1060:                          ;   in Loop: Header=BB1415_1061 Depth=1
	v_dual_mov_b32 v60, s15 :: v_dual_mov_b32 v59, s14
	s_and_b32 s0, exec_lo, s20
	s_delay_alu instid0(SALU_CYCLE_1) | instskip(NEXT) | instid1(SALU_CYCLE_1)
	s_or_b32 s19, s0, s19
	s_and_not1_b32 exec_lo, exec_lo, s19
	s_cbranch_execz .LBB1415_1064
.LBB1415_1061:                          ; =>This Inner Loop Header: Depth=1
	s_or_b32 s20, s20, exec_lo
	s_cmp_eq_u64 s[12:13], s[14:15]
	s_cbranch_scc0 .LBB1415_1059
; %bb.1062:                             ;   in Loop: Header=BB1415_1061 Depth=1
	s_mov_b64 s[14:15], s[8:9]
                                        ; implicit-def: $vgpr41_vgpr42
                                        ; implicit-def: $vgpr57_vgpr58
	s_branch .LBB1415_1060
.LBB1415_1063:
	v_mov_b32_e32 v41, 0
	v_mov_b32_e32 v42, 0
	s_branch .LBB1415_1066
.LBB1415_1064:
	s_set_inst_prefetch_distance 0x2
	s_or_b32 exec_lo, exec_lo, s19
	v_cmp_gt_i64_e32 vcc_lo, s[8:9], v[59:60]
	s_mov_b32 s0, 0
	s_delay_alu instid0(SALU_CYCLE_1)
	v_mov_b32_e32 v42, s0
	v_cndmask_b32_e64 v41, 0, 1, vcc_lo
.LBB1415_1065:
	s_or_b32 exec_lo, exec_lo, s18
.LBB1415_1066:
	s_delay_alu instid0(SALU_CYCLE_1) | instskip(SKIP_2) | instid1(VALU_DEP_1)
	s_or_b32 exec_lo, exec_lo, s3
	v_add_nc_u32_e32 v57, 15, v64
	s_mov_b32 s3, exec_lo
	v_cmpx_gt_u32_e64 s6, v57
	s_cbranch_execz .LBB1415_1077
; %bb.1067:
	v_cmp_ne_u32_e32 vcc_lo, 1, v63
	s_cbranch_vccnz .LBB1415_1074
; %bb.1068:
	v_mul_lo_u32 v59, v40, s8
	v_mul_lo_u32 v60, v39, s9
	v_mad_u64_u32 v[57:58], null, v39, s8, 0
	v_mul_lo_u32 v61, v38, s8
	v_mul_lo_u32 v62, v37, s9
	v_mad_u64_u32 v[39:40], null, v37, s8, 0
	s_mov_b32 s18, exec_lo
	s_delay_alu instid0(VALU_DEP_4) | instskip(NEXT) | instid1(VALU_DEP_2)
	v_add3_u32 v58, v58, v60, v59
	v_add3_u32 v40, v40, v62, v61
	s_delay_alu instid0(VALU_DEP_2) | instskip(NEXT) | instid1(VALU_DEP_2)
	v_lshlrev_b64 v[57:58], 1, v[57:58]
	v_lshlrev_b64 v[39:40], 1, v[39:40]
	s_delay_alu instid0(VALU_DEP_2) | instskip(NEXT) | instid1(VALU_DEP_3)
	v_add_co_u32 v57, vcc_lo, s10, v57
	v_add_co_ci_u32_e32 v58, vcc_lo, s11, v58, vcc_lo
	s_delay_alu instid0(VALU_DEP_3) | instskip(NEXT) | instid1(VALU_DEP_4)
	v_add_co_u32 v59, vcc_lo, s10, v39
	v_add_co_ci_u32_e32 v60, vcc_lo, s11, v40, vcc_lo
	s_clause 0x1
	global_load_u16 v61, v[57:58], off
	global_load_u16 v62, v[59:60], off
	v_mov_b32_e32 v39, 1
	v_mov_b32_e32 v40, 0
	s_waitcnt vmcnt(0)
	v_cmpx_eq_u16_e64 v61, v62
	s_cbranch_execz .LBB1415_1076
; %bb.1069:
	v_add_co_u32 v39, vcc_lo, v59, 2
	v_add_co_ci_u32_e32 v40, vcc_lo, 0, v60, vcc_lo
	v_add_co_u32 v57, vcc_lo, v57, 2
	v_add_co_ci_u32_e32 v58, vcc_lo, 0, v58, vcc_lo
	s_add_u32 s12, s8, -1
	s_addc_u32 s13, s9, -1
	s_mov_b64 s[14:15], 0
	s_mov_b32 s19, 0
                                        ; implicit-def: $sgpr20
	s_set_inst_prefetch_distance 0x1
	s_branch .LBB1415_1072
	.p2align	6
.LBB1415_1070:                          ;   in Loop: Header=BB1415_1072 Depth=1
	global_load_u16 v59, v[57:58], off
	global_load_u16 v60, v[39:40], off
	v_add_co_u32 v39, vcc_lo, v39, 2
	v_add_co_ci_u32_e32 v40, vcc_lo, 0, v40, vcc_lo
	v_add_co_u32 v57, s0, v57, 2
	s_delay_alu instid0(VALU_DEP_1)
	v_add_co_ci_u32_e64 v58, s0, 0, v58, s0
	s_add_u32 s14, s14, 1
	s_addc_u32 s15, s15, 0
	s_and_not1_b32 s0, s20, exec_lo
	s_waitcnt vmcnt(0)
	v_cmp_ne_u16_e32 vcc_lo, v59, v60
	s_and_b32 s20, vcc_lo, exec_lo
	s_delay_alu instid0(SALU_CYCLE_1)
	s_or_b32 s20, s0, s20
.LBB1415_1071:                          ;   in Loop: Header=BB1415_1072 Depth=1
	v_dual_mov_b32 v60, s15 :: v_dual_mov_b32 v59, s14
	s_and_b32 s0, exec_lo, s20
	s_delay_alu instid0(SALU_CYCLE_1) | instskip(NEXT) | instid1(SALU_CYCLE_1)
	s_or_b32 s19, s0, s19
	s_and_not1_b32 exec_lo, exec_lo, s19
	s_cbranch_execz .LBB1415_1075
.LBB1415_1072:                          ; =>This Inner Loop Header: Depth=1
	s_or_b32 s20, s20, exec_lo
	s_cmp_eq_u64 s[12:13], s[14:15]
	s_cbranch_scc0 .LBB1415_1070
; %bb.1073:                             ;   in Loop: Header=BB1415_1072 Depth=1
	s_mov_b64 s[14:15], s[8:9]
                                        ; implicit-def: $vgpr39_vgpr40
                                        ; implicit-def: $vgpr57_vgpr58
	s_branch .LBB1415_1071
.LBB1415_1074:
	v_mov_b32_e32 v39, 0
	v_mov_b32_e32 v40, 0
	s_branch .LBB1415_1077
.LBB1415_1075:
	s_set_inst_prefetch_distance 0x2
	s_or_b32 exec_lo, exec_lo, s19
	v_cmp_gt_i64_e32 vcc_lo, s[8:9], v[59:60]
	s_mov_b32 s0, 0
	s_delay_alu instid0(SALU_CYCLE_1)
	v_mov_b32_e32 v40, s0
	v_cndmask_b32_e64 v39, 0, 1, vcc_lo
.LBB1415_1076:
	s_or_b32 exec_lo, exec_lo, s18
.LBB1415_1077:
	s_delay_alu instid0(SALU_CYCLE_1) | instskip(SKIP_2) | instid1(VALU_DEP_1)
	s_or_b32 exec_lo, exec_lo, s3
	v_add_nc_u32_e32 v57, 14, v64
	s_mov_b32 s3, exec_lo
	v_cmpx_gt_u32_e64 s6, v57
	s_cbranch_execz .LBB1415_1088
; %bb.1078:
	v_cmp_ne_u32_e32 vcc_lo, 1, v63
	s_cbranch_vccnz .LBB1415_1085
; %bb.1079:
	v_mul_lo_u32 v59, v38, s8
	v_mul_lo_u32 v60, v37, s9
	v_mad_u64_u32 v[57:58], null, v37, s8, 0
	v_mul_lo_u32 v61, v36, s8
	v_mul_lo_u32 v62, v35, s9
	v_mad_u64_u32 v[37:38], null, v35, s8, 0
	s_mov_b32 s18, exec_lo
	s_delay_alu instid0(VALU_DEP_4) | instskip(NEXT) | instid1(VALU_DEP_2)
	v_add3_u32 v58, v58, v60, v59
	v_add3_u32 v38, v38, v62, v61
	s_delay_alu instid0(VALU_DEP_2) | instskip(NEXT) | instid1(VALU_DEP_2)
	v_lshlrev_b64 v[57:58], 1, v[57:58]
	v_lshlrev_b64 v[37:38], 1, v[37:38]
	s_delay_alu instid0(VALU_DEP_2) | instskip(NEXT) | instid1(VALU_DEP_3)
	v_add_co_u32 v57, vcc_lo, s10, v57
	v_add_co_ci_u32_e32 v58, vcc_lo, s11, v58, vcc_lo
	s_delay_alu instid0(VALU_DEP_3) | instskip(NEXT) | instid1(VALU_DEP_4)
	v_add_co_u32 v59, vcc_lo, s10, v37
	v_add_co_ci_u32_e32 v60, vcc_lo, s11, v38, vcc_lo
	s_clause 0x1
	global_load_u16 v61, v[57:58], off
	global_load_u16 v62, v[59:60], off
	v_mov_b32_e32 v37, 1
	v_mov_b32_e32 v38, 0
	s_waitcnt vmcnt(0)
	v_cmpx_eq_u16_e64 v61, v62
	s_cbranch_execz .LBB1415_1087
; %bb.1080:
	v_add_co_u32 v37, vcc_lo, v59, 2
	v_add_co_ci_u32_e32 v38, vcc_lo, 0, v60, vcc_lo
	v_add_co_u32 v57, vcc_lo, v57, 2
	v_add_co_ci_u32_e32 v58, vcc_lo, 0, v58, vcc_lo
	s_add_u32 s12, s8, -1
	s_addc_u32 s13, s9, -1
	s_mov_b64 s[14:15], 0
	s_mov_b32 s19, 0
                                        ; implicit-def: $sgpr20
	s_set_inst_prefetch_distance 0x1
	s_branch .LBB1415_1083
	.p2align	6
.LBB1415_1081:                          ;   in Loop: Header=BB1415_1083 Depth=1
	global_load_u16 v59, v[57:58], off
	global_load_u16 v60, v[37:38], off
	v_add_co_u32 v37, vcc_lo, v37, 2
	v_add_co_ci_u32_e32 v38, vcc_lo, 0, v38, vcc_lo
	v_add_co_u32 v57, s0, v57, 2
	s_delay_alu instid0(VALU_DEP_1)
	v_add_co_ci_u32_e64 v58, s0, 0, v58, s0
	s_add_u32 s14, s14, 1
	s_addc_u32 s15, s15, 0
	s_and_not1_b32 s0, s20, exec_lo
	s_waitcnt vmcnt(0)
	v_cmp_ne_u16_e32 vcc_lo, v59, v60
	s_and_b32 s20, vcc_lo, exec_lo
	s_delay_alu instid0(SALU_CYCLE_1)
	s_or_b32 s20, s0, s20
.LBB1415_1082:                          ;   in Loop: Header=BB1415_1083 Depth=1
	v_dual_mov_b32 v60, s15 :: v_dual_mov_b32 v59, s14
	s_and_b32 s0, exec_lo, s20
	s_delay_alu instid0(SALU_CYCLE_1) | instskip(NEXT) | instid1(SALU_CYCLE_1)
	s_or_b32 s19, s0, s19
	s_and_not1_b32 exec_lo, exec_lo, s19
	s_cbranch_execz .LBB1415_1086
.LBB1415_1083:                          ; =>This Inner Loop Header: Depth=1
	s_or_b32 s20, s20, exec_lo
	s_cmp_eq_u64 s[12:13], s[14:15]
	s_cbranch_scc0 .LBB1415_1081
; %bb.1084:                             ;   in Loop: Header=BB1415_1083 Depth=1
	s_mov_b64 s[14:15], s[8:9]
                                        ; implicit-def: $vgpr37_vgpr38
                                        ; implicit-def: $vgpr57_vgpr58
	s_branch .LBB1415_1082
.LBB1415_1085:
	v_mov_b32_e32 v37, 0
	v_mov_b32_e32 v38, 0
	s_branch .LBB1415_1088
.LBB1415_1086:
	s_set_inst_prefetch_distance 0x2
	s_or_b32 exec_lo, exec_lo, s19
	v_cmp_gt_i64_e32 vcc_lo, s[8:9], v[59:60]
	s_mov_b32 s0, 0
	s_delay_alu instid0(SALU_CYCLE_1)
	v_mov_b32_e32 v38, s0
	v_cndmask_b32_e64 v37, 0, 1, vcc_lo
.LBB1415_1087:
	s_or_b32 exec_lo, exec_lo, s18
.LBB1415_1088:
	s_delay_alu instid0(SALU_CYCLE_1) | instskip(SKIP_2) | instid1(VALU_DEP_1)
	s_or_b32 exec_lo, exec_lo, s3
	v_add_nc_u32_e32 v57, 13, v64
	s_mov_b32 s3, exec_lo
	v_cmpx_gt_u32_e64 s6, v57
	s_cbranch_execz .LBB1415_1099
; %bb.1089:
	v_cmp_ne_u32_e32 vcc_lo, 1, v63
	s_cbranch_vccnz .LBB1415_1096
; %bb.1090:
	v_mul_lo_u32 v59, v36, s8
	v_mul_lo_u32 v60, v35, s9
	v_mad_u64_u32 v[57:58], null, v35, s8, 0
	v_mul_lo_u32 v61, v34, s8
	v_mul_lo_u32 v62, v33, s9
	v_mad_u64_u32 v[35:36], null, v33, s8, 0
	s_mov_b32 s18, exec_lo
	s_delay_alu instid0(VALU_DEP_4) | instskip(NEXT) | instid1(VALU_DEP_2)
	v_add3_u32 v58, v58, v60, v59
	v_add3_u32 v36, v36, v62, v61
	s_delay_alu instid0(VALU_DEP_2) | instskip(NEXT) | instid1(VALU_DEP_2)
	v_lshlrev_b64 v[57:58], 1, v[57:58]
	v_lshlrev_b64 v[35:36], 1, v[35:36]
	s_delay_alu instid0(VALU_DEP_2) | instskip(NEXT) | instid1(VALU_DEP_3)
	v_add_co_u32 v57, vcc_lo, s10, v57
	v_add_co_ci_u32_e32 v58, vcc_lo, s11, v58, vcc_lo
	s_delay_alu instid0(VALU_DEP_3) | instskip(NEXT) | instid1(VALU_DEP_4)
	v_add_co_u32 v59, vcc_lo, s10, v35
	v_add_co_ci_u32_e32 v60, vcc_lo, s11, v36, vcc_lo
	s_clause 0x1
	global_load_u16 v61, v[57:58], off
	global_load_u16 v62, v[59:60], off
	v_mov_b32_e32 v35, 1
	v_mov_b32_e32 v36, 0
	s_waitcnt vmcnt(0)
	v_cmpx_eq_u16_e64 v61, v62
	s_cbranch_execz .LBB1415_1098
; %bb.1091:
	v_add_co_u32 v35, vcc_lo, v59, 2
	v_add_co_ci_u32_e32 v36, vcc_lo, 0, v60, vcc_lo
	v_add_co_u32 v57, vcc_lo, v57, 2
	v_add_co_ci_u32_e32 v58, vcc_lo, 0, v58, vcc_lo
	s_add_u32 s12, s8, -1
	s_addc_u32 s13, s9, -1
	s_mov_b64 s[14:15], 0
	s_mov_b32 s19, 0
                                        ; implicit-def: $sgpr20
	s_set_inst_prefetch_distance 0x1
	s_branch .LBB1415_1094
	.p2align	6
.LBB1415_1092:                          ;   in Loop: Header=BB1415_1094 Depth=1
	global_load_u16 v59, v[57:58], off
	global_load_u16 v60, v[35:36], off
	v_add_co_u32 v35, vcc_lo, v35, 2
	v_add_co_ci_u32_e32 v36, vcc_lo, 0, v36, vcc_lo
	v_add_co_u32 v57, s0, v57, 2
	s_delay_alu instid0(VALU_DEP_1)
	v_add_co_ci_u32_e64 v58, s0, 0, v58, s0
	s_add_u32 s14, s14, 1
	s_addc_u32 s15, s15, 0
	s_and_not1_b32 s0, s20, exec_lo
	s_waitcnt vmcnt(0)
	v_cmp_ne_u16_e32 vcc_lo, v59, v60
	s_and_b32 s20, vcc_lo, exec_lo
	s_delay_alu instid0(SALU_CYCLE_1)
	s_or_b32 s20, s0, s20
.LBB1415_1093:                          ;   in Loop: Header=BB1415_1094 Depth=1
	v_dual_mov_b32 v60, s15 :: v_dual_mov_b32 v59, s14
	s_and_b32 s0, exec_lo, s20
	s_delay_alu instid0(SALU_CYCLE_1) | instskip(NEXT) | instid1(SALU_CYCLE_1)
	s_or_b32 s19, s0, s19
	s_and_not1_b32 exec_lo, exec_lo, s19
	s_cbranch_execz .LBB1415_1097
.LBB1415_1094:                          ; =>This Inner Loop Header: Depth=1
	s_or_b32 s20, s20, exec_lo
	s_cmp_eq_u64 s[12:13], s[14:15]
	s_cbranch_scc0 .LBB1415_1092
; %bb.1095:                             ;   in Loop: Header=BB1415_1094 Depth=1
	s_mov_b64 s[14:15], s[8:9]
                                        ; implicit-def: $vgpr35_vgpr36
                                        ; implicit-def: $vgpr57_vgpr58
	s_branch .LBB1415_1093
.LBB1415_1096:
	v_mov_b32_e32 v35, 0
	v_mov_b32_e32 v36, 0
	s_branch .LBB1415_1099
.LBB1415_1097:
	s_set_inst_prefetch_distance 0x2
	s_or_b32 exec_lo, exec_lo, s19
	v_cmp_gt_i64_e32 vcc_lo, s[8:9], v[59:60]
	s_mov_b32 s0, 0
	s_delay_alu instid0(SALU_CYCLE_1)
	v_mov_b32_e32 v36, s0
	v_cndmask_b32_e64 v35, 0, 1, vcc_lo
.LBB1415_1098:
	s_or_b32 exec_lo, exec_lo, s18
.LBB1415_1099:
	s_delay_alu instid0(SALU_CYCLE_1) | instskip(SKIP_2) | instid1(VALU_DEP_1)
	s_or_b32 exec_lo, exec_lo, s3
	v_add_nc_u32_e32 v57, 12, v64
	s_mov_b32 s3, exec_lo
	v_cmpx_gt_u32_e64 s6, v57
	s_cbranch_execz .LBB1415_1110
; %bb.1100:
	v_cmp_ne_u32_e32 vcc_lo, 1, v63
	s_cbranch_vccnz .LBB1415_1107
; %bb.1101:
	v_mul_lo_u32 v59, v34, s8
	v_mul_lo_u32 v60, v33, s9
	v_mad_u64_u32 v[57:58], null, v33, s8, 0
	v_mul_lo_u32 v61, v32, s8
	v_mul_lo_u32 v62, v31, s9
	v_mad_u64_u32 v[33:34], null, v31, s8, 0
	s_mov_b32 s18, exec_lo
	s_delay_alu instid0(VALU_DEP_4) | instskip(NEXT) | instid1(VALU_DEP_2)
	v_add3_u32 v58, v58, v60, v59
	v_add3_u32 v34, v34, v62, v61
	s_delay_alu instid0(VALU_DEP_2) | instskip(NEXT) | instid1(VALU_DEP_2)
	v_lshlrev_b64 v[57:58], 1, v[57:58]
	v_lshlrev_b64 v[33:34], 1, v[33:34]
	s_delay_alu instid0(VALU_DEP_2) | instskip(NEXT) | instid1(VALU_DEP_3)
	v_add_co_u32 v57, vcc_lo, s10, v57
	v_add_co_ci_u32_e32 v58, vcc_lo, s11, v58, vcc_lo
	s_delay_alu instid0(VALU_DEP_3) | instskip(NEXT) | instid1(VALU_DEP_4)
	v_add_co_u32 v59, vcc_lo, s10, v33
	v_add_co_ci_u32_e32 v60, vcc_lo, s11, v34, vcc_lo
	s_clause 0x1
	global_load_u16 v61, v[57:58], off
	global_load_u16 v62, v[59:60], off
	v_mov_b32_e32 v33, 1
	v_mov_b32_e32 v34, 0
	s_waitcnt vmcnt(0)
	v_cmpx_eq_u16_e64 v61, v62
	s_cbranch_execz .LBB1415_1109
; %bb.1102:
	v_add_co_u32 v33, vcc_lo, v59, 2
	v_add_co_ci_u32_e32 v34, vcc_lo, 0, v60, vcc_lo
	v_add_co_u32 v57, vcc_lo, v57, 2
	v_add_co_ci_u32_e32 v58, vcc_lo, 0, v58, vcc_lo
	s_add_u32 s12, s8, -1
	s_addc_u32 s13, s9, -1
	s_mov_b64 s[14:15], 0
	s_mov_b32 s19, 0
                                        ; implicit-def: $sgpr20
	s_set_inst_prefetch_distance 0x1
	s_branch .LBB1415_1105
	.p2align	6
.LBB1415_1103:                          ;   in Loop: Header=BB1415_1105 Depth=1
	global_load_u16 v59, v[57:58], off
	global_load_u16 v60, v[33:34], off
	v_add_co_u32 v33, vcc_lo, v33, 2
	v_add_co_ci_u32_e32 v34, vcc_lo, 0, v34, vcc_lo
	v_add_co_u32 v57, s0, v57, 2
	s_delay_alu instid0(VALU_DEP_1)
	v_add_co_ci_u32_e64 v58, s0, 0, v58, s0
	s_add_u32 s14, s14, 1
	s_addc_u32 s15, s15, 0
	s_and_not1_b32 s0, s20, exec_lo
	s_waitcnt vmcnt(0)
	v_cmp_ne_u16_e32 vcc_lo, v59, v60
	s_and_b32 s20, vcc_lo, exec_lo
	s_delay_alu instid0(SALU_CYCLE_1)
	s_or_b32 s20, s0, s20
.LBB1415_1104:                          ;   in Loop: Header=BB1415_1105 Depth=1
	v_dual_mov_b32 v60, s15 :: v_dual_mov_b32 v59, s14
	s_and_b32 s0, exec_lo, s20
	s_delay_alu instid0(SALU_CYCLE_1) | instskip(NEXT) | instid1(SALU_CYCLE_1)
	s_or_b32 s19, s0, s19
	s_and_not1_b32 exec_lo, exec_lo, s19
	s_cbranch_execz .LBB1415_1108
.LBB1415_1105:                          ; =>This Inner Loop Header: Depth=1
	s_or_b32 s20, s20, exec_lo
	s_cmp_eq_u64 s[12:13], s[14:15]
	s_cbranch_scc0 .LBB1415_1103
; %bb.1106:                             ;   in Loop: Header=BB1415_1105 Depth=1
	s_mov_b64 s[14:15], s[8:9]
                                        ; implicit-def: $vgpr33_vgpr34
                                        ; implicit-def: $vgpr57_vgpr58
	s_branch .LBB1415_1104
.LBB1415_1107:
	v_mov_b32_e32 v33, 0
	v_mov_b32_e32 v34, 0
	s_branch .LBB1415_1110
.LBB1415_1108:
	s_set_inst_prefetch_distance 0x2
	s_or_b32 exec_lo, exec_lo, s19
	v_cmp_gt_i64_e32 vcc_lo, s[8:9], v[59:60]
	s_mov_b32 s0, 0
	s_delay_alu instid0(SALU_CYCLE_1)
	v_mov_b32_e32 v34, s0
	v_cndmask_b32_e64 v33, 0, 1, vcc_lo
.LBB1415_1109:
	s_or_b32 exec_lo, exec_lo, s18
.LBB1415_1110:
	s_delay_alu instid0(SALU_CYCLE_1) | instskip(SKIP_2) | instid1(VALU_DEP_1)
	s_or_b32 exec_lo, exec_lo, s3
	v_add_nc_u32_e32 v57, 11, v64
	s_mov_b32 s3, exec_lo
	v_cmpx_gt_u32_e64 s6, v57
	s_cbranch_execz .LBB1415_1121
; %bb.1111:
	v_cmp_ne_u32_e32 vcc_lo, 1, v63
	s_cbranch_vccnz .LBB1415_1118
; %bb.1112:
	v_mul_lo_u32 v59, v32, s8
	v_mul_lo_u32 v60, v31, s9
	v_mad_u64_u32 v[57:58], null, v31, s8, 0
	v_mul_lo_u32 v61, v30, s8
	v_mul_lo_u32 v62, v29, s9
	v_mad_u64_u32 v[31:32], null, v29, s8, 0
	s_mov_b32 s18, exec_lo
	s_delay_alu instid0(VALU_DEP_4) | instskip(NEXT) | instid1(VALU_DEP_2)
	v_add3_u32 v58, v58, v60, v59
	v_add3_u32 v32, v32, v62, v61
	s_delay_alu instid0(VALU_DEP_2) | instskip(NEXT) | instid1(VALU_DEP_2)
	v_lshlrev_b64 v[57:58], 1, v[57:58]
	v_lshlrev_b64 v[31:32], 1, v[31:32]
	s_delay_alu instid0(VALU_DEP_2) | instskip(NEXT) | instid1(VALU_DEP_3)
	v_add_co_u32 v57, vcc_lo, s10, v57
	v_add_co_ci_u32_e32 v58, vcc_lo, s11, v58, vcc_lo
	s_delay_alu instid0(VALU_DEP_3) | instskip(NEXT) | instid1(VALU_DEP_4)
	v_add_co_u32 v59, vcc_lo, s10, v31
	v_add_co_ci_u32_e32 v60, vcc_lo, s11, v32, vcc_lo
	s_clause 0x1
	global_load_u16 v61, v[57:58], off
	global_load_u16 v62, v[59:60], off
	v_mov_b32_e32 v31, 1
	v_mov_b32_e32 v32, 0
	s_waitcnt vmcnt(0)
	v_cmpx_eq_u16_e64 v61, v62
	s_cbranch_execz .LBB1415_1120
; %bb.1113:
	v_add_co_u32 v31, vcc_lo, v59, 2
	v_add_co_ci_u32_e32 v32, vcc_lo, 0, v60, vcc_lo
	v_add_co_u32 v57, vcc_lo, v57, 2
	v_add_co_ci_u32_e32 v58, vcc_lo, 0, v58, vcc_lo
	s_add_u32 s12, s8, -1
	s_addc_u32 s13, s9, -1
	s_mov_b64 s[14:15], 0
	s_mov_b32 s19, 0
                                        ; implicit-def: $sgpr20
	s_set_inst_prefetch_distance 0x1
	s_branch .LBB1415_1116
	.p2align	6
.LBB1415_1114:                          ;   in Loop: Header=BB1415_1116 Depth=1
	global_load_u16 v59, v[57:58], off
	global_load_u16 v60, v[31:32], off
	v_add_co_u32 v31, vcc_lo, v31, 2
	v_add_co_ci_u32_e32 v32, vcc_lo, 0, v32, vcc_lo
	v_add_co_u32 v57, s0, v57, 2
	s_delay_alu instid0(VALU_DEP_1)
	v_add_co_ci_u32_e64 v58, s0, 0, v58, s0
	s_add_u32 s14, s14, 1
	s_addc_u32 s15, s15, 0
	s_and_not1_b32 s0, s20, exec_lo
	s_waitcnt vmcnt(0)
	v_cmp_ne_u16_e32 vcc_lo, v59, v60
	s_and_b32 s20, vcc_lo, exec_lo
	s_delay_alu instid0(SALU_CYCLE_1)
	s_or_b32 s20, s0, s20
.LBB1415_1115:                          ;   in Loop: Header=BB1415_1116 Depth=1
	v_dual_mov_b32 v60, s15 :: v_dual_mov_b32 v59, s14
	s_and_b32 s0, exec_lo, s20
	s_delay_alu instid0(SALU_CYCLE_1) | instskip(NEXT) | instid1(SALU_CYCLE_1)
	s_or_b32 s19, s0, s19
	s_and_not1_b32 exec_lo, exec_lo, s19
	s_cbranch_execz .LBB1415_1119
.LBB1415_1116:                          ; =>This Inner Loop Header: Depth=1
	s_or_b32 s20, s20, exec_lo
	s_cmp_eq_u64 s[12:13], s[14:15]
	s_cbranch_scc0 .LBB1415_1114
; %bb.1117:                             ;   in Loop: Header=BB1415_1116 Depth=1
	s_mov_b64 s[14:15], s[8:9]
                                        ; implicit-def: $vgpr31_vgpr32
                                        ; implicit-def: $vgpr57_vgpr58
	s_branch .LBB1415_1115
.LBB1415_1118:
	v_mov_b32_e32 v31, 0
	v_mov_b32_e32 v32, 0
	s_branch .LBB1415_1121
.LBB1415_1119:
	s_set_inst_prefetch_distance 0x2
	s_or_b32 exec_lo, exec_lo, s19
	v_cmp_gt_i64_e32 vcc_lo, s[8:9], v[59:60]
	s_mov_b32 s0, 0
	s_delay_alu instid0(SALU_CYCLE_1)
	v_mov_b32_e32 v32, s0
	v_cndmask_b32_e64 v31, 0, 1, vcc_lo
.LBB1415_1120:
	s_or_b32 exec_lo, exec_lo, s18
.LBB1415_1121:
	s_delay_alu instid0(SALU_CYCLE_1) | instskip(SKIP_2) | instid1(VALU_DEP_1)
	s_or_b32 exec_lo, exec_lo, s3
	v_add_nc_u32_e32 v57, 10, v64
	s_mov_b32 s3, exec_lo
	v_cmpx_gt_u32_e64 s6, v57
	s_cbranch_execz .LBB1415_1132
; %bb.1122:
	v_cmp_ne_u32_e32 vcc_lo, 1, v63
	s_cbranch_vccnz .LBB1415_1129
; %bb.1123:
	v_mul_lo_u32 v59, v30, s8
	v_mul_lo_u32 v60, v29, s9
	v_mad_u64_u32 v[57:58], null, v29, s8, 0
	v_mul_lo_u32 v61, v28, s8
	v_mul_lo_u32 v62, v27, s9
	v_mad_u64_u32 v[29:30], null, v27, s8, 0
	s_mov_b32 s18, exec_lo
	s_delay_alu instid0(VALU_DEP_4) | instskip(NEXT) | instid1(VALU_DEP_2)
	v_add3_u32 v58, v58, v60, v59
	v_add3_u32 v30, v30, v62, v61
	s_delay_alu instid0(VALU_DEP_2) | instskip(NEXT) | instid1(VALU_DEP_2)
	v_lshlrev_b64 v[57:58], 1, v[57:58]
	v_lshlrev_b64 v[29:30], 1, v[29:30]
	s_delay_alu instid0(VALU_DEP_2) | instskip(NEXT) | instid1(VALU_DEP_3)
	v_add_co_u32 v57, vcc_lo, s10, v57
	v_add_co_ci_u32_e32 v58, vcc_lo, s11, v58, vcc_lo
	s_delay_alu instid0(VALU_DEP_3) | instskip(NEXT) | instid1(VALU_DEP_4)
	v_add_co_u32 v59, vcc_lo, s10, v29
	v_add_co_ci_u32_e32 v60, vcc_lo, s11, v30, vcc_lo
	s_clause 0x1
	global_load_u16 v61, v[57:58], off
	global_load_u16 v62, v[59:60], off
	v_mov_b32_e32 v29, 1
	v_mov_b32_e32 v30, 0
	s_waitcnt vmcnt(0)
	v_cmpx_eq_u16_e64 v61, v62
	s_cbranch_execz .LBB1415_1131
; %bb.1124:
	v_add_co_u32 v29, vcc_lo, v59, 2
	v_add_co_ci_u32_e32 v30, vcc_lo, 0, v60, vcc_lo
	v_add_co_u32 v57, vcc_lo, v57, 2
	v_add_co_ci_u32_e32 v58, vcc_lo, 0, v58, vcc_lo
	s_add_u32 s12, s8, -1
	s_addc_u32 s13, s9, -1
	s_mov_b64 s[14:15], 0
	s_mov_b32 s19, 0
                                        ; implicit-def: $sgpr20
	s_set_inst_prefetch_distance 0x1
	s_branch .LBB1415_1127
	.p2align	6
.LBB1415_1125:                          ;   in Loop: Header=BB1415_1127 Depth=1
	global_load_u16 v59, v[57:58], off
	global_load_u16 v60, v[29:30], off
	v_add_co_u32 v29, vcc_lo, v29, 2
	v_add_co_ci_u32_e32 v30, vcc_lo, 0, v30, vcc_lo
	v_add_co_u32 v57, s0, v57, 2
	s_delay_alu instid0(VALU_DEP_1)
	v_add_co_ci_u32_e64 v58, s0, 0, v58, s0
	s_add_u32 s14, s14, 1
	s_addc_u32 s15, s15, 0
	s_and_not1_b32 s0, s20, exec_lo
	s_waitcnt vmcnt(0)
	v_cmp_ne_u16_e32 vcc_lo, v59, v60
	s_and_b32 s20, vcc_lo, exec_lo
	s_delay_alu instid0(SALU_CYCLE_1)
	s_or_b32 s20, s0, s20
.LBB1415_1126:                          ;   in Loop: Header=BB1415_1127 Depth=1
	v_dual_mov_b32 v60, s15 :: v_dual_mov_b32 v59, s14
	s_and_b32 s0, exec_lo, s20
	s_delay_alu instid0(SALU_CYCLE_1) | instskip(NEXT) | instid1(SALU_CYCLE_1)
	s_or_b32 s19, s0, s19
	s_and_not1_b32 exec_lo, exec_lo, s19
	s_cbranch_execz .LBB1415_1130
.LBB1415_1127:                          ; =>This Inner Loop Header: Depth=1
	s_or_b32 s20, s20, exec_lo
	s_cmp_eq_u64 s[12:13], s[14:15]
	s_cbranch_scc0 .LBB1415_1125
; %bb.1128:                             ;   in Loop: Header=BB1415_1127 Depth=1
	s_mov_b64 s[14:15], s[8:9]
                                        ; implicit-def: $vgpr29_vgpr30
                                        ; implicit-def: $vgpr57_vgpr58
	s_branch .LBB1415_1126
.LBB1415_1129:
	v_mov_b32_e32 v29, 0
	v_mov_b32_e32 v30, 0
	s_branch .LBB1415_1132
.LBB1415_1130:
	s_set_inst_prefetch_distance 0x2
	s_or_b32 exec_lo, exec_lo, s19
	v_cmp_gt_i64_e32 vcc_lo, s[8:9], v[59:60]
	s_mov_b32 s0, 0
	s_delay_alu instid0(SALU_CYCLE_1)
	v_mov_b32_e32 v30, s0
	v_cndmask_b32_e64 v29, 0, 1, vcc_lo
.LBB1415_1131:
	s_or_b32 exec_lo, exec_lo, s18
.LBB1415_1132:
	s_delay_alu instid0(SALU_CYCLE_1) | instskip(SKIP_2) | instid1(VALU_DEP_1)
	s_or_b32 exec_lo, exec_lo, s3
	v_add_nc_u32_e32 v57, 9, v64
	s_mov_b32 s3, exec_lo
	v_cmpx_gt_u32_e64 s6, v57
	s_cbranch_execz .LBB1415_1143
; %bb.1133:
	v_cmp_ne_u32_e32 vcc_lo, 1, v63
	s_cbranch_vccnz .LBB1415_1140
; %bb.1134:
	v_mul_lo_u32 v59, v28, s8
	v_mul_lo_u32 v60, v27, s9
	v_mad_u64_u32 v[57:58], null, v27, s8, 0
	v_mul_lo_u32 v61, v26, s8
	v_mul_lo_u32 v62, v25, s9
	v_mad_u64_u32 v[27:28], null, v25, s8, 0
	s_mov_b32 s18, exec_lo
	s_delay_alu instid0(VALU_DEP_4) | instskip(NEXT) | instid1(VALU_DEP_2)
	v_add3_u32 v58, v58, v60, v59
	v_add3_u32 v28, v28, v62, v61
	s_delay_alu instid0(VALU_DEP_2) | instskip(NEXT) | instid1(VALU_DEP_2)
	v_lshlrev_b64 v[57:58], 1, v[57:58]
	v_lshlrev_b64 v[27:28], 1, v[27:28]
	s_delay_alu instid0(VALU_DEP_2) | instskip(NEXT) | instid1(VALU_DEP_3)
	v_add_co_u32 v57, vcc_lo, s10, v57
	v_add_co_ci_u32_e32 v58, vcc_lo, s11, v58, vcc_lo
	s_delay_alu instid0(VALU_DEP_3) | instskip(NEXT) | instid1(VALU_DEP_4)
	v_add_co_u32 v59, vcc_lo, s10, v27
	v_add_co_ci_u32_e32 v60, vcc_lo, s11, v28, vcc_lo
	s_clause 0x1
	global_load_u16 v61, v[57:58], off
	global_load_u16 v62, v[59:60], off
	v_mov_b32_e32 v27, 1
	v_mov_b32_e32 v28, 0
	s_waitcnt vmcnt(0)
	v_cmpx_eq_u16_e64 v61, v62
	s_cbranch_execz .LBB1415_1142
; %bb.1135:
	v_add_co_u32 v27, vcc_lo, v59, 2
	v_add_co_ci_u32_e32 v28, vcc_lo, 0, v60, vcc_lo
	v_add_co_u32 v57, vcc_lo, v57, 2
	v_add_co_ci_u32_e32 v58, vcc_lo, 0, v58, vcc_lo
	s_add_u32 s12, s8, -1
	s_addc_u32 s13, s9, -1
	s_mov_b64 s[14:15], 0
	s_mov_b32 s19, 0
                                        ; implicit-def: $sgpr20
	s_set_inst_prefetch_distance 0x1
	s_branch .LBB1415_1138
	.p2align	6
.LBB1415_1136:                          ;   in Loop: Header=BB1415_1138 Depth=1
	global_load_u16 v59, v[57:58], off
	global_load_u16 v60, v[27:28], off
	v_add_co_u32 v27, vcc_lo, v27, 2
	v_add_co_ci_u32_e32 v28, vcc_lo, 0, v28, vcc_lo
	v_add_co_u32 v57, s0, v57, 2
	s_delay_alu instid0(VALU_DEP_1)
	v_add_co_ci_u32_e64 v58, s0, 0, v58, s0
	s_add_u32 s14, s14, 1
	s_addc_u32 s15, s15, 0
	s_and_not1_b32 s0, s20, exec_lo
	s_waitcnt vmcnt(0)
	v_cmp_ne_u16_e32 vcc_lo, v59, v60
	s_and_b32 s20, vcc_lo, exec_lo
	s_delay_alu instid0(SALU_CYCLE_1)
	s_or_b32 s20, s0, s20
.LBB1415_1137:                          ;   in Loop: Header=BB1415_1138 Depth=1
	v_dual_mov_b32 v60, s15 :: v_dual_mov_b32 v59, s14
	s_and_b32 s0, exec_lo, s20
	s_delay_alu instid0(SALU_CYCLE_1) | instskip(NEXT) | instid1(SALU_CYCLE_1)
	s_or_b32 s19, s0, s19
	s_and_not1_b32 exec_lo, exec_lo, s19
	s_cbranch_execz .LBB1415_1141
.LBB1415_1138:                          ; =>This Inner Loop Header: Depth=1
	s_or_b32 s20, s20, exec_lo
	s_cmp_eq_u64 s[12:13], s[14:15]
	s_cbranch_scc0 .LBB1415_1136
; %bb.1139:                             ;   in Loop: Header=BB1415_1138 Depth=1
	s_mov_b64 s[14:15], s[8:9]
                                        ; implicit-def: $vgpr27_vgpr28
                                        ; implicit-def: $vgpr57_vgpr58
	s_branch .LBB1415_1137
.LBB1415_1140:
	v_mov_b32_e32 v27, 0
	v_mov_b32_e32 v28, 0
	s_branch .LBB1415_1143
.LBB1415_1141:
	s_set_inst_prefetch_distance 0x2
	s_or_b32 exec_lo, exec_lo, s19
	v_cmp_gt_i64_e32 vcc_lo, s[8:9], v[59:60]
	s_mov_b32 s0, 0
	s_delay_alu instid0(SALU_CYCLE_1)
	v_mov_b32_e32 v28, s0
	v_cndmask_b32_e64 v27, 0, 1, vcc_lo
.LBB1415_1142:
	s_or_b32 exec_lo, exec_lo, s18
.LBB1415_1143:
	s_delay_alu instid0(SALU_CYCLE_1) | instskip(SKIP_2) | instid1(VALU_DEP_1)
	s_or_b32 exec_lo, exec_lo, s3
	v_add_nc_u32_e32 v57, 8, v64
	s_mov_b32 s3, exec_lo
	v_cmpx_gt_u32_e64 s6, v57
	s_cbranch_execz .LBB1415_1154
; %bb.1144:
	v_cmp_ne_u32_e32 vcc_lo, 1, v63
	s_cbranch_vccnz .LBB1415_1151
; %bb.1145:
	v_mul_lo_u32 v59, v26, s8
	v_mul_lo_u32 v60, v25, s9
	v_mad_u64_u32 v[57:58], null, v25, s8, 0
	v_mul_lo_u32 v61, v24, s8
	v_mul_lo_u32 v62, v23, s9
	v_mad_u64_u32 v[25:26], null, v23, s8, 0
	s_mov_b32 s18, exec_lo
	s_delay_alu instid0(VALU_DEP_4) | instskip(NEXT) | instid1(VALU_DEP_2)
	v_add3_u32 v58, v58, v60, v59
	v_add3_u32 v26, v26, v62, v61
	s_delay_alu instid0(VALU_DEP_2) | instskip(NEXT) | instid1(VALU_DEP_2)
	v_lshlrev_b64 v[57:58], 1, v[57:58]
	v_lshlrev_b64 v[25:26], 1, v[25:26]
	s_delay_alu instid0(VALU_DEP_2) | instskip(NEXT) | instid1(VALU_DEP_3)
	v_add_co_u32 v57, vcc_lo, s10, v57
	v_add_co_ci_u32_e32 v58, vcc_lo, s11, v58, vcc_lo
	s_delay_alu instid0(VALU_DEP_3) | instskip(NEXT) | instid1(VALU_DEP_4)
	v_add_co_u32 v59, vcc_lo, s10, v25
	v_add_co_ci_u32_e32 v60, vcc_lo, s11, v26, vcc_lo
	s_clause 0x1
	global_load_u16 v61, v[57:58], off
	global_load_u16 v62, v[59:60], off
	v_mov_b32_e32 v25, 1
	v_mov_b32_e32 v26, 0
	s_waitcnt vmcnt(0)
	v_cmpx_eq_u16_e64 v61, v62
	s_cbranch_execz .LBB1415_1153
; %bb.1146:
	v_add_co_u32 v25, vcc_lo, v59, 2
	v_add_co_ci_u32_e32 v26, vcc_lo, 0, v60, vcc_lo
	v_add_co_u32 v57, vcc_lo, v57, 2
	v_add_co_ci_u32_e32 v58, vcc_lo, 0, v58, vcc_lo
	s_add_u32 s12, s8, -1
	s_addc_u32 s13, s9, -1
	s_mov_b64 s[14:15], 0
	s_mov_b32 s19, 0
                                        ; implicit-def: $sgpr20
	s_set_inst_prefetch_distance 0x1
	s_branch .LBB1415_1149
	.p2align	6
.LBB1415_1147:                          ;   in Loop: Header=BB1415_1149 Depth=1
	global_load_u16 v59, v[57:58], off
	global_load_u16 v60, v[25:26], off
	v_add_co_u32 v25, vcc_lo, v25, 2
	v_add_co_ci_u32_e32 v26, vcc_lo, 0, v26, vcc_lo
	v_add_co_u32 v57, s0, v57, 2
	s_delay_alu instid0(VALU_DEP_1)
	v_add_co_ci_u32_e64 v58, s0, 0, v58, s0
	s_add_u32 s14, s14, 1
	s_addc_u32 s15, s15, 0
	s_and_not1_b32 s0, s20, exec_lo
	s_waitcnt vmcnt(0)
	v_cmp_ne_u16_e32 vcc_lo, v59, v60
	s_and_b32 s20, vcc_lo, exec_lo
	s_delay_alu instid0(SALU_CYCLE_1)
	s_or_b32 s20, s0, s20
.LBB1415_1148:                          ;   in Loop: Header=BB1415_1149 Depth=1
	v_dual_mov_b32 v60, s15 :: v_dual_mov_b32 v59, s14
	s_and_b32 s0, exec_lo, s20
	s_delay_alu instid0(SALU_CYCLE_1) | instskip(NEXT) | instid1(SALU_CYCLE_1)
	s_or_b32 s19, s0, s19
	s_and_not1_b32 exec_lo, exec_lo, s19
	s_cbranch_execz .LBB1415_1152
.LBB1415_1149:                          ; =>This Inner Loop Header: Depth=1
	s_or_b32 s20, s20, exec_lo
	s_cmp_eq_u64 s[12:13], s[14:15]
	s_cbranch_scc0 .LBB1415_1147
; %bb.1150:                             ;   in Loop: Header=BB1415_1149 Depth=1
	s_mov_b64 s[14:15], s[8:9]
                                        ; implicit-def: $vgpr25_vgpr26
                                        ; implicit-def: $vgpr57_vgpr58
	s_branch .LBB1415_1148
.LBB1415_1151:
	v_mov_b32_e32 v25, 0
	v_mov_b32_e32 v26, 0
	s_branch .LBB1415_1154
.LBB1415_1152:
	s_set_inst_prefetch_distance 0x2
	s_or_b32 exec_lo, exec_lo, s19
	v_cmp_gt_i64_e32 vcc_lo, s[8:9], v[59:60]
	s_mov_b32 s0, 0
	s_delay_alu instid0(SALU_CYCLE_1)
	v_mov_b32_e32 v26, s0
	v_cndmask_b32_e64 v25, 0, 1, vcc_lo
.LBB1415_1153:
	s_or_b32 exec_lo, exec_lo, s18
.LBB1415_1154:
	s_delay_alu instid0(SALU_CYCLE_1) | instskip(SKIP_2) | instid1(VALU_DEP_1)
	s_or_b32 exec_lo, exec_lo, s3
	v_add_nc_u32_e32 v57, 7, v64
	s_mov_b32 s3, exec_lo
	v_cmpx_gt_u32_e64 s6, v57
	s_cbranch_execz .LBB1415_1165
; %bb.1155:
	v_cmp_ne_u32_e32 vcc_lo, 1, v63
	s_cbranch_vccnz .LBB1415_1162
; %bb.1156:
	v_mul_lo_u32 v59, v24, s8
	v_mul_lo_u32 v60, v23, s9
	v_mad_u64_u32 v[57:58], null, v23, s8, 0
	v_mul_lo_u32 v61, v22, s8
	v_mul_lo_u32 v62, v21, s9
	v_mad_u64_u32 v[23:24], null, v21, s8, 0
	s_mov_b32 s18, exec_lo
	s_delay_alu instid0(VALU_DEP_4) | instskip(NEXT) | instid1(VALU_DEP_2)
	v_add3_u32 v58, v58, v60, v59
	v_add3_u32 v24, v24, v62, v61
	s_delay_alu instid0(VALU_DEP_2) | instskip(NEXT) | instid1(VALU_DEP_2)
	v_lshlrev_b64 v[57:58], 1, v[57:58]
	v_lshlrev_b64 v[23:24], 1, v[23:24]
	s_delay_alu instid0(VALU_DEP_2) | instskip(NEXT) | instid1(VALU_DEP_3)
	v_add_co_u32 v57, vcc_lo, s10, v57
	v_add_co_ci_u32_e32 v58, vcc_lo, s11, v58, vcc_lo
	s_delay_alu instid0(VALU_DEP_3) | instskip(NEXT) | instid1(VALU_DEP_4)
	v_add_co_u32 v59, vcc_lo, s10, v23
	v_add_co_ci_u32_e32 v60, vcc_lo, s11, v24, vcc_lo
	s_clause 0x1
	global_load_u16 v61, v[57:58], off
	global_load_u16 v62, v[59:60], off
	v_mov_b32_e32 v23, 1
	v_mov_b32_e32 v24, 0
	s_waitcnt vmcnt(0)
	v_cmpx_eq_u16_e64 v61, v62
	s_cbranch_execz .LBB1415_1164
; %bb.1157:
	v_add_co_u32 v23, vcc_lo, v59, 2
	v_add_co_ci_u32_e32 v24, vcc_lo, 0, v60, vcc_lo
	v_add_co_u32 v57, vcc_lo, v57, 2
	v_add_co_ci_u32_e32 v58, vcc_lo, 0, v58, vcc_lo
	s_add_u32 s12, s8, -1
	s_addc_u32 s13, s9, -1
	s_mov_b64 s[14:15], 0
	s_mov_b32 s19, 0
                                        ; implicit-def: $sgpr20
	s_set_inst_prefetch_distance 0x1
	s_branch .LBB1415_1160
	.p2align	6
.LBB1415_1158:                          ;   in Loop: Header=BB1415_1160 Depth=1
	global_load_u16 v59, v[57:58], off
	global_load_u16 v60, v[23:24], off
	v_add_co_u32 v23, vcc_lo, v23, 2
	v_add_co_ci_u32_e32 v24, vcc_lo, 0, v24, vcc_lo
	v_add_co_u32 v57, s0, v57, 2
	s_delay_alu instid0(VALU_DEP_1)
	v_add_co_ci_u32_e64 v58, s0, 0, v58, s0
	s_add_u32 s14, s14, 1
	s_addc_u32 s15, s15, 0
	s_and_not1_b32 s0, s20, exec_lo
	s_waitcnt vmcnt(0)
	v_cmp_ne_u16_e32 vcc_lo, v59, v60
	s_and_b32 s20, vcc_lo, exec_lo
	s_delay_alu instid0(SALU_CYCLE_1)
	s_or_b32 s20, s0, s20
.LBB1415_1159:                          ;   in Loop: Header=BB1415_1160 Depth=1
	v_dual_mov_b32 v60, s15 :: v_dual_mov_b32 v59, s14
	s_and_b32 s0, exec_lo, s20
	s_delay_alu instid0(SALU_CYCLE_1) | instskip(NEXT) | instid1(SALU_CYCLE_1)
	s_or_b32 s19, s0, s19
	s_and_not1_b32 exec_lo, exec_lo, s19
	s_cbranch_execz .LBB1415_1163
.LBB1415_1160:                          ; =>This Inner Loop Header: Depth=1
	s_or_b32 s20, s20, exec_lo
	s_cmp_eq_u64 s[12:13], s[14:15]
	s_cbranch_scc0 .LBB1415_1158
; %bb.1161:                             ;   in Loop: Header=BB1415_1160 Depth=1
	s_mov_b64 s[14:15], s[8:9]
                                        ; implicit-def: $vgpr23_vgpr24
                                        ; implicit-def: $vgpr57_vgpr58
	s_branch .LBB1415_1159
.LBB1415_1162:
	v_mov_b32_e32 v23, 0
	v_mov_b32_e32 v24, 0
	s_branch .LBB1415_1165
.LBB1415_1163:
	s_set_inst_prefetch_distance 0x2
	s_or_b32 exec_lo, exec_lo, s19
	v_cmp_gt_i64_e32 vcc_lo, s[8:9], v[59:60]
	s_mov_b32 s0, 0
	s_delay_alu instid0(SALU_CYCLE_1)
	v_mov_b32_e32 v24, s0
	v_cndmask_b32_e64 v23, 0, 1, vcc_lo
.LBB1415_1164:
	s_or_b32 exec_lo, exec_lo, s18
.LBB1415_1165:
	s_delay_alu instid0(SALU_CYCLE_1) | instskip(SKIP_2) | instid1(VALU_DEP_1)
	s_or_b32 exec_lo, exec_lo, s3
	v_add_nc_u32_e32 v57, 6, v64
	s_mov_b32 s3, exec_lo
	v_cmpx_gt_u32_e64 s6, v57
	s_cbranch_execz .LBB1415_1176
; %bb.1166:
	v_cmp_ne_u32_e32 vcc_lo, 1, v63
	s_cbranch_vccnz .LBB1415_1173
; %bb.1167:
	v_mul_lo_u32 v59, v22, s8
	v_mul_lo_u32 v60, v21, s9
	v_mad_u64_u32 v[57:58], null, v21, s8, 0
	v_mul_lo_u32 v61, v20, s8
	v_mul_lo_u32 v62, v19, s9
	v_mad_u64_u32 v[21:22], null, v19, s8, 0
	s_mov_b32 s18, exec_lo
	s_delay_alu instid0(VALU_DEP_4) | instskip(NEXT) | instid1(VALU_DEP_2)
	v_add3_u32 v58, v58, v60, v59
	v_add3_u32 v22, v22, v62, v61
	s_delay_alu instid0(VALU_DEP_2) | instskip(NEXT) | instid1(VALU_DEP_2)
	v_lshlrev_b64 v[57:58], 1, v[57:58]
	v_lshlrev_b64 v[21:22], 1, v[21:22]
	s_delay_alu instid0(VALU_DEP_2) | instskip(NEXT) | instid1(VALU_DEP_3)
	v_add_co_u32 v57, vcc_lo, s10, v57
	v_add_co_ci_u32_e32 v58, vcc_lo, s11, v58, vcc_lo
	s_delay_alu instid0(VALU_DEP_3) | instskip(NEXT) | instid1(VALU_DEP_4)
	v_add_co_u32 v59, vcc_lo, s10, v21
	v_add_co_ci_u32_e32 v60, vcc_lo, s11, v22, vcc_lo
	s_clause 0x1
	global_load_u16 v61, v[57:58], off
	global_load_u16 v62, v[59:60], off
	v_mov_b32_e32 v21, 1
	v_mov_b32_e32 v22, 0
	s_waitcnt vmcnt(0)
	v_cmpx_eq_u16_e64 v61, v62
	s_cbranch_execz .LBB1415_1175
; %bb.1168:
	v_add_co_u32 v21, vcc_lo, v59, 2
	v_add_co_ci_u32_e32 v22, vcc_lo, 0, v60, vcc_lo
	v_add_co_u32 v57, vcc_lo, v57, 2
	v_add_co_ci_u32_e32 v58, vcc_lo, 0, v58, vcc_lo
	s_add_u32 s12, s8, -1
	s_addc_u32 s13, s9, -1
	s_mov_b64 s[14:15], 0
	s_mov_b32 s19, 0
                                        ; implicit-def: $sgpr20
	s_set_inst_prefetch_distance 0x1
	s_branch .LBB1415_1171
	.p2align	6
.LBB1415_1169:                          ;   in Loop: Header=BB1415_1171 Depth=1
	global_load_u16 v59, v[57:58], off
	global_load_u16 v60, v[21:22], off
	v_add_co_u32 v21, vcc_lo, v21, 2
	v_add_co_ci_u32_e32 v22, vcc_lo, 0, v22, vcc_lo
	v_add_co_u32 v57, s0, v57, 2
	s_delay_alu instid0(VALU_DEP_1)
	v_add_co_ci_u32_e64 v58, s0, 0, v58, s0
	s_add_u32 s14, s14, 1
	s_addc_u32 s15, s15, 0
	s_and_not1_b32 s0, s20, exec_lo
	s_waitcnt vmcnt(0)
	v_cmp_ne_u16_e32 vcc_lo, v59, v60
	s_and_b32 s20, vcc_lo, exec_lo
	s_delay_alu instid0(SALU_CYCLE_1)
	s_or_b32 s20, s0, s20
.LBB1415_1170:                          ;   in Loop: Header=BB1415_1171 Depth=1
	v_dual_mov_b32 v60, s15 :: v_dual_mov_b32 v59, s14
	s_and_b32 s0, exec_lo, s20
	s_delay_alu instid0(SALU_CYCLE_1) | instskip(NEXT) | instid1(SALU_CYCLE_1)
	s_or_b32 s19, s0, s19
	s_and_not1_b32 exec_lo, exec_lo, s19
	s_cbranch_execz .LBB1415_1174
.LBB1415_1171:                          ; =>This Inner Loop Header: Depth=1
	s_or_b32 s20, s20, exec_lo
	s_cmp_eq_u64 s[12:13], s[14:15]
	s_cbranch_scc0 .LBB1415_1169
; %bb.1172:                             ;   in Loop: Header=BB1415_1171 Depth=1
	s_mov_b64 s[14:15], s[8:9]
                                        ; implicit-def: $vgpr21_vgpr22
                                        ; implicit-def: $vgpr57_vgpr58
	s_branch .LBB1415_1170
.LBB1415_1173:
	v_mov_b32_e32 v21, 0
	v_mov_b32_e32 v22, 0
	s_branch .LBB1415_1176
.LBB1415_1174:
	s_set_inst_prefetch_distance 0x2
	s_or_b32 exec_lo, exec_lo, s19
	v_cmp_gt_i64_e32 vcc_lo, s[8:9], v[59:60]
	s_mov_b32 s0, 0
	s_delay_alu instid0(SALU_CYCLE_1)
	v_mov_b32_e32 v22, s0
	v_cndmask_b32_e64 v21, 0, 1, vcc_lo
.LBB1415_1175:
	s_or_b32 exec_lo, exec_lo, s18
.LBB1415_1176:
	s_delay_alu instid0(SALU_CYCLE_1) | instskip(SKIP_2) | instid1(VALU_DEP_1)
	s_or_b32 exec_lo, exec_lo, s3
	v_add_nc_u32_e32 v57, 5, v64
	s_mov_b32 s3, exec_lo
	v_cmpx_gt_u32_e64 s6, v57
	s_cbranch_execz .LBB1415_1187
; %bb.1177:
	v_cmp_ne_u32_e32 vcc_lo, 1, v63
	s_cbranch_vccnz .LBB1415_1184
; %bb.1178:
	v_mul_lo_u32 v59, v20, s8
	v_mul_lo_u32 v60, v19, s9
	v_mad_u64_u32 v[57:58], null, v19, s8, 0
	v_mul_lo_u32 v61, v18, s8
	v_mul_lo_u32 v62, v17, s9
	v_mad_u64_u32 v[19:20], null, v17, s8, 0
	s_mov_b32 s18, exec_lo
	s_delay_alu instid0(VALU_DEP_4) | instskip(NEXT) | instid1(VALU_DEP_2)
	v_add3_u32 v58, v58, v60, v59
	v_add3_u32 v20, v20, v62, v61
	s_delay_alu instid0(VALU_DEP_2) | instskip(NEXT) | instid1(VALU_DEP_2)
	v_lshlrev_b64 v[57:58], 1, v[57:58]
	v_lshlrev_b64 v[19:20], 1, v[19:20]
	s_delay_alu instid0(VALU_DEP_2) | instskip(NEXT) | instid1(VALU_DEP_3)
	v_add_co_u32 v57, vcc_lo, s10, v57
	v_add_co_ci_u32_e32 v58, vcc_lo, s11, v58, vcc_lo
	s_delay_alu instid0(VALU_DEP_3) | instskip(NEXT) | instid1(VALU_DEP_4)
	v_add_co_u32 v59, vcc_lo, s10, v19
	v_add_co_ci_u32_e32 v60, vcc_lo, s11, v20, vcc_lo
	s_clause 0x1
	global_load_u16 v61, v[57:58], off
	global_load_u16 v62, v[59:60], off
	v_mov_b32_e32 v19, 1
	v_mov_b32_e32 v20, 0
	s_waitcnt vmcnt(0)
	v_cmpx_eq_u16_e64 v61, v62
	s_cbranch_execz .LBB1415_1186
; %bb.1179:
	v_add_co_u32 v19, vcc_lo, v59, 2
	v_add_co_ci_u32_e32 v20, vcc_lo, 0, v60, vcc_lo
	v_add_co_u32 v57, vcc_lo, v57, 2
	v_add_co_ci_u32_e32 v58, vcc_lo, 0, v58, vcc_lo
	s_add_u32 s12, s8, -1
	s_addc_u32 s13, s9, -1
	s_mov_b64 s[14:15], 0
	s_mov_b32 s19, 0
                                        ; implicit-def: $sgpr20
	s_set_inst_prefetch_distance 0x1
	s_branch .LBB1415_1182
	.p2align	6
.LBB1415_1180:                          ;   in Loop: Header=BB1415_1182 Depth=1
	global_load_u16 v59, v[57:58], off
	global_load_u16 v60, v[19:20], off
	v_add_co_u32 v19, vcc_lo, v19, 2
	v_add_co_ci_u32_e32 v20, vcc_lo, 0, v20, vcc_lo
	v_add_co_u32 v57, s0, v57, 2
	s_delay_alu instid0(VALU_DEP_1)
	v_add_co_ci_u32_e64 v58, s0, 0, v58, s0
	s_add_u32 s14, s14, 1
	s_addc_u32 s15, s15, 0
	s_and_not1_b32 s0, s20, exec_lo
	s_waitcnt vmcnt(0)
	v_cmp_ne_u16_e32 vcc_lo, v59, v60
	s_and_b32 s20, vcc_lo, exec_lo
	s_delay_alu instid0(SALU_CYCLE_1)
	s_or_b32 s20, s0, s20
.LBB1415_1181:                          ;   in Loop: Header=BB1415_1182 Depth=1
	v_dual_mov_b32 v60, s15 :: v_dual_mov_b32 v59, s14
	s_and_b32 s0, exec_lo, s20
	s_delay_alu instid0(SALU_CYCLE_1) | instskip(NEXT) | instid1(SALU_CYCLE_1)
	s_or_b32 s19, s0, s19
	s_and_not1_b32 exec_lo, exec_lo, s19
	s_cbranch_execz .LBB1415_1185
.LBB1415_1182:                          ; =>This Inner Loop Header: Depth=1
	s_or_b32 s20, s20, exec_lo
	s_cmp_eq_u64 s[12:13], s[14:15]
	s_cbranch_scc0 .LBB1415_1180
; %bb.1183:                             ;   in Loop: Header=BB1415_1182 Depth=1
	s_mov_b64 s[14:15], s[8:9]
                                        ; implicit-def: $vgpr19_vgpr20
                                        ; implicit-def: $vgpr57_vgpr58
	s_branch .LBB1415_1181
.LBB1415_1184:
	v_mov_b32_e32 v19, 0
	v_mov_b32_e32 v20, 0
	s_branch .LBB1415_1187
.LBB1415_1185:
	s_set_inst_prefetch_distance 0x2
	s_or_b32 exec_lo, exec_lo, s19
	v_cmp_gt_i64_e32 vcc_lo, s[8:9], v[59:60]
	s_mov_b32 s0, 0
	s_delay_alu instid0(SALU_CYCLE_1)
	v_mov_b32_e32 v20, s0
	v_cndmask_b32_e64 v19, 0, 1, vcc_lo
.LBB1415_1186:
	s_or_b32 exec_lo, exec_lo, s18
.LBB1415_1187:
	s_delay_alu instid0(SALU_CYCLE_1) | instskip(SKIP_2) | instid1(VALU_DEP_1)
	s_or_b32 exec_lo, exec_lo, s3
	v_add_nc_u32_e32 v57, 4, v64
	s_mov_b32 s3, exec_lo
	v_cmpx_gt_u32_e64 s6, v57
	s_cbranch_execz .LBB1415_1198
; %bb.1188:
	v_cmp_ne_u32_e32 vcc_lo, 1, v63
	s_cbranch_vccnz .LBB1415_1195
; %bb.1189:
	v_mul_lo_u32 v59, v18, s8
	v_mul_lo_u32 v60, v17, s9
	v_mad_u64_u32 v[57:58], null, v17, s8, 0
	v_mul_lo_u32 v61, v16, s8
	v_mul_lo_u32 v62, v15, s9
	v_mad_u64_u32 v[17:18], null, v15, s8, 0
	s_mov_b32 s18, exec_lo
	s_delay_alu instid0(VALU_DEP_4) | instskip(NEXT) | instid1(VALU_DEP_2)
	v_add3_u32 v58, v58, v60, v59
	v_add3_u32 v18, v18, v62, v61
	s_delay_alu instid0(VALU_DEP_2) | instskip(NEXT) | instid1(VALU_DEP_2)
	v_lshlrev_b64 v[57:58], 1, v[57:58]
	v_lshlrev_b64 v[17:18], 1, v[17:18]
	s_delay_alu instid0(VALU_DEP_2) | instskip(NEXT) | instid1(VALU_DEP_3)
	v_add_co_u32 v57, vcc_lo, s10, v57
	v_add_co_ci_u32_e32 v58, vcc_lo, s11, v58, vcc_lo
	s_delay_alu instid0(VALU_DEP_3) | instskip(NEXT) | instid1(VALU_DEP_4)
	v_add_co_u32 v59, vcc_lo, s10, v17
	v_add_co_ci_u32_e32 v60, vcc_lo, s11, v18, vcc_lo
	s_clause 0x1
	global_load_u16 v61, v[57:58], off
	global_load_u16 v62, v[59:60], off
	v_mov_b32_e32 v17, 1
	v_mov_b32_e32 v18, 0
	s_waitcnt vmcnt(0)
	v_cmpx_eq_u16_e64 v61, v62
	s_cbranch_execz .LBB1415_1197
; %bb.1190:
	v_add_co_u32 v17, vcc_lo, v59, 2
	v_add_co_ci_u32_e32 v18, vcc_lo, 0, v60, vcc_lo
	v_add_co_u32 v57, vcc_lo, v57, 2
	v_add_co_ci_u32_e32 v58, vcc_lo, 0, v58, vcc_lo
	s_add_u32 s12, s8, -1
	s_addc_u32 s13, s9, -1
	s_mov_b64 s[14:15], 0
	s_mov_b32 s19, 0
                                        ; implicit-def: $sgpr20
	s_set_inst_prefetch_distance 0x1
	s_branch .LBB1415_1193
	.p2align	6
.LBB1415_1191:                          ;   in Loop: Header=BB1415_1193 Depth=1
	global_load_u16 v59, v[57:58], off
	global_load_u16 v60, v[17:18], off
	v_add_co_u32 v17, vcc_lo, v17, 2
	v_add_co_ci_u32_e32 v18, vcc_lo, 0, v18, vcc_lo
	v_add_co_u32 v57, s0, v57, 2
	s_delay_alu instid0(VALU_DEP_1)
	v_add_co_ci_u32_e64 v58, s0, 0, v58, s0
	s_add_u32 s14, s14, 1
	s_addc_u32 s15, s15, 0
	s_and_not1_b32 s0, s20, exec_lo
	s_waitcnt vmcnt(0)
	v_cmp_ne_u16_e32 vcc_lo, v59, v60
	s_and_b32 s20, vcc_lo, exec_lo
	s_delay_alu instid0(SALU_CYCLE_1)
	s_or_b32 s20, s0, s20
.LBB1415_1192:                          ;   in Loop: Header=BB1415_1193 Depth=1
	v_dual_mov_b32 v60, s15 :: v_dual_mov_b32 v59, s14
	s_and_b32 s0, exec_lo, s20
	s_delay_alu instid0(SALU_CYCLE_1) | instskip(NEXT) | instid1(SALU_CYCLE_1)
	s_or_b32 s19, s0, s19
	s_and_not1_b32 exec_lo, exec_lo, s19
	s_cbranch_execz .LBB1415_1196
.LBB1415_1193:                          ; =>This Inner Loop Header: Depth=1
	s_or_b32 s20, s20, exec_lo
	s_cmp_eq_u64 s[12:13], s[14:15]
	s_cbranch_scc0 .LBB1415_1191
; %bb.1194:                             ;   in Loop: Header=BB1415_1193 Depth=1
	s_mov_b64 s[14:15], s[8:9]
                                        ; implicit-def: $vgpr17_vgpr18
                                        ; implicit-def: $vgpr57_vgpr58
	s_branch .LBB1415_1192
.LBB1415_1195:
	v_mov_b32_e32 v17, 0
	v_mov_b32_e32 v18, 0
	s_branch .LBB1415_1198
.LBB1415_1196:
	s_set_inst_prefetch_distance 0x2
	s_or_b32 exec_lo, exec_lo, s19
	v_cmp_gt_i64_e32 vcc_lo, s[8:9], v[59:60]
	s_mov_b32 s0, 0
	s_delay_alu instid0(SALU_CYCLE_1)
	v_mov_b32_e32 v18, s0
	v_cndmask_b32_e64 v17, 0, 1, vcc_lo
.LBB1415_1197:
	s_or_b32 exec_lo, exec_lo, s18
.LBB1415_1198:
	s_delay_alu instid0(SALU_CYCLE_1) | instskip(SKIP_2) | instid1(VALU_DEP_1)
	s_or_b32 exec_lo, exec_lo, s3
	v_add_nc_u32_e32 v57, 3, v64
	s_mov_b32 s3, exec_lo
	v_cmpx_gt_u32_e64 s6, v57
	s_cbranch_execz .LBB1415_1209
; %bb.1199:
	v_cmp_ne_u32_e32 vcc_lo, 1, v63
	s_cbranch_vccnz .LBB1415_1206
; %bb.1200:
	v_mul_lo_u32 v59, v16, s8
	v_mul_lo_u32 v60, v15, s9
	v_mad_u64_u32 v[57:58], null, v15, s8, 0
	v_mul_lo_u32 v61, v14, s8
	v_mul_lo_u32 v62, v13, s9
	v_mad_u64_u32 v[15:16], null, v13, s8, 0
	s_mov_b32 s18, exec_lo
	s_delay_alu instid0(VALU_DEP_4) | instskip(NEXT) | instid1(VALU_DEP_2)
	v_add3_u32 v58, v58, v60, v59
	v_add3_u32 v16, v16, v62, v61
	s_delay_alu instid0(VALU_DEP_2) | instskip(NEXT) | instid1(VALU_DEP_2)
	v_lshlrev_b64 v[57:58], 1, v[57:58]
	v_lshlrev_b64 v[15:16], 1, v[15:16]
	s_delay_alu instid0(VALU_DEP_2) | instskip(NEXT) | instid1(VALU_DEP_3)
	v_add_co_u32 v57, vcc_lo, s10, v57
	v_add_co_ci_u32_e32 v58, vcc_lo, s11, v58, vcc_lo
	s_delay_alu instid0(VALU_DEP_3) | instskip(NEXT) | instid1(VALU_DEP_4)
	v_add_co_u32 v59, vcc_lo, s10, v15
	v_add_co_ci_u32_e32 v60, vcc_lo, s11, v16, vcc_lo
	s_clause 0x1
	global_load_u16 v61, v[57:58], off
	global_load_u16 v62, v[59:60], off
	v_mov_b32_e32 v15, 1
	v_mov_b32_e32 v16, 0
	s_waitcnt vmcnt(0)
	v_cmpx_eq_u16_e64 v61, v62
	s_cbranch_execz .LBB1415_1208
; %bb.1201:
	v_add_co_u32 v15, vcc_lo, v59, 2
	v_add_co_ci_u32_e32 v16, vcc_lo, 0, v60, vcc_lo
	v_add_co_u32 v57, vcc_lo, v57, 2
	v_add_co_ci_u32_e32 v58, vcc_lo, 0, v58, vcc_lo
	s_add_u32 s12, s8, -1
	s_addc_u32 s13, s9, -1
	s_mov_b64 s[14:15], 0
	s_mov_b32 s19, 0
                                        ; implicit-def: $sgpr20
	s_set_inst_prefetch_distance 0x1
	s_branch .LBB1415_1204
	.p2align	6
.LBB1415_1202:                          ;   in Loop: Header=BB1415_1204 Depth=1
	global_load_u16 v59, v[57:58], off
	global_load_u16 v60, v[15:16], off
	v_add_co_u32 v15, vcc_lo, v15, 2
	v_add_co_ci_u32_e32 v16, vcc_lo, 0, v16, vcc_lo
	v_add_co_u32 v57, s0, v57, 2
	s_delay_alu instid0(VALU_DEP_1)
	v_add_co_ci_u32_e64 v58, s0, 0, v58, s0
	s_add_u32 s14, s14, 1
	s_addc_u32 s15, s15, 0
	s_and_not1_b32 s0, s20, exec_lo
	s_waitcnt vmcnt(0)
	v_cmp_ne_u16_e32 vcc_lo, v59, v60
	s_and_b32 s20, vcc_lo, exec_lo
	s_delay_alu instid0(SALU_CYCLE_1)
	s_or_b32 s20, s0, s20
.LBB1415_1203:                          ;   in Loop: Header=BB1415_1204 Depth=1
	v_dual_mov_b32 v60, s15 :: v_dual_mov_b32 v59, s14
	s_and_b32 s0, exec_lo, s20
	s_delay_alu instid0(SALU_CYCLE_1) | instskip(NEXT) | instid1(SALU_CYCLE_1)
	s_or_b32 s19, s0, s19
	s_and_not1_b32 exec_lo, exec_lo, s19
	s_cbranch_execz .LBB1415_1207
.LBB1415_1204:                          ; =>This Inner Loop Header: Depth=1
	s_or_b32 s20, s20, exec_lo
	s_cmp_eq_u64 s[12:13], s[14:15]
	s_cbranch_scc0 .LBB1415_1202
; %bb.1205:                             ;   in Loop: Header=BB1415_1204 Depth=1
	s_mov_b64 s[14:15], s[8:9]
                                        ; implicit-def: $vgpr15_vgpr16
                                        ; implicit-def: $vgpr57_vgpr58
	s_branch .LBB1415_1203
.LBB1415_1206:
	v_mov_b32_e32 v15, 0
	v_mov_b32_e32 v16, 0
	s_branch .LBB1415_1209
.LBB1415_1207:
	s_set_inst_prefetch_distance 0x2
	s_or_b32 exec_lo, exec_lo, s19
	v_cmp_gt_i64_e32 vcc_lo, s[8:9], v[59:60]
	s_mov_b32 s0, 0
	s_delay_alu instid0(SALU_CYCLE_1)
	v_mov_b32_e32 v16, s0
	v_cndmask_b32_e64 v15, 0, 1, vcc_lo
.LBB1415_1208:
	s_or_b32 exec_lo, exec_lo, s18
.LBB1415_1209:
	s_delay_alu instid0(SALU_CYCLE_1) | instskip(SKIP_2) | instid1(VALU_DEP_1)
	s_or_b32 exec_lo, exec_lo, s3
	v_add_nc_u32_e32 v57, 2, v64
	s_mov_b32 s3, exec_lo
	v_cmpx_gt_u32_e64 s6, v57
	s_cbranch_execz .LBB1415_1220
; %bb.1210:
	v_cmp_ne_u32_e32 vcc_lo, 1, v63
	s_cbranch_vccnz .LBB1415_1217
; %bb.1211:
	v_mul_lo_u32 v59, v14, s8
	v_mul_lo_u32 v60, v13, s9
	v_mad_u64_u32 v[57:58], null, v13, s8, 0
	v_mul_lo_u32 v61, v4, s8
	v_mul_lo_u32 v62, v3, s9
	v_mad_u64_u32 v[13:14], null, v3, s8, 0
	s_mov_b32 s18, exec_lo
	s_delay_alu instid0(VALU_DEP_4) | instskip(NEXT) | instid1(VALU_DEP_2)
	v_add3_u32 v58, v58, v60, v59
	v_add3_u32 v14, v14, v62, v61
	s_delay_alu instid0(VALU_DEP_2) | instskip(NEXT) | instid1(VALU_DEP_2)
	v_lshlrev_b64 v[57:58], 1, v[57:58]
	v_lshlrev_b64 v[13:14], 1, v[13:14]
	s_delay_alu instid0(VALU_DEP_2) | instskip(NEXT) | instid1(VALU_DEP_3)
	v_add_co_u32 v57, vcc_lo, s10, v57
	v_add_co_ci_u32_e32 v58, vcc_lo, s11, v58, vcc_lo
	s_delay_alu instid0(VALU_DEP_3) | instskip(NEXT) | instid1(VALU_DEP_4)
	v_add_co_u32 v59, vcc_lo, s10, v13
	v_add_co_ci_u32_e32 v60, vcc_lo, s11, v14, vcc_lo
	s_clause 0x1
	global_load_u16 v61, v[57:58], off
	global_load_u16 v62, v[59:60], off
	v_mov_b32_e32 v13, 1
	v_mov_b32_e32 v14, 0
	s_waitcnt vmcnt(0)
	v_cmpx_eq_u16_e64 v61, v62
	s_cbranch_execz .LBB1415_1219
; %bb.1212:
	v_add_co_u32 v13, vcc_lo, v59, 2
	v_add_co_ci_u32_e32 v14, vcc_lo, 0, v60, vcc_lo
	v_add_co_u32 v57, vcc_lo, v57, 2
	v_add_co_ci_u32_e32 v58, vcc_lo, 0, v58, vcc_lo
	s_add_u32 s12, s8, -1
	s_addc_u32 s13, s9, -1
	s_mov_b64 s[14:15], 0
	s_mov_b32 s19, 0
                                        ; implicit-def: $sgpr20
	s_set_inst_prefetch_distance 0x1
	s_branch .LBB1415_1215
	.p2align	6
.LBB1415_1213:                          ;   in Loop: Header=BB1415_1215 Depth=1
	global_load_u16 v59, v[57:58], off
	global_load_u16 v60, v[13:14], off
	v_add_co_u32 v13, vcc_lo, v13, 2
	v_add_co_ci_u32_e32 v14, vcc_lo, 0, v14, vcc_lo
	v_add_co_u32 v57, s0, v57, 2
	s_delay_alu instid0(VALU_DEP_1)
	v_add_co_ci_u32_e64 v58, s0, 0, v58, s0
	s_add_u32 s14, s14, 1
	s_addc_u32 s15, s15, 0
	s_and_not1_b32 s0, s20, exec_lo
	s_waitcnt vmcnt(0)
	v_cmp_ne_u16_e32 vcc_lo, v59, v60
	s_and_b32 s20, vcc_lo, exec_lo
	s_delay_alu instid0(SALU_CYCLE_1)
	s_or_b32 s20, s0, s20
.LBB1415_1214:                          ;   in Loop: Header=BB1415_1215 Depth=1
	v_dual_mov_b32 v60, s15 :: v_dual_mov_b32 v59, s14
	s_and_b32 s0, exec_lo, s20
	s_delay_alu instid0(SALU_CYCLE_1) | instskip(NEXT) | instid1(SALU_CYCLE_1)
	s_or_b32 s19, s0, s19
	s_and_not1_b32 exec_lo, exec_lo, s19
	s_cbranch_execz .LBB1415_1218
.LBB1415_1215:                          ; =>This Inner Loop Header: Depth=1
	s_or_b32 s20, s20, exec_lo
	s_cmp_eq_u64 s[12:13], s[14:15]
	s_cbranch_scc0 .LBB1415_1213
; %bb.1216:                             ;   in Loop: Header=BB1415_1215 Depth=1
	s_mov_b64 s[14:15], s[8:9]
                                        ; implicit-def: $vgpr13_vgpr14
                                        ; implicit-def: $vgpr57_vgpr58
	s_branch .LBB1415_1214
.LBB1415_1217:
	v_mov_b32_e32 v13, 0
	v_mov_b32_e32 v14, 0
	s_branch .LBB1415_1220
.LBB1415_1218:
	s_set_inst_prefetch_distance 0x2
	s_or_b32 exec_lo, exec_lo, s19
	v_cmp_gt_i64_e32 vcc_lo, s[8:9], v[59:60]
	s_mov_b32 s0, 0
	s_delay_alu instid0(SALU_CYCLE_1)
	v_mov_b32_e32 v14, s0
	v_cndmask_b32_e64 v13, 0, 1, vcc_lo
.LBB1415_1219:
	s_or_b32 exec_lo, exec_lo, s18
.LBB1415_1220:
	s_delay_alu instid0(SALU_CYCLE_1) | instskip(SKIP_2) | instid1(VALU_DEP_1)
	s_or_b32 exec_lo, exec_lo, s3
	v_add_nc_u32_e32 v57, 1, v64
	s_mov_b32 s3, exec_lo
	v_cmpx_gt_u32_e64 s6, v57
	s_cbranch_execz .LBB1415_1231
; %bb.1221:
	v_cmp_ne_u32_e32 vcc_lo, 1, v63
	s_cbranch_vccnz .LBB1415_1228
; %bb.1222:
	v_mul_lo_u32 v59, v4, s8
	v_mul_lo_u32 v60, v3, s9
	v_mad_u64_u32 v[57:58], null, v3, s8, 0
	v_mul_lo_u32 v61, v2, s8
	v_mul_lo_u32 v62, v1, s9
	v_mad_u64_u32 v[3:4], null, v1, s8, 0
	s_mov_b32 s18, exec_lo
	s_delay_alu instid0(VALU_DEP_4) | instskip(NEXT) | instid1(VALU_DEP_2)
	v_add3_u32 v58, v58, v60, v59
	v_add3_u32 v4, v4, v62, v61
	s_delay_alu instid0(VALU_DEP_2) | instskip(NEXT) | instid1(VALU_DEP_2)
	v_lshlrev_b64 v[57:58], 1, v[57:58]
	v_lshlrev_b64 v[3:4], 1, v[3:4]
	s_delay_alu instid0(VALU_DEP_2) | instskip(NEXT) | instid1(VALU_DEP_3)
	v_add_co_u32 v57, vcc_lo, s10, v57
	v_add_co_ci_u32_e32 v58, vcc_lo, s11, v58, vcc_lo
	s_delay_alu instid0(VALU_DEP_3) | instskip(NEXT) | instid1(VALU_DEP_4)
	v_add_co_u32 v59, vcc_lo, s10, v3
	v_add_co_ci_u32_e32 v60, vcc_lo, s11, v4, vcc_lo
	s_clause 0x1
	global_load_u16 v61, v[57:58], off
	global_load_u16 v62, v[59:60], off
	v_mov_b32_e32 v3, 1
	v_mov_b32_e32 v4, 0
	s_waitcnt vmcnt(0)
	v_cmpx_eq_u16_e64 v61, v62
	s_cbranch_execz .LBB1415_1230
; %bb.1223:
	v_add_co_u32 v3, vcc_lo, v59, 2
	v_add_co_ci_u32_e32 v4, vcc_lo, 0, v60, vcc_lo
	v_add_co_u32 v57, vcc_lo, v57, 2
	v_add_co_ci_u32_e32 v58, vcc_lo, 0, v58, vcc_lo
	s_add_u32 s12, s8, -1
	s_addc_u32 s13, s9, -1
	s_mov_b64 s[14:15], 0
	s_mov_b32 s19, 0
                                        ; implicit-def: $sgpr20
	s_set_inst_prefetch_distance 0x1
	s_branch .LBB1415_1226
	.p2align	6
.LBB1415_1224:                          ;   in Loop: Header=BB1415_1226 Depth=1
	global_load_u16 v59, v[57:58], off
	global_load_u16 v60, v[3:4], off
	v_add_co_u32 v3, vcc_lo, v3, 2
	v_add_co_ci_u32_e32 v4, vcc_lo, 0, v4, vcc_lo
	v_add_co_u32 v57, s0, v57, 2
	s_delay_alu instid0(VALU_DEP_1)
	v_add_co_ci_u32_e64 v58, s0, 0, v58, s0
	s_add_u32 s14, s14, 1
	s_addc_u32 s15, s15, 0
	s_and_not1_b32 s0, s20, exec_lo
	s_waitcnt vmcnt(0)
	v_cmp_ne_u16_e32 vcc_lo, v59, v60
	s_and_b32 s20, vcc_lo, exec_lo
	s_delay_alu instid0(SALU_CYCLE_1)
	s_or_b32 s20, s0, s20
.LBB1415_1225:                          ;   in Loop: Header=BB1415_1226 Depth=1
	v_dual_mov_b32 v60, s15 :: v_dual_mov_b32 v59, s14
	s_and_b32 s0, exec_lo, s20
	s_delay_alu instid0(SALU_CYCLE_1) | instskip(NEXT) | instid1(SALU_CYCLE_1)
	s_or_b32 s19, s0, s19
	s_and_not1_b32 exec_lo, exec_lo, s19
	s_cbranch_execz .LBB1415_1229
.LBB1415_1226:                          ; =>This Inner Loop Header: Depth=1
	s_or_b32 s20, s20, exec_lo
	s_cmp_eq_u64 s[12:13], s[14:15]
	s_cbranch_scc0 .LBB1415_1224
; %bb.1227:                             ;   in Loop: Header=BB1415_1226 Depth=1
	s_mov_b64 s[14:15], s[8:9]
                                        ; implicit-def: $vgpr3_vgpr4
                                        ; implicit-def: $vgpr57_vgpr58
	s_branch .LBB1415_1225
.LBB1415_1228:
	v_mov_b32_e32 v3, 0
	v_mov_b32_e32 v4, 0
	s_branch .LBB1415_1231
.LBB1415_1229:
	s_set_inst_prefetch_distance 0x2
	s_or_b32 exec_lo, exec_lo, s19
	v_cmp_gt_i64_e32 vcc_lo, s[8:9], v[59:60]
	s_mov_b32 s0, 0
	s_delay_alu instid0(SALU_CYCLE_1)
	v_mov_b32_e32 v4, s0
	v_cndmask_b32_e64 v3, 0, 1, vcc_lo
.LBB1415_1230:
	s_or_b32 exec_lo, exec_lo, s18
.LBB1415_1231:
	s_delay_alu instid0(SALU_CYCLE_1)
	s_or_b32 exec_lo, exec_lo, s3
	v_cmp_ne_u32_e32 vcc_lo, 0, v0
	v_cmp_gt_u32_e64 s0, s6, v64
	s_mov_b32 s12, 0
	s_waitcnt lgkmcnt(0)
	s_barrier
	buffer_gl0_inv
	s_and_b32 s13, vcc_lo, s0
                                        ; implicit-def: $sgpr0
	s_delay_alu instid0(SALU_CYCLE_1)
	s_and_saveexec_b32 s3, s13
	s_cbranch_execz .LBB1415_1242
; %bb.1232:
	v_cmp_ne_u32_e32 vcc_lo, 1, v63
	s_cbranch_vccnz .LBB1415_1241
; %bb.1233:
	v_add_nc_u32_e32 v57, -8, v195
	v_mul_lo_u32 v61, v2, s8
	v_mul_lo_u32 v62, v1, s9
	v_mad_u64_u32 v[59:60], null, v1, s8, 0
	ds_load_b64 v[57:58], v57
	s_mov_b32 s12, -1
	s_mov_b32 s14, exec_lo
	v_add3_u32 v60, v60, v62, v61
	s_waitcnt lgkmcnt(0)
	v_mul_lo_u32 v58, v58, s8
	v_mul_lo_u32 v63, v57, s9
	v_mad_u64_u32 v[1:2], null, v57, s8, 0
	s_delay_alu instid0(VALU_DEP_1) | instskip(SKIP_1) | instid1(VALU_DEP_2)
	v_add3_u32 v2, v2, v63, v58
	v_lshlrev_b64 v[57:58], 1, v[59:60]
	v_lshlrev_b64 v[1:2], 1, v[1:2]
	s_delay_alu instid0(VALU_DEP_2) | instskip(NEXT) | instid1(VALU_DEP_3)
	v_add_co_u32 v57, vcc_lo, s10, v57
	v_add_co_ci_u32_e32 v58, vcc_lo, s11, v58, vcc_lo
	s_delay_alu instid0(VALU_DEP_3) | instskip(NEXT) | instid1(VALU_DEP_4)
	v_add_co_u32 v1, vcc_lo, s10, v1
	v_add_co_ci_u32_e32 v2, vcc_lo, s11, v2, vcc_lo
	s_clause 0x1
	global_load_u16 v59, v[57:58], off
	global_load_u16 v60, v[1:2], off
	s_waitcnt vmcnt(0)
	v_cmpx_eq_u16_e64 v59, v60
	s_cbranch_execz .LBB1415_1240
; %bb.1234:
	v_add_co_u32 v1, vcc_lo, v1, 2
	v_add_co_ci_u32_e32 v2, vcc_lo, 0, v2, vcc_lo
	v_add_co_u32 v57, vcc_lo, v57, 2
	v_add_co_ci_u32_e32 v58, vcc_lo, 0, v58, vcc_lo
	s_add_u32 s10, s8, -1
	s_addc_u32 s11, s9, -1
	s_mov_b64 s[12:13], 0
	s_mov_b32 s15, 0
                                        ; implicit-def: $sgpr18
	s_set_inst_prefetch_distance 0x1
	s_branch .LBB1415_1237
	.p2align	6
.LBB1415_1235:                          ;   in Loop: Header=BB1415_1237 Depth=1
	global_load_u16 v59, v[57:58], off
	global_load_u16 v60, v[1:2], off
	v_add_co_u32 v1, vcc_lo, v1, 2
	v_add_co_ci_u32_e32 v2, vcc_lo, 0, v2, vcc_lo
	v_add_co_u32 v57, s0, v57, 2
	s_delay_alu instid0(VALU_DEP_1)
	v_add_co_ci_u32_e64 v58, s0, 0, v58, s0
	s_add_u32 s12, s12, 1
	s_addc_u32 s13, s13, 0
	s_and_not1_b32 s0, s18, exec_lo
	s_waitcnt vmcnt(0)
	v_cmp_ne_u16_e32 vcc_lo, v59, v60
	s_and_b32 s18, vcc_lo, exec_lo
	s_delay_alu instid0(SALU_CYCLE_1)
	s_or_b32 s18, s0, s18
.LBB1415_1236:                          ;   in Loop: Header=BB1415_1237 Depth=1
	v_dual_mov_b32 v60, s13 :: v_dual_mov_b32 v59, s12
	s_and_b32 s0, exec_lo, s18
	s_delay_alu instid0(SALU_CYCLE_1) | instskip(NEXT) | instid1(SALU_CYCLE_1)
	s_or_b32 s15, s0, s15
	s_and_not1_b32 exec_lo, exec_lo, s15
	s_cbranch_execz .LBB1415_1239
.LBB1415_1237:                          ; =>This Inner Loop Header: Depth=1
	s_or_b32 s18, s18, exec_lo
	s_cmp_eq_u64 s[10:11], s[12:13]
	s_cbranch_scc0 .LBB1415_1235
; %bb.1238:                             ;   in Loop: Header=BB1415_1237 Depth=1
	s_mov_b64 s[12:13], s[8:9]
                                        ; implicit-def: $vgpr1_vgpr2
                                        ; implicit-def: $vgpr57_vgpr58
	s_branch .LBB1415_1236
.LBB1415_1239:
	s_set_inst_prefetch_distance 0x2
	s_or_b32 exec_lo, exec_lo, s15
	v_cmp_gt_i64_e32 vcc_lo, s[8:9], v[59:60]
	s_or_not1_b32 s12, vcc_lo, exec_lo
.LBB1415_1240:
	s_or_b32 exec_lo, exec_lo, s14
.LBB1415_1241:
	s_delay_alu instid0(SALU_CYCLE_1)
	s_and_b32 s0, s12, exec_lo
	s_or_b32 s1, s1, exec_lo
.LBB1415_1242:
	s_or_b32 exec_lo, exec_lo, s3
	v_dual_mov_b32 v166, v4 :: v_dual_mov_b32 v165, v3
	v_dual_mov_b32 v164, v14 :: v_dual_mov_b32 v163, v13
	;; [unrolled: 1-line block ×55, first 2 shown]
.LBB1415_1243:
	s_and_saveexec_b32 s3, s1
	s_cbranch_execz .LBB1415_1245
; %bb.1244:
	s_mov_b32 s1, 0
	v_dual_mov_b32 v194, v114 :: v_dual_mov_b32 v63, v117
	v_dual_mov_b32 v2, s1 :: v_dual_mov_b32 v59, v115
	;; [unrolled: 1-line block ×13, first 2 shown]
	v_mov_b32_e32 v168, v164
	v_dual_mov_b32 v182, v166 :: v_dual_mov_b32 v181, v165
	v_cndmask_b32_e64 v1, 0, 1, s0
	v_dual_mov_b32 v60, v116 :: v_dual_mov_b32 v193, v113
	v_dual_mov_b32 v64, v118 :: v_dual_mov_b32 v191, v119
	;; [unrolled: 1-line block ×13, first 2 shown]
.LBB1415_1245:
	s_or_b32 exec_lo, exec_lo, s3
	v_mul_u32_u24_e32 v65, 0xe8, v0
	v_mul_i32_i24_e32 v66, 0xffffff20, v0
	s_add_u32 s8, s4, s16
	s_addc_u32 s4, s5, s17
	s_and_b32 vcc_lo, exec_lo, s26
	s_waitcnt lgkmcnt(0)
	s_barrier
	buffer_gl0_inv
	s_cbranch_vccz .LBB1415_1303
; %bb.1246:
	v_dual_mov_b32 v3, v181 :: v_dual_mov_b32 v4, v182
	s_mov_b32 s3, 0
	ds_store_2addr_b64 v65, v[169:170], v[103:104] offset0:4 offset1:5
	ds_store_2addr_b64 v65, v[171:172], v[99:100] offset0:6 offset1:7
	ds_store_2addr_b64 v65, v[1:2], v[3:4] offset1:1
	ds_store_2addr_b64 v65, v[167:168], v[107:108] offset0:2 offset1:3
	ds_store_2addr_b64 v65, v[173:174], v[95:96] offset0:8 offset1:9
	;; [unrolled: 1-line block ×11, first 2 shown]
	v_mad_u32_u24 v3, 0xe8, v0, v66
	ds_store_b64 v65, v[111:112] offset:224
	s_waitcnt lgkmcnt(0)
	s_barrier
	buffer_gl0_inv
	ds_load_2addr_stride64_b64 v[55:58], v3 offset0:2 offset1:4
	ds_load_2addr_stride64_b64 v[51:54], v3 offset0:6 offset1:8
	;; [unrolled: 1-line block ×14, first 2 shown]
	s_lshl_b64 s[0:1], s[2:3], 3
	s_add_i32 s7, s7, s6
	s_add_u32 s0, s8, s0
	s_addc_u32 s1, s4, s1
	v_add_co_u32 v61, s0, s0, v195
	s_delay_alu instid0(VALU_DEP_1)
	v_add_co_ci_u32_e64 v62, null, s1, 0, s0
	s_mov_b32 s0, exec_lo
	v_cmpx_gt_u32_e64 s7, v0
	s_cbranch_execz .LBB1415_1248
; %bb.1247:
	v_add_nc_u32_e32 v69, v65, v66
	ds_load_b64 v[69:70], v69
	s_waitcnt lgkmcnt(0)
	global_store_b64 v[61:62], v[69:70], off
.LBB1415_1248:
	s_or_b32 exec_lo, exec_lo, s0
	v_or_b32_e32 v69, 0x80, v0
	s_mov_b32 s0, exec_lo
	s_delay_alu instid0(VALU_DEP_1)
	v_cmpx_gt_u32_e64 s7, v69
	s_cbranch_execz .LBB1415_1250
; %bb.1249:
	s_waitcnt lgkmcnt(13)
	global_store_b64 v[61:62], v[55:56], off offset:1024
.LBB1415_1250:
	s_or_b32 exec_lo, exec_lo, s0
	s_waitcnt lgkmcnt(13)
	v_or_b32_e32 v55, 0x100, v0
	s_mov_b32 s0, exec_lo
	s_delay_alu instid0(VALU_DEP_1)
	v_cmpx_gt_u32_e64 s7, v55
	s_cbranch_execz .LBB1415_1252
; %bb.1251:
	global_store_b64 v[61:62], v[57:58], off offset:2048
.LBB1415_1252:
	s_or_b32 exec_lo, exec_lo, s0
	v_or_b32_e32 v55, 0x180, v0
	s_mov_b32 s0, exec_lo
	s_delay_alu instid0(VALU_DEP_1)
	v_cmpx_gt_u32_e64 s7, v55
	s_cbranch_execz .LBB1415_1254
; %bb.1253:
	s_waitcnt lgkmcnt(12)
	global_store_b64 v[61:62], v[51:52], off offset:3072
.LBB1415_1254:
	s_or_b32 exec_lo, exec_lo, s0
	s_waitcnt lgkmcnt(12)
	v_or_b32_e32 v51, 0x200, v0
	s_mov_b32 s0, exec_lo
	s_delay_alu instid0(VALU_DEP_1)
	v_cmpx_gt_u32_e64 s7, v51
	s_cbranch_execz .LBB1415_1256
; %bb.1255:
	v_add_co_u32 v51, vcc_lo, 0x1000, v61
	v_add_co_ci_u32_e32 v52, vcc_lo, 0, v62, vcc_lo
	global_store_b64 v[51:52], v[53:54], off
.LBB1415_1256:
	s_or_b32 exec_lo, exec_lo, s0
	v_or_b32_e32 v51, 0x280, v0
	s_mov_b32 s0, exec_lo
	s_delay_alu instid0(VALU_DEP_1)
	v_cmpx_gt_u32_e64 s7, v51
	s_cbranch_execz .LBB1415_1258
; %bb.1257:
	v_add_co_u32 v51, vcc_lo, 0x1000, v61
	v_add_co_ci_u32_e32 v52, vcc_lo, 0, v62, vcc_lo
	s_waitcnt lgkmcnt(11)
	global_store_b64 v[51:52], v[47:48], off offset:1024
.LBB1415_1258:
	s_or_b32 exec_lo, exec_lo, s0
	s_waitcnt lgkmcnt(11)
	v_or_b32_e32 v47, 0x300, v0
	s_mov_b32 s0, exec_lo
	s_delay_alu instid0(VALU_DEP_1)
	v_cmpx_gt_u32_e64 s7, v47
	s_cbranch_execz .LBB1415_1260
; %bb.1259:
	v_add_co_u32 v47, vcc_lo, 0x1000, v61
	v_add_co_ci_u32_e32 v48, vcc_lo, 0, v62, vcc_lo
	global_store_b64 v[47:48], v[49:50], off offset:2048
.LBB1415_1260:
	s_or_b32 exec_lo, exec_lo, s0
	v_or_b32_e32 v47, 0x380, v0
	s_mov_b32 s0, exec_lo
	s_delay_alu instid0(VALU_DEP_1)
	v_cmpx_gt_u32_e64 s7, v47
	s_cbranch_execz .LBB1415_1262
; %bb.1261:
	v_add_co_u32 v47, vcc_lo, 0x1000, v61
	v_add_co_ci_u32_e32 v48, vcc_lo, 0, v62, vcc_lo
	s_waitcnt lgkmcnt(10)
	global_store_b64 v[47:48], v[43:44], off offset:3072
.LBB1415_1262:
	s_or_b32 exec_lo, exec_lo, s0
	s_waitcnt lgkmcnt(10)
	v_or_b32_e32 v43, 0x400, v0
	s_mov_b32 s0, exec_lo
	s_delay_alu instid0(VALU_DEP_1)
	v_cmpx_gt_u32_e64 s7, v43
	s_cbranch_execz .LBB1415_1264
; %bb.1263:
	v_add_co_u32 v43, vcc_lo, 0x2000, v61
	v_add_co_ci_u32_e32 v44, vcc_lo, 0, v62, vcc_lo
	global_store_b64 v[43:44], v[45:46], off
.LBB1415_1264:
	s_or_b32 exec_lo, exec_lo, s0
	v_or_b32_e32 v43, 0x480, v0
	s_mov_b32 s0, exec_lo
	s_delay_alu instid0(VALU_DEP_1)
	v_cmpx_gt_u32_e64 s7, v43
	s_cbranch_execz .LBB1415_1266
; %bb.1265:
	v_add_co_u32 v43, vcc_lo, 0x2000, v61
	v_add_co_ci_u32_e32 v44, vcc_lo, 0, v62, vcc_lo
	s_waitcnt lgkmcnt(9)
	global_store_b64 v[43:44], v[39:40], off offset:1024
.LBB1415_1266:
	s_or_b32 exec_lo, exec_lo, s0
	s_waitcnt lgkmcnt(9)
	v_or_b32_e32 v39, 0x500, v0
	s_mov_b32 s0, exec_lo
	s_delay_alu instid0(VALU_DEP_1)
	v_cmpx_gt_u32_e64 s7, v39
	s_cbranch_execz .LBB1415_1268
; %bb.1267:
	v_add_co_u32 v39, vcc_lo, 0x2000, v61
	v_add_co_ci_u32_e32 v40, vcc_lo, 0, v62, vcc_lo
	global_store_b64 v[39:40], v[41:42], off offset:2048
.LBB1415_1268:
	s_or_b32 exec_lo, exec_lo, s0
	v_or_b32_e32 v39, 0x580, v0
	s_mov_b32 s0, exec_lo
	s_delay_alu instid0(VALU_DEP_1)
	v_cmpx_gt_u32_e64 s7, v39
	s_cbranch_execz .LBB1415_1270
; %bb.1269:
	v_add_co_u32 v39, vcc_lo, 0x2000, v61
	v_add_co_ci_u32_e32 v40, vcc_lo, 0, v62, vcc_lo
	s_waitcnt lgkmcnt(8)
	global_store_b64 v[39:40], v[35:36], off offset:3072
.LBB1415_1270:
	;; [unrolled: 48-line block ×6, first 2 shown]
	s_or_b32 exec_lo, exec_lo, s0
	s_waitcnt lgkmcnt(0)
	v_or_b32_e32 v3, 0xe00, v0
	s_delay_alu instid0(VALU_DEP_1)
	v_cmp_gt_u32_e64 s5, s7, v3
	s_branch .LBB1415_1305
.LBB1415_1303:
	s_mov_b32 s5, 0
                                        ; implicit-def: $vgpr5_vgpr6
                                        ; implicit-def: $vgpr61_vgpr62
	s_cbranch_execz .LBB1415_1305
; %bb.1304:
	v_mad_u32_u24 v4, 0xe8, v0, v66
	ds_store_2addr_b64 v65, v[1:2], v[181:182] offset1:1
	ds_store_2addr_b64 v65, v[167:168], v[107:108] offset0:2 offset1:3
	ds_store_2addr_b64 v65, v[169:170], v[103:104] offset0:4 offset1:5
	;; [unrolled: 1-line block ×13, first 2 shown]
	ds_store_b64 v65, v[111:112] offset:224
	s_waitcnt lgkmcnt(0)
	s_waitcnt_vscnt null, 0x0
	s_barrier
	buffer_gl0_inv
	ds_load_2addr_stride64_b64 v[0:3], v4 offset1:2
	s_mov_b32 s3, 0
	ds_load_2addr_stride64_b64 v[7:10], v4 offset0:4 offset1:6
	ds_load_2addr_stride64_b64 v[11:14], v4 offset0:8 offset1:10
	;; [unrolled: 1-line block ×13, first 2 shown]
	ds_load_b64 v[5:6], v4 offset:28672
	s_lshl_b64 s[0:1], s[2:3], 3
	s_delay_alu instid0(SALU_CYCLE_1) | instskip(SKIP_2) | instid1(VALU_DEP_1)
	s_add_u32 s0, s8, s0
	s_addc_u32 s1, s4, s1
	v_add_co_u32 v61, s2, s0, v195
	v_add_co_ci_u32_e64 v62, null, s1, 0, s2
	s_or_b32 s5, s5, exec_lo
	s_waitcnt lgkmcnt(14)
	s_clause 0x1
	global_store_b64 v195, v[0:1], s[0:1]
	global_store_b64 v195, v[2:3], s[0:1] offset:1024
	s_waitcnt lgkmcnt(13)
	s_clause 0x1
	global_store_b64 v195, v[7:8], s[0:1] offset:2048
	global_store_b64 v195, v[9:10], s[0:1] offset:3072
	v_add_co_u32 v0, vcc_lo, 0x1000, v61
	v_add_co_ci_u32_e32 v1, vcc_lo, 0, v62, vcc_lo
	v_add_co_u32 v2, vcc_lo, v61, 0x2000
	v_add_co_ci_u32_e32 v3, vcc_lo, 0, v62, vcc_lo
	;; [unrolled: 2-line block ×3, first 2 shown]
	s_waitcnt lgkmcnt(10)
	s_clause 0x4
	global_store_b64 v[2:3], v[19:20], off
	global_store_b64 v[0:1], v[13:14], off offset:1024
	global_store_b64 v[0:1], v[15:16], off offset:2048
	;; [unrolled: 1-line block ×4, first 2 shown]
	v_add_co_u32 v0, vcc_lo, 0x3000, v61
	v_add_co_ci_u32_e32 v1, vcc_lo, 0, v62, vcc_lo
	v_add_co_u32 v9, vcc_lo, v61, 0x4000
	v_add_co_ci_u32_e32 v10, vcc_lo, 0, v62, vcc_lo
	;; [unrolled: 2-line block ×3, first 2 shown]
	s_waitcnt lgkmcnt(9)
	s_clause 0x1
	global_store_b64 v[7:8], v[23:24], off offset:2048
	global_store_b64 v[7:8], v[25:26], off offset:3072
	s_waitcnt lgkmcnt(8)
	global_store_b64 v[0:1], v[29:30], off offset:1024
	s_waitcnt lgkmcnt(7)
	s_clause 0x1
	global_store_b64 v[0:1], v[31:32], off offset:2048
	global_store_b64 v[0:1], v[33:34], off offset:3072
	s_waitcnt lgkmcnt(6)
	global_store_b64 v[13:14], v[37:38], off offset:1024
	s_waitcnt lgkmcnt(5)
	s_clause 0x1
	global_store_b64 v[13:14], v[39:40], off offset:2048
	global_store_b64 v[13:14], v[41:42], off offset:3072
	v_add_co_u32 v0, vcc_lo, 0x5000, v61
	v_add_co_ci_u32_e32 v1, vcc_lo, 0, v62, vcc_lo
	v_add_co_u32 v7, vcc_lo, v61, 0x6000
	v_add_co_ci_u32_e32 v8, vcc_lo, 0, v62, vcc_lo
	;; [unrolled: 2-line block ×3, first 2 shown]
	s_clause 0x1
	global_store_b64 v[9:10], v[27:28], off offset:-4096
	global_store_b64 v[9:10], v[35:36], off
	s_waitcnt lgkmcnt(4)
	global_store_b64 v[7:8], v[43:44], off offset:-4096
	s_waitcnt lgkmcnt(2)
	s_clause 0x4
	global_store_b64 v[7:8], v[51:52], off
	global_store_b64 v[0:1], v[45:46], off offset:1024
	global_store_b64 v[0:1], v[47:48], off offset:2048
	global_store_b64 v[0:1], v[49:50], off offset:3072
	global_store_b64 v[13:14], v[53:54], off offset:1024
	s_waitcnt lgkmcnt(1)
	s_clause 0x2
	global_store_b64 v[13:14], v[55:56], off offset:2048
	global_store_b64 v[2:3], v[11:12], off offset:-4096
	global_store_b64 v[13:14], v[57:58], off offset:3072
.LBB1415_1305:
	s_delay_alu instid0(VALU_DEP_1)
	s_and_saveexec_b32 s0, s5
	s_cbranch_execnz .LBB1415_1307
; %bb.1306:
	s_nop 0
	s_sendmsg sendmsg(MSG_DEALLOC_VGPRS)
	s_endpgm
.LBB1415_1307:
	v_add_co_u32 v0, vcc_lo, 0x7000, v61
	v_add_co_ci_u32_e32 v1, vcc_lo, 0, v62, vcc_lo
	s_waitcnt lgkmcnt(0)
	global_store_b64 v[0:1], v[5:6], off
	s_nop 0
	s_sendmsg sendmsg(MSG_DEALLOC_VGPRS)
	s_endpgm
	.section	.rodata,"a",@progbits
	.p2align	6, 0x0
	.amdhsa_kernel _ZN7rocprim17ROCPRIM_400000_NS6detail17trampoline_kernelINS0_14default_configENS1_35adjacent_difference_config_selectorILb1ElEEZNS1_24adjacent_difference_implIS3_Lb1ELb0EPlS7_ZN2at6native12_GLOBAL__N_124unique_dim_cuda_templateItEESt5tupleIJNS8_6TensorESD_SD_EERKSD_lbbbEUlllE1_EE10hipError_tPvRmT2_T3_mT4_P12ihipStream_tbEUlT_E_NS1_11comp_targetILNS1_3genE9ELNS1_11target_archE1100ELNS1_3gpuE3ELNS1_3repE0EEENS1_30default_config_static_selectorELNS0_4arch9wavefront6targetE0EEEvT1_
		.amdhsa_group_segment_fixed_size 29696
		.amdhsa_private_segment_fixed_size 0
		.amdhsa_kernarg_size 64
		.amdhsa_user_sgpr_count 15
		.amdhsa_user_sgpr_dispatch_ptr 0
		.amdhsa_user_sgpr_queue_ptr 0
		.amdhsa_user_sgpr_kernarg_segment_ptr 1
		.amdhsa_user_sgpr_dispatch_id 0
		.amdhsa_user_sgpr_private_segment_size 0
		.amdhsa_wavefront_size32 1
		.amdhsa_uses_dynamic_stack 0
		.amdhsa_enable_private_segment 0
		.amdhsa_system_sgpr_workgroup_id_x 1
		.amdhsa_system_sgpr_workgroup_id_y 0
		.amdhsa_system_sgpr_workgroup_id_z 0
		.amdhsa_system_sgpr_workgroup_info 0
		.amdhsa_system_vgpr_workitem_id 0
		.amdhsa_next_free_vgpr 196
		.amdhsa_next_free_sgpr 30
		.amdhsa_reserve_vcc 1
		.amdhsa_float_round_mode_32 0
		.amdhsa_float_round_mode_16_64 0
		.amdhsa_float_denorm_mode_32 3
		.amdhsa_float_denorm_mode_16_64 3
		.amdhsa_dx10_clamp 1
		.amdhsa_ieee_mode 1
		.amdhsa_fp16_overflow 0
		.amdhsa_workgroup_processor_mode 1
		.amdhsa_memory_ordered 1
		.amdhsa_forward_progress 0
		.amdhsa_shared_vgpr_count 0
		.amdhsa_exception_fp_ieee_invalid_op 0
		.amdhsa_exception_fp_denorm_src 0
		.amdhsa_exception_fp_ieee_div_zero 0
		.amdhsa_exception_fp_ieee_overflow 0
		.amdhsa_exception_fp_ieee_underflow 0
		.amdhsa_exception_fp_ieee_inexact 0
		.amdhsa_exception_int_div_zero 0
	.end_amdhsa_kernel
	.section	.text._ZN7rocprim17ROCPRIM_400000_NS6detail17trampoline_kernelINS0_14default_configENS1_35adjacent_difference_config_selectorILb1ElEEZNS1_24adjacent_difference_implIS3_Lb1ELb0EPlS7_ZN2at6native12_GLOBAL__N_124unique_dim_cuda_templateItEESt5tupleIJNS8_6TensorESD_SD_EERKSD_lbbbEUlllE1_EE10hipError_tPvRmT2_T3_mT4_P12ihipStream_tbEUlT_E_NS1_11comp_targetILNS1_3genE9ELNS1_11target_archE1100ELNS1_3gpuE3ELNS1_3repE0EEENS1_30default_config_static_selectorELNS0_4arch9wavefront6targetE0EEEvT1_,"axG",@progbits,_ZN7rocprim17ROCPRIM_400000_NS6detail17trampoline_kernelINS0_14default_configENS1_35adjacent_difference_config_selectorILb1ElEEZNS1_24adjacent_difference_implIS3_Lb1ELb0EPlS7_ZN2at6native12_GLOBAL__N_124unique_dim_cuda_templateItEESt5tupleIJNS8_6TensorESD_SD_EERKSD_lbbbEUlllE1_EE10hipError_tPvRmT2_T3_mT4_P12ihipStream_tbEUlT_E_NS1_11comp_targetILNS1_3genE9ELNS1_11target_archE1100ELNS1_3gpuE3ELNS1_3repE0EEENS1_30default_config_static_selectorELNS0_4arch9wavefront6targetE0EEEvT1_,comdat
.Lfunc_end1415:
	.size	_ZN7rocprim17ROCPRIM_400000_NS6detail17trampoline_kernelINS0_14default_configENS1_35adjacent_difference_config_selectorILb1ElEEZNS1_24adjacent_difference_implIS3_Lb1ELb0EPlS7_ZN2at6native12_GLOBAL__N_124unique_dim_cuda_templateItEESt5tupleIJNS8_6TensorESD_SD_EERKSD_lbbbEUlllE1_EE10hipError_tPvRmT2_T3_mT4_P12ihipStream_tbEUlT_E_NS1_11comp_targetILNS1_3genE9ELNS1_11target_archE1100ELNS1_3gpuE3ELNS1_3repE0EEENS1_30default_config_static_selectorELNS0_4arch9wavefront6targetE0EEEvT1_, .Lfunc_end1415-_ZN7rocprim17ROCPRIM_400000_NS6detail17trampoline_kernelINS0_14default_configENS1_35adjacent_difference_config_selectorILb1ElEEZNS1_24adjacent_difference_implIS3_Lb1ELb0EPlS7_ZN2at6native12_GLOBAL__N_124unique_dim_cuda_templateItEESt5tupleIJNS8_6TensorESD_SD_EERKSD_lbbbEUlllE1_EE10hipError_tPvRmT2_T3_mT4_P12ihipStream_tbEUlT_E_NS1_11comp_targetILNS1_3genE9ELNS1_11target_archE1100ELNS1_3gpuE3ELNS1_3repE0EEENS1_30default_config_static_selectorELNS0_4arch9wavefront6targetE0EEEvT1_
                                        ; -- End function
	.section	.AMDGPU.csdata,"",@progbits
; Kernel info:
; codeLenInByte = 52496
; NumSgprs: 32
; NumVgprs: 196
; ScratchSize: 0
; MemoryBound: 0
; FloatMode: 240
; IeeeMode: 1
; LDSByteSize: 29696 bytes/workgroup (compile time only)
; SGPRBlocks: 3
; VGPRBlocks: 24
; NumSGPRsForWavesPerEU: 32
; NumVGPRsForWavesPerEU: 196
; Occupancy: 4
; WaveLimiterHint : 1
; COMPUTE_PGM_RSRC2:SCRATCH_EN: 0
; COMPUTE_PGM_RSRC2:USER_SGPR: 15
; COMPUTE_PGM_RSRC2:TRAP_HANDLER: 0
; COMPUTE_PGM_RSRC2:TGID_X_EN: 1
; COMPUTE_PGM_RSRC2:TGID_Y_EN: 0
; COMPUTE_PGM_RSRC2:TGID_Z_EN: 0
; COMPUTE_PGM_RSRC2:TIDIG_COMP_CNT: 0
	.section	.text._ZN7rocprim17ROCPRIM_400000_NS6detail17trampoline_kernelINS0_14default_configENS1_35adjacent_difference_config_selectorILb1ElEEZNS1_24adjacent_difference_implIS3_Lb1ELb0EPlS7_ZN2at6native12_GLOBAL__N_124unique_dim_cuda_templateItEESt5tupleIJNS8_6TensorESD_SD_EERKSD_lbbbEUlllE1_EE10hipError_tPvRmT2_T3_mT4_P12ihipStream_tbEUlT_E_NS1_11comp_targetILNS1_3genE8ELNS1_11target_archE1030ELNS1_3gpuE2ELNS1_3repE0EEENS1_30default_config_static_selectorELNS0_4arch9wavefront6targetE0EEEvT1_,"axG",@progbits,_ZN7rocprim17ROCPRIM_400000_NS6detail17trampoline_kernelINS0_14default_configENS1_35adjacent_difference_config_selectorILb1ElEEZNS1_24adjacent_difference_implIS3_Lb1ELb0EPlS7_ZN2at6native12_GLOBAL__N_124unique_dim_cuda_templateItEESt5tupleIJNS8_6TensorESD_SD_EERKSD_lbbbEUlllE1_EE10hipError_tPvRmT2_T3_mT4_P12ihipStream_tbEUlT_E_NS1_11comp_targetILNS1_3genE8ELNS1_11target_archE1030ELNS1_3gpuE2ELNS1_3repE0EEENS1_30default_config_static_selectorELNS0_4arch9wavefront6targetE0EEEvT1_,comdat
	.globl	_ZN7rocprim17ROCPRIM_400000_NS6detail17trampoline_kernelINS0_14default_configENS1_35adjacent_difference_config_selectorILb1ElEEZNS1_24adjacent_difference_implIS3_Lb1ELb0EPlS7_ZN2at6native12_GLOBAL__N_124unique_dim_cuda_templateItEESt5tupleIJNS8_6TensorESD_SD_EERKSD_lbbbEUlllE1_EE10hipError_tPvRmT2_T3_mT4_P12ihipStream_tbEUlT_E_NS1_11comp_targetILNS1_3genE8ELNS1_11target_archE1030ELNS1_3gpuE2ELNS1_3repE0EEENS1_30default_config_static_selectorELNS0_4arch9wavefront6targetE0EEEvT1_ ; -- Begin function _ZN7rocprim17ROCPRIM_400000_NS6detail17trampoline_kernelINS0_14default_configENS1_35adjacent_difference_config_selectorILb1ElEEZNS1_24adjacent_difference_implIS3_Lb1ELb0EPlS7_ZN2at6native12_GLOBAL__N_124unique_dim_cuda_templateItEESt5tupleIJNS8_6TensorESD_SD_EERKSD_lbbbEUlllE1_EE10hipError_tPvRmT2_T3_mT4_P12ihipStream_tbEUlT_E_NS1_11comp_targetILNS1_3genE8ELNS1_11target_archE1030ELNS1_3gpuE2ELNS1_3repE0EEENS1_30default_config_static_selectorELNS0_4arch9wavefront6targetE0EEEvT1_
	.p2align	8
	.type	_ZN7rocprim17ROCPRIM_400000_NS6detail17trampoline_kernelINS0_14default_configENS1_35adjacent_difference_config_selectorILb1ElEEZNS1_24adjacent_difference_implIS3_Lb1ELb0EPlS7_ZN2at6native12_GLOBAL__N_124unique_dim_cuda_templateItEESt5tupleIJNS8_6TensorESD_SD_EERKSD_lbbbEUlllE1_EE10hipError_tPvRmT2_T3_mT4_P12ihipStream_tbEUlT_E_NS1_11comp_targetILNS1_3genE8ELNS1_11target_archE1030ELNS1_3gpuE2ELNS1_3repE0EEENS1_30default_config_static_selectorELNS0_4arch9wavefront6targetE0EEEvT1_,@function
_ZN7rocprim17ROCPRIM_400000_NS6detail17trampoline_kernelINS0_14default_configENS1_35adjacent_difference_config_selectorILb1ElEEZNS1_24adjacent_difference_implIS3_Lb1ELb0EPlS7_ZN2at6native12_GLOBAL__N_124unique_dim_cuda_templateItEESt5tupleIJNS8_6TensorESD_SD_EERKSD_lbbbEUlllE1_EE10hipError_tPvRmT2_T3_mT4_P12ihipStream_tbEUlT_E_NS1_11comp_targetILNS1_3genE8ELNS1_11target_archE1030ELNS1_3gpuE2ELNS1_3repE0EEENS1_30default_config_static_selectorELNS0_4arch9wavefront6targetE0EEEvT1_: ; @_ZN7rocprim17ROCPRIM_400000_NS6detail17trampoline_kernelINS0_14default_configENS1_35adjacent_difference_config_selectorILb1ElEEZNS1_24adjacent_difference_implIS3_Lb1ELb0EPlS7_ZN2at6native12_GLOBAL__N_124unique_dim_cuda_templateItEESt5tupleIJNS8_6TensorESD_SD_EERKSD_lbbbEUlllE1_EE10hipError_tPvRmT2_T3_mT4_P12ihipStream_tbEUlT_E_NS1_11comp_targetILNS1_3genE8ELNS1_11target_archE1030ELNS1_3gpuE2ELNS1_3repE0EEENS1_30default_config_static_selectorELNS0_4arch9wavefront6targetE0EEEvT1_
; %bb.0:
	.section	.rodata,"a",@progbits
	.p2align	6, 0x0
	.amdhsa_kernel _ZN7rocprim17ROCPRIM_400000_NS6detail17trampoline_kernelINS0_14default_configENS1_35adjacent_difference_config_selectorILb1ElEEZNS1_24adjacent_difference_implIS3_Lb1ELb0EPlS7_ZN2at6native12_GLOBAL__N_124unique_dim_cuda_templateItEESt5tupleIJNS8_6TensorESD_SD_EERKSD_lbbbEUlllE1_EE10hipError_tPvRmT2_T3_mT4_P12ihipStream_tbEUlT_E_NS1_11comp_targetILNS1_3genE8ELNS1_11target_archE1030ELNS1_3gpuE2ELNS1_3repE0EEENS1_30default_config_static_selectorELNS0_4arch9wavefront6targetE0EEEvT1_
		.amdhsa_group_segment_fixed_size 0
		.amdhsa_private_segment_fixed_size 0
		.amdhsa_kernarg_size 64
		.amdhsa_user_sgpr_count 15
		.amdhsa_user_sgpr_dispatch_ptr 0
		.amdhsa_user_sgpr_queue_ptr 0
		.amdhsa_user_sgpr_kernarg_segment_ptr 1
		.amdhsa_user_sgpr_dispatch_id 0
		.amdhsa_user_sgpr_private_segment_size 0
		.amdhsa_wavefront_size32 1
		.amdhsa_uses_dynamic_stack 0
		.amdhsa_enable_private_segment 0
		.amdhsa_system_sgpr_workgroup_id_x 1
		.amdhsa_system_sgpr_workgroup_id_y 0
		.amdhsa_system_sgpr_workgroup_id_z 0
		.amdhsa_system_sgpr_workgroup_info 0
		.amdhsa_system_vgpr_workitem_id 0
		.amdhsa_next_free_vgpr 1
		.amdhsa_next_free_sgpr 1
		.amdhsa_reserve_vcc 0
		.amdhsa_float_round_mode_32 0
		.amdhsa_float_round_mode_16_64 0
		.amdhsa_float_denorm_mode_32 3
		.amdhsa_float_denorm_mode_16_64 3
		.amdhsa_dx10_clamp 1
		.amdhsa_ieee_mode 1
		.amdhsa_fp16_overflow 0
		.amdhsa_workgroup_processor_mode 1
		.amdhsa_memory_ordered 1
		.amdhsa_forward_progress 0
		.amdhsa_shared_vgpr_count 0
		.amdhsa_exception_fp_ieee_invalid_op 0
		.amdhsa_exception_fp_denorm_src 0
		.amdhsa_exception_fp_ieee_div_zero 0
		.amdhsa_exception_fp_ieee_overflow 0
		.amdhsa_exception_fp_ieee_underflow 0
		.amdhsa_exception_fp_ieee_inexact 0
		.amdhsa_exception_int_div_zero 0
	.end_amdhsa_kernel
	.section	.text._ZN7rocprim17ROCPRIM_400000_NS6detail17trampoline_kernelINS0_14default_configENS1_35adjacent_difference_config_selectorILb1ElEEZNS1_24adjacent_difference_implIS3_Lb1ELb0EPlS7_ZN2at6native12_GLOBAL__N_124unique_dim_cuda_templateItEESt5tupleIJNS8_6TensorESD_SD_EERKSD_lbbbEUlllE1_EE10hipError_tPvRmT2_T3_mT4_P12ihipStream_tbEUlT_E_NS1_11comp_targetILNS1_3genE8ELNS1_11target_archE1030ELNS1_3gpuE2ELNS1_3repE0EEENS1_30default_config_static_selectorELNS0_4arch9wavefront6targetE0EEEvT1_,"axG",@progbits,_ZN7rocprim17ROCPRIM_400000_NS6detail17trampoline_kernelINS0_14default_configENS1_35adjacent_difference_config_selectorILb1ElEEZNS1_24adjacent_difference_implIS3_Lb1ELb0EPlS7_ZN2at6native12_GLOBAL__N_124unique_dim_cuda_templateItEESt5tupleIJNS8_6TensorESD_SD_EERKSD_lbbbEUlllE1_EE10hipError_tPvRmT2_T3_mT4_P12ihipStream_tbEUlT_E_NS1_11comp_targetILNS1_3genE8ELNS1_11target_archE1030ELNS1_3gpuE2ELNS1_3repE0EEENS1_30default_config_static_selectorELNS0_4arch9wavefront6targetE0EEEvT1_,comdat
.Lfunc_end1416:
	.size	_ZN7rocprim17ROCPRIM_400000_NS6detail17trampoline_kernelINS0_14default_configENS1_35adjacent_difference_config_selectorILb1ElEEZNS1_24adjacent_difference_implIS3_Lb1ELb0EPlS7_ZN2at6native12_GLOBAL__N_124unique_dim_cuda_templateItEESt5tupleIJNS8_6TensorESD_SD_EERKSD_lbbbEUlllE1_EE10hipError_tPvRmT2_T3_mT4_P12ihipStream_tbEUlT_E_NS1_11comp_targetILNS1_3genE8ELNS1_11target_archE1030ELNS1_3gpuE2ELNS1_3repE0EEENS1_30default_config_static_selectorELNS0_4arch9wavefront6targetE0EEEvT1_, .Lfunc_end1416-_ZN7rocprim17ROCPRIM_400000_NS6detail17trampoline_kernelINS0_14default_configENS1_35adjacent_difference_config_selectorILb1ElEEZNS1_24adjacent_difference_implIS3_Lb1ELb0EPlS7_ZN2at6native12_GLOBAL__N_124unique_dim_cuda_templateItEESt5tupleIJNS8_6TensorESD_SD_EERKSD_lbbbEUlllE1_EE10hipError_tPvRmT2_T3_mT4_P12ihipStream_tbEUlT_E_NS1_11comp_targetILNS1_3genE8ELNS1_11target_archE1030ELNS1_3gpuE2ELNS1_3repE0EEENS1_30default_config_static_selectorELNS0_4arch9wavefront6targetE0EEEvT1_
                                        ; -- End function
	.section	.AMDGPU.csdata,"",@progbits
; Kernel info:
; codeLenInByte = 0
; NumSgprs: 0
; NumVgprs: 0
; ScratchSize: 0
; MemoryBound: 0
; FloatMode: 240
; IeeeMode: 1
; LDSByteSize: 0 bytes/workgroup (compile time only)
; SGPRBlocks: 0
; VGPRBlocks: 0
; NumSGPRsForWavesPerEU: 1
; NumVGPRsForWavesPerEU: 1
; Occupancy: 16
; WaveLimiterHint : 0
; COMPUTE_PGM_RSRC2:SCRATCH_EN: 0
; COMPUTE_PGM_RSRC2:USER_SGPR: 15
; COMPUTE_PGM_RSRC2:TRAP_HANDLER: 0
; COMPUTE_PGM_RSRC2:TGID_X_EN: 1
; COMPUTE_PGM_RSRC2:TGID_Y_EN: 0
; COMPUTE_PGM_RSRC2:TGID_Z_EN: 0
; COMPUTE_PGM_RSRC2:TIDIG_COMP_CNT: 0
	.section	.text._ZN7rocprim17ROCPRIM_400000_NS6detail17trampoline_kernelINS0_14default_configENS1_25partition_config_selectorILNS1_17partition_subalgoE8ElNS0_10empty_typeEbEEZZNS1_14partition_implILS5_8ELb0ES3_jPlPS6_PKS6_NS0_5tupleIJS9_S6_EEENSD_IJSA_SA_EEENS0_18inequality_wrapperIZN2at6native12_GLOBAL__N_124unique_dim_cuda_templateItEESt5tupleIJNSH_6TensorESM_SM_EERKSM_lbbbEUlllE0_EEPmJS6_EEE10hipError_tPvRmT3_T4_T5_T6_T7_T9_mT8_P12ihipStream_tbDpT10_ENKUlT_T0_E_clISt17integral_constantIbLb0EES1C_EEDaS17_S18_EUlS17_E_NS1_11comp_targetILNS1_3genE0ELNS1_11target_archE4294967295ELNS1_3gpuE0ELNS1_3repE0EEENS1_30default_config_static_selectorELNS0_4arch9wavefront6targetE0EEEvT1_,"axG",@progbits,_ZN7rocprim17ROCPRIM_400000_NS6detail17trampoline_kernelINS0_14default_configENS1_25partition_config_selectorILNS1_17partition_subalgoE8ElNS0_10empty_typeEbEEZZNS1_14partition_implILS5_8ELb0ES3_jPlPS6_PKS6_NS0_5tupleIJS9_S6_EEENSD_IJSA_SA_EEENS0_18inequality_wrapperIZN2at6native12_GLOBAL__N_124unique_dim_cuda_templateItEESt5tupleIJNSH_6TensorESM_SM_EERKSM_lbbbEUlllE0_EEPmJS6_EEE10hipError_tPvRmT3_T4_T5_T6_T7_T9_mT8_P12ihipStream_tbDpT10_ENKUlT_T0_E_clISt17integral_constantIbLb0EES1C_EEDaS17_S18_EUlS17_E_NS1_11comp_targetILNS1_3genE0ELNS1_11target_archE4294967295ELNS1_3gpuE0ELNS1_3repE0EEENS1_30default_config_static_selectorELNS0_4arch9wavefront6targetE0EEEvT1_,comdat
	.globl	_ZN7rocprim17ROCPRIM_400000_NS6detail17trampoline_kernelINS0_14default_configENS1_25partition_config_selectorILNS1_17partition_subalgoE8ElNS0_10empty_typeEbEEZZNS1_14partition_implILS5_8ELb0ES3_jPlPS6_PKS6_NS0_5tupleIJS9_S6_EEENSD_IJSA_SA_EEENS0_18inequality_wrapperIZN2at6native12_GLOBAL__N_124unique_dim_cuda_templateItEESt5tupleIJNSH_6TensorESM_SM_EERKSM_lbbbEUlllE0_EEPmJS6_EEE10hipError_tPvRmT3_T4_T5_T6_T7_T9_mT8_P12ihipStream_tbDpT10_ENKUlT_T0_E_clISt17integral_constantIbLb0EES1C_EEDaS17_S18_EUlS17_E_NS1_11comp_targetILNS1_3genE0ELNS1_11target_archE4294967295ELNS1_3gpuE0ELNS1_3repE0EEENS1_30default_config_static_selectorELNS0_4arch9wavefront6targetE0EEEvT1_ ; -- Begin function _ZN7rocprim17ROCPRIM_400000_NS6detail17trampoline_kernelINS0_14default_configENS1_25partition_config_selectorILNS1_17partition_subalgoE8ElNS0_10empty_typeEbEEZZNS1_14partition_implILS5_8ELb0ES3_jPlPS6_PKS6_NS0_5tupleIJS9_S6_EEENSD_IJSA_SA_EEENS0_18inequality_wrapperIZN2at6native12_GLOBAL__N_124unique_dim_cuda_templateItEESt5tupleIJNSH_6TensorESM_SM_EERKSM_lbbbEUlllE0_EEPmJS6_EEE10hipError_tPvRmT3_T4_T5_T6_T7_T9_mT8_P12ihipStream_tbDpT10_ENKUlT_T0_E_clISt17integral_constantIbLb0EES1C_EEDaS17_S18_EUlS17_E_NS1_11comp_targetILNS1_3genE0ELNS1_11target_archE4294967295ELNS1_3gpuE0ELNS1_3repE0EEENS1_30default_config_static_selectorELNS0_4arch9wavefront6targetE0EEEvT1_
	.p2align	8
	.type	_ZN7rocprim17ROCPRIM_400000_NS6detail17trampoline_kernelINS0_14default_configENS1_25partition_config_selectorILNS1_17partition_subalgoE8ElNS0_10empty_typeEbEEZZNS1_14partition_implILS5_8ELb0ES3_jPlPS6_PKS6_NS0_5tupleIJS9_S6_EEENSD_IJSA_SA_EEENS0_18inequality_wrapperIZN2at6native12_GLOBAL__N_124unique_dim_cuda_templateItEESt5tupleIJNSH_6TensorESM_SM_EERKSM_lbbbEUlllE0_EEPmJS6_EEE10hipError_tPvRmT3_T4_T5_T6_T7_T9_mT8_P12ihipStream_tbDpT10_ENKUlT_T0_E_clISt17integral_constantIbLb0EES1C_EEDaS17_S18_EUlS17_E_NS1_11comp_targetILNS1_3genE0ELNS1_11target_archE4294967295ELNS1_3gpuE0ELNS1_3repE0EEENS1_30default_config_static_selectorELNS0_4arch9wavefront6targetE0EEEvT1_,@function
_ZN7rocprim17ROCPRIM_400000_NS6detail17trampoline_kernelINS0_14default_configENS1_25partition_config_selectorILNS1_17partition_subalgoE8ElNS0_10empty_typeEbEEZZNS1_14partition_implILS5_8ELb0ES3_jPlPS6_PKS6_NS0_5tupleIJS9_S6_EEENSD_IJSA_SA_EEENS0_18inequality_wrapperIZN2at6native12_GLOBAL__N_124unique_dim_cuda_templateItEESt5tupleIJNSH_6TensorESM_SM_EERKSM_lbbbEUlllE0_EEPmJS6_EEE10hipError_tPvRmT3_T4_T5_T6_T7_T9_mT8_P12ihipStream_tbDpT10_ENKUlT_T0_E_clISt17integral_constantIbLb0EES1C_EEDaS17_S18_EUlS17_E_NS1_11comp_targetILNS1_3genE0ELNS1_11target_archE4294967295ELNS1_3gpuE0ELNS1_3repE0EEENS1_30default_config_static_selectorELNS0_4arch9wavefront6targetE0EEEvT1_: ; @_ZN7rocprim17ROCPRIM_400000_NS6detail17trampoline_kernelINS0_14default_configENS1_25partition_config_selectorILNS1_17partition_subalgoE8ElNS0_10empty_typeEbEEZZNS1_14partition_implILS5_8ELb0ES3_jPlPS6_PKS6_NS0_5tupleIJS9_S6_EEENSD_IJSA_SA_EEENS0_18inequality_wrapperIZN2at6native12_GLOBAL__N_124unique_dim_cuda_templateItEESt5tupleIJNSH_6TensorESM_SM_EERKSM_lbbbEUlllE0_EEPmJS6_EEE10hipError_tPvRmT3_T4_T5_T6_T7_T9_mT8_P12ihipStream_tbDpT10_ENKUlT_T0_E_clISt17integral_constantIbLb0EES1C_EEDaS17_S18_EUlS17_E_NS1_11comp_targetILNS1_3genE0ELNS1_11target_archE4294967295ELNS1_3gpuE0ELNS1_3repE0EEENS1_30default_config_static_selectorELNS0_4arch9wavefront6targetE0EEEvT1_
; %bb.0:
	.section	.rodata,"a",@progbits
	.p2align	6, 0x0
	.amdhsa_kernel _ZN7rocprim17ROCPRIM_400000_NS6detail17trampoline_kernelINS0_14default_configENS1_25partition_config_selectorILNS1_17partition_subalgoE8ElNS0_10empty_typeEbEEZZNS1_14partition_implILS5_8ELb0ES3_jPlPS6_PKS6_NS0_5tupleIJS9_S6_EEENSD_IJSA_SA_EEENS0_18inequality_wrapperIZN2at6native12_GLOBAL__N_124unique_dim_cuda_templateItEESt5tupleIJNSH_6TensorESM_SM_EERKSM_lbbbEUlllE0_EEPmJS6_EEE10hipError_tPvRmT3_T4_T5_T6_T7_T9_mT8_P12ihipStream_tbDpT10_ENKUlT_T0_E_clISt17integral_constantIbLb0EES1C_EEDaS17_S18_EUlS17_E_NS1_11comp_targetILNS1_3genE0ELNS1_11target_archE4294967295ELNS1_3gpuE0ELNS1_3repE0EEENS1_30default_config_static_selectorELNS0_4arch9wavefront6targetE0EEEvT1_
		.amdhsa_group_segment_fixed_size 0
		.amdhsa_private_segment_fixed_size 0
		.amdhsa_kernarg_size 120
		.amdhsa_user_sgpr_count 15
		.amdhsa_user_sgpr_dispatch_ptr 0
		.amdhsa_user_sgpr_queue_ptr 0
		.amdhsa_user_sgpr_kernarg_segment_ptr 1
		.amdhsa_user_sgpr_dispatch_id 0
		.amdhsa_user_sgpr_private_segment_size 0
		.amdhsa_wavefront_size32 1
		.amdhsa_uses_dynamic_stack 0
		.amdhsa_enable_private_segment 0
		.amdhsa_system_sgpr_workgroup_id_x 1
		.amdhsa_system_sgpr_workgroup_id_y 0
		.amdhsa_system_sgpr_workgroup_id_z 0
		.amdhsa_system_sgpr_workgroup_info 0
		.amdhsa_system_vgpr_workitem_id 0
		.amdhsa_next_free_vgpr 1
		.amdhsa_next_free_sgpr 1
		.amdhsa_reserve_vcc 0
		.amdhsa_float_round_mode_32 0
		.amdhsa_float_round_mode_16_64 0
		.amdhsa_float_denorm_mode_32 3
		.amdhsa_float_denorm_mode_16_64 3
		.amdhsa_dx10_clamp 1
		.amdhsa_ieee_mode 1
		.amdhsa_fp16_overflow 0
		.amdhsa_workgroup_processor_mode 1
		.amdhsa_memory_ordered 1
		.amdhsa_forward_progress 0
		.amdhsa_shared_vgpr_count 0
		.amdhsa_exception_fp_ieee_invalid_op 0
		.amdhsa_exception_fp_denorm_src 0
		.amdhsa_exception_fp_ieee_div_zero 0
		.amdhsa_exception_fp_ieee_overflow 0
		.amdhsa_exception_fp_ieee_underflow 0
		.amdhsa_exception_fp_ieee_inexact 0
		.amdhsa_exception_int_div_zero 0
	.end_amdhsa_kernel
	.section	.text._ZN7rocprim17ROCPRIM_400000_NS6detail17trampoline_kernelINS0_14default_configENS1_25partition_config_selectorILNS1_17partition_subalgoE8ElNS0_10empty_typeEbEEZZNS1_14partition_implILS5_8ELb0ES3_jPlPS6_PKS6_NS0_5tupleIJS9_S6_EEENSD_IJSA_SA_EEENS0_18inequality_wrapperIZN2at6native12_GLOBAL__N_124unique_dim_cuda_templateItEESt5tupleIJNSH_6TensorESM_SM_EERKSM_lbbbEUlllE0_EEPmJS6_EEE10hipError_tPvRmT3_T4_T5_T6_T7_T9_mT8_P12ihipStream_tbDpT10_ENKUlT_T0_E_clISt17integral_constantIbLb0EES1C_EEDaS17_S18_EUlS17_E_NS1_11comp_targetILNS1_3genE0ELNS1_11target_archE4294967295ELNS1_3gpuE0ELNS1_3repE0EEENS1_30default_config_static_selectorELNS0_4arch9wavefront6targetE0EEEvT1_,"axG",@progbits,_ZN7rocprim17ROCPRIM_400000_NS6detail17trampoline_kernelINS0_14default_configENS1_25partition_config_selectorILNS1_17partition_subalgoE8ElNS0_10empty_typeEbEEZZNS1_14partition_implILS5_8ELb0ES3_jPlPS6_PKS6_NS0_5tupleIJS9_S6_EEENSD_IJSA_SA_EEENS0_18inequality_wrapperIZN2at6native12_GLOBAL__N_124unique_dim_cuda_templateItEESt5tupleIJNSH_6TensorESM_SM_EERKSM_lbbbEUlllE0_EEPmJS6_EEE10hipError_tPvRmT3_T4_T5_T6_T7_T9_mT8_P12ihipStream_tbDpT10_ENKUlT_T0_E_clISt17integral_constantIbLb0EES1C_EEDaS17_S18_EUlS17_E_NS1_11comp_targetILNS1_3genE0ELNS1_11target_archE4294967295ELNS1_3gpuE0ELNS1_3repE0EEENS1_30default_config_static_selectorELNS0_4arch9wavefront6targetE0EEEvT1_,comdat
.Lfunc_end1417:
	.size	_ZN7rocprim17ROCPRIM_400000_NS6detail17trampoline_kernelINS0_14default_configENS1_25partition_config_selectorILNS1_17partition_subalgoE8ElNS0_10empty_typeEbEEZZNS1_14partition_implILS5_8ELb0ES3_jPlPS6_PKS6_NS0_5tupleIJS9_S6_EEENSD_IJSA_SA_EEENS0_18inequality_wrapperIZN2at6native12_GLOBAL__N_124unique_dim_cuda_templateItEESt5tupleIJNSH_6TensorESM_SM_EERKSM_lbbbEUlllE0_EEPmJS6_EEE10hipError_tPvRmT3_T4_T5_T6_T7_T9_mT8_P12ihipStream_tbDpT10_ENKUlT_T0_E_clISt17integral_constantIbLb0EES1C_EEDaS17_S18_EUlS17_E_NS1_11comp_targetILNS1_3genE0ELNS1_11target_archE4294967295ELNS1_3gpuE0ELNS1_3repE0EEENS1_30default_config_static_selectorELNS0_4arch9wavefront6targetE0EEEvT1_, .Lfunc_end1417-_ZN7rocprim17ROCPRIM_400000_NS6detail17trampoline_kernelINS0_14default_configENS1_25partition_config_selectorILNS1_17partition_subalgoE8ElNS0_10empty_typeEbEEZZNS1_14partition_implILS5_8ELb0ES3_jPlPS6_PKS6_NS0_5tupleIJS9_S6_EEENSD_IJSA_SA_EEENS0_18inequality_wrapperIZN2at6native12_GLOBAL__N_124unique_dim_cuda_templateItEESt5tupleIJNSH_6TensorESM_SM_EERKSM_lbbbEUlllE0_EEPmJS6_EEE10hipError_tPvRmT3_T4_T5_T6_T7_T9_mT8_P12ihipStream_tbDpT10_ENKUlT_T0_E_clISt17integral_constantIbLb0EES1C_EEDaS17_S18_EUlS17_E_NS1_11comp_targetILNS1_3genE0ELNS1_11target_archE4294967295ELNS1_3gpuE0ELNS1_3repE0EEENS1_30default_config_static_selectorELNS0_4arch9wavefront6targetE0EEEvT1_
                                        ; -- End function
	.section	.AMDGPU.csdata,"",@progbits
; Kernel info:
; codeLenInByte = 0
; NumSgprs: 0
; NumVgprs: 0
; ScratchSize: 0
; MemoryBound: 0
; FloatMode: 240
; IeeeMode: 1
; LDSByteSize: 0 bytes/workgroup (compile time only)
; SGPRBlocks: 0
; VGPRBlocks: 0
; NumSGPRsForWavesPerEU: 1
; NumVGPRsForWavesPerEU: 1
; Occupancy: 16
; WaveLimiterHint : 0
; COMPUTE_PGM_RSRC2:SCRATCH_EN: 0
; COMPUTE_PGM_RSRC2:USER_SGPR: 15
; COMPUTE_PGM_RSRC2:TRAP_HANDLER: 0
; COMPUTE_PGM_RSRC2:TGID_X_EN: 1
; COMPUTE_PGM_RSRC2:TGID_Y_EN: 0
; COMPUTE_PGM_RSRC2:TGID_Z_EN: 0
; COMPUTE_PGM_RSRC2:TIDIG_COMP_CNT: 0
	.section	.text._ZN7rocprim17ROCPRIM_400000_NS6detail17trampoline_kernelINS0_14default_configENS1_25partition_config_selectorILNS1_17partition_subalgoE8ElNS0_10empty_typeEbEEZZNS1_14partition_implILS5_8ELb0ES3_jPlPS6_PKS6_NS0_5tupleIJS9_S6_EEENSD_IJSA_SA_EEENS0_18inequality_wrapperIZN2at6native12_GLOBAL__N_124unique_dim_cuda_templateItEESt5tupleIJNSH_6TensorESM_SM_EERKSM_lbbbEUlllE0_EEPmJS6_EEE10hipError_tPvRmT3_T4_T5_T6_T7_T9_mT8_P12ihipStream_tbDpT10_ENKUlT_T0_E_clISt17integral_constantIbLb0EES1C_EEDaS17_S18_EUlS17_E_NS1_11comp_targetILNS1_3genE5ELNS1_11target_archE942ELNS1_3gpuE9ELNS1_3repE0EEENS1_30default_config_static_selectorELNS0_4arch9wavefront6targetE0EEEvT1_,"axG",@progbits,_ZN7rocprim17ROCPRIM_400000_NS6detail17trampoline_kernelINS0_14default_configENS1_25partition_config_selectorILNS1_17partition_subalgoE8ElNS0_10empty_typeEbEEZZNS1_14partition_implILS5_8ELb0ES3_jPlPS6_PKS6_NS0_5tupleIJS9_S6_EEENSD_IJSA_SA_EEENS0_18inequality_wrapperIZN2at6native12_GLOBAL__N_124unique_dim_cuda_templateItEESt5tupleIJNSH_6TensorESM_SM_EERKSM_lbbbEUlllE0_EEPmJS6_EEE10hipError_tPvRmT3_T4_T5_T6_T7_T9_mT8_P12ihipStream_tbDpT10_ENKUlT_T0_E_clISt17integral_constantIbLb0EES1C_EEDaS17_S18_EUlS17_E_NS1_11comp_targetILNS1_3genE5ELNS1_11target_archE942ELNS1_3gpuE9ELNS1_3repE0EEENS1_30default_config_static_selectorELNS0_4arch9wavefront6targetE0EEEvT1_,comdat
	.globl	_ZN7rocprim17ROCPRIM_400000_NS6detail17trampoline_kernelINS0_14default_configENS1_25partition_config_selectorILNS1_17partition_subalgoE8ElNS0_10empty_typeEbEEZZNS1_14partition_implILS5_8ELb0ES3_jPlPS6_PKS6_NS0_5tupleIJS9_S6_EEENSD_IJSA_SA_EEENS0_18inequality_wrapperIZN2at6native12_GLOBAL__N_124unique_dim_cuda_templateItEESt5tupleIJNSH_6TensorESM_SM_EERKSM_lbbbEUlllE0_EEPmJS6_EEE10hipError_tPvRmT3_T4_T5_T6_T7_T9_mT8_P12ihipStream_tbDpT10_ENKUlT_T0_E_clISt17integral_constantIbLb0EES1C_EEDaS17_S18_EUlS17_E_NS1_11comp_targetILNS1_3genE5ELNS1_11target_archE942ELNS1_3gpuE9ELNS1_3repE0EEENS1_30default_config_static_selectorELNS0_4arch9wavefront6targetE0EEEvT1_ ; -- Begin function _ZN7rocprim17ROCPRIM_400000_NS6detail17trampoline_kernelINS0_14default_configENS1_25partition_config_selectorILNS1_17partition_subalgoE8ElNS0_10empty_typeEbEEZZNS1_14partition_implILS5_8ELb0ES3_jPlPS6_PKS6_NS0_5tupleIJS9_S6_EEENSD_IJSA_SA_EEENS0_18inequality_wrapperIZN2at6native12_GLOBAL__N_124unique_dim_cuda_templateItEESt5tupleIJNSH_6TensorESM_SM_EERKSM_lbbbEUlllE0_EEPmJS6_EEE10hipError_tPvRmT3_T4_T5_T6_T7_T9_mT8_P12ihipStream_tbDpT10_ENKUlT_T0_E_clISt17integral_constantIbLb0EES1C_EEDaS17_S18_EUlS17_E_NS1_11comp_targetILNS1_3genE5ELNS1_11target_archE942ELNS1_3gpuE9ELNS1_3repE0EEENS1_30default_config_static_selectorELNS0_4arch9wavefront6targetE0EEEvT1_
	.p2align	8
	.type	_ZN7rocprim17ROCPRIM_400000_NS6detail17trampoline_kernelINS0_14default_configENS1_25partition_config_selectorILNS1_17partition_subalgoE8ElNS0_10empty_typeEbEEZZNS1_14partition_implILS5_8ELb0ES3_jPlPS6_PKS6_NS0_5tupleIJS9_S6_EEENSD_IJSA_SA_EEENS0_18inequality_wrapperIZN2at6native12_GLOBAL__N_124unique_dim_cuda_templateItEESt5tupleIJNSH_6TensorESM_SM_EERKSM_lbbbEUlllE0_EEPmJS6_EEE10hipError_tPvRmT3_T4_T5_T6_T7_T9_mT8_P12ihipStream_tbDpT10_ENKUlT_T0_E_clISt17integral_constantIbLb0EES1C_EEDaS17_S18_EUlS17_E_NS1_11comp_targetILNS1_3genE5ELNS1_11target_archE942ELNS1_3gpuE9ELNS1_3repE0EEENS1_30default_config_static_selectorELNS0_4arch9wavefront6targetE0EEEvT1_,@function
_ZN7rocprim17ROCPRIM_400000_NS6detail17trampoline_kernelINS0_14default_configENS1_25partition_config_selectorILNS1_17partition_subalgoE8ElNS0_10empty_typeEbEEZZNS1_14partition_implILS5_8ELb0ES3_jPlPS6_PKS6_NS0_5tupleIJS9_S6_EEENSD_IJSA_SA_EEENS0_18inequality_wrapperIZN2at6native12_GLOBAL__N_124unique_dim_cuda_templateItEESt5tupleIJNSH_6TensorESM_SM_EERKSM_lbbbEUlllE0_EEPmJS6_EEE10hipError_tPvRmT3_T4_T5_T6_T7_T9_mT8_P12ihipStream_tbDpT10_ENKUlT_T0_E_clISt17integral_constantIbLb0EES1C_EEDaS17_S18_EUlS17_E_NS1_11comp_targetILNS1_3genE5ELNS1_11target_archE942ELNS1_3gpuE9ELNS1_3repE0EEENS1_30default_config_static_selectorELNS0_4arch9wavefront6targetE0EEEvT1_: ; @_ZN7rocprim17ROCPRIM_400000_NS6detail17trampoline_kernelINS0_14default_configENS1_25partition_config_selectorILNS1_17partition_subalgoE8ElNS0_10empty_typeEbEEZZNS1_14partition_implILS5_8ELb0ES3_jPlPS6_PKS6_NS0_5tupleIJS9_S6_EEENSD_IJSA_SA_EEENS0_18inequality_wrapperIZN2at6native12_GLOBAL__N_124unique_dim_cuda_templateItEESt5tupleIJNSH_6TensorESM_SM_EERKSM_lbbbEUlllE0_EEPmJS6_EEE10hipError_tPvRmT3_T4_T5_T6_T7_T9_mT8_P12ihipStream_tbDpT10_ENKUlT_T0_E_clISt17integral_constantIbLb0EES1C_EEDaS17_S18_EUlS17_E_NS1_11comp_targetILNS1_3genE5ELNS1_11target_archE942ELNS1_3gpuE9ELNS1_3repE0EEENS1_30default_config_static_selectorELNS0_4arch9wavefront6targetE0EEEvT1_
; %bb.0:
	.section	.rodata,"a",@progbits
	.p2align	6, 0x0
	.amdhsa_kernel _ZN7rocprim17ROCPRIM_400000_NS6detail17trampoline_kernelINS0_14default_configENS1_25partition_config_selectorILNS1_17partition_subalgoE8ElNS0_10empty_typeEbEEZZNS1_14partition_implILS5_8ELb0ES3_jPlPS6_PKS6_NS0_5tupleIJS9_S6_EEENSD_IJSA_SA_EEENS0_18inequality_wrapperIZN2at6native12_GLOBAL__N_124unique_dim_cuda_templateItEESt5tupleIJNSH_6TensorESM_SM_EERKSM_lbbbEUlllE0_EEPmJS6_EEE10hipError_tPvRmT3_T4_T5_T6_T7_T9_mT8_P12ihipStream_tbDpT10_ENKUlT_T0_E_clISt17integral_constantIbLb0EES1C_EEDaS17_S18_EUlS17_E_NS1_11comp_targetILNS1_3genE5ELNS1_11target_archE942ELNS1_3gpuE9ELNS1_3repE0EEENS1_30default_config_static_selectorELNS0_4arch9wavefront6targetE0EEEvT1_
		.amdhsa_group_segment_fixed_size 0
		.amdhsa_private_segment_fixed_size 0
		.amdhsa_kernarg_size 120
		.amdhsa_user_sgpr_count 15
		.amdhsa_user_sgpr_dispatch_ptr 0
		.amdhsa_user_sgpr_queue_ptr 0
		.amdhsa_user_sgpr_kernarg_segment_ptr 1
		.amdhsa_user_sgpr_dispatch_id 0
		.amdhsa_user_sgpr_private_segment_size 0
		.amdhsa_wavefront_size32 1
		.amdhsa_uses_dynamic_stack 0
		.amdhsa_enable_private_segment 0
		.amdhsa_system_sgpr_workgroup_id_x 1
		.amdhsa_system_sgpr_workgroup_id_y 0
		.amdhsa_system_sgpr_workgroup_id_z 0
		.amdhsa_system_sgpr_workgroup_info 0
		.amdhsa_system_vgpr_workitem_id 0
		.amdhsa_next_free_vgpr 1
		.amdhsa_next_free_sgpr 1
		.amdhsa_reserve_vcc 0
		.amdhsa_float_round_mode_32 0
		.amdhsa_float_round_mode_16_64 0
		.amdhsa_float_denorm_mode_32 3
		.amdhsa_float_denorm_mode_16_64 3
		.amdhsa_dx10_clamp 1
		.amdhsa_ieee_mode 1
		.amdhsa_fp16_overflow 0
		.amdhsa_workgroup_processor_mode 1
		.amdhsa_memory_ordered 1
		.amdhsa_forward_progress 0
		.amdhsa_shared_vgpr_count 0
		.amdhsa_exception_fp_ieee_invalid_op 0
		.amdhsa_exception_fp_denorm_src 0
		.amdhsa_exception_fp_ieee_div_zero 0
		.amdhsa_exception_fp_ieee_overflow 0
		.amdhsa_exception_fp_ieee_underflow 0
		.amdhsa_exception_fp_ieee_inexact 0
		.amdhsa_exception_int_div_zero 0
	.end_amdhsa_kernel
	.section	.text._ZN7rocprim17ROCPRIM_400000_NS6detail17trampoline_kernelINS0_14default_configENS1_25partition_config_selectorILNS1_17partition_subalgoE8ElNS0_10empty_typeEbEEZZNS1_14partition_implILS5_8ELb0ES3_jPlPS6_PKS6_NS0_5tupleIJS9_S6_EEENSD_IJSA_SA_EEENS0_18inequality_wrapperIZN2at6native12_GLOBAL__N_124unique_dim_cuda_templateItEESt5tupleIJNSH_6TensorESM_SM_EERKSM_lbbbEUlllE0_EEPmJS6_EEE10hipError_tPvRmT3_T4_T5_T6_T7_T9_mT8_P12ihipStream_tbDpT10_ENKUlT_T0_E_clISt17integral_constantIbLb0EES1C_EEDaS17_S18_EUlS17_E_NS1_11comp_targetILNS1_3genE5ELNS1_11target_archE942ELNS1_3gpuE9ELNS1_3repE0EEENS1_30default_config_static_selectorELNS0_4arch9wavefront6targetE0EEEvT1_,"axG",@progbits,_ZN7rocprim17ROCPRIM_400000_NS6detail17trampoline_kernelINS0_14default_configENS1_25partition_config_selectorILNS1_17partition_subalgoE8ElNS0_10empty_typeEbEEZZNS1_14partition_implILS5_8ELb0ES3_jPlPS6_PKS6_NS0_5tupleIJS9_S6_EEENSD_IJSA_SA_EEENS0_18inequality_wrapperIZN2at6native12_GLOBAL__N_124unique_dim_cuda_templateItEESt5tupleIJNSH_6TensorESM_SM_EERKSM_lbbbEUlllE0_EEPmJS6_EEE10hipError_tPvRmT3_T4_T5_T6_T7_T9_mT8_P12ihipStream_tbDpT10_ENKUlT_T0_E_clISt17integral_constantIbLb0EES1C_EEDaS17_S18_EUlS17_E_NS1_11comp_targetILNS1_3genE5ELNS1_11target_archE942ELNS1_3gpuE9ELNS1_3repE0EEENS1_30default_config_static_selectorELNS0_4arch9wavefront6targetE0EEEvT1_,comdat
.Lfunc_end1418:
	.size	_ZN7rocprim17ROCPRIM_400000_NS6detail17trampoline_kernelINS0_14default_configENS1_25partition_config_selectorILNS1_17partition_subalgoE8ElNS0_10empty_typeEbEEZZNS1_14partition_implILS5_8ELb0ES3_jPlPS6_PKS6_NS0_5tupleIJS9_S6_EEENSD_IJSA_SA_EEENS0_18inequality_wrapperIZN2at6native12_GLOBAL__N_124unique_dim_cuda_templateItEESt5tupleIJNSH_6TensorESM_SM_EERKSM_lbbbEUlllE0_EEPmJS6_EEE10hipError_tPvRmT3_T4_T5_T6_T7_T9_mT8_P12ihipStream_tbDpT10_ENKUlT_T0_E_clISt17integral_constantIbLb0EES1C_EEDaS17_S18_EUlS17_E_NS1_11comp_targetILNS1_3genE5ELNS1_11target_archE942ELNS1_3gpuE9ELNS1_3repE0EEENS1_30default_config_static_selectorELNS0_4arch9wavefront6targetE0EEEvT1_, .Lfunc_end1418-_ZN7rocprim17ROCPRIM_400000_NS6detail17trampoline_kernelINS0_14default_configENS1_25partition_config_selectorILNS1_17partition_subalgoE8ElNS0_10empty_typeEbEEZZNS1_14partition_implILS5_8ELb0ES3_jPlPS6_PKS6_NS0_5tupleIJS9_S6_EEENSD_IJSA_SA_EEENS0_18inequality_wrapperIZN2at6native12_GLOBAL__N_124unique_dim_cuda_templateItEESt5tupleIJNSH_6TensorESM_SM_EERKSM_lbbbEUlllE0_EEPmJS6_EEE10hipError_tPvRmT3_T4_T5_T6_T7_T9_mT8_P12ihipStream_tbDpT10_ENKUlT_T0_E_clISt17integral_constantIbLb0EES1C_EEDaS17_S18_EUlS17_E_NS1_11comp_targetILNS1_3genE5ELNS1_11target_archE942ELNS1_3gpuE9ELNS1_3repE0EEENS1_30default_config_static_selectorELNS0_4arch9wavefront6targetE0EEEvT1_
                                        ; -- End function
	.section	.AMDGPU.csdata,"",@progbits
; Kernel info:
; codeLenInByte = 0
; NumSgprs: 0
; NumVgprs: 0
; ScratchSize: 0
; MemoryBound: 0
; FloatMode: 240
; IeeeMode: 1
; LDSByteSize: 0 bytes/workgroup (compile time only)
; SGPRBlocks: 0
; VGPRBlocks: 0
; NumSGPRsForWavesPerEU: 1
; NumVGPRsForWavesPerEU: 1
; Occupancy: 16
; WaveLimiterHint : 0
; COMPUTE_PGM_RSRC2:SCRATCH_EN: 0
; COMPUTE_PGM_RSRC2:USER_SGPR: 15
; COMPUTE_PGM_RSRC2:TRAP_HANDLER: 0
; COMPUTE_PGM_RSRC2:TGID_X_EN: 1
; COMPUTE_PGM_RSRC2:TGID_Y_EN: 0
; COMPUTE_PGM_RSRC2:TGID_Z_EN: 0
; COMPUTE_PGM_RSRC2:TIDIG_COMP_CNT: 0
	.section	.text._ZN7rocprim17ROCPRIM_400000_NS6detail17trampoline_kernelINS0_14default_configENS1_25partition_config_selectorILNS1_17partition_subalgoE8ElNS0_10empty_typeEbEEZZNS1_14partition_implILS5_8ELb0ES3_jPlPS6_PKS6_NS0_5tupleIJS9_S6_EEENSD_IJSA_SA_EEENS0_18inequality_wrapperIZN2at6native12_GLOBAL__N_124unique_dim_cuda_templateItEESt5tupleIJNSH_6TensorESM_SM_EERKSM_lbbbEUlllE0_EEPmJS6_EEE10hipError_tPvRmT3_T4_T5_T6_T7_T9_mT8_P12ihipStream_tbDpT10_ENKUlT_T0_E_clISt17integral_constantIbLb0EES1C_EEDaS17_S18_EUlS17_E_NS1_11comp_targetILNS1_3genE4ELNS1_11target_archE910ELNS1_3gpuE8ELNS1_3repE0EEENS1_30default_config_static_selectorELNS0_4arch9wavefront6targetE0EEEvT1_,"axG",@progbits,_ZN7rocprim17ROCPRIM_400000_NS6detail17trampoline_kernelINS0_14default_configENS1_25partition_config_selectorILNS1_17partition_subalgoE8ElNS0_10empty_typeEbEEZZNS1_14partition_implILS5_8ELb0ES3_jPlPS6_PKS6_NS0_5tupleIJS9_S6_EEENSD_IJSA_SA_EEENS0_18inequality_wrapperIZN2at6native12_GLOBAL__N_124unique_dim_cuda_templateItEESt5tupleIJNSH_6TensorESM_SM_EERKSM_lbbbEUlllE0_EEPmJS6_EEE10hipError_tPvRmT3_T4_T5_T6_T7_T9_mT8_P12ihipStream_tbDpT10_ENKUlT_T0_E_clISt17integral_constantIbLb0EES1C_EEDaS17_S18_EUlS17_E_NS1_11comp_targetILNS1_3genE4ELNS1_11target_archE910ELNS1_3gpuE8ELNS1_3repE0EEENS1_30default_config_static_selectorELNS0_4arch9wavefront6targetE0EEEvT1_,comdat
	.globl	_ZN7rocprim17ROCPRIM_400000_NS6detail17trampoline_kernelINS0_14default_configENS1_25partition_config_selectorILNS1_17partition_subalgoE8ElNS0_10empty_typeEbEEZZNS1_14partition_implILS5_8ELb0ES3_jPlPS6_PKS6_NS0_5tupleIJS9_S6_EEENSD_IJSA_SA_EEENS0_18inequality_wrapperIZN2at6native12_GLOBAL__N_124unique_dim_cuda_templateItEESt5tupleIJNSH_6TensorESM_SM_EERKSM_lbbbEUlllE0_EEPmJS6_EEE10hipError_tPvRmT3_T4_T5_T6_T7_T9_mT8_P12ihipStream_tbDpT10_ENKUlT_T0_E_clISt17integral_constantIbLb0EES1C_EEDaS17_S18_EUlS17_E_NS1_11comp_targetILNS1_3genE4ELNS1_11target_archE910ELNS1_3gpuE8ELNS1_3repE0EEENS1_30default_config_static_selectorELNS0_4arch9wavefront6targetE0EEEvT1_ ; -- Begin function _ZN7rocprim17ROCPRIM_400000_NS6detail17trampoline_kernelINS0_14default_configENS1_25partition_config_selectorILNS1_17partition_subalgoE8ElNS0_10empty_typeEbEEZZNS1_14partition_implILS5_8ELb0ES3_jPlPS6_PKS6_NS0_5tupleIJS9_S6_EEENSD_IJSA_SA_EEENS0_18inequality_wrapperIZN2at6native12_GLOBAL__N_124unique_dim_cuda_templateItEESt5tupleIJNSH_6TensorESM_SM_EERKSM_lbbbEUlllE0_EEPmJS6_EEE10hipError_tPvRmT3_T4_T5_T6_T7_T9_mT8_P12ihipStream_tbDpT10_ENKUlT_T0_E_clISt17integral_constantIbLb0EES1C_EEDaS17_S18_EUlS17_E_NS1_11comp_targetILNS1_3genE4ELNS1_11target_archE910ELNS1_3gpuE8ELNS1_3repE0EEENS1_30default_config_static_selectorELNS0_4arch9wavefront6targetE0EEEvT1_
	.p2align	8
	.type	_ZN7rocprim17ROCPRIM_400000_NS6detail17trampoline_kernelINS0_14default_configENS1_25partition_config_selectorILNS1_17partition_subalgoE8ElNS0_10empty_typeEbEEZZNS1_14partition_implILS5_8ELb0ES3_jPlPS6_PKS6_NS0_5tupleIJS9_S6_EEENSD_IJSA_SA_EEENS0_18inequality_wrapperIZN2at6native12_GLOBAL__N_124unique_dim_cuda_templateItEESt5tupleIJNSH_6TensorESM_SM_EERKSM_lbbbEUlllE0_EEPmJS6_EEE10hipError_tPvRmT3_T4_T5_T6_T7_T9_mT8_P12ihipStream_tbDpT10_ENKUlT_T0_E_clISt17integral_constantIbLb0EES1C_EEDaS17_S18_EUlS17_E_NS1_11comp_targetILNS1_3genE4ELNS1_11target_archE910ELNS1_3gpuE8ELNS1_3repE0EEENS1_30default_config_static_selectorELNS0_4arch9wavefront6targetE0EEEvT1_,@function
_ZN7rocprim17ROCPRIM_400000_NS6detail17trampoline_kernelINS0_14default_configENS1_25partition_config_selectorILNS1_17partition_subalgoE8ElNS0_10empty_typeEbEEZZNS1_14partition_implILS5_8ELb0ES3_jPlPS6_PKS6_NS0_5tupleIJS9_S6_EEENSD_IJSA_SA_EEENS0_18inequality_wrapperIZN2at6native12_GLOBAL__N_124unique_dim_cuda_templateItEESt5tupleIJNSH_6TensorESM_SM_EERKSM_lbbbEUlllE0_EEPmJS6_EEE10hipError_tPvRmT3_T4_T5_T6_T7_T9_mT8_P12ihipStream_tbDpT10_ENKUlT_T0_E_clISt17integral_constantIbLb0EES1C_EEDaS17_S18_EUlS17_E_NS1_11comp_targetILNS1_3genE4ELNS1_11target_archE910ELNS1_3gpuE8ELNS1_3repE0EEENS1_30default_config_static_selectorELNS0_4arch9wavefront6targetE0EEEvT1_: ; @_ZN7rocprim17ROCPRIM_400000_NS6detail17trampoline_kernelINS0_14default_configENS1_25partition_config_selectorILNS1_17partition_subalgoE8ElNS0_10empty_typeEbEEZZNS1_14partition_implILS5_8ELb0ES3_jPlPS6_PKS6_NS0_5tupleIJS9_S6_EEENSD_IJSA_SA_EEENS0_18inequality_wrapperIZN2at6native12_GLOBAL__N_124unique_dim_cuda_templateItEESt5tupleIJNSH_6TensorESM_SM_EERKSM_lbbbEUlllE0_EEPmJS6_EEE10hipError_tPvRmT3_T4_T5_T6_T7_T9_mT8_P12ihipStream_tbDpT10_ENKUlT_T0_E_clISt17integral_constantIbLb0EES1C_EEDaS17_S18_EUlS17_E_NS1_11comp_targetILNS1_3genE4ELNS1_11target_archE910ELNS1_3gpuE8ELNS1_3repE0EEENS1_30default_config_static_selectorELNS0_4arch9wavefront6targetE0EEEvT1_
; %bb.0:
	.section	.rodata,"a",@progbits
	.p2align	6, 0x0
	.amdhsa_kernel _ZN7rocprim17ROCPRIM_400000_NS6detail17trampoline_kernelINS0_14default_configENS1_25partition_config_selectorILNS1_17partition_subalgoE8ElNS0_10empty_typeEbEEZZNS1_14partition_implILS5_8ELb0ES3_jPlPS6_PKS6_NS0_5tupleIJS9_S6_EEENSD_IJSA_SA_EEENS0_18inequality_wrapperIZN2at6native12_GLOBAL__N_124unique_dim_cuda_templateItEESt5tupleIJNSH_6TensorESM_SM_EERKSM_lbbbEUlllE0_EEPmJS6_EEE10hipError_tPvRmT3_T4_T5_T6_T7_T9_mT8_P12ihipStream_tbDpT10_ENKUlT_T0_E_clISt17integral_constantIbLb0EES1C_EEDaS17_S18_EUlS17_E_NS1_11comp_targetILNS1_3genE4ELNS1_11target_archE910ELNS1_3gpuE8ELNS1_3repE0EEENS1_30default_config_static_selectorELNS0_4arch9wavefront6targetE0EEEvT1_
		.amdhsa_group_segment_fixed_size 0
		.amdhsa_private_segment_fixed_size 0
		.amdhsa_kernarg_size 120
		.amdhsa_user_sgpr_count 15
		.amdhsa_user_sgpr_dispatch_ptr 0
		.amdhsa_user_sgpr_queue_ptr 0
		.amdhsa_user_sgpr_kernarg_segment_ptr 1
		.amdhsa_user_sgpr_dispatch_id 0
		.amdhsa_user_sgpr_private_segment_size 0
		.amdhsa_wavefront_size32 1
		.amdhsa_uses_dynamic_stack 0
		.amdhsa_enable_private_segment 0
		.amdhsa_system_sgpr_workgroup_id_x 1
		.amdhsa_system_sgpr_workgroup_id_y 0
		.amdhsa_system_sgpr_workgroup_id_z 0
		.amdhsa_system_sgpr_workgroup_info 0
		.amdhsa_system_vgpr_workitem_id 0
		.amdhsa_next_free_vgpr 1
		.amdhsa_next_free_sgpr 1
		.amdhsa_reserve_vcc 0
		.amdhsa_float_round_mode_32 0
		.amdhsa_float_round_mode_16_64 0
		.amdhsa_float_denorm_mode_32 3
		.amdhsa_float_denorm_mode_16_64 3
		.amdhsa_dx10_clamp 1
		.amdhsa_ieee_mode 1
		.amdhsa_fp16_overflow 0
		.amdhsa_workgroup_processor_mode 1
		.amdhsa_memory_ordered 1
		.amdhsa_forward_progress 0
		.amdhsa_shared_vgpr_count 0
		.amdhsa_exception_fp_ieee_invalid_op 0
		.amdhsa_exception_fp_denorm_src 0
		.amdhsa_exception_fp_ieee_div_zero 0
		.amdhsa_exception_fp_ieee_overflow 0
		.amdhsa_exception_fp_ieee_underflow 0
		.amdhsa_exception_fp_ieee_inexact 0
		.amdhsa_exception_int_div_zero 0
	.end_amdhsa_kernel
	.section	.text._ZN7rocprim17ROCPRIM_400000_NS6detail17trampoline_kernelINS0_14default_configENS1_25partition_config_selectorILNS1_17partition_subalgoE8ElNS0_10empty_typeEbEEZZNS1_14partition_implILS5_8ELb0ES3_jPlPS6_PKS6_NS0_5tupleIJS9_S6_EEENSD_IJSA_SA_EEENS0_18inequality_wrapperIZN2at6native12_GLOBAL__N_124unique_dim_cuda_templateItEESt5tupleIJNSH_6TensorESM_SM_EERKSM_lbbbEUlllE0_EEPmJS6_EEE10hipError_tPvRmT3_T4_T5_T6_T7_T9_mT8_P12ihipStream_tbDpT10_ENKUlT_T0_E_clISt17integral_constantIbLb0EES1C_EEDaS17_S18_EUlS17_E_NS1_11comp_targetILNS1_3genE4ELNS1_11target_archE910ELNS1_3gpuE8ELNS1_3repE0EEENS1_30default_config_static_selectorELNS0_4arch9wavefront6targetE0EEEvT1_,"axG",@progbits,_ZN7rocprim17ROCPRIM_400000_NS6detail17trampoline_kernelINS0_14default_configENS1_25partition_config_selectorILNS1_17partition_subalgoE8ElNS0_10empty_typeEbEEZZNS1_14partition_implILS5_8ELb0ES3_jPlPS6_PKS6_NS0_5tupleIJS9_S6_EEENSD_IJSA_SA_EEENS0_18inequality_wrapperIZN2at6native12_GLOBAL__N_124unique_dim_cuda_templateItEESt5tupleIJNSH_6TensorESM_SM_EERKSM_lbbbEUlllE0_EEPmJS6_EEE10hipError_tPvRmT3_T4_T5_T6_T7_T9_mT8_P12ihipStream_tbDpT10_ENKUlT_T0_E_clISt17integral_constantIbLb0EES1C_EEDaS17_S18_EUlS17_E_NS1_11comp_targetILNS1_3genE4ELNS1_11target_archE910ELNS1_3gpuE8ELNS1_3repE0EEENS1_30default_config_static_selectorELNS0_4arch9wavefront6targetE0EEEvT1_,comdat
.Lfunc_end1419:
	.size	_ZN7rocprim17ROCPRIM_400000_NS6detail17trampoline_kernelINS0_14default_configENS1_25partition_config_selectorILNS1_17partition_subalgoE8ElNS0_10empty_typeEbEEZZNS1_14partition_implILS5_8ELb0ES3_jPlPS6_PKS6_NS0_5tupleIJS9_S6_EEENSD_IJSA_SA_EEENS0_18inequality_wrapperIZN2at6native12_GLOBAL__N_124unique_dim_cuda_templateItEESt5tupleIJNSH_6TensorESM_SM_EERKSM_lbbbEUlllE0_EEPmJS6_EEE10hipError_tPvRmT3_T4_T5_T6_T7_T9_mT8_P12ihipStream_tbDpT10_ENKUlT_T0_E_clISt17integral_constantIbLb0EES1C_EEDaS17_S18_EUlS17_E_NS1_11comp_targetILNS1_3genE4ELNS1_11target_archE910ELNS1_3gpuE8ELNS1_3repE0EEENS1_30default_config_static_selectorELNS0_4arch9wavefront6targetE0EEEvT1_, .Lfunc_end1419-_ZN7rocprim17ROCPRIM_400000_NS6detail17trampoline_kernelINS0_14default_configENS1_25partition_config_selectorILNS1_17partition_subalgoE8ElNS0_10empty_typeEbEEZZNS1_14partition_implILS5_8ELb0ES3_jPlPS6_PKS6_NS0_5tupleIJS9_S6_EEENSD_IJSA_SA_EEENS0_18inequality_wrapperIZN2at6native12_GLOBAL__N_124unique_dim_cuda_templateItEESt5tupleIJNSH_6TensorESM_SM_EERKSM_lbbbEUlllE0_EEPmJS6_EEE10hipError_tPvRmT3_T4_T5_T6_T7_T9_mT8_P12ihipStream_tbDpT10_ENKUlT_T0_E_clISt17integral_constantIbLb0EES1C_EEDaS17_S18_EUlS17_E_NS1_11comp_targetILNS1_3genE4ELNS1_11target_archE910ELNS1_3gpuE8ELNS1_3repE0EEENS1_30default_config_static_selectorELNS0_4arch9wavefront6targetE0EEEvT1_
                                        ; -- End function
	.section	.AMDGPU.csdata,"",@progbits
; Kernel info:
; codeLenInByte = 0
; NumSgprs: 0
; NumVgprs: 0
; ScratchSize: 0
; MemoryBound: 0
; FloatMode: 240
; IeeeMode: 1
; LDSByteSize: 0 bytes/workgroup (compile time only)
; SGPRBlocks: 0
; VGPRBlocks: 0
; NumSGPRsForWavesPerEU: 1
; NumVGPRsForWavesPerEU: 1
; Occupancy: 16
; WaveLimiterHint : 0
; COMPUTE_PGM_RSRC2:SCRATCH_EN: 0
; COMPUTE_PGM_RSRC2:USER_SGPR: 15
; COMPUTE_PGM_RSRC2:TRAP_HANDLER: 0
; COMPUTE_PGM_RSRC2:TGID_X_EN: 1
; COMPUTE_PGM_RSRC2:TGID_Y_EN: 0
; COMPUTE_PGM_RSRC2:TGID_Z_EN: 0
; COMPUTE_PGM_RSRC2:TIDIG_COMP_CNT: 0
	.section	.text._ZN7rocprim17ROCPRIM_400000_NS6detail17trampoline_kernelINS0_14default_configENS1_25partition_config_selectorILNS1_17partition_subalgoE8ElNS0_10empty_typeEbEEZZNS1_14partition_implILS5_8ELb0ES3_jPlPS6_PKS6_NS0_5tupleIJS9_S6_EEENSD_IJSA_SA_EEENS0_18inequality_wrapperIZN2at6native12_GLOBAL__N_124unique_dim_cuda_templateItEESt5tupleIJNSH_6TensorESM_SM_EERKSM_lbbbEUlllE0_EEPmJS6_EEE10hipError_tPvRmT3_T4_T5_T6_T7_T9_mT8_P12ihipStream_tbDpT10_ENKUlT_T0_E_clISt17integral_constantIbLb0EES1C_EEDaS17_S18_EUlS17_E_NS1_11comp_targetILNS1_3genE3ELNS1_11target_archE908ELNS1_3gpuE7ELNS1_3repE0EEENS1_30default_config_static_selectorELNS0_4arch9wavefront6targetE0EEEvT1_,"axG",@progbits,_ZN7rocprim17ROCPRIM_400000_NS6detail17trampoline_kernelINS0_14default_configENS1_25partition_config_selectorILNS1_17partition_subalgoE8ElNS0_10empty_typeEbEEZZNS1_14partition_implILS5_8ELb0ES3_jPlPS6_PKS6_NS0_5tupleIJS9_S6_EEENSD_IJSA_SA_EEENS0_18inequality_wrapperIZN2at6native12_GLOBAL__N_124unique_dim_cuda_templateItEESt5tupleIJNSH_6TensorESM_SM_EERKSM_lbbbEUlllE0_EEPmJS6_EEE10hipError_tPvRmT3_T4_T5_T6_T7_T9_mT8_P12ihipStream_tbDpT10_ENKUlT_T0_E_clISt17integral_constantIbLb0EES1C_EEDaS17_S18_EUlS17_E_NS1_11comp_targetILNS1_3genE3ELNS1_11target_archE908ELNS1_3gpuE7ELNS1_3repE0EEENS1_30default_config_static_selectorELNS0_4arch9wavefront6targetE0EEEvT1_,comdat
	.globl	_ZN7rocprim17ROCPRIM_400000_NS6detail17trampoline_kernelINS0_14default_configENS1_25partition_config_selectorILNS1_17partition_subalgoE8ElNS0_10empty_typeEbEEZZNS1_14partition_implILS5_8ELb0ES3_jPlPS6_PKS6_NS0_5tupleIJS9_S6_EEENSD_IJSA_SA_EEENS0_18inequality_wrapperIZN2at6native12_GLOBAL__N_124unique_dim_cuda_templateItEESt5tupleIJNSH_6TensorESM_SM_EERKSM_lbbbEUlllE0_EEPmJS6_EEE10hipError_tPvRmT3_T4_T5_T6_T7_T9_mT8_P12ihipStream_tbDpT10_ENKUlT_T0_E_clISt17integral_constantIbLb0EES1C_EEDaS17_S18_EUlS17_E_NS1_11comp_targetILNS1_3genE3ELNS1_11target_archE908ELNS1_3gpuE7ELNS1_3repE0EEENS1_30default_config_static_selectorELNS0_4arch9wavefront6targetE0EEEvT1_ ; -- Begin function _ZN7rocprim17ROCPRIM_400000_NS6detail17trampoline_kernelINS0_14default_configENS1_25partition_config_selectorILNS1_17partition_subalgoE8ElNS0_10empty_typeEbEEZZNS1_14partition_implILS5_8ELb0ES3_jPlPS6_PKS6_NS0_5tupleIJS9_S6_EEENSD_IJSA_SA_EEENS0_18inequality_wrapperIZN2at6native12_GLOBAL__N_124unique_dim_cuda_templateItEESt5tupleIJNSH_6TensorESM_SM_EERKSM_lbbbEUlllE0_EEPmJS6_EEE10hipError_tPvRmT3_T4_T5_T6_T7_T9_mT8_P12ihipStream_tbDpT10_ENKUlT_T0_E_clISt17integral_constantIbLb0EES1C_EEDaS17_S18_EUlS17_E_NS1_11comp_targetILNS1_3genE3ELNS1_11target_archE908ELNS1_3gpuE7ELNS1_3repE0EEENS1_30default_config_static_selectorELNS0_4arch9wavefront6targetE0EEEvT1_
	.p2align	8
	.type	_ZN7rocprim17ROCPRIM_400000_NS6detail17trampoline_kernelINS0_14default_configENS1_25partition_config_selectorILNS1_17partition_subalgoE8ElNS0_10empty_typeEbEEZZNS1_14partition_implILS5_8ELb0ES3_jPlPS6_PKS6_NS0_5tupleIJS9_S6_EEENSD_IJSA_SA_EEENS0_18inequality_wrapperIZN2at6native12_GLOBAL__N_124unique_dim_cuda_templateItEESt5tupleIJNSH_6TensorESM_SM_EERKSM_lbbbEUlllE0_EEPmJS6_EEE10hipError_tPvRmT3_T4_T5_T6_T7_T9_mT8_P12ihipStream_tbDpT10_ENKUlT_T0_E_clISt17integral_constantIbLb0EES1C_EEDaS17_S18_EUlS17_E_NS1_11comp_targetILNS1_3genE3ELNS1_11target_archE908ELNS1_3gpuE7ELNS1_3repE0EEENS1_30default_config_static_selectorELNS0_4arch9wavefront6targetE0EEEvT1_,@function
_ZN7rocprim17ROCPRIM_400000_NS6detail17trampoline_kernelINS0_14default_configENS1_25partition_config_selectorILNS1_17partition_subalgoE8ElNS0_10empty_typeEbEEZZNS1_14partition_implILS5_8ELb0ES3_jPlPS6_PKS6_NS0_5tupleIJS9_S6_EEENSD_IJSA_SA_EEENS0_18inequality_wrapperIZN2at6native12_GLOBAL__N_124unique_dim_cuda_templateItEESt5tupleIJNSH_6TensorESM_SM_EERKSM_lbbbEUlllE0_EEPmJS6_EEE10hipError_tPvRmT3_T4_T5_T6_T7_T9_mT8_P12ihipStream_tbDpT10_ENKUlT_T0_E_clISt17integral_constantIbLb0EES1C_EEDaS17_S18_EUlS17_E_NS1_11comp_targetILNS1_3genE3ELNS1_11target_archE908ELNS1_3gpuE7ELNS1_3repE0EEENS1_30default_config_static_selectorELNS0_4arch9wavefront6targetE0EEEvT1_: ; @_ZN7rocprim17ROCPRIM_400000_NS6detail17trampoline_kernelINS0_14default_configENS1_25partition_config_selectorILNS1_17partition_subalgoE8ElNS0_10empty_typeEbEEZZNS1_14partition_implILS5_8ELb0ES3_jPlPS6_PKS6_NS0_5tupleIJS9_S6_EEENSD_IJSA_SA_EEENS0_18inequality_wrapperIZN2at6native12_GLOBAL__N_124unique_dim_cuda_templateItEESt5tupleIJNSH_6TensorESM_SM_EERKSM_lbbbEUlllE0_EEPmJS6_EEE10hipError_tPvRmT3_T4_T5_T6_T7_T9_mT8_P12ihipStream_tbDpT10_ENKUlT_T0_E_clISt17integral_constantIbLb0EES1C_EEDaS17_S18_EUlS17_E_NS1_11comp_targetILNS1_3genE3ELNS1_11target_archE908ELNS1_3gpuE7ELNS1_3repE0EEENS1_30default_config_static_selectorELNS0_4arch9wavefront6targetE0EEEvT1_
; %bb.0:
	.section	.rodata,"a",@progbits
	.p2align	6, 0x0
	.amdhsa_kernel _ZN7rocprim17ROCPRIM_400000_NS6detail17trampoline_kernelINS0_14default_configENS1_25partition_config_selectorILNS1_17partition_subalgoE8ElNS0_10empty_typeEbEEZZNS1_14partition_implILS5_8ELb0ES3_jPlPS6_PKS6_NS0_5tupleIJS9_S6_EEENSD_IJSA_SA_EEENS0_18inequality_wrapperIZN2at6native12_GLOBAL__N_124unique_dim_cuda_templateItEESt5tupleIJNSH_6TensorESM_SM_EERKSM_lbbbEUlllE0_EEPmJS6_EEE10hipError_tPvRmT3_T4_T5_T6_T7_T9_mT8_P12ihipStream_tbDpT10_ENKUlT_T0_E_clISt17integral_constantIbLb0EES1C_EEDaS17_S18_EUlS17_E_NS1_11comp_targetILNS1_3genE3ELNS1_11target_archE908ELNS1_3gpuE7ELNS1_3repE0EEENS1_30default_config_static_selectorELNS0_4arch9wavefront6targetE0EEEvT1_
		.amdhsa_group_segment_fixed_size 0
		.amdhsa_private_segment_fixed_size 0
		.amdhsa_kernarg_size 120
		.amdhsa_user_sgpr_count 15
		.amdhsa_user_sgpr_dispatch_ptr 0
		.amdhsa_user_sgpr_queue_ptr 0
		.amdhsa_user_sgpr_kernarg_segment_ptr 1
		.amdhsa_user_sgpr_dispatch_id 0
		.amdhsa_user_sgpr_private_segment_size 0
		.amdhsa_wavefront_size32 1
		.amdhsa_uses_dynamic_stack 0
		.amdhsa_enable_private_segment 0
		.amdhsa_system_sgpr_workgroup_id_x 1
		.amdhsa_system_sgpr_workgroup_id_y 0
		.amdhsa_system_sgpr_workgroup_id_z 0
		.amdhsa_system_sgpr_workgroup_info 0
		.amdhsa_system_vgpr_workitem_id 0
		.amdhsa_next_free_vgpr 1
		.amdhsa_next_free_sgpr 1
		.amdhsa_reserve_vcc 0
		.amdhsa_float_round_mode_32 0
		.amdhsa_float_round_mode_16_64 0
		.amdhsa_float_denorm_mode_32 3
		.amdhsa_float_denorm_mode_16_64 3
		.amdhsa_dx10_clamp 1
		.amdhsa_ieee_mode 1
		.amdhsa_fp16_overflow 0
		.amdhsa_workgroup_processor_mode 1
		.amdhsa_memory_ordered 1
		.amdhsa_forward_progress 0
		.amdhsa_shared_vgpr_count 0
		.amdhsa_exception_fp_ieee_invalid_op 0
		.amdhsa_exception_fp_denorm_src 0
		.amdhsa_exception_fp_ieee_div_zero 0
		.amdhsa_exception_fp_ieee_overflow 0
		.amdhsa_exception_fp_ieee_underflow 0
		.amdhsa_exception_fp_ieee_inexact 0
		.amdhsa_exception_int_div_zero 0
	.end_amdhsa_kernel
	.section	.text._ZN7rocprim17ROCPRIM_400000_NS6detail17trampoline_kernelINS0_14default_configENS1_25partition_config_selectorILNS1_17partition_subalgoE8ElNS0_10empty_typeEbEEZZNS1_14partition_implILS5_8ELb0ES3_jPlPS6_PKS6_NS0_5tupleIJS9_S6_EEENSD_IJSA_SA_EEENS0_18inequality_wrapperIZN2at6native12_GLOBAL__N_124unique_dim_cuda_templateItEESt5tupleIJNSH_6TensorESM_SM_EERKSM_lbbbEUlllE0_EEPmJS6_EEE10hipError_tPvRmT3_T4_T5_T6_T7_T9_mT8_P12ihipStream_tbDpT10_ENKUlT_T0_E_clISt17integral_constantIbLb0EES1C_EEDaS17_S18_EUlS17_E_NS1_11comp_targetILNS1_3genE3ELNS1_11target_archE908ELNS1_3gpuE7ELNS1_3repE0EEENS1_30default_config_static_selectorELNS0_4arch9wavefront6targetE0EEEvT1_,"axG",@progbits,_ZN7rocprim17ROCPRIM_400000_NS6detail17trampoline_kernelINS0_14default_configENS1_25partition_config_selectorILNS1_17partition_subalgoE8ElNS0_10empty_typeEbEEZZNS1_14partition_implILS5_8ELb0ES3_jPlPS6_PKS6_NS0_5tupleIJS9_S6_EEENSD_IJSA_SA_EEENS0_18inequality_wrapperIZN2at6native12_GLOBAL__N_124unique_dim_cuda_templateItEESt5tupleIJNSH_6TensorESM_SM_EERKSM_lbbbEUlllE0_EEPmJS6_EEE10hipError_tPvRmT3_T4_T5_T6_T7_T9_mT8_P12ihipStream_tbDpT10_ENKUlT_T0_E_clISt17integral_constantIbLb0EES1C_EEDaS17_S18_EUlS17_E_NS1_11comp_targetILNS1_3genE3ELNS1_11target_archE908ELNS1_3gpuE7ELNS1_3repE0EEENS1_30default_config_static_selectorELNS0_4arch9wavefront6targetE0EEEvT1_,comdat
.Lfunc_end1420:
	.size	_ZN7rocprim17ROCPRIM_400000_NS6detail17trampoline_kernelINS0_14default_configENS1_25partition_config_selectorILNS1_17partition_subalgoE8ElNS0_10empty_typeEbEEZZNS1_14partition_implILS5_8ELb0ES3_jPlPS6_PKS6_NS0_5tupleIJS9_S6_EEENSD_IJSA_SA_EEENS0_18inequality_wrapperIZN2at6native12_GLOBAL__N_124unique_dim_cuda_templateItEESt5tupleIJNSH_6TensorESM_SM_EERKSM_lbbbEUlllE0_EEPmJS6_EEE10hipError_tPvRmT3_T4_T5_T6_T7_T9_mT8_P12ihipStream_tbDpT10_ENKUlT_T0_E_clISt17integral_constantIbLb0EES1C_EEDaS17_S18_EUlS17_E_NS1_11comp_targetILNS1_3genE3ELNS1_11target_archE908ELNS1_3gpuE7ELNS1_3repE0EEENS1_30default_config_static_selectorELNS0_4arch9wavefront6targetE0EEEvT1_, .Lfunc_end1420-_ZN7rocprim17ROCPRIM_400000_NS6detail17trampoline_kernelINS0_14default_configENS1_25partition_config_selectorILNS1_17partition_subalgoE8ElNS0_10empty_typeEbEEZZNS1_14partition_implILS5_8ELb0ES3_jPlPS6_PKS6_NS0_5tupleIJS9_S6_EEENSD_IJSA_SA_EEENS0_18inequality_wrapperIZN2at6native12_GLOBAL__N_124unique_dim_cuda_templateItEESt5tupleIJNSH_6TensorESM_SM_EERKSM_lbbbEUlllE0_EEPmJS6_EEE10hipError_tPvRmT3_T4_T5_T6_T7_T9_mT8_P12ihipStream_tbDpT10_ENKUlT_T0_E_clISt17integral_constantIbLb0EES1C_EEDaS17_S18_EUlS17_E_NS1_11comp_targetILNS1_3genE3ELNS1_11target_archE908ELNS1_3gpuE7ELNS1_3repE0EEENS1_30default_config_static_selectorELNS0_4arch9wavefront6targetE0EEEvT1_
                                        ; -- End function
	.section	.AMDGPU.csdata,"",@progbits
; Kernel info:
; codeLenInByte = 0
; NumSgprs: 0
; NumVgprs: 0
; ScratchSize: 0
; MemoryBound: 0
; FloatMode: 240
; IeeeMode: 1
; LDSByteSize: 0 bytes/workgroup (compile time only)
; SGPRBlocks: 0
; VGPRBlocks: 0
; NumSGPRsForWavesPerEU: 1
; NumVGPRsForWavesPerEU: 1
; Occupancy: 16
; WaveLimiterHint : 0
; COMPUTE_PGM_RSRC2:SCRATCH_EN: 0
; COMPUTE_PGM_RSRC2:USER_SGPR: 15
; COMPUTE_PGM_RSRC2:TRAP_HANDLER: 0
; COMPUTE_PGM_RSRC2:TGID_X_EN: 1
; COMPUTE_PGM_RSRC2:TGID_Y_EN: 0
; COMPUTE_PGM_RSRC2:TGID_Z_EN: 0
; COMPUTE_PGM_RSRC2:TIDIG_COMP_CNT: 0
	.section	.text._ZN7rocprim17ROCPRIM_400000_NS6detail17trampoline_kernelINS0_14default_configENS1_25partition_config_selectorILNS1_17partition_subalgoE8ElNS0_10empty_typeEbEEZZNS1_14partition_implILS5_8ELb0ES3_jPlPS6_PKS6_NS0_5tupleIJS9_S6_EEENSD_IJSA_SA_EEENS0_18inequality_wrapperIZN2at6native12_GLOBAL__N_124unique_dim_cuda_templateItEESt5tupleIJNSH_6TensorESM_SM_EERKSM_lbbbEUlllE0_EEPmJS6_EEE10hipError_tPvRmT3_T4_T5_T6_T7_T9_mT8_P12ihipStream_tbDpT10_ENKUlT_T0_E_clISt17integral_constantIbLb0EES1C_EEDaS17_S18_EUlS17_E_NS1_11comp_targetILNS1_3genE2ELNS1_11target_archE906ELNS1_3gpuE6ELNS1_3repE0EEENS1_30default_config_static_selectorELNS0_4arch9wavefront6targetE0EEEvT1_,"axG",@progbits,_ZN7rocprim17ROCPRIM_400000_NS6detail17trampoline_kernelINS0_14default_configENS1_25partition_config_selectorILNS1_17partition_subalgoE8ElNS0_10empty_typeEbEEZZNS1_14partition_implILS5_8ELb0ES3_jPlPS6_PKS6_NS0_5tupleIJS9_S6_EEENSD_IJSA_SA_EEENS0_18inequality_wrapperIZN2at6native12_GLOBAL__N_124unique_dim_cuda_templateItEESt5tupleIJNSH_6TensorESM_SM_EERKSM_lbbbEUlllE0_EEPmJS6_EEE10hipError_tPvRmT3_T4_T5_T6_T7_T9_mT8_P12ihipStream_tbDpT10_ENKUlT_T0_E_clISt17integral_constantIbLb0EES1C_EEDaS17_S18_EUlS17_E_NS1_11comp_targetILNS1_3genE2ELNS1_11target_archE906ELNS1_3gpuE6ELNS1_3repE0EEENS1_30default_config_static_selectorELNS0_4arch9wavefront6targetE0EEEvT1_,comdat
	.globl	_ZN7rocprim17ROCPRIM_400000_NS6detail17trampoline_kernelINS0_14default_configENS1_25partition_config_selectorILNS1_17partition_subalgoE8ElNS0_10empty_typeEbEEZZNS1_14partition_implILS5_8ELb0ES3_jPlPS6_PKS6_NS0_5tupleIJS9_S6_EEENSD_IJSA_SA_EEENS0_18inequality_wrapperIZN2at6native12_GLOBAL__N_124unique_dim_cuda_templateItEESt5tupleIJNSH_6TensorESM_SM_EERKSM_lbbbEUlllE0_EEPmJS6_EEE10hipError_tPvRmT3_T4_T5_T6_T7_T9_mT8_P12ihipStream_tbDpT10_ENKUlT_T0_E_clISt17integral_constantIbLb0EES1C_EEDaS17_S18_EUlS17_E_NS1_11comp_targetILNS1_3genE2ELNS1_11target_archE906ELNS1_3gpuE6ELNS1_3repE0EEENS1_30default_config_static_selectorELNS0_4arch9wavefront6targetE0EEEvT1_ ; -- Begin function _ZN7rocprim17ROCPRIM_400000_NS6detail17trampoline_kernelINS0_14default_configENS1_25partition_config_selectorILNS1_17partition_subalgoE8ElNS0_10empty_typeEbEEZZNS1_14partition_implILS5_8ELb0ES3_jPlPS6_PKS6_NS0_5tupleIJS9_S6_EEENSD_IJSA_SA_EEENS0_18inequality_wrapperIZN2at6native12_GLOBAL__N_124unique_dim_cuda_templateItEESt5tupleIJNSH_6TensorESM_SM_EERKSM_lbbbEUlllE0_EEPmJS6_EEE10hipError_tPvRmT3_T4_T5_T6_T7_T9_mT8_P12ihipStream_tbDpT10_ENKUlT_T0_E_clISt17integral_constantIbLb0EES1C_EEDaS17_S18_EUlS17_E_NS1_11comp_targetILNS1_3genE2ELNS1_11target_archE906ELNS1_3gpuE6ELNS1_3repE0EEENS1_30default_config_static_selectorELNS0_4arch9wavefront6targetE0EEEvT1_
	.p2align	8
	.type	_ZN7rocprim17ROCPRIM_400000_NS6detail17trampoline_kernelINS0_14default_configENS1_25partition_config_selectorILNS1_17partition_subalgoE8ElNS0_10empty_typeEbEEZZNS1_14partition_implILS5_8ELb0ES3_jPlPS6_PKS6_NS0_5tupleIJS9_S6_EEENSD_IJSA_SA_EEENS0_18inequality_wrapperIZN2at6native12_GLOBAL__N_124unique_dim_cuda_templateItEESt5tupleIJNSH_6TensorESM_SM_EERKSM_lbbbEUlllE0_EEPmJS6_EEE10hipError_tPvRmT3_T4_T5_T6_T7_T9_mT8_P12ihipStream_tbDpT10_ENKUlT_T0_E_clISt17integral_constantIbLb0EES1C_EEDaS17_S18_EUlS17_E_NS1_11comp_targetILNS1_3genE2ELNS1_11target_archE906ELNS1_3gpuE6ELNS1_3repE0EEENS1_30default_config_static_selectorELNS0_4arch9wavefront6targetE0EEEvT1_,@function
_ZN7rocprim17ROCPRIM_400000_NS6detail17trampoline_kernelINS0_14default_configENS1_25partition_config_selectorILNS1_17partition_subalgoE8ElNS0_10empty_typeEbEEZZNS1_14partition_implILS5_8ELb0ES3_jPlPS6_PKS6_NS0_5tupleIJS9_S6_EEENSD_IJSA_SA_EEENS0_18inequality_wrapperIZN2at6native12_GLOBAL__N_124unique_dim_cuda_templateItEESt5tupleIJNSH_6TensorESM_SM_EERKSM_lbbbEUlllE0_EEPmJS6_EEE10hipError_tPvRmT3_T4_T5_T6_T7_T9_mT8_P12ihipStream_tbDpT10_ENKUlT_T0_E_clISt17integral_constantIbLb0EES1C_EEDaS17_S18_EUlS17_E_NS1_11comp_targetILNS1_3genE2ELNS1_11target_archE906ELNS1_3gpuE6ELNS1_3repE0EEENS1_30default_config_static_selectorELNS0_4arch9wavefront6targetE0EEEvT1_: ; @_ZN7rocprim17ROCPRIM_400000_NS6detail17trampoline_kernelINS0_14default_configENS1_25partition_config_selectorILNS1_17partition_subalgoE8ElNS0_10empty_typeEbEEZZNS1_14partition_implILS5_8ELb0ES3_jPlPS6_PKS6_NS0_5tupleIJS9_S6_EEENSD_IJSA_SA_EEENS0_18inequality_wrapperIZN2at6native12_GLOBAL__N_124unique_dim_cuda_templateItEESt5tupleIJNSH_6TensorESM_SM_EERKSM_lbbbEUlllE0_EEPmJS6_EEE10hipError_tPvRmT3_T4_T5_T6_T7_T9_mT8_P12ihipStream_tbDpT10_ENKUlT_T0_E_clISt17integral_constantIbLb0EES1C_EEDaS17_S18_EUlS17_E_NS1_11comp_targetILNS1_3genE2ELNS1_11target_archE906ELNS1_3gpuE6ELNS1_3repE0EEENS1_30default_config_static_selectorELNS0_4arch9wavefront6targetE0EEEvT1_
; %bb.0:
	.section	.rodata,"a",@progbits
	.p2align	6, 0x0
	.amdhsa_kernel _ZN7rocprim17ROCPRIM_400000_NS6detail17trampoline_kernelINS0_14default_configENS1_25partition_config_selectorILNS1_17partition_subalgoE8ElNS0_10empty_typeEbEEZZNS1_14partition_implILS5_8ELb0ES3_jPlPS6_PKS6_NS0_5tupleIJS9_S6_EEENSD_IJSA_SA_EEENS0_18inequality_wrapperIZN2at6native12_GLOBAL__N_124unique_dim_cuda_templateItEESt5tupleIJNSH_6TensorESM_SM_EERKSM_lbbbEUlllE0_EEPmJS6_EEE10hipError_tPvRmT3_T4_T5_T6_T7_T9_mT8_P12ihipStream_tbDpT10_ENKUlT_T0_E_clISt17integral_constantIbLb0EES1C_EEDaS17_S18_EUlS17_E_NS1_11comp_targetILNS1_3genE2ELNS1_11target_archE906ELNS1_3gpuE6ELNS1_3repE0EEENS1_30default_config_static_selectorELNS0_4arch9wavefront6targetE0EEEvT1_
		.amdhsa_group_segment_fixed_size 0
		.amdhsa_private_segment_fixed_size 0
		.amdhsa_kernarg_size 120
		.amdhsa_user_sgpr_count 15
		.amdhsa_user_sgpr_dispatch_ptr 0
		.amdhsa_user_sgpr_queue_ptr 0
		.amdhsa_user_sgpr_kernarg_segment_ptr 1
		.amdhsa_user_sgpr_dispatch_id 0
		.amdhsa_user_sgpr_private_segment_size 0
		.amdhsa_wavefront_size32 1
		.amdhsa_uses_dynamic_stack 0
		.amdhsa_enable_private_segment 0
		.amdhsa_system_sgpr_workgroup_id_x 1
		.amdhsa_system_sgpr_workgroup_id_y 0
		.amdhsa_system_sgpr_workgroup_id_z 0
		.amdhsa_system_sgpr_workgroup_info 0
		.amdhsa_system_vgpr_workitem_id 0
		.amdhsa_next_free_vgpr 1
		.amdhsa_next_free_sgpr 1
		.amdhsa_reserve_vcc 0
		.amdhsa_float_round_mode_32 0
		.amdhsa_float_round_mode_16_64 0
		.amdhsa_float_denorm_mode_32 3
		.amdhsa_float_denorm_mode_16_64 3
		.amdhsa_dx10_clamp 1
		.amdhsa_ieee_mode 1
		.amdhsa_fp16_overflow 0
		.amdhsa_workgroup_processor_mode 1
		.amdhsa_memory_ordered 1
		.amdhsa_forward_progress 0
		.amdhsa_shared_vgpr_count 0
		.amdhsa_exception_fp_ieee_invalid_op 0
		.amdhsa_exception_fp_denorm_src 0
		.amdhsa_exception_fp_ieee_div_zero 0
		.amdhsa_exception_fp_ieee_overflow 0
		.amdhsa_exception_fp_ieee_underflow 0
		.amdhsa_exception_fp_ieee_inexact 0
		.amdhsa_exception_int_div_zero 0
	.end_amdhsa_kernel
	.section	.text._ZN7rocprim17ROCPRIM_400000_NS6detail17trampoline_kernelINS0_14default_configENS1_25partition_config_selectorILNS1_17partition_subalgoE8ElNS0_10empty_typeEbEEZZNS1_14partition_implILS5_8ELb0ES3_jPlPS6_PKS6_NS0_5tupleIJS9_S6_EEENSD_IJSA_SA_EEENS0_18inequality_wrapperIZN2at6native12_GLOBAL__N_124unique_dim_cuda_templateItEESt5tupleIJNSH_6TensorESM_SM_EERKSM_lbbbEUlllE0_EEPmJS6_EEE10hipError_tPvRmT3_T4_T5_T6_T7_T9_mT8_P12ihipStream_tbDpT10_ENKUlT_T0_E_clISt17integral_constantIbLb0EES1C_EEDaS17_S18_EUlS17_E_NS1_11comp_targetILNS1_3genE2ELNS1_11target_archE906ELNS1_3gpuE6ELNS1_3repE0EEENS1_30default_config_static_selectorELNS0_4arch9wavefront6targetE0EEEvT1_,"axG",@progbits,_ZN7rocprim17ROCPRIM_400000_NS6detail17trampoline_kernelINS0_14default_configENS1_25partition_config_selectorILNS1_17partition_subalgoE8ElNS0_10empty_typeEbEEZZNS1_14partition_implILS5_8ELb0ES3_jPlPS6_PKS6_NS0_5tupleIJS9_S6_EEENSD_IJSA_SA_EEENS0_18inequality_wrapperIZN2at6native12_GLOBAL__N_124unique_dim_cuda_templateItEESt5tupleIJNSH_6TensorESM_SM_EERKSM_lbbbEUlllE0_EEPmJS6_EEE10hipError_tPvRmT3_T4_T5_T6_T7_T9_mT8_P12ihipStream_tbDpT10_ENKUlT_T0_E_clISt17integral_constantIbLb0EES1C_EEDaS17_S18_EUlS17_E_NS1_11comp_targetILNS1_3genE2ELNS1_11target_archE906ELNS1_3gpuE6ELNS1_3repE0EEENS1_30default_config_static_selectorELNS0_4arch9wavefront6targetE0EEEvT1_,comdat
.Lfunc_end1421:
	.size	_ZN7rocprim17ROCPRIM_400000_NS6detail17trampoline_kernelINS0_14default_configENS1_25partition_config_selectorILNS1_17partition_subalgoE8ElNS0_10empty_typeEbEEZZNS1_14partition_implILS5_8ELb0ES3_jPlPS6_PKS6_NS0_5tupleIJS9_S6_EEENSD_IJSA_SA_EEENS0_18inequality_wrapperIZN2at6native12_GLOBAL__N_124unique_dim_cuda_templateItEESt5tupleIJNSH_6TensorESM_SM_EERKSM_lbbbEUlllE0_EEPmJS6_EEE10hipError_tPvRmT3_T4_T5_T6_T7_T9_mT8_P12ihipStream_tbDpT10_ENKUlT_T0_E_clISt17integral_constantIbLb0EES1C_EEDaS17_S18_EUlS17_E_NS1_11comp_targetILNS1_3genE2ELNS1_11target_archE906ELNS1_3gpuE6ELNS1_3repE0EEENS1_30default_config_static_selectorELNS0_4arch9wavefront6targetE0EEEvT1_, .Lfunc_end1421-_ZN7rocprim17ROCPRIM_400000_NS6detail17trampoline_kernelINS0_14default_configENS1_25partition_config_selectorILNS1_17partition_subalgoE8ElNS0_10empty_typeEbEEZZNS1_14partition_implILS5_8ELb0ES3_jPlPS6_PKS6_NS0_5tupleIJS9_S6_EEENSD_IJSA_SA_EEENS0_18inequality_wrapperIZN2at6native12_GLOBAL__N_124unique_dim_cuda_templateItEESt5tupleIJNSH_6TensorESM_SM_EERKSM_lbbbEUlllE0_EEPmJS6_EEE10hipError_tPvRmT3_T4_T5_T6_T7_T9_mT8_P12ihipStream_tbDpT10_ENKUlT_T0_E_clISt17integral_constantIbLb0EES1C_EEDaS17_S18_EUlS17_E_NS1_11comp_targetILNS1_3genE2ELNS1_11target_archE906ELNS1_3gpuE6ELNS1_3repE0EEENS1_30default_config_static_selectorELNS0_4arch9wavefront6targetE0EEEvT1_
                                        ; -- End function
	.section	.AMDGPU.csdata,"",@progbits
; Kernel info:
; codeLenInByte = 0
; NumSgprs: 0
; NumVgprs: 0
; ScratchSize: 0
; MemoryBound: 0
; FloatMode: 240
; IeeeMode: 1
; LDSByteSize: 0 bytes/workgroup (compile time only)
; SGPRBlocks: 0
; VGPRBlocks: 0
; NumSGPRsForWavesPerEU: 1
; NumVGPRsForWavesPerEU: 1
; Occupancy: 16
; WaveLimiterHint : 0
; COMPUTE_PGM_RSRC2:SCRATCH_EN: 0
; COMPUTE_PGM_RSRC2:USER_SGPR: 15
; COMPUTE_PGM_RSRC2:TRAP_HANDLER: 0
; COMPUTE_PGM_RSRC2:TGID_X_EN: 1
; COMPUTE_PGM_RSRC2:TGID_Y_EN: 0
; COMPUTE_PGM_RSRC2:TGID_Z_EN: 0
; COMPUTE_PGM_RSRC2:TIDIG_COMP_CNT: 0
	.section	.text._ZN7rocprim17ROCPRIM_400000_NS6detail17trampoline_kernelINS0_14default_configENS1_25partition_config_selectorILNS1_17partition_subalgoE8ElNS0_10empty_typeEbEEZZNS1_14partition_implILS5_8ELb0ES3_jPlPS6_PKS6_NS0_5tupleIJS9_S6_EEENSD_IJSA_SA_EEENS0_18inequality_wrapperIZN2at6native12_GLOBAL__N_124unique_dim_cuda_templateItEESt5tupleIJNSH_6TensorESM_SM_EERKSM_lbbbEUlllE0_EEPmJS6_EEE10hipError_tPvRmT3_T4_T5_T6_T7_T9_mT8_P12ihipStream_tbDpT10_ENKUlT_T0_E_clISt17integral_constantIbLb0EES1C_EEDaS17_S18_EUlS17_E_NS1_11comp_targetILNS1_3genE10ELNS1_11target_archE1200ELNS1_3gpuE4ELNS1_3repE0EEENS1_30default_config_static_selectorELNS0_4arch9wavefront6targetE0EEEvT1_,"axG",@progbits,_ZN7rocprim17ROCPRIM_400000_NS6detail17trampoline_kernelINS0_14default_configENS1_25partition_config_selectorILNS1_17partition_subalgoE8ElNS0_10empty_typeEbEEZZNS1_14partition_implILS5_8ELb0ES3_jPlPS6_PKS6_NS0_5tupleIJS9_S6_EEENSD_IJSA_SA_EEENS0_18inequality_wrapperIZN2at6native12_GLOBAL__N_124unique_dim_cuda_templateItEESt5tupleIJNSH_6TensorESM_SM_EERKSM_lbbbEUlllE0_EEPmJS6_EEE10hipError_tPvRmT3_T4_T5_T6_T7_T9_mT8_P12ihipStream_tbDpT10_ENKUlT_T0_E_clISt17integral_constantIbLb0EES1C_EEDaS17_S18_EUlS17_E_NS1_11comp_targetILNS1_3genE10ELNS1_11target_archE1200ELNS1_3gpuE4ELNS1_3repE0EEENS1_30default_config_static_selectorELNS0_4arch9wavefront6targetE0EEEvT1_,comdat
	.globl	_ZN7rocprim17ROCPRIM_400000_NS6detail17trampoline_kernelINS0_14default_configENS1_25partition_config_selectorILNS1_17partition_subalgoE8ElNS0_10empty_typeEbEEZZNS1_14partition_implILS5_8ELb0ES3_jPlPS6_PKS6_NS0_5tupleIJS9_S6_EEENSD_IJSA_SA_EEENS0_18inequality_wrapperIZN2at6native12_GLOBAL__N_124unique_dim_cuda_templateItEESt5tupleIJNSH_6TensorESM_SM_EERKSM_lbbbEUlllE0_EEPmJS6_EEE10hipError_tPvRmT3_T4_T5_T6_T7_T9_mT8_P12ihipStream_tbDpT10_ENKUlT_T0_E_clISt17integral_constantIbLb0EES1C_EEDaS17_S18_EUlS17_E_NS1_11comp_targetILNS1_3genE10ELNS1_11target_archE1200ELNS1_3gpuE4ELNS1_3repE0EEENS1_30default_config_static_selectorELNS0_4arch9wavefront6targetE0EEEvT1_ ; -- Begin function _ZN7rocprim17ROCPRIM_400000_NS6detail17trampoline_kernelINS0_14default_configENS1_25partition_config_selectorILNS1_17partition_subalgoE8ElNS0_10empty_typeEbEEZZNS1_14partition_implILS5_8ELb0ES3_jPlPS6_PKS6_NS0_5tupleIJS9_S6_EEENSD_IJSA_SA_EEENS0_18inequality_wrapperIZN2at6native12_GLOBAL__N_124unique_dim_cuda_templateItEESt5tupleIJNSH_6TensorESM_SM_EERKSM_lbbbEUlllE0_EEPmJS6_EEE10hipError_tPvRmT3_T4_T5_T6_T7_T9_mT8_P12ihipStream_tbDpT10_ENKUlT_T0_E_clISt17integral_constantIbLb0EES1C_EEDaS17_S18_EUlS17_E_NS1_11comp_targetILNS1_3genE10ELNS1_11target_archE1200ELNS1_3gpuE4ELNS1_3repE0EEENS1_30default_config_static_selectorELNS0_4arch9wavefront6targetE0EEEvT1_
	.p2align	8
	.type	_ZN7rocprim17ROCPRIM_400000_NS6detail17trampoline_kernelINS0_14default_configENS1_25partition_config_selectorILNS1_17partition_subalgoE8ElNS0_10empty_typeEbEEZZNS1_14partition_implILS5_8ELb0ES3_jPlPS6_PKS6_NS0_5tupleIJS9_S6_EEENSD_IJSA_SA_EEENS0_18inequality_wrapperIZN2at6native12_GLOBAL__N_124unique_dim_cuda_templateItEESt5tupleIJNSH_6TensorESM_SM_EERKSM_lbbbEUlllE0_EEPmJS6_EEE10hipError_tPvRmT3_T4_T5_T6_T7_T9_mT8_P12ihipStream_tbDpT10_ENKUlT_T0_E_clISt17integral_constantIbLb0EES1C_EEDaS17_S18_EUlS17_E_NS1_11comp_targetILNS1_3genE10ELNS1_11target_archE1200ELNS1_3gpuE4ELNS1_3repE0EEENS1_30default_config_static_selectorELNS0_4arch9wavefront6targetE0EEEvT1_,@function
_ZN7rocprim17ROCPRIM_400000_NS6detail17trampoline_kernelINS0_14default_configENS1_25partition_config_selectorILNS1_17partition_subalgoE8ElNS0_10empty_typeEbEEZZNS1_14partition_implILS5_8ELb0ES3_jPlPS6_PKS6_NS0_5tupleIJS9_S6_EEENSD_IJSA_SA_EEENS0_18inequality_wrapperIZN2at6native12_GLOBAL__N_124unique_dim_cuda_templateItEESt5tupleIJNSH_6TensorESM_SM_EERKSM_lbbbEUlllE0_EEPmJS6_EEE10hipError_tPvRmT3_T4_T5_T6_T7_T9_mT8_P12ihipStream_tbDpT10_ENKUlT_T0_E_clISt17integral_constantIbLb0EES1C_EEDaS17_S18_EUlS17_E_NS1_11comp_targetILNS1_3genE10ELNS1_11target_archE1200ELNS1_3gpuE4ELNS1_3repE0EEENS1_30default_config_static_selectorELNS0_4arch9wavefront6targetE0EEEvT1_: ; @_ZN7rocprim17ROCPRIM_400000_NS6detail17trampoline_kernelINS0_14default_configENS1_25partition_config_selectorILNS1_17partition_subalgoE8ElNS0_10empty_typeEbEEZZNS1_14partition_implILS5_8ELb0ES3_jPlPS6_PKS6_NS0_5tupleIJS9_S6_EEENSD_IJSA_SA_EEENS0_18inequality_wrapperIZN2at6native12_GLOBAL__N_124unique_dim_cuda_templateItEESt5tupleIJNSH_6TensorESM_SM_EERKSM_lbbbEUlllE0_EEPmJS6_EEE10hipError_tPvRmT3_T4_T5_T6_T7_T9_mT8_P12ihipStream_tbDpT10_ENKUlT_T0_E_clISt17integral_constantIbLb0EES1C_EEDaS17_S18_EUlS17_E_NS1_11comp_targetILNS1_3genE10ELNS1_11target_archE1200ELNS1_3gpuE4ELNS1_3repE0EEENS1_30default_config_static_selectorELNS0_4arch9wavefront6targetE0EEEvT1_
; %bb.0:
	.section	.rodata,"a",@progbits
	.p2align	6, 0x0
	.amdhsa_kernel _ZN7rocprim17ROCPRIM_400000_NS6detail17trampoline_kernelINS0_14default_configENS1_25partition_config_selectorILNS1_17partition_subalgoE8ElNS0_10empty_typeEbEEZZNS1_14partition_implILS5_8ELb0ES3_jPlPS6_PKS6_NS0_5tupleIJS9_S6_EEENSD_IJSA_SA_EEENS0_18inequality_wrapperIZN2at6native12_GLOBAL__N_124unique_dim_cuda_templateItEESt5tupleIJNSH_6TensorESM_SM_EERKSM_lbbbEUlllE0_EEPmJS6_EEE10hipError_tPvRmT3_T4_T5_T6_T7_T9_mT8_P12ihipStream_tbDpT10_ENKUlT_T0_E_clISt17integral_constantIbLb0EES1C_EEDaS17_S18_EUlS17_E_NS1_11comp_targetILNS1_3genE10ELNS1_11target_archE1200ELNS1_3gpuE4ELNS1_3repE0EEENS1_30default_config_static_selectorELNS0_4arch9wavefront6targetE0EEEvT1_
		.amdhsa_group_segment_fixed_size 0
		.amdhsa_private_segment_fixed_size 0
		.amdhsa_kernarg_size 120
		.amdhsa_user_sgpr_count 15
		.amdhsa_user_sgpr_dispatch_ptr 0
		.amdhsa_user_sgpr_queue_ptr 0
		.amdhsa_user_sgpr_kernarg_segment_ptr 1
		.amdhsa_user_sgpr_dispatch_id 0
		.amdhsa_user_sgpr_private_segment_size 0
		.amdhsa_wavefront_size32 1
		.amdhsa_uses_dynamic_stack 0
		.amdhsa_enable_private_segment 0
		.amdhsa_system_sgpr_workgroup_id_x 1
		.amdhsa_system_sgpr_workgroup_id_y 0
		.amdhsa_system_sgpr_workgroup_id_z 0
		.amdhsa_system_sgpr_workgroup_info 0
		.amdhsa_system_vgpr_workitem_id 0
		.amdhsa_next_free_vgpr 1
		.amdhsa_next_free_sgpr 1
		.amdhsa_reserve_vcc 0
		.amdhsa_float_round_mode_32 0
		.amdhsa_float_round_mode_16_64 0
		.amdhsa_float_denorm_mode_32 3
		.amdhsa_float_denorm_mode_16_64 3
		.amdhsa_dx10_clamp 1
		.amdhsa_ieee_mode 1
		.amdhsa_fp16_overflow 0
		.amdhsa_workgroup_processor_mode 1
		.amdhsa_memory_ordered 1
		.amdhsa_forward_progress 0
		.amdhsa_shared_vgpr_count 0
		.amdhsa_exception_fp_ieee_invalid_op 0
		.amdhsa_exception_fp_denorm_src 0
		.amdhsa_exception_fp_ieee_div_zero 0
		.amdhsa_exception_fp_ieee_overflow 0
		.amdhsa_exception_fp_ieee_underflow 0
		.amdhsa_exception_fp_ieee_inexact 0
		.amdhsa_exception_int_div_zero 0
	.end_amdhsa_kernel
	.section	.text._ZN7rocprim17ROCPRIM_400000_NS6detail17trampoline_kernelINS0_14default_configENS1_25partition_config_selectorILNS1_17partition_subalgoE8ElNS0_10empty_typeEbEEZZNS1_14partition_implILS5_8ELb0ES3_jPlPS6_PKS6_NS0_5tupleIJS9_S6_EEENSD_IJSA_SA_EEENS0_18inequality_wrapperIZN2at6native12_GLOBAL__N_124unique_dim_cuda_templateItEESt5tupleIJNSH_6TensorESM_SM_EERKSM_lbbbEUlllE0_EEPmJS6_EEE10hipError_tPvRmT3_T4_T5_T6_T7_T9_mT8_P12ihipStream_tbDpT10_ENKUlT_T0_E_clISt17integral_constantIbLb0EES1C_EEDaS17_S18_EUlS17_E_NS1_11comp_targetILNS1_3genE10ELNS1_11target_archE1200ELNS1_3gpuE4ELNS1_3repE0EEENS1_30default_config_static_selectorELNS0_4arch9wavefront6targetE0EEEvT1_,"axG",@progbits,_ZN7rocprim17ROCPRIM_400000_NS6detail17trampoline_kernelINS0_14default_configENS1_25partition_config_selectorILNS1_17partition_subalgoE8ElNS0_10empty_typeEbEEZZNS1_14partition_implILS5_8ELb0ES3_jPlPS6_PKS6_NS0_5tupleIJS9_S6_EEENSD_IJSA_SA_EEENS0_18inequality_wrapperIZN2at6native12_GLOBAL__N_124unique_dim_cuda_templateItEESt5tupleIJNSH_6TensorESM_SM_EERKSM_lbbbEUlllE0_EEPmJS6_EEE10hipError_tPvRmT3_T4_T5_T6_T7_T9_mT8_P12ihipStream_tbDpT10_ENKUlT_T0_E_clISt17integral_constantIbLb0EES1C_EEDaS17_S18_EUlS17_E_NS1_11comp_targetILNS1_3genE10ELNS1_11target_archE1200ELNS1_3gpuE4ELNS1_3repE0EEENS1_30default_config_static_selectorELNS0_4arch9wavefront6targetE0EEEvT1_,comdat
.Lfunc_end1422:
	.size	_ZN7rocprim17ROCPRIM_400000_NS6detail17trampoline_kernelINS0_14default_configENS1_25partition_config_selectorILNS1_17partition_subalgoE8ElNS0_10empty_typeEbEEZZNS1_14partition_implILS5_8ELb0ES3_jPlPS6_PKS6_NS0_5tupleIJS9_S6_EEENSD_IJSA_SA_EEENS0_18inequality_wrapperIZN2at6native12_GLOBAL__N_124unique_dim_cuda_templateItEESt5tupleIJNSH_6TensorESM_SM_EERKSM_lbbbEUlllE0_EEPmJS6_EEE10hipError_tPvRmT3_T4_T5_T6_T7_T9_mT8_P12ihipStream_tbDpT10_ENKUlT_T0_E_clISt17integral_constantIbLb0EES1C_EEDaS17_S18_EUlS17_E_NS1_11comp_targetILNS1_3genE10ELNS1_11target_archE1200ELNS1_3gpuE4ELNS1_3repE0EEENS1_30default_config_static_selectorELNS0_4arch9wavefront6targetE0EEEvT1_, .Lfunc_end1422-_ZN7rocprim17ROCPRIM_400000_NS6detail17trampoline_kernelINS0_14default_configENS1_25partition_config_selectorILNS1_17partition_subalgoE8ElNS0_10empty_typeEbEEZZNS1_14partition_implILS5_8ELb0ES3_jPlPS6_PKS6_NS0_5tupleIJS9_S6_EEENSD_IJSA_SA_EEENS0_18inequality_wrapperIZN2at6native12_GLOBAL__N_124unique_dim_cuda_templateItEESt5tupleIJNSH_6TensorESM_SM_EERKSM_lbbbEUlllE0_EEPmJS6_EEE10hipError_tPvRmT3_T4_T5_T6_T7_T9_mT8_P12ihipStream_tbDpT10_ENKUlT_T0_E_clISt17integral_constantIbLb0EES1C_EEDaS17_S18_EUlS17_E_NS1_11comp_targetILNS1_3genE10ELNS1_11target_archE1200ELNS1_3gpuE4ELNS1_3repE0EEENS1_30default_config_static_selectorELNS0_4arch9wavefront6targetE0EEEvT1_
                                        ; -- End function
	.section	.AMDGPU.csdata,"",@progbits
; Kernel info:
; codeLenInByte = 0
; NumSgprs: 0
; NumVgprs: 0
; ScratchSize: 0
; MemoryBound: 0
; FloatMode: 240
; IeeeMode: 1
; LDSByteSize: 0 bytes/workgroup (compile time only)
; SGPRBlocks: 0
; VGPRBlocks: 0
; NumSGPRsForWavesPerEU: 1
; NumVGPRsForWavesPerEU: 1
; Occupancy: 15
; WaveLimiterHint : 0
; COMPUTE_PGM_RSRC2:SCRATCH_EN: 0
; COMPUTE_PGM_RSRC2:USER_SGPR: 15
; COMPUTE_PGM_RSRC2:TRAP_HANDLER: 0
; COMPUTE_PGM_RSRC2:TGID_X_EN: 1
; COMPUTE_PGM_RSRC2:TGID_Y_EN: 0
; COMPUTE_PGM_RSRC2:TGID_Z_EN: 0
; COMPUTE_PGM_RSRC2:TIDIG_COMP_CNT: 0
	.section	.text._ZN7rocprim17ROCPRIM_400000_NS6detail17trampoline_kernelINS0_14default_configENS1_25partition_config_selectorILNS1_17partition_subalgoE8ElNS0_10empty_typeEbEEZZNS1_14partition_implILS5_8ELb0ES3_jPlPS6_PKS6_NS0_5tupleIJS9_S6_EEENSD_IJSA_SA_EEENS0_18inequality_wrapperIZN2at6native12_GLOBAL__N_124unique_dim_cuda_templateItEESt5tupleIJNSH_6TensorESM_SM_EERKSM_lbbbEUlllE0_EEPmJS6_EEE10hipError_tPvRmT3_T4_T5_T6_T7_T9_mT8_P12ihipStream_tbDpT10_ENKUlT_T0_E_clISt17integral_constantIbLb0EES1C_EEDaS17_S18_EUlS17_E_NS1_11comp_targetILNS1_3genE9ELNS1_11target_archE1100ELNS1_3gpuE3ELNS1_3repE0EEENS1_30default_config_static_selectorELNS0_4arch9wavefront6targetE0EEEvT1_,"axG",@progbits,_ZN7rocprim17ROCPRIM_400000_NS6detail17trampoline_kernelINS0_14default_configENS1_25partition_config_selectorILNS1_17partition_subalgoE8ElNS0_10empty_typeEbEEZZNS1_14partition_implILS5_8ELb0ES3_jPlPS6_PKS6_NS0_5tupleIJS9_S6_EEENSD_IJSA_SA_EEENS0_18inequality_wrapperIZN2at6native12_GLOBAL__N_124unique_dim_cuda_templateItEESt5tupleIJNSH_6TensorESM_SM_EERKSM_lbbbEUlllE0_EEPmJS6_EEE10hipError_tPvRmT3_T4_T5_T6_T7_T9_mT8_P12ihipStream_tbDpT10_ENKUlT_T0_E_clISt17integral_constantIbLb0EES1C_EEDaS17_S18_EUlS17_E_NS1_11comp_targetILNS1_3genE9ELNS1_11target_archE1100ELNS1_3gpuE3ELNS1_3repE0EEENS1_30default_config_static_selectorELNS0_4arch9wavefront6targetE0EEEvT1_,comdat
	.globl	_ZN7rocprim17ROCPRIM_400000_NS6detail17trampoline_kernelINS0_14default_configENS1_25partition_config_selectorILNS1_17partition_subalgoE8ElNS0_10empty_typeEbEEZZNS1_14partition_implILS5_8ELb0ES3_jPlPS6_PKS6_NS0_5tupleIJS9_S6_EEENSD_IJSA_SA_EEENS0_18inequality_wrapperIZN2at6native12_GLOBAL__N_124unique_dim_cuda_templateItEESt5tupleIJNSH_6TensorESM_SM_EERKSM_lbbbEUlllE0_EEPmJS6_EEE10hipError_tPvRmT3_T4_T5_T6_T7_T9_mT8_P12ihipStream_tbDpT10_ENKUlT_T0_E_clISt17integral_constantIbLb0EES1C_EEDaS17_S18_EUlS17_E_NS1_11comp_targetILNS1_3genE9ELNS1_11target_archE1100ELNS1_3gpuE3ELNS1_3repE0EEENS1_30default_config_static_selectorELNS0_4arch9wavefront6targetE0EEEvT1_ ; -- Begin function _ZN7rocprim17ROCPRIM_400000_NS6detail17trampoline_kernelINS0_14default_configENS1_25partition_config_selectorILNS1_17partition_subalgoE8ElNS0_10empty_typeEbEEZZNS1_14partition_implILS5_8ELb0ES3_jPlPS6_PKS6_NS0_5tupleIJS9_S6_EEENSD_IJSA_SA_EEENS0_18inequality_wrapperIZN2at6native12_GLOBAL__N_124unique_dim_cuda_templateItEESt5tupleIJNSH_6TensorESM_SM_EERKSM_lbbbEUlllE0_EEPmJS6_EEE10hipError_tPvRmT3_T4_T5_T6_T7_T9_mT8_P12ihipStream_tbDpT10_ENKUlT_T0_E_clISt17integral_constantIbLb0EES1C_EEDaS17_S18_EUlS17_E_NS1_11comp_targetILNS1_3genE9ELNS1_11target_archE1100ELNS1_3gpuE3ELNS1_3repE0EEENS1_30default_config_static_selectorELNS0_4arch9wavefront6targetE0EEEvT1_
	.p2align	8
	.type	_ZN7rocprim17ROCPRIM_400000_NS6detail17trampoline_kernelINS0_14default_configENS1_25partition_config_selectorILNS1_17partition_subalgoE8ElNS0_10empty_typeEbEEZZNS1_14partition_implILS5_8ELb0ES3_jPlPS6_PKS6_NS0_5tupleIJS9_S6_EEENSD_IJSA_SA_EEENS0_18inequality_wrapperIZN2at6native12_GLOBAL__N_124unique_dim_cuda_templateItEESt5tupleIJNSH_6TensorESM_SM_EERKSM_lbbbEUlllE0_EEPmJS6_EEE10hipError_tPvRmT3_T4_T5_T6_T7_T9_mT8_P12ihipStream_tbDpT10_ENKUlT_T0_E_clISt17integral_constantIbLb0EES1C_EEDaS17_S18_EUlS17_E_NS1_11comp_targetILNS1_3genE9ELNS1_11target_archE1100ELNS1_3gpuE3ELNS1_3repE0EEENS1_30default_config_static_selectorELNS0_4arch9wavefront6targetE0EEEvT1_,@function
_ZN7rocprim17ROCPRIM_400000_NS6detail17trampoline_kernelINS0_14default_configENS1_25partition_config_selectorILNS1_17partition_subalgoE8ElNS0_10empty_typeEbEEZZNS1_14partition_implILS5_8ELb0ES3_jPlPS6_PKS6_NS0_5tupleIJS9_S6_EEENSD_IJSA_SA_EEENS0_18inequality_wrapperIZN2at6native12_GLOBAL__N_124unique_dim_cuda_templateItEESt5tupleIJNSH_6TensorESM_SM_EERKSM_lbbbEUlllE0_EEPmJS6_EEE10hipError_tPvRmT3_T4_T5_T6_T7_T9_mT8_P12ihipStream_tbDpT10_ENKUlT_T0_E_clISt17integral_constantIbLb0EES1C_EEDaS17_S18_EUlS17_E_NS1_11comp_targetILNS1_3genE9ELNS1_11target_archE1100ELNS1_3gpuE3ELNS1_3repE0EEENS1_30default_config_static_selectorELNS0_4arch9wavefront6targetE0EEEvT1_: ; @_ZN7rocprim17ROCPRIM_400000_NS6detail17trampoline_kernelINS0_14default_configENS1_25partition_config_selectorILNS1_17partition_subalgoE8ElNS0_10empty_typeEbEEZZNS1_14partition_implILS5_8ELb0ES3_jPlPS6_PKS6_NS0_5tupleIJS9_S6_EEENSD_IJSA_SA_EEENS0_18inequality_wrapperIZN2at6native12_GLOBAL__N_124unique_dim_cuda_templateItEESt5tupleIJNSH_6TensorESM_SM_EERKSM_lbbbEUlllE0_EEPmJS6_EEE10hipError_tPvRmT3_T4_T5_T6_T7_T9_mT8_P12ihipStream_tbDpT10_ENKUlT_T0_E_clISt17integral_constantIbLb0EES1C_EEDaS17_S18_EUlS17_E_NS1_11comp_targetILNS1_3genE9ELNS1_11target_archE1100ELNS1_3gpuE3ELNS1_3repE0EEENS1_30default_config_static_selectorELNS0_4arch9wavefront6targetE0EEEvT1_
; %bb.0:
	s_clause 0x3
	s_load_b128 s[4:7], s[0:1], 0x8
	s_load_b256 s[16:23], s[0:1], 0x40
	s_load_b32 s14, s[0:1], 0x70
	s_load_b128 s[8:11], s[0:1], 0x60
	s_mov_b32 s3, 0
	v_lshlrev_b32_e32 v39, 3, v0
	v_lshrrev_b32_e32 v17, 2, v0
	v_or_b32_e32 v24, 0x200, v0
	v_or_b32_e32 v22, 0x400, v0
	;; [unrolled: 1-line block ×7, first 2 shown]
	s_waitcnt lgkmcnt(0)
	s_lshl_b64 s[24:25], s[6:7], 3
	s_load_b64 s[12:13], s[18:19], 0x0
	s_add_u32 s26, s4, s24
	s_addc_u32 s5, s5, s25
	s_add_i32 s24, s14, -1
	s_lshl_b32 s14, s14, 12
	s_lshl_b32 s4, s24, 12
	;; [unrolled: 1-line block ×3, first 2 shown]
	s_add_i32 s4, s6, s4
	s_add_u32 s18, s6, s14
	s_addc_u32 s19, s7, 0
	s_cmp_eq_u32 s15, s24
	v_cmp_ge_u64_e64 s18, s[18:19], s[20:21]
	s_cselect_b32 s14, -1, 0
	s_lshl_b64 s[2:3], s[2:3], 3
	s_delay_alu instid0(VALU_DEP_1) | instskip(NEXT) | instid1(SALU_CYCLE_1)
	s_and_b32 s24, s14, s18
	s_xor_b32 s21, s24, -1
	s_add_u32 s2, s26, s2
	s_addc_u32 s3, s5, s3
	s_and_b32 vcc_lo, exec_lo, s21
	s_mov_b32 s5, -1
	s_cbranch_vccz .LBB1423_2
; %bb.1:
	v_add_co_u32 v9, s5, s2, v39
	s_delay_alu instid0(VALU_DEP_1)
	v_add_co_ci_u32_e64 v10, null, s3, 0, s5
	global_load_b64 v[1:2], v39, s[2:3]
	v_add_co_u32 v3, vcc_lo, v9, 0x2000
	v_add_co_ci_u32_e32 v4, vcc_lo, 0, v10, vcc_lo
	v_add_co_u32 v5, vcc_lo, v9, 0x4000
	v_add_co_ci_u32_e32 v6, vcc_lo, 0, v10, vcc_lo
	;; [unrolled: 2-line block ×4, first 2 shown]
	s_clause 0x6
	global_load_b64 v[11:12], v[3:4], off offset:-4096
	global_load_b64 v[3:4], v[3:4], off
	global_load_b64 v[13:14], v[5:6], off offset:-4096
	global_load_b64 v[5:6], v[5:6], off
	;; [unrolled: 2-line block ×3, first 2 shown]
	global_load_b64 v[9:10], v[9:10], off
	v_lshrrev_b32_e32 v26, 2, v24
	v_lshrrev_b32_e32 v27, 2, v22
	;; [unrolled: 1-line block ×4, first 2 shown]
	v_and_b32_e32 v25, 0x78, v17
	v_lshrrev_b32_e32 v30, 2, v20
	v_lshrrev_b32_e32 v31, 2, v19
	;; [unrolled: 1-line block ×3, first 2 shown]
	v_and_b32_e32 v26, 0xf8, v26
	v_and_b32_e32 v27, 0x178, v27
	;; [unrolled: 1-line block ×4, first 2 shown]
	v_add_nc_u32_e32 v25, v25, v39
	v_and_b32_e32 v30, 0x2f8, v30
	v_and_b32_e32 v31, 0x378, v31
	;; [unrolled: 1-line block ×3, first 2 shown]
	v_add_nc_u32_e32 v26, v26, v39
	v_add_nc_u32_e32 v27, v27, v39
	;; [unrolled: 1-line block ×4, first 2 shown]
	s_mov_b32 s5, 0
	v_add_nc_u32_e32 v30, v30, v39
	v_add_nc_u32_e32 v31, v31, v39
	;; [unrolled: 1-line block ×3, first 2 shown]
	s_waitcnt vmcnt(7)
	ds_store_b64 v25, v[1:2]
	s_waitcnt vmcnt(6)
	ds_store_b64 v26, v[11:12] offset:4096
	s_waitcnt vmcnt(5)
	ds_store_b64 v27, v[3:4] offset:8192
	;; [unrolled: 2-line block ×7, first 2 shown]
	s_waitcnt lgkmcnt(0)
	s_barrier
.LBB1423_2:
	s_and_not1_b32 vcc_lo, exec_lo, s5
	s_sub_i32 s20, s20, s4
	s_cbranch_vccnz .LBB1423_13
; %bb.3:
	s_mov_b32 s4, exec_lo
                                        ; implicit-def: $vgpr1_vgpr2_vgpr3_vgpr4_vgpr5_vgpr6_vgpr7_vgpr8_vgpr9_vgpr10_vgpr11_vgpr12_vgpr13_vgpr14_vgpr15_vgpr16
	v_cmpx_gt_u32_e64 s20, v0
	s_cbranch_execnz .LBB1423_23
; %bb.4:
	s_or_b32 exec_lo, exec_lo, s4
	s_delay_alu instid0(SALU_CYCLE_1)
	s_mov_b32 s4, exec_lo
	v_cmpx_gt_u32_e64 s20, v24
	s_cbranch_execnz .LBB1423_24
.LBB1423_5:
	s_or_b32 exec_lo, exec_lo, s4
	s_delay_alu instid0(SALU_CYCLE_1)
	s_mov_b32 s4, exec_lo
	v_cmpx_gt_u32_e64 s20, v22
	s_cbranch_execnz .LBB1423_25
.LBB1423_6:
	s_or_b32 exec_lo, exec_lo, s4
	s_delay_alu instid0(SALU_CYCLE_1)
	s_mov_b32 s4, exec_lo
	v_cmpx_gt_u32_e64 s20, v23
	s_cbranch_execnz .LBB1423_26
.LBB1423_7:
	s_or_b32 exec_lo, exec_lo, s4
	s_delay_alu instid0(SALU_CYCLE_1)
	s_mov_b32 s4, exec_lo
	v_cmpx_gt_u32_e64 s20, v21
	s_cbranch_execnz .LBB1423_27
.LBB1423_8:
	s_or_b32 exec_lo, exec_lo, s4
	s_delay_alu instid0(SALU_CYCLE_1)
	s_mov_b32 s4, exec_lo
	v_cmpx_gt_u32_e64 s20, v20
	s_cbranch_execnz .LBB1423_28
.LBB1423_9:
	s_or_b32 exec_lo, exec_lo, s4
	s_delay_alu instid0(SALU_CYCLE_1)
	s_mov_b32 s4, exec_lo
	v_cmpx_gt_u32_e64 s20, v19
	s_cbranch_execnz .LBB1423_29
.LBB1423_10:
	s_or_b32 exec_lo, exec_lo, s4
	s_delay_alu instid0(SALU_CYCLE_1)
	s_mov_b32 s4, exec_lo
	v_cmpx_gt_u32_e64 s20, v18
	s_cbranch_execz .LBB1423_12
.LBB1423_11:
	v_lshlrev_b32_e32 v15, 3, v18
	global_load_b64 v[15:16], v15, s[2:3]
.LBB1423_12:
	s_or_b32 exec_lo, exec_lo, s4
	v_lshrrev_b32_e32 v24, 2, v24
	v_lshrrev_b32_e32 v22, 2, v22
	;; [unrolled: 1-line block ×4, first 2 shown]
	v_and_b32_e32 v25, 0x78, v17
	v_lshrrev_b32_e32 v20, 2, v20
	v_lshrrev_b32_e32 v19, 2, v19
	;; [unrolled: 1-line block ×3, first 2 shown]
	v_and_b32_e32 v24, 0xf8, v24
	v_and_b32_e32 v22, 0x1f8, v22
	;; [unrolled: 1-line block ×4, first 2 shown]
	v_add_nc_u32_e32 v25, v25, v39
	v_and_b32_e32 v20, 0x3f8, v20
	v_and_b32_e32 v19, 0x3f8, v19
	;; [unrolled: 1-line block ×3, first 2 shown]
	v_add_nc_u32_e32 v24, v24, v39
	v_add_nc_u32_e32 v22, v22, v39
	;; [unrolled: 1-line block ×7, first 2 shown]
	s_waitcnt vmcnt(0)
	ds_store_b64 v25, v[1:2]
	ds_store_b64 v24, v[3:4] offset:4096
	ds_store_b64 v22, v[5:6] offset:8192
	;; [unrolled: 1-line block ×7, first 2 shown]
	s_waitcnt lgkmcnt(0)
	s_barrier
.LBB1423_13:
	v_add_lshl_u32 v1, v17, v39, 3
	s_waitcnt lgkmcnt(0)
	buffer_gl0_inv
	s_cmp_lg_u32 s15, 0
	v_cmp_gt_i64_e64 s26, s[22:23], 0
	s_cselect_b32 s25, -1, 0
	ds_load_2addr_b64 v[13:16], v1 offset1:1
	ds_load_2addr_b64 v[9:12], v1 offset0:2 offset1:3
	ds_load_2addr_b64 v[5:8], v1 offset0:4 offset1:5
	;; [unrolled: 1-line block ×3, first 2 shown]
	s_cmp_lg_u64 s[6:7], 0
	s_mov_b32 s18, 0
	s_cselect_b32 s4, -1, 0
	s_waitcnt lgkmcnt(0)
	s_or_b32 s4, s25, s4
	s_barrier
	s_and_b32 vcc_lo, exec_lo, s4
	buffer_gl0_inv
	s_cbranch_vccz .LBB1423_22
; %bb.14:
	s_add_u32 s2, s2, -8
	s_addc_u32 s3, s3, -1
	v_cndmask_b32_e64 v25, 0, 1, s26
	s_load_b64 s[4:5], s[2:3], 0x0
	s_and_b32 vcc_lo, exec_lo, s21
	ds_store_b64 v39, v[3:4]
	v_cmp_ne_u32_e64 s2, 1, v25
	s_cbranch_vccz .LBB1423_30
; %bb.15:
	v_mul_lo_u32 v19, v2, s22
	v_mul_lo_u32 v20, v1, s23
	v_mad_u64_u32 v[17:18], null, v1, s22, 0
	s_mov_b32 s3, 0
	s_and_b32 vcc_lo, exec_lo, s2
	s_mov_b32 s27, 0
	s_delay_alu instid0(VALU_DEP_1) | instskip(NEXT) | instid1(VALU_DEP_1)
	v_add3_u32 v18, v18, v20, v19
	v_lshlrev_b64 v[17:18], 1, v[17:18]
	s_cbranch_vccnz .LBB1423_33
; %bb.16:
	v_mul_lo_u32 v21, v4, s22
	v_mul_lo_u32 v22, v3, s23
	v_mad_u64_u32 v[19:20], null, v3, s22, 0
	s_mov_b32 s27, -1
	s_mov_b32 s28, exec_lo
	s_delay_alu instid0(VALU_DEP_1) | instskip(SKIP_2) | instid1(VALU_DEP_3)
	v_add3_u32 v20, v20, v22, v21
	v_add_co_u32 v21, vcc_lo, s8, v17
	v_add_co_ci_u32_e32 v22, vcc_lo, s9, v18, vcc_lo
	v_lshlrev_b64 v[19:20], 1, v[19:20]
	s_delay_alu instid0(VALU_DEP_1) | instskip(NEXT) | instid1(VALU_DEP_2)
	v_add_co_u32 v19, vcc_lo, s8, v19
	v_add_co_ci_u32_e32 v20, vcc_lo, s9, v20, vcc_lo
	s_clause 0x1
	global_load_u16 v23, v[21:22], off
	global_load_u16 v24, v[19:20], off
	s_waitcnt vmcnt(0)
	v_cmpx_eq_u16_e64 v23, v24
	s_cbranch_execz .LBB1423_32
; %bb.17:
	v_add_co_u32 v19, vcc_lo, v19, 2
	v_add_co_ci_u32_e32 v20, vcc_lo, 0, v20, vcc_lo
	v_add_co_u32 v21, vcc_lo, v21, 2
	v_add_co_ci_u32_e32 v22, vcc_lo, 0, v22, vcc_lo
	s_add_u32 s6, s22, -1
	s_addc_u32 s7, s23, -1
	s_mov_b64 s[18:19], 0
	s_mov_b32 s27, 0
                                        ; implicit-def: $sgpr29
	s_set_inst_prefetch_distance 0x1
	s_branch .LBB1423_20
	.p2align	6
.LBB1423_18:                            ;   in Loop: Header=BB1423_20 Depth=1
	global_load_u16 v23, v[21:22], off
	global_load_u16 v24, v[19:20], off
	v_add_co_u32 v19, vcc_lo, v19, 2
	v_add_co_ci_u32_e32 v20, vcc_lo, 0, v20, vcc_lo
	v_add_co_u32 v21, s2, v21, 2
	s_delay_alu instid0(VALU_DEP_1)
	v_add_co_ci_u32_e64 v22, s2, 0, v22, s2
	s_add_u32 s18, s18, 1
	s_addc_u32 s19, s19, 0
	s_and_not1_b32 s2, s29, exec_lo
	s_waitcnt vmcnt(0)
	v_cmp_ne_u16_e32 vcc_lo, v23, v24
	s_and_b32 s29, vcc_lo, exec_lo
	s_delay_alu instid0(SALU_CYCLE_1)
	s_or_b32 s29, s2, s29
.LBB1423_19:                            ;   in Loop: Header=BB1423_20 Depth=1
	v_dual_mov_b32 v24, s19 :: v_dual_mov_b32 v23, s18
	s_and_b32 s2, exec_lo, s29
	s_delay_alu instid0(SALU_CYCLE_1) | instskip(NEXT) | instid1(SALU_CYCLE_1)
	s_or_b32 s27, s2, s27
	s_and_not1_b32 exec_lo, exec_lo, s27
	s_cbranch_execz .LBB1423_31
.LBB1423_20:                            ; =>This Inner Loop Header: Depth=1
	s_or_b32 s29, s29, exec_lo
	s_cmp_eq_u64 s[6:7], s[18:19]
	s_cbranch_scc0 .LBB1423_18
; %bb.21:                               ;   in Loop: Header=BB1423_20 Depth=1
	s_mov_b64 s[18:19], s[22:23]
                                        ; implicit-def: $vgpr19_vgpr20
                                        ; implicit-def: $vgpr21_vgpr22
	s_branch .LBB1423_19
.LBB1423_22:
                                        ; implicit-def: $sgpr2
                                        ; implicit-def: $vgpr18
	s_branch .LBB1423_191
.LBB1423_23:
	global_load_b64 v[1:2], v39, s[2:3]
	s_or_b32 exec_lo, exec_lo, s4
	s_delay_alu instid0(SALU_CYCLE_1)
	s_mov_b32 s4, exec_lo
	v_cmpx_gt_u32_e64 s20, v24
	s_cbranch_execz .LBB1423_5
.LBB1423_24:
	v_lshlrev_b32_e32 v3, 3, v24
	global_load_b64 v[3:4], v3, s[2:3]
	s_or_b32 exec_lo, exec_lo, s4
	s_delay_alu instid0(SALU_CYCLE_1)
	s_mov_b32 s4, exec_lo
	v_cmpx_gt_u32_e64 s20, v22
	s_cbranch_execz .LBB1423_6
.LBB1423_25:
	v_lshlrev_b32_e32 v5, 3, v22
	global_load_b64 v[5:6], v5, s[2:3]
	s_or_b32 exec_lo, exec_lo, s4
	s_delay_alu instid0(SALU_CYCLE_1)
	s_mov_b32 s4, exec_lo
	v_cmpx_gt_u32_e64 s20, v23
	s_cbranch_execz .LBB1423_7
.LBB1423_26:
	v_lshlrev_b32_e32 v7, 3, v23
	global_load_b64 v[7:8], v7, s[2:3]
	s_or_b32 exec_lo, exec_lo, s4
	s_delay_alu instid0(SALU_CYCLE_1)
	s_mov_b32 s4, exec_lo
	v_cmpx_gt_u32_e64 s20, v21
	s_cbranch_execz .LBB1423_8
.LBB1423_27:
	v_lshlrev_b32_e32 v9, 3, v21
	global_load_b64 v[9:10], v9, s[2:3]
	s_or_b32 exec_lo, exec_lo, s4
	s_delay_alu instid0(SALU_CYCLE_1)
	s_mov_b32 s4, exec_lo
	v_cmpx_gt_u32_e64 s20, v20
	s_cbranch_execz .LBB1423_9
.LBB1423_28:
	v_lshlrev_b32_e32 v11, 3, v20
	global_load_b64 v[11:12], v11, s[2:3]
	s_or_b32 exec_lo, exec_lo, s4
	s_delay_alu instid0(SALU_CYCLE_1)
	s_mov_b32 s4, exec_lo
	v_cmpx_gt_u32_e64 s20, v19
	s_cbranch_execz .LBB1423_10
.LBB1423_29:
	v_lshlrev_b32_e32 v13, 3, v19
	global_load_b64 v[13:14], v13, s[2:3]
	s_or_b32 exec_lo, exec_lo, s4
	s_delay_alu instid0(SALU_CYCLE_1)
	s_mov_b32 s4, exec_lo
	v_cmpx_gt_u32_e64 s20, v18
	s_cbranch_execnz .LBB1423_11
	s_branch .LBB1423_12
.LBB1423_30:
                                        ; implicit-def: $sgpr2
                                        ; implicit-def: $vgpr18
	s_cbranch_execnz .LBB1423_99
	s_branch .LBB1423_190
.LBB1423_31:
	s_set_inst_prefetch_distance 0x2
	s_or_b32 exec_lo, exec_lo, s27
	v_cmp_gt_i64_e32 vcc_lo, s[22:23], v[23:24]
	s_or_not1_b32 s27, vcc_lo, exec_lo
.LBB1423_32:
	s_or_b32 exec_lo, exec_lo, s28
.LBB1423_33:
	v_mul_lo_u32 v21, v8, s22
	v_mul_lo_u32 v22, v7, s23
	v_mad_u64_u32 v[19:20], null, v7, s22, 0
	s_and_not1_b32 vcc_lo, exec_lo, s26
	s_delay_alu instid0(VALU_DEP_1) | instskip(NEXT) | instid1(VALU_DEP_1)
	v_add3_u32 v20, v20, v22, v21
	v_lshlrev_b64 v[19:20], 1, v[19:20]
	s_cbranch_vccnz .LBB1423_42
; %bb.34:
	s_delay_alu instid0(VALU_DEP_1) | instskip(NEXT) | instid1(VALU_DEP_2)
	v_add_co_u32 v21, vcc_lo, s8, v19
	v_add_co_ci_u32_e32 v22, vcc_lo, s9, v20, vcc_lo
	v_add_co_u32 v17, vcc_lo, s8, v17
	v_add_co_ci_u32_e32 v18, vcc_lo, s9, v18, vcc_lo
	s_mov_b32 s3, -1
	s_clause 0x1
	global_load_u16 v23, v[21:22], off
	global_load_u16 v24, v[17:18], off
	s_mov_b32 s28, exec_lo
	s_waitcnt vmcnt(0)
	v_cmpx_eq_u16_e64 v23, v24
	s_cbranch_execz .LBB1423_41
; %bb.35:
	v_add_co_u32 v17, vcc_lo, v17, 2
	v_add_co_ci_u32_e32 v18, vcc_lo, 0, v18, vcc_lo
	v_add_co_u32 v21, vcc_lo, v21, 2
	v_add_co_ci_u32_e32 v22, vcc_lo, 0, v22, vcc_lo
	s_add_u32 s6, s22, -1
	s_addc_u32 s7, s23, -1
	s_mov_b64 s[18:19], 0
	s_mov_b32 s3, 0
                                        ; implicit-def: $sgpr29
	s_set_inst_prefetch_distance 0x1
	s_branch .LBB1423_38
	.p2align	6
.LBB1423_36:                            ;   in Loop: Header=BB1423_38 Depth=1
	global_load_u16 v23, v[21:22], off
	global_load_u16 v24, v[17:18], off
	v_add_co_u32 v17, vcc_lo, v17, 2
	v_add_co_ci_u32_e32 v18, vcc_lo, 0, v18, vcc_lo
	v_add_co_u32 v21, s2, v21, 2
	s_delay_alu instid0(VALU_DEP_1)
	v_add_co_ci_u32_e64 v22, s2, 0, v22, s2
	s_add_u32 s18, s18, 1
	s_addc_u32 s19, s19, 0
	s_and_not1_b32 s2, s29, exec_lo
	s_waitcnt vmcnt(0)
	v_cmp_ne_u16_e32 vcc_lo, v23, v24
	s_and_b32 s29, vcc_lo, exec_lo
	s_delay_alu instid0(SALU_CYCLE_1)
	s_or_b32 s29, s2, s29
.LBB1423_37:                            ;   in Loop: Header=BB1423_38 Depth=1
	v_dual_mov_b32 v24, s19 :: v_dual_mov_b32 v23, s18
	s_and_b32 s2, exec_lo, s29
	s_delay_alu instid0(SALU_CYCLE_1) | instskip(NEXT) | instid1(SALU_CYCLE_1)
	s_or_b32 s3, s2, s3
	s_and_not1_b32 exec_lo, exec_lo, s3
	s_cbranch_execz .LBB1423_40
.LBB1423_38:                            ; =>This Inner Loop Header: Depth=1
	s_or_b32 s29, s29, exec_lo
	s_cmp_eq_u64 s[6:7], s[18:19]
	s_cbranch_scc0 .LBB1423_36
; %bb.39:                               ;   in Loop: Header=BB1423_38 Depth=1
	s_mov_b64 s[18:19], s[22:23]
                                        ; implicit-def: $vgpr17_vgpr18
                                        ; implicit-def: $vgpr21_vgpr22
	s_branch .LBB1423_37
.LBB1423_40:
	s_set_inst_prefetch_distance 0x2
	s_or_b32 exec_lo, exec_lo, s3
	v_cmp_gt_i64_e32 vcc_lo, s[22:23], v[23:24]
	s_or_not1_b32 s3, vcc_lo, exec_lo
.LBB1423_41:
	s_or_b32 exec_lo, exec_lo, s28
.LBB1423_42:
	v_mul_lo_u32 v21, v6, s22
	v_mul_lo_u32 v22, v5, s23
	v_mad_u64_u32 v[17:18], null, v5, s22, 0
	s_mov_b32 s28, 0
	s_and_not1_b32 vcc_lo, exec_lo, s26
	s_mov_b32 s29, 0
	s_delay_alu instid0(VALU_DEP_1) | instskip(NEXT) | instid1(VALU_DEP_1)
	v_add3_u32 v18, v18, v22, v21
	v_lshlrev_b64 v[21:22], 1, v[17:18]
	s_cbranch_vccnz .LBB1423_51
; %bb.43:
	s_delay_alu instid0(VALU_DEP_1) | instskip(NEXT) | instid1(VALU_DEP_2)
	v_add_co_u32 v23, vcc_lo, s8, v21
	v_add_co_ci_u32_e32 v24, vcc_lo, s9, v22, vcc_lo
	v_add_co_u32 v17, vcc_lo, s8, v19
	v_add_co_ci_u32_e32 v18, vcc_lo, s9, v20, vcc_lo
	s_mov_b32 s29, -1
	s_clause 0x1
	global_load_u16 v19, v[23:24], off
	global_load_u16 v20, v[17:18], off
	s_mov_b32 s30, exec_lo
	s_waitcnt vmcnt(0)
	v_cmpx_eq_u16_e64 v19, v20
	s_cbranch_execz .LBB1423_50
; %bb.44:
	v_add_co_u32 v17, vcc_lo, v17, 2
	v_add_co_ci_u32_e32 v18, vcc_lo, 0, v18, vcc_lo
	v_add_co_u32 v19, vcc_lo, v23, 2
	v_add_co_ci_u32_e32 v20, vcc_lo, 0, v24, vcc_lo
	s_add_u32 s6, s22, -1
	s_addc_u32 s7, s23, -1
	s_mov_b64 s[18:19], 0
	s_mov_b32 s29, 0
                                        ; implicit-def: $sgpr31
	s_set_inst_prefetch_distance 0x1
	s_branch .LBB1423_47
	.p2align	6
.LBB1423_45:                            ;   in Loop: Header=BB1423_47 Depth=1
	global_load_u16 v23, v[19:20], off
	global_load_u16 v24, v[17:18], off
	v_add_co_u32 v17, vcc_lo, v17, 2
	v_add_co_ci_u32_e32 v18, vcc_lo, 0, v18, vcc_lo
	v_add_co_u32 v19, s2, v19, 2
	s_delay_alu instid0(VALU_DEP_1)
	v_add_co_ci_u32_e64 v20, s2, 0, v20, s2
	s_add_u32 s18, s18, 1
	s_addc_u32 s19, s19, 0
	s_and_not1_b32 s2, s31, exec_lo
	s_waitcnt vmcnt(0)
	v_cmp_ne_u16_e32 vcc_lo, v23, v24
	s_and_b32 s31, vcc_lo, exec_lo
	s_delay_alu instid0(SALU_CYCLE_1)
	s_or_b32 s31, s2, s31
.LBB1423_46:                            ;   in Loop: Header=BB1423_47 Depth=1
	v_dual_mov_b32 v24, s19 :: v_dual_mov_b32 v23, s18
	s_and_b32 s2, exec_lo, s31
	s_delay_alu instid0(SALU_CYCLE_1) | instskip(NEXT) | instid1(SALU_CYCLE_1)
	s_or_b32 s29, s2, s29
	s_and_not1_b32 exec_lo, exec_lo, s29
	s_cbranch_execz .LBB1423_49
.LBB1423_47:                            ; =>This Inner Loop Header: Depth=1
	s_or_b32 s31, s31, exec_lo
	s_cmp_eq_u64 s[6:7], s[18:19]
	s_cbranch_scc0 .LBB1423_45
; %bb.48:                               ;   in Loop: Header=BB1423_47 Depth=1
	s_mov_b64 s[18:19], s[22:23]
                                        ; implicit-def: $vgpr17_vgpr18
                                        ; implicit-def: $vgpr19_vgpr20
	s_branch .LBB1423_46
.LBB1423_49:
	s_set_inst_prefetch_distance 0x2
	s_or_b32 exec_lo, exec_lo, s29
	v_cmp_gt_i64_e32 vcc_lo, s[22:23], v[23:24]
	s_or_not1_b32 s29, vcc_lo, exec_lo
.LBB1423_50:
	s_or_b32 exec_lo, exec_lo, s30
.LBB1423_51:
	v_mul_lo_u32 v19, v12, s22
	v_mul_lo_u32 v20, v11, s23
	v_mad_u64_u32 v[17:18], null, v11, s22, 0
	s_and_not1_b32 vcc_lo, exec_lo, s26
	s_delay_alu instid0(VALU_DEP_1) | instskip(NEXT) | instid1(VALU_DEP_1)
	v_add3_u32 v18, v18, v20, v19
	v_lshlrev_b64 v[17:18], 1, v[17:18]
	s_cbranch_vccnz .LBB1423_60
; %bb.52:
	s_delay_alu instid0(VALU_DEP_1) | instskip(NEXT) | instid1(VALU_DEP_2)
	v_add_co_u32 v23, vcc_lo, s8, v17
	v_add_co_ci_u32_e32 v24, vcc_lo, s9, v18, vcc_lo
	v_add_co_u32 v19, vcc_lo, s8, v21
	v_add_co_ci_u32_e32 v20, vcc_lo, s9, v22, vcc_lo
	s_mov_b32 s28, -1
	s_clause 0x1
	global_load_u16 v21, v[23:24], off
	global_load_u16 v22, v[19:20], off
	s_mov_b32 s30, exec_lo
	s_waitcnt vmcnt(0)
	v_cmpx_eq_u16_e64 v21, v22
	s_cbranch_execz .LBB1423_59
; %bb.53:
	v_add_co_u32 v19, vcc_lo, v19, 2
	v_add_co_ci_u32_e32 v20, vcc_lo, 0, v20, vcc_lo
	v_add_co_u32 v21, vcc_lo, v23, 2
	v_add_co_ci_u32_e32 v22, vcc_lo, 0, v24, vcc_lo
	s_add_u32 s6, s22, -1
	s_addc_u32 s7, s23, -1
	s_mov_b64 s[18:19], 0
	s_mov_b32 s28, 0
                                        ; implicit-def: $sgpr31
	s_set_inst_prefetch_distance 0x1
	s_branch .LBB1423_56
	.p2align	6
.LBB1423_54:                            ;   in Loop: Header=BB1423_56 Depth=1
	global_load_u16 v23, v[21:22], off
	global_load_u16 v24, v[19:20], off
	v_add_co_u32 v19, vcc_lo, v19, 2
	v_add_co_ci_u32_e32 v20, vcc_lo, 0, v20, vcc_lo
	v_add_co_u32 v21, s2, v21, 2
	s_delay_alu instid0(VALU_DEP_1)
	v_add_co_ci_u32_e64 v22, s2, 0, v22, s2
	s_add_u32 s18, s18, 1
	s_addc_u32 s19, s19, 0
	s_and_not1_b32 s2, s31, exec_lo
	s_waitcnt vmcnt(0)
	v_cmp_ne_u16_e32 vcc_lo, v23, v24
	s_and_b32 s31, vcc_lo, exec_lo
	s_delay_alu instid0(SALU_CYCLE_1)
	s_or_b32 s31, s2, s31
.LBB1423_55:                            ;   in Loop: Header=BB1423_56 Depth=1
	v_dual_mov_b32 v24, s19 :: v_dual_mov_b32 v23, s18
	s_and_b32 s2, exec_lo, s31
	s_delay_alu instid0(SALU_CYCLE_1) | instskip(NEXT) | instid1(SALU_CYCLE_1)
	s_or_b32 s28, s2, s28
	s_and_not1_b32 exec_lo, exec_lo, s28
	s_cbranch_execz .LBB1423_58
.LBB1423_56:                            ; =>This Inner Loop Header: Depth=1
	s_or_b32 s31, s31, exec_lo
	s_cmp_eq_u64 s[6:7], s[18:19]
	s_cbranch_scc0 .LBB1423_54
; %bb.57:                               ;   in Loop: Header=BB1423_56 Depth=1
	s_mov_b64 s[18:19], s[22:23]
                                        ; implicit-def: $vgpr19_vgpr20
                                        ; implicit-def: $vgpr21_vgpr22
	s_branch .LBB1423_55
.LBB1423_58:
	s_set_inst_prefetch_distance 0x2
	s_or_b32 exec_lo, exec_lo, s28
	v_cmp_gt_i64_e32 vcc_lo, s[22:23], v[23:24]
	s_or_not1_b32 s28, vcc_lo, exec_lo
.LBB1423_59:
	s_or_b32 exec_lo, exec_lo, s30
.LBB1423_60:
	v_mul_lo_u32 v21, v10, s22
	v_mul_lo_u32 v22, v9, s23
	v_mad_u64_u32 v[19:20], null, v9, s22, 0
	s_mov_b32 s30, 0
	s_and_not1_b32 vcc_lo, exec_lo, s26
	s_mov_b32 s31, 0
	s_delay_alu instid0(VALU_DEP_1) | instskip(NEXT) | instid1(VALU_DEP_1)
	v_add3_u32 v20, v20, v22, v21
	v_lshlrev_b64 v[21:22], 1, v[19:20]
	s_cbranch_vccnz .LBB1423_69
; %bb.61:
	s_delay_alu instid0(VALU_DEP_1) | instskip(NEXT) | instid1(VALU_DEP_2)
	v_add_co_u32 v19, vcc_lo, s8, v21
	v_add_co_ci_u32_e32 v20, vcc_lo, s9, v22, vcc_lo
	v_add_co_u32 v17, vcc_lo, s8, v17
	v_add_co_ci_u32_e32 v18, vcc_lo, s9, v18, vcc_lo
	s_mov_b32 s31, -1
	s_clause 0x1
	global_load_u16 v23, v[19:20], off
	global_load_u16 v24, v[17:18], off
	s_mov_b32 s33, exec_lo
	s_waitcnt vmcnt(0)
	v_cmpx_eq_u16_e64 v23, v24
	s_cbranch_execz .LBB1423_68
; %bb.62:
	v_add_co_u32 v17, vcc_lo, v17, 2
	v_add_co_ci_u32_e32 v18, vcc_lo, 0, v18, vcc_lo
	v_add_co_u32 v19, vcc_lo, v19, 2
	v_add_co_ci_u32_e32 v20, vcc_lo, 0, v20, vcc_lo
	s_add_u32 s6, s22, -1
	s_addc_u32 s7, s23, -1
	s_mov_b64 s[18:19], 0
	s_mov_b32 s31, 0
                                        ; implicit-def: $sgpr34
	s_set_inst_prefetch_distance 0x1
	s_branch .LBB1423_65
	.p2align	6
.LBB1423_63:                            ;   in Loop: Header=BB1423_65 Depth=1
	global_load_u16 v23, v[19:20], off
	global_load_u16 v24, v[17:18], off
	v_add_co_u32 v17, vcc_lo, v17, 2
	v_add_co_ci_u32_e32 v18, vcc_lo, 0, v18, vcc_lo
	v_add_co_u32 v19, s2, v19, 2
	s_delay_alu instid0(VALU_DEP_1)
	v_add_co_ci_u32_e64 v20, s2, 0, v20, s2
	s_add_u32 s18, s18, 1
	s_addc_u32 s19, s19, 0
	s_and_not1_b32 s2, s34, exec_lo
	s_waitcnt vmcnt(0)
	v_cmp_ne_u16_e32 vcc_lo, v23, v24
	s_and_b32 s34, vcc_lo, exec_lo
	s_delay_alu instid0(SALU_CYCLE_1)
	s_or_b32 s34, s2, s34
.LBB1423_64:                            ;   in Loop: Header=BB1423_65 Depth=1
	v_dual_mov_b32 v24, s19 :: v_dual_mov_b32 v23, s18
	s_and_b32 s2, exec_lo, s34
	s_delay_alu instid0(SALU_CYCLE_1) | instskip(NEXT) | instid1(SALU_CYCLE_1)
	s_or_b32 s31, s2, s31
	s_and_not1_b32 exec_lo, exec_lo, s31
	s_cbranch_execz .LBB1423_67
.LBB1423_65:                            ; =>This Inner Loop Header: Depth=1
	s_or_b32 s34, s34, exec_lo
	s_cmp_eq_u64 s[6:7], s[18:19]
	s_cbranch_scc0 .LBB1423_63
; %bb.66:                               ;   in Loop: Header=BB1423_65 Depth=1
	s_mov_b64 s[18:19], s[22:23]
                                        ; implicit-def: $vgpr17_vgpr18
                                        ; implicit-def: $vgpr19_vgpr20
	s_branch .LBB1423_64
.LBB1423_67:
	s_set_inst_prefetch_distance 0x2
	s_or_b32 exec_lo, exec_lo, s31
	v_cmp_gt_i64_e32 vcc_lo, s[22:23], v[23:24]
	s_or_not1_b32 s31, vcc_lo, exec_lo
.LBB1423_68:
	s_or_b32 exec_lo, exec_lo, s33
.LBB1423_69:
	v_mul_lo_u32 v19, v16, s22
	v_mul_lo_u32 v20, v15, s23
	v_mad_u64_u32 v[17:18], null, v15, s22, 0
	s_and_not1_b32 vcc_lo, exec_lo, s26
	s_delay_alu instid0(VALU_DEP_1) | instskip(NEXT) | instid1(VALU_DEP_1)
	v_add3_u32 v18, v18, v20, v19
	v_lshlrev_b64 v[19:20], 1, v[17:18]
	s_cbranch_vccnz .LBB1423_78
; %bb.70:
	s_delay_alu instid0(VALU_DEP_1) | instskip(NEXT) | instid1(VALU_DEP_2)
	v_add_co_u32 v23, vcc_lo, s8, v19
	v_add_co_ci_u32_e32 v24, vcc_lo, s9, v20, vcc_lo
	v_add_co_u32 v17, vcc_lo, s8, v21
	v_add_co_ci_u32_e32 v18, vcc_lo, s9, v22, vcc_lo
	s_mov_b32 s30, -1
	s_clause 0x1
	global_load_u16 v21, v[23:24], off
	global_load_u16 v22, v[17:18], off
	s_mov_b32 s33, exec_lo
	s_waitcnt vmcnt(0)
	v_cmpx_eq_u16_e64 v21, v22
	s_cbranch_execz .LBB1423_77
; %bb.71:
	v_add_co_u32 v17, vcc_lo, v17, 2
	v_add_co_ci_u32_e32 v18, vcc_lo, 0, v18, vcc_lo
	v_add_co_u32 v21, vcc_lo, v23, 2
	v_add_co_ci_u32_e32 v22, vcc_lo, 0, v24, vcc_lo
	s_add_u32 s6, s22, -1
	s_addc_u32 s7, s23, -1
	s_mov_b64 s[18:19], 0
	s_mov_b32 s30, 0
                                        ; implicit-def: $sgpr34
	s_set_inst_prefetch_distance 0x1
	s_branch .LBB1423_74
	.p2align	6
.LBB1423_72:                            ;   in Loop: Header=BB1423_74 Depth=1
	global_load_u16 v23, v[21:22], off
	global_load_u16 v24, v[17:18], off
	v_add_co_u32 v17, vcc_lo, v17, 2
	v_add_co_ci_u32_e32 v18, vcc_lo, 0, v18, vcc_lo
	v_add_co_u32 v21, s2, v21, 2
	s_delay_alu instid0(VALU_DEP_1)
	v_add_co_ci_u32_e64 v22, s2, 0, v22, s2
	s_add_u32 s18, s18, 1
	s_addc_u32 s19, s19, 0
	s_and_not1_b32 s2, s34, exec_lo
	s_waitcnt vmcnt(0)
	v_cmp_ne_u16_e32 vcc_lo, v23, v24
	s_and_b32 s34, vcc_lo, exec_lo
	s_delay_alu instid0(SALU_CYCLE_1)
	s_or_b32 s34, s2, s34
.LBB1423_73:                            ;   in Loop: Header=BB1423_74 Depth=1
	v_dual_mov_b32 v24, s19 :: v_dual_mov_b32 v23, s18
	s_and_b32 s2, exec_lo, s34
	s_delay_alu instid0(SALU_CYCLE_1) | instskip(NEXT) | instid1(SALU_CYCLE_1)
	s_or_b32 s30, s2, s30
	s_and_not1_b32 exec_lo, exec_lo, s30
	s_cbranch_execz .LBB1423_76
.LBB1423_74:                            ; =>This Inner Loop Header: Depth=1
	s_or_b32 s34, s34, exec_lo
	s_cmp_eq_u64 s[6:7], s[18:19]
	s_cbranch_scc0 .LBB1423_72
; %bb.75:                               ;   in Loop: Header=BB1423_74 Depth=1
	s_mov_b64 s[18:19], s[22:23]
                                        ; implicit-def: $vgpr17_vgpr18
                                        ; implicit-def: $vgpr21_vgpr22
	s_branch .LBB1423_73
.LBB1423_76:
	s_set_inst_prefetch_distance 0x2
	s_or_b32 exec_lo, exec_lo, s30
	v_cmp_gt_i64_e32 vcc_lo, s[22:23], v[23:24]
	s_or_not1_b32 s30, vcc_lo, exec_lo
.LBB1423_77:
	s_or_b32 exec_lo, exec_lo, s33
.LBB1423_78:
	v_mul_lo_u32 v21, v14, s22
	v_mul_lo_u32 v22, v13, s23
	v_mad_u64_u32 v[17:18], null, v13, s22, 0
	s_and_not1_b32 vcc_lo, exec_lo, s26
	s_mov_b32 s2, 0
	s_delay_alu instid0(VALU_DEP_1) | instskip(NEXT) | instid1(VALU_DEP_1)
	v_add3_u32 v18, v18, v22, v21
	v_lshlrev_b64 v[17:18], 1, v[17:18]
	s_cbranch_vccnz .LBB1423_87
; %bb.79:
	s_delay_alu instid0(VALU_DEP_1) | instskip(NEXT) | instid1(VALU_DEP_2)
	v_add_co_u32 v21, vcc_lo, s8, v17
	v_add_co_ci_u32_e32 v22, vcc_lo, s9, v18, vcc_lo
	v_add_co_u32 v19, vcc_lo, s8, v19
	v_add_co_ci_u32_e32 v20, vcc_lo, s9, v20, vcc_lo
	s_mov_b32 s2, -1
	s_clause 0x1
	global_load_u16 v23, v[21:22], off
	global_load_u16 v24, v[19:20], off
	s_mov_b32 s33, exec_lo
	s_waitcnt vmcnt(0)
	v_cmpx_eq_u16_e64 v23, v24
	s_cbranch_execz .LBB1423_86
; %bb.80:
	v_add_co_u32 v19, vcc_lo, v19, 2
	v_add_co_ci_u32_e32 v20, vcc_lo, 0, v20, vcc_lo
	v_add_co_u32 v21, vcc_lo, v21, 2
	v_add_co_ci_u32_e32 v22, vcc_lo, 0, v22, vcc_lo
	s_add_u32 s6, s22, -1
	s_addc_u32 s7, s23, -1
	s_mov_b64 s[18:19], 0
	s_mov_b32 s34, 0
                                        ; implicit-def: $sgpr35
	s_set_inst_prefetch_distance 0x1
	s_branch .LBB1423_83
	.p2align	6
.LBB1423_81:                            ;   in Loop: Header=BB1423_83 Depth=1
	global_load_u16 v23, v[21:22], off
	global_load_u16 v24, v[19:20], off
	v_add_co_u32 v19, vcc_lo, v19, 2
	v_add_co_ci_u32_e32 v20, vcc_lo, 0, v20, vcc_lo
	v_add_co_u32 v21, s2, v21, 2
	s_delay_alu instid0(VALU_DEP_1)
	v_add_co_ci_u32_e64 v22, s2, 0, v22, s2
	s_add_u32 s18, s18, 1
	s_addc_u32 s19, s19, 0
	s_and_not1_b32 s2, s35, exec_lo
	s_waitcnt vmcnt(0)
	v_cmp_ne_u16_e32 vcc_lo, v23, v24
	s_and_b32 s35, vcc_lo, exec_lo
	s_delay_alu instid0(SALU_CYCLE_1)
	s_or_b32 s35, s2, s35
.LBB1423_82:                            ;   in Loop: Header=BB1423_83 Depth=1
	v_dual_mov_b32 v24, s19 :: v_dual_mov_b32 v23, s18
	s_and_b32 s2, exec_lo, s35
	s_delay_alu instid0(SALU_CYCLE_1) | instskip(NEXT) | instid1(SALU_CYCLE_1)
	s_or_b32 s34, s2, s34
	s_and_not1_b32 exec_lo, exec_lo, s34
	s_cbranch_execz .LBB1423_85
.LBB1423_83:                            ; =>This Inner Loop Header: Depth=1
	s_or_b32 s35, s35, exec_lo
	s_cmp_eq_u64 s[6:7], s[18:19]
	s_cbranch_scc0 .LBB1423_81
; %bb.84:                               ;   in Loop: Header=BB1423_83 Depth=1
	s_mov_b64 s[18:19], s[22:23]
                                        ; implicit-def: $vgpr19_vgpr20
                                        ; implicit-def: $vgpr21_vgpr22
	s_branch .LBB1423_82
.LBB1423_85:
	s_set_inst_prefetch_distance 0x2
	s_or_b32 exec_lo, exec_lo, s34
	v_cmp_gt_i64_e32 vcc_lo, s[22:23], v[23:24]
	s_or_not1_b32 s2, vcc_lo, exec_lo
.LBB1423_86:
	s_or_b32 exec_lo, exec_lo, s33
.LBB1423_87:
	s_waitcnt lgkmcnt(0)
	v_dual_mov_b32 v20, s5 :: v_dual_mov_b32 v19, s4
	s_mov_b32 s6, exec_lo
	s_barrier
	buffer_gl0_inv
	v_cmpx_ne_u32_e32 0, v0
	s_cbranch_execz .LBB1423_89
; %bb.88:
	v_add_nc_u32_e32 v19, -8, v39
	ds_load_b64 v[19:20], v19
.LBB1423_89:
	s_or_b32 exec_lo, exec_lo, s6
	v_cndmask_b32_e64 v22, 0, 1, s31
	v_cndmask_b32_e64 v24, 0, 1, s29
	;; [unrolled: 1-line block ×7, first 2 shown]
	v_lshlrev_b16 v22, 8, v22
	v_lshlrev_b16 v24, 8, v24
	;; [unrolled: 1-line block ×4, first 2 shown]
	s_mov_b32 s3, 0
	v_or_b32_e32 v21, v21, v22
	v_or_b32_e32 v22, v23, v24
	;; [unrolled: 1-line block ×3, first 2 shown]
	v_and_b32_e32 v23, 0xffff, v27
	s_and_not1_b32 vcc_lo, exec_lo, s26
	v_lshlrev_b32_e32 v24, 16, v21
	v_and_b32_e32 v26, 0xffff, v22
	v_lshlrev_b32_e32 v27, 16, v28
	s_mov_b32 s2, 0
	s_cbranch_vccnz .LBB1423_98
; %bb.90:
	s_waitcnt lgkmcnt(0)
	v_mul_lo_u32 v22, v20, s22
	v_mul_lo_u32 v28, v19, s23
	v_mad_u64_u32 v[20:21], null, v19, s22, 0
	s_mov_b32 s2, -1
	s_mov_b32 s27, exec_lo
	s_delay_alu instid0(VALU_DEP_1) | instskip(NEXT) | instid1(VALU_DEP_1)
	v_add3_u32 v21, v21, v28, v22
	v_lshlrev_b64 v[19:20], 1, v[20:21]
	s_delay_alu instid0(VALU_DEP_1) | instskip(NEXT) | instid1(VALU_DEP_2)
	v_add_co_u32 v19, vcc_lo, s8, v19
	v_add_co_ci_u32_e32 v20, vcc_lo, s9, v20, vcc_lo
	v_add_co_u32 v17, vcc_lo, s8, v17
	v_add_co_ci_u32_e32 v18, vcc_lo, s9, v18, vcc_lo
	s_clause 0x1
	global_load_u16 v21, v[19:20], off
	global_load_u16 v22, v[17:18], off
	s_waitcnt vmcnt(0)
	v_cmpx_eq_u16_e64 v21, v22
	s_cbranch_execz .LBB1423_97
; %bb.91:
	v_add_co_u32 v17, vcc_lo, v17, 2
	v_add_co_ci_u32_e32 v18, vcc_lo, 0, v18, vcc_lo
	v_add_co_u32 v19, vcc_lo, v19, 2
	v_add_co_ci_u32_e32 v20, vcc_lo, 0, v20, vcc_lo
	s_add_u32 s6, s22, -1
	s_addc_u32 s7, s23, -1
	s_mov_b64 s[18:19], 0
	s_mov_b32 s28, 0
                                        ; implicit-def: $sgpr29
	s_set_inst_prefetch_distance 0x1
	s_branch .LBB1423_94
	.p2align	6
.LBB1423_92:                            ;   in Loop: Header=BB1423_94 Depth=1
	global_load_u16 v21, v[19:20], off
	global_load_u16 v22, v[17:18], off
	v_add_co_u32 v17, vcc_lo, v17, 2
	v_add_co_ci_u32_e32 v18, vcc_lo, 0, v18, vcc_lo
	v_add_co_u32 v19, s2, v19, 2
	s_delay_alu instid0(VALU_DEP_1)
	v_add_co_ci_u32_e64 v20, s2, 0, v20, s2
	s_add_u32 s18, s18, 1
	s_addc_u32 s19, s19, 0
	s_and_not1_b32 s2, s29, exec_lo
	s_waitcnt vmcnt(0)
	v_cmp_ne_u16_e32 vcc_lo, v21, v22
	s_and_b32 s29, vcc_lo, exec_lo
	s_delay_alu instid0(SALU_CYCLE_1)
	s_or_b32 s29, s2, s29
.LBB1423_93:                            ;   in Loop: Header=BB1423_94 Depth=1
	v_dual_mov_b32 v22, s19 :: v_dual_mov_b32 v21, s18
	s_and_b32 s2, exec_lo, s29
	s_delay_alu instid0(SALU_CYCLE_1) | instskip(NEXT) | instid1(SALU_CYCLE_1)
	s_or_b32 s28, s2, s28
	s_and_not1_b32 exec_lo, exec_lo, s28
	s_cbranch_execz .LBB1423_96
.LBB1423_94:                            ; =>This Inner Loop Header: Depth=1
	s_or_b32 s29, s29, exec_lo
	s_cmp_eq_u64 s[6:7], s[18:19]
	s_cbranch_scc0 .LBB1423_92
; %bb.95:                               ;   in Loop: Header=BB1423_94 Depth=1
	s_mov_b64 s[18:19], s[22:23]
                                        ; implicit-def: $vgpr17_vgpr18
                                        ; implicit-def: $vgpr19_vgpr20
	s_branch .LBB1423_93
.LBB1423_96:
	s_set_inst_prefetch_distance 0x2
	s_or_b32 exec_lo, exec_lo, s28
	v_cmp_gt_i64_e32 vcc_lo, s[22:23], v[21:22]
	s_or_not1_b32 s2, vcc_lo, exec_lo
.LBB1423_97:
	s_or_b32 exec_lo, exec_lo, s27
.LBB1423_98:
	v_or_b32_e32 v17, v23, v24
	s_delay_alu instid0(VALU_DEP_2)
	v_or_b32_e32 v18, v26, v27
	s_and_b32 vcc_lo, exec_lo, s3
	s_cbranch_vccz .LBB1423_190
.LBB1423_99:
	v_or_b32_e32 v17, 7, v39
	s_mov_b32 s3, 0
	s_mov_b32 s27, 0
	s_mov_b32 s28, exec_lo
	s_delay_alu instid0(VALU_DEP_1)
	v_cmpx_gt_u32_e64 s20, v17
	s_cbranch_execz .LBB1423_110
; %bb.100:
	s_and_not1_b32 vcc_lo, exec_lo, s26
	s_mov_b32 s2, 0
	s_cbranch_vccnz .LBB1423_109
; %bb.101:
	v_mul_lo_u32 v21, v2, s22
	v_mul_lo_u32 v22, v1, s23
	v_mad_u64_u32 v[17:18], null, v1, s22, 0
	v_mul_lo_u32 v23, v4, s22
	v_mul_lo_u32 v24, v3, s23
	s_waitcnt lgkmcnt(0)
	v_mad_u64_u32 v[19:20], null, v3, s22, 0
	s_mov_b32 s2, -1
	s_mov_b32 s26, exec_lo
	s_delay_alu instid0(VALU_DEP_4) | instskip(NEXT) | instid1(VALU_DEP_2)
	v_add3_u32 v18, v18, v22, v21
	v_add3_u32 v20, v20, v24, v23
	s_delay_alu instid0(VALU_DEP_2) | instskip(NEXT) | instid1(VALU_DEP_2)
	v_lshlrev_b64 v[17:18], 1, v[17:18]
	v_lshlrev_b64 v[21:22], 1, v[19:20]
	s_delay_alu instid0(VALU_DEP_2) | instskip(NEXT) | instid1(VALU_DEP_3)
	v_add_co_u32 v19, vcc_lo, s8, v17
	v_add_co_ci_u32_e32 v20, vcc_lo, s9, v18, vcc_lo
	s_delay_alu instid0(VALU_DEP_3) | instskip(NEXT) | instid1(VALU_DEP_4)
	v_add_co_u32 v17, vcc_lo, s8, v21
	v_add_co_ci_u32_e32 v18, vcc_lo, s9, v22, vcc_lo
	s_clause 0x1
	global_load_u16 v21, v[19:20], off
	global_load_u16 v22, v[17:18], off
	s_waitcnt vmcnt(0)
	v_cmpx_eq_u16_e64 v21, v22
	s_cbranch_execz .LBB1423_108
; %bb.102:
	v_add_co_u32 v17, vcc_lo, v17, 2
	v_add_co_ci_u32_e32 v18, vcc_lo, 0, v18, vcc_lo
	v_add_co_u32 v19, vcc_lo, v19, 2
	v_add_co_ci_u32_e32 v20, vcc_lo, 0, v20, vcc_lo
	s_add_u32 s6, s22, -1
	s_addc_u32 s7, s23, -1
	s_mov_b64 s[18:19], 0
                                        ; implicit-def: $sgpr29
	s_set_inst_prefetch_distance 0x1
	s_branch .LBB1423_105
	.p2align	6
.LBB1423_103:                           ;   in Loop: Header=BB1423_105 Depth=1
	global_load_u16 v21, v[19:20], off
	global_load_u16 v22, v[17:18], off
	v_add_co_u32 v17, vcc_lo, v17, 2
	v_add_co_ci_u32_e32 v18, vcc_lo, 0, v18, vcc_lo
	v_add_co_u32 v19, s2, v19, 2
	s_delay_alu instid0(VALU_DEP_1)
	v_add_co_ci_u32_e64 v20, s2, 0, v20, s2
	s_add_u32 s18, s18, 1
	s_addc_u32 s19, s19, 0
	s_and_not1_b32 s2, s29, exec_lo
	s_waitcnt vmcnt(0)
	v_cmp_ne_u16_e32 vcc_lo, v21, v22
	s_and_b32 s29, vcc_lo, exec_lo
	s_delay_alu instid0(SALU_CYCLE_1)
	s_or_b32 s29, s2, s29
.LBB1423_104:                           ;   in Loop: Header=BB1423_105 Depth=1
	v_dual_mov_b32 v22, s19 :: v_dual_mov_b32 v21, s18
	s_and_b32 s2, exec_lo, s29
	s_delay_alu instid0(SALU_CYCLE_1) | instskip(NEXT) | instid1(SALU_CYCLE_1)
	s_or_b32 s27, s2, s27
	s_and_not1_b32 exec_lo, exec_lo, s27
	s_cbranch_execz .LBB1423_107
.LBB1423_105:                           ; =>This Inner Loop Header: Depth=1
	s_or_b32 s29, s29, exec_lo
	s_cmp_eq_u64 s[6:7], s[18:19]
	s_cbranch_scc0 .LBB1423_103
; %bb.106:                              ;   in Loop: Header=BB1423_105 Depth=1
	s_mov_b64 s[18:19], s[22:23]
                                        ; implicit-def: $vgpr17_vgpr18
                                        ; implicit-def: $vgpr19_vgpr20
	s_branch .LBB1423_104
.LBB1423_107:
	s_set_inst_prefetch_distance 0x2
	s_or_b32 exec_lo, exec_lo, s27
	v_cmp_gt_i64_e32 vcc_lo, s[22:23], v[21:22]
	s_or_not1_b32 s2, vcc_lo, exec_lo
.LBB1423_108:
	s_or_b32 exec_lo, exec_lo, s26
.LBB1423_109:
	s_delay_alu instid0(SALU_CYCLE_1)
	s_and_b32 s27, s2, exec_lo
.LBB1423_110:
	s_or_b32 exec_lo, exec_lo, s28
	v_or_b32_e32 v17, 6, v39
	s_mov_b32 s26, exec_lo
	s_delay_alu instid0(VALU_DEP_1)
	v_cmpx_gt_u32_e64 s20, v17
	s_cbranch_execz .LBB1423_121
; %bb.111:
	v_cmp_ne_u32_e32 vcc_lo, 1, v25
	s_mov_b32 s2, 0
	s_cbranch_vccnz .LBB1423_120
; %bb.112:
	v_mul_lo_u32 v21, v8, s22
	v_mul_lo_u32 v22, v7, s23
	v_mad_u64_u32 v[17:18], null, v7, s22, 0
	v_mul_lo_u32 v23, v2, s22
	v_mul_lo_u32 v24, v1, s23
	s_waitcnt lgkmcnt(0)
	v_mad_u64_u32 v[19:20], null, v1, s22, 0
	s_mov_b32 s2, -1
	s_mov_b32 s3, exec_lo
	s_delay_alu instid0(VALU_DEP_4) | instskip(NEXT) | instid1(VALU_DEP_2)
	v_add3_u32 v18, v18, v22, v21
	v_add3_u32 v20, v20, v24, v23
	s_delay_alu instid0(VALU_DEP_2) | instskip(NEXT) | instid1(VALU_DEP_2)
	v_lshlrev_b64 v[17:18], 1, v[17:18]
	v_lshlrev_b64 v[21:22], 1, v[19:20]
	s_delay_alu instid0(VALU_DEP_2) | instskip(NEXT) | instid1(VALU_DEP_3)
	v_add_co_u32 v19, vcc_lo, s8, v17
	v_add_co_ci_u32_e32 v20, vcc_lo, s9, v18, vcc_lo
	s_delay_alu instid0(VALU_DEP_3) | instskip(NEXT) | instid1(VALU_DEP_4)
	v_add_co_u32 v17, vcc_lo, s8, v21
	v_add_co_ci_u32_e32 v18, vcc_lo, s9, v22, vcc_lo
	s_clause 0x1
	global_load_u16 v21, v[19:20], off
	global_load_u16 v22, v[17:18], off
	s_waitcnt vmcnt(0)
	v_cmpx_eq_u16_e64 v21, v22
	s_cbranch_execz .LBB1423_119
; %bb.113:
	v_add_co_u32 v17, vcc_lo, v17, 2
	v_add_co_ci_u32_e32 v18, vcc_lo, 0, v18, vcc_lo
	v_add_co_u32 v19, vcc_lo, v19, 2
	v_add_co_ci_u32_e32 v20, vcc_lo, 0, v20, vcc_lo
	s_add_u32 s6, s22, -1
	s_addc_u32 s7, s23, -1
	s_mov_b64 s[18:19], 0
	s_mov_b32 s28, 0
                                        ; implicit-def: $sgpr29
	s_set_inst_prefetch_distance 0x1
	s_branch .LBB1423_116
	.p2align	6
.LBB1423_114:                           ;   in Loop: Header=BB1423_116 Depth=1
	global_load_u16 v21, v[19:20], off
	global_load_u16 v22, v[17:18], off
	v_add_co_u32 v17, vcc_lo, v17, 2
	v_add_co_ci_u32_e32 v18, vcc_lo, 0, v18, vcc_lo
	v_add_co_u32 v19, s2, v19, 2
	s_delay_alu instid0(VALU_DEP_1)
	v_add_co_ci_u32_e64 v20, s2, 0, v20, s2
	s_add_u32 s18, s18, 1
	s_addc_u32 s19, s19, 0
	s_and_not1_b32 s2, s29, exec_lo
	s_waitcnt vmcnt(0)
	v_cmp_ne_u16_e32 vcc_lo, v21, v22
	s_and_b32 s29, vcc_lo, exec_lo
	s_delay_alu instid0(SALU_CYCLE_1)
	s_or_b32 s29, s2, s29
.LBB1423_115:                           ;   in Loop: Header=BB1423_116 Depth=1
	v_dual_mov_b32 v22, s19 :: v_dual_mov_b32 v21, s18
	s_and_b32 s2, exec_lo, s29
	s_delay_alu instid0(SALU_CYCLE_1) | instskip(NEXT) | instid1(SALU_CYCLE_1)
	s_or_b32 s28, s2, s28
	s_and_not1_b32 exec_lo, exec_lo, s28
	s_cbranch_execz .LBB1423_118
.LBB1423_116:                           ; =>This Inner Loop Header: Depth=1
	s_or_b32 s29, s29, exec_lo
	s_cmp_eq_u64 s[6:7], s[18:19]
	s_cbranch_scc0 .LBB1423_114
; %bb.117:                              ;   in Loop: Header=BB1423_116 Depth=1
	s_mov_b64 s[18:19], s[22:23]
                                        ; implicit-def: $vgpr17_vgpr18
                                        ; implicit-def: $vgpr19_vgpr20
	s_branch .LBB1423_115
.LBB1423_118:
	s_set_inst_prefetch_distance 0x2
	s_or_b32 exec_lo, exec_lo, s28
	v_cmp_gt_i64_e32 vcc_lo, s[22:23], v[21:22]
	s_or_not1_b32 s2, vcc_lo, exec_lo
.LBB1423_119:
	s_or_b32 exec_lo, exec_lo, s3
.LBB1423_120:
	s_delay_alu instid0(SALU_CYCLE_1)
	s_and_b32 s3, s2, exec_lo
.LBB1423_121:
	s_or_b32 exec_lo, exec_lo, s26
	v_or_b32_e32 v17, 5, v39
	s_mov_b32 s28, 0
	s_mov_b32 s26, 0
	s_mov_b32 s29, exec_lo
	s_delay_alu instid0(VALU_DEP_1)
	v_cmpx_gt_u32_e64 s20, v17
	s_cbranch_execz .LBB1423_132
; %bb.122:
	v_cmp_ne_u32_e32 vcc_lo, 1, v25
	s_mov_b32 s2, 0
	s_cbranch_vccnz .LBB1423_131
; %bb.123:
	v_mul_lo_u32 v21, v6, s22
	v_mul_lo_u32 v22, v5, s23
	v_mad_u64_u32 v[17:18], null, v5, s22, 0
	v_mul_lo_u32 v23, v8, s22
	v_mul_lo_u32 v24, v7, s23
	s_waitcnt lgkmcnt(0)
	v_mad_u64_u32 v[19:20], null, v7, s22, 0
	s_mov_b32 s2, -1
	s_mov_b32 s26, exec_lo
	s_delay_alu instid0(VALU_DEP_4) | instskip(NEXT) | instid1(VALU_DEP_2)
	v_add3_u32 v18, v18, v22, v21
	v_add3_u32 v20, v20, v24, v23
	s_delay_alu instid0(VALU_DEP_2) | instskip(NEXT) | instid1(VALU_DEP_2)
	v_lshlrev_b64 v[17:18], 1, v[17:18]
	v_lshlrev_b64 v[21:22], 1, v[19:20]
	s_delay_alu instid0(VALU_DEP_2) | instskip(NEXT) | instid1(VALU_DEP_3)
	v_add_co_u32 v19, vcc_lo, s8, v17
	v_add_co_ci_u32_e32 v20, vcc_lo, s9, v18, vcc_lo
	s_delay_alu instid0(VALU_DEP_3) | instskip(NEXT) | instid1(VALU_DEP_4)
	v_add_co_u32 v17, vcc_lo, s8, v21
	v_add_co_ci_u32_e32 v18, vcc_lo, s9, v22, vcc_lo
	s_clause 0x1
	global_load_u16 v21, v[19:20], off
	global_load_u16 v22, v[17:18], off
	s_waitcnt vmcnt(0)
	v_cmpx_eq_u16_e64 v21, v22
	s_cbranch_execz .LBB1423_130
; %bb.124:
	v_add_co_u32 v17, vcc_lo, v17, 2
	v_add_co_ci_u32_e32 v18, vcc_lo, 0, v18, vcc_lo
	v_add_co_u32 v19, vcc_lo, v19, 2
	v_add_co_ci_u32_e32 v20, vcc_lo, 0, v20, vcc_lo
	s_add_u32 s6, s22, -1
	s_addc_u32 s7, s23, -1
	s_mov_b64 s[18:19], 0
	s_mov_b32 s30, 0
                                        ; implicit-def: $sgpr31
	s_set_inst_prefetch_distance 0x1
	s_branch .LBB1423_127
	.p2align	6
.LBB1423_125:                           ;   in Loop: Header=BB1423_127 Depth=1
	global_load_u16 v21, v[19:20], off
	global_load_u16 v22, v[17:18], off
	v_add_co_u32 v17, vcc_lo, v17, 2
	v_add_co_ci_u32_e32 v18, vcc_lo, 0, v18, vcc_lo
	v_add_co_u32 v19, s2, v19, 2
	s_delay_alu instid0(VALU_DEP_1)
	v_add_co_ci_u32_e64 v20, s2, 0, v20, s2
	s_add_u32 s18, s18, 1
	s_addc_u32 s19, s19, 0
	s_and_not1_b32 s2, s31, exec_lo
	s_waitcnt vmcnt(0)
	v_cmp_ne_u16_e32 vcc_lo, v21, v22
	s_and_b32 s31, vcc_lo, exec_lo
	s_delay_alu instid0(SALU_CYCLE_1)
	s_or_b32 s31, s2, s31
.LBB1423_126:                           ;   in Loop: Header=BB1423_127 Depth=1
	v_dual_mov_b32 v22, s19 :: v_dual_mov_b32 v21, s18
	s_and_b32 s2, exec_lo, s31
	s_delay_alu instid0(SALU_CYCLE_1) | instskip(NEXT) | instid1(SALU_CYCLE_1)
	s_or_b32 s30, s2, s30
	s_and_not1_b32 exec_lo, exec_lo, s30
	s_cbranch_execz .LBB1423_129
.LBB1423_127:                           ; =>This Inner Loop Header: Depth=1
	s_or_b32 s31, s31, exec_lo
	s_cmp_eq_u64 s[6:7], s[18:19]
	s_cbranch_scc0 .LBB1423_125
; %bb.128:                              ;   in Loop: Header=BB1423_127 Depth=1
	s_mov_b64 s[18:19], s[22:23]
                                        ; implicit-def: $vgpr17_vgpr18
                                        ; implicit-def: $vgpr19_vgpr20
	s_branch .LBB1423_126
.LBB1423_129:
	s_set_inst_prefetch_distance 0x2
	s_or_b32 exec_lo, exec_lo, s30
	v_cmp_gt_i64_e32 vcc_lo, s[22:23], v[21:22]
	s_or_not1_b32 s2, vcc_lo, exec_lo
.LBB1423_130:
	s_or_b32 exec_lo, exec_lo, s26
.LBB1423_131:
	s_delay_alu instid0(SALU_CYCLE_1)
	s_and_b32 s26, s2, exec_lo
.LBB1423_132:
	s_or_b32 exec_lo, exec_lo, s29
	v_or_b32_e32 v17, 4, v39
	s_mov_b32 s29, exec_lo
	s_delay_alu instid0(VALU_DEP_1)
	v_cmpx_gt_u32_e64 s20, v17
	s_cbranch_execz .LBB1423_143
; %bb.133:
	v_cmp_ne_u32_e32 vcc_lo, 1, v25
	s_mov_b32 s2, 0
	s_cbranch_vccnz .LBB1423_142
; %bb.134:
	v_mul_lo_u32 v21, v12, s22
	v_mul_lo_u32 v22, v11, s23
	v_mad_u64_u32 v[17:18], null, v11, s22, 0
	v_mul_lo_u32 v23, v6, s22
	v_mul_lo_u32 v24, v5, s23
	s_waitcnt lgkmcnt(0)
	v_mad_u64_u32 v[19:20], null, v5, s22, 0
	s_mov_b32 s2, -1
	s_mov_b32 s28, exec_lo
	s_delay_alu instid0(VALU_DEP_4) | instskip(NEXT) | instid1(VALU_DEP_2)
	v_add3_u32 v18, v18, v22, v21
	v_add3_u32 v20, v20, v24, v23
	s_delay_alu instid0(VALU_DEP_2) | instskip(NEXT) | instid1(VALU_DEP_2)
	v_lshlrev_b64 v[17:18], 1, v[17:18]
	v_lshlrev_b64 v[21:22], 1, v[19:20]
	s_delay_alu instid0(VALU_DEP_2) | instskip(NEXT) | instid1(VALU_DEP_3)
	v_add_co_u32 v19, vcc_lo, s8, v17
	v_add_co_ci_u32_e32 v20, vcc_lo, s9, v18, vcc_lo
	s_delay_alu instid0(VALU_DEP_3) | instskip(NEXT) | instid1(VALU_DEP_4)
	v_add_co_u32 v17, vcc_lo, s8, v21
	v_add_co_ci_u32_e32 v18, vcc_lo, s9, v22, vcc_lo
	s_clause 0x1
	global_load_u16 v21, v[19:20], off
	global_load_u16 v22, v[17:18], off
	s_waitcnt vmcnt(0)
	v_cmpx_eq_u16_e64 v21, v22
	s_cbranch_execz .LBB1423_141
; %bb.135:
	v_add_co_u32 v17, vcc_lo, v17, 2
	v_add_co_ci_u32_e32 v18, vcc_lo, 0, v18, vcc_lo
	v_add_co_u32 v19, vcc_lo, v19, 2
	v_add_co_ci_u32_e32 v20, vcc_lo, 0, v20, vcc_lo
	s_add_u32 s6, s22, -1
	s_addc_u32 s7, s23, -1
	s_mov_b64 s[18:19], 0
	s_mov_b32 s30, 0
                                        ; implicit-def: $sgpr31
	s_set_inst_prefetch_distance 0x1
	s_branch .LBB1423_138
	.p2align	6
.LBB1423_136:                           ;   in Loop: Header=BB1423_138 Depth=1
	global_load_u16 v21, v[19:20], off
	global_load_u16 v22, v[17:18], off
	v_add_co_u32 v17, vcc_lo, v17, 2
	v_add_co_ci_u32_e32 v18, vcc_lo, 0, v18, vcc_lo
	v_add_co_u32 v19, s2, v19, 2
	s_delay_alu instid0(VALU_DEP_1)
	v_add_co_ci_u32_e64 v20, s2, 0, v20, s2
	s_add_u32 s18, s18, 1
	s_addc_u32 s19, s19, 0
	s_and_not1_b32 s2, s31, exec_lo
	s_waitcnt vmcnt(0)
	v_cmp_ne_u16_e32 vcc_lo, v21, v22
	s_and_b32 s31, vcc_lo, exec_lo
	s_delay_alu instid0(SALU_CYCLE_1)
	s_or_b32 s31, s2, s31
.LBB1423_137:                           ;   in Loop: Header=BB1423_138 Depth=1
	v_dual_mov_b32 v22, s19 :: v_dual_mov_b32 v21, s18
	s_and_b32 s2, exec_lo, s31
	s_delay_alu instid0(SALU_CYCLE_1) | instskip(NEXT) | instid1(SALU_CYCLE_1)
	s_or_b32 s30, s2, s30
	s_and_not1_b32 exec_lo, exec_lo, s30
	s_cbranch_execz .LBB1423_140
.LBB1423_138:                           ; =>This Inner Loop Header: Depth=1
	s_or_b32 s31, s31, exec_lo
	s_cmp_eq_u64 s[6:7], s[18:19]
	s_cbranch_scc0 .LBB1423_136
; %bb.139:                              ;   in Loop: Header=BB1423_138 Depth=1
	s_mov_b64 s[18:19], s[22:23]
                                        ; implicit-def: $vgpr17_vgpr18
                                        ; implicit-def: $vgpr19_vgpr20
	s_branch .LBB1423_137
.LBB1423_140:
	s_set_inst_prefetch_distance 0x2
	s_or_b32 exec_lo, exec_lo, s30
	v_cmp_gt_i64_e32 vcc_lo, s[22:23], v[21:22]
	s_or_not1_b32 s2, vcc_lo, exec_lo
.LBB1423_141:
	s_or_b32 exec_lo, exec_lo, s28
.LBB1423_142:
	s_delay_alu instid0(SALU_CYCLE_1)
	s_and_b32 s28, s2, exec_lo
.LBB1423_143:
	s_or_b32 exec_lo, exec_lo, s29
	v_or_b32_e32 v17, 3, v39
	s_mov_b32 s30, 0
	s_mov_b32 s29, 0
	s_mov_b32 s31, exec_lo
	s_delay_alu instid0(VALU_DEP_1)
	v_cmpx_gt_u32_e64 s20, v17
	s_cbranch_execz .LBB1423_154
; %bb.144:
	v_cmp_ne_u32_e32 vcc_lo, 1, v25
	s_mov_b32 s2, 0
	s_cbranch_vccnz .LBB1423_153
; %bb.145:
	v_mul_lo_u32 v21, v10, s22
	v_mul_lo_u32 v22, v9, s23
	v_mad_u64_u32 v[17:18], null, v9, s22, 0
	v_mul_lo_u32 v23, v12, s22
	v_mul_lo_u32 v24, v11, s23
	s_waitcnt lgkmcnt(0)
	v_mad_u64_u32 v[19:20], null, v11, s22, 0
	s_mov_b32 s2, -1
	s_mov_b32 s29, exec_lo
	s_delay_alu instid0(VALU_DEP_4) | instskip(NEXT) | instid1(VALU_DEP_2)
	v_add3_u32 v18, v18, v22, v21
	v_add3_u32 v20, v20, v24, v23
	s_delay_alu instid0(VALU_DEP_2) | instskip(NEXT) | instid1(VALU_DEP_2)
	v_lshlrev_b64 v[17:18], 1, v[17:18]
	v_lshlrev_b64 v[21:22], 1, v[19:20]
	s_delay_alu instid0(VALU_DEP_2) | instskip(NEXT) | instid1(VALU_DEP_3)
	v_add_co_u32 v19, vcc_lo, s8, v17
	v_add_co_ci_u32_e32 v20, vcc_lo, s9, v18, vcc_lo
	s_delay_alu instid0(VALU_DEP_3) | instskip(NEXT) | instid1(VALU_DEP_4)
	v_add_co_u32 v17, vcc_lo, s8, v21
	v_add_co_ci_u32_e32 v18, vcc_lo, s9, v22, vcc_lo
	s_clause 0x1
	global_load_u16 v21, v[19:20], off
	global_load_u16 v22, v[17:18], off
	s_waitcnt vmcnt(0)
	v_cmpx_eq_u16_e64 v21, v22
	s_cbranch_execz .LBB1423_152
; %bb.146:
	v_add_co_u32 v17, vcc_lo, v17, 2
	v_add_co_ci_u32_e32 v18, vcc_lo, 0, v18, vcc_lo
	v_add_co_u32 v19, vcc_lo, v19, 2
	v_add_co_ci_u32_e32 v20, vcc_lo, 0, v20, vcc_lo
	s_add_u32 s6, s22, -1
	s_addc_u32 s7, s23, -1
	s_mov_b64 s[18:19], 0
	s_mov_b32 s33, 0
                                        ; implicit-def: $sgpr34
	s_set_inst_prefetch_distance 0x1
	s_branch .LBB1423_149
	.p2align	6
.LBB1423_147:                           ;   in Loop: Header=BB1423_149 Depth=1
	global_load_u16 v21, v[19:20], off
	global_load_u16 v22, v[17:18], off
	v_add_co_u32 v17, vcc_lo, v17, 2
	v_add_co_ci_u32_e32 v18, vcc_lo, 0, v18, vcc_lo
	v_add_co_u32 v19, s2, v19, 2
	s_delay_alu instid0(VALU_DEP_1)
	v_add_co_ci_u32_e64 v20, s2, 0, v20, s2
	s_add_u32 s18, s18, 1
	s_addc_u32 s19, s19, 0
	s_and_not1_b32 s2, s34, exec_lo
	s_waitcnt vmcnt(0)
	v_cmp_ne_u16_e32 vcc_lo, v21, v22
	s_and_b32 s34, vcc_lo, exec_lo
	s_delay_alu instid0(SALU_CYCLE_1)
	s_or_b32 s34, s2, s34
.LBB1423_148:                           ;   in Loop: Header=BB1423_149 Depth=1
	v_dual_mov_b32 v22, s19 :: v_dual_mov_b32 v21, s18
	s_and_b32 s2, exec_lo, s34
	s_delay_alu instid0(SALU_CYCLE_1) | instskip(NEXT) | instid1(SALU_CYCLE_1)
	s_or_b32 s33, s2, s33
	s_and_not1_b32 exec_lo, exec_lo, s33
	s_cbranch_execz .LBB1423_151
.LBB1423_149:                           ; =>This Inner Loop Header: Depth=1
	s_or_b32 s34, s34, exec_lo
	s_cmp_eq_u64 s[6:7], s[18:19]
	s_cbranch_scc0 .LBB1423_147
; %bb.150:                              ;   in Loop: Header=BB1423_149 Depth=1
	s_mov_b64 s[18:19], s[22:23]
                                        ; implicit-def: $vgpr17_vgpr18
                                        ; implicit-def: $vgpr19_vgpr20
	s_branch .LBB1423_148
.LBB1423_151:
	s_set_inst_prefetch_distance 0x2
	s_or_b32 exec_lo, exec_lo, s33
	v_cmp_gt_i64_e32 vcc_lo, s[22:23], v[21:22]
	s_or_not1_b32 s2, vcc_lo, exec_lo
.LBB1423_152:
	s_or_b32 exec_lo, exec_lo, s29
.LBB1423_153:
	s_delay_alu instid0(SALU_CYCLE_1)
	s_and_b32 s29, s2, exec_lo
.LBB1423_154:
	s_or_b32 exec_lo, exec_lo, s31
	v_or_b32_e32 v17, 2, v39
	s_mov_b32 s31, exec_lo
	s_delay_alu instid0(VALU_DEP_1)
	v_cmpx_gt_u32_e64 s20, v17
	s_cbranch_execz .LBB1423_165
; %bb.155:
	v_cmp_ne_u32_e32 vcc_lo, 1, v25
	s_mov_b32 s2, 0
	s_cbranch_vccnz .LBB1423_164
; %bb.156:
	v_mul_lo_u32 v21, v16, s22
	v_mul_lo_u32 v22, v15, s23
	v_mad_u64_u32 v[17:18], null, v15, s22, 0
	v_mul_lo_u32 v23, v10, s22
	v_mul_lo_u32 v24, v9, s23
	s_waitcnt lgkmcnt(0)
	v_mad_u64_u32 v[19:20], null, v9, s22, 0
	s_mov_b32 s2, -1
	s_mov_b32 s30, exec_lo
	s_delay_alu instid0(VALU_DEP_4) | instskip(NEXT) | instid1(VALU_DEP_2)
	v_add3_u32 v18, v18, v22, v21
	v_add3_u32 v20, v20, v24, v23
	s_delay_alu instid0(VALU_DEP_2) | instskip(NEXT) | instid1(VALU_DEP_2)
	v_lshlrev_b64 v[17:18], 1, v[17:18]
	v_lshlrev_b64 v[21:22], 1, v[19:20]
	s_delay_alu instid0(VALU_DEP_2) | instskip(NEXT) | instid1(VALU_DEP_3)
	v_add_co_u32 v19, vcc_lo, s8, v17
	v_add_co_ci_u32_e32 v20, vcc_lo, s9, v18, vcc_lo
	s_delay_alu instid0(VALU_DEP_3) | instskip(NEXT) | instid1(VALU_DEP_4)
	v_add_co_u32 v17, vcc_lo, s8, v21
	v_add_co_ci_u32_e32 v18, vcc_lo, s9, v22, vcc_lo
	s_clause 0x1
	global_load_u16 v21, v[19:20], off
	global_load_u16 v22, v[17:18], off
	s_waitcnt vmcnt(0)
	v_cmpx_eq_u16_e64 v21, v22
	s_cbranch_execz .LBB1423_163
; %bb.157:
	v_add_co_u32 v17, vcc_lo, v17, 2
	v_add_co_ci_u32_e32 v18, vcc_lo, 0, v18, vcc_lo
	v_add_co_u32 v19, vcc_lo, v19, 2
	v_add_co_ci_u32_e32 v20, vcc_lo, 0, v20, vcc_lo
	s_add_u32 s6, s22, -1
	s_addc_u32 s7, s23, -1
	s_mov_b64 s[18:19], 0
	s_mov_b32 s33, 0
                                        ; implicit-def: $sgpr34
	s_set_inst_prefetch_distance 0x1
	s_branch .LBB1423_160
	.p2align	6
.LBB1423_158:                           ;   in Loop: Header=BB1423_160 Depth=1
	global_load_u16 v21, v[19:20], off
	global_load_u16 v22, v[17:18], off
	v_add_co_u32 v17, vcc_lo, v17, 2
	v_add_co_ci_u32_e32 v18, vcc_lo, 0, v18, vcc_lo
	v_add_co_u32 v19, s2, v19, 2
	s_delay_alu instid0(VALU_DEP_1)
	v_add_co_ci_u32_e64 v20, s2, 0, v20, s2
	s_add_u32 s18, s18, 1
	s_addc_u32 s19, s19, 0
	s_and_not1_b32 s2, s34, exec_lo
	s_waitcnt vmcnt(0)
	v_cmp_ne_u16_e32 vcc_lo, v21, v22
	s_and_b32 s34, vcc_lo, exec_lo
	s_delay_alu instid0(SALU_CYCLE_1)
	s_or_b32 s34, s2, s34
.LBB1423_159:                           ;   in Loop: Header=BB1423_160 Depth=1
	v_dual_mov_b32 v22, s19 :: v_dual_mov_b32 v21, s18
	s_and_b32 s2, exec_lo, s34
	s_delay_alu instid0(SALU_CYCLE_1) | instskip(NEXT) | instid1(SALU_CYCLE_1)
	s_or_b32 s33, s2, s33
	s_and_not1_b32 exec_lo, exec_lo, s33
	s_cbranch_execz .LBB1423_162
.LBB1423_160:                           ; =>This Inner Loop Header: Depth=1
	s_or_b32 s34, s34, exec_lo
	s_cmp_eq_u64 s[6:7], s[18:19]
	s_cbranch_scc0 .LBB1423_158
; %bb.161:                              ;   in Loop: Header=BB1423_160 Depth=1
	s_mov_b64 s[18:19], s[22:23]
                                        ; implicit-def: $vgpr17_vgpr18
                                        ; implicit-def: $vgpr19_vgpr20
	s_branch .LBB1423_159
.LBB1423_162:
	s_set_inst_prefetch_distance 0x2
	s_or_b32 exec_lo, exec_lo, s33
	v_cmp_gt_i64_e32 vcc_lo, s[22:23], v[21:22]
	s_or_not1_b32 s2, vcc_lo, exec_lo
.LBB1423_163:
	s_or_b32 exec_lo, exec_lo, s30
.LBB1423_164:
	s_delay_alu instid0(SALU_CYCLE_1)
	s_and_b32 s30, s2, exec_lo
.LBB1423_165:
	s_or_b32 exec_lo, exec_lo, s31
	v_or_b32_e32 v17, 1, v39
	s_mov_b32 s2, 0
	s_mov_b32 s31, exec_lo
	s_delay_alu instid0(VALU_DEP_1)
	v_cmpx_gt_u32_e64 s20, v17
	s_cbranch_execz .LBB1423_176
; %bb.166:
	v_cmp_ne_u32_e32 vcc_lo, 1, v25
	s_cbranch_vccnz .LBB1423_175
; %bb.167:
	v_mul_lo_u32 v21, v14, s22
	v_mul_lo_u32 v22, v13, s23
	v_mad_u64_u32 v[17:18], null, v13, s22, 0
	v_mul_lo_u32 v23, v16, s22
	v_mul_lo_u32 v24, v15, s23
	s_waitcnt lgkmcnt(0)
	v_mad_u64_u32 v[19:20], null, v15, s22, 0
	s_mov_b32 s2, -1
	s_mov_b32 s33, exec_lo
	s_delay_alu instid0(VALU_DEP_4) | instskip(NEXT) | instid1(VALU_DEP_2)
	v_add3_u32 v18, v18, v22, v21
	v_add3_u32 v20, v20, v24, v23
	s_delay_alu instid0(VALU_DEP_2) | instskip(NEXT) | instid1(VALU_DEP_2)
	v_lshlrev_b64 v[17:18], 1, v[17:18]
	v_lshlrev_b64 v[21:22], 1, v[19:20]
	s_delay_alu instid0(VALU_DEP_2) | instskip(NEXT) | instid1(VALU_DEP_3)
	v_add_co_u32 v19, vcc_lo, s8, v17
	v_add_co_ci_u32_e32 v20, vcc_lo, s9, v18, vcc_lo
	s_delay_alu instid0(VALU_DEP_3) | instskip(NEXT) | instid1(VALU_DEP_4)
	v_add_co_u32 v17, vcc_lo, s8, v21
	v_add_co_ci_u32_e32 v18, vcc_lo, s9, v22, vcc_lo
	s_clause 0x1
	global_load_u16 v21, v[19:20], off
	global_load_u16 v22, v[17:18], off
	s_waitcnt vmcnt(0)
	v_cmpx_eq_u16_e64 v21, v22
	s_cbranch_execz .LBB1423_174
; %bb.168:
	v_add_co_u32 v17, vcc_lo, v17, 2
	v_add_co_ci_u32_e32 v18, vcc_lo, 0, v18, vcc_lo
	v_add_co_u32 v19, vcc_lo, v19, 2
	v_add_co_ci_u32_e32 v20, vcc_lo, 0, v20, vcc_lo
	s_add_u32 s6, s22, -1
	s_addc_u32 s7, s23, -1
	s_mov_b64 s[18:19], 0
	s_mov_b32 s34, 0
                                        ; implicit-def: $sgpr35
	s_set_inst_prefetch_distance 0x1
	s_branch .LBB1423_171
	.p2align	6
.LBB1423_169:                           ;   in Loop: Header=BB1423_171 Depth=1
	global_load_u16 v21, v[19:20], off
	global_load_u16 v22, v[17:18], off
	v_add_co_u32 v17, vcc_lo, v17, 2
	v_add_co_ci_u32_e32 v18, vcc_lo, 0, v18, vcc_lo
	v_add_co_u32 v19, s2, v19, 2
	s_delay_alu instid0(VALU_DEP_1)
	v_add_co_ci_u32_e64 v20, s2, 0, v20, s2
	s_add_u32 s18, s18, 1
	s_addc_u32 s19, s19, 0
	s_and_not1_b32 s2, s35, exec_lo
	s_waitcnt vmcnt(0)
	v_cmp_ne_u16_e32 vcc_lo, v21, v22
	s_and_b32 s35, vcc_lo, exec_lo
	s_delay_alu instid0(SALU_CYCLE_1)
	s_or_b32 s35, s2, s35
.LBB1423_170:                           ;   in Loop: Header=BB1423_171 Depth=1
	v_dual_mov_b32 v22, s19 :: v_dual_mov_b32 v21, s18
	s_and_b32 s2, exec_lo, s35
	s_delay_alu instid0(SALU_CYCLE_1) | instskip(NEXT) | instid1(SALU_CYCLE_1)
	s_or_b32 s34, s2, s34
	s_and_not1_b32 exec_lo, exec_lo, s34
	s_cbranch_execz .LBB1423_173
.LBB1423_171:                           ; =>This Inner Loop Header: Depth=1
	s_or_b32 s35, s35, exec_lo
	s_cmp_eq_u64 s[6:7], s[18:19]
	s_cbranch_scc0 .LBB1423_169
; %bb.172:                              ;   in Loop: Header=BB1423_171 Depth=1
	s_mov_b64 s[18:19], s[22:23]
                                        ; implicit-def: $vgpr17_vgpr18
                                        ; implicit-def: $vgpr19_vgpr20
	s_branch .LBB1423_170
.LBB1423_173:
	s_set_inst_prefetch_distance 0x2
	s_or_b32 exec_lo, exec_lo, s34
	v_cmp_gt_i64_e32 vcc_lo, s[22:23], v[21:22]
	s_or_not1_b32 s2, vcc_lo, exec_lo
.LBB1423_174:
	s_or_b32 exec_lo, exec_lo, s33
.LBB1423_175:
	s_delay_alu instid0(SALU_CYCLE_1)
	s_and_b32 s2, s2, exec_lo
.LBB1423_176:
	s_or_b32 exec_lo, exec_lo, s31
	s_waitcnt lgkmcnt(0)
	v_dual_mov_b32 v18, s5 :: v_dual_mov_b32 v17, s4
	s_mov_b32 s4, exec_lo
	s_barrier
	buffer_gl0_inv
	v_cmpx_ne_u32_e32 0, v0
	s_cbranch_execz .LBB1423_178
; %bb.177:
	v_add_nc_u32_e32 v17, -8, v39
	ds_load_b64 v[17:18], v17
.LBB1423_178:
	s_or_b32 exec_lo, exec_lo, s4
	v_cndmask_b32_e64 v20, 0, 1, s29
	v_cndmask_b32_e64 v22, 0, 1, s26
	;; [unrolled: 1-line block ×7, first 2 shown]
	v_lshlrev_b16 v20, 8, v20
	v_lshlrev_b16 v22, 8, v22
	;; [unrolled: 1-line block ×3, first 2 shown]
	s_mov_b32 s2, 0
	v_lshlrev_b16 v26, 8, v26
	v_or_b32_e32 v19, v19, v20
	v_or_b32_e32 v20, v21, v22
	;; [unrolled: 1-line block ×3, first 2 shown]
	s_mov_b32 s3, exec_lo
	v_and_b32_e32 v23, 0xffff, v26
	v_lshlrev_b32_e32 v24, 16, v19
	v_and_b32_e32 v26, 0xffff, v20
	v_lshlrev_b32_e32 v27, 16, v21
	v_cmpx_gt_u32_e64 s20, v39
	s_cbranch_execz .LBB1423_189
; %bb.179:
	v_cmp_ne_u32_e32 vcc_lo, 1, v25
	s_cbranch_vccnz .LBB1423_188
; %bb.180:
	s_waitcnt lgkmcnt(0)
	v_mul_lo_u32 v22, v18, s22
	v_mul_lo_u32 v25, v17, s23
	v_mad_u64_u32 v[18:19], null, v17, s22, 0
	v_mul_lo_u32 v17, v14, s22
	v_mul_lo_u32 v28, v13, s23
	v_mad_u64_u32 v[20:21], null, v13, s22, 0
	s_mov_b32 s2, -1
	s_mov_b32 s18, exec_lo
	s_delay_alu instid0(VALU_DEP_4) | instskip(NEXT) | instid1(VALU_DEP_2)
	v_add3_u32 v19, v19, v25, v22
	v_add3_u32 v21, v21, v28, v17
	s_delay_alu instid0(VALU_DEP_2) | instskip(NEXT) | instid1(VALU_DEP_2)
	v_lshlrev_b64 v[17:18], 1, v[18:19]
	v_lshlrev_b64 v[21:22], 1, v[20:21]
	s_delay_alu instid0(VALU_DEP_2) | instskip(NEXT) | instid1(VALU_DEP_3)
	v_add_co_u32 v19, vcc_lo, s8, v17
	v_add_co_ci_u32_e32 v20, vcc_lo, s9, v18, vcc_lo
	s_delay_alu instid0(VALU_DEP_3) | instskip(NEXT) | instid1(VALU_DEP_4)
	v_add_co_u32 v17, vcc_lo, s8, v21
	v_add_co_ci_u32_e32 v18, vcc_lo, s9, v22, vcc_lo
	s_clause 0x1
	global_load_u16 v21, v[19:20], off
	global_load_u16 v22, v[17:18], off
	s_waitcnt vmcnt(0)
	v_cmpx_eq_u16_e64 v21, v22
	s_cbranch_execz .LBB1423_187
; %bb.181:
	v_add_co_u32 v17, vcc_lo, v17, 2
	v_add_co_ci_u32_e32 v18, vcc_lo, 0, v18, vcc_lo
	v_add_co_u32 v19, vcc_lo, v19, 2
	v_add_co_ci_u32_e32 v20, vcc_lo, 0, v20, vcc_lo
	s_add_u32 s4, s22, -1
	s_addc_u32 s5, s23, -1
	s_mov_b64 s[6:7], 0
	s_mov_b32 s19, 0
                                        ; implicit-def: $sgpr26
	s_set_inst_prefetch_distance 0x1
	s_branch .LBB1423_184
	.p2align	6
.LBB1423_182:                           ;   in Loop: Header=BB1423_184 Depth=1
	global_load_u16 v21, v[19:20], off
	global_load_u16 v22, v[17:18], off
	v_add_co_u32 v17, vcc_lo, v17, 2
	v_add_co_ci_u32_e32 v18, vcc_lo, 0, v18, vcc_lo
	v_add_co_u32 v19, s2, v19, 2
	s_delay_alu instid0(VALU_DEP_1)
	v_add_co_ci_u32_e64 v20, s2, 0, v20, s2
	s_add_u32 s6, s6, 1
	s_addc_u32 s7, s7, 0
	s_and_not1_b32 s2, s26, exec_lo
	s_waitcnt vmcnt(0)
	v_cmp_ne_u16_e32 vcc_lo, v21, v22
	s_and_b32 s26, vcc_lo, exec_lo
	s_delay_alu instid0(SALU_CYCLE_1)
	s_or_b32 s26, s2, s26
.LBB1423_183:                           ;   in Loop: Header=BB1423_184 Depth=1
	v_dual_mov_b32 v22, s7 :: v_dual_mov_b32 v21, s6
	s_and_b32 s2, exec_lo, s26
	s_delay_alu instid0(SALU_CYCLE_1) | instskip(NEXT) | instid1(SALU_CYCLE_1)
	s_or_b32 s19, s2, s19
	s_and_not1_b32 exec_lo, exec_lo, s19
	s_cbranch_execz .LBB1423_186
.LBB1423_184:                           ; =>This Inner Loop Header: Depth=1
	s_or_b32 s26, s26, exec_lo
	s_cmp_eq_u64 s[4:5], s[6:7]
	s_cbranch_scc0 .LBB1423_182
; %bb.185:                              ;   in Loop: Header=BB1423_184 Depth=1
	s_mov_b64 s[6:7], s[22:23]
                                        ; implicit-def: $vgpr17_vgpr18
                                        ; implicit-def: $vgpr19_vgpr20
	s_branch .LBB1423_183
.LBB1423_186:
	s_set_inst_prefetch_distance 0x2
	s_or_b32 exec_lo, exec_lo, s19
	v_cmp_gt_i64_e32 vcc_lo, s[22:23], v[21:22]
	s_or_not1_b32 s2, vcc_lo, exec_lo
.LBB1423_187:
	s_or_b32 exec_lo, exec_lo, s18
.LBB1423_188:
	s_delay_alu instid0(SALU_CYCLE_1)
	s_and_b32 s2, s2, exec_lo
.LBB1423_189:
	s_or_b32 exec_lo, exec_lo, s3
	s_waitcnt lgkmcnt(0)
	v_or_b32_e32 v17, v23, v24
	v_or_b32_e32 v18, v26, v27
.LBB1423_190:
	s_mov_b32 s18, -1
	s_cbranch_execnz .LBB1423_359
.LBB1423_191:
	v_cmp_gt_i64_e64 s3, s[22:23], 0
	s_and_b32 vcc_lo, exec_lo, s21
	ds_store_b64 v39, v[3:4]
	s_cbranch_vccz .LBB1423_199
; %bb.192:
	s_waitcnt lgkmcnt(0)
	v_mul_lo_u32 v19, v2, s22
	v_mul_lo_u32 v20, v1, s23
	v_mad_u64_u32 v[17:18], null, v1, s22, 0
	s_mov_b32 s19, 0
	s_and_not1_b32 vcc_lo, exec_lo, s3
	s_mov_b32 s26, 0
	s_delay_alu instid0(VALU_DEP_1) | instskip(NEXT) | instid1(VALU_DEP_1)
	v_add3_u32 v18, v18, v20, v19
	v_lshlrev_b64 v[17:18], 1, v[17:18]
	s_cbranch_vccnz .LBB1423_202
; %bb.193:
	v_mul_lo_u32 v21, v4, s22
	v_mul_lo_u32 v22, v3, s23
	v_mad_u64_u32 v[19:20], null, v3, s22, 0
	s_mov_b32 s26, -1
	s_mov_b32 s27, exec_lo
	s_delay_alu instid0(VALU_DEP_1) | instskip(SKIP_2) | instid1(VALU_DEP_3)
	v_add3_u32 v20, v20, v22, v21
	v_add_co_u32 v21, vcc_lo, s8, v17
	v_add_co_ci_u32_e32 v22, vcc_lo, s9, v18, vcc_lo
	v_lshlrev_b64 v[19:20], 1, v[19:20]
	s_delay_alu instid0(VALU_DEP_1) | instskip(NEXT) | instid1(VALU_DEP_2)
	v_add_co_u32 v19, vcc_lo, s8, v19
	v_add_co_ci_u32_e32 v20, vcc_lo, s9, v20, vcc_lo
	s_clause 0x1
	global_load_u16 v23, v[21:22], off
	global_load_u16 v24, v[19:20], off
	s_waitcnt vmcnt(0)
	v_cmpx_eq_u16_e64 v23, v24
	s_cbranch_execz .LBB1423_201
; %bb.194:
	v_add_co_u32 v19, vcc_lo, v19, 2
	v_add_co_ci_u32_e32 v20, vcc_lo, 0, v20, vcc_lo
	v_add_co_u32 v21, vcc_lo, v21, 2
	v_add_co_ci_u32_e32 v22, vcc_lo, 0, v22, vcc_lo
	s_add_u32 s4, s22, -1
	s_addc_u32 s5, s23, -1
	s_mov_b64 s[6:7], 0
	s_mov_b32 s26, 0
                                        ; implicit-def: $sgpr28
	s_set_inst_prefetch_distance 0x1
	s_branch .LBB1423_197
	.p2align	6
.LBB1423_195:                           ;   in Loop: Header=BB1423_197 Depth=1
	global_load_u16 v23, v[21:22], off
	global_load_u16 v24, v[19:20], off
	v_add_co_u32 v19, vcc_lo, v19, 2
	v_add_co_ci_u32_e32 v20, vcc_lo, 0, v20, vcc_lo
	v_add_co_u32 v21, s2, v21, 2
	s_delay_alu instid0(VALU_DEP_1)
	v_add_co_ci_u32_e64 v22, s2, 0, v22, s2
	s_add_u32 s6, s6, 1
	s_addc_u32 s7, s7, 0
	s_and_not1_b32 s2, s28, exec_lo
	s_waitcnt vmcnt(0)
	v_cmp_ne_u16_e32 vcc_lo, v23, v24
	s_and_b32 s28, vcc_lo, exec_lo
	s_delay_alu instid0(SALU_CYCLE_1)
	s_or_b32 s28, s2, s28
.LBB1423_196:                           ;   in Loop: Header=BB1423_197 Depth=1
	v_dual_mov_b32 v24, s7 :: v_dual_mov_b32 v23, s6
	s_and_b32 s2, exec_lo, s28
	s_delay_alu instid0(SALU_CYCLE_1) | instskip(NEXT) | instid1(SALU_CYCLE_1)
	s_or_b32 s26, s2, s26
	s_and_not1_b32 exec_lo, exec_lo, s26
	s_cbranch_execz .LBB1423_200
.LBB1423_197:                           ; =>This Inner Loop Header: Depth=1
	s_or_b32 s28, s28, exec_lo
	s_cmp_eq_u64 s[4:5], s[6:7]
	s_cbranch_scc0 .LBB1423_195
; %bb.198:                              ;   in Loop: Header=BB1423_197 Depth=1
	s_mov_b64 s[6:7], s[22:23]
                                        ; implicit-def: $vgpr19_vgpr20
                                        ; implicit-def: $vgpr21_vgpr22
	s_branch .LBB1423_196
.LBB1423_199:
	s_waitcnt lgkmcnt(0)
                                        ; implicit-def: $sgpr2
                                        ; implicit-def: $vgpr18
	s_cbranch_execnz .LBB1423_268
	s_branch .LBB1423_359
.LBB1423_200:
	s_set_inst_prefetch_distance 0x2
	s_or_b32 exec_lo, exec_lo, s26
	v_cmp_gt_i64_e32 vcc_lo, s[22:23], v[23:24]
	s_or_not1_b32 s26, vcc_lo, exec_lo
.LBB1423_201:
	s_or_b32 exec_lo, exec_lo, s27
.LBB1423_202:
	v_mul_lo_u32 v21, v8, s22
	v_mul_lo_u32 v22, v7, s23
	v_mad_u64_u32 v[19:20], null, v7, s22, 0
	s_and_not1_b32 vcc_lo, exec_lo, s3
	s_delay_alu instid0(VALU_DEP_1) | instskip(NEXT) | instid1(VALU_DEP_1)
	v_add3_u32 v20, v20, v22, v21
	v_lshlrev_b64 v[19:20], 1, v[19:20]
	s_cbranch_vccnz .LBB1423_211
; %bb.203:
	s_delay_alu instid0(VALU_DEP_1) | instskip(NEXT) | instid1(VALU_DEP_2)
	v_add_co_u32 v21, vcc_lo, s8, v19
	v_add_co_ci_u32_e32 v22, vcc_lo, s9, v20, vcc_lo
	v_add_co_u32 v17, vcc_lo, s8, v17
	v_add_co_ci_u32_e32 v18, vcc_lo, s9, v18, vcc_lo
	s_mov_b32 s19, -1
	s_clause 0x1
	global_load_u16 v23, v[21:22], off
	global_load_u16 v24, v[17:18], off
	s_mov_b32 s27, exec_lo
	s_waitcnt vmcnt(0)
	v_cmpx_eq_u16_e64 v23, v24
	s_cbranch_execz .LBB1423_210
; %bb.204:
	v_add_co_u32 v17, vcc_lo, v17, 2
	v_add_co_ci_u32_e32 v18, vcc_lo, 0, v18, vcc_lo
	v_add_co_u32 v21, vcc_lo, v21, 2
	v_add_co_ci_u32_e32 v22, vcc_lo, 0, v22, vcc_lo
	s_add_u32 s4, s22, -1
	s_addc_u32 s5, s23, -1
	s_mov_b64 s[6:7], 0
	s_mov_b32 s19, 0
                                        ; implicit-def: $sgpr28
	s_set_inst_prefetch_distance 0x1
	s_branch .LBB1423_207
	.p2align	6
.LBB1423_205:                           ;   in Loop: Header=BB1423_207 Depth=1
	global_load_u16 v23, v[21:22], off
	global_load_u16 v24, v[17:18], off
	v_add_co_u32 v17, vcc_lo, v17, 2
	v_add_co_ci_u32_e32 v18, vcc_lo, 0, v18, vcc_lo
	v_add_co_u32 v21, s2, v21, 2
	s_delay_alu instid0(VALU_DEP_1)
	v_add_co_ci_u32_e64 v22, s2, 0, v22, s2
	s_add_u32 s6, s6, 1
	s_addc_u32 s7, s7, 0
	s_and_not1_b32 s2, s28, exec_lo
	s_waitcnt vmcnt(0)
	v_cmp_ne_u16_e32 vcc_lo, v23, v24
	s_and_b32 s28, vcc_lo, exec_lo
	s_delay_alu instid0(SALU_CYCLE_1)
	s_or_b32 s28, s2, s28
.LBB1423_206:                           ;   in Loop: Header=BB1423_207 Depth=1
	v_dual_mov_b32 v24, s7 :: v_dual_mov_b32 v23, s6
	s_and_b32 s2, exec_lo, s28
	s_delay_alu instid0(SALU_CYCLE_1) | instskip(NEXT) | instid1(SALU_CYCLE_1)
	s_or_b32 s19, s2, s19
	s_and_not1_b32 exec_lo, exec_lo, s19
	s_cbranch_execz .LBB1423_209
.LBB1423_207:                           ; =>This Inner Loop Header: Depth=1
	s_or_b32 s28, s28, exec_lo
	s_cmp_eq_u64 s[4:5], s[6:7]
	s_cbranch_scc0 .LBB1423_205
; %bb.208:                              ;   in Loop: Header=BB1423_207 Depth=1
	s_mov_b64 s[6:7], s[22:23]
                                        ; implicit-def: $vgpr17_vgpr18
                                        ; implicit-def: $vgpr21_vgpr22
	s_branch .LBB1423_206
.LBB1423_209:
	s_set_inst_prefetch_distance 0x2
	s_or_b32 exec_lo, exec_lo, s19
	v_cmp_gt_i64_e32 vcc_lo, s[22:23], v[23:24]
	s_or_not1_b32 s19, vcc_lo, exec_lo
.LBB1423_210:
	s_or_b32 exec_lo, exec_lo, s27
.LBB1423_211:
	v_mul_lo_u32 v21, v6, s22
	v_mul_lo_u32 v22, v5, s23
	v_mad_u64_u32 v[17:18], null, v5, s22, 0
	s_mov_b32 s27, 0
	s_and_not1_b32 vcc_lo, exec_lo, s3
	s_mov_b32 s28, 0
	s_delay_alu instid0(VALU_DEP_1) | instskip(NEXT) | instid1(VALU_DEP_1)
	v_add3_u32 v18, v18, v22, v21
	v_lshlrev_b64 v[21:22], 1, v[17:18]
	s_cbranch_vccnz .LBB1423_220
; %bb.212:
	s_delay_alu instid0(VALU_DEP_1) | instskip(NEXT) | instid1(VALU_DEP_2)
	v_add_co_u32 v23, vcc_lo, s8, v21
	v_add_co_ci_u32_e32 v24, vcc_lo, s9, v22, vcc_lo
	v_add_co_u32 v17, vcc_lo, s8, v19
	v_add_co_ci_u32_e32 v18, vcc_lo, s9, v20, vcc_lo
	s_mov_b32 s28, -1
	s_clause 0x1
	global_load_u16 v19, v[23:24], off
	global_load_u16 v20, v[17:18], off
	s_mov_b32 s29, exec_lo
	s_waitcnt vmcnt(0)
	v_cmpx_eq_u16_e64 v19, v20
	s_cbranch_execz .LBB1423_219
; %bb.213:
	v_add_co_u32 v17, vcc_lo, v17, 2
	v_add_co_ci_u32_e32 v18, vcc_lo, 0, v18, vcc_lo
	v_add_co_u32 v19, vcc_lo, v23, 2
	v_add_co_ci_u32_e32 v20, vcc_lo, 0, v24, vcc_lo
	s_add_u32 s4, s22, -1
	s_addc_u32 s5, s23, -1
	s_mov_b64 s[6:7], 0
	s_mov_b32 s28, 0
                                        ; implicit-def: $sgpr30
	s_set_inst_prefetch_distance 0x1
	s_branch .LBB1423_216
	.p2align	6
.LBB1423_214:                           ;   in Loop: Header=BB1423_216 Depth=1
	global_load_u16 v23, v[19:20], off
	global_load_u16 v24, v[17:18], off
	v_add_co_u32 v17, vcc_lo, v17, 2
	v_add_co_ci_u32_e32 v18, vcc_lo, 0, v18, vcc_lo
	v_add_co_u32 v19, s2, v19, 2
	s_delay_alu instid0(VALU_DEP_1)
	v_add_co_ci_u32_e64 v20, s2, 0, v20, s2
	s_add_u32 s6, s6, 1
	s_addc_u32 s7, s7, 0
	s_and_not1_b32 s2, s30, exec_lo
	s_waitcnt vmcnt(0)
	v_cmp_ne_u16_e32 vcc_lo, v23, v24
	s_and_b32 s30, vcc_lo, exec_lo
	s_delay_alu instid0(SALU_CYCLE_1)
	s_or_b32 s30, s2, s30
.LBB1423_215:                           ;   in Loop: Header=BB1423_216 Depth=1
	v_dual_mov_b32 v24, s7 :: v_dual_mov_b32 v23, s6
	s_and_b32 s2, exec_lo, s30
	s_delay_alu instid0(SALU_CYCLE_1) | instskip(NEXT) | instid1(SALU_CYCLE_1)
	s_or_b32 s28, s2, s28
	s_and_not1_b32 exec_lo, exec_lo, s28
	s_cbranch_execz .LBB1423_218
.LBB1423_216:                           ; =>This Inner Loop Header: Depth=1
	s_or_b32 s30, s30, exec_lo
	s_cmp_eq_u64 s[4:5], s[6:7]
	s_cbranch_scc0 .LBB1423_214
; %bb.217:                              ;   in Loop: Header=BB1423_216 Depth=1
	s_mov_b64 s[6:7], s[22:23]
                                        ; implicit-def: $vgpr17_vgpr18
                                        ; implicit-def: $vgpr19_vgpr20
	s_branch .LBB1423_215
.LBB1423_218:
	s_set_inst_prefetch_distance 0x2
	s_or_b32 exec_lo, exec_lo, s28
	v_cmp_gt_i64_e32 vcc_lo, s[22:23], v[23:24]
	s_or_not1_b32 s28, vcc_lo, exec_lo
.LBB1423_219:
	s_or_b32 exec_lo, exec_lo, s29
.LBB1423_220:
	v_mul_lo_u32 v19, v12, s22
	v_mul_lo_u32 v20, v11, s23
	v_mad_u64_u32 v[17:18], null, v11, s22, 0
	s_and_not1_b32 vcc_lo, exec_lo, s3
	s_delay_alu instid0(VALU_DEP_1) | instskip(NEXT) | instid1(VALU_DEP_1)
	v_add3_u32 v18, v18, v20, v19
	v_lshlrev_b64 v[17:18], 1, v[17:18]
	s_cbranch_vccnz .LBB1423_229
; %bb.221:
	s_delay_alu instid0(VALU_DEP_1) | instskip(NEXT) | instid1(VALU_DEP_2)
	v_add_co_u32 v23, vcc_lo, s8, v17
	v_add_co_ci_u32_e32 v24, vcc_lo, s9, v18, vcc_lo
	v_add_co_u32 v19, vcc_lo, s8, v21
	v_add_co_ci_u32_e32 v20, vcc_lo, s9, v22, vcc_lo
	s_mov_b32 s27, -1
	s_clause 0x1
	global_load_u16 v21, v[23:24], off
	global_load_u16 v22, v[19:20], off
	s_mov_b32 s29, exec_lo
	s_waitcnt vmcnt(0)
	v_cmpx_eq_u16_e64 v21, v22
	s_cbranch_execz .LBB1423_228
; %bb.222:
	v_add_co_u32 v19, vcc_lo, v19, 2
	v_add_co_ci_u32_e32 v20, vcc_lo, 0, v20, vcc_lo
	v_add_co_u32 v21, vcc_lo, v23, 2
	v_add_co_ci_u32_e32 v22, vcc_lo, 0, v24, vcc_lo
	s_add_u32 s4, s22, -1
	s_addc_u32 s5, s23, -1
	s_mov_b64 s[6:7], 0
	s_mov_b32 s27, 0
                                        ; implicit-def: $sgpr30
	s_set_inst_prefetch_distance 0x1
	s_branch .LBB1423_225
	.p2align	6
.LBB1423_223:                           ;   in Loop: Header=BB1423_225 Depth=1
	global_load_u16 v23, v[21:22], off
	global_load_u16 v24, v[19:20], off
	v_add_co_u32 v19, vcc_lo, v19, 2
	v_add_co_ci_u32_e32 v20, vcc_lo, 0, v20, vcc_lo
	v_add_co_u32 v21, s2, v21, 2
	s_delay_alu instid0(VALU_DEP_1)
	v_add_co_ci_u32_e64 v22, s2, 0, v22, s2
	s_add_u32 s6, s6, 1
	s_addc_u32 s7, s7, 0
	s_and_not1_b32 s2, s30, exec_lo
	s_waitcnt vmcnt(0)
	v_cmp_ne_u16_e32 vcc_lo, v23, v24
	s_and_b32 s30, vcc_lo, exec_lo
	s_delay_alu instid0(SALU_CYCLE_1)
	s_or_b32 s30, s2, s30
.LBB1423_224:                           ;   in Loop: Header=BB1423_225 Depth=1
	v_dual_mov_b32 v24, s7 :: v_dual_mov_b32 v23, s6
	s_and_b32 s2, exec_lo, s30
	s_delay_alu instid0(SALU_CYCLE_1) | instskip(NEXT) | instid1(SALU_CYCLE_1)
	s_or_b32 s27, s2, s27
	s_and_not1_b32 exec_lo, exec_lo, s27
	s_cbranch_execz .LBB1423_227
.LBB1423_225:                           ; =>This Inner Loop Header: Depth=1
	s_or_b32 s30, s30, exec_lo
	s_cmp_eq_u64 s[4:5], s[6:7]
	s_cbranch_scc0 .LBB1423_223
; %bb.226:                              ;   in Loop: Header=BB1423_225 Depth=1
	s_mov_b64 s[6:7], s[22:23]
                                        ; implicit-def: $vgpr19_vgpr20
                                        ; implicit-def: $vgpr21_vgpr22
	s_branch .LBB1423_224
.LBB1423_227:
	s_set_inst_prefetch_distance 0x2
	s_or_b32 exec_lo, exec_lo, s27
	v_cmp_gt_i64_e32 vcc_lo, s[22:23], v[23:24]
	s_or_not1_b32 s27, vcc_lo, exec_lo
.LBB1423_228:
	s_or_b32 exec_lo, exec_lo, s29
.LBB1423_229:
	v_mul_lo_u32 v21, v10, s22
	v_mul_lo_u32 v22, v9, s23
	v_mad_u64_u32 v[19:20], null, v9, s22, 0
	s_mov_b32 s29, 0
	s_and_not1_b32 vcc_lo, exec_lo, s3
	s_mov_b32 s30, 0
	s_delay_alu instid0(VALU_DEP_1) | instskip(NEXT) | instid1(VALU_DEP_1)
	v_add3_u32 v20, v20, v22, v21
	v_lshlrev_b64 v[19:20], 1, v[19:20]
	s_cbranch_vccnz .LBB1423_238
; %bb.230:
	s_delay_alu instid0(VALU_DEP_1) | instskip(NEXT) | instid1(VALU_DEP_2)
	v_add_co_u32 v21, vcc_lo, s8, v19
	v_add_co_ci_u32_e32 v22, vcc_lo, s9, v20, vcc_lo
	v_add_co_u32 v17, vcc_lo, s8, v17
	v_add_co_ci_u32_e32 v18, vcc_lo, s9, v18, vcc_lo
	s_mov_b32 s30, -1
	s_clause 0x1
	global_load_u16 v23, v[21:22], off
	global_load_u16 v24, v[17:18], off
	s_mov_b32 s31, exec_lo
	s_waitcnt vmcnt(0)
	v_cmpx_eq_u16_e64 v23, v24
	s_cbranch_execz .LBB1423_237
; %bb.231:
	v_add_co_u32 v17, vcc_lo, v17, 2
	v_add_co_ci_u32_e32 v18, vcc_lo, 0, v18, vcc_lo
	v_add_co_u32 v21, vcc_lo, v21, 2
	v_add_co_ci_u32_e32 v22, vcc_lo, 0, v22, vcc_lo
	s_add_u32 s4, s22, -1
	s_addc_u32 s5, s23, -1
	s_mov_b64 s[6:7], 0
	s_mov_b32 s30, 0
                                        ; implicit-def: $sgpr33
	s_set_inst_prefetch_distance 0x1
	s_branch .LBB1423_234
	.p2align	6
.LBB1423_232:                           ;   in Loop: Header=BB1423_234 Depth=1
	global_load_u16 v23, v[21:22], off
	global_load_u16 v24, v[17:18], off
	v_add_co_u32 v17, vcc_lo, v17, 2
	v_add_co_ci_u32_e32 v18, vcc_lo, 0, v18, vcc_lo
	v_add_co_u32 v21, s2, v21, 2
	s_delay_alu instid0(VALU_DEP_1)
	v_add_co_ci_u32_e64 v22, s2, 0, v22, s2
	s_add_u32 s6, s6, 1
	s_addc_u32 s7, s7, 0
	s_and_not1_b32 s2, s33, exec_lo
	s_waitcnt vmcnt(0)
	v_cmp_ne_u16_e32 vcc_lo, v23, v24
	s_and_b32 s33, vcc_lo, exec_lo
	s_delay_alu instid0(SALU_CYCLE_1)
	s_or_b32 s33, s2, s33
.LBB1423_233:                           ;   in Loop: Header=BB1423_234 Depth=1
	v_dual_mov_b32 v24, s7 :: v_dual_mov_b32 v23, s6
	s_and_b32 s2, exec_lo, s33
	s_delay_alu instid0(SALU_CYCLE_1) | instskip(NEXT) | instid1(SALU_CYCLE_1)
	s_or_b32 s30, s2, s30
	s_and_not1_b32 exec_lo, exec_lo, s30
	s_cbranch_execz .LBB1423_236
.LBB1423_234:                           ; =>This Inner Loop Header: Depth=1
	s_or_b32 s33, s33, exec_lo
	s_cmp_eq_u64 s[4:5], s[6:7]
	s_cbranch_scc0 .LBB1423_232
; %bb.235:                              ;   in Loop: Header=BB1423_234 Depth=1
	s_mov_b64 s[6:7], s[22:23]
                                        ; implicit-def: $vgpr17_vgpr18
                                        ; implicit-def: $vgpr21_vgpr22
	s_branch .LBB1423_233
.LBB1423_236:
	s_set_inst_prefetch_distance 0x2
	s_or_b32 exec_lo, exec_lo, s30
	v_cmp_gt_i64_e32 vcc_lo, s[22:23], v[23:24]
	s_or_not1_b32 s30, vcc_lo, exec_lo
.LBB1423_237:
	s_or_b32 exec_lo, exec_lo, s31
.LBB1423_238:
	v_mul_lo_u32 v21, v16, s22
	v_mul_lo_u32 v22, v15, s23
	v_mad_u64_u32 v[17:18], null, v15, s22, 0
	s_and_not1_b32 vcc_lo, exec_lo, s3
	s_delay_alu instid0(VALU_DEP_1) | instskip(NEXT) | instid1(VALU_DEP_1)
	v_add3_u32 v18, v18, v22, v21
	v_lshlrev_b64 v[17:18], 1, v[17:18]
	s_cbranch_vccnz .LBB1423_247
; %bb.239:
	s_delay_alu instid0(VALU_DEP_1) | instskip(NEXT) | instid1(VALU_DEP_2)
	v_add_co_u32 v21, vcc_lo, s8, v17
	v_add_co_ci_u32_e32 v22, vcc_lo, s9, v18, vcc_lo
	v_add_co_u32 v19, vcc_lo, s8, v19
	v_add_co_ci_u32_e32 v20, vcc_lo, s9, v20, vcc_lo
	s_mov_b32 s29, -1
	s_clause 0x1
	global_load_u16 v23, v[21:22], off
	global_load_u16 v24, v[19:20], off
	s_mov_b32 s31, exec_lo
	s_waitcnt vmcnt(0)
	v_cmpx_eq_u16_e64 v23, v24
	s_cbranch_execz .LBB1423_246
; %bb.240:
	v_add_co_u32 v19, vcc_lo, v19, 2
	v_add_co_ci_u32_e32 v20, vcc_lo, 0, v20, vcc_lo
	v_add_co_u32 v21, vcc_lo, v21, 2
	v_add_co_ci_u32_e32 v22, vcc_lo, 0, v22, vcc_lo
	s_add_u32 s4, s22, -1
	s_addc_u32 s5, s23, -1
	s_mov_b64 s[6:7], 0
	s_mov_b32 s29, 0
                                        ; implicit-def: $sgpr33
	s_set_inst_prefetch_distance 0x1
	s_branch .LBB1423_243
	.p2align	6
.LBB1423_241:                           ;   in Loop: Header=BB1423_243 Depth=1
	global_load_u16 v23, v[21:22], off
	global_load_u16 v24, v[19:20], off
	v_add_co_u32 v19, vcc_lo, v19, 2
	v_add_co_ci_u32_e32 v20, vcc_lo, 0, v20, vcc_lo
	v_add_co_u32 v21, s2, v21, 2
	s_delay_alu instid0(VALU_DEP_1)
	v_add_co_ci_u32_e64 v22, s2, 0, v22, s2
	s_add_u32 s6, s6, 1
	s_addc_u32 s7, s7, 0
	s_and_not1_b32 s2, s33, exec_lo
	s_waitcnt vmcnt(0)
	v_cmp_ne_u16_e32 vcc_lo, v23, v24
	s_and_b32 s33, vcc_lo, exec_lo
	s_delay_alu instid0(SALU_CYCLE_1)
	s_or_b32 s33, s2, s33
.LBB1423_242:                           ;   in Loop: Header=BB1423_243 Depth=1
	v_dual_mov_b32 v24, s7 :: v_dual_mov_b32 v23, s6
	s_and_b32 s2, exec_lo, s33
	s_delay_alu instid0(SALU_CYCLE_1) | instskip(NEXT) | instid1(SALU_CYCLE_1)
	s_or_b32 s29, s2, s29
	s_and_not1_b32 exec_lo, exec_lo, s29
	s_cbranch_execz .LBB1423_245
.LBB1423_243:                           ; =>This Inner Loop Header: Depth=1
	s_or_b32 s33, s33, exec_lo
	s_cmp_eq_u64 s[4:5], s[6:7]
	s_cbranch_scc0 .LBB1423_241
; %bb.244:                              ;   in Loop: Header=BB1423_243 Depth=1
	s_mov_b64 s[6:7], s[22:23]
                                        ; implicit-def: $vgpr19_vgpr20
                                        ; implicit-def: $vgpr21_vgpr22
	s_branch .LBB1423_242
.LBB1423_245:
	s_set_inst_prefetch_distance 0x2
	s_or_b32 exec_lo, exec_lo, s29
	v_cmp_gt_i64_e32 vcc_lo, s[22:23], v[23:24]
	s_or_not1_b32 s29, vcc_lo, exec_lo
.LBB1423_246:
	s_or_b32 exec_lo, exec_lo, s31
.LBB1423_247:
	v_mul_lo_u32 v21, v14, s22
	v_mul_lo_u32 v22, v13, s23
	v_mad_u64_u32 v[19:20], null, v13, s22, 0
	s_and_not1_b32 vcc_lo, exec_lo, s3
	s_mov_b32 s2, 0
	s_delay_alu instid0(VALU_DEP_1)
	v_add3_u32 v20, v20, v22, v21
	s_cbranch_vccnz .LBB1423_256
; %bb.248:
	s_delay_alu instid0(VALU_DEP_1) | instskip(SKIP_2) | instid1(VALU_DEP_1)
	v_lshlrev_b64 v[21:22], 1, v[19:20]
	s_mov_b32 s2, -1
	s_mov_b32 s31, exec_lo
	v_add_co_u32 v21, vcc_lo, s8, v21
	s_delay_alu instid0(VALU_DEP_2)
	v_add_co_ci_u32_e32 v22, vcc_lo, s9, v22, vcc_lo
	v_add_co_u32 v17, vcc_lo, s8, v17
	v_add_co_ci_u32_e32 v18, vcc_lo, s9, v18, vcc_lo
	s_clause 0x1
	global_load_u16 v23, v[21:22], off
	global_load_u16 v24, v[17:18], off
	s_waitcnt vmcnt(0)
	v_cmpx_eq_u16_e64 v23, v24
	s_cbranch_execz .LBB1423_255
; %bb.249:
	v_add_co_u32 v17, vcc_lo, v17, 2
	v_add_co_ci_u32_e32 v18, vcc_lo, 0, v18, vcc_lo
	v_add_co_u32 v21, vcc_lo, v21, 2
	v_add_co_ci_u32_e32 v22, vcc_lo, 0, v22, vcc_lo
	s_add_u32 s4, s22, -1
	s_addc_u32 s5, s23, -1
	s_mov_b64 s[6:7], 0
	s_mov_b32 s33, 0
                                        ; implicit-def: $sgpr34
	s_set_inst_prefetch_distance 0x1
	s_branch .LBB1423_252
	.p2align	6
.LBB1423_250:                           ;   in Loop: Header=BB1423_252 Depth=1
	global_load_u16 v23, v[21:22], off
	global_load_u16 v24, v[17:18], off
	v_add_co_u32 v17, vcc_lo, v17, 2
	v_add_co_ci_u32_e32 v18, vcc_lo, 0, v18, vcc_lo
	v_add_co_u32 v21, s2, v21, 2
	s_delay_alu instid0(VALU_DEP_1)
	v_add_co_ci_u32_e64 v22, s2, 0, v22, s2
	s_add_u32 s6, s6, 1
	s_addc_u32 s7, s7, 0
	s_and_not1_b32 s2, s34, exec_lo
	s_waitcnt vmcnt(0)
	v_cmp_ne_u16_e32 vcc_lo, v23, v24
	s_and_b32 s34, vcc_lo, exec_lo
	s_delay_alu instid0(SALU_CYCLE_1)
	s_or_b32 s34, s2, s34
.LBB1423_251:                           ;   in Loop: Header=BB1423_252 Depth=1
	v_dual_mov_b32 v24, s7 :: v_dual_mov_b32 v23, s6
	s_and_b32 s2, exec_lo, s34
	s_delay_alu instid0(SALU_CYCLE_1) | instskip(NEXT) | instid1(SALU_CYCLE_1)
	s_or_b32 s33, s2, s33
	s_and_not1_b32 exec_lo, exec_lo, s33
	s_cbranch_execz .LBB1423_254
.LBB1423_252:                           ; =>This Inner Loop Header: Depth=1
	s_or_b32 s34, s34, exec_lo
	s_cmp_eq_u64 s[4:5], s[6:7]
	s_cbranch_scc0 .LBB1423_250
; %bb.253:                              ;   in Loop: Header=BB1423_252 Depth=1
	s_mov_b64 s[6:7], s[22:23]
                                        ; implicit-def: $vgpr17_vgpr18
                                        ; implicit-def: $vgpr21_vgpr22
	s_branch .LBB1423_251
.LBB1423_254:
	s_set_inst_prefetch_distance 0x2
	s_or_b32 exec_lo, exec_lo, s33
	v_cmp_gt_i64_e32 vcc_lo, s[22:23], v[23:24]
	s_or_not1_b32 s2, vcc_lo, exec_lo
.LBB1423_255:
	s_or_b32 exec_lo, exec_lo, s31
.LBB1423_256:
	v_cndmask_b32_e64 v18, 0, 1, s30
	v_cndmask_b32_e64 v21, 0, 1, s28
	;; [unrolled: 1-line block ×7, first 2 shown]
	v_lshlrev_b16 v21, 8, v21
	v_lshlrev_b16 v22, 8, v22
	v_lshlrev_b16 v23, 8, v23
	v_lshlrev_b16 v18, 8, v18
	s_delay_alu instid0(VALU_DEP_4) | instskip(NEXT) | instid1(VALU_DEP_4)
	v_or_b32_e32 v21, v24, v21
	v_or_b32_e32 v22, v25, v22
	s_delay_alu instid0(VALU_DEP_4) | instskip(NEXT) | instid1(VALU_DEP_4)
	v_or_b32_e32 v23, 1, v23
	v_or_b32_e32 v17, v17, v18
	s_barrier
	v_and_b32_e32 v18, 0xffff, v21
	v_lshlrev_b32_e32 v21, 16, v22
	v_and_b32_e32 v22, 0xffff, v23
	v_lshlrev_b32_e32 v17, 16, v17
	buffer_gl0_inv
                                        ; implicit-def: $sgpr2
	s_mov_b32 s4, exec_lo
	v_or_b32_e32 v18, v18, v21
	v_or_b32_e32 v17, v22, v17
	v_cmpx_ne_u32_e32 0, v0
	s_xor_b32 s19, exec_lo, s4
	s_cbranch_execz .LBB1423_267
; %bb.257:
	s_and_not1_b32 vcc_lo, exec_lo, s3
	s_mov_b32 s2, 0
	s_cbranch_vccnz .LBB1423_266
; %bb.258:
	v_add_nc_u32_e32 v21, -8, v39
	v_lshlrev_b64 v[19:20], 1, v[19:20]
	s_mov_b32 s2, -1
	s_mov_b32 s26, exec_lo
	ds_load_b64 v[21:22], v21
	s_waitcnt lgkmcnt(0)
	v_mul_lo_u32 v24, v22, s22
	v_mul_lo_u32 v25, v21, s23
	v_mad_u64_u32 v[22:23], null, v21, s22, 0
	s_delay_alu instid0(VALU_DEP_1) | instskip(NEXT) | instid1(VALU_DEP_1)
	v_add3_u32 v23, v23, v25, v24
	v_lshlrev_b64 v[21:22], 1, v[22:23]
	s_delay_alu instid0(VALU_DEP_1) | instskip(NEXT) | instid1(VALU_DEP_2)
	v_add_co_u32 v21, vcc_lo, s8, v21
	v_add_co_ci_u32_e32 v22, vcc_lo, s9, v22, vcc_lo
	v_add_co_u32 v19, vcc_lo, s8, v19
	v_add_co_ci_u32_e32 v20, vcc_lo, s9, v20, vcc_lo
	s_clause 0x1
	global_load_u16 v23, v[21:22], off
	global_load_u16 v24, v[19:20], off
	s_waitcnt vmcnt(0)
	v_cmpx_eq_u16_e64 v23, v24
	s_cbranch_execz .LBB1423_265
; %bb.259:
	v_add_co_u32 v19, vcc_lo, v19, 2
	v_add_co_ci_u32_e32 v20, vcc_lo, 0, v20, vcc_lo
	v_add_co_u32 v21, vcc_lo, v21, 2
	v_add_co_ci_u32_e32 v22, vcc_lo, 0, v22, vcc_lo
	s_add_u32 s4, s22, -1
	s_addc_u32 s5, s23, -1
	s_mov_b64 s[6:7], 0
	s_mov_b32 s27, 0
                                        ; implicit-def: $sgpr28
	s_set_inst_prefetch_distance 0x1
	s_branch .LBB1423_262
	.p2align	6
.LBB1423_260:                           ;   in Loop: Header=BB1423_262 Depth=1
	global_load_u16 v23, v[21:22], off
	global_load_u16 v24, v[19:20], off
	v_add_co_u32 v19, vcc_lo, v19, 2
	v_add_co_ci_u32_e32 v20, vcc_lo, 0, v20, vcc_lo
	v_add_co_u32 v21, s2, v21, 2
	s_delay_alu instid0(VALU_DEP_1)
	v_add_co_ci_u32_e64 v22, s2, 0, v22, s2
	s_add_u32 s6, s6, 1
	s_addc_u32 s7, s7, 0
	s_and_not1_b32 s2, s28, exec_lo
	s_waitcnt vmcnt(0)
	v_cmp_ne_u16_e32 vcc_lo, v23, v24
	s_and_b32 s28, vcc_lo, exec_lo
	s_delay_alu instid0(SALU_CYCLE_1)
	s_or_b32 s28, s2, s28
.LBB1423_261:                           ;   in Loop: Header=BB1423_262 Depth=1
	v_dual_mov_b32 v24, s7 :: v_dual_mov_b32 v23, s6
	s_and_b32 s2, exec_lo, s28
	s_delay_alu instid0(SALU_CYCLE_1) | instskip(NEXT) | instid1(SALU_CYCLE_1)
	s_or_b32 s27, s2, s27
	s_and_not1_b32 exec_lo, exec_lo, s27
	s_cbranch_execz .LBB1423_264
.LBB1423_262:                           ; =>This Inner Loop Header: Depth=1
	s_or_b32 s28, s28, exec_lo
	s_cmp_eq_u64 s[4:5], s[6:7]
	s_cbranch_scc0 .LBB1423_260
; %bb.263:                              ;   in Loop: Header=BB1423_262 Depth=1
	s_mov_b64 s[6:7], s[22:23]
                                        ; implicit-def: $vgpr19_vgpr20
                                        ; implicit-def: $vgpr21_vgpr22
	s_branch .LBB1423_261
.LBB1423_264:
	s_set_inst_prefetch_distance 0x2
	s_or_b32 exec_lo, exec_lo, s27
	v_cmp_gt_i64_e32 vcc_lo, s[22:23], v[23:24]
	s_or_not1_b32 s2, vcc_lo, exec_lo
.LBB1423_265:
	s_or_b32 exec_lo, exec_lo, s26
.LBB1423_266:
	s_delay_alu instid0(SALU_CYCLE_1)
	s_and_b32 s2, s2, exec_lo
	s_or_b32 s18, s18, exec_lo
.LBB1423_267:
	s_or_b32 exec_lo, exec_lo, s19
	s_branch .LBB1423_359
.LBB1423_268:
	v_or_b32_e32 v17, 7, v39
	s_mov_b32 s19, 0
	s_mov_b32 s26, 0
	s_mov_b32 s27, exec_lo
	s_delay_alu instid0(VALU_DEP_1)
	v_cmpx_gt_u32_e64 s20, v17
	s_cbranch_execz .LBB1423_279
; %bb.269:
	s_and_not1_b32 vcc_lo, exec_lo, s3
	s_mov_b32 s2, 0
	s_cbranch_vccnz .LBB1423_278
; %bb.270:
	v_mul_lo_u32 v21, v2, s22
	v_mul_lo_u32 v22, v1, s23
	v_mad_u64_u32 v[17:18], null, v1, s22, 0
	v_mul_lo_u32 v23, v4, s22
	v_mul_lo_u32 v24, v3, s23
	v_mad_u64_u32 v[19:20], null, v3, s22, 0
	s_mov_b32 s2, -1
	s_mov_b32 s26, exec_lo
	s_delay_alu instid0(VALU_DEP_4) | instskip(NEXT) | instid1(VALU_DEP_2)
	v_add3_u32 v18, v18, v22, v21
	v_add3_u32 v20, v20, v24, v23
	s_delay_alu instid0(VALU_DEP_2) | instskip(NEXT) | instid1(VALU_DEP_2)
	v_lshlrev_b64 v[17:18], 1, v[17:18]
	v_lshlrev_b64 v[21:22], 1, v[19:20]
	s_delay_alu instid0(VALU_DEP_2) | instskip(NEXT) | instid1(VALU_DEP_3)
	v_add_co_u32 v19, vcc_lo, s8, v17
	v_add_co_ci_u32_e32 v20, vcc_lo, s9, v18, vcc_lo
	s_delay_alu instid0(VALU_DEP_3) | instskip(NEXT) | instid1(VALU_DEP_4)
	v_add_co_u32 v17, vcc_lo, s8, v21
	v_add_co_ci_u32_e32 v18, vcc_lo, s9, v22, vcc_lo
	s_clause 0x1
	global_load_u16 v21, v[19:20], off
	global_load_u16 v22, v[17:18], off
	s_waitcnt vmcnt(0)
	v_cmpx_eq_u16_e64 v21, v22
	s_cbranch_execz .LBB1423_277
; %bb.271:
	v_add_co_u32 v17, vcc_lo, v17, 2
	v_add_co_ci_u32_e32 v18, vcc_lo, 0, v18, vcc_lo
	v_add_co_u32 v19, vcc_lo, v19, 2
	v_add_co_ci_u32_e32 v20, vcc_lo, 0, v20, vcc_lo
	s_add_u32 s4, s22, -1
	s_addc_u32 s5, s23, -1
	s_mov_b64 s[6:7], 0
	s_mov_b32 s28, 0
                                        ; implicit-def: $sgpr29
	s_set_inst_prefetch_distance 0x1
	s_branch .LBB1423_274
	.p2align	6
.LBB1423_272:                           ;   in Loop: Header=BB1423_274 Depth=1
	global_load_u16 v21, v[19:20], off
	global_load_u16 v22, v[17:18], off
	v_add_co_u32 v17, vcc_lo, v17, 2
	v_add_co_ci_u32_e32 v18, vcc_lo, 0, v18, vcc_lo
	v_add_co_u32 v19, s2, v19, 2
	s_delay_alu instid0(VALU_DEP_1)
	v_add_co_ci_u32_e64 v20, s2, 0, v20, s2
	s_add_u32 s6, s6, 1
	s_addc_u32 s7, s7, 0
	s_and_not1_b32 s2, s29, exec_lo
	s_waitcnt vmcnt(0)
	v_cmp_ne_u16_e32 vcc_lo, v21, v22
	s_and_b32 s29, vcc_lo, exec_lo
	s_delay_alu instid0(SALU_CYCLE_1)
	s_or_b32 s29, s2, s29
.LBB1423_273:                           ;   in Loop: Header=BB1423_274 Depth=1
	v_dual_mov_b32 v22, s7 :: v_dual_mov_b32 v21, s6
	s_and_b32 s2, exec_lo, s29
	s_delay_alu instid0(SALU_CYCLE_1) | instskip(NEXT) | instid1(SALU_CYCLE_1)
	s_or_b32 s28, s2, s28
	s_and_not1_b32 exec_lo, exec_lo, s28
	s_cbranch_execz .LBB1423_276
.LBB1423_274:                           ; =>This Inner Loop Header: Depth=1
	s_or_b32 s29, s29, exec_lo
	s_cmp_eq_u64 s[4:5], s[6:7]
	s_cbranch_scc0 .LBB1423_272
; %bb.275:                              ;   in Loop: Header=BB1423_274 Depth=1
	s_mov_b64 s[6:7], s[22:23]
                                        ; implicit-def: $vgpr17_vgpr18
                                        ; implicit-def: $vgpr19_vgpr20
	s_branch .LBB1423_273
.LBB1423_276:
	s_set_inst_prefetch_distance 0x2
	s_or_b32 exec_lo, exec_lo, s28
	v_cmp_gt_i64_e32 vcc_lo, s[22:23], v[21:22]
	s_or_not1_b32 s2, vcc_lo, exec_lo
.LBB1423_277:
	s_or_b32 exec_lo, exec_lo, s26
.LBB1423_278:
	s_delay_alu instid0(SALU_CYCLE_1)
	s_and_b32 s26, s2, exec_lo
.LBB1423_279:
	s_or_b32 exec_lo, exec_lo, s27
	v_or_b32_e32 v17, 6, v39
	s_mov_b32 s27, exec_lo
	s_delay_alu instid0(VALU_DEP_1)
	v_cmpx_gt_u32_e64 s20, v17
	s_cbranch_execz .LBB1423_290
; %bb.280:
	s_and_not1_b32 vcc_lo, exec_lo, s3
	s_mov_b32 s2, 0
	s_cbranch_vccnz .LBB1423_289
; %bb.281:
	v_mul_lo_u32 v21, v8, s22
	v_mul_lo_u32 v22, v7, s23
	v_mad_u64_u32 v[17:18], null, v7, s22, 0
	v_mul_lo_u32 v23, v2, s22
	v_mul_lo_u32 v24, v1, s23
	v_mad_u64_u32 v[19:20], null, v1, s22, 0
	s_mov_b32 s2, -1
	s_mov_b32 s19, exec_lo
	s_delay_alu instid0(VALU_DEP_4) | instskip(NEXT) | instid1(VALU_DEP_2)
	v_add3_u32 v18, v18, v22, v21
	v_add3_u32 v20, v20, v24, v23
	s_delay_alu instid0(VALU_DEP_2) | instskip(NEXT) | instid1(VALU_DEP_2)
	v_lshlrev_b64 v[17:18], 1, v[17:18]
	v_lshlrev_b64 v[21:22], 1, v[19:20]
	s_delay_alu instid0(VALU_DEP_2) | instskip(NEXT) | instid1(VALU_DEP_3)
	v_add_co_u32 v19, vcc_lo, s8, v17
	v_add_co_ci_u32_e32 v20, vcc_lo, s9, v18, vcc_lo
	s_delay_alu instid0(VALU_DEP_3) | instskip(NEXT) | instid1(VALU_DEP_4)
	v_add_co_u32 v17, vcc_lo, s8, v21
	v_add_co_ci_u32_e32 v18, vcc_lo, s9, v22, vcc_lo
	s_clause 0x1
	global_load_u16 v21, v[19:20], off
	global_load_u16 v22, v[17:18], off
	s_waitcnt vmcnt(0)
	v_cmpx_eq_u16_e64 v21, v22
	s_cbranch_execz .LBB1423_288
; %bb.282:
	v_add_co_u32 v17, vcc_lo, v17, 2
	v_add_co_ci_u32_e32 v18, vcc_lo, 0, v18, vcc_lo
	v_add_co_u32 v19, vcc_lo, v19, 2
	v_add_co_ci_u32_e32 v20, vcc_lo, 0, v20, vcc_lo
	s_add_u32 s4, s22, -1
	s_addc_u32 s5, s23, -1
	s_mov_b64 s[6:7], 0
	s_mov_b32 s28, 0
                                        ; implicit-def: $sgpr29
	s_set_inst_prefetch_distance 0x1
	s_branch .LBB1423_285
	.p2align	6
.LBB1423_283:                           ;   in Loop: Header=BB1423_285 Depth=1
	global_load_u16 v21, v[19:20], off
	global_load_u16 v22, v[17:18], off
	v_add_co_u32 v17, vcc_lo, v17, 2
	v_add_co_ci_u32_e32 v18, vcc_lo, 0, v18, vcc_lo
	v_add_co_u32 v19, s2, v19, 2
	s_delay_alu instid0(VALU_DEP_1)
	v_add_co_ci_u32_e64 v20, s2, 0, v20, s2
	s_add_u32 s6, s6, 1
	s_addc_u32 s7, s7, 0
	s_and_not1_b32 s2, s29, exec_lo
	s_waitcnt vmcnt(0)
	v_cmp_ne_u16_e32 vcc_lo, v21, v22
	s_and_b32 s29, vcc_lo, exec_lo
	s_delay_alu instid0(SALU_CYCLE_1)
	s_or_b32 s29, s2, s29
.LBB1423_284:                           ;   in Loop: Header=BB1423_285 Depth=1
	v_dual_mov_b32 v22, s7 :: v_dual_mov_b32 v21, s6
	s_and_b32 s2, exec_lo, s29
	s_delay_alu instid0(SALU_CYCLE_1) | instskip(NEXT) | instid1(SALU_CYCLE_1)
	s_or_b32 s28, s2, s28
	s_and_not1_b32 exec_lo, exec_lo, s28
	s_cbranch_execz .LBB1423_287
.LBB1423_285:                           ; =>This Inner Loop Header: Depth=1
	s_or_b32 s29, s29, exec_lo
	s_cmp_eq_u64 s[4:5], s[6:7]
	s_cbranch_scc0 .LBB1423_283
; %bb.286:                              ;   in Loop: Header=BB1423_285 Depth=1
	s_mov_b64 s[6:7], s[22:23]
                                        ; implicit-def: $vgpr17_vgpr18
                                        ; implicit-def: $vgpr19_vgpr20
	s_branch .LBB1423_284
.LBB1423_287:
	s_set_inst_prefetch_distance 0x2
	s_or_b32 exec_lo, exec_lo, s28
	v_cmp_gt_i64_e32 vcc_lo, s[22:23], v[21:22]
	s_or_not1_b32 s2, vcc_lo, exec_lo
.LBB1423_288:
	s_or_b32 exec_lo, exec_lo, s19
.LBB1423_289:
	s_delay_alu instid0(SALU_CYCLE_1)
	s_and_b32 s19, s2, exec_lo
.LBB1423_290:
	s_or_b32 exec_lo, exec_lo, s27
	v_or_b32_e32 v17, 5, v39
	s_mov_b32 s27, 0
	s_mov_b32 s28, 0
	s_mov_b32 s29, exec_lo
	s_delay_alu instid0(VALU_DEP_1)
	v_cmpx_gt_u32_e64 s20, v17
	s_cbranch_execz .LBB1423_301
; %bb.291:
	s_and_not1_b32 vcc_lo, exec_lo, s3
	s_mov_b32 s2, 0
	s_cbranch_vccnz .LBB1423_300
; %bb.292:
	v_mul_lo_u32 v21, v6, s22
	v_mul_lo_u32 v22, v5, s23
	v_mad_u64_u32 v[17:18], null, v5, s22, 0
	v_mul_lo_u32 v23, v8, s22
	v_mul_lo_u32 v24, v7, s23
	v_mad_u64_u32 v[19:20], null, v7, s22, 0
	s_mov_b32 s2, -1
	s_mov_b32 s28, exec_lo
	s_delay_alu instid0(VALU_DEP_4) | instskip(NEXT) | instid1(VALU_DEP_2)
	v_add3_u32 v18, v18, v22, v21
	v_add3_u32 v20, v20, v24, v23
	s_delay_alu instid0(VALU_DEP_2) | instskip(NEXT) | instid1(VALU_DEP_2)
	v_lshlrev_b64 v[17:18], 1, v[17:18]
	v_lshlrev_b64 v[21:22], 1, v[19:20]
	s_delay_alu instid0(VALU_DEP_2) | instskip(NEXT) | instid1(VALU_DEP_3)
	v_add_co_u32 v19, vcc_lo, s8, v17
	v_add_co_ci_u32_e32 v20, vcc_lo, s9, v18, vcc_lo
	s_delay_alu instid0(VALU_DEP_3) | instskip(NEXT) | instid1(VALU_DEP_4)
	v_add_co_u32 v17, vcc_lo, s8, v21
	v_add_co_ci_u32_e32 v18, vcc_lo, s9, v22, vcc_lo
	s_clause 0x1
	global_load_u16 v21, v[19:20], off
	global_load_u16 v22, v[17:18], off
	s_waitcnt vmcnt(0)
	v_cmpx_eq_u16_e64 v21, v22
	s_cbranch_execz .LBB1423_299
; %bb.293:
	v_add_co_u32 v17, vcc_lo, v17, 2
	v_add_co_ci_u32_e32 v18, vcc_lo, 0, v18, vcc_lo
	v_add_co_u32 v19, vcc_lo, v19, 2
	v_add_co_ci_u32_e32 v20, vcc_lo, 0, v20, vcc_lo
	s_add_u32 s4, s22, -1
	s_addc_u32 s5, s23, -1
	s_mov_b64 s[6:7], 0
	s_mov_b32 s30, 0
                                        ; implicit-def: $sgpr31
	s_set_inst_prefetch_distance 0x1
	s_branch .LBB1423_296
	.p2align	6
.LBB1423_294:                           ;   in Loop: Header=BB1423_296 Depth=1
	global_load_u16 v21, v[19:20], off
	global_load_u16 v22, v[17:18], off
	v_add_co_u32 v17, vcc_lo, v17, 2
	v_add_co_ci_u32_e32 v18, vcc_lo, 0, v18, vcc_lo
	v_add_co_u32 v19, s2, v19, 2
	s_delay_alu instid0(VALU_DEP_1)
	v_add_co_ci_u32_e64 v20, s2, 0, v20, s2
	s_add_u32 s6, s6, 1
	s_addc_u32 s7, s7, 0
	s_and_not1_b32 s2, s31, exec_lo
	s_waitcnt vmcnt(0)
	v_cmp_ne_u16_e32 vcc_lo, v21, v22
	s_and_b32 s31, vcc_lo, exec_lo
	s_delay_alu instid0(SALU_CYCLE_1)
	s_or_b32 s31, s2, s31
.LBB1423_295:                           ;   in Loop: Header=BB1423_296 Depth=1
	v_dual_mov_b32 v22, s7 :: v_dual_mov_b32 v21, s6
	s_and_b32 s2, exec_lo, s31
	s_delay_alu instid0(SALU_CYCLE_1) | instskip(NEXT) | instid1(SALU_CYCLE_1)
	s_or_b32 s30, s2, s30
	s_and_not1_b32 exec_lo, exec_lo, s30
	s_cbranch_execz .LBB1423_298
.LBB1423_296:                           ; =>This Inner Loop Header: Depth=1
	s_or_b32 s31, s31, exec_lo
	s_cmp_eq_u64 s[4:5], s[6:7]
	s_cbranch_scc0 .LBB1423_294
; %bb.297:                              ;   in Loop: Header=BB1423_296 Depth=1
	s_mov_b64 s[6:7], s[22:23]
                                        ; implicit-def: $vgpr17_vgpr18
                                        ; implicit-def: $vgpr19_vgpr20
	s_branch .LBB1423_295
.LBB1423_298:
	s_set_inst_prefetch_distance 0x2
	s_or_b32 exec_lo, exec_lo, s30
	v_cmp_gt_i64_e32 vcc_lo, s[22:23], v[21:22]
	s_or_not1_b32 s2, vcc_lo, exec_lo
.LBB1423_299:
	s_or_b32 exec_lo, exec_lo, s28
.LBB1423_300:
	s_delay_alu instid0(SALU_CYCLE_1)
	s_and_b32 s28, s2, exec_lo
.LBB1423_301:
	s_or_b32 exec_lo, exec_lo, s29
	v_or_b32_e32 v17, 4, v39
	s_mov_b32 s29, exec_lo
	s_delay_alu instid0(VALU_DEP_1)
	v_cmpx_gt_u32_e64 s20, v17
	s_cbranch_execz .LBB1423_312
; %bb.302:
	s_and_not1_b32 vcc_lo, exec_lo, s3
	s_mov_b32 s2, 0
	s_cbranch_vccnz .LBB1423_311
; %bb.303:
	v_mul_lo_u32 v21, v12, s22
	v_mul_lo_u32 v22, v11, s23
	v_mad_u64_u32 v[17:18], null, v11, s22, 0
	v_mul_lo_u32 v23, v6, s22
	v_mul_lo_u32 v24, v5, s23
	v_mad_u64_u32 v[19:20], null, v5, s22, 0
	s_mov_b32 s2, -1
	s_mov_b32 s27, exec_lo
	s_delay_alu instid0(VALU_DEP_4) | instskip(NEXT) | instid1(VALU_DEP_2)
	v_add3_u32 v18, v18, v22, v21
	v_add3_u32 v20, v20, v24, v23
	s_delay_alu instid0(VALU_DEP_2) | instskip(NEXT) | instid1(VALU_DEP_2)
	v_lshlrev_b64 v[17:18], 1, v[17:18]
	v_lshlrev_b64 v[21:22], 1, v[19:20]
	s_delay_alu instid0(VALU_DEP_2) | instskip(NEXT) | instid1(VALU_DEP_3)
	v_add_co_u32 v19, vcc_lo, s8, v17
	v_add_co_ci_u32_e32 v20, vcc_lo, s9, v18, vcc_lo
	s_delay_alu instid0(VALU_DEP_3) | instskip(NEXT) | instid1(VALU_DEP_4)
	v_add_co_u32 v17, vcc_lo, s8, v21
	v_add_co_ci_u32_e32 v18, vcc_lo, s9, v22, vcc_lo
	s_clause 0x1
	global_load_u16 v21, v[19:20], off
	global_load_u16 v22, v[17:18], off
	s_waitcnt vmcnt(0)
	v_cmpx_eq_u16_e64 v21, v22
	s_cbranch_execz .LBB1423_310
; %bb.304:
	v_add_co_u32 v17, vcc_lo, v17, 2
	v_add_co_ci_u32_e32 v18, vcc_lo, 0, v18, vcc_lo
	v_add_co_u32 v19, vcc_lo, v19, 2
	v_add_co_ci_u32_e32 v20, vcc_lo, 0, v20, vcc_lo
	s_add_u32 s4, s22, -1
	s_addc_u32 s5, s23, -1
	s_mov_b64 s[6:7], 0
	s_mov_b32 s30, 0
                                        ; implicit-def: $sgpr31
	s_set_inst_prefetch_distance 0x1
	s_branch .LBB1423_307
	.p2align	6
.LBB1423_305:                           ;   in Loop: Header=BB1423_307 Depth=1
	global_load_u16 v21, v[19:20], off
	global_load_u16 v22, v[17:18], off
	v_add_co_u32 v17, vcc_lo, v17, 2
	v_add_co_ci_u32_e32 v18, vcc_lo, 0, v18, vcc_lo
	v_add_co_u32 v19, s2, v19, 2
	s_delay_alu instid0(VALU_DEP_1)
	v_add_co_ci_u32_e64 v20, s2, 0, v20, s2
	s_add_u32 s6, s6, 1
	s_addc_u32 s7, s7, 0
	s_and_not1_b32 s2, s31, exec_lo
	s_waitcnt vmcnt(0)
	v_cmp_ne_u16_e32 vcc_lo, v21, v22
	s_and_b32 s31, vcc_lo, exec_lo
	s_delay_alu instid0(SALU_CYCLE_1)
	s_or_b32 s31, s2, s31
.LBB1423_306:                           ;   in Loop: Header=BB1423_307 Depth=1
	v_dual_mov_b32 v22, s7 :: v_dual_mov_b32 v21, s6
	s_and_b32 s2, exec_lo, s31
	s_delay_alu instid0(SALU_CYCLE_1) | instskip(NEXT) | instid1(SALU_CYCLE_1)
	s_or_b32 s30, s2, s30
	s_and_not1_b32 exec_lo, exec_lo, s30
	s_cbranch_execz .LBB1423_309
.LBB1423_307:                           ; =>This Inner Loop Header: Depth=1
	s_or_b32 s31, s31, exec_lo
	s_cmp_eq_u64 s[4:5], s[6:7]
	s_cbranch_scc0 .LBB1423_305
; %bb.308:                              ;   in Loop: Header=BB1423_307 Depth=1
	s_mov_b64 s[6:7], s[22:23]
                                        ; implicit-def: $vgpr17_vgpr18
                                        ; implicit-def: $vgpr19_vgpr20
	s_branch .LBB1423_306
.LBB1423_309:
	s_set_inst_prefetch_distance 0x2
	s_or_b32 exec_lo, exec_lo, s30
	v_cmp_gt_i64_e32 vcc_lo, s[22:23], v[21:22]
	s_or_not1_b32 s2, vcc_lo, exec_lo
.LBB1423_310:
	s_or_b32 exec_lo, exec_lo, s27
.LBB1423_311:
	s_delay_alu instid0(SALU_CYCLE_1)
	s_and_b32 s27, s2, exec_lo
.LBB1423_312:
	s_or_b32 exec_lo, exec_lo, s29
	v_or_b32_e32 v17, 3, v39
	s_mov_b32 s30, 0
	s_mov_b32 s29, 0
	s_mov_b32 s31, exec_lo
	s_delay_alu instid0(VALU_DEP_1)
	v_cmpx_gt_u32_e64 s20, v17
	s_cbranch_execz .LBB1423_323
; %bb.313:
	s_and_not1_b32 vcc_lo, exec_lo, s3
	s_mov_b32 s2, 0
	s_cbranch_vccnz .LBB1423_322
; %bb.314:
	v_mul_lo_u32 v21, v10, s22
	v_mul_lo_u32 v22, v9, s23
	v_mad_u64_u32 v[17:18], null, v9, s22, 0
	v_mul_lo_u32 v23, v12, s22
	v_mul_lo_u32 v24, v11, s23
	v_mad_u64_u32 v[19:20], null, v11, s22, 0
	s_mov_b32 s2, -1
	s_mov_b32 s29, exec_lo
	s_delay_alu instid0(VALU_DEP_4) | instskip(NEXT) | instid1(VALU_DEP_2)
	v_add3_u32 v18, v18, v22, v21
	v_add3_u32 v20, v20, v24, v23
	s_delay_alu instid0(VALU_DEP_2) | instskip(NEXT) | instid1(VALU_DEP_2)
	v_lshlrev_b64 v[17:18], 1, v[17:18]
	v_lshlrev_b64 v[21:22], 1, v[19:20]
	s_delay_alu instid0(VALU_DEP_2) | instskip(NEXT) | instid1(VALU_DEP_3)
	v_add_co_u32 v19, vcc_lo, s8, v17
	v_add_co_ci_u32_e32 v20, vcc_lo, s9, v18, vcc_lo
	s_delay_alu instid0(VALU_DEP_3) | instskip(NEXT) | instid1(VALU_DEP_4)
	v_add_co_u32 v17, vcc_lo, s8, v21
	v_add_co_ci_u32_e32 v18, vcc_lo, s9, v22, vcc_lo
	s_clause 0x1
	global_load_u16 v21, v[19:20], off
	global_load_u16 v22, v[17:18], off
	s_waitcnt vmcnt(0)
	v_cmpx_eq_u16_e64 v21, v22
	s_cbranch_execz .LBB1423_321
; %bb.315:
	v_add_co_u32 v17, vcc_lo, v17, 2
	v_add_co_ci_u32_e32 v18, vcc_lo, 0, v18, vcc_lo
	v_add_co_u32 v19, vcc_lo, v19, 2
	v_add_co_ci_u32_e32 v20, vcc_lo, 0, v20, vcc_lo
	s_add_u32 s4, s22, -1
	s_addc_u32 s5, s23, -1
	s_mov_b64 s[6:7], 0
	s_mov_b32 s33, 0
                                        ; implicit-def: $sgpr34
	s_set_inst_prefetch_distance 0x1
	s_branch .LBB1423_318
	.p2align	6
.LBB1423_316:                           ;   in Loop: Header=BB1423_318 Depth=1
	global_load_u16 v21, v[19:20], off
	global_load_u16 v22, v[17:18], off
	v_add_co_u32 v17, vcc_lo, v17, 2
	v_add_co_ci_u32_e32 v18, vcc_lo, 0, v18, vcc_lo
	v_add_co_u32 v19, s2, v19, 2
	s_delay_alu instid0(VALU_DEP_1)
	v_add_co_ci_u32_e64 v20, s2, 0, v20, s2
	s_add_u32 s6, s6, 1
	s_addc_u32 s7, s7, 0
	s_and_not1_b32 s2, s34, exec_lo
	s_waitcnt vmcnt(0)
	v_cmp_ne_u16_e32 vcc_lo, v21, v22
	s_and_b32 s34, vcc_lo, exec_lo
	s_delay_alu instid0(SALU_CYCLE_1)
	s_or_b32 s34, s2, s34
.LBB1423_317:                           ;   in Loop: Header=BB1423_318 Depth=1
	v_dual_mov_b32 v22, s7 :: v_dual_mov_b32 v21, s6
	s_and_b32 s2, exec_lo, s34
	s_delay_alu instid0(SALU_CYCLE_1) | instskip(NEXT) | instid1(SALU_CYCLE_1)
	s_or_b32 s33, s2, s33
	s_and_not1_b32 exec_lo, exec_lo, s33
	s_cbranch_execz .LBB1423_320
.LBB1423_318:                           ; =>This Inner Loop Header: Depth=1
	s_or_b32 s34, s34, exec_lo
	s_cmp_eq_u64 s[4:5], s[6:7]
	s_cbranch_scc0 .LBB1423_316
; %bb.319:                              ;   in Loop: Header=BB1423_318 Depth=1
	s_mov_b64 s[6:7], s[22:23]
                                        ; implicit-def: $vgpr17_vgpr18
                                        ; implicit-def: $vgpr19_vgpr20
	s_branch .LBB1423_317
.LBB1423_320:
	s_set_inst_prefetch_distance 0x2
	s_or_b32 exec_lo, exec_lo, s33
	v_cmp_gt_i64_e32 vcc_lo, s[22:23], v[21:22]
	s_or_not1_b32 s2, vcc_lo, exec_lo
.LBB1423_321:
	s_or_b32 exec_lo, exec_lo, s29
.LBB1423_322:
	s_delay_alu instid0(SALU_CYCLE_1)
	s_and_b32 s29, s2, exec_lo
.LBB1423_323:
	s_or_b32 exec_lo, exec_lo, s31
	v_or_b32_e32 v17, 2, v39
	s_mov_b32 s31, exec_lo
	s_delay_alu instid0(VALU_DEP_1)
	v_cmpx_gt_u32_e64 s20, v17
	s_cbranch_execz .LBB1423_334
; %bb.324:
	s_and_not1_b32 vcc_lo, exec_lo, s3
	s_mov_b32 s2, 0
	s_cbranch_vccnz .LBB1423_333
; %bb.325:
	v_mul_lo_u32 v21, v16, s22
	v_mul_lo_u32 v22, v15, s23
	v_mad_u64_u32 v[17:18], null, v15, s22, 0
	v_mul_lo_u32 v23, v10, s22
	v_mul_lo_u32 v24, v9, s23
	v_mad_u64_u32 v[19:20], null, v9, s22, 0
	s_mov_b32 s2, -1
	s_mov_b32 s30, exec_lo
	s_delay_alu instid0(VALU_DEP_4) | instskip(NEXT) | instid1(VALU_DEP_2)
	v_add3_u32 v18, v18, v22, v21
	v_add3_u32 v20, v20, v24, v23
	s_delay_alu instid0(VALU_DEP_2) | instskip(NEXT) | instid1(VALU_DEP_2)
	v_lshlrev_b64 v[17:18], 1, v[17:18]
	v_lshlrev_b64 v[21:22], 1, v[19:20]
	s_delay_alu instid0(VALU_DEP_2) | instskip(NEXT) | instid1(VALU_DEP_3)
	v_add_co_u32 v19, vcc_lo, s8, v17
	v_add_co_ci_u32_e32 v20, vcc_lo, s9, v18, vcc_lo
	s_delay_alu instid0(VALU_DEP_3) | instskip(NEXT) | instid1(VALU_DEP_4)
	v_add_co_u32 v17, vcc_lo, s8, v21
	v_add_co_ci_u32_e32 v18, vcc_lo, s9, v22, vcc_lo
	s_clause 0x1
	global_load_u16 v21, v[19:20], off
	global_load_u16 v22, v[17:18], off
	s_waitcnt vmcnt(0)
	v_cmpx_eq_u16_e64 v21, v22
	s_cbranch_execz .LBB1423_332
; %bb.326:
	v_add_co_u32 v17, vcc_lo, v17, 2
	v_add_co_ci_u32_e32 v18, vcc_lo, 0, v18, vcc_lo
	v_add_co_u32 v19, vcc_lo, v19, 2
	v_add_co_ci_u32_e32 v20, vcc_lo, 0, v20, vcc_lo
	s_add_u32 s4, s22, -1
	s_addc_u32 s5, s23, -1
	s_mov_b64 s[6:7], 0
	s_mov_b32 s33, 0
                                        ; implicit-def: $sgpr34
	s_set_inst_prefetch_distance 0x1
	s_branch .LBB1423_329
	.p2align	6
.LBB1423_327:                           ;   in Loop: Header=BB1423_329 Depth=1
	global_load_u16 v21, v[19:20], off
	global_load_u16 v22, v[17:18], off
	v_add_co_u32 v17, vcc_lo, v17, 2
	v_add_co_ci_u32_e32 v18, vcc_lo, 0, v18, vcc_lo
	v_add_co_u32 v19, s2, v19, 2
	s_delay_alu instid0(VALU_DEP_1)
	v_add_co_ci_u32_e64 v20, s2, 0, v20, s2
	s_add_u32 s6, s6, 1
	s_addc_u32 s7, s7, 0
	s_and_not1_b32 s2, s34, exec_lo
	s_waitcnt vmcnt(0)
	v_cmp_ne_u16_e32 vcc_lo, v21, v22
	s_and_b32 s34, vcc_lo, exec_lo
	s_delay_alu instid0(SALU_CYCLE_1)
	s_or_b32 s34, s2, s34
.LBB1423_328:                           ;   in Loop: Header=BB1423_329 Depth=1
	v_dual_mov_b32 v22, s7 :: v_dual_mov_b32 v21, s6
	s_and_b32 s2, exec_lo, s34
	s_delay_alu instid0(SALU_CYCLE_1) | instskip(NEXT) | instid1(SALU_CYCLE_1)
	s_or_b32 s33, s2, s33
	s_and_not1_b32 exec_lo, exec_lo, s33
	s_cbranch_execz .LBB1423_331
.LBB1423_329:                           ; =>This Inner Loop Header: Depth=1
	s_or_b32 s34, s34, exec_lo
	s_cmp_eq_u64 s[4:5], s[6:7]
	s_cbranch_scc0 .LBB1423_327
; %bb.330:                              ;   in Loop: Header=BB1423_329 Depth=1
	s_mov_b64 s[6:7], s[22:23]
                                        ; implicit-def: $vgpr17_vgpr18
                                        ; implicit-def: $vgpr19_vgpr20
	s_branch .LBB1423_328
.LBB1423_331:
	s_set_inst_prefetch_distance 0x2
	s_or_b32 exec_lo, exec_lo, s33
	v_cmp_gt_i64_e32 vcc_lo, s[22:23], v[21:22]
	s_or_not1_b32 s2, vcc_lo, exec_lo
.LBB1423_332:
	s_or_b32 exec_lo, exec_lo, s30
.LBB1423_333:
	s_delay_alu instid0(SALU_CYCLE_1)
	s_and_b32 s30, s2, exec_lo
.LBB1423_334:
	s_or_b32 exec_lo, exec_lo, s31
	v_or_b32_e32 v17, 1, v39
	s_mov_b32 s2, 0
	s_mov_b32 s31, exec_lo
	s_delay_alu instid0(VALU_DEP_1)
	v_cmpx_gt_u32_e64 s20, v17
	s_cbranch_execz .LBB1423_345
; %bb.335:
	s_and_not1_b32 vcc_lo, exec_lo, s3
	s_cbranch_vccnz .LBB1423_344
; %bb.336:
	v_mul_lo_u32 v21, v14, s22
	v_mul_lo_u32 v22, v13, s23
	v_mad_u64_u32 v[17:18], null, v13, s22, 0
	v_mul_lo_u32 v23, v16, s22
	v_mul_lo_u32 v24, v15, s23
	v_mad_u64_u32 v[19:20], null, v15, s22, 0
	s_mov_b32 s2, -1
	s_mov_b32 s33, exec_lo
	s_delay_alu instid0(VALU_DEP_4) | instskip(NEXT) | instid1(VALU_DEP_2)
	v_add3_u32 v18, v18, v22, v21
	v_add3_u32 v20, v20, v24, v23
	s_delay_alu instid0(VALU_DEP_2) | instskip(NEXT) | instid1(VALU_DEP_2)
	v_lshlrev_b64 v[17:18], 1, v[17:18]
	v_lshlrev_b64 v[21:22], 1, v[19:20]
	s_delay_alu instid0(VALU_DEP_2) | instskip(NEXT) | instid1(VALU_DEP_3)
	v_add_co_u32 v19, vcc_lo, s8, v17
	v_add_co_ci_u32_e32 v20, vcc_lo, s9, v18, vcc_lo
	s_delay_alu instid0(VALU_DEP_3) | instskip(NEXT) | instid1(VALU_DEP_4)
	v_add_co_u32 v17, vcc_lo, s8, v21
	v_add_co_ci_u32_e32 v18, vcc_lo, s9, v22, vcc_lo
	s_clause 0x1
	global_load_u16 v21, v[19:20], off
	global_load_u16 v22, v[17:18], off
	s_waitcnt vmcnt(0)
	v_cmpx_eq_u16_e64 v21, v22
	s_cbranch_execz .LBB1423_343
; %bb.337:
	v_add_co_u32 v17, vcc_lo, v17, 2
	v_add_co_ci_u32_e32 v18, vcc_lo, 0, v18, vcc_lo
	v_add_co_u32 v19, vcc_lo, v19, 2
	v_add_co_ci_u32_e32 v20, vcc_lo, 0, v20, vcc_lo
	s_add_u32 s4, s22, -1
	s_addc_u32 s5, s23, -1
	s_mov_b64 s[6:7], 0
	s_mov_b32 s34, 0
                                        ; implicit-def: $sgpr35
	s_set_inst_prefetch_distance 0x1
	s_branch .LBB1423_340
	.p2align	6
.LBB1423_338:                           ;   in Loop: Header=BB1423_340 Depth=1
	global_load_u16 v21, v[19:20], off
	global_load_u16 v22, v[17:18], off
	v_add_co_u32 v17, vcc_lo, v17, 2
	v_add_co_ci_u32_e32 v18, vcc_lo, 0, v18, vcc_lo
	v_add_co_u32 v19, s2, v19, 2
	s_delay_alu instid0(VALU_DEP_1)
	v_add_co_ci_u32_e64 v20, s2, 0, v20, s2
	s_add_u32 s6, s6, 1
	s_addc_u32 s7, s7, 0
	s_and_not1_b32 s2, s35, exec_lo
	s_waitcnt vmcnt(0)
	v_cmp_ne_u16_e32 vcc_lo, v21, v22
	s_and_b32 s35, vcc_lo, exec_lo
	s_delay_alu instid0(SALU_CYCLE_1)
	s_or_b32 s35, s2, s35
.LBB1423_339:                           ;   in Loop: Header=BB1423_340 Depth=1
	v_dual_mov_b32 v22, s7 :: v_dual_mov_b32 v21, s6
	s_and_b32 s2, exec_lo, s35
	s_delay_alu instid0(SALU_CYCLE_1) | instskip(NEXT) | instid1(SALU_CYCLE_1)
	s_or_b32 s34, s2, s34
	s_and_not1_b32 exec_lo, exec_lo, s34
	s_cbranch_execz .LBB1423_342
.LBB1423_340:                           ; =>This Inner Loop Header: Depth=1
	s_or_b32 s35, s35, exec_lo
	s_cmp_eq_u64 s[4:5], s[6:7]
	s_cbranch_scc0 .LBB1423_338
; %bb.341:                              ;   in Loop: Header=BB1423_340 Depth=1
	s_mov_b64 s[6:7], s[22:23]
                                        ; implicit-def: $vgpr17_vgpr18
                                        ; implicit-def: $vgpr19_vgpr20
	s_branch .LBB1423_339
.LBB1423_342:
	s_set_inst_prefetch_distance 0x2
	s_or_b32 exec_lo, exec_lo, s34
	v_cmp_gt_i64_e32 vcc_lo, s[22:23], v[21:22]
	s_or_not1_b32 s2, vcc_lo, exec_lo
.LBB1423_343:
	s_or_b32 exec_lo, exec_lo, s33
.LBB1423_344:
	s_delay_alu instid0(SALU_CYCLE_1)
	s_and_b32 s2, s2, exec_lo
.LBB1423_345:
	s_or_b32 exec_lo, exec_lo, s31
	v_cndmask_b32_e64 v18, 0, 1, s29
	v_cndmask_b32_e64 v19, 0, 1, s28
	;; [unrolled: 1-line block ×7, first 2 shown]
	v_lshlrev_b16 v19, 8, v19
	v_lshlrev_b16 v20, 8, v20
	;; [unrolled: 1-line block ×4, first 2 shown]
	s_mov_b32 s19, exec_lo
	v_or_b32_e32 v19, v22, v19
	v_or_b32_e32 v20, v23, v20
	;; [unrolled: 1-line block ×4, first 2 shown]
	s_delay_alu instid0(VALU_DEP_4) | instskip(NEXT) | instid1(VALU_DEP_4)
	v_and_b32_e32 v18, 0xffff, v19
	v_lshlrev_b32_e32 v19, 16, v20
	s_delay_alu instid0(VALU_DEP_4) | instskip(NEXT) | instid1(VALU_DEP_4)
	v_and_b32_e32 v20, 0xffff, v21
	v_lshlrev_b32_e32 v17, 16, v17
	s_barrier
	buffer_gl0_inv
	v_or_b32_e32 v18, v18, v19
                                        ; implicit-def: $sgpr2
	v_or_b32_e32 v17, v20, v17
	v_cmpx_ne_u32_e32 0, v0
	s_cbranch_execz .LBB1423_358
; %bb.346:
	s_mov_b32 s2, 0
	s_mov_b32 s26, exec_lo
	v_cmpx_gt_u32_e64 s20, v39
	s_cbranch_execz .LBB1423_357
; %bb.347:
	s_and_not1_b32 vcc_lo, exec_lo, s3
	s_cbranch_vccnz .LBB1423_356
; %bb.348:
	v_add_nc_u32_e32 v19, -8, v39
	v_mul_lo_u32 v26, v13, s23
	v_mad_u64_u32 v[22:23], null, v13, s22, 0
	s_mov_b32 s2, -1
	ds_load_b64 v[19:20], v19
	s_mov_b32 s3, exec_lo
	s_waitcnt lgkmcnt(0)
	v_mul_lo_u32 v24, v20, s22
	v_mul_lo_u32 v25, v19, s23
	v_mad_u64_u32 v[20:21], null, v19, s22, 0
	v_mul_lo_u32 v19, v14, s22
	s_delay_alu instid0(VALU_DEP_2) | instskip(NEXT) | instid1(VALU_DEP_2)
	v_add3_u32 v21, v21, v25, v24
	v_add3_u32 v23, v23, v26, v19
	s_delay_alu instid0(VALU_DEP_2) | instskip(NEXT) | instid1(VALU_DEP_2)
	v_lshlrev_b64 v[19:20], 1, v[20:21]
	v_lshlrev_b64 v[23:24], 1, v[22:23]
	s_delay_alu instid0(VALU_DEP_2) | instskip(NEXT) | instid1(VALU_DEP_3)
	v_add_co_u32 v21, vcc_lo, s8, v19
	v_add_co_ci_u32_e32 v22, vcc_lo, s9, v20, vcc_lo
	s_delay_alu instid0(VALU_DEP_3) | instskip(NEXT) | instid1(VALU_DEP_4)
	v_add_co_u32 v19, vcc_lo, s8, v23
	v_add_co_ci_u32_e32 v20, vcc_lo, s9, v24, vcc_lo
	s_clause 0x1
	global_load_u16 v23, v[21:22], off
	global_load_u16 v24, v[19:20], off
	s_waitcnt vmcnt(0)
	v_cmpx_eq_u16_e64 v23, v24
	s_cbranch_execz .LBB1423_355
; %bb.349:
	v_add_co_u32 v19, vcc_lo, v19, 2
	v_add_co_ci_u32_e32 v20, vcc_lo, 0, v20, vcc_lo
	v_add_co_u32 v21, vcc_lo, v21, 2
	v_add_co_ci_u32_e32 v22, vcc_lo, 0, v22, vcc_lo
	s_add_u32 s4, s22, -1
	s_addc_u32 s5, s23, -1
	s_mov_b64 s[6:7], 0
	s_mov_b32 s8, 0
                                        ; implicit-def: $sgpr9
	s_set_inst_prefetch_distance 0x1
	s_branch .LBB1423_352
	.p2align	6
.LBB1423_350:                           ;   in Loop: Header=BB1423_352 Depth=1
	global_load_u16 v23, v[21:22], off
	global_load_u16 v24, v[19:20], off
	v_add_co_u32 v19, vcc_lo, v19, 2
	v_add_co_ci_u32_e32 v20, vcc_lo, 0, v20, vcc_lo
	v_add_co_u32 v21, s2, v21, 2
	s_delay_alu instid0(VALU_DEP_1)
	v_add_co_ci_u32_e64 v22, s2, 0, v22, s2
	s_add_u32 s6, s6, 1
	s_addc_u32 s7, s7, 0
	s_and_not1_b32 s2, s9, exec_lo
	s_waitcnt vmcnt(0)
	v_cmp_ne_u16_e32 vcc_lo, v23, v24
	s_and_b32 s9, vcc_lo, exec_lo
	s_delay_alu instid0(SALU_CYCLE_1)
	s_or_b32 s9, s2, s9
.LBB1423_351:                           ;   in Loop: Header=BB1423_352 Depth=1
	v_dual_mov_b32 v24, s7 :: v_dual_mov_b32 v23, s6
	s_and_b32 s2, exec_lo, s9
	s_delay_alu instid0(SALU_CYCLE_1) | instskip(NEXT) | instid1(SALU_CYCLE_1)
	s_or_b32 s8, s2, s8
	s_and_not1_b32 exec_lo, exec_lo, s8
	s_cbranch_execz .LBB1423_354
.LBB1423_352:                           ; =>This Inner Loop Header: Depth=1
	s_or_b32 s9, s9, exec_lo
	s_cmp_eq_u64 s[4:5], s[6:7]
	s_cbranch_scc0 .LBB1423_350
; %bb.353:                              ;   in Loop: Header=BB1423_352 Depth=1
	s_mov_b64 s[6:7], s[22:23]
                                        ; implicit-def: $vgpr19_vgpr20
                                        ; implicit-def: $vgpr21_vgpr22
	s_branch .LBB1423_351
.LBB1423_354:
	s_set_inst_prefetch_distance 0x2
	s_or_b32 exec_lo, exec_lo, s8
	v_cmp_gt_i64_e32 vcc_lo, s[22:23], v[23:24]
	s_or_not1_b32 s2, vcc_lo, exec_lo
.LBB1423_355:
	s_or_b32 exec_lo, exec_lo, s3
.LBB1423_356:
	s_delay_alu instid0(SALU_CYCLE_1)
	s_and_b32 s2, s2, exec_lo
.LBB1423_357:
	s_or_b32 exec_lo, exec_lo, s26
	s_delay_alu instid0(SALU_CYCLE_1)
	s_and_b32 s2, s2, exec_lo
	s_or_b32 s18, s18, exec_lo
.LBB1423_358:
	s_or_b32 exec_lo, exec_lo, s19
.LBB1423_359:
	s_and_saveexec_b32 s3, s18
	s_cbranch_execz .LBB1423_361
; %bb.360:
	s_waitcnt lgkmcnt(0)
	v_and_b32_e32 v19, 0xffffff00, v17
	v_cndmask_b32_e64 v20, 0, 1, s2
	s_delay_alu instid0(VALU_DEP_1) | instskip(NEXT) | instid1(VALU_DEP_1)
	v_or_b32_e32 v19, v20, v19
	v_and_b32_e32 v19, 0xffff, v19
	s_delay_alu instid0(VALU_DEP_1)
	v_and_or_b32 v17, 0xffff0000, v17, v19
.LBB1423_361:
	s_or_b32 exec_lo, exec_lo, s3
	s_delay_alu instid0(SALU_CYCLE_1)
	s_and_not1_b32 vcc_lo, exec_lo, s24
	s_cbranch_vccnz .LBB1423_363
; %bb.362:
	v_cmp_gt_u32_e32 vcc_lo, s20, v39
	s_waitcnt lgkmcnt(0)
	v_or_b32_e32 v20, 1, v39
	v_and_b32_e32 v21, 0xffffff00, v18
	v_or_b32_e32 v22, 2, v39
	v_cndmask_b32_e32 v19, 0, v17, vcc_lo
	s_delay_alu instid0(VALU_DEP_4) | instskip(SKIP_1) | instid1(VALU_DEP_4)
	v_cmp_gt_u32_e32 vcc_lo, s20, v20
	v_or_b32_e32 v20, 4, v39
	v_cmp_gt_u32_e64 s2, s20, v22
	v_or_b32_e32 v22, 3, v39
	v_and_b32_e32 v19, 0xff, v19
	s_delay_alu instid0(VALU_DEP_2) | instskip(NEXT) | instid1(VALU_DEP_2)
	v_cmp_gt_u32_e64 s3, s20, v22
	v_cndmask_b32_e32 v19, v19, v17, vcc_lo
	v_cmp_gt_u32_e32 vcc_lo, s20, v20
	v_cndmask_b32_e32 v20, v21, v18, vcc_lo
	v_or_b32_e32 v21, 5, v39
	s_delay_alu instid0(VALU_DEP_2) | instskip(SKIP_1) | instid1(VALU_DEP_1)
	v_and_b32_e32 v20, 0xffff00ff, v20
	v_and_b32_e32 v19, 0xffff, v19
	v_cndmask_b32_e64 v19, v19, v17, s2
	s_delay_alu instid0(VALU_DEP_4) | instskip(SKIP_1) | instid1(VALU_DEP_3)
	v_cmp_gt_u32_e64 s2, s20, v21
	v_or_b32_e32 v21, 6, v39
	v_and_b32_e32 v19, 0xffffff, v19
	s_delay_alu instid0(VALU_DEP_3) | instskip(NEXT) | instid1(VALU_DEP_2)
	v_cndmask_b32_e64 v20, v20, v18, s2
	v_cndmask_b32_e64 v19, v19, v17, s3
	s_delay_alu instid0(VALU_DEP_1) | instskip(SKIP_2) | instid1(VALU_DEP_3)
	v_dual_cndmask_b32 v19, v19, v17 :: v_dual_and_b32 v20, 0xff00ffff, v20
	v_cmp_gt_u32_e32 vcc_lo, s20, v21
	v_or_b32_e32 v21, 7, v39
	v_cndmask_b32_e64 v19, v19, v17, s2
	s_delay_alu instid0(VALU_DEP_1) | instskip(NEXT) | instid1(VALU_DEP_1)
	v_dual_cndmask_b32 v20, v20, v18 :: v_dual_cndmask_b32 v19, v19, v17
	v_and_b32_e32 v20, 0xffffff, v20
	s_delay_alu instid0(VALU_DEP_4) | instskip(NEXT) | instid1(VALU_DEP_2)
	v_cmp_gt_u32_e32 vcc_lo, s20, v21
	v_dual_cndmask_b32 v18, v20, v18 :: v_dual_cndmask_b32 v17, v19, v17
.LBB1423_363:
	s_delay_alu instid0(VALU_DEP_1) | instskip(SKIP_1) | instid1(VALU_DEP_2)
	v_and_b32_e32 v26, 0xff, v17
	s_waitcnt lgkmcnt(0)
	v_alignbit_b32 v19, v18, v17, 24
	v_bfe_u32 v28, v17, 8, 8
	v_bfe_u32 v30, v17, 16, 8
	v_and_b32_e32 v34, 0xff, v18
	v_bfe_u32 v36, v18, 8, 8
	v_and_b32_e32 v32, 0xff, v19
	v_add_nc_u32_e32 v19, v28, v26
	v_mbcnt_lo_u32_b32 v41, -1, 0
	v_bfe_u32 v38, v18, 16, 8
	v_lshrrev_b32_e32 v40, 24, v18
	v_lshrrev_b32_e32 v42, 5, v0
	v_add3_u32 v19, v19, v30, v32
	v_and_b32_e32 v20, 15, v41
	v_and_b32_e32 v21, 16, v41
	s_and_b32 vcc_lo, exec_lo, s25
	s_mov_b32 s18, -1
	v_add3_u32 v19, v19, v34, v36
	v_cmp_eq_u32_e64 s4, 0, v20
	v_cmp_lt_u32_e64 s2, 1, v20
	v_cmp_lt_u32_e64 s5, 3, v20
	;; [unrolled: 1-line block ×3, first 2 shown]
	v_add3_u32 v43, v19, v38, v40
	v_or_b32_e32 v19, 31, v0
	v_cmp_eq_u32_e64 s7, 0, v21
	s_barrier
	buffer_gl0_inv
	v_cmp_eq_u32_e64 s6, v19, v0
	s_cbranch_vccz .LBB1423_389
; %bb.364:
	v_mov_b32_dpp v19, v43 row_shr:1 row_mask:0xf bank_mask:0xf
	s_delay_alu instid0(VALU_DEP_1) | instskip(NEXT) | instid1(VALU_DEP_1)
	v_cndmask_b32_e64 v19, v19, 0, s4
	v_add_nc_u32_e32 v19, v19, v43
	s_delay_alu instid0(VALU_DEP_1) | instskip(NEXT) | instid1(VALU_DEP_1)
	v_mov_b32_dpp v20, v19 row_shr:2 row_mask:0xf bank_mask:0xf
	v_cndmask_b32_e64 v20, 0, v20, s2
	s_delay_alu instid0(VALU_DEP_1) | instskip(NEXT) | instid1(VALU_DEP_1)
	v_add_nc_u32_e32 v19, v19, v20
	v_mov_b32_dpp v20, v19 row_shr:4 row_mask:0xf bank_mask:0xf
	s_delay_alu instid0(VALU_DEP_1) | instskip(NEXT) | instid1(VALU_DEP_1)
	v_cndmask_b32_e64 v20, 0, v20, s5
	v_add_nc_u32_e32 v19, v19, v20
	s_delay_alu instid0(VALU_DEP_1) | instskip(NEXT) | instid1(VALU_DEP_1)
	v_mov_b32_dpp v20, v19 row_shr:8 row_mask:0xf bank_mask:0xf
	v_cndmask_b32_e64 v20, 0, v20, s3
	s_delay_alu instid0(VALU_DEP_1) | instskip(SKIP_3) | instid1(VALU_DEP_1)
	v_add_nc_u32_e32 v19, v19, v20
	ds_swizzle_b32 v20, v19 offset:swizzle(BROADCAST,32,15)
	s_waitcnt lgkmcnt(0)
	v_cndmask_b32_e64 v20, v20, 0, s7
	v_add_nc_u32_e32 v19, v19, v20
	s_and_saveexec_b32 s8, s6
	s_cbranch_execz .LBB1423_366
; %bb.365:
	v_lshlrev_b32_e32 v20, 2, v42
	ds_store_b32 v20, v19
.LBB1423_366:
	s_or_b32 exec_lo, exec_lo, s8
	s_delay_alu instid0(SALU_CYCLE_1)
	s_mov_b32 s8, exec_lo
	s_waitcnt lgkmcnt(0)
	s_barrier
	buffer_gl0_inv
	v_cmpx_gt_u32_e32 16, v0
	s_cbranch_execz .LBB1423_368
; %bb.367:
	v_lshlrev_b32_e32 v20, 2, v0
	ds_load_b32 v21, v20
	s_waitcnt lgkmcnt(0)
	v_mov_b32_dpp v22, v21 row_shr:1 row_mask:0xf bank_mask:0xf
	s_delay_alu instid0(VALU_DEP_1) | instskip(NEXT) | instid1(VALU_DEP_1)
	v_cndmask_b32_e64 v22, v22, 0, s4
	v_add_nc_u32_e32 v21, v22, v21
	s_delay_alu instid0(VALU_DEP_1) | instskip(NEXT) | instid1(VALU_DEP_1)
	v_mov_b32_dpp v22, v21 row_shr:2 row_mask:0xf bank_mask:0xf
	v_cndmask_b32_e64 v22, 0, v22, s2
	s_delay_alu instid0(VALU_DEP_1) | instskip(NEXT) | instid1(VALU_DEP_1)
	v_add_nc_u32_e32 v21, v21, v22
	v_mov_b32_dpp v22, v21 row_shr:4 row_mask:0xf bank_mask:0xf
	s_delay_alu instid0(VALU_DEP_1) | instskip(NEXT) | instid1(VALU_DEP_1)
	v_cndmask_b32_e64 v22, 0, v22, s5
	v_add_nc_u32_e32 v21, v21, v22
	s_delay_alu instid0(VALU_DEP_1) | instskip(NEXT) | instid1(VALU_DEP_1)
	v_mov_b32_dpp v22, v21 row_shr:8 row_mask:0xf bank_mask:0xf
	v_cndmask_b32_e64 v22, 0, v22, s3
	s_delay_alu instid0(VALU_DEP_1)
	v_add_nc_u32_e32 v21, v21, v22
	ds_store_b32 v20, v21
.LBB1423_368:
	s_or_b32 exec_lo, exec_lo, s8
	v_cmp_gt_u32_e32 vcc_lo, 32, v0
	s_mov_b32 s9, exec_lo
	s_waitcnt lgkmcnt(0)
	s_barrier
	buffer_gl0_inv
                                        ; implicit-def: $vgpr27
	v_cmpx_lt_u32_e32 31, v0
	s_cbranch_execz .LBB1423_370
; %bb.369:
	v_lshl_add_u32 v20, v42, 2, -4
	ds_load_b32 v27, v20
	s_waitcnt lgkmcnt(0)
	v_add_nc_u32_e32 v19, v27, v19
.LBB1423_370:
	s_or_b32 exec_lo, exec_lo, s9
	v_add_nc_u32_e32 v20, -1, v41
	s_delay_alu instid0(VALU_DEP_1) | instskip(NEXT) | instid1(VALU_DEP_1)
	v_cmp_gt_i32_e64 s8, 0, v20
	v_cndmask_b32_e64 v20, v20, v41, s8
	v_cmp_eq_u32_e64 s8, 0, v41
	s_delay_alu instid0(VALU_DEP_2)
	v_lshlrev_b32_e32 v20, 2, v20
	ds_bpermute_b32 v29, v20, v19
	s_and_saveexec_b32 s9, vcc_lo
	s_cbranch_execz .LBB1423_388
; %bb.371:
	v_mov_b32_e32 v22, 0
	ds_load_b32 v19, v22 offset:60
	s_and_saveexec_b32 s18, s8
	s_cbranch_execz .LBB1423_373
; %bb.372:
	s_add_i32 s22, s15, 32
	s_mov_b32 s23, 0
	v_mov_b32_e32 v20, 1
	s_lshl_b64 s[22:23], s[22:23], 3
	s_delay_alu instid0(SALU_CYCLE_1)
	s_add_u32 s22, s10, s22
	s_addc_u32 s23, s11, s23
	s_waitcnt lgkmcnt(0)
	global_store_b64 v22, v[19:20], s[22:23]
.LBB1423_373:
	s_or_b32 exec_lo, exec_lo, s18
	v_xad_u32 v20, v41, -1, s15
	s_mov_b32 s19, 0
	s_mov_b32 s18, exec_lo
	s_delay_alu instid0(VALU_DEP_1) | instskip(NEXT) | instid1(VALU_DEP_1)
	v_add_nc_u32_e32 v21, 32, v20
	v_lshlrev_b64 v[21:22], 3, v[21:22]
	s_delay_alu instid0(VALU_DEP_1) | instskip(NEXT) | instid1(VALU_DEP_2)
	v_add_co_u32 v24, vcc_lo, s10, v21
	v_add_co_ci_u32_e32 v25, vcc_lo, s11, v22, vcc_lo
	global_load_b64 v[22:23], v[24:25], off glc
	s_waitcnt vmcnt(0)
	v_and_b32_e32 v21, 0xff, v23
	s_delay_alu instid0(VALU_DEP_1)
	v_cmpx_eq_u16_e32 0, v21
	s_cbranch_execz .LBB1423_376
.LBB1423_374:                           ; =>This Inner Loop Header: Depth=1
	global_load_b64 v[22:23], v[24:25], off glc
	s_waitcnt vmcnt(0)
	v_and_b32_e32 v21, 0xff, v23
	s_delay_alu instid0(VALU_DEP_1) | instskip(SKIP_1) | instid1(SALU_CYCLE_1)
	v_cmp_ne_u16_e32 vcc_lo, 0, v21
	s_or_b32 s19, vcc_lo, s19
	s_and_not1_b32 exec_lo, exec_lo, s19
	s_cbranch_execnz .LBB1423_374
; %bb.375:
	s_or_b32 exec_lo, exec_lo, s19
.LBB1423_376:
	s_delay_alu instid0(SALU_CYCLE_1)
	s_or_b32 exec_lo, exec_lo, s18
	v_cmp_ne_u32_e32 vcc_lo, 31, v41
	v_lshlrev_b32_e64 v33, v41, -1
	v_add_nc_u32_e32 v37, 2, v41
	v_add_nc_u32_e32 v46, 4, v41
	;; [unrolled: 1-line block ×3, first 2 shown]
	v_add_co_ci_u32_e32 v21, vcc_lo, 0, v41, vcc_lo
	v_add_nc_u32_e32 v50, 16, v41
	s_delay_alu instid0(VALU_DEP_2)
	v_lshlrev_b32_e32 v31, 2, v21
	v_and_b32_e32 v21, 0xff, v23
	ds_bpermute_b32 v24, v31, v22
	v_cmp_eq_u16_e32 vcc_lo, 2, v21
	v_and_or_b32 v21, vcc_lo, v33, 0x80000000
	v_cmp_gt_u32_e32 vcc_lo, 30, v41
	s_delay_alu instid0(VALU_DEP_2) | instskip(SKIP_1) | instid1(VALU_DEP_2)
	v_ctz_i32_b32_e32 v21, v21
	v_cndmask_b32_e64 v25, 0, 1, vcc_lo
	v_cmp_lt_u32_e32 vcc_lo, v41, v21
	s_waitcnt lgkmcnt(0)
	s_delay_alu instid0(VALU_DEP_2) | instskip(NEXT) | instid1(VALU_DEP_1)
	v_dual_cndmask_b32 v24, 0, v24 :: v_dual_lshlrev_b32 v25, 1, v25
	v_add_lshl_u32 v35, v25, v41, 2
	v_cmp_gt_u32_e32 vcc_lo, 28, v41
	s_delay_alu instid0(VALU_DEP_3) | instskip(SKIP_4) | instid1(VALU_DEP_1)
	v_add_nc_u32_e32 v22, v24, v22
	v_cndmask_b32_e64 v25, 0, 1, vcc_lo
	v_cmp_le_u32_e32 vcc_lo, v37, v21
	ds_bpermute_b32 v24, v35, v22
	v_lshlrev_b32_e32 v25, 2, v25
	v_add_lshl_u32 v44, v25, v41, 2
	s_waitcnt lgkmcnt(0)
	v_cndmask_b32_e32 v24, 0, v24, vcc_lo
	v_cmp_gt_u32_e32 vcc_lo, 24, v41
	s_delay_alu instid0(VALU_DEP_2) | instskip(SKIP_4) | instid1(VALU_DEP_1)
	v_add_nc_u32_e32 v22, v22, v24
	v_cndmask_b32_e64 v25, 0, 1, vcc_lo
	v_cmp_le_u32_e32 vcc_lo, v46, v21
	ds_bpermute_b32 v24, v44, v22
	v_lshlrev_b32_e32 v25, 3, v25
	v_add_lshl_u32 v47, v25, v41, 2
	s_waitcnt lgkmcnt(0)
	v_cndmask_b32_e32 v24, 0, v24, vcc_lo
	v_cmp_gt_u32_e32 vcc_lo, 16, v41
	s_delay_alu instid0(VALU_DEP_2) | instskip(SKIP_4) | instid1(VALU_DEP_1)
	v_add_nc_u32_e32 v22, v22, v24
	v_cndmask_b32_e64 v25, 0, 1, vcc_lo
	v_cmp_le_u32_e32 vcc_lo, v48, v21
	ds_bpermute_b32 v24, v47, v22
	v_lshlrev_b32_e32 v25, 4, v25
	v_add_lshl_u32 v49, v25, v41, 2
	s_waitcnt lgkmcnt(0)
	v_cndmask_b32_e32 v24, 0, v24, vcc_lo
	v_cmp_le_u32_e32 vcc_lo, v50, v21
	s_delay_alu instid0(VALU_DEP_2) | instskip(SKIP_3) | instid1(VALU_DEP_1)
	v_add_nc_u32_e32 v22, v22, v24
	ds_bpermute_b32 v24, v49, v22
	s_waitcnt lgkmcnt(0)
	v_cndmask_b32_e32 v21, 0, v24, vcc_lo
	v_dual_mov_b32 v21, 0 :: v_dual_add_nc_u32 v22, v22, v21
	s_branch .LBB1423_378
.LBB1423_377:                           ;   in Loop: Header=BB1423_378 Depth=1
	s_or_b32 exec_lo, exec_lo, s18
	ds_bpermute_b32 v25, v31, v22
	v_and_b32_e32 v24, 0xff, v23
	v_subrev_nc_u32_e32 v20, 32, v20
	s_delay_alu instid0(VALU_DEP_2) | instskip(SKIP_1) | instid1(VALU_DEP_1)
	v_cmp_eq_u16_e32 vcc_lo, 2, v24
	v_and_or_b32 v24, vcc_lo, v33, 0x80000000
	v_ctz_i32_b32_e32 v24, v24
	s_delay_alu instid0(VALU_DEP_1) | instskip(SKIP_3) | instid1(VALU_DEP_2)
	v_cmp_lt_u32_e32 vcc_lo, v41, v24
	s_waitcnt lgkmcnt(0)
	v_cndmask_b32_e32 v25, 0, v25, vcc_lo
	v_cmp_le_u32_e32 vcc_lo, v37, v24
	v_add_nc_u32_e32 v22, v25, v22
	ds_bpermute_b32 v25, v35, v22
	s_waitcnt lgkmcnt(0)
	v_cndmask_b32_e32 v25, 0, v25, vcc_lo
	v_cmp_le_u32_e32 vcc_lo, v46, v24
	s_delay_alu instid0(VALU_DEP_2) | instskip(SKIP_4) | instid1(VALU_DEP_2)
	v_add_nc_u32_e32 v22, v22, v25
	ds_bpermute_b32 v25, v44, v22
	s_waitcnt lgkmcnt(0)
	v_cndmask_b32_e32 v25, 0, v25, vcc_lo
	v_cmp_le_u32_e32 vcc_lo, v48, v24
	v_add_nc_u32_e32 v22, v22, v25
	ds_bpermute_b32 v25, v47, v22
	s_waitcnt lgkmcnt(0)
	v_cndmask_b32_e32 v25, 0, v25, vcc_lo
	v_cmp_le_u32_e32 vcc_lo, v50, v24
	s_delay_alu instid0(VALU_DEP_2) | instskip(SKIP_3) | instid1(VALU_DEP_1)
	v_add_nc_u32_e32 v22, v22, v25
	ds_bpermute_b32 v25, v49, v22
	s_waitcnt lgkmcnt(0)
	v_cndmask_b32_e32 v24, 0, v25, vcc_lo
	v_add3_u32 v22, v24, v45, v22
.LBB1423_378:                           ; =>This Loop Header: Depth=1
                                        ;     Child Loop BB1423_381 Depth 2
	v_and_b32_e32 v23, 0xff, v23
	s_delay_alu instid0(VALU_DEP_2) | instskip(NEXT) | instid1(VALU_DEP_2)
	v_mov_b32_e32 v45, v22
	v_cmp_ne_u16_e32 vcc_lo, 2, v23
	v_cndmask_b32_e64 v23, 0, 1, vcc_lo
	;;#ASMSTART
	;;#ASMEND
	s_delay_alu instid0(VALU_DEP_1)
	v_cmp_ne_u32_e32 vcc_lo, 0, v23
	s_cmp_lg_u32 vcc_lo, exec_lo
	s_cbranch_scc1 .LBB1423_383
; %bb.379:                              ;   in Loop: Header=BB1423_378 Depth=1
	v_lshlrev_b64 v[22:23], 3, v[20:21]
	s_mov_b32 s18, exec_lo
	s_delay_alu instid0(VALU_DEP_1) | instskip(NEXT) | instid1(VALU_DEP_2)
	v_add_co_u32 v24, vcc_lo, s10, v22
	v_add_co_ci_u32_e32 v25, vcc_lo, s11, v23, vcc_lo
	global_load_b64 v[22:23], v[24:25], off glc
	s_waitcnt vmcnt(0)
	v_and_b32_e32 v51, 0xff, v23
	s_delay_alu instid0(VALU_DEP_1)
	v_cmpx_eq_u16_e32 0, v51
	s_cbranch_execz .LBB1423_377
; %bb.380:                              ;   in Loop: Header=BB1423_378 Depth=1
	s_mov_b32 s19, 0
.LBB1423_381:                           ;   Parent Loop BB1423_378 Depth=1
                                        ; =>  This Inner Loop Header: Depth=2
	global_load_b64 v[22:23], v[24:25], off glc
	s_waitcnt vmcnt(0)
	v_and_b32_e32 v51, 0xff, v23
	s_delay_alu instid0(VALU_DEP_1) | instskip(SKIP_1) | instid1(SALU_CYCLE_1)
	v_cmp_ne_u16_e32 vcc_lo, 0, v51
	s_or_b32 s19, vcc_lo, s19
	s_and_not1_b32 exec_lo, exec_lo, s19
	s_cbranch_execnz .LBB1423_381
; %bb.382:                              ;   in Loop: Header=BB1423_378 Depth=1
	s_or_b32 exec_lo, exec_lo, s19
	s_branch .LBB1423_377
.LBB1423_383:                           ;   in Loop: Header=BB1423_378 Depth=1
                                        ; implicit-def: $vgpr22
                                        ; implicit-def: $vgpr23
	s_cbranch_execz .LBB1423_378
; %bb.384:
	s_and_saveexec_b32 s18, s8
	s_cbranch_execz .LBB1423_386
; %bb.385:
	s_add_i32 s22, s15, 32
	s_mov_b32 s23, 0
	v_dual_mov_b32 v21, 2 :: v_dual_add_nc_u32 v20, v45, v19
	s_lshl_b64 s[22:23], s[22:23], 3
	v_mov_b32_e32 v22, 0
	v_add_nc_u32_e64 v23, 0x8400, 0
	s_add_u32 s22, s10, s22
	s_addc_u32 s23, s11, s23
	global_store_b64 v22, v[20:21], s[22:23]
	ds_store_2addr_b32 v23, v19, v45 offset1:2
.LBB1423_386:
	s_or_b32 exec_lo, exec_lo, s18
	v_cmp_eq_u32_e32 vcc_lo, 0, v0
	s_and_b32 exec_lo, exec_lo, vcc_lo
	s_cbranch_execz .LBB1423_388
; %bb.387:
	v_mov_b32_e32 v19, 0
	ds_store_b32 v19, v45 offset:60
.LBB1423_388:
	s_or_b32 exec_lo, exec_lo, s9
	s_waitcnt lgkmcnt(0)
	v_cndmask_b32_e64 v20, v29, v27, s8
	v_cmp_ne_u32_e32 vcc_lo, 0, v0
	v_mov_b32_e32 v19, 0
	s_waitcnt_vscnt null, 0x0
	s_barrier
	buffer_gl0_inv
	v_cndmask_b32_e32 v20, 0, v20, vcc_lo
	ds_load_b32 v19, v19 offset:60
	s_waitcnt lgkmcnt(0)
	s_barrier
	buffer_gl0_inv
	v_add_nc_u32_e32 v37, v19, v20
	v_add_nc_u32_e64 v19, 0x8400, 0
	s_delay_alu instid0(VALU_DEP_2) | instskip(SKIP_2) | instid1(VALU_DEP_1)
	v_add_nc_u32_e32 v35, v37, v26
	ds_load_2addr_b32 v[19:20], v19 offset1:2
	v_add_nc_u32_e32 v33, v35, v28
	v_add_nc_u32_e32 v31, v33, v30
	s_delay_alu instid0(VALU_DEP_1) | instskip(NEXT) | instid1(VALU_DEP_1)
	v_add_nc_u32_e32 v29, v31, v32
	v_add_nc_u32_e32 v27, v29, v34
	s_delay_alu instid0(VALU_DEP_1) | instskip(NEXT) | instid1(VALU_DEP_1)
	v_add_nc_u32_e32 v25, v27, v36
	v_add_nc_u32_e32 v23, v25, v38
	s_load_b64 s[8:9], s[0:1], 0x28
	v_lshrrev_b64 v[21:22], 24, v[17:18]
	s_branch .LBB1423_399
.LBB1423_389:
                                        ; implicit-def: $vgpr23
                                        ; implicit-def: $vgpr25
                                        ; implicit-def: $vgpr27
                                        ; implicit-def: $vgpr29
                                        ; implicit-def: $vgpr31
                                        ; implicit-def: $vgpr33
                                        ; implicit-def: $vgpr35
                                        ; implicit-def: $vgpr37
                                        ; implicit-def: $vgpr20
	s_load_b64 s[8:9], s[0:1], 0x28
	v_lshrrev_b64 v[21:22], 24, v[17:18]
	s_and_b32 vcc_lo, exec_lo, s18
	s_cbranch_vccz .LBB1423_399
; %bb.390:
	s_waitcnt lgkmcnt(0)
	v_mov_b32_dpp v19, v43 row_shr:1 row_mask:0xf bank_mask:0xf
	s_delay_alu instid0(VALU_DEP_1) | instskip(NEXT) | instid1(VALU_DEP_1)
	v_cndmask_b32_e64 v19, v19, 0, s4
	v_add_nc_u32_e32 v19, v19, v43
	s_delay_alu instid0(VALU_DEP_1) | instskip(NEXT) | instid1(VALU_DEP_1)
	v_mov_b32_dpp v20, v19 row_shr:2 row_mask:0xf bank_mask:0xf
	v_cndmask_b32_e64 v20, 0, v20, s2
	s_delay_alu instid0(VALU_DEP_1) | instskip(NEXT) | instid1(VALU_DEP_1)
	v_add_nc_u32_e32 v19, v19, v20
	v_mov_b32_dpp v20, v19 row_shr:4 row_mask:0xf bank_mask:0xf
	s_delay_alu instid0(VALU_DEP_1) | instskip(NEXT) | instid1(VALU_DEP_1)
	v_cndmask_b32_e64 v20, 0, v20, s5
	v_add_nc_u32_e32 v19, v19, v20
	s_delay_alu instid0(VALU_DEP_1) | instskip(NEXT) | instid1(VALU_DEP_1)
	v_mov_b32_dpp v20, v19 row_shr:8 row_mask:0xf bank_mask:0xf
	v_cndmask_b32_e64 v20, 0, v20, s3
	s_delay_alu instid0(VALU_DEP_1) | instskip(SKIP_3) | instid1(VALU_DEP_1)
	v_add_nc_u32_e32 v19, v19, v20
	ds_swizzle_b32 v20, v19 offset:swizzle(BROADCAST,32,15)
	s_waitcnt lgkmcnt(0)
	v_cndmask_b32_e64 v20, v20, 0, s7
	v_add_nc_u32_e32 v19, v19, v20
	s_and_saveexec_b32 s0, s6
	s_cbranch_execz .LBB1423_392
; %bb.391:
	v_lshlrev_b32_e32 v20, 2, v42
	ds_store_b32 v20, v19
.LBB1423_392:
	s_or_b32 exec_lo, exec_lo, s0
	s_delay_alu instid0(SALU_CYCLE_1)
	s_mov_b32 s0, exec_lo
	s_waitcnt lgkmcnt(0)
	s_barrier
	buffer_gl0_inv
	v_cmpx_gt_u32_e32 16, v0
	s_cbranch_execz .LBB1423_394
; %bb.393:
	v_lshlrev_b32_e32 v20, 2, v0
	ds_load_b32 v22, v20
	s_waitcnt lgkmcnt(0)
	v_mov_b32_dpp v23, v22 row_shr:1 row_mask:0xf bank_mask:0xf
	s_delay_alu instid0(VALU_DEP_1) | instskip(NEXT) | instid1(VALU_DEP_1)
	v_cndmask_b32_e64 v23, v23, 0, s4
	v_add_nc_u32_e32 v22, v23, v22
	s_delay_alu instid0(VALU_DEP_1) | instskip(NEXT) | instid1(VALU_DEP_1)
	v_mov_b32_dpp v23, v22 row_shr:2 row_mask:0xf bank_mask:0xf
	v_cndmask_b32_e64 v23, 0, v23, s2
	s_delay_alu instid0(VALU_DEP_1) | instskip(NEXT) | instid1(VALU_DEP_1)
	v_add_nc_u32_e32 v22, v22, v23
	v_mov_b32_dpp v23, v22 row_shr:4 row_mask:0xf bank_mask:0xf
	s_delay_alu instid0(VALU_DEP_1) | instskip(NEXT) | instid1(VALU_DEP_1)
	v_cndmask_b32_e64 v23, 0, v23, s5
	v_add_nc_u32_e32 v22, v22, v23
	s_delay_alu instid0(VALU_DEP_1) | instskip(NEXT) | instid1(VALU_DEP_1)
	v_mov_b32_dpp v23, v22 row_shr:8 row_mask:0xf bank_mask:0xf
	v_cndmask_b32_e64 v23, 0, v23, s3
	s_delay_alu instid0(VALU_DEP_1)
	v_add_nc_u32_e32 v22, v22, v23
	ds_store_b32 v20, v22
.LBB1423_394:
	s_or_b32 exec_lo, exec_lo, s0
	v_mov_b32_e32 v20, 0
	v_mov_b32_e32 v22, 0
	s_mov_b32 s0, exec_lo
	s_waitcnt lgkmcnt(0)
	s_barrier
	buffer_gl0_inv
	v_cmpx_lt_u32_e32 31, v0
	s_cbranch_execz .LBB1423_396
; %bb.395:
	v_lshl_add_u32 v22, v42, 2, -4
	ds_load_b32 v22, v22
.LBB1423_396:
	s_or_b32 exec_lo, exec_lo, s0
	v_add_nc_u32_e32 v23, -1, v41
	s_waitcnt lgkmcnt(0)
	v_add_nc_u32_e32 v19, v22, v19
	s_delay_alu instid0(VALU_DEP_2) | instskip(SKIP_2) | instid1(VALU_DEP_2)
	v_cmp_gt_i32_e32 vcc_lo, 0, v23
	v_cndmask_b32_e32 v23, v23, v41, vcc_lo
	v_cmp_eq_u32_e32 vcc_lo, 0, v0
	v_lshlrev_b32_e32 v23, 2, v23
	ds_bpermute_b32 v23, v23, v19
	ds_load_b32 v19, v20 offset:60
	s_and_saveexec_b32 s0, vcc_lo
	s_cbranch_execz .LBB1423_398
; %bb.397:
	v_mov_b32_e32 v24, 0
	v_mov_b32_e32 v20, 2
	s_waitcnt lgkmcnt(0)
	global_store_b64 v24, v[19:20], s[10:11] offset:256
.LBB1423_398:
	s_or_b32 exec_lo, exec_lo, s0
	v_cmp_eq_u32_e64 s0, 0, v41
	s_waitcnt lgkmcnt(0)
	s_waitcnt_vscnt null, 0x0
	s_barrier
	buffer_gl0_inv
	v_cndmask_b32_e64 v20, v23, v22, s0
	s_delay_alu instid0(VALU_DEP_1) | instskip(NEXT) | instid1(VALU_DEP_1)
	v_cndmask_b32_e64 v37, v20, 0, vcc_lo
	v_dual_mov_b32 v20, 0 :: v_dual_add_nc_u32 v35, v37, v26
	s_delay_alu instid0(VALU_DEP_1) | instskip(NEXT) | instid1(VALU_DEP_1)
	v_add_nc_u32_e32 v33, v35, v28
	v_add_nc_u32_e32 v31, v33, v30
	s_delay_alu instid0(VALU_DEP_1) | instskip(NEXT) | instid1(VALU_DEP_1)
	v_add_nc_u32_e32 v29, v31, v32
	v_add_nc_u32_e32 v27, v29, v34
	s_delay_alu instid0(VALU_DEP_1) | instskip(NEXT) | instid1(VALU_DEP_1)
	v_add_nc_u32_e32 v25, v27, v36
	v_add_nc_u32_e32 v23, v25, v38
.LBB1423_399:
	s_waitcnt lgkmcnt(0)
	v_cmp_gt_u32_e32 vcc_lo, 0x201, v19
	v_lshrrev_b32_e32 v43, 8, v17
	v_lshrrev_b32_e32 v42, 16, v17
	;; [unrolled: 1-line block ×4, first 2 shown]
	s_mov_b32 s0, -1
	s_cbranch_vccnz .LBB1423_403
; %bb.400:
	s_and_b32 vcc_lo, exec_lo, s0
	s_cbranch_vccnz .LBB1423_428
.LBB1423_401:
	v_cmp_eq_u32_e32 vcc_lo, 0, v0
	s_and_b32 s0, vcc_lo, s14
	s_delay_alu instid0(SALU_CYCLE_1)
	s_and_saveexec_b32 s1, s0
	s_cbranch_execnz .LBB1423_448
.LBB1423_402:
	s_nop 0
	s_sendmsg sendmsg(MSG_DEALLOC_VGPRS)
	s_endpgm
.LBB1423_403:
	v_add_nc_u32_e32 v24, v20, v19
	s_delay_alu instid0(VALU_DEP_1) | instskip(SKIP_1) | instid1(SALU_CYCLE_1)
	v_cmp_lt_u32_e32 vcc_lo, v37, v24
	s_or_b32 s1, s21, vcc_lo
	s_and_saveexec_b32 s0, s1
	s_cbranch_execz .LBB1423_406
; %bb.404:
	v_and_b32_e32 v26, 1, v17
	s_delay_alu instid0(VALU_DEP_1)
	v_cmp_eq_u32_e32 vcc_lo, 1, v26
	s_and_b32 exec_lo, exec_lo, vcc_lo
	s_cbranch_execz .LBB1423_406
; %bb.405:
	v_mov_b32_e32 v38, 0
	s_lshl_b64 s[2:3], s[12:13], 3
	s_delay_alu instid0(SALU_CYCLE_1) | instskip(SKIP_1) | instid1(VALU_DEP_1)
	s_add_u32 s1, s8, s2
	s_addc_u32 s2, s9, s3
	v_lshlrev_b64 v[44:45], 3, v[37:38]
	s_delay_alu instid0(VALU_DEP_1) | instskip(NEXT) | instid1(VALU_DEP_2)
	v_add_co_u32 v44, vcc_lo, s1, v44
	v_add_co_ci_u32_e32 v45, vcc_lo, s2, v45, vcc_lo
	global_store_b64 v[44:45], v[13:14], off
.LBB1423_406:
	s_or_b32 exec_lo, exec_lo, s0
	v_cmp_lt_u32_e32 vcc_lo, v35, v24
	s_or_b32 s1, s21, vcc_lo
	s_delay_alu instid0(SALU_CYCLE_1)
	s_and_saveexec_b32 s0, s1
	s_cbranch_execz .LBB1423_409
; %bb.407:
	v_and_b32_e32 v26, 1, v43
	s_delay_alu instid0(VALU_DEP_1)
	v_cmp_eq_u32_e32 vcc_lo, 1, v26
	s_and_b32 exec_lo, exec_lo, vcc_lo
	s_cbranch_execz .LBB1423_409
; %bb.408:
	v_mov_b32_e32 v36, 0
	s_lshl_b64 s[2:3], s[12:13], 3
	s_delay_alu instid0(SALU_CYCLE_1) | instskip(SKIP_1) | instid1(VALU_DEP_1)
	s_add_u32 s1, s8, s2
	s_addc_u32 s2, s9, s3
	v_lshlrev_b64 v[44:45], 3, v[35:36]
	s_delay_alu instid0(VALU_DEP_1) | instskip(NEXT) | instid1(VALU_DEP_2)
	v_add_co_u32 v44, vcc_lo, s1, v44
	v_add_co_ci_u32_e32 v45, vcc_lo, s2, v45, vcc_lo
	global_store_b64 v[44:45], v[15:16], off
.LBB1423_409:
	s_or_b32 exec_lo, exec_lo, s0
	v_cmp_lt_u32_e32 vcc_lo, v33, v24
	s_or_b32 s1, s21, vcc_lo
	s_delay_alu instid0(SALU_CYCLE_1)
	;; [unrolled: 24-line block ×7, first 2 shown]
	s_and_saveexec_b32 s0, s1
	s_cbranch_execz .LBB1423_427
; %bb.425:
	v_and_b32_e32 v24, 1, v40
	s_delay_alu instid0(VALU_DEP_1)
	v_cmp_eq_u32_e32 vcc_lo, 1, v24
	s_and_b32 exec_lo, exec_lo, vcc_lo
	s_cbranch_execz .LBB1423_427
; %bb.426:
	v_mov_b32_e32 v24, 0
	s_lshl_b64 s[2:3], s[12:13], 3
	s_delay_alu instid0(SALU_CYCLE_1) | instskip(SKIP_1) | instid1(VALU_DEP_1)
	s_add_u32 s1, s8, s2
	s_addc_u32 s2, s9, s3
	v_lshlrev_b64 v[44:45], 3, v[23:24]
	s_delay_alu instid0(VALU_DEP_1) | instskip(NEXT) | instid1(VALU_DEP_2)
	v_add_co_u32 v44, vcc_lo, s1, v44
	v_add_co_ci_u32_e32 v45, vcc_lo, s2, v45, vcc_lo
	global_store_b64 v[44:45], v[3:4], off
.LBB1423_427:
	s_or_b32 exec_lo, exec_lo, s0
	s_branch .LBB1423_401
.LBB1423_428:
	v_and_b32_e32 v17, 1, v17
	s_mov_b32 s0, exec_lo
	s_delay_alu instid0(VALU_DEP_1)
	v_cmpx_eq_u32_e32 1, v17
	s_cbranch_execz .LBB1423_430
; %bb.429:
	v_sub_nc_u32_e32 v17, v37, v20
	s_delay_alu instid0(VALU_DEP_1)
	v_lshlrev_b32_e32 v17, 3, v17
	ds_store_b64 v17, v[13:14]
.LBB1423_430:
	s_or_b32 exec_lo, exec_lo, s0
	v_and_b32_e32 v13, 1, v43
	s_mov_b32 s0, exec_lo
	s_delay_alu instid0(VALU_DEP_1)
	v_cmpx_eq_u32_e32 1, v13
	s_cbranch_execz .LBB1423_432
; %bb.431:
	v_sub_nc_u32_e32 v13, v35, v20
	s_delay_alu instid0(VALU_DEP_1)
	v_lshlrev_b32_e32 v13, 3, v13
	ds_store_b64 v13, v[15:16]
.LBB1423_432:
	s_or_b32 exec_lo, exec_lo, s0
	;; [unrolled: 12-line block ×8, first 2 shown]
	s_delay_alu instid0(SALU_CYCLE_1)
	s_mov_b32 s1, exec_lo
	s_waitcnt lgkmcnt(0)
	s_waitcnt_vscnt null, 0x0
	s_barrier
	buffer_gl0_inv
	v_cmpx_lt_u32_e64 v0, v19
	s_cbranch_execz .LBB1423_447
; %bb.445:
	v_dual_mov_b32 v2, 0 :: v_dual_mov_b32 v1, v20
	s_lshl_b64 s[2:3], s[12:13], 3
	v_mov_b32_e32 v3, v0
	s_delay_alu instid0(VALU_DEP_2) | instskip(NEXT) | instid1(VALU_DEP_1)
	v_lshlrev_b64 v[1:2], 3, v[1:2]
	v_add_co_u32 v1, vcc_lo, s2, v1
	s_delay_alu instid0(VALU_DEP_2) | instskip(SKIP_1) | instid1(VALU_DEP_2)
	v_add_co_ci_u32_e32 v2, vcc_lo, s3, v2, vcc_lo
	s_mov_b32 s2, 0
	v_add_co_u32 v1, vcc_lo, s8, v1
	s_delay_alu instid0(VALU_DEP_2) | instskip(NEXT) | instid1(VALU_DEP_2)
	v_add_co_ci_u32_e32 v2, vcc_lo, s9, v2, vcc_lo
	v_add_co_u32 v1, vcc_lo, v1, v39
	s_delay_alu instid0(VALU_DEP_2)
	v_add_co_ci_u32_e32 v2, vcc_lo, 0, v2, vcc_lo
	.p2align	6
.LBB1423_446:                           ; =>This Inner Loop Header: Depth=1
	ds_load_b64 v[4:5], v39
	v_add_nc_u32_e32 v3, 0x200, v3
	v_add_nc_u32_e32 v39, 0x1000, v39
	s_delay_alu instid0(VALU_DEP_2) | instskip(SKIP_4) | instid1(VALU_DEP_1)
	v_cmp_ge_u32_e32 vcc_lo, v3, v19
	s_or_b32 s2, vcc_lo, s2
	s_waitcnt lgkmcnt(0)
	global_store_b64 v[1:2], v[4:5], off
	v_add_co_u32 v1, s0, 0x1000, v1
	v_add_co_ci_u32_e64 v2, s0, 0, v2, s0
	s_and_not1_b32 exec_lo, exec_lo, s2
	s_cbranch_execnz .LBB1423_446
.LBB1423_447:
	s_or_b32 exec_lo, exec_lo, s1
	v_cmp_eq_u32_e32 vcc_lo, 0, v0
	s_and_b32 s0, vcc_lo, s14
	s_delay_alu instid0(SALU_CYCLE_1)
	s_and_saveexec_b32 s1, s0
	s_cbranch_execz .LBB1423_402
.LBB1423_448:
	v_add_co_u32 v0, s0, s12, v19
	s_delay_alu instid0(VALU_DEP_1) | instskip(SKIP_1) | instid1(VALU_DEP_3)
	v_add_co_ci_u32_e64 v1, null, s13, 0, s0
	v_mov_b32_e32 v2, 0
	v_add_co_u32 v0, vcc_lo, v0, v20
	s_delay_alu instid0(VALU_DEP_3)
	v_add_co_ci_u32_e32 v1, vcc_lo, 0, v1, vcc_lo
	global_store_b64 v2, v[0:1], s[16:17]
	s_nop 0
	s_sendmsg sendmsg(MSG_DEALLOC_VGPRS)
	s_endpgm
	.section	.rodata,"a",@progbits
	.p2align	6, 0x0
	.amdhsa_kernel _ZN7rocprim17ROCPRIM_400000_NS6detail17trampoline_kernelINS0_14default_configENS1_25partition_config_selectorILNS1_17partition_subalgoE8ElNS0_10empty_typeEbEEZZNS1_14partition_implILS5_8ELb0ES3_jPlPS6_PKS6_NS0_5tupleIJS9_S6_EEENSD_IJSA_SA_EEENS0_18inequality_wrapperIZN2at6native12_GLOBAL__N_124unique_dim_cuda_templateItEESt5tupleIJNSH_6TensorESM_SM_EERKSM_lbbbEUlllE0_EEPmJS6_EEE10hipError_tPvRmT3_T4_T5_T6_T7_T9_mT8_P12ihipStream_tbDpT10_ENKUlT_T0_E_clISt17integral_constantIbLb0EES1C_EEDaS17_S18_EUlS17_E_NS1_11comp_targetILNS1_3genE9ELNS1_11target_archE1100ELNS1_3gpuE3ELNS1_3repE0EEENS1_30default_config_static_selectorELNS0_4arch9wavefront6targetE0EEEvT1_
		.amdhsa_group_segment_fixed_size 33804
		.amdhsa_private_segment_fixed_size 0
		.amdhsa_kernarg_size 120
		.amdhsa_user_sgpr_count 15
		.amdhsa_user_sgpr_dispatch_ptr 0
		.amdhsa_user_sgpr_queue_ptr 0
		.amdhsa_user_sgpr_kernarg_segment_ptr 1
		.amdhsa_user_sgpr_dispatch_id 0
		.amdhsa_user_sgpr_private_segment_size 0
		.amdhsa_wavefront_size32 1
		.amdhsa_uses_dynamic_stack 0
		.amdhsa_enable_private_segment 0
		.amdhsa_system_sgpr_workgroup_id_x 1
		.amdhsa_system_sgpr_workgroup_id_y 0
		.amdhsa_system_sgpr_workgroup_id_z 0
		.amdhsa_system_sgpr_workgroup_info 0
		.amdhsa_system_vgpr_workitem_id 0
		.amdhsa_next_free_vgpr 52
		.amdhsa_next_free_sgpr 36
		.amdhsa_reserve_vcc 1
		.amdhsa_float_round_mode_32 0
		.amdhsa_float_round_mode_16_64 0
		.amdhsa_float_denorm_mode_32 3
		.amdhsa_float_denorm_mode_16_64 3
		.amdhsa_dx10_clamp 1
		.amdhsa_ieee_mode 1
		.amdhsa_fp16_overflow 0
		.amdhsa_workgroup_processor_mode 1
		.amdhsa_memory_ordered 1
		.amdhsa_forward_progress 0
		.amdhsa_shared_vgpr_count 0
		.amdhsa_exception_fp_ieee_invalid_op 0
		.amdhsa_exception_fp_denorm_src 0
		.amdhsa_exception_fp_ieee_div_zero 0
		.amdhsa_exception_fp_ieee_overflow 0
		.amdhsa_exception_fp_ieee_underflow 0
		.amdhsa_exception_fp_ieee_inexact 0
		.amdhsa_exception_int_div_zero 0
	.end_amdhsa_kernel
	.section	.text._ZN7rocprim17ROCPRIM_400000_NS6detail17trampoline_kernelINS0_14default_configENS1_25partition_config_selectorILNS1_17partition_subalgoE8ElNS0_10empty_typeEbEEZZNS1_14partition_implILS5_8ELb0ES3_jPlPS6_PKS6_NS0_5tupleIJS9_S6_EEENSD_IJSA_SA_EEENS0_18inequality_wrapperIZN2at6native12_GLOBAL__N_124unique_dim_cuda_templateItEESt5tupleIJNSH_6TensorESM_SM_EERKSM_lbbbEUlllE0_EEPmJS6_EEE10hipError_tPvRmT3_T4_T5_T6_T7_T9_mT8_P12ihipStream_tbDpT10_ENKUlT_T0_E_clISt17integral_constantIbLb0EES1C_EEDaS17_S18_EUlS17_E_NS1_11comp_targetILNS1_3genE9ELNS1_11target_archE1100ELNS1_3gpuE3ELNS1_3repE0EEENS1_30default_config_static_selectorELNS0_4arch9wavefront6targetE0EEEvT1_,"axG",@progbits,_ZN7rocprim17ROCPRIM_400000_NS6detail17trampoline_kernelINS0_14default_configENS1_25partition_config_selectorILNS1_17partition_subalgoE8ElNS0_10empty_typeEbEEZZNS1_14partition_implILS5_8ELb0ES3_jPlPS6_PKS6_NS0_5tupleIJS9_S6_EEENSD_IJSA_SA_EEENS0_18inequality_wrapperIZN2at6native12_GLOBAL__N_124unique_dim_cuda_templateItEESt5tupleIJNSH_6TensorESM_SM_EERKSM_lbbbEUlllE0_EEPmJS6_EEE10hipError_tPvRmT3_T4_T5_T6_T7_T9_mT8_P12ihipStream_tbDpT10_ENKUlT_T0_E_clISt17integral_constantIbLb0EES1C_EEDaS17_S18_EUlS17_E_NS1_11comp_targetILNS1_3genE9ELNS1_11target_archE1100ELNS1_3gpuE3ELNS1_3repE0EEENS1_30default_config_static_selectorELNS0_4arch9wavefront6targetE0EEEvT1_,comdat
.Lfunc_end1423:
	.size	_ZN7rocprim17ROCPRIM_400000_NS6detail17trampoline_kernelINS0_14default_configENS1_25partition_config_selectorILNS1_17partition_subalgoE8ElNS0_10empty_typeEbEEZZNS1_14partition_implILS5_8ELb0ES3_jPlPS6_PKS6_NS0_5tupleIJS9_S6_EEENSD_IJSA_SA_EEENS0_18inequality_wrapperIZN2at6native12_GLOBAL__N_124unique_dim_cuda_templateItEESt5tupleIJNSH_6TensorESM_SM_EERKSM_lbbbEUlllE0_EEPmJS6_EEE10hipError_tPvRmT3_T4_T5_T6_T7_T9_mT8_P12ihipStream_tbDpT10_ENKUlT_T0_E_clISt17integral_constantIbLb0EES1C_EEDaS17_S18_EUlS17_E_NS1_11comp_targetILNS1_3genE9ELNS1_11target_archE1100ELNS1_3gpuE3ELNS1_3repE0EEENS1_30default_config_static_selectorELNS0_4arch9wavefront6targetE0EEEvT1_, .Lfunc_end1423-_ZN7rocprim17ROCPRIM_400000_NS6detail17trampoline_kernelINS0_14default_configENS1_25partition_config_selectorILNS1_17partition_subalgoE8ElNS0_10empty_typeEbEEZZNS1_14partition_implILS5_8ELb0ES3_jPlPS6_PKS6_NS0_5tupleIJS9_S6_EEENSD_IJSA_SA_EEENS0_18inequality_wrapperIZN2at6native12_GLOBAL__N_124unique_dim_cuda_templateItEESt5tupleIJNSH_6TensorESM_SM_EERKSM_lbbbEUlllE0_EEPmJS6_EEE10hipError_tPvRmT3_T4_T5_T6_T7_T9_mT8_P12ihipStream_tbDpT10_ENKUlT_T0_E_clISt17integral_constantIbLb0EES1C_EEDaS17_S18_EUlS17_E_NS1_11comp_targetILNS1_3genE9ELNS1_11target_archE1100ELNS1_3gpuE3ELNS1_3repE0EEENS1_30default_config_static_selectorELNS0_4arch9wavefront6targetE0EEEvT1_
                                        ; -- End function
	.section	.AMDGPU.csdata,"",@progbits
; Kernel info:
; codeLenInByte = 18232
; NumSgprs: 38
; NumVgprs: 52
; ScratchSize: 0
; MemoryBound: 0
; FloatMode: 240
; IeeeMode: 1
; LDSByteSize: 33804 bytes/workgroup (compile time only)
; SGPRBlocks: 4
; VGPRBlocks: 6
; NumSGPRsForWavesPerEU: 38
; NumVGPRsForWavesPerEU: 52
; Occupancy: 12
; WaveLimiterHint : 1
; COMPUTE_PGM_RSRC2:SCRATCH_EN: 0
; COMPUTE_PGM_RSRC2:USER_SGPR: 15
; COMPUTE_PGM_RSRC2:TRAP_HANDLER: 0
; COMPUTE_PGM_RSRC2:TGID_X_EN: 1
; COMPUTE_PGM_RSRC2:TGID_Y_EN: 0
; COMPUTE_PGM_RSRC2:TGID_Z_EN: 0
; COMPUTE_PGM_RSRC2:TIDIG_COMP_CNT: 0
	.section	.text._ZN7rocprim17ROCPRIM_400000_NS6detail17trampoline_kernelINS0_14default_configENS1_25partition_config_selectorILNS1_17partition_subalgoE8ElNS0_10empty_typeEbEEZZNS1_14partition_implILS5_8ELb0ES3_jPlPS6_PKS6_NS0_5tupleIJS9_S6_EEENSD_IJSA_SA_EEENS0_18inequality_wrapperIZN2at6native12_GLOBAL__N_124unique_dim_cuda_templateItEESt5tupleIJNSH_6TensorESM_SM_EERKSM_lbbbEUlllE0_EEPmJS6_EEE10hipError_tPvRmT3_T4_T5_T6_T7_T9_mT8_P12ihipStream_tbDpT10_ENKUlT_T0_E_clISt17integral_constantIbLb0EES1C_EEDaS17_S18_EUlS17_E_NS1_11comp_targetILNS1_3genE8ELNS1_11target_archE1030ELNS1_3gpuE2ELNS1_3repE0EEENS1_30default_config_static_selectorELNS0_4arch9wavefront6targetE0EEEvT1_,"axG",@progbits,_ZN7rocprim17ROCPRIM_400000_NS6detail17trampoline_kernelINS0_14default_configENS1_25partition_config_selectorILNS1_17partition_subalgoE8ElNS0_10empty_typeEbEEZZNS1_14partition_implILS5_8ELb0ES3_jPlPS6_PKS6_NS0_5tupleIJS9_S6_EEENSD_IJSA_SA_EEENS0_18inequality_wrapperIZN2at6native12_GLOBAL__N_124unique_dim_cuda_templateItEESt5tupleIJNSH_6TensorESM_SM_EERKSM_lbbbEUlllE0_EEPmJS6_EEE10hipError_tPvRmT3_T4_T5_T6_T7_T9_mT8_P12ihipStream_tbDpT10_ENKUlT_T0_E_clISt17integral_constantIbLb0EES1C_EEDaS17_S18_EUlS17_E_NS1_11comp_targetILNS1_3genE8ELNS1_11target_archE1030ELNS1_3gpuE2ELNS1_3repE0EEENS1_30default_config_static_selectorELNS0_4arch9wavefront6targetE0EEEvT1_,comdat
	.globl	_ZN7rocprim17ROCPRIM_400000_NS6detail17trampoline_kernelINS0_14default_configENS1_25partition_config_selectorILNS1_17partition_subalgoE8ElNS0_10empty_typeEbEEZZNS1_14partition_implILS5_8ELb0ES3_jPlPS6_PKS6_NS0_5tupleIJS9_S6_EEENSD_IJSA_SA_EEENS0_18inequality_wrapperIZN2at6native12_GLOBAL__N_124unique_dim_cuda_templateItEESt5tupleIJNSH_6TensorESM_SM_EERKSM_lbbbEUlllE0_EEPmJS6_EEE10hipError_tPvRmT3_T4_T5_T6_T7_T9_mT8_P12ihipStream_tbDpT10_ENKUlT_T0_E_clISt17integral_constantIbLb0EES1C_EEDaS17_S18_EUlS17_E_NS1_11comp_targetILNS1_3genE8ELNS1_11target_archE1030ELNS1_3gpuE2ELNS1_3repE0EEENS1_30default_config_static_selectorELNS0_4arch9wavefront6targetE0EEEvT1_ ; -- Begin function _ZN7rocprim17ROCPRIM_400000_NS6detail17trampoline_kernelINS0_14default_configENS1_25partition_config_selectorILNS1_17partition_subalgoE8ElNS0_10empty_typeEbEEZZNS1_14partition_implILS5_8ELb0ES3_jPlPS6_PKS6_NS0_5tupleIJS9_S6_EEENSD_IJSA_SA_EEENS0_18inequality_wrapperIZN2at6native12_GLOBAL__N_124unique_dim_cuda_templateItEESt5tupleIJNSH_6TensorESM_SM_EERKSM_lbbbEUlllE0_EEPmJS6_EEE10hipError_tPvRmT3_T4_T5_T6_T7_T9_mT8_P12ihipStream_tbDpT10_ENKUlT_T0_E_clISt17integral_constantIbLb0EES1C_EEDaS17_S18_EUlS17_E_NS1_11comp_targetILNS1_3genE8ELNS1_11target_archE1030ELNS1_3gpuE2ELNS1_3repE0EEENS1_30default_config_static_selectorELNS0_4arch9wavefront6targetE0EEEvT1_
	.p2align	8
	.type	_ZN7rocprim17ROCPRIM_400000_NS6detail17trampoline_kernelINS0_14default_configENS1_25partition_config_selectorILNS1_17partition_subalgoE8ElNS0_10empty_typeEbEEZZNS1_14partition_implILS5_8ELb0ES3_jPlPS6_PKS6_NS0_5tupleIJS9_S6_EEENSD_IJSA_SA_EEENS0_18inequality_wrapperIZN2at6native12_GLOBAL__N_124unique_dim_cuda_templateItEESt5tupleIJNSH_6TensorESM_SM_EERKSM_lbbbEUlllE0_EEPmJS6_EEE10hipError_tPvRmT3_T4_T5_T6_T7_T9_mT8_P12ihipStream_tbDpT10_ENKUlT_T0_E_clISt17integral_constantIbLb0EES1C_EEDaS17_S18_EUlS17_E_NS1_11comp_targetILNS1_3genE8ELNS1_11target_archE1030ELNS1_3gpuE2ELNS1_3repE0EEENS1_30default_config_static_selectorELNS0_4arch9wavefront6targetE0EEEvT1_,@function
_ZN7rocprim17ROCPRIM_400000_NS6detail17trampoline_kernelINS0_14default_configENS1_25partition_config_selectorILNS1_17partition_subalgoE8ElNS0_10empty_typeEbEEZZNS1_14partition_implILS5_8ELb0ES3_jPlPS6_PKS6_NS0_5tupleIJS9_S6_EEENSD_IJSA_SA_EEENS0_18inequality_wrapperIZN2at6native12_GLOBAL__N_124unique_dim_cuda_templateItEESt5tupleIJNSH_6TensorESM_SM_EERKSM_lbbbEUlllE0_EEPmJS6_EEE10hipError_tPvRmT3_T4_T5_T6_T7_T9_mT8_P12ihipStream_tbDpT10_ENKUlT_T0_E_clISt17integral_constantIbLb0EES1C_EEDaS17_S18_EUlS17_E_NS1_11comp_targetILNS1_3genE8ELNS1_11target_archE1030ELNS1_3gpuE2ELNS1_3repE0EEENS1_30default_config_static_selectorELNS0_4arch9wavefront6targetE0EEEvT1_: ; @_ZN7rocprim17ROCPRIM_400000_NS6detail17trampoline_kernelINS0_14default_configENS1_25partition_config_selectorILNS1_17partition_subalgoE8ElNS0_10empty_typeEbEEZZNS1_14partition_implILS5_8ELb0ES3_jPlPS6_PKS6_NS0_5tupleIJS9_S6_EEENSD_IJSA_SA_EEENS0_18inequality_wrapperIZN2at6native12_GLOBAL__N_124unique_dim_cuda_templateItEESt5tupleIJNSH_6TensorESM_SM_EERKSM_lbbbEUlllE0_EEPmJS6_EEE10hipError_tPvRmT3_T4_T5_T6_T7_T9_mT8_P12ihipStream_tbDpT10_ENKUlT_T0_E_clISt17integral_constantIbLb0EES1C_EEDaS17_S18_EUlS17_E_NS1_11comp_targetILNS1_3genE8ELNS1_11target_archE1030ELNS1_3gpuE2ELNS1_3repE0EEENS1_30default_config_static_selectorELNS0_4arch9wavefront6targetE0EEEvT1_
; %bb.0:
	.section	.rodata,"a",@progbits
	.p2align	6, 0x0
	.amdhsa_kernel _ZN7rocprim17ROCPRIM_400000_NS6detail17trampoline_kernelINS0_14default_configENS1_25partition_config_selectorILNS1_17partition_subalgoE8ElNS0_10empty_typeEbEEZZNS1_14partition_implILS5_8ELb0ES3_jPlPS6_PKS6_NS0_5tupleIJS9_S6_EEENSD_IJSA_SA_EEENS0_18inequality_wrapperIZN2at6native12_GLOBAL__N_124unique_dim_cuda_templateItEESt5tupleIJNSH_6TensorESM_SM_EERKSM_lbbbEUlllE0_EEPmJS6_EEE10hipError_tPvRmT3_T4_T5_T6_T7_T9_mT8_P12ihipStream_tbDpT10_ENKUlT_T0_E_clISt17integral_constantIbLb0EES1C_EEDaS17_S18_EUlS17_E_NS1_11comp_targetILNS1_3genE8ELNS1_11target_archE1030ELNS1_3gpuE2ELNS1_3repE0EEENS1_30default_config_static_selectorELNS0_4arch9wavefront6targetE0EEEvT1_
		.amdhsa_group_segment_fixed_size 0
		.amdhsa_private_segment_fixed_size 0
		.amdhsa_kernarg_size 120
		.amdhsa_user_sgpr_count 15
		.amdhsa_user_sgpr_dispatch_ptr 0
		.amdhsa_user_sgpr_queue_ptr 0
		.amdhsa_user_sgpr_kernarg_segment_ptr 1
		.amdhsa_user_sgpr_dispatch_id 0
		.amdhsa_user_sgpr_private_segment_size 0
		.amdhsa_wavefront_size32 1
		.amdhsa_uses_dynamic_stack 0
		.amdhsa_enable_private_segment 0
		.amdhsa_system_sgpr_workgroup_id_x 1
		.amdhsa_system_sgpr_workgroup_id_y 0
		.amdhsa_system_sgpr_workgroup_id_z 0
		.amdhsa_system_sgpr_workgroup_info 0
		.amdhsa_system_vgpr_workitem_id 0
		.amdhsa_next_free_vgpr 1
		.amdhsa_next_free_sgpr 1
		.amdhsa_reserve_vcc 0
		.amdhsa_float_round_mode_32 0
		.amdhsa_float_round_mode_16_64 0
		.amdhsa_float_denorm_mode_32 3
		.amdhsa_float_denorm_mode_16_64 3
		.amdhsa_dx10_clamp 1
		.amdhsa_ieee_mode 1
		.amdhsa_fp16_overflow 0
		.amdhsa_workgroup_processor_mode 1
		.amdhsa_memory_ordered 1
		.amdhsa_forward_progress 0
		.amdhsa_shared_vgpr_count 0
		.amdhsa_exception_fp_ieee_invalid_op 0
		.amdhsa_exception_fp_denorm_src 0
		.amdhsa_exception_fp_ieee_div_zero 0
		.amdhsa_exception_fp_ieee_overflow 0
		.amdhsa_exception_fp_ieee_underflow 0
		.amdhsa_exception_fp_ieee_inexact 0
		.amdhsa_exception_int_div_zero 0
	.end_amdhsa_kernel
	.section	.text._ZN7rocprim17ROCPRIM_400000_NS6detail17trampoline_kernelINS0_14default_configENS1_25partition_config_selectorILNS1_17partition_subalgoE8ElNS0_10empty_typeEbEEZZNS1_14partition_implILS5_8ELb0ES3_jPlPS6_PKS6_NS0_5tupleIJS9_S6_EEENSD_IJSA_SA_EEENS0_18inequality_wrapperIZN2at6native12_GLOBAL__N_124unique_dim_cuda_templateItEESt5tupleIJNSH_6TensorESM_SM_EERKSM_lbbbEUlllE0_EEPmJS6_EEE10hipError_tPvRmT3_T4_T5_T6_T7_T9_mT8_P12ihipStream_tbDpT10_ENKUlT_T0_E_clISt17integral_constantIbLb0EES1C_EEDaS17_S18_EUlS17_E_NS1_11comp_targetILNS1_3genE8ELNS1_11target_archE1030ELNS1_3gpuE2ELNS1_3repE0EEENS1_30default_config_static_selectorELNS0_4arch9wavefront6targetE0EEEvT1_,"axG",@progbits,_ZN7rocprim17ROCPRIM_400000_NS6detail17trampoline_kernelINS0_14default_configENS1_25partition_config_selectorILNS1_17partition_subalgoE8ElNS0_10empty_typeEbEEZZNS1_14partition_implILS5_8ELb0ES3_jPlPS6_PKS6_NS0_5tupleIJS9_S6_EEENSD_IJSA_SA_EEENS0_18inequality_wrapperIZN2at6native12_GLOBAL__N_124unique_dim_cuda_templateItEESt5tupleIJNSH_6TensorESM_SM_EERKSM_lbbbEUlllE0_EEPmJS6_EEE10hipError_tPvRmT3_T4_T5_T6_T7_T9_mT8_P12ihipStream_tbDpT10_ENKUlT_T0_E_clISt17integral_constantIbLb0EES1C_EEDaS17_S18_EUlS17_E_NS1_11comp_targetILNS1_3genE8ELNS1_11target_archE1030ELNS1_3gpuE2ELNS1_3repE0EEENS1_30default_config_static_selectorELNS0_4arch9wavefront6targetE0EEEvT1_,comdat
.Lfunc_end1424:
	.size	_ZN7rocprim17ROCPRIM_400000_NS6detail17trampoline_kernelINS0_14default_configENS1_25partition_config_selectorILNS1_17partition_subalgoE8ElNS0_10empty_typeEbEEZZNS1_14partition_implILS5_8ELb0ES3_jPlPS6_PKS6_NS0_5tupleIJS9_S6_EEENSD_IJSA_SA_EEENS0_18inequality_wrapperIZN2at6native12_GLOBAL__N_124unique_dim_cuda_templateItEESt5tupleIJNSH_6TensorESM_SM_EERKSM_lbbbEUlllE0_EEPmJS6_EEE10hipError_tPvRmT3_T4_T5_T6_T7_T9_mT8_P12ihipStream_tbDpT10_ENKUlT_T0_E_clISt17integral_constantIbLb0EES1C_EEDaS17_S18_EUlS17_E_NS1_11comp_targetILNS1_3genE8ELNS1_11target_archE1030ELNS1_3gpuE2ELNS1_3repE0EEENS1_30default_config_static_selectorELNS0_4arch9wavefront6targetE0EEEvT1_, .Lfunc_end1424-_ZN7rocprim17ROCPRIM_400000_NS6detail17trampoline_kernelINS0_14default_configENS1_25partition_config_selectorILNS1_17partition_subalgoE8ElNS0_10empty_typeEbEEZZNS1_14partition_implILS5_8ELb0ES3_jPlPS6_PKS6_NS0_5tupleIJS9_S6_EEENSD_IJSA_SA_EEENS0_18inequality_wrapperIZN2at6native12_GLOBAL__N_124unique_dim_cuda_templateItEESt5tupleIJNSH_6TensorESM_SM_EERKSM_lbbbEUlllE0_EEPmJS6_EEE10hipError_tPvRmT3_T4_T5_T6_T7_T9_mT8_P12ihipStream_tbDpT10_ENKUlT_T0_E_clISt17integral_constantIbLb0EES1C_EEDaS17_S18_EUlS17_E_NS1_11comp_targetILNS1_3genE8ELNS1_11target_archE1030ELNS1_3gpuE2ELNS1_3repE0EEENS1_30default_config_static_selectorELNS0_4arch9wavefront6targetE0EEEvT1_
                                        ; -- End function
	.section	.AMDGPU.csdata,"",@progbits
; Kernel info:
; codeLenInByte = 0
; NumSgprs: 0
; NumVgprs: 0
; ScratchSize: 0
; MemoryBound: 0
; FloatMode: 240
; IeeeMode: 1
; LDSByteSize: 0 bytes/workgroup (compile time only)
; SGPRBlocks: 0
; VGPRBlocks: 0
; NumSGPRsForWavesPerEU: 1
; NumVGPRsForWavesPerEU: 1
; Occupancy: 16
; WaveLimiterHint : 0
; COMPUTE_PGM_RSRC2:SCRATCH_EN: 0
; COMPUTE_PGM_RSRC2:USER_SGPR: 15
; COMPUTE_PGM_RSRC2:TRAP_HANDLER: 0
; COMPUTE_PGM_RSRC2:TGID_X_EN: 1
; COMPUTE_PGM_RSRC2:TGID_Y_EN: 0
; COMPUTE_PGM_RSRC2:TGID_Z_EN: 0
; COMPUTE_PGM_RSRC2:TIDIG_COMP_CNT: 0
	.section	.text._ZN7rocprim17ROCPRIM_400000_NS6detail17trampoline_kernelINS0_14default_configENS1_25partition_config_selectorILNS1_17partition_subalgoE8ElNS0_10empty_typeEbEEZZNS1_14partition_implILS5_8ELb0ES3_jPlPS6_PKS6_NS0_5tupleIJS9_S6_EEENSD_IJSA_SA_EEENS0_18inequality_wrapperIZN2at6native12_GLOBAL__N_124unique_dim_cuda_templateItEESt5tupleIJNSH_6TensorESM_SM_EERKSM_lbbbEUlllE0_EEPmJS6_EEE10hipError_tPvRmT3_T4_T5_T6_T7_T9_mT8_P12ihipStream_tbDpT10_ENKUlT_T0_E_clISt17integral_constantIbLb1EES1C_EEDaS17_S18_EUlS17_E_NS1_11comp_targetILNS1_3genE0ELNS1_11target_archE4294967295ELNS1_3gpuE0ELNS1_3repE0EEENS1_30default_config_static_selectorELNS0_4arch9wavefront6targetE0EEEvT1_,"axG",@progbits,_ZN7rocprim17ROCPRIM_400000_NS6detail17trampoline_kernelINS0_14default_configENS1_25partition_config_selectorILNS1_17partition_subalgoE8ElNS0_10empty_typeEbEEZZNS1_14partition_implILS5_8ELb0ES3_jPlPS6_PKS6_NS0_5tupleIJS9_S6_EEENSD_IJSA_SA_EEENS0_18inequality_wrapperIZN2at6native12_GLOBAL__N_124unique_dim_cuda_templateItEESt5tupleIJNSH_6TensorESM_SM_EERKSM_lbbbEUlllE0_EEPmJS6_EEE10hipError_tPvRmT3_T4_T5_T6_T7_T9_mT8_P12ihipStream_tbDpT10_ENKUlT_T0_E_clISt17integral_constantIbLb1EES1C_EEDaS17_S18_EUlS17_E_NS1_11comp_targetILNS1_3genE0ELNS1_11target_archE4294967295ELNS1_3gpuE0ELNS1_3repE0EEENS1_30default_config_static_selectorELNS0_4arch9wavefront6targetE0EEEvT1_,comdat
	.globl	_ZN7rocprim17ROCPRIM_400000_NS6detail17trampoline_kernelINS0_14default_configENS1_25partition_config_selectorILNS1_17partition_subalgoE8ElNS0_10empty_typeEbEEZZNS1_14partition_implILS5_8ELb0ES3_jPlPS6_PKS6_NS0_5tupleIJS9_S6_EEENSD_IJSA_SA_EEENS0_18inequality_wrapperIZN2at6native12_GLOBAL__N_124unique_dim_cuda_templateItEESt5tupleIJNSH_6TensorESM_SM_EERKSM_lbbbEUlllE0_EEPmJS6_EEE10hipError_tPvRmT3_T4_T5_T6_T7_T9_mT8_P12ihipStream_tbDpT10_ENKUlT_T0_E_clISt17integral_constantIbLb1EES1C_EEDaS17_S18_EUlS17_E_NS1_11comp_targetILNS1_3genE0ELNS1_11target_archE4294967295ELNS1_3gpuE0ELNS1_3repE0EEENS1_30default_config_static_selectorELNS0_4arch9wavefront6targetE0EEEvT1_ ; -- Begin function _ZN7rocprim17ROCPRIM_400000_NS6detail17trampoline_kernelINS0_14default_configENS1_25partition_config_selectorILNS1_17partition_subalgoE8ElNS0_10empty_typeEbEEZZNS1_14partition_implILS5_8ELb0ES3_jPlPS6_PKS6_NS0_5tupleIJS9_S6_EEENSD_IJSA_SA_EEENS0_18inequality_wrapperIZN2at6native12_GLOBAL__N_124unique_dim_cuda_templateItEESt5tupleIJNSH_6TensorESM_SM_EERKSM_lbbbEUlllE0_EEPmJS6_EEE10hipError_tPvRmT3_T4_T5_T6_T7_T9_mT8_P12ihipStream_tbDpT10_ENKUlT_T0_E_clISt17integral_constantIbLb1EES1C_EEDaS17_S18_EUlS17_E_NS1_11comp_targetILNS1_3genE0ELNS1_11target_archE4294967295ELNS1_3gpuE0ELNS1_3repE0EEENS1_30default_config_static_selectorELNS0_4arch9wavefront6targetE0EEEvT1_
	.p2align	8
	.type	_ZN7rocprim17ROCPRIM_400000_NS6detail17trampoline_kernelINS0_14default_configENS1_25partition_config_selectorILNS1_17partition_subalgoE8ElNS0_10empty_typeEbEEZZNS1_14partition_implILS5_8ELb0ES3_jPlPS6_PKS6_NS0_5tupleIJS9_S6_EEENSD_IJSA_SA_EEENS0_18inequality_wrapperIZN2at6native12_GLOBAL__N_124unique_dim_cuda_templateItEESt5tupleIJNSH_6TensorESM_SM_EERKSM_lbbbEUlllE0_EEPmJS6_EEE10hipError_tPvRmT3_T4_T5_T6_T7_T9_mT8_P12ihipStream_tbDpT10_ENKUlT_T0_E_clISt17integral_constantIbLb1EES1C_EEDaS17_S18_EUlS17_E_NS1_11comp_targetILNS1_3genE0ELNS1_11target_archE4294967295ELNS1_3gpuE0ELNS1_3repE0EEENS1_30default_config_static_selectorELNS0_4arch9wavefront6targetE0EEEvT1_,@function
_ZN7rocprim17ROCPRIM_400000_NS6detail17trampoline_kernelINS0_14default_configENS1_25partition_config_selectorILNS1_17partition_subalgoE8ElNS0_10empty_typeEbEEZZNS1_14partition_implILS5_8ELb0ES3_jPlPS6_PKS6_NS0_5tupleIJS9_S6_EEENSD_IJSA_SA_EEENS0_18inequality_wrapperIZN2at6native12_GLOBAL__N_124unique_dim_cuda_templateItEESt5tupleIJNSH_6TensorESM_SM_EERKSM_lbbbEUlllE0_EEPmJS6_EEE10hipError_tPvRmT3_T4_T5_T6_T7_T9_mT8_P12ihipStream_tbDpT10_ENKUlT_T0_E_clISt17integral_constantIbLb1EES1C_EEDaS17_S18_EUlS17_E_NS1_11comp_targetILNS1_3genE0ELNS1_11target_archE4294967295ELNS1_3gpuE0ELNS1_3repE0EEENS1_30default_config_static_selectorELNS0_4arch9wavefront6targetE0EEEvT1_: ; @_ZN7rocprim17ROCPRIM_400000_NS6detail17trampoline_kernelINS0_14default_configENS1_25partition_config_selectorILNS1_17partition_subalgoE8ElNS0_10empty_typeEbEEZZNS1_14partition_implILS5_8ELb0ES3_jPlPS6_PKS6_NS0_5tupleIJS9_S6_EEENSD_IJSA_SA_EEENS0_18inequality_wrapperIZN2at6native12_GLOBAL__N_124unique_dim_cuda_templateItEESt5tupleIJNSH_6TensorESM_SM_EERKSM_lbbbEUlllE0_EEPmJS6_EEE10hipError_tPvRmT3_T4_T5_T6_T7_T9_mT8_P12ihipStream_tbDpT10_ENKUlT_T0_E_clISt17integral_constantIbLb1EES1C_EEDaS17_S18_EUlS17_E_NS1_11comp_targetILNS1_3genE0ELNS1_11target_archE4294967295ELNS1_3gpuE0ELNS1_3repE0EEENS1_30default_config_static_selectorELNS0_4arch9wavefront6targetE0EEEvT1_
; %bb.0:
	.section	.rodata,"a",@progbits
	.p2align	6, 0x0
	.amdhsa_kernel _ZN7rocprim17ROCPRIM_400000_NS6detail17trampoline_kernelINS0_14default_configENS1_25partition_config_selectorILNS1_17partition_subalgoE8ElNS0_10empty_typeEbEEZZNS1_14partition_implILS5_8ELb0ES3_jPlPS6_PKS6_NS0_5tupleIJS9_S6_EEENSD_IJSA_SA_EEENS0_18inequality_wrapperIZN2at6native12_GLOBAL__N_124unique_dim_cuda_templateItEESt5tupleIJNSH_6TensorESM_SM_EERKSM_lbbbEUlllE0_EEPmJS6_EEE10hipError_tPvRmT3_T4_T5_T6_T7_T9_mT8_P12ihipStream_tbDpT10_ENKUlT_T0_E_clISt17integral_constantIbLb1EES1C_EEDaS17_S18_EUlS17_E_NS1_11comp_targetILNS1_3genE0ELNS1_11target_archE4294967295ELNS1_3gpuE0ELNS1_3repE0EEENS1_30default_config_static_selectorELNS0_4arch9wavefront6targetE0EEEvT1_
		.amdhsa_group_segment_fixed_size 0
		.amdhsa_private_segment_fixed_size 0
		.amdhsa_kernarg_size 136
		.amdhsa_user_sgpr_count 15
		.amdhsa_user_sgpr_dispatch_ptr 0
		.amdhsa_user_sgpr_queue_ptr 0
		.amdhsa_user_sgpr_kernarg_segment_ptr 1
		.amdhsa_user_sgpr_dispatch_id 0
		.amdhsa_user_sgpr_private_segment_size 0
		.amdhsa_wavefront_size32 1
		.amdhsa_uses_dynamic_stack 0
		.amdhsa_enable_private_segment 0
		.amdhsa_system_sgpr_workgroup_id_x 1
		.amdhsa_system_sgpr_workgroup_id_y 0
		.amdhsa_system_sgpr_workgroup_id_z 0
		.amdhsa_system_sgpr_workgroup_info 0
		.amdhsa_system_vgpr_workitem_id 0
		.amdhsa_next_free_vgpr 1
		.amdhsa_next_free_sgpr 1
		.amdhsa_reserve_vcc 0
		.amdhsa_float_round_mode_32 0
		.amdhsa_float_round_mode_16_64 0
		.amdhsa_float_denorm_mode_32 3
		.amdhsa_float_denorm_mode_16_64 3
		.amdhsa_dx10_clamp 1
		.amdhsa_ieee_mode 1
		.amdhsa_fp16_overflow 0
		.amdhsa_workgroup_processor_mode 1
		.amdhsa_memory_ordered 1
		.amdhsa_forward_progress 0
		.amdhsa_shared_vgpr_count 0
		.amdhsa_exception_fp_ieee_invalid_op 0
		.amdhsa_exception_fp_denorm_src 0
		.amdhsa_exception_fp_ieee_div_zero 0
		.amdhsa_exception_fp_ieee_overflow 0
		.amdhsa_exception_fp_ieee_underflow 0
		.amdhsa_exception_fp_ieee_inexact 0
		.amdhsa_exception_int_div_zero 0
	.end_amdhsa_kernel
	.section	.text._ZN7rocprim17ROCPRIM_400000_NS6detail17trampoline_kernelINS0_14default_configENS1_25partition_config_selectorILNS1_17partition_subalgoE8ElNS0_10empty_typeEbEEZZNS1_14partition_implILS5_8ELb0ES3_jPlPS6_PKS6_NS0_5tupleIJS9_S6_EEENSD_IJSA_SA_EEENS0_18inequality_wrapperIZN2at6native12_GLOBAL__N_124unique_dim_cuda_templateItEESt5tupleIJNSH_6TensorESM_SM_EERKSM_lbbbEUlllE0_EEPmJS6_EEE10hipError_tPvRmT3_T4_T5_T6_T7_T9_mT8_P12ihipStream_tbDpT10_ENKUlT_T0_E_clISt17integral_constantIbLb1EES1C_EEDaS17_S18_EUlS17_E_NS1_11comp_targetILNS1_3genE0ELNS1_11target_archE4294967295ELNS1_3gpuE0ELNS1_3repE0EEENS1_30default_config_static_selectorELNS0_4arch9wavefront6targetE0EEEvT1_,"axG",@progbits,_ZN7rocprim17ROCPRIM_400000_NS6detail17trampoline_kernelINS0_14default_configENS1_25partition_config_selectorILNS1_17partition_subalgoE8ElNS0_10empty_typeEbEEZZNS1_14partition_implILS5_8ELb0ES3_jPlPS6_PKS6_NS0_5tupleIJS9_S6_EEENSD_IJSA_SA_EEENS0_18inequality_wrapperIZN2at6native12_GLOBAL__N_124unique_dim_cuda_templateItEESt5tupleIJNSH_6TensorESM_SM_EERKSM_lbbbEUlllE0_EEPmJS6_EEE10hipError_tPvRmT3_T4_T5_T6_T7_T9_mT8_P12ihipStream_tbDpT10_ENKUlT_T0_E_clISt17integral_constantIbLb1EES1C_EEDaS17_S18_EUlS17_E_NS1_11comp_targetILNS1_3genE0ELNS1_11target_archE4294967295ELNS1_3gpuE0ELNS1_3repE0EEENS1_30default_config_static_selectorELNS0_4arch9wavefront6targetE0EEEvT1_,comdat
.Lfunc_end1425:
	.size	_ZN7rocprim17ROCPRIM_400000_NS6detail17trampoline_kernelINS0_14default_configENS1_25partition_config_selectorILNS1_17partition_subalgoE8ElNS0_10empty_typeEbEEZZNS1_14partition_implILS5_8ELb0ES3_jPlPS6_PKS6_NS0_5tupleIJS9_S6_EEENSD_IJSA_SA_EEENS0_18inequality_wrapperIZN2at6native12_GLOBAL__N_124unique_dim_cuda_templateItEESt5tupleIJNSH_6TensorESM_SM_EERKSM_lbbbEUlllE0_EEPmJS6_EEE10hipError_tPvRmT3_T4_T5_T6_T7_T9_mT8_P12ihipStream_tbDpT10_ENKUlT_T0_E_clISt17integral_constantIbLb1EES1C_EEDaS17_S18_EUlS17_E_NS1_11comp_targetILNS1_3genE0ELNS1_11target_archE4294967295ELNS1_3gpuE0ELNS1_3repE0EEENS1_30default_config_static_selectorELNS0_4arch9wavefront6targetE0EEEvT1_, .Lfunc_end1425-_ZN7rocprim17ROCPRIM_400000_NS6detail17trampoline_kernelINS0_14default_configENS1_25partition_config_selectorILNS1_17partition_subalgoE8ElNS0_10empty_typeEbEEZZNS1_14partition_implILS5_8ELb0ES3_jPlPS6_PKS6_NS0_5tupleIJS9_S6_EEENSD_IJSA_SA_EEENS0_18inequality_wrapperIZN2at6native12_GLOBAL__N_124unique_dim_cuda_templateItEESt5tupleIJNSH_6TensorESM_SM_EERKSM_lbbbEUlllE0_EEPmJS6_EEE10hipError_tPvRmT3_T4_T5_T6_T7_T9_mT8_P12ihipStream_tbDpT10_ENKUlT_T0_E_clISt17integral_constantIbLb1EES1C_EEDaS17_S18_EUlS17_E_NS1_11comp_targetILNS1_3genE0ELNS1_11target_archE4294967295ELNS1_3gpuE0ELNS1_3repE0EEENS1_30default_config_static_selectorELNS0_4arch9wavefront6targetE0EEEvT1_
                                        ; -- End function
	.section	.AMDGPU.csdata,"",@progbits
; Kernel info:
; codeLenInByte = 0
; NumSgprs: 0
; NumVgprs: 0
; ScratchSize: 0
; MemoryBound: 0
; FloatMode: 240
; IeeeMode: 1
; LDSByteSize: 0 bytes/workgroup (compile time only)
; SGPRBlocks: 0
; VGPRBlocks: 0
; NumSGPRsForWavesPerEU: 1
; NumVGPRsForWavesPerEU: 1
; Occupancy: 16
; WaveLimiterHint : 0
; COMPUTE_PGM_RSRC2:SCRATCH_EN: 0
; COMPUTE_PGM_RSRC2:USER_SGPR: 15
; COMPUTE_PGM_RSRC2:TRAP_HANDLER: 0
; COMPUTE_PGM_RSRC2:TGID_X_EN: 1
; COMPUTE_PGM_RSRC2:TGID_Y_EN: 0
; COMPUTE_PGM_RSRC2:TGID_Z_EN: 0
; COMPUTE_PGM_RSRC2:TIDIG_COMP_CNT: 0
	.section	.text._ZN7rocprim17ROCPRIM_400000_NS6detail17trampoline_kernelINS0_14default_configENS1_25partition_config_selectorILNS1_17partition_subalgoE8ElNS0_10empty_typeEbEEZZNS1_14partition_implILS5_8ELb0ES3_jPlPS6_PKS6_NS0_5tupleIJS9_S6_EEENSD_IJSA_SA_EEENS0_18inequality_wrapperIZN2at6native12_GLOBAL__N_124unique_dim_cuda_templateItEESt5tupleIJNSH_6TensorESM_SM_EERKSM_lbbbEUlllE0_EEPmJS6_EEE10hipError_tPvRmT3_T4_T5_T6_T7_T9_mT8_P12ihipStream_tbDpT10_ENKUlT_T0_E_clISt17integral_constantIbLb1EES1C_EEDaS17_S18_EUlS17_E_NS1_11comp_targetILNS1_3genE5ELNS1_11target_archE942ELNS1_3gpuE9ELNS1_3repE0EEENS1_30default_config_static_selectorELNS0_4arch9wavefront6targetE0EEEvT1_,"axG",@progbits,_ZN7rocprim17ROCPRIM_400000_NS6detail17trampoline_kernelINS0_14default_configENS1_25partition_config_selectorILNS1_17partition_subalgoE8ElNS0_10empty_typeEbEEZZNS1_14partition_implILS5_8ELb0ES3_jPlPS6_PKS6_NS0_5tupleIJS9_S6_EEENSD_IJSA_SA_EEENS0_18inequality_wrapperIZN2at6native12_GLOBAL__N_124unique_dim_cuda_templateItEESt5tupleIJNSH_6TensorESM_SM_EERKSM_lbbbEUlllE0_EEPmJS6_EEE10hipError_tPvRmT3_T4_T5_T6_T7_T9_mT8_P12ihipStream_tbDpT10_ENKUlT_T0_E_clISt17integral_constantIbLb1EES1C_EEDaS17_S18_EUlS17_E_NS1_11comp_targetILNS1_3genE5ELNS1_11target_archE942ELNS1_3gpuE9ELNS1_3repE0EEENS1_30default_config_static_selectorELNS0_4arch9wavefront6targetE0EEEvT1_,comdat
	.globl	_ZN7rocprim17ROCPRIM_400000_NS6detail17trampoline_kernelINS0_14default_configENS1_25partition_config_selectorILNS1_17partition_subalgoE8ElNS0_10empty_typeEbEEZZNS1_14partition_implILS5_8ELb0ES3_jPlPS6_PKS6_NS0_5tupleIJS9_S6_EEENSD_IJSA_SA_EEENS0_18inequality_wrapperIZN2at6native12_GLOBAL__N_124unique_dim_cuda_templateItEESt5tupleIJNSH_6TensorESM_SM_EERKSM_lbbbEUlllE0_EEPmJS6_EEE10hipError_tPvRmT3_T4_T5_T6_T7_T9_mT8_P12ihipStream_tbDpT10_ENKUlT_T0_E_clISt17integral_constantIbLb1EES1C_EEDaS17_S18_EUlS17_E_NS1_11comp_targetILNS1_3genE5ELNS1_11target_archE942ELNS1_3gpuE9ELNS1_3repE0EEENS1_30default_config_static_selectorELNS0_4arch9wavefront6targetE0EEEvT1_ ; -- Begin function _ZN7rocprim17ROCPRIM_400000_NS6detail17trampoline_kernelINS0_14default_configENS1_25partition_config_selectorILNS1_17partition_subalgoE8ElNS0_10empty_typeEbEEZZNS1_14partition_implILS5_8ELb0ES3_jPlPS6_PKS6_NS0_5tupleIJS9_S6_EEENSD_IJSA_SA_EEENS0_18inequality_wrapperIZN2at6native12_GLOBAL__N_124unique_dim_cuda_templateItEESt5tupleIJNSH_6TensorESM_SM_EERKSM_lbbbEUlllE0_EEPmJS6_EEE10hipError_tPvRmT3_T4_T5_T6_T7_T9_mT8_P12ihipStream_tbDpT10_ENKUlT_T0_E_clISt17integral_constantIbLb1EES1C_EEDaS17_S18_EUlS17_E_NS1_11comp_targetILNS1_3genE5ELNS1_11target_archE942ELNS1_3gpuE9ELNS1_3repE0EEENS1_30default_config_static_selectorELNS0_4arch9wavefront6targetE0EEEvT1_
	.p2align	8
	.type	_ZN7rocprim17ROCPRIM_400000_NS6detail17trampoline_kernelINS0_14default_configENS1_25partition_config_selectorILNS1_17partition_subalgoE8ElNS0_10empty_typeEbEEZZNS1_14partition_implILS5_8ELb0ES3_jPlPS6_PKS6_NS0_5tupleIJS9_S6_EEENSD_IJSA_SA_EEENS0_18inequality_wrapperIZN2at6native12_GLOBAL__N_124unique_dim_cuda_templateItEESt5tupleIJNSH_6TensorESM_SM_EERKSM_lbbbEUlllE0_EEPmJS6_EEE10hipError_tPvRmT3_T4_T5_T6_T7_T9_mT8_P12ihipStream_tbDpT10_ENKUlT_T0_E_clISt17integral_constantIbLb1EES1C_EEDaS17_S18_EUlS17_E_NS1_11comp_targetILNS1_3genE5ELNS1_11target_archE942ELNS1_3gpuE9ELNS1_3repE0EEENS1_30default_config_static_selectorELNS0_4arch9wavefront6targetE0EEEvT1_,@function
_ZN7rocprim17ROCPRIM_400000_NS6detail17trampoline_kernelINS0_14default_configENS1_25partition_config_selectorILNS1_17partition_subalgoE8ElNS0_10empty_typeEbEEZZNS1_14partition_implILS5_8ELb0ES3_jPlPS6_PKS6_NS0_5tupleIJS9_S6_EEENSD_IJSA_SA_EEENS0_18inequality_wrapperIZN2at6native12_GLOBAL__N_124unique_dim_cuda_templateItEESt5tupleIJNSH_6TensorESM_SM_EERKSM_lbbbEUlllE0_EEPmJS6_EEE10hipError_tPvRmT3_T4_T5_T6_T7_T9_mT8_P12ihipStream_tbDpT10_ENKUlT_T0_E_clISt17integral_constantIbLb1EES1C_EEDaS17_S18_EUlS17_E_NS1_11comp_targetILNS1_3genE5ELNS1_11target_archE942ELNS1_3gpuE9ELNS1_3repE0EEENS1_30default_config_static_selectorELNS0_4arch9wavefront6targetE0EEEvT1_: ; @_ZN7rocprim17ROCPRIM_400000_NS6detail17trampoline_kernelINS0_14default_configENS1_25partition_config_selectorILNS1_17partition_subalgoE8ElNS0_10empty_typeEbEEZZNS1_14partition_implILS5_8ELb0ES3_jPlPS6_PKS6_NS0_5tupleIJS9_S6_EEENSD_IJSA_SA_EEENS0_18inequality_wrapperIZN2at6native12_GLOBAL__N_124unique_dim_cuda_templateItEESt5tupleIJNSH_6TensorESM_SM_EERKSM_lbbbEUlllE0_EEPmJS6_EEE10hipError_tPvRmT3_T4_T5_T6_T7_T9_mT8_P12ihipStream_tbDpT10_ENKUlT_T0_E_clISt17integral_constantIbLb1EES1C_EEDaS17_S18_EUlS17_E_NS1_11comp_targetILNS1_3genE5ELNS1_11target_archE942ELNS1_3gpuE9ELNS1_3repE0EEENS1_30default_config_static_selectorELNS0_4arch9wavefront6targetE0EEEvT1_
; %bb.0:
	.section	.rodata,"a",@progbits
	.p2align	6, 0x0
	.amdhsa_kernel _ZN7rocprim17ROCPRIM_400000_NS6detail17trampoline_kernelINS0_14default_configENS1_25partition_config_selectorILNS1_17partition_subalgoE8ElNS0_10empty_typeEbEEZZNS1_14partition_implILS5_8ELb0ES3_jPlPS6_PKS6_NS0_5tupleIJS9_S6_EEENSD_IJSA_SA_EEENS0_18inequality_wrapperIZN2at6native12_GLOBAL__N_124unique_dim_cuda_templateItEESt5tupleIJNSH_6TensorESM_SM_EERKSM_lbbbEUlllE0_EEPmJS6_EEE10hipError_tPvRmT3_T4_T5_T6_T7_T9_mT8_P12ihipStream_tbDpT10_ENKUlT_T0_E_clISt17integral_constantIbLb1EES1C_EEDaS17_S18_EUlS17_E_NS1_11comp_targetILNS1_3genE5ELNS1_11target_archE942ELNS1_3gpuE9ELNS1_3repE0EEENS1_30default_config_static_selectorELNS0_4arch9wavefront6targetE0EEEvT1_
		.amdhsa_group_segment_fixed_size 0
		.amdhsa_private_segment_fixed_size 0
		.amdhsa_kernarg_size 136
		.amdhsa_user_sgpr_count 15
		.amdhsa_user_sgpr_dispatch_ptr 0
		.amdhsa_user_sgpr_queue_ptr 0
		.amdhsa_user_sgpr_kernarg_segment_ptr 1
		.amdhsa_user_sgpr_dispatch_id 0
		.amdhsa_user_sgpr_private_segment_size 0
		.amdhsa_wavefront_size32 1
		.amdhsa_uses_dynamic_stack 0
		.amdhsa_enable_private_segment 0
		.amdhsa_system_sgpr_workgroup_id_x 1
		.amdhsa_system_sgpr_workgroup_id_y 0
		.amdhsa_system_sgpr_workgroup_id_z 0
		.amdhsa_system_sgpr_workgroup_info 0
		.amdhsa_system_vgpr_workitem_id 0
		.amdhsa_next_free_vgpr 1
		.amdhsa_next_free_sgpr 1
		.amdhsa_reserve_vcc 0
		.amdhsa_float_round_mode_32 0
		.amdhsa_float_round_mode_16_64 0
		.amdhsa_float_denorm_mode_32 3
		.amdhsa_float_denorm_mode_16_64 3
		.amdhsa_dx10_clamp 1
		.amdhsa_ieee_mode 1
		.amdhsa_fp16_overflow 0
		.amdhsa_workgroup_processor_mode 1
		.amdhsa_memory_ordered 1
		.amdhsa_forward_progress 0
		.amdhsa_shared_vgpr_count 0
		.amdhsa_exception_fp_ieee_invalid_op 0
		.amdhsa_exception_fp_denorm_src 0
		.amdhsa_exception_fp_ieee_div_zero 0
		.amdhsa_exception_fp_ieee_overflow 0
		.amdhsa_exception_fp_ieee_underflow 0
		.amdhsa_exception_fp_ieee_inexact 0
		.amdhsa_exception_int_div_zero 0
	.end_amdhsa_kernel
	.section	.text._ZN7rocprim17ROCPRIM_400000_NS6detail17trampoline_kernelINS0_14default_configENS1_25partition_config_selectorILNS1_17partition_subalgoE8ElNS0_10empty_typeEbEEZZNS1_14partition_implILS5_8ELb0ES3_jPlPS6_PKS6_NS0_5tupleIJS9_S6_EEENSD_IJSA_SA_EEENS0_18inequality_wrapperIZN2at6native12_GLOBAL__N_124unique_dim_cuda_templateItEESt5tupleIJNSH_6TensorESM_SM_EERKSM_lbbbEUlllE0_EEPmJS6_EEE10hipError_tPvRmT3_T4_T5_T6_T7_T9_mT8_P12ihipStream_tbDpT10_ENKUlT_T0_E_clISt17integral_constantIbLb1EES1C_EEDaS17_S18_EUlS17_E_NS1_11comp_targetILNS1_3genE5ELNS1_11target_archE942ELNS1_3gpuE9ELNS1_3repE0EEENS1_30default_config_static_selectorELNS0_4arch9wavefront6targetE0EEEvT1_,"axG",@progbits,_ZN7rocprim17ROCPRIM_400000_NS6detail17trampoline_kernelINS0_14default_configENS1_25partition_config_selectorILNS1_17partition_subalgoE8ElNS0_10empty_typeEbEEZZNS1_14partition_implILS5_8ELb0ES3_jPlPS6_PKS6_NS0_5tupleIJS9_S6_EEENSD_IJSA_SA_EEENS0_18inequality_wrapperIZN2at6native12_GLOBAL__N_124unique_dim_cuda_templateItEESt5tupleIJNSH_6TensorESM_SM_EERKSM_lbbbEUlllE0_EEPmJS6_EEE10hipError_tPvRmT3_T4_T5_T6_T7_T9_mT8_P12ihipStream_tbDpT10_ENKUlT_T0_E_clISt17integral_constantIbLb1EES1C_EEDaS17_S18_EUlS17_E_NS1_11comp_targetILNS1_3genE5ELNS1_11target_archE942ELNS1_3gpuE9ELNS1_3repE0EEENS1_30default_config_static_selectorELNS0_4arch9wavefront6targetE0EEEvT1_,comdat
.Lfunc_end1426:
	.size	_ZN7rocprim17ROCPRIM_400000_NS6detail17trampoline_kernelINS0_14default_configENS1_25partition_config_selectorILNS1_17partition_subalgoE8ElNS0_10empty_typeEbEEZZNS1_14partition_implILS5_8ELb0ES3_jPlPS6_PKS6_NS0_5tupleIJS9_S6_EEENSD_IJSA_SA_EEENS0_18inequality_wrapperIZN2at6native12_GLOBAL__N_124unique_dim_cuda_templateItEESt5tupleIJNSH_6TensorESM_SM_EERKSM_lbbbEUlllE0_EEPmJS6_EEE10hipError_tPvRmT3_T4_T5_T6_T7_T9_mT8_P12ihipStream_tbDpT10_ENKUlT_T0_E_clISt17integral_constantIbLb1EES1C_EEDaS17_S18_EUlS17_E_NS1_11comp_targetILNS1_3genE5ELNS1_11target_archE942ELNS1_3gpuE9ELNS1_3repE0EEENS1_30default_config_static_selectorELNS0_4arch9wavefront6targetE0EEEvT1_, .Lfunc_end1426-_ZN7rocprim17ROCPRIM_400000_NS6detail17trampoline_kernelINS0_14default_configENS1_25partition_config_selectorILNS1_17partition_subalgoE8ElNS0_10empty_typeEbEEZZNS1_14partition_implILS5_8ELb0ES3_jPlPS6_PKS6_NS0_5tupleIJS9_S6_EEENSD_IJSA_SA_EEENS0_18inequality_wrapperIZN2at6native12_GLOBAL__N_124unique_dim_cuda_templateItEESt5tupleIJNSH_6TensorESM_SM_EERKSM_lbbbEUlllE0_EEPmJS6_EEE10hipError_tPvRmT3_T4_T5_T6_T7_T9_mT8_P12ihipStream_tbDpT10_ENKUlT_T0_E_clISt17integral_constantIbLb1EES1C_EEDaS17_S18_EUlS17_E_NS1_11comp_targetILNS1_3genE5ELNS1_11target_archE942ELNS1_3gpuE9ELNS1_3repE0EEENS1_30default_config_static_selectorELNS0_4arch9wavefront6targetE0EEEvT1_
                                        ; -- End function
	.section	.AMDGPU.csdata,"",@progbits
; Kernel info:
; codeLenInByte = 0
; NumSgprs: 0
; NumVgprs: 0
; ScratchSize: 0
; MemoryBound: 0
; FloatMode: 240
; IeeeMode: 1
; LDSByteSize: 0 bytes/workgroup (compile time only)
; SGPRBlocks: 0
; VGPRBlocks: 0
; NumSGPRsForWavesPerEU: 1
; NumVGPRsForWavesPerEU: 1
; Occupancy: 16
; WaveLimiterHint : 0
; COMPUTE_PGM_RSRC2:SCRATCH_EN: 0
; COMPUTE_PGM_RSRC2:USER_SGPR: 15
; COMPUTE_PGM_RSRC2:TRAP_HANDLER: 0
; COMPUTE_PGM_RSRC2:TGID_X_EN: 1
; COMPUTE_PGM_RSRC2:TGID_Y_EN: 0
; COMPUTE_PGM_RSRC2:TGID_Z_EN: 0
; COMPUTE_PGM_RSRC2:TIDIG_COMP_CNT: 0
	.section	.text._ZN7rocprim17ROCPRIM_400000_NS6detail17trampoline_kernelINS0_14default_configENS1_25partition_config_selectorILNS1_17partition_subalgoE8ElNS0_10empty_typeEbEEZZNS1_14partition_implILS5_8ELb0ES3_jPlPS6_PKS6_NS0_5tupleIJS9_S6_EEENSD_IJSA_SA_EEENS0_18inequality_wrapperIZN2at6native12_GLOBAL__N_124unique_dim_cuda_templateItEESt5tupleIJNSH_6TensorESM_SM_EERKSM_lbbbEUlllE0_EEPmJS6_EEE10hipError_tPvRmT3_T4_T5_T6_T7_T9_mT8_P12ihipStream_tbDpT10_ENKUlT_T0_E_clISt17integral_constantIbLb1EES1C_EEDaS17_S18_EUlS17_E_NS1_11comp_targetILNS1_3genE4ELNS1_11target_archE910ELNS1_3gpuE8ELNS1_3repE0EEENS1_30default_config_static_selectorELNS0_4arch9wavefront6targetE0EEEvT1_,"axG",@progbits,_ZN7rocprim17ROCPRIM_400000_NS6detail17trampoline_kernelINS0_14default_configENS1_25partition_config_selectorILNS1_17partition_subalgoE8ElNS0_10empty_typeEbEEZZNS1_14partition_implILS5_8ELb0ES3_jPlPS6_PKS6_NS0_5tupleIJS9_S6_EEENSD_IJSA_SA_EEENS0_18inequality_wrapperIZN2at6native12_GLOBAL__N_124unique_dim_cuda_templateItEESt5tupleIJNSH_6TensorESM_SM_EERKSM_lbbbEUlllE0_EEPmJS6_EEE10hipError_tPvRmT3_T4_T5_T6_T7_T9_mT8_P12ihipStream_tbDpT10_ENKUlT_T0_E_clISt17integral_constantIbLb1EES1C_EEDaS17_S18_EUlS17_E_NS1_11comp_targetILNS1_3genE4ELNS1_11target_archE910ELNS1_3gpuE8ELNS1_3repE0EEENS1_30default_config_static_selectorELNS0_4arch9wavefront6targetE0EEEvT1_,comdat
	.globl	_ZN7rocprim17ROCPRIM_400000_NS6detail17trampoline_kernelINS0_14default_configENS1_25partition_config_selectorILNS1_17partition_subalgoE8ElNS0_10empty_typeEbEEZZNS1_14partition_implILS5_8ELb0ES3_jPlPS6_PKS6_NS0_5tupleIJS9_S6_EEENSD_IJSA_SA_EEENS0_18inequality_wrapperIZN2at6native12_GLOBAL__N_124unique_dim_cuda_templateItEESt5tupleIJNSH_6TensorESM_SM_EERKSM_lbbbEUlllE0_EEPmJS6_EEE10hipError_tPvRmT3_T4_T5_T6_T7_T9_mT8_P12ihipStream_tbDpT10_ENKUlT_T0_E_clISt17integral_constantIbLb1EES1C_EEDaS17_S18_EUlS17_E_NS1_11comp_targetILNS1_3genE4ELNS1_11target_archE910ELNS1_3gpuE8ELNS1_3repE0EEENS1_30default_config_static_selectorELNS0_4arch9wavefront6targetE0EEEvT1_ ; -- Begin function _ZN7rocprim17ROCPRIM_400000_NS6detail17trampoline_kernelINS0_14default_configENS1_25partition_config_selectorILNS1_17partition_subalgoE8ElNS0_10empty_typeEbEEZZNS1_14partition_implILS5_8ELb0ES3_jPlPS6_PKS6_NS0_5tupleIJS9_S6_EEENSD_IJSA_SA_EEENS0_18inequality_wrapperIZN2at6native12_GLOBAL__N_124unique_dim_cuda_templateItEESt5tupleIJNSH_6TensorESM_SM_EERKSM_lbbbEUlllE0_EEPmJS6_EEE10hipError_tPvRmT3_T4_T5_T6_T7_T9_mT8_P12ihipStream_tbDpT10_ENKUlT_T0_E_clISt17integral_constantIbLb1EES1C_EEDaS17_S18_EUlS17_E_NS1_11comp_targetILNS1_3genE4ELNS1_11target_archE910ELNS1_3gpuE8ELNS1_3repE0EEENS1_30default_config_static_selectorELNS0_4arch9wavefront6targetE0EEEvT1_
	.p2align	8
	.type	_ZN7rocprim17ROCPRIM_400000_NS6detail17trampoline_kernelINS0_14default_configENS1_25partition_config_selectorILNS1_17partition_subalgoE8ElNS0_10empty_typeEbEEZZNS1_14partition_implILS5_8ELb0ES3_jPlPS6_PKS6_NS0_5tupleIJS9_S6_EEENSD_IJSA_SA_EEENS0_18inequality_wrapperIZN2at6native12_GLOBAL__N_124unique_dim_cuda_templateItEESt5tupleIJNSH_6TensorESM_SM_EERKSM_lbbbEUlllE0_EEPmJS6_EEE10hipError_tPvRmT3_T4_T5_T6_T7_T9_mT8_P12ihipStream_tbDpT10_ENKUlT_T0_E_clISt17integral_constantIbLb1EES1C_EEDaS17_S18_EUlS17_E_NS1_11comp_targetILNS1_3genE4ELNS1_11target_archE910ELNS1_3gpuE8ELNS1_3repE0EEENS1_30default_config_static_selectorELNS0_4arch9wavefront6targetE0EEEvT1_,@function
_ZN7rocprim17ROCPRIM_400000_NS6detail17trampoline_kernelINS0_14default_configENS1_25partition_config_selectorILNS1_17partition_subalgoE8ElNS0_10empty_typeEbEEZZNS1_14partition_implILS5_8ELb0ES3_jPlPS6_PKS6_NS0_5tupleIJS9_S6_EEENSD_IJSA_SA_EEENS0_18inequality_wrapperIZN2at6native12_GLOBAL__N_124unique_dim_cuda_templateItEESt5tupleIJNSH_6TensorESM_SM_EERKSM_lbbbEUlllE0_EEPmJS6_EEE10hipError_tPvRmT3_T4_T5_T6_T7_T9_mT8_P12ihipStream_tbDpT10_ENKUlT_T0_E_clISt17integral_constantIbLb1EES1C_EEDaS17_S18_EUlS17_E_NS1_11comp_targetILNS1_3genE4ELNS1_11target_archE910ELNS1_3gpuE8ELNS1_3repE0EEENS1_30default_config_static_selectorELNS0_4arch9wavefront6targetE0EEEvT1_: ; @_ZN7rocprim17ROCPRIM_400000_NS6detail17trampoline_kernelINS0_14default_configENS1_25partition_config_selectorILNS1_17partition_subalgoE8ElNS0_10empty_typeEbEEZZNS1_14partition_implILS5_8ELb0ES3_jPlPS6_PKS6_NS0_5tupleIJS9_S6_EEENSD_IJSA_SA_EEENS0_18inequality_wrapperIZN2at6native12_GLOBAL__N_124unique_dim_cuda_templateItEESt5tupleIJNSH_6TensorESM_SM_EERKSM_lbbbEUlllE0_EEPmJS6_EEE10hipError_tPvRmT3_T4_T5_T6_T7_T9_mT8_P12ihipStream_tbDpT10_ENKUlT_T0_E_clISt17integral_constantIbLb1EES1C_EEDaS17_S18_EUlS17_E_NS1_11comp_targetILNS1_3genE4ELNS1_11target_archE910ELNS1_3gpuE8ELNS1_3repE0EEENS1_30default_config_static_selectorELNS0_4arch9wavefront6targetE0EEEvT1_
; %bb.0:
	.section	.rodata,"a",@progbits
	.p2align	6, 0x0
	.amdhsa_kernel _ZN7rocprim17ROCPRIM_400000_NS6detail17trampoline_kernelINS0_14default_configENS1_25partition_config_selectorILNS1_17partition_subalgoE8ElNS0_10empty_typeEbEEZZNS1_14partition_implILS5_8ELb0ES3_jPlPS6_PKS6_NS0_5tupleIJS9_S6_EEENSD_IJSA_SA_EEENS0_18inequality_wrapperIZN2at6native12_GLOBAL__N_124unique_dim_cuda_templateItEESt5tupleIJNSH_6TensorESM_SM_EERKSM_lbbbEUlllE0_EEPmJS6_EEE10hipError_tPvRmT3_T4_T5_T6_T7_T9_mT8_P12ihipStream_tbDpT10_ENKUlT_T0_E_clISt17integral_constantIbLb1EES1C_EEDaS17_S18_EUlS17_E_NS1_11comp_targetILNS1_3genE4ELNS1_11target_archE910ELNS1_3gpuE8ELNS1_3repE0EEENS1_30default_config_static_selectorELNS0_4arch9wavefront6targetE0EEEvT1_
		.amdhsa_group_segment_fixed_size 0
		.amdhsa_private_segment_fixed_size 0
		.amdhsa_kernarg_size 136
		.amdhsa_user_sgpr_count 15
		.amdhsa_user_sgpr_dispatch_ptr 0
		.amdhsa_user_sgpr_queue_ptr 0
		.amdhsa_user_sgpr_kernarg_segment_ptr 1
		.amdhsa_user_sgpr_dispatch_id 0
		.amdhsa_user_sgpr_private_segment_size 0
		.amdhsa_wavefront_size32 1
		.amdhsa_uses_dynamic_stack 0
		.amdhsa_enable_private_segment 0
		.amdhsa_system_sgpr_workgroup_id_x 1
		.amdhsa_system_sgpr_workgroup_id_y 0
		.amdhsa_system_sgpr_workgroup_id_z 0
		.amdhsa_system_sgpr_workgroup_info 0
		.amdhsa_system_vgpr_workitem_id 0
		.amdhsa_next_free_vgpr 1
		.amdhsa_next_free_sgpr 1
		.amdhsa_reserve_vcc 0
		.amdhsa_float_round_mode_32 0
		.amdhsa_float_round_mode_16_64 0
		.amdhsa_float_denorm_mode_32 3
		.amdhsa_float_denorm_mode_16_64 3
		.amdhsa_dx10_clamp 1
		.amdhsa_ieee_mode 1
		.amdhsa_fp16_overflow 0
		.amdhsa_workgroup_processor_mode 1
		.amdhsa_memory_ordered 1
		.amdhsa_forward_progress 0
		.amdhsa_shared_vgpr_count 0
		.amdhsa_exception_fp_ieee_invalid_op 0
		.amdhsa_exception_fp_denorm_src 0
		.amdhsa_exception_fp_ieee_div_zero 0
		.amdhsa_exception_fp_ieee_overflow 0
		.amdhsa_exception_fp_ieee_underflow 0
		.amdhsa_exception_fp_ieee_inexact 0
		.amdhsa_exception_int_div_zero 0
	.end_amdhsa_kernel
	.section	.text._ZN7rocprim17ROCPRIM_400000_NS6detail17trampoline_kernelINS0_14default_configENS1_25partition_config_selectorILNS1_17partition_subalgoE8ElNS0_10empty_typeEbEEZZNS1_14partition_implILS5_8ELb0ES3_jPlPS6_PKS6_NS0_5tupleIJS9_S6_EEENSD_IJSA_SA_EEENS0_18inequality_wrapperIZN2at6native12_GLOBAL__N_124unique_dim_cuda_templateItEESt5tupleIJNSH_6TensorESM_SM_EERKSM_lbbbEUlllE0_EEPmJS6_EEE10hipError_tPvRmT3_T4_T5_T6_T7_T9_mT8_P12ihipStream_tbDpT10_ENKUlT_T0_E_clISt17integral_constantIbLb1EES1C_EEDaS17_S18_EUlS17_E_NS1_11comp_targetILNS1_3genE4ELNS1_11target_archE910ELNS1_3gpuE8ELNS1_3repE0EEENS1_30default_config_static_selectorELNS0_4arch9wavefront6targetE0EEEvT1_,"axG",@progbits,_ZN7rocprim17ROCPRIM_400000_NS6detail17trampoline_kernelINS0_14default_configENS1_25partition_config_selectorILNS1_17partition_subalgoE8ElNS0_10empty_typeEbEEZZNS1_14partition_implILS5_8ELb0ES3_jPlPS6_PKS6_NS0_5tupleIJS9_S6_EEENSD_IJSA_SA_EEENS0_18inequality_wrapperIZN2at6native12_GLOBAL__N_124unique_dim_cuda_templateItEESt5tupleIJNSH_6TensorESM_SM_EERKSM_lbbbEUlllE0_EEPmJS6_EEE10hipError_tPvRmT3_T4_T5_T6_T7_T9_mT8_P12ihipStream_tbDpT10_ENKUlT_T0_E_clISt17integral_constantIbLb1EES1C_EEDaS17_S18_EUlS17_E_NS1_11comp_targetILNS1_3genE4ELNS1_11target_archE910ELNS1_3gpuE8ELNS1_3repE0EEENS1_30default_config_static_selectorELNS0_4arch9wavefront6targetE0EEEvT1_,comdat
.Lfunc_end1427:
	.size	_ZN7rocprim17ROCPRIM_400000_NS6detail17trampoline_kernelINS0_14default_configENS1_25partition_config_selectorILNS1_17partition_subalgoE8ElNS0_10empty_typeEbEEZZNS1_14partition_implILS5_8ELb0ES3_jPlPS6_PKS6_NS0_5tupleIJS9_S6_EEENSD_IJSA_SA_EEENS0_18inequality_wrapperIZN2at6native12_GLOBAL__N_124unique_dim_cuda_templateItEESt5tupleIJNSH_6TensorESM_SM_EERKSM_lbbbEUlllE0_EEPmJS6_EEE10hipError_tPvRmT3_T4_T5_T6_T7_T9_mT8_P12ihipStream_tbDpT10_ENKUlT_T0_E_clISt17integral_constantIbLb1EES1C_EEDaS17_S18_EUlS17_E_NS1_11comp_targetILNS1_3genE4ELNS1_11target_archE910ELNS1_3gpuE8ELNS1_3repE0EEENS1_30default_config_static_selectorELNS0_4arch9wavefront6targetE0EEEvT1_, .Lfunc_end1427-_ZN7rocprim17ROCPRIM_400000_NS6detail17trampoline_kernelINS0_14default_configENS1_25partition_config_selectorILNS1_17partition_subalgoE8ElNS0_10empty_typeEbEEZZNS1_14partition_implILS5_8ELb0ES3_jPlPS6_PKS6_NS0_5tupleIJS9_S6_EEENSD_IJSA_SA_EEENS0_18inequality_wrapperIZN2at6native12_GLOBAL__N_124unique_dim_cuda_templateItEESt5tupleIJNSH_6TensorESM_SM_EERKSM_lbbbEUlllE0_EEPmJS6_EEE10hipError_tPvRmT3_T4_T5_T6_T7_T9_mT8_P12ihipStream_tbDpT10_ENKUlT_T0_E_clISt17integral_constantIbLb1EES1C_EEDaS17_S18_EUlS17_E_NS1_11comp_targetILNS1_3genE4ELNS1_11target_archE910ELNS1_3gpuE8ELNS1_3repE0EEENS1_30default_config_static_selectorELNS0_4arch9wavefront6targetE0EEEvT1_
                                        ; -- End function
	.section	.AMDGPU.csdata,"",@progbits
; Kernel info:
; codeLenInByte = 0
; NumSgprs: 0
; NumVgprs: 0
; ScratchSize: 0
; MemoryBound: 0
; FloatMode: 240
; IeeeMode: 1
; LDSByteSize: 0 bytes/workgroup (compile time only)
; SGPRBlocks: 0
; VGPRBlocks: 0
; NumSGPRsForWavesPerEU: 1
; NumVGPRsForWavesPerEU: 1
; Occupancy: 16
; WaveLimiterHint : 0
; COMPUTE_PGM_RSRC2:SCRATCH_EN: 0
; COMPUTE_PGM_RSRC2:USER_SGPR: 15
; COMPUTE_PGM_RSRC2:TRAP_HANDLER: 0
; COMPUTE_PGM_RSRC2:TGID_X_EN: 1
; COMPUTE_PGM_RSRC2:TGID_Y_EN: 0
; COMPUTE_PGM_RSRC2:TGID_Z_EN: 0
; COMPUTE_PGM_RSRC2:TIDIG_COMP_CNT: 0
	.section	.text._ZN7rocprim17ROCPRIM_400000_NS6detail17trampoline_kernelINS0_14default_configENS1_25partition_config_selectorILNS1_17partition_subalgoE8ElNS0_10empty_typeEbEEZZNS1_14partition_implILS5_8ELb0ES3_jPlPS6_PKS6_NS0_5tupleIJS9_S6_EEENSD_IJSA_SA_EEENS0_18inequality_wrapperIZN2at6native12_GLOBAL__N_124unique_dim_cuda_templateItEESt5tupleIJNSH_6TensorESM_SM_EERKSM_lbbbEUlllE0_EEPmJS6_EEE10hipError_tPvRmT3_T4_T5_T6_T7_T9_mT8_P12ihipStream_tbDpT10_ENKUlT_T0_E_clISt17integral_constantIbLb1EES1C_EEDaS17_S18_EUlS17_E_NS1_11comp_targetILNS1_3genE3ELNS1_11target_archE908ELNS1_3gpuE7ELNS1_3repE0EEENS1_30default_config_static_selectorELNS0_4arch9wavefront6targetE0EEEvT1_,"axG",@progbits,_ZN7rocprim17ROCPRIM_400000_NS6detail17trampoline_kernelINS0_14default_configENS1_25partition_config_selectorILNS1_17partition_subalgoE8ElNS0_10empty_typeEbEEZZNS1_14partition_implILS5_8ELb0ES3_jPlPS6_PKS6_NS0_5tupleIJS9_S6_EEENSD_IJSA_SA_EEENS0_18inequality_wrapperIZN2at6native12_GLOBAL__N_124unique_dim_cuda_templateItEESt5tupleIJNSH_6TensorESM_SM_EERKSM_lbbbEUlllE0_EEPmJS6_EEE10hipError_tPvRmT3_T4_T5_T6_T7_T9_mT8_P12ihipStream_tbDpT10_ENKUlT_T0_E_clISt17integral_constantIbLb1EES1C_EEDaS17_S18_EUlS17_E_NS1_11comp_targetILNS1_3genE3ELNS1_11target_archE908ELNS1_3gpuE7ELNS1_3repE0EEENS1_30default_config_static_selectorELNS0_4arch9wavefront6targetE0EEEvT1_,comdat
	.globl	_ZN7rocprim17ROCPRIM_400000_NS6detail17trampoline_kernelINS0_14default_configENS1_25partition_config_selectorILNS1_17partition_subalgoE8ElNS0_10empty_typeEbEEZZNS1_14partition_implILS5_8ELb0ES3_jPlPS6_PKS6_NS0_5tupleIJS9_S6_EEENSD_IJSA_SA_EEENS0_18inequality_wrapperIZN2at6native12_GLOBAL__N_124unique_dim_cuda_templateItEESt5tupleIJNSH_6TensorESM_SM_EERKSM_lbbbEUlllE0_EEPmJS6_EEE10hipError_tPvRmT3_T4_T5_T6_T7_T9_mT8_P12ihipStream_tbDpT10_ENKUlT_T0_E_clISt17integral_constantIbLb1EES1C_EEDaS17_S18_EUlS17_E_NS1_11comp_targetILNS1_3genE3ELNS1_11target_archE908ELNS1_3gpuE7ELNS1_3repE0EEENS1_30default_config_static_selectorELNS0_4arch9wavefront6targetE0EEEvT1_ ; -- Begin function _ZN7rocprim17ROCPRIM_400000_NS6detail17trampoline_kernelINS0_14default_configENS1_25partition_config_selectorILNS1_17partition_subalgoE8ElNS0_10empty_typeEbEEZZNS1_14partition_implILS5_8ELb0ES3_jPlPS6_PKS6_NS0_5tupleIJS9_S6_EEENSD_IJSA_SA_EEENS0_18inequality_wrapperIZN2at6native12_GLOBAL__N_124unique_dim_cuda_templateItEESt5tupleIJNSH_6TensorESM_SM_EERKSM_lbbbEUlllE0_EEPmJS6_EEE10hipError_tPvRmT3_T4_T5_T6_T7_T9_mT8_P12ihipStream_tbDpT10_ENKUlT_T0_E_clISt17integral_constantIbLb1EES1C_EEDaS17_S18_EUlS17_E_NS1_11comp_targetILNS1_3genE3ELNS1_11target_archE908ELNS1_3gpuE7ELNS1_3repE0EEENS1_30default_config_static_selectorELNS0_4arch9wavefront6targetE0EEEvT1_
	.p2align	8
	.type	_ZN7rocprim17ROCPRIM_400000_NS6detail17trampoline_kernelINS0_14default_configENS1_25partition_config_selectorILNS1_17partition_subalgoE8ElNS0_10empty_typeEbEEZZNS1_14partition_implILS5_8ELb0ES3_jPlPS6_PKS6_NS0_5tupleIJS9_S6_EEENSD_IJSA_SA_EEENS0_18inequality_wrapperIZN2at6native12_GLOBAL__N_124unique_dim_cuda_templateItEESt5tupleIJNSH_6TensorESM_SM_EERKSM_lbbbEUlllE0_EEPmJS6_EEE10hipError_tPvRmT3_T4_T5_T6_T7_T9_mT8_P12ihipStream_tbDpT10_ENKUlT_T0_E_clISt17integral_constantIbLb1EES1C_EEDaS17_S18_EUlS17_E_NS1_11comp_targetILNS1_3genE3ELNS1_11target_archE908ELNS1_3gpuE7ELNS1_3repE0EEENS1_30default_config_static_selectorELNS0_4arch9wavefront6targetE0EEEvT1_,@function
_ZN7rocprim17ROCPRIM_400000_NS6detail17trampoline_kernelINS0_14default_configENS1_25partition_config_selectorILNS1_17partition_subalgoE8ElNS0_10empty_typeEbEEZZNS1_14partition_implILS5_8ELb0ES3_jPlPS6_PKS6_NS0_5tupleIJS9_S6_EEENSD_IJSA_SA_EEENS0_18inequality_wrapperIZN2at6native12_GLOBAL__N_124unique_dim_cuda_templateItEESt5tupleIJNSH_6TensorESM_SM_EERKSM_lbbbEUlllE0_EEPmJS6_EEE10hipError_tPvRmT3_T4_T5_T6_T7_T9_mT8_P12ihipStream_tbDpT10_ENKUlT_T0_E_clISt17integral_constantIbLb1EES1C_EEDaS17_S18_EUlS17_E_NS1_11comp_targetILNS1_3genE3ELNS1_11target_archE908ELNS1_3gpuE7ELNS1_3repE0EEENS1_30default_config_static_selectorELNS0_4arch9wavefront6targetE0EEEvT1_: ; @_ZN7rocprim17ROCPRIM_400000_NS6detail17trampoline_kernelINS0_14default_configENS1_25partition_config_selectorILNS1_17partition_subalgoE8ElNS0_10empty_typeEbEEZZNS1_14partition_implILS5_8ELb0ES3_jPlPS6_PKS6_NS0_5tupleIJS9_S6_EEENSD_IJSA_SA_EEENS0_18inequality_wrapperIZN2at6native12_GLOBAL__N_124unique_dim_cuda_templateItEESt5tupleIJNSH_6TensorESM_SM_EERKSM_lbbbEUlllE0_EEPmJS6_EEE10hipError_tPvRmT3_T4_T5_T6_T7_T9_mT8_P12ihipStream_tbDpT10_ENKUlT_T0_E_clISt17integral_constantIbLb1EES1C_EEDaS17_S18_EUlS17_E_NS1_11comp_targetILNS1_3genE3ELNS1_11target_archE908ELNS1_3gpuE7ELNS1_3repE0EEENS1_30default_config_static_selectorELNS0_4arch9wavefront6targetE0EEEvT1_
; %bb.0:
	.section	.rodata,"a",@progbits
	.p2align	6, 0x0
	.amdhsa_kernel _ZN7rocprim17ROCPRIM_400000_NS6detail17trampoline_kernelINS0_14default_configENS1_25partition_config_selectorILNS1_17partition_subalgoE8ElNS0_10empty_typeEbEEZZNS1_14partition_implILS5_8ELb0ES3_jPlPS6_PKS6_NS0_5tupleIJS9_S6_EEENSD_IJSA_SA_EEENS0_18inequality_wrapperIZN2at6native12_GLOBAL__N_124unique_dim_cuda_templateItEESt5tupleIJNSH_6TensorESM_SM_EERKSM_lbbbEUlllE0_EEPmJS6_EEE10hipError_tPvRmT3_T4_T5_T6_T7_T9_mT8_P12ihipStream_tbDpT10_ENKUlT_T0_E_clISt17integral_constantIbLb1EES1C_EEDaS17_S18_EUlS17_E_NS1_11comp_targetILNS1_3genE3ELNS1_11target_archE908ELNS1_3gpuE7ELNS1_3repE0EEENS1_30default_config_static_selectorELNS0_4arch9wavefront6targetE0EEEvT1_
		.amdhsa_group_segment_fixed_size 0
		.amdhsa_private_segment_fixed_size 0
		.amdhsa_kernarg_size 136
		.amdhsa_user_sgpr_count 15
		.amdhsa_user_sgpr_dispatch_ptr 0
		.amdhsa_user_sgpr_queue_ptr 0
		.amdhsa_user_sgpr_kernarg_segment_ptr 1
		.amdhsa_user_sgpr_dispatch_id 0
		.amdhsa_user_sgpr_private_segment_size 0
		.amdhsa_wavefront_size32 1
		.amdhsa_uses_dynamic_stack 0
		.amdhsa_enable_private_segment 0
		.amdhsa_system_sgpr_workgroup_id_x 1
		.amdhsa_system_sgpr_workgroup_id_y 0
		.amdhsa_system_sgpr_workgroup_id_z 0
		.amdhsa_system_sgpr_workgroup_info 0
		.amdhsa_system_vgpr_workitem_id 0
		.amdhsa_next_free_vgpr 1
		.amdhsa_next_free_sgpr 1
		.amdhsa_reserve_vcc 0
		.amdhsa_float_round_mode_32 0
		.amdhsa_float_round_mode_16_64 0
		.amdhsa_float_denorm_mode_32 3
		.amdhsa_float_denorm_mode_16_64 3
		.amdhsa_dx10_clamp 1
		.amdhsa_ieee_mode 1
		.amdhsa_fp16_overflow 0
		.amdhsa_workgroup_processor_mode 1
		.amdhsa_memory_ordered 1
		.amdhsa_forward_progress 0
		.amdhsa_shared_vgpr_count 0
		.amdhsa_exception_fp_ieee_invalid_op 0
		.amdhsa_exception_fp_denorm_src 0
		.amdhsa_exception_fp_ieee_div_zero 0
		.amdhsa_exception_fp_ieee_overflow 0
		.amdhsa_exception_fp_ieee_underflow 0
		.amdhsa_exception_fp_ieee_inexact 0
		.amdhsa_exception_int_div_zero 0
	.end_amdhsa_kernel
	.section	.text._ZN7rocprim17ROCPRIM_400000_NS6detail17trampoline_kernelINS0_14default_configENS1_25partition_config_selectorILNS1_17partition_subalgoE8ElNS0_10empty_typeEbEEZZNS1_14partition_implILS5_8ELb0ES3_jPlPS6_PKS6_NS0_5tupleIJS9_S6_EEENSD_IJSA_SA_EEENS0_18inequality_wrapperIZN2at6native12_GLOBAL__N_124unique_dim_cuda_templateItEESt5tupleIJNSH_6TensorESM_SM_EERKSM_lbbbEUlllE0_EEPmJS6_EEE10hipError_tPvRmT3_T4_T5_T6_T7_T9_mT8_P12ihipStream_tbDpT10_ENKUlT_T0_E_clISt17integral_constantIbLb1EES1C_EEDaS17_S18_EUlS17_E_NS1_11comp_targetILNS1_3genE3ELNS1_11target_archE908ELNS1_3gpuE7ELNS1_3repE0EEENS1_30default_config_static_selectorELNS0_4arch9wavefront6targetE0EEEvT1_,"axG",@progbits,_ZN7rocprim17ROCPRIM_400000_NS6detail17trampoline_kernelINS0_14default_configENS1_25partition_config_selectorILNS1_17partition_subalgoE8ElNS0_10empty_typeEbEEZZNS1_14partition_implILS5_8ELb0ES3_jPlPS6_PKS6_NS0_5tupleIJS9_S6_EEENSD_IJSA_SA_EEENS0_18inequality_wrapperIZN2at6native12_GLOBAL__N_124unique_dim_cuda_templateItEESt5tupleIJNSH_6TensorESM_SM_EERKSM_lbbbEUlllE0_EEPmJS6_EEE10hipError_tPvRmT3_T4_T5_T6_T7_T9_mT8_P12ihipStream_tbDpT10_ENKUlT_T0_E_clISt17integral_constantIbLb1EES1C_EEDaS17_S18_EUlS17_E_NS1_11comp_targetILNS1_3genE3ELNS1_11target_archE908ELNS1_3gpuE7ELNS1_3repE0EEENS1_30default_config_static_selectorELNS0_4arch9wavefront6targetE0EEEvT1_,comdat
.Lfunc_end1428:
	.size	_ZN7rocprim17ROCPRIM_400000_NS6detail17trampoline_kernelINS0_14default_configENS1_25partition_config_selectorILNS1_17partition_subalgoE8ElNS0_10empty_typeEbEEZZNS1_14partition_implILS5_8ELb0ES3_jPlPS6_PKS6_NS0_5tupleIJS9_S6_EEENSD_IJSA_SA_EEENS0_18inequality_wrapperIZN2at6native12_GLOBAL__N_124unique_dim_cuda_templateItEESt5tupleIJNSH_6TensorESM_SM_EERKSM_lbbbEUlllE0_EEPmJS6_EEE10hipError_tPvRmT3_T4_T5_T6_T7_T9_mT8_P12ihipStream_tbDpT10_ENKUlT_T0_E_clISt17integral_constantIbLb1EES1C_EEDaS17_S18_EUlS17_E_NS1_11comp_targetILNS1_3genE3ELNS1_11target_archE908ELNS1_3gpuE7ELNS1_3repE0EEENS1_30default_config_static_selectorELNS0_4arch9wavefront6targetE0EEEvT1_, .Lfunc_end1428-_ZN7rocprim17ROCPRIM_400000_NS6detail17trampoline_kernelINS0_14default_configENS1_25partition_config_selectorILNS1_17partition_subalgoE8ElNS0_10empty_typeEbEEZZNS1_14partition_implILS5_8ELb0ES3_jPlPS6_PKS6_NS0_5tupleIJS9_S6_EEENSD_IJSA_SA_EEENS0_18inequality_wrapperIZN2at6native12_GLOBAL__N_124unique_dim_cuda_templateItEESt5tupleIJNSH_6TensorESM_SM_EERKSM_lbbbEUlllE0_EEPmJS6_EEE10hipError_tPvRmT3_T4_T5_T6_T7_T9_mT8_P12ihipStream_tbDpT10_ENKUlT_T0_E_clISt17integral_constantIbLb1EES1C_EEDaS17_S18_EUlS17_E_NS1_11comp_targetILNS1_3genE3ELNS1_11target_archE908ELNS1_3gpuE7ELNS1_3repE0EEENS1_30default_config_static_selectorELNS0_4arch9wavefront6targetE0EEEvT1_
                                        ; -- End function
	.section	.AMDGPU.csdata,"",@progbits
; Kernel info:
; codeLenInByte = 0
; NumSgprs: 0
; NumVgprs: 0
; ScratchSize: 0
; MemoryBound: 0
; FloatMode: 240
; IeeeMode: 1
; LDSByteSize: 0 bytes/workgroup (compile time only)
; SGPRBlocks: 0
; VGPRBlocks: 0
; NumSGPRsForWavesPerEU: 1
; NumVGPRsForWavesPerEU: 1
; Occupancy: 16
; WaveLimiterHint : 0
; COMPUTE_PGM_RSRC2:SCRATCH_EN: 0
; COMPUTE_PGM_RSRC2:USER_SGPR: 15
; COMPUTE_PGM_RSRC2:TRAP_HANDLER: 0
; COMPUTE_PGM_RSRC2:TGID_X_EN: 1
; COMPUTE_PGM_RSRC2:TGID_Y_EN: 0
; COMPUTE_PGM_RSRC2:TGID_Z_EN: 0
; COMPUTE_PGM_RSRC2:TIDIG_COMP_CNT: 0
	.section	.text._ZN7rocprim17ROCPRIM_400000_NS6detail17trampoline_kernelINS0_14default_configENS1_25partition_config_selectorILNS1_17partition_subalgoE8ElNS0_10empty_typeEbEEZZNS1_14partition_implILS5_8ELb0ES3_jPlPS6_PKS6_NS0_5tupleIJS9_S6_EEENSD_IJSA_SA_EEENS0_18inequality_wrapperIZN2at6native12_GLOBAL__N_124unique_dim_cuda_templateItEESt5tupleIJNSH_6TensorESM_SM_EERKSM_lbbbEUlllE0_EEPmJS6_EEE10hipError_tPvRmT3_T4_T5_T6_T7_T9_mT8_P12ihipStream_tbDpT10_ENKUlT_T0_E_clISt17integral_constantIbLb1EES1C_EEDaS17_S18_EUlS17_E_NS1_11comp_targetILNS1_3genE2ELNS1_11target_archE906ELNS1_3gpuE6ELNS1_3repE0EEENS1_30default_config_static_selectorELNS0_4arch9wavefront6targetE0EEEvT1_,"axG",@progbits,_ZN7rocprim17ROCPRIM_400000_NS6detail17trampoline_kernelINS0_14default_configENS1_25partition_config_selectorILNS1_17partition_subalgoE8ElNS0_10empty_typeEbEEZZNS1_14partition_implILS5_8ELb0ES3_jPlPS6_PKS6_NS0_5tupleIJS9_S6_EEENSD_IJSA_SA_EEENS0_18inequality_wrapperIZN2at6native12_GLOBAL__N_124unique_dim_cuda_templateItEESt5tupleIJNSH_6TensorESM_SM_EERKSM_lbbbEUlllE0_EEPmJS6_EEE10hipError_tPvRmT3_T4_T5_T6_T7_T9_mT8_P12ihipStream_tbDpT10_ENKUlT_T0_E_clISt17integral_constantIbLb1EES1C_EEDaS17_S18_EUlS17_E_NS1_11comp_targetILNS1_3genE2ELNS1_11target_archE906ELNS1_3gpuE6ELNS1_3repE0EEENS1_30default_config_static_selectorELNS0_4arch9wavefront6targetE0EEEvT1_,comdat
	.globl	_ZN7rocprim17ROCPRIM_400000_NS6detail17trampoline_kernelINS0_14default_configENS1_25partition_config_selectorILNS1_17partition_subalgoE8ElNS0_10empty_typeEbEEZZNS1_14partition_implILS5_8ELb0ES3_jPlPS6_PKS6_NS0_5tupleIJS9_S6_EEENSD_IJSA_SA_EEENS0_18inequality_wrapperIZN2at6native12_GLOBAL__N_124unique_dim_cuda_templateItEESt5tupleIJNSH_6TensorESM_SM_EERKSM_lbbbEUlllE0_EEPmJS6_EEE10hipError_tPvRmT3_T4_T5_T6_T7_T9_mT8_P12ihipStream_tbDpT10_ENKUlT_T0_E_clISt17integral_constantIbLb1EES1C_EEDaS17_S18_EUlS17_E_NS1_11comp_targetILNS1_3genE2ELNS1_11target_archE906ELNS1_3gpuE6ELNS1_3repE0EEENS1_30default_config_static_selectorELNS0_4arch9wavefront6targetE0EEEvT1_ ; -- Begin function _ZN7rocprim17ROCPRIM_400000_NS6detail17trampoline_kernelINS0_14default_configENS1_25partition_config_selectorILNS1_17partition_subalgoE8ElNS0_10empty_typeEbEEZZNS1_14partition_implILS5_8ELb0ES3_jPlPS6_PKS6_NS0_5tupleIJS9_S6_EEENSD_IJSA_SA_EEENS0_18inequality_wrapperIZN2at6native12_GLOBAL__N_124unique_dim_cuda_templateItEESt5tupleIJNSH_6TensorESM_SM_EERKSM_lbbbEUlllE0_EEPmJS6_EEE10hipError_tPvRmT3_T4_T5_T6_T7_T9_mT8_P12ihipStream_tbDpT10_ENKUlT_T0_E_clISt17integral_constantIbLb1EES1C_EEDaS17_S18_EUlS17_E_NS1_11comp_targetILNS1_3genE2ELNS1_11target_archE906ELNS1_3gpuE6ELNS1_3repE0EEENS1_30default_config_static_selectorELNS0_4arch9wavefront6targetE0EEEvT1_
	.p2align	8
	.type	_ZN7rocprim17ROCPRIM_400000_NS6detail17trampoline_kernelINS0_14default_configENS1_25partition_config_selectorILNS1_17partition_subalgoE8ElNS0_10empty_typeEbEEZZNS1_14partition_implILS5_8ELb0ES3_jPlPS6_PKS6_NS0_5tupleIJS9_S6_EEENSD_IJSA_SA_EEENS0_18inequality_wrapperIZN2at6native12_GLOBAL__N_124unique_dim_cuda_templateItEESt5tupleIJNSH_6TensorESM_SM_EERKSM_lbbbEUlllE0_EEPmJS6_EEE10hipError_tPvRmT3_T4_T5_T6_T7_T9_mT8_P12ihipStream_tbDpT10_ENKUlT_T0_E_clISt17integral_constantIbLb1EES1C_EEDaS17_S18_EUlS17_E_NS1_11comp_targetILNS1_3genE2ELNS1_11target_archE906ELNS1_3gpuE6ELNS1_3repE0EEENS1_30default_config_static_selectorELNS0_4arch9wavefront6targetE0EEEvT1_,@function
_ZN7rocprim17ROCPRIM_400000_NS6detail17trampoline_kernelINS0_14default_configENS1_25partition_config_selectorILNS1_17partition_subalgoE8ElNS0_10empty_typeEbEEZZNS1_14partition_implILS5_8ELb0ES3_jPlPS6_PKS6_NS0_5tupleIJS9_S6_EEENSD_IJSA_SA_EEENS0_18inequality_wrapperIZN2at6native12_GLOBAL__N_124unique_dim_cuda_templateItEESt5tupleIJNSH_6TensorESM_SM_EERKSM_lbbbEUlllE0_EEPmJS6_EEE10hipError_tPvRmT3_T4_T5_T6_T7_T9_mT8_P12ihipStream_tbDpT10_ENKUlT_T0_E_clISt17integral_constantIbLb1EES1C_EEDaS17_S18_EUlS17_E_NS1_11comp_targetILNS1_3genE2ELNS1_11target_archE906ELNS1_3gpuE6ELNS1_3repE0EEENS1_30default_config_static_selectorELNS0_4arch9wavefront6targetE0EEEvT1_: ; @_ZN7rocprim17ROCPRIM_400000_NS6detail17trampoline_kernelINS0_14default_configENS1_25partition_config_selectorILNS1_17partition_subalgoE8ElNS0_10empty_typeEbEEZZNS1_14partition_implILS5_8ELb0ES3_jPlPS6_PKS6_NS0_5tupleIJS9_S6_EEENSD_IJSA_SA_EEENS0_18inequality_wrapperIZN2at6native12_GLOBAL__N_124unique_dim_cuda_templateItEESt5tupleIJNSH_6TensorESM_SM_EERKSM_lbbbEUlllE0_EEPmJS6_EEE10hipError_tPvRmT3_T4_T5_T6_T7_T9_mT8_P12ihipStream_tbDpT10_ENKUlT_T0_E_clISt17integral_constantIbLb1EES1C_EEDaS17_S18_EUlS17_E_NS1_11comp_targetILNS1_3genE2ELNS1_11target_archE906ELNS1_3gpuE6ELNS1_3repE0EEENS1_30default_config_static_selectorELNS0_4arch9wavefront6targetE0EEEvT1_
; %bb.0:
	.section	.rodata,"a",@progbits
	.p2align	6, 0x0
	.amdhsa_kernel _ZN7rocprim17ROCPRIM_400000_NS6detail17trampoline_kernelINS0_14default_configENS1_25partition_config_selectorILNS1_17partition_subalgoE8ElNS0_10empty_typeEbEEZZNS1_14partition_implILS5_8ELb0ES3_jPlPS6_PKS6_NS0_5tupleIJS9_S6_EEENSD_IJSA_SA_EEENS0_18inequality_wrapperIZN2at6native12_GLOBAL__N_124unique_dim_cuda_templateItEESt5tupleIJNSH_6TensorESM_SM_EERKSM_lbbbEUlllE0_EEPmJS6_EEE10hipError_tPvRmT3_T4_T5_T6_T7_T9_mT8_P12ihipStream_tbDpT10_ENKUlT_T0_E_clISt17integral_constantIbLb1EES1C_EEDaS17_S18_EUlS17_E_NS1_11comp_targetILNS1_3genE2ELNS1_11target_archE906ELNS1_3gpuE6ELNS1_3repE0EEENS1_30default_config_static_selectorELNS0_4arch9wavefront6targetE0EEEvT1_
		.amdhsa_group_segment_fixed_size 0
		.amdhsa_private_segment_fixed_size 0
		.amdhsa_kernarg_size 136
		.amdhsa_user_sgpr_count 15
		.amdhsa_user_sgpr_dispatch_ptr 0
		.amdhsa_user_sgpr_queue_ptr 0
		.amdhsa_user_sgpr_kernarg_segment_ptr 1
		.amdhsa_user_sgpr_dispatch_id 0
		.amdhsa_user_sgpr_private_segment_size 0
		.amdhsa_wavefront_size32 1
		.amdhsa_uses_dynamic_stack 0
		.amdhsa_enable_private_segment 0
		.amdhsa_system_sgpr_workgroup_id_x 1
		.amdhsa_system_sgpr_workgroup_id_y 0
		.amdhsa_system_sgpr_workgroup_id_z 0
		.amdhsa_system_sgpr_workgroup_info 0
		.amdhsa_system_vgpr_workitem_id 0
		.amdhsa_next_free_vgpr 1
		.amdhsa_next_free_sgpr 1
		.amdhsa_reserve_vcc 0
		.amdhsa_float_round_mode_32 0
		.amdhsa_float_round_mode_16_64 0
		.amdhsa_float_denorm_mode_32 3
		.amdhsa_float_denorm_mode_16_64 3
		.amdhsa_dx10_clamp 1
		.amdhsa_ieee_mode 1
		.amdhsa_fp16_overflow 0
		.amdhsa_workgroup_processor_mode 1
		.amdhsa_memory_ordered 1
		.amdhsa_forward_progress 0
		.amdhsa_shared_vgpr_count 0
		.amdhsa_exception_fp_ieee_invalid_op 0
		.amdhsa_exception_fp_denorm_src 0
		.amdhsa_exception_fp_ieee_div_zero 0
		.amdhsa_exception_fp_ieee_overflow 0
		.amdhsa_exception_fp_ieee_underflow 0
		.amdhsa_exception_fp_ieee_inexact 0
		.amdhsa_exception_int_div_zero 0
	.end_amdhsa_kernel
	.section	.text._ZN7rocprim17ROCPRIM_400000_NS6detail17trampoline_kernelINS0_14default_configENS1_25partition_config_selectorILNS1_17partition_subalgoE8ElNS0_10empty_typeEbEEZZNS1_14partition_implILS5_8ELb0ES3_jPlPS6_PKS6_NS0_5tupleIJS9_S6_EEENSD_IJSA_SA_EEENS0_18inequality_wrapperIZN2at6native12_GLOBAL__N_124unique_dim_cuda_templateItEESt5tupleIJNSH_6TensorESM_SM_EERKSM_lbbbEUlllE0_EEPmJS6_EEE10hipError_tPvRmT3_T4_T5_T6_T7_T9_mT8_P12ihipStream_tbDpT10_ENKUlT_T0_E_clISt17integral_constantIbLb1EES1C_EEDaS17_S18_EUlS17_E_NS1_11comp_targetILNS1_3genE2ELNS1_11target_archE906ELNS1_3gpuE6ELNS1_3repE0EEENS1_30default_config_static_selectorELNS0_4arch9wavefront6targetE0EEEvT1_,"axG",@progbits,_ZN7rocprim17ROCPRIM_400000_NS6detail17trampoline_kernelINS0_14default_configENS1_25partition_config_selectorILNS1_17partition_subalgoE8ElNS0_10empty_typeEbEEZZNS1_14partition_implILS5_8ELb0ES3_jPlPS6_PKS6_NS0_5tupleIJS9_S6_EEENSD_IJSA_SA_EEENS0_18inequality_wrapperIZN2at6native12_GLOBAL__N_124unique_dim_cuda_templateItEESt5tupleIJNSH_6TensorESM_SM_EERKSM_lbbbEUlllE0_EEPmJS6_EEE10hipError_tPvRmT3_T4_T5_T6_T7_T9_mT8_P12ihipStream_tbDpT10_ENKUlT_T0_E_clISt17integral_constantIbLb1EES1C_EEDaS17_S18_EUlS17_E_NS1_11comp_targetILNS1_3genE2ELNS1_11target_archE906ELNS1_3gpuE6ELNS1_3repE0EEENS1_30default_config_static_selectorELNS0_4arch9wavefront6targetE0EEEvT1_,comdat
.Lfunc_end1429:
	.size	_ZN7rocprim17ROCPRIM_400000_NS6detail17trampoline_kernelINS0_14default_configENS1_25partition_config_selectorILNS1_17partition_subalgoE8ElNS0_10empty_typeEbEEZZNS1_14partition_implILS5_8ELb0ES3_jPlPS6_PKS6_NS0_5tupleIJS9_S6_EEENSD_IJSA_SA_EEENS0_18inequality_wrapperIZN2at6native12_GLOBAL__N_124unique_dim_cuda_templateItEESt5tupleIJNSH_6TensorESM_SM_EERKSM_lbbbEUlllE0_EEPmJS6_EEE10hipError_tPvRmT3_T4_T5_T6_T7_T9_mT8_P12ihipStream_tbDpT10_ENKUlT_T0_E_clISt17integral_constantIbLb1EES1C_EEDaS17_S18_EUlS17_E_NS1_11comp_targetILNS1_3genE2ELNS1_11target_archE906ELNS1_3gpuE6ELNS1_3repE0EEENS1_30default_config_static_selectorELNS0_4arch9wavefront6targetE0EEEvT1_, .Lfunc_end1429-_ZN7rocprim17ROCPRIM_400000_NS6detail17trampoline_kernelINS0_14default_configENS1_25partition_config_selectorILNS1_17partition_subalgoE8ElNS0_10empty_typeEbEEZZNS1_14partition_implILS5_8ELb0ES3_jPlPS6_PKS6_NS0_5tupleIJS9_S6_EEENSD_IJSA_SA_EEENS0_18inequality_wrapperIZN2at6native12_GLOBAL__N_124unique_dim_cuda_templateItEESt5tupleIJNSH_6TensorESM_SM_EERKSM_lbbbEUlllE0_EEPmJS6_EEE10hipError_tPvRmT3_T4_T5_T6_T7_T9_mT8_P12ihipStream_tbDpT10_ENKUlT_T0_E_clISt17integral_constantIbLb1EES1C_EEDaS17_S18_EUlS17_E_NS1_11comp_targetILNS1_3genE2ELNS1_11target_archE906ELNS1_3gpuE6ELNS1_3repE0EEENS1_30default_config_static_selectorELNS0_4arch9wavefront6targetE0EEEvT1_
                                        ; -- End function
	.section	.AMDGPU.csdata,"",@progbits
; Kernel info:
; codeLenInByte = 0
; NumSgprs: 0
; NumVgprs: 0
; ScratchSize: 0
; MemoryBound: 0
; FloatMode: 240
; IeeeMode: 1
; LDSByteSize: 0 bytes/workgroup (compile time only)
; SGPRBlocks: 0
; VGPRBlocks: 0
; NumSGPRsForWavesPerEU: 1
; NumVGPRsForWavesPerEU: 1
; Occupancy: 16
; WaveLimiterHint : 0
; COMPUTE_PGM_RSRC2:SCRATCH_EN: 0
; COMPUTE_PGM_RSRC2:USER_SGPR: 15
; COMPUTE_PGM_RSRC2:TRAP_HANDLER: 0
; COMPUTE_PGM_RSRC2:TGID_X_EN: 1
; COMPUTE_PGM_RSRC2:TGID_Y_EN: 0
; COMPUTE_PGM_RSRC2:TGID_Z_EN: 0
; COMPUTE_PGM_RSRC2:TIDIG_COMP_CNT: 0
	.section	.text._ZN7rocprim17ROCPRIM_400000_NS6detail17trampoline_kernelINS0_14default_configENS1_25partition_config_selectorILNS1_17partition_subalgoE8ElNS0_10empty_typeEbEEZZNS1_14partition_implILS5_8ELb0ES3_jPlPS6_PKS6_NS0_5tupleIJS9_S6_EEENSD_IJSA_SA_EEENS0_18inequality_wrapperIZN2at6native12_GLOBAL__N_124unique_dim_cuda_templateItEESt5tupleIJNSH_6TensorESM_SM_EERKSM_lbbbEUlllE0_EEPmJS6_EEE10hipError_tPvRmT3_T4_T5_T6_T7_T9_mT8_P12ihipStream_tbDpT10_ENKUlT_T0_E_clISt17integral_constantIbLb1EES1C_EEDaS17_S18_EUlS17_E_NS1_11comp_targetILNS1_3genE10ELNS1_11target_archE1200ELNS1_3gpuE4ELNS1_3repE0EEENS1_30default_config_static_selectorELNS0_4arch9wavefront6targetE0EEEvT1_,"axG",@progbits,_ZN7rocprim17ROCPRIM_400000_NS6detail17trampoline_kernelINS0_14default_configENS1_25partition_config_selectorILNS1_17partition_subalgoE8ElNS0_10empty_typeEbEEZZNS1_14partition_implILS5_8ELb0ES3_jPlPS6_PKS6_NS0_5tupleIJS9_S6_EEENSD_IJSA_SA_EEENS0_18inequality_wrapperIZN2at6native12_GLOBAL__N_124unique_dim_cuda_templateItEESt5tupleIJNSH_6TensorESM_SM_EERKSM_lbbbEUlllE0_EEPmJS6_EEE10hipError_tPvRmT3_T4_T5_T6_T7_T9_mT8_P12ihipStream_tbDpT10_ENKUlT_T0_E_clISt17integral_constantIbLb1EES1C_EEDaS17_S18_EUlS17_E_NS1_11comp_targetILNS1_3genE10ELNS1_11target_archE1200ELNS1_3gpuE4ELNS1_3repE0EEENS1_30default_config_static_selectorELNS0_4arch9wavefront6targetE0EEEvT1_,comdat
	.globl	_ZN7rocprim17ROCPRIM_400000_NS6detail17trampoline_kernelINS0_14default_configENS1_25partition_config_selectorILNS1_17partition_subalgoE8ElNS0_10empty_typeEbEEZZNS1_14partition_implILS5_8ELb0ES3_jPlPS6_PKS6_NS0_5tupleIJS9_S6_EEENSD_IJSA_SA_EEENS0_18inequality_wrapperIZN2at6native12_GLOBAL__N_124unique_dim_cuda_templateItEESt5tupleIJNSH_6TensorESM_SM_EERKSM_lbbbEUlllE0_EEPmJS6_EEE10hipError_tPvRmT3_T4_T5_T6_T7_T9_mT8_P12ihipStream_tbDpT10_ENKUlT_T0_E_clISt17integral_constantIbLb1EES1C_EEDaS17_S18_EUlS17_E_NS1_11comp_targetILNS1_3genE10ELNS1_11target_archE1200ELNS1_3gpuE4ELNS1_3repE0EEENS1_30default_config_static_selectorELNS0_4arch9wavefront6targetE0EEEvT1_ ; -- Begin function _ZN7rocprim17ROCPRIM_400000_NS6detail17trampoline_kernelINS0_14default_configENS1_25partition_config_selectorILNS1_17partition_subalgoE8ElNS0_10empty_typeEbEEZZNS1_14partition_implILS5_8ELb0ES3_jPlPS6_PKS6_NS0_5tupleIJS9_S6_EEENSD_IJSA_SA_EEENS0_18inequality_wrapperIZN2at6native12_GLOBAL__N_124unique_dim_cuda_templateItEESt5tupleIJNSH_6TensorESM_SM_EERKSM_lbbbEUlllE0_EEPmJS6_EEE10hipError_tPvRmT3_T4_T5_T6_T7_T9_mT8_P12ihipStream_tbDpT10_ENKUlT_T0_E_clISt17integral_constantIbLb1EES1C_EEDaS17_S18_EUlS17_E_NS1_11comp_targetILNS1_3genE10ELNS1_11target_archE1200ELNS1_3gpuE4ELNS1_3repE0EEENS1_30default_config_static_selectorELNS0_4arch9wavefront6targetE0EEEvT1_
	.p2align	8
	.type	_ZN7rocprim17ROCPRIM_400000_NS6detail17trampoline_kernelINS0_14default_configENS1_25partition_config_selectorILNS1_17partition_subalgoE8ElNS0_10empty_typeEbEEZZNS1_14partition_implILS5_8ELb0ES3_jPlPS6_PKS6_NS0_5tupleIJS9_S6_EEENSD_IJSA_SA_EEENS0_18inequality_wrapperIZN2at6native12_GLOBAL__N_124unique_dim_cuda_templateItEESt5tupleIJNSH_6TensorESM_SM_EERKSM_lbbbEUlllE0_EEPmJS6_EEE10hipError_tPvRmT3_T4_T5_T6_T7_T9_mT8_P12ihipStream_tbDpT10_ENKUlT_T0_E_clISt17integral_constantIbLb1EES1C_EEDaS17_S18_EUlS17_E_NS1_11comp_targetILNS1_3genE10ELNS1_11target_archE1200ELNS1_3gpuE4ELNS1_3repE0EEENS1_30default_config_static_selectorELNS0_4arch9wavefront6targetE0EEEvT1_,@function
_ZN7rocprim17ROCPRIM_400000_NS6detail17trampoline_kernelINS0_14default_configENS1_25partition_config_selectorILNS1_17partition_subalgoE8ElNS0_10empty_typeEbEEZZNS1_14partition_implILS5_8ELb0ES3_jPlPS6_PKS6_NS0_5tupleIJS9_S6_EEENSD_IJSA_SA_EEENS0_18inequality_wrapperIZN2at6native12_GLOBAL__N_124unique_dim_cuda_templateItEESt5tupleIJNSH_6TensorESM_SM_EERKSM_lbbbEUlllE0_EEPmJS6_EEE10hipError_tPvRmT3_T4_T5_T6_T7_T9_mT8_P12ihipStream_tbDpT10_ENKUlT_T0_E_clISt17integral_constantIbLb1EES1C_EEDaS17_S18_EUlS17_E_NS1_11comp_targetILNS1_3genE10ELNS1_11target_archE1200ELNS1_3gpuE4ELNS1_3repE0EEENS1_30default_config_static_selectorELNS0_4arch9wavefront6targetE0EEEvT1_: ; @_ZN7rocprim17ROCPRIM_400000_NS6detail17trampoline_kernelINS0_14default_configENS1_25partition_config_selectorILNS1_17partition_subalgoE8ElNS0_10empty_typeEbEEZZNS1_14partition_implILS5_8ELb0ES3_jPlPS6_PKS6_NS0_5tupleIJS9_S6_EEENSD_IJSA_SA_EEENS0_18inequality_wrapperIZN2at6native12_GLOBAL__N_124unique_dim_cuda_templateItEESt5tupleIJNSH_6TensorESM_SM_EERKSM_lbbbEUlllE0_EEPmJS6_EEE10hipError_tPvRmT3_T4_T5_T6_T7_T9_mT8_P12ihipStream_tbDpT10_ENKUlT_T0_E_clISt17integral_constantIbLb1EES1C_EEDaS17_S18_EUlS17_E_NS1_11comp_targetILNS1_3genE10ELNS1_11target_archE1200ELNS1_3gpuE4ELNS1_3repE0EEENS1_30default_config_static_selectorELNS0_4arch9wavefront6targetE0EEEvT1_
; %bb.0:
	.section	.rodata,"a",@progbits
	.p2align	6, 0x0
	.amdhsa_kernel _ZN7rocprim17ROCPRIM_400000_NS6detail17trampoline_kernelINS0_14default_configENS1_25partition_config_selectorILNS1_17partition_subalgoE8ElNS0_10empty_typeEbEEZZNS1_14partition_implILS5_8ELb0ES3_jPlPS6_PKS6_NS0_5tupleIJS9_S6_EEENSD_IJSA_SA_EEENS0_18inequality_wrapperIZN2at6native12_GLOBAL__N_124unique_dim_cuda_templateItEESt5tupleIJNSH_6TensorESM_SM_EERKSM_lbbbEUlllE0_EEPmJS6_EEE10hipError_tPvRmT3_T4_T5_T6_T7_T9_mT8_P12ihipStream_tbDpT10_ENKUlT_T0_E_clISt17integral_constantIbLb1EES1C_EEDaS17_S18_EUlS17_E_NS1_11comp_targetILNS1_3genE10ELNS1_11target_archE1200ELNS1_3gpuE4ELNS1_3repE0EEENS1_30default_config_static_selectorELNS0_4arch9wavefront6targetE0EEEvT1_
		.amdhsa_group_segment_fixed_size 0
		.amdhsa_private_segment_fixed_size 0
		.amdhsa_kernarg_size 136
		.amdhsa_user_sgpr_count 15
		.amdhsa_user_sgpr_dispatch_ptr 0
		.amdhsa_user_sgpr_queue_ptr 0
		.amdhsa_user_sgpr_kernarg_segment_ptr 1
		.amdhsa_user_sgpr_dispatch_id 0
		.amdhsa_user_sgpr_private_segment_size 0
		.amdhsa_wavefront_size32 1
		.amdhsa_uses_dynamic_stack 0
		.amdhsa_enable_private_segment 0
		.amdhsa_system_sgpr_workgroup_id_x 1
		.amdhsa_system_sgpr_workgroup_id_y 0
		.amdhsa_system_sgpr_workgroup_id_z 0
		.amdhsa_system_sgpr_workgroup_info 0
		.amdhsa_system_vgpr_workitem_id 0
		.amdhsa_next_free_vgpr 1
		.amdhsa_next_free_sgpr 1
		.amdhsa_reserve_vcc 0
		.amdhsa_float_round_mode_32 0
		.amdhsa_float_round_mode_16_64 0
		.amdhsa_float_denorm_mode_32 3
		.amdhsa_float_denorm_mode_16_64 3
		.amdhsa_dx10_clamp 1
		.amdhsa_ieee_mode 1
		.amdhsa_fp16_overflow 0
		.amdhsa_workgroup_processor_mode 1
		.amdhsa_memory_ordered 1
		.amdhsa_forward_progress 0
		.amdhsa_shared_vgpr_count 0
		.amdhsa_exception_fp_ieee_invalid_op 0
		.amdhsa_exception_fp_denorm_src 0
		.amdhsa_exception_fp_ieee_div_zero 0
		.amdhsa_exception_fp_ieee_overflow 0
		.amdhsa_exception_fp_ieee_underflow 0
		.amdhsa_exception_fp_ieee_inexact 0
		.amdhsa_exception_int_div_zero 0
	.end_amdhsa_kernel
	.section	.text._ZN7rocprim17ROCPRIM_400000_NS6detail17trampoline_kernelINS0_14default_configENS1_25partition_config_selectorILNS1_17partition_subalgoE8ElNS0_10empty_typeEbEEZZNS1_14partition_implILS5_8ELb0ES3_jPlPS6_PKS6_NS0_5tupleIJS9_S6_EEENSD_IJSA_SA_EEENS0_18inequality_wrapperIZN2at6native12_GLOBAL__N_124unique_dim_cuda_templateItEESt5tupleIJNSH_6TensorESM_SM_EERKSM_lbbbEUlllE0_EEPmJS6_EEE10hipError_tPvRmT3_T4_T5_T6_T7_T9_mT8_P12ihipStream_tbDpT10_ENKUlT_T0_E_clISt17integral_constantIbLb1EES1C_EEDaS17_S18_EUlS17_E_NS1_11comp_targetILNS1_3genE10ELNS1_11target_archE1200ELNS1_3gpuE4ELNS1_3repE0EEENS1_30default_config_static_selectorELNS0_4arch9wavefront6targetE0EEEvT1_,"axG",@progbits,_ZN7rocprim17ROCPRIM_400000_NS6detail17trampoline_kernelINS0_14default_configENS1_25partition_config_selectorILNS1_17partition_subalgoE8ElNS0_10empty_typeEbEEZZNS1_14partition_implILS5_8ELb0ES3_jPlPS6_PKS6_NS0_5tupleIJS9_S6_EEENSD_IJSA_SA_EEENS0_18inequality_wrapperIZN2at6native12_GLOBAL__N_124unique_dim_cuda_templateItEESt5tupleIJNSH_6TensorESM_SM_EERKSM_lbbbEUlllE0_EEPmJS6_EEE10hipError_tPvRmT3_T4_T5_T6_T7_T9_mT8_P12ihipStream_tbDpT10_ENKUlT_T0_E_clISt17integral_constantIbLb1EES1C_EEDaS17_S18_EUlS17_E_NS1_11comp_targetILNS1_3genE10ELNS1_11target_archE1200ELNS1_3gpuE4ELNS1_3repE0EEENS1_30default_config_static_selectorELNS0_4arch9wavefront6targetE0EEEvT1_,comdat
.Lfunc_end1430:
	.size	_ZN7rocprim17ROCPRIM_400000_NS6detail17trampoline_kernelINS0_14default_configENS1_25partition_config_selectorILNS1_17partition_subalgoE8ElNS0_10empty_typeEbEEZZNS1_14partition_implILS5_8ELb0ES3_jPlPS6_PKS6_NS0_5tupleIJS9_S6_EEENSD_IJSA_SA_EEENS0_18inequality_wrapperIZN2at6native12_GLOBAL__N_124unique_dim_cuda_templateItEESt5tupleIJNSH_6TensorESM_SM_EERKSM_lbbbEUlllE0_EEPmJS6_EEE10hipError_tPvRmT3_T4_T5_T6_T7_T9_mT8_P12ihipStream_tbDpT10_ENKUlT_T0_E_clISt17integral_constantIbLb1EES1C_EEDaS17_S18_EUlS17_E_NS1_11comp_targetILNS1_3genE10ELNS1_11target_archE1200ELNS1_3gpuE4ELNS1_3repE0EEENS1_30default_config_static_selectorELNS0_4arch9wavefront6targetE0EEEvT1_, .Lfunc_end1430-_ZN7rocprim17ROCPRIM_400000_NS6detail17trampoline_kernelINS0_14default_configENS1_25partition_config_selectorILNS1_17partition_subalgoE8ElNS0_10empty_typeEbEEZZNS1_14partition_implILS5_8ELb0ES3_jPlPS6_PKS6_NS0_5tupleIJS9_S6_EEENSD_IJSA_SA_EEENS0_18inequality_wrapperIZN2at6native12_GLOBAL__N_124unique_dim_cuda_templateItEESt5tupleIJNSH_6TensorESM_SM_EERKSM_lbbbEUlllE0_EEPmJS6_EEE10hipError_tPvRmT3_T4_T5_T6_T7_T9_mT8_P12ihipStream_tbDpT10_ENKUlT_T0_E_clISt17integral_constantIbLb1EES1C_EEDaS17_S18_EUlS17_E_NS1_11comp_targetILNS1_3genE10ELNS1_11target_archE1200ELNS1_3gpuE4ELNS1_3repE0EEENS1_30default_config_static_selectorELNS0_4arch9wavefront6targetE0EEEvT1_
                                        ; -- End function
	.section	.AMDGPU.csdata,"",@progbits
; Kernel info:
; codeLenInByte = 0
; NumSgprs: 0
; NumVgprs: 0
; ScratchSize: 0
; MemoryBound: 0
; FloatMode: 240
; IeeeMode: 1
; LDSByteSize: 0 bytes/workgroup (compile time only)
; SGPRBlocks: 0
; VGPRBlocks: 0
; NumSGPRsForWavesPerEU: 1
; NumVGPRsForWavesPerEU: 1
; Occupancy: 15
; WaveLimiterHint : 0
; COMPUTE_PGM_RSRC2:SCRATCH_EN: 0
; COMPUTE_PGM_RSRC2:USER_SGPR: 15
; COMPUTE_PGM_RSRC2:TRAP_HANDLER: 0
; COMPUTE_PGM_RSRC2:TGID_X_EN: 1
; COMPUTE_PGM_RSRC2:TGID_Y_EN: 0
; COMPUTE_PGM_RSRC2:TGID_Z_EN: 0
; COMPUTE_PGM_RSRC2:TIDIG_COMP_CNT: 0
	.section	.text._ZN7rocprim17ROCPRIM_400000_NS6detail17trampoline_kernelINS0_14default_configENS1_25partition_config_selectorILNS1_17partition_subalgoE8ElNS0_10empty_typeEbEEZZNS1_14partition_implILS5_8ELb0ES3_jPlPS6_PKS6_NS0_5tupleIJS9_S6_EEENSD_IJSA_SA_EEENS0_18inequality_wrapperIZN2at6native12_GLOBAL__N_124unique_dim_cuda_templateItEESt5tupleIJNSH_6TensorESM_SM_EERKSM_lbbbEUlllE0_EEPmJS6_EEE10hipError_tPvRmT3_T4_T5_T6_T7_T9_mT8_P12ihipStream_tbDpT10_ENKUlT_T0_E_clISt17integral_constantIbLb1EES1C_EEDaS17_S18_EUlS17_E_NS1_11comp_targetILNS1_3genE9ELNS1_11target_archE1100ELNS1_3gpuE3ELNS1_3repE0EEENS1_30default_config_static_selectorELNS0_4arch9wavefront6targetE0EEEvT1_,"axG",@progbits,_ZN7rocprim17ROCPRIM_400000_NS6detail17trampoline_kernelINS0_14default_configENS1_25partition_config_selectorILNS1_17partition_subalgoE8ElNS0_10empty_typeEbEEZZNS1_14partition_implILS5_8ELb0ES3_jPlPS6_PKS6_NS0_5tupleIJS9_S6_EEENSD_IJSA_SA_EEENS0_18inequality_wrapperIZN2at6native12_GLOBAL__N_124unique_dim_cuda_templateItEESt5tupleIJNSH_6TensorESM_SM_EERKSM_lbbbEUlllE0_EEPmJS6_EEE10hipError_tPvRmT3_T4_T5_T6_T7_T9_mT8_P12ihipStream_tbDpT10_ENKUlT_T0_E_clISt17integral_constantIbLb1EES1C_EEDaS17_S18_EUlS17_E_NS1_11comp_targetILNS1_3genE9ELNS1_11target_archE1100ELNS1_3gpuE3ELNS1_3repE0EEENS1_30default_config_static_selectorELNS0_4arch9wavefront6targetE0EEEvT1_,comdat
	.globl	_ZN7rocprim17ROCPRIM_400000_NS6detail17trampoline_kernelINS0_14default_configENS1_25partition_config_selectorILNS1_17partition_subalgoE8ElNS0_10empty_typeEbEEZZNS1_14partition_implILS5_8ELb0ES3_jPlPS6_PKS6_NS0_5tupleIJS9_S6_EEENSD_IJSA_SA_EEENS0_18inequality_wrapperIZN2at6native12_GLOBAL__N_124unique_dim_cuda_templateItEESt5tupleIJNSH_6TensorESM_SM_EERKSM_lbbbEUlllE0_EEPmJS6_EEE10hipError_tPvRmT3_T4_T5_T6_T7_T9_mT8_P12ihipStream_tbDpT10_ENKUlT_T0_E_clISt17integral_constantIbLb1EES1C_EEDaS17_S18_EUlS17_E_NS1_11comp_targetILNS1_3genE9ELNS1_11target_archE1100ELNS1_3gpuE3ELNS1_3repE0EEENS1_30default_config_static_selectorELNS0_4arch9wavefront6targetE0EEEvT1_ ; -- Begin function _ZN7rocprim17ROCPRIM_400000_NS6detail17trampoline_kernelINS0_14default_configENS1_25partition_config_selectorILNS1_17partition_subalgoE8ElNS0_10empty_typeEbEEZZNS1_14partition_implILS5_8ELb0ES3_jPlPS6_PKS6_NS0_5tupleIJS9_S6_EEENSD_IJSA_SA_EEENS0_18inequality_wrapperIZN2at6native12_GLOBAL__N_124unique_dim_cuda_templateItEESt5tupleIJNSH_6TensorESM_SM_EERKSM_lbbbEUlllE0_EEPmJS6_EEE10hipError_tPvRmT3_T4_T5_T6_T7_T9_mT8_P12ihipStream_tbDpT10_ENKUlT_T0_E_clISt17integral_constantIbLb1EES1C_EEDaS17_S18_EUlS17_E_NS1_11comp_targetILNS1_3genE9ELNS1_11target_archE1100ELNS1_3gpuE3ELNS1_3repE0EEENS1_30default_config_static_selectorELNS0_4arch9wavefront6targetE0EEEvT1_
	.p2align	8
	.type	_ZN7rocprim17ROCPRIM_400000_NS6detail17trampoline_kernelINS0_14default_configENS1_25partition_config_selectorILNS1_17partition_subalgoE8ElNS0_10empty_typeEbEEZZNS1_14partition_implILS5_8ELb0ES3_jPlPS6_PKS6_NS0_5tupleIJS9_S6_EEENSD_IJSA_SA_EEENS0_18inequality_wrapperIZN2at6native12_GLOBAL__N_124unique_dim_cuda_templateItEESt5tupleIJNSH_6TensorESM_SM_EERKSM_lbbbEUlllE0_EEPmJS6_EEE10hipError_tPvRmT3_T4_T5_T6_T7_T9_mT8_P12ihipStream_tbDpT10_ENKUlT_T0_E_clISt17integral_constantIbLb1EES1C_EEDaS17_S18_EUlS17_E_NS1_11comp_targetILNS1_3genE9ELNS1_11target_archE1100ELNS1_3gpuE3ELNS1_3repE0EEENS1_30default_config_static_selectorELNS0_4arch9wavefront6targetE0EEEvT1_,@function
_ZN7rocprim17ROCPRIM_400000_NS6detail17trampoline_kernelINS0_14default_configENS1_25partition_config_selectorILNS1_17partition_subalgoE8ElNS0_10empty_typeEbEEZZNS1_14partition_implILS5_8ELb0ES3_jPlPS6_PKS6_NS0_5tupleIJS9_S6_EEENSD_IJSA_SA_EEENS0_18inequality_wrapperIZN2at6native12_GLOBAL__N_124unique_dim_cuda_templateItEESt5tupleIJNSH_6TensorESM_SM_EERKSM_lbbbEUlllE0_EEPmJS6_EEE10hipError_tPvRmT3_T4_T5_T6_T7_T9_mT8_P12ihipStream_tbDpT10_ENKUlT_T0_E_clISt17integral_constantIbLb1EES1C_EEDaS17_S18_EUlS17_E_NS1_11comp_targetILNS1_3genE9ELNS1_11target_archE1100ELNS1_3gpuE3ELNS1_3repE0EEENS1_30default_config_static_selectorELNS0_4arch9wavefront6targetE0EEEvT1_: ; @_ZN7rocprim17ROCPRIM_400000_NS6detail17trampoline_kernelINS0_14default_configENS1_25partition_config_selectorILNS1_17partition_subalgoE8ElNS0_10empty_typeEbEEZZNS1_14partition_implILS5_8ELb0ES3_jPlPS6_PKS6_NS0_5tupleIJS9_S6_EEENSD_IJSA_SA_EEENS0_18inequality_wrapperIZN2at6native12_GLOBAL__N_124unique_dim_cuda_templateItEESt5tupleIJNSH_6TensorESM_SM_EERKSM_lbbbEUlllE0_EEPmJS6_EEE10hipError_tPvRmT3_T4_T5_T6_T7_T9_mT8_P12ihipStream_tbDpT10_ENKUlT_T0_E_clISt17integral_constantIbLb1EES1C_EEDaS17_S18_EUlS17_E_NS1_11comp_targetILNS1_3genE9ELNS1_11target_archE1100ELNS1_3gpuE3ELNS1_3repE0EEENS1_30default_config_static_selectorELNS0_4arch9wavefront6targetE0EEEvT1_
; %bb.0:
	s_clause 0x2
	s_load_b64 s[20:21], s[0:1], 0x28
	s_load_b256 s[8:15], s[0:1], 0x40
	s_load_b128 s[16:19], s[0:1], 0x60
	v_cmp_ne_u32_e64 s3, 0, v0
	v_cmp_eq_u32_e64 s2, 0, v0
	s_delay_alu instid0(VALU_DEP_1)
	s_and_saveexec_b32 s4, s2
	s_cbranch_execz .LBB1431_4
; %bb.1:
	s_mov_b32 s6, exec_lo
	s_mov_b32 s5, exec_lo
	v_mbcnt_lo_u32_b32 v1, s6, 0
                                        ; implicit-def: $vgpr2
	s_delay_alu instid0(VALU_DEP_1)
	v_cmpx_eq_u32_e32 0, v1
	s_cbranch_execz .LBB1431_3
; %bb.2:
	s_load_b64 s[22:23], s[0:1], 0x78
	s_bcnt1_i32_b32 s6, s6
	s_delay_alu instid0(SALU_CYCLE_1)
	v_dual_mov_b32 v2, 0 :: v_dual_mov_b32 v3, s6
	s_waitcnt lgkmcnt(0)
	global_atomic_add_u32 v2, v2, v3, s[22:23] glc
.LBB1431_3:
	s_or_b32 exec_lo, exec_lo, s5
	s_waitcnt vmcnt(0)
	v_readfirstlane_b32 s5, v2
	s_delay_alu instid0(VALU_DEP_1)
	v_dual_mov_b32 v2, 0 :: v_dual_add_nc_u32 v1, s5, v1
	ds_store_b32 v2, v1
.LBB1431_4:
	s_or_b32 exec_lo, exec_lo, s4
	v_dual_mov_b32 v2, 0 :: v_dual_lshlrev_b32 v39, 3, v0
	s_clause 0x1
	s_load_b128 s[4:7], s[0:1], 0x8
	s_load_b32 s0, s[0:1], 0x70
	s_waitcnt lgkmcnt(0)
	s_barrier
	buffer_gl0_inv
	ds_load_b32 v1, v2
	s_waitcnt lgkmcnt(0)
	s_barrier
	buffer_gl0_inv
	global_load_b64 v[3:4], v2, s[10:11]
	v_lshrrev_b32_e32 v19, 2, v0
	v_or_b32_e32 v26, 0x200, v0
	v_or_b32_e32 v25, 0x400, v0
	;; [unrolled: 1-line block ×7, first 2 shown]
	s_lshl_b64 s[10:11], s[6:7], 3
	s_delay_alu instid0(SALU_CYCLE_1)
	s_add_u32 s10, s4, s10
	s_addc_u32 s11, s5, s11
	s_add_i32 s1, s0, -1
	v_readfirstlane_b32 s23, v1
	s_lshl_b32 s4, s1, 12
	v_lshlrev_b32_e32 v1, 12, v1
	s_lshl_b32 s5, s0, 12
	s_add_i32 s0, s6, s4
	s_add_u32 s4, s6, s5
	s_addc_u32 s5, s7, 0
	v_lshlrev_b64 v[1:2], 3, v[1:2]
	v_cmp_ge_u64_e64 s4, s[4:5], s[12:13]
	s_cmp_eq_u32 s23, s1
	s_cselect_b32 s13, -1, 0
	s_delay_alu instid0(VALU_DEP_2) | instskip(NEXT) | instid1(VALU_DEP_2)
	v_add_co_u32 v17, vcc_lo, s10, v1
	s_and_b32 s1, s4, s13
	v_add_co_ci_u32_e32 v18, vcc_lo, s11, v2, vcc_lo
	s_xor_b32 s22, s1, -1
	s_mov_b32 s4, -1
	s_and_b32 vcc_lo, exec_lo, s22
	s_waitcnt vmcnt(0)
	v_readfirstlane_b32 s10, v3
	v_readfirstlane_b32 s11, v4
	s_cbranch_vccz .LBB1431_6
; %bb.5:
	v_add_co_u32 v9, vcc_lo, v17, v39
	v_add_co_ci_u32_e32 v10, vcc_lo, 0, v18, vcc_lo
	v_readfirstlane_b32 s4, v17
	s_delay_alu instid0(VALU_DEP_3) | instskip(NEXT) | instid1(VALU_DEP_3)
	v_add_co_u32 v3, vcc_lo, v9, 0x2000
	v_add_co_ci_u32_e32 v4, vcc_lo, 0, v10, vcc_lo
	v_add_co_u32 v5, vcc_lo, v9, 0x4000
	v_add_co_ci_u32_e32 v6, vcc_lo, 0, v10, vcc_lo
	v_add_co_u32 v7, vcc_lo, v9, 0x6000
	v_readfirstlane_b32 s5, v18
	v_add_co_ci_u32_e32 v8, vcc_lo, 0, v10, vcc_lo
	v_add_co_u32 v9, vcc_lo, 0x7000, v9
	v_add_co_ci_u32_e32 v10, vcc_lo, 0, v10, vcc_lo
	s_clause 0x7
	global_load_b64 v[1:2], v39, s[4:5]
	global_load_b64 v[11:12], v[3:4], off offset:-4096
	global_load_b64 v[3:4], v[3:4], off
	global_load_b64 v[13:14], v[5:6], off offset:-4096
	global_load_b64 v[5:6], v[5:6], off
	;; [unrolled: 2-line block ×3, first 2 shown]
	global_load_b64 v[9:10], v[9:10], off
	v_lshrrev_b32_e32 v28, 2, v26
	v_lshrrev_b32_e32 v29, 2, v25
	;; [unrolled: 1-line block ×4, first 2 shown]
	v_and_b32_e32 v27, 0x78, v19
	v_lshrrev_b32_e32 v32, 2, v22
	v_lshrrev_b32_e32 v33, 2, v21
	;; [unrolled: 1-line block ×3, first 2 shown]
	v_and_b32_e32 v28, 0xf8, v28
	v_and_b32_e32 v29, 0x178, v29
	;; [unrolled: 1-line block ×4, first 2 shown]
	v_add_nc_u32_e32 v27, v27, v39
	v_and_b32_e32 v32, 0x2f8, v32
	v_and_b32_e32 v33, 0x378, v33
	;; [unrolled: 1-line block ×3, first 2 shown]
	v_add_nc_u32_e32 v28, v28, v39
	v_add_nc_u32_e32 v29, v29, v39
	;; [unrolled: 1-line block ×4, first 2 shown]
	s_mov_b32 s4, 0
	v_add_nc_u32_e32 v32, v32, v39
	v_add_nc_u32_e32 v33, v33, v39
	;; [unrolled: 1-line block ×3, first 2 shown]
	s_waitcnt vmcnt(7)
	ds_store_b64 v27, v[1:2]
	s_waitcnt vmcnt(6)
	ds_store_b64 v28, v[11:12] offset:4096
	s_waitcnt vmcnt(5)
	ds_store_b64 v29, v[3:4] offset:8192
	;; [unrolled: 2-line block ×7, first 2 shown]
	s_waitcnt lgkmcnt(0)
	s_barrier
.LBB1431_6:
	s_and_not1_b32 vcc_lo, exec_lo, s4
	s_sub_i32 s12, s12, s0
	s_cbranch_vccnz .LBB1431_17
; %bb.7:
	s_mov_b32 s0, exec_lo
                                        ; implicit-def: $vgpr1_vgpr2_vgpr3_vgpr4_vgpr5_vgpr6_vgpr7_vgpr8_vgpr9_vgpr10_vgpr11_vgpr12_vgpr13_vgpr14_vgpr15_vgpr16
	v_cmpx_gt_u32_e64 s12, v0
	s_cbranch_execnz .LBB1431_27
; %bb.8:
	s_or_b32 exec_lo, exec_lo, s0
	s_delay_alu instid0(SALU_CYCLE_1)
	s_mov_b32 s0, exec_lo
	v_cmpx_gt_u32_e64 s12, v26
	s_cbranch_execnz .LBB1431_28
.LBB1431_9:
	s_or_b32 exec_lo, exec_lo, s0
	s_delay_alu instid0(SALU_CYCLE_1)
	s_mov_b32 s0, exec_lo
	v_cmpx_gt_u32_e64 s12, v25
	s_cbranch_execnz .LBB1431_29
.LBB1431_10:
	s_or_b32 exec_lo, exec_lo, s0
	s_delay_alu instid0(SALU_CYCLE_1)
	s_mov_b32 s0, exec_lo
	v_cmpx_gt_u32_e64 s12, v24
	s_cbranch_execnz .LBB1431_30
.LBB1431_11:
	s_or_b32 exec_lo, exec_lo, s0
	s_delay_alu instid0(SALU_CYCLE_1)
	s_mov_b32 s0, exec_lo
	v_cmpx_gt_u32_e64 s12, v23
	s_cbranch_execnz .LBB1431_31
.LBB1431_12:
	s_or_b32 exec_lo, exec_lo, s0
	s_delay_alu instid0(SALU_CYCLE_1)
	s_mov_b32 s0, exec_lo
	v_cmpx_gt_u32_e64 s12, v22
	s_cbranch_execnz .LBB1431_32
.LBB1431_13:
	s_or_b32 exec_lo, exec_lo, s0
	s_delay_alu instid0(SALU_CYCLE_1)
	s_mov_b32 s0, exec_lo
	v_cmpx_gt_u32_e64 s12, v21
	s_cbranch_execnz .LBB1431_33
.LBB1431_14:
	s_or_b32 exec_lo, exec_lo, s0
	s_delay_alu instid0(SALU_CYCLE_1)
	s_mov_b32 s0, exec_lo
	v_cmpx_gt_u32_e64 s12, v20
	s_cbranch_execz .LBB1431_16
.LBB1431_15:
	v_lshlrev_b32_e32 v15, 3, v20
	v_readfirstlane_b32 s4, v17
	v_readfirstlane_b32 s5, v18
	global_load_b64 v[15:16], v15, s[4:5]
.LBB1431_16:
	s_or_b32 exec_lo, exec_lo, s0
	v_lshrrev_b32_e32 v26, 2, v26
	v_lshrrev_b32_e32 v25, 2, v25
	;; [unrolled: 1-line block ×4, first 2 shown]
	v_and_b32_e32 v27, 0x78, v19
	v_lshrrev_b32_e32 v22, 2, v22
	v_lshrrev_b32_e32 v21, 2, v21
	;; [unrolled: 1-line block ×3, first 2 shown]
	v_and_b32_e32 v26, 0xf8, v26
	v_and_b32_e32 v25, 0x1f8, v25
	;; [unrolled: 1-line block ×4, first 2 shown]
	v_add_nc_u32_e32 v27, v27, v39
	v_and_b32_e32 v22, 0x3f8, v22
	v_and_b32_e32 v21, 0x3f8, v21
	;; [unrolled: 1-line block ×3, first 2 shown]
	v_add_nc_u32_e32 v26, v26, v39
	v_add_nc_u32_e32 v25, v25, v39
	;; [unrolled: 1-line block ×7, first 2 shown]
	s_waitcnt vmcnt(0)
	ds_store_b64 v27, v[1:2]
	ds_store_b64 v26, v[3:4] offset:4096
	ds_store_b64 v25, v[5:6] offset:8192
	;; [unrolled: 1-line block ×7, first 2 shown]
	s_waitcnt lgkmcnt(0)
	s_barrier
.LBB1431_17:
	v_add_lshl_u32 v1, v19, v39, 3
	buffer_gl0_inv
	s_cmp_lg_u32 s23, 0
	v_cmp_gt_i64_e64 s26, s[14:15], 0
	s_cselect_b32 s24, -1, 0
	ds_load_2addr_b64 v[13:16], v1 offset1:1
	ds_load_2addr_b64 v[9:12], v1 offset0:2 offset1:3
	ds_load_2addr_b64 v[5:8], v1 offset0:4 offset1:5
	;; [unrolled: 1-line block ×3, first 2 shown]
	s_cmp_lg_u64 s[6:7], 0
	s_mov_b32 s25, 0
	s_cselect_b32 s0, -1, 0
	s_waitcnt lgkmcnt(0)
	s_or_b32 s0, s0, s24
	s_barrier
	s_and_b32 vcc_lo, exec_lo, s0
	buffer_gl0_inv
	s_cbranch_vccz .LBB1431_26
; %bb.18:
	global_load_b64 v[17:18], v[17:18], off offset:-8
	v_cndmask_b32_e64 v27, 0, 1, s26
	s_and_b32 vcc_lo, exec_lo, s22
	ds_store_b64 v39, v[3:4]
	v_cmp_ne_u32_e64 s0, 1, v27
	s_cbranch_vccz .LBB1431_34
; %bb.19:
	v_mul_lo_u32 v21, v2, s14
	v_mul_lo_u32 v22, v1, s15
	v_mad_u64_u32 v[19:20], null, v1, s14, 0
	s_and_b32 vcc_lo, exec_lo, s0
	s_mov_b32 s27, 0
	s_delay_alu instid0(VALU_DEP_1) | instskip(NEXT) | instid1(VALU_DEP_1)
	v_add3_u32 v20, v20, v22, v21
	v_lshlrev_b64 v[19:20], 1, v[19:20]
	s_cbranch_vccnz .LBB1431_37
; %bb.20:
	v_mul_lo_u32 v23, v4, s14
	v_mul_lo_u32 v24, v3, s15
	v_mad_u64_u32 v[21:22], null, v3, s14, 0
	s_mov_b32 s27, -1
	s_mov_b32 s28, exec_lo
	s_delay_alu instid0(VALU_DEP_1) | instskip(SKIP_2) | instid1(VALU_DEP_3)
	v_add3_u32 v22, v22, v24, v23
	v_add_co_u32 v23, vcc_lo, s16, v19
	v_add_co_ci_u32_e32 v24, vcc_lo, s17, v20, vcc_lo
	v_lshlrev_b64 v[21:22], 1, v[21:22]
	s_delay_alu instid0(VALU_DEP_1) | instskip(NEXT) | instid1(VALU_DEP_2)
	v_add_co_u32 v21, vcc_lo, s16, v21
	v_add_co_ci_u32_e32 v22, vcc_lo, s17, v22, vcc_lo
	s_clause 0x1
	global_load_u16 v25, v[23:24], off
	global_load_u16 v26, v[21:22], off
	s_waitcnt vmcnt(0)
	v_cmpx_eq_u16_e64 v25, v26
	s_cbranch_execz .LBB1431_36
; %bb.21:
	v_add_co_u32 v21, vcc_lo, v21, 2
	v_add_co_ci_u32_e32 v22, vcc_lo, 0, v22, vcc_lo
	v_add_co_u32 v23, vcc_lo, v23, 2
	v_add_co_ci_u32_e32 v24, vcc_lo, 0, v24, vcc_lo
	s_add_u32 s4, s14, -1
	s_addc_u32 s5, s15, -1
	s_mov_b64 s[6:7], 0
	s_mov_b32 s27, 0
                                        ; implicit-def: $sgpr29
	s_set_inst_prefetch_distance 0x1
	s_branch .LBB1431_24
	.p2align	6
.LBB1431_22:                            ;   in Loop: Header=BB1431_24 Depth=1
	global_load_u16 v25, v[23:24], off
	global_load_u16 v26, v[21:22], off
	v_add_co_u32 v21, vcc_lo, v21, 2
	v_add_co_ci_u32_e32 v22, vcc_lo, 0, v22, vcc_lo
	v_add_co_u32 v23, s0, v23, 2
	s_delay_alu instid0(VALU_DEP_1)
	v_add_co_ci_u32_e64 v24, s0, 0, v24, s0
	s_add_u32 s6, s6, 1
	s_addc_u32 s7, s7, 0
	s_and_not1_b32 s0, s29, exec_lo
	s_waitcnt vmcnt(0)
	v_cmp_ne_u16_e32 vcc_lo, v25, v26
	s_and_b32 s29, vcc_lo, exec_lo
	s_delay_alu instid0(SALU_CYCLE_1)
	s_or_b32 s29, s0, s29
.LBB1431_23:                            ;   in Loop: Header=BB1431_24 Depth=1
	v_dual_mov_b32 v26, s7 :: v_dual_mov_b32 v25, s6
	s_and_b32 s0, exec_lo, s29
	s_delay_alu instid0(SALU_CYCLE_1) | instskip(NEXT) | instid1(SALU_CYCLE_1)
	s_or_b32 s27, s0, s27
	s_and_not1_b32 exec_lo, exec_lo, s27
	s_cbranch_execz .LBB1431_35
.LBB1431_24:                            ; =>This Inner Loop Header: Depth=1
	s_or_b32 s29, s29, exec_lo
	s_cmp_eq_u64 s[4:5], s[6:7]
	s_cbranch_scc0 .LBB1431_22
; %bb.25:                               ;   in Loop: Header=BB1431_24 Depth=1
	s_mov_b64 s[6:7], s[14:15]
                                        ; implicit-def: $vgpr21_vgpr22
                                        ; implicit-def: $vgpr23_vgpr24
	s_branch .LBB1431_23
.LBB1431_26:
                                        ; implicit-def: $sgpr0
                                        ; implicit-def: $vgpr20
	s_branch .LBB1431_195
.LBB1431_27:
	v_readfirstlane_b32 s4, v17
	v_readfirstlane_b32 s5, v18
	global_load_b64 v[1:2], v39, s[4:5]
	s_or_b32 exec_lo, exec_lo, s0
	s_delay_alu instid0(SALU_CYCLE_1)
	s_mov_b32 s0, exec_lo
	v_cmpx_gt_u32_e64 s12, v26
	s_cbranch_execz .LBB1431_9
.LBB1431_28:
	v_lshlrev_b32_e32 v3, 3, v26
	v_readfirstlane_b32 s4, v17
	v_readfirstlane_b32 s5, v18
	global_load_b64 v[3:4], v3, s[4:5]
	s_or_b32 exec_lo, exec_lo, s0
	s_delay_alu instid0(SALU_CYCLE_1)
	s_mov_b32 s0, exec_lo
	v_cmpx_gt_u32_e64 s12, v25
	s_cbranch_execz .LBB1431_10
.LBB1431_29:
	v_lshlrev_b32_e32 v5, 3, v25
	v_readfirstlane_b32 s4, v17
	v_readfirstlane_b32 s5, v18
	global_load_b64 v[5:6], v5, s[4:5]
	s_or_b32 exec_lo, exec_lo, s0
	s_delay_alu instid0(SALU_CYCLE_1)
	s_mov_b32 s0, exec_lo
	v_cmpx_gt_u32_e64 s12, v24
	s_cbranch_execz .LBB1431_11
.LBB1431_30:
	v_lshlrev_b32_e32 v7, 3, v24
	v_readfirstlane_b32 s4, v17
	v_readfirstlane_b32 s5, v18
	global_load_b64 v[7:8], v7, s[4:5]
	s_or_b32 exec_lo, exec_lo, s0
	s_delay_alu instid0(SALU_CYCLE_1)
	s_mov_b32 s0, exec_lo
	v_cmpx_gt_u32_e64 s12, v23
	s_cbranch_execz .LBB1431_12
.LBB1431_31:
	v_lshlrev_b32_e32 v9, 3, v23
	v_readfirstlane_b32 s4, v17
	v_readfirstlane_b32 s5, v18
	global_load_b64 v[9:10], v9, s[4:5]
	s_or_b32 exec_lo, exec_lo, s0
	s_delay_alu instid0(SALU_CYCLE_1)
	s_mov_b32 s0, exec_lo
	v_cmpx_gt_u32_e64 s12, v22
	s_cbranch_execz .LBB1431_13
.LBB1431_32:
	v_lshlrev_b32_e32 v11, 3, v22
	v_readfirstlane_b32 s4, v17
	v_readfirstlane_b32 s5, v18
	global_load_b64 v[11:12], v11, s[4:5]
	s_or_b32 exec_lo, exec_lo, s0
	s_delay_alu instid0(SALU_CYCLE_1)
	s_mov_b32 s0, exec_lo
	v_cmpx_gt_u32_e64 s12, v21
	s_cbranch_execz .LBB1431_14
.LBB1431_33:
	v_lshlrev_b32_e32 v13, 3, v21
	v_readfirstlane_b32 s4, v17
	v_readfirstlane_b32 s5, v18
	global_load_b64 v[13:14], v13, s[4:5]
	s_or_b32 exec_lo, exec_lo, s0
	s_delay_alu instid0(SALU_CYCLE_1)
	s_mov_b32 s0, exec_lo
	v_cmpx_gt_u32_e64 s12, v20
	s_cbranch_execnz .LBB1431_15
	s_branch .LBB1431_16
.LBB1431_34:
                                        ; implicit-def: $sgpr0
                                        ; implicit-def: $vgpr20
	s_cbranch_execnz .LBB1431_103
	s_branch .LBB1431_194
.LBB1431_35:
	s_set_inst_prefetch_distance 0x2
	s_or_b32 exec_lo, exec_lo, s27
	v_cmp_gt_i64_e32 vcc_lo, s[14:15], v[25:26]
	s_or_not1_b32 s27, vcc_lo, exec_lo
.LBB1431_36:
	s_or_b32 exec_lo, exec_lo, s28
.LBB1431_37:
	v_mul_lo_u32 v23, v8, s14
	v_mul_lo_u32 v24, v7, s15
	v_mad_u64_u32 v[21:22], null, v7, s14, 0
	s_and_not1_b32 vcc_lo, exec_lo, s26
	s_delay_alu instid0(VALU_DEP_1) | instskip(NEXT) | instid1(VALU_DEP_1)
	v_add3_u32 v22, v22, v24, v23
	v_lshlrev_b64 v[21:22], 1, v[21:22]
	s_cbranch_vccnz .LBB1431_46
; %bb.38:
	s_delay_alu instid0(VALU_DEP_1) | instskip(NEXT) | instid1(VALU_DEP_2)
	v_add_co_u32 v23, vcc_lo, s16, v21
	v_add_co_ci_u32_e32 v24, vcc_lo, s17, v22, vcc_lo
	v_add_co_u32 v19, vcc_lo, s16, v19
	v_add_co_ci_u32_e32 v20, vcc_lo, s17, v20, vcc_lo
	s_mov_b32 s25, -1
	s_clause 0x1
	global_load_u16 v25, v[23:24], off
	global_load_u16 v26, v[19:20], off
	s_mov_b32 s28, exec_lo
	s_waitcnt vmcnt(0)
	v_cmpx_eq_u16_e64 v25, v26
	s_cbranch_execz .LBB1431_45
; %bb.39:
	v_add_co_u32 v19, vcc_lo, v19, 2
	v_add_co_ci_u32_e32 v20, vcc_lo, 0, v20, vcc_lo
	v_add_co_u32 v23, vcc_lo, v23, 2
	v_add_co_ci_u32_e32 v24, vcc_lo, 0, v24, vcc_lo
	s_add_u32 s4, s14, -1
	s_addc_u32 s5, s15, -1
	s_mov_b64 s[6:7], 0
	s_mov_b32 s25, 0
                                        ; implicit-def: $sgpr29
	s_set_inst_prefetch_distance 0x1
	s_branch .LBB1431_42
	.p2align	6
.LBB1431_40:                            ;   in Loop: Header=BB1431_42 Depth=1
	global_load_u16 v25, v[23:24], off
	global_load_u16 v26, v[19:20], off
	v_add_co_u32 v19, vcc_lo, v19, 2
	v_add_co_ci_u32_e32 v20, vcc_lo, 0, v20, vcc_lo
	v_add_co_u32 v23, s0, v23, 2
	s_delay_alu instid0(VALU_DEP_1)
	v_add_co_ci_u32_e64 v24, s0, 0, v24, s0
	s_add_u32 s6, s6, 1
	s_addc_u32 s7, s7, 0
	s_and_not1_b32 s0, s29, exec_lo
	s_waitcnt vmcnt(0)
	v_cmp_ne_u16_e32 vcc_lo, v25, v26
	s_and_b32 s29, vcc_lo, exec_lo
	s_delay_alu instid0(SALU_CYCLE_1)
	s_or_b32 s29, s0, s29
.LBB1431_41:                            ;   in Loop: Header=BB1431_42 Depth=1
	v_dual_mov_b32 v26, s7 :: v_dual_mov_b32 v25, s6
	s_and_b32 s0, exec_lo, s29
	s_delay_alu instid0(SALU_CYCLE_1) | instskip(NEXT) | instid1(SALU_CYCLE_1)
	s_or_b32 s25, s0, s25
	s_and_not1_b32 exec_lo, exec_lo, s25
	s_cbranch_execz .LBB1431_44
.LBB1431_42:                            ; =>This Inner Loop Header: Depth=1
	s_or_b32 s29, s29, exec_lo
	s_cmp_eq_u64 s[4:5], s[6:7]
	s_cbranch_scc0 .LBB1431_40
; %bb.43:                               ;   in Loop: Header=BB1431_42 Depth=1
	s_mov_b64 s[6:7], s[14:15]
                                        ; implicit-def: $vgpr19_vgpr20
                                        ; implicit-def: $vgpr23_vgpr24
	s_branch .LBB1431_41
.LBB1431_44:
	s_set_inst_prefetch_distance 0x2
	s_or_b32 exec_lo, exec_lo, s25
	v_cmp_gt_i64_e32 vcc_lo, s[14:15], v[25:26]
	s_or_not1_b32 s25, vcc_lo, exec_lo
.LBB1431_45:
	s_or_b32 exec_lo, exec_lo, s28
.LBB1431_46:
	v_mul_lo_u32 v23, v6, s14
	v_mul_lo_u32 v24, v5, s15
	v_mad_u64_u32 v[19:20], null, v5, s14, 0
	s_mov_b32 s28, 0
	s_and_not1_b32 vcc_lo, exec_lo, s26
	s_mov_b32 s29, 0
	s_delay_alu instid0(VALU_DEP_1) | instskip(NEXT) | instid1(VALU_DEP_1)
	v_add3_u32 v20, v20, v24, v23
	v_lshlrev_b64 v[23:24], 1, v[19:20]
	s_cbranch_vccnz .LBB1431_55
; %bb.47:
	s_delay_alu instid0(VALU_DEP_1) | instskip(NEXT) | instid1(VALU_DEP_2)
	v_add_co_u32 v25, vcc_lo, s16, v23
	v_add_co_ci_u32_e32 v26, vcc_lo, s17, v24, vcc_lo
	v_add_co_u32 v19, vcc_lo, s16, v21
	v_add_co_ci_u32_e32 v20, vcc_lo, s17, v22, vcc_lo
	s_mov_b32 s29, -1
	s_clause 0x1
	global_load_u16 v21, v[25:26], off
	global_load_u16 v22, v[19:20], off
	s_mov_b32 s30, exec_lo
	s_waitcnt vmcnt(0)
	v_cmpx_eq_u16_e64 v21, v22
	s_cbranch_execz .LBB1431_54
; %bb.48:
	v_add_co_u32 v19, vcc_lo, v19, 2
	v_add_co_ci_u32_e32 v20, vcc_lo, 0, v20, vcc_lo
	v_add_co_u32 v21, vcc_lo, v25, 2
	v_add_co_ci_u32_e32 v22, vcc_lo, 0, v26, vcc_lo
	s_add_u32 s4, s14, -1
	s_addc_u32 s5, s15, -1
	s_mov_b64 s[6:7], 0
	s_mov_b32 s29, 0
                                        ; implicit-def: $sgpr31
	s_set_inst_prefetch_distance 0x1
	s_branch .LBB1431_51
	.p2align	6
.LBB1431_49:                            ;   in Loop: Header=BB1431_51 Depth=1
	global_load_u16 v25, v[21:22], off
	global_load_u16 v26, v[19:20], off
	v_add_co_u32 v19, vcc_lo, v19, 2
	v_add_co_ci_u32_e32 v20, vcc_lo, 0, v20, vcc_lo
	v_add_co_u32 v21, s0, v21, 2
	s_delay_alu instid0(VALU_DEP_1)
	v_add_co_ci_u32_e64 v22, s0, 0, v22, s0
	s_add_u32 s6, s6, 1
	s_addc_u32 s7, s7, 0
	s_and_not1_b32 s0, s31, exec_lo
	s_waitcnt vmcnt(0)
	v_cmp_ne_u16_e32 vcc_lo, v25, v26
	s_and_b32 s31, vcc_lo, exec_lo
	s_delay_alu instid0(SALU_CYCLE_1)
	s_or_b32 s31, s0, s31
.LBB1431_50:                            ;   in Loop: Header=BB1431_51 Depth=1
	v_dual_mov_b32 v26, s7 :: v_dual_mov_b32 v25, s6
	s_and_b32 s0, exec_lo, s31
	s_delay_alu instid0(SALU_CYCLE_1) | instskip(NEXT) | instid1(SALU_CYCLE_1)
	s_or_b32 s29, s0, s29
	s_and_not1_b32 exec_lo, exec_lo, s29
	s_cbranch_execz .LBB1431_53
.LBB1431_51:                            ; =>This Inner Loop Header: Depth=1
	s_or_b32 s31, s31, exec_lo
	s_cmp_eq_u64 s[4:5], s[6:7]
	s_cbranch_scc0 .LBB1431_49
; %bb.52:                               ;   in Loop: Header=BB1431_51 Depth=1
	s_mov_b64 s[6:7], s[14:15]
                                        ; implicit-def: $vgpr19_vgpr20
                                        ; implicit-def: $vgpr21_vgpr22
	s_branch .LBB1431_50
.LBB1431_53:
	s_set_inst_prefetch_distance 0x2
	s_or_b32 exec_lo, exec_lo, s29
	v_cmp_gt_i64_e32 vcc_lo, s[14:15], v[25:26]
	s_or_not1_b32 s29, vcc_lo, exec_lo
.LBB1431_54:
	s_or_b32 exec_lo, exec_lo, s30
.LBB1431_55:
	v_mul_lo_u32 v21, v12, s14
	v_mul_lo_u32 v22, v11, s15
	v_mad_u64_u32 v[19:20], null, v11, s14, 0
	s_and_not1_b32 vcc_lo, exec_lo, s26
	s_delay_alu instid0(VALU_DEP_1) | instskip(NEXT) | instid1(VALU_DEP_1)
	v_add3_u32 v20, v20, v22, v21
	v_lshlrev_b64 v[19:20], 1, v[19:20]
	s_cbranch_vccnz .LBB1431_64
; %bb.56:
	s_delay_alu instid0(VALU_DEP_1) | instskip(NEXT) | instid1(VALU_DEP_2)
	v_add_co_u32 v25, vcc_lo, s16, v19
	v_add_co_ci_u32_e32 v26, vcc_lo, s17, v20, vcc_lo
	v_add_co_u32 v21, vcc_lo, s16, v23
	v_add_co_ci_u32_e32 v22, vcc_lo, s17, v24, vcc_lo
	s_mov_b32 s28, -1
	s_clause 0x1
	global_load_u16 v23, v[25:26], off
	global_load_u16 v24, v[21:22], off
	s_mov_b32 s30, exec_lo
	s_waitcnt vmcnt(0)
	v_cmpx_eq_u16_e64 v23, v24
	s_cbranch_execz .LBB1431_63
; %bb.57:
	v_add_co_u32 v21, vcc_lo, v21, 2
	v_add_co_ci_u32_e32 v22, vcc_lo, 0, v22, vcc_lo
	v_add_co_u32 v23, vcc_lo, v25, 2
	v_add_co_ci_u32_e32 v24, vcc_lo, 0, v26, vcc_lo
	s_add_u32 s4, s14, -1
	s_addc_u32 s5, s15, -1
	s_mov_b64 s[6:7], 0
	s_mov_b32 s28, 0
                                        ; implicit-def: $sgpr31
	s_set_inst_prefetch_distance 0x1
	s_branch .LBB1431_60
	.p2align	6
.LBB1431_58:                            ;   in Loop: Header=BB1431_60 Depth=1
	global_load_u16 v25, v[23:24], off
	global_load_u16 v26, v[21:22], off
	v_add_co_u32 v21, vcc_lo, v21, 2
	v_add_co_ci_u32_e32 v22, vcc_lo, 0, v22, vcc_lo
	v_add_co_u32 v23, s0, v23, 2
	s_delay_alu instid0(VALU_DEP_1)
	v_add_co_ci_u32_e64 v24, s0, 0, v24, s0
	s_add_u32 s6, s6, 1
	s_addc_u32 s7, s7, 0
	s_and_not1_b32 s0, s31, exec_lo
	s_waitcnt vmcnt(0)
	v_cmp_ne_u16_e32 vcc_lo, v25, v26
	s_and_b32 s31, vcc_lo, exec_lo
	s_delay_alu instid0(SALU_CYCLE_1)
	s_or_b32 s31, s0, s31
.LBB1431_59:                            ;   in Loop: Header=BB1431_60 Depth=1
	v_dual_mov_b32 v26, s7 :: v_dual_mov_b32 v25, s6
	s_and_b32 s0, exec_lo, s31
	s_delay_alu instid0(SALU_CYCLE_1) | instskip(NEXT) | instid1(SALU_CYCLE_1)
	s_or_b32 s28, s0, s28
	s_and_not1_b32 exec_lo, exec_lo, s28
	s_cbranch_execz .LBB1431_62
.LBB1431_60:                            ; =>This Inner Loop Header: Depth=1
	s_or_b32 s31, s31, exec_lo
	s_cmp_eq_u64 s[4:5], s[6:7]
	s_cbranch_scc0 .LBB1431_58
; %bb.61:                               ;   in Loop: Header=BB1431_60 Depth=1
	s_mov_b64 s[6:7], s[14:15]
                                        ; implicit-def: $vgpr21_vgpr22
                                        ; implicit-def: $vgpr23_vgpr24
	s_branch .LBB1431_59
.LBB1431_62:
	s_set_inst_prefetch_distance 0x2
	s_or_b32 exec_lo, exec_lo, s28
	v_cmp_gt_i64_e32 vcc_lo, s[14:15], v[25:26]
	s_or_not1_b32 s28, vcc_lo, exec_lo
.LBB1431_63:
	s_or_b32 exec_lo, exec_lo, s30
.LBB1431_64:
	v_mul_lo_u32 v23, v10, s14
	v_mul_lo_u32 v24, v9, s15
	v_mad_u64_u32 v[21:22], null, v9, s14, 0
	s_mov_b32 s30, 0
	s_and_not1_b32 vcc_lo, exec_lo, s26
	s_mov_b32 s31, 0
	s_delay_alu instid0(VALU_DEP_1) | instskip(NEXT) | instid1(VALU_DEP_1)
	v_add3_u32 v22, v22, v24, v23
	v_lshlrev_b64 v[23:24], 1, v[21:22]
	s_cbranch_vccnz .LBB1431_73
; %bb.65:
	s_delay_alu instid0(VALU_DEP_1) | instskip(NEXT) | instid1(VALU_DEP_2)
	v_add_co_u32 v21, vcc_lo, s16, v23
	v_add_co_ci_u32_e32 v22, vcc_lo, s17, v24, vcc_lo
	v_add_co_u32 v19, vcc_lo, s16, v19
	v_add_co_ci_u32_e32 v20, vcc_lo, s17, v20, vcc_lo
	s_mov_b32 s31, -1
	s_clause 0x1
	global_load_u16 v25, v[21:22], off
	global_load_u16 v26, v[19:20], off
	s_mov_b32 s33, exec_lo
	s_waitcnt vmcnt(0)
	v_cmpx_eq_u16_e64 v25, v26
	s_cbranch_execz .LBB1431_72
; %bb.66:
	v_add_co_u32 v19, vcc_lo, v19, 2
	v_add_co_ci_u32_e32 v20, vcc_lo, 0, v20, vcc_lo
	v_add_co_u32 v21, vcc_lo, v21, 2
	v_add_co_ci_u32_e32 v22, vcc_lo, 0, v22, vcc_lo
	s_add_u32 s4, s14, -1
	s_addc_u32 s5, s15, -1
	s_mov_b64 s[6:7], 0
	s_mov_b32 s31, 0
                                        ; implicit-def: $sgpr34
	s_set_inst_prefetch_distance 0x1
	s_branch .LBB1431_69
	.p2align	6
.LBB1431_67:                            ;   in Loop: Header=BB1431_69 Depth=1
	global_load_u16 v25, v[21:22], off
	global_load_u16 v26, v[19:20], off
	v_add_co_u32 v19, vcc_lo, v19, 2
	v_add_co_ci_u32_e32 v20, vcc_lo, 0, v20, vcc_lo
	v_add_co_u32 v21, s0, v21, 2
	s_delay_alu instid0(VALU_DEP_1)
	v_add_co_ci_u32_e64 v22, s0, 0, v22, s0
	s_add_u32 s6, s6, 1
	s_addc_u32 s7, s7, 0
	s_and_not1_b32 s0, s34, exec_lo
	s_waitcnt vmcnt(0)
	v_cmp_ne_u16_e32 vcc_lo, v25, v26
	s_and_b32 s34, vcc_lo, exec_lo
	s_delay_alu instid0(SALU_CYCLE_1)
	s_or_b32 s34, s0, s34
.LBB1431_68:                            ;   in Loop: Header=BB1431_69 Depth=1
	v_dual_mov_b32 v26, s7 :: v_dual_mov_b32 v25, s6
	s_and_b32 s0, exec_lo, s34
	s_delay_alu instid0(SALU_CYCLE_1) | instskip(NEXT) | instid1(SALU_CYCLE_1)
	s_or_b32 s31, s0, s31
	s_and_not1_b32 exec_lo, exec_lo, s31
	s_cbranch_execz .LBB1431_71
.LBB1431_69:                            ; =>This Inner Loop Header: Depth=1
	s_or_b32 s34, s34, exec_lo
	s_cmp_eq_u64 s[4:5], s[6:7]
	s_cbranch_scc0 .LBB1431_67
; %bb.70:                               ;   in Loop: Header=BB1431_69 Depth=1
	s_mov_b64 s[6:7], s[14:15]
                                        ; implicit-def: $vgpr19_vgpr20
                                        ; implicit-def: $vgpr21_vgpr22
	s_branch .LBB1431_68
.LBB1431_71:
	s_set_inst_prefetch_distance 0x2
	s_or_b32 exec_lo, exec_lo, s31
	v_cmp_gt_i64_e32 vcc_lo, s[14:15], v[25:26]
	s_or_not1_b32 s31, vcc_lo, exec_lo
.LBB1431_72:
	s_or_b32 exec_lo, exec_lo, s33
.LBB1431_73:
	v_mul_lo_u32 v21, v16, s14
	v_mul_lo_u32 v22, v15, s15
	v_mad_u64_u32 v[19:20], null, v15, s14, 0
	s_and_not1_b32 vcc_lo, exec_lo, s26
	s_delay_alu instid0(VALU_DEP_1) | instskip(NEXT) | instid1(VALU_DEP_1)
	v_add3_u32 v20, v20, v22, v21
	v_lshlrev_b64 v[21:22], 1, v[19:20]
	s_cbranch_vccnz .LBB1431_82
; %bb.74:
	s_delay_alu instid0(VALU_DEP_1) | instskip(NEXT) | instid1(VALU_DEP_2)
	v_add_co_u32 v25, vcc_lo, s16, v21
	v_add_co_ci_u32_e32 v26, vcc_lo, s17, v22, vcc_lo
	v_add_co_u32 v19, vcc_lo, s16, v23
	v_add_co_ci_u32_e32 v20, vcc_lo, s17, v24, vcc_lo
	s_mov_b32 s30, -1
	s_clause 0x1
	global_load_u16 v23, v[25:26], off
	global_load_u16 v24, v[19:20], off
	s_mov_b32 s33, exec_lo
	s_waitcnt vmcnt(0)
	v_cmpx_eq_u16_e64 v23, v24
	s_cbranch_execz .LBB1431_81
; %bb.75:
	v_add_co_u32 v19, vcc_lo, v19, 2
	v_add_co_ci_u32_e32 v20, vcc_lo, 0, v20, vcc_lo
	v_add_co_u32 v23, vcc_lo, v25, 2
	v_add_co_ci_u32_e32 v24, vcc_lo, 0, v26, vcc_lo
	s_add_u32 s4, s14, -1
	s_addc_u32 s5, s15, -1
	s_mov_b64 s[6:7], 0
	s_mov_b32 s30, 0
                                        ; implicit-def: $sgpr34
	s_set_inst_prefetch_distance 0x1
	s_branch .LBB1431_78
	.p2align	6
.LBB1431_76:                            ;   in Loop: Header=BB1431_78 Depth=1
	global_load_u16 v25, v[23:24], off
	global_load_u16 v26, v[19:20], off
	v_add_co_u32 v19, vcc_lo, v19, 2
	v_add_co_ci_u32_e32 v20, vcc_lo, 0, v20, vcc_lo
	v_add_co_u32 v23, s0, v23, 2
	s_delay_alu instid0(VALU_DEP_1)
	v_add_co_ci_u32_e64 v24, s0, 0, v24, s0
	s_add_u32 s6, s6, 1
	s_addc_u32 s7, s7, 0
	s_and_not1_b32 s0, s34, exec_lo
	s_waitcnt vmcnt(0)
	v_cmp_ne_u16_e32 vcc_lo, v25, v26
	s_and_b32 s34, vcc_lo, exec_lo
	s_delay_alu instid0(SALU_CYCLE_1)
	s_or_b32 s34, s0, s34
.LBB1431_77:                            ;   in Loop: Header=BB1431_78 Depth=1
	v_dual_mov_b32 v26, s7 :: v_dual_mov_b32 v25, s6
	s_and_b32 s0, exec_lo, s34
	s_delay_alu instid0(SALU_CYCLE_1) | instskip(NEXT) | instid1(SALU_CYCLE_1)
	s_or_b32 s30, s0, s30
	s_and_not1_b32 exec_lo, exec_lo, s30
	s_cbranch_execz .LBB1431_80
.LBB1431_78:                            ; =>This Inner Loop Header: Depth=1
	s_or_b32 s34, s34, exec_lo
	s_cmp_eq_u64 s[4:5], s[6:7]
	s_cbranch_scc0 .LBB1431_76
; %bb.79:                               ;   in Loop: Header=BB1431_78 Depth=1
	s_mov_b64 s[6:7], s[14:15]
                                        ; implicit-def: $vgpr19_vgpr20
                                        ; implicit-def: $vgpr23_vgpr24
	s_branch .LBB1431_77
.LBB1431_80:
	s_set_inst_prefetch_distance 0x2
	s_or_b32 exec_lo, exec_lo, s30
	v_cmp_gt_i64_e32 vcc_lo, s[14:15], v[25:26]
	s_or_not1_b32 s30, vcc_lo, exec_lo
.LBB1431_81:
	s_or_b32 exec_lo, exec_lo, s33
.LBB1431_82:
	v_mul_lo_u32 v23, v14, s14
	v_mul_lo_u32 v24, v13, s15
	v_mad_u64_u32 v[19:20], null, v13, s14, 0
	s_and_not1_b32 vcc_lo, exec_lo, s26
	s_mov_b32 s0, 0
	s_delay_alu instid0(VALU_DEP_1) | instskip(NEXT) | instid1(VALU_DEP_1)
	v_add3_u32 v20, v20, v24, v23
	v_lshlrev_b64 v[19:20], 1, v[19:20]
	s_cbranch_vccnz .LBB1431_91
; %bb.83:
	s_delay_alu instid0(VALU_DEP_1) | instskip(NEXT) | instid1(VALU_DEP_2)
	v_add_co_u32 v23, vcc_lo, s16, v19
	v_add_co_ci_u32_e32 v24, vcc_lo, s17, v20, vcc_lo
	v_add_co_u32 v21, vcc_lo, s16, v21
	v_add_co_ci_u32_e32 v22, vcc_lo, s17, v22, vcc_lo
	s_mov_b32 s0, -1
	s_clause 0x1
	global_load_u16 v25, v[23:24], off
	global_load_u16 v26, v[21:22], off
	s_mov_b32 s33, exec_lo
	s_waitcnt vmcnt(0)
	v_cmpx_eq_u16_e64 v25, v26
	s_cbranch_execz .LBB1431_90
; %bb.84:
	v_add_co_u32 v21, vcc_lo, v21, 2
	v_add_co_ci_u32_e32 v22, vcc_lo, 0, v22, vcc_lo
	v_add_co_u32 v23, vcc_lo, v23, 2
	v_add_co_ci_u32_e32 v24, vcc_lo, 0, v24, vcc_lo
	s_add_u32 s4, s14, -1
	s_addc_u32 s5, s15, -1
	s_mov_b64 s[6:7], 0
	s_mov_b32 s34, 0
                                        ; implicit-def: $sgpr35
	s_set_inst_prefetch_distance 0x1
	s_branch .LBB1431_87
	.p2align	6
.LBB1431_85:                            ;   in Loop: Header=BB1431_87 Depth=1
	global_load_u16 v25, v[23:24], off
	global_load_u16 v26, v[21:22], off
	v_add_co_u32 v21, vcc_lo, v21, 2
	v_add_co_ci_u32_e32 v22, vcc_lo, 0, v22, vcc_lo
	v_add_co_u32 v23, s0, v23, 2
	s_delay_alu instid0(VALU_DEP_1)
	v_add_co_ci_u32_e64 v24, s0, 0, v24, s0
	s_add_u32 s6, s6, 1
	s_addc_u32 s7, s7, 0
	s_and_not1_b32 s0, s35, exec_lo
	s_waitcnt vmcnt(0)
	v_cmp_ne_u16_e32 vcc_lo, v25, v26
	s_and_b32 s35, vcc_lo, exec_lo
	s_delay_alu instid0(SALU_CYCLE_1)
	s_or_b32 s35, s0, s35
.LBB1431_86:                            ;   in Loop: Header=BB1431_87 Depth=1
	v_dual_mov_b32 v26, s7 :: v_dual_mov_b32 v25, s6
	s_and_b32 s0, exec_lo, s35
	s_delay_alu instid0(SALU_CYCLE_1) | instskip(NEXT) | instid1(SALU_CYCLE_1)
	s_or_b32 s34, s0, s34
	s_and_not1_b32 exec_lo, exec_lo, s34
	s_cbranch_execz .LBB1431_89
.LBB1431_87:                            ; =>This Inner Loop Header: Depth=1
	s_or_b32 s35, s35, exec_lo
	s_cmp_eq_u64 s[4:5], s[6:7]
	s_cbranch_scc0 .LBB1431_85
; %bb.88:                               ;   in Loop: Header=BB1431_87 Depth=1
	s_mov_b64 s[6:7], s[14:15]
                                        ; implicit-def: $vgpr21_vgpr22
                                        ; implicit-def: $vgpr23_vgpr24
	s_branch .LBB1431_86
.LBB1431_89:
	s_set_inst_prefetch_distance 0x2
	s_or_b32 exec_lo, exec_lo, s34
	v_cmp_gt_i64_e32 vcc_lo, s[14:15], v[25:26]
	s_or_not1_b32 s0, vcc_lo, exec_lo
.LBB1431_90:
	s_or_b32 exec_lo, exec_lo, s33
.LBB1431_91:
	s_waitcnt vmcnt(0)
	v_dual_mov_b32 v22, v18 :: v_dual_mov_b32 v21, v17
	s_waitcnt lgkmcnt(0)
	s_barrier
	buffer_gl0_inv
	s_and_saveexec_b32 s4, s3
	s_cbranch_execz .LBB1431_93
; %bb.92:
	v_add_nc_u32_e32 v21, -8, v39
	ds_load_b64 v[21:22], v21
.LBB1431_93:
	s_or_b32 exec_lo, exec_lo, s4
	v_cndmask_b32_e64 v24, 0, 1, s31
	v_cndmask_b32_e64 v26, 0, 1, s29
	;; [unrolled: 1-line block ×7, first 2 shown]
	v_lshlrev_b16 v24, 8, v24
	v_lshlrev_b16 v26, 8, v26
	v_lshlrev_b16 v28, 8, v28
	v_lshlrev_b16 v29, 8, v29
	s_mov_b32 s25, 0
	v_or_b32_e32 v23, v23, v24
	v_or_b32_e32 v24, v25, v26
	;; [unrolled: 1-line block ×3, first 2 shown]
	v_and_b32_e32 v25, 0xffff, v29
	s_and_not1_b32 vcc_lo, exec_lo, s26
	v_lshlrev_b32_e32 v26, 16, v23
	v_and_b32_e32 v28, 0xffff, v24
	v_lshlrev_b32_e32 v29, 16, v30
	s_mov_b32 s0, 0
	s_cbranch_vccnz .LBB1431_102
; %bb.94:
	s_waitcnt lgkmcnt(0)
	v_mul_lo_u32 v24, v22, s14
	v_mul_lo_u32 v30, v21, s15
	v_mad_u64_u32 v[22:23], null, v21, s14, 0
	s_mov_b32 s0, -1
	s_mov_b32 s27, exec_lo
	s_delay_alu instid0(VALU_DEP_1) | instskip(NEXT) | instid1(VALU_DEP_1)
	v_add3_u32 v23, v23, v30, v24
	v_lshlrev_b64 v[21:22], 1, v[22:23]
	s_delay_alu instid0(VALU_DEP_1) | instskip(NEXT) | instid1(VALU_DEP_2)
	v_add_co_u32 v21, vcc_lo, s16, v21
	v_add_co_ci_u32_e32 v22, vcc_lo, s17, v22, vcc_lo
	v_add_co_u32 v19, vcc_lo, s16, v19
	v_add_co_ci_u32_e32 v20, vcc_lo, s17, v20, vcc_lo
	s_clause 0x1
	global_load_u16 v23, v[21:22], off
	global_load_u16 v24, v[19:20], off
	s_waitcnt vmcnt(0)
	v_cmpx_eq_u16_e64 v23, v24
	s_cbranch_execz .LBB1431_101
; %bb.95:
	v_add_co_u32 v19, vcc_lo, v19, 2
	v_add_co_ci_u32_e32 v20, vcc_lo, 0, v20, vcc_lo
	v_add_co_u32 v21, vcc_lo, v21, 2
	v_add_co_ci_u32_e32 v22, vcc_lo, 0, v22, vcc_lo
	s_add_u32 s4, s14, -1
	s_addc_u32 s5, s15, -1
	s_mov_b64 s[6:7], 0
	s_mov_b32 s28, 0
                                        ; implicit-def: $sgpr29
	s_set_inst_prefetch_distance 0x1
	s_branch .LBB1431_98
	.p2align	6
.LBB1431_96:                            ;   in Loop: Header=BB1431_98 Depth=1
	global_load_u16 v23, v[21:22], off
	global_load_u16 v24, v[19:20], off
	v_add_co_u32 v19, vcc_lo, v19, 2
	v_add_co_ci_u32_e32 v20, vcc_lo, 0, v20, vcc_lo
	v_add_co_u32 v21, s0, v21, 2
	s_delay_alu instid0(VALU_DEP_1)
	v_add_co_ci_u32_e64 v22, s0, 0, v22, s0
	s_add_u32 s6, s6, 1
	s_addc_u32 s7, s7, 0
	s_and_not1_b32 s0, s29, exec_lo
	s_waitcnt vmcnt(0)
	v_cmp_ne_u16_e32 vcc_lo, v23, v24
	s_and_b32 s29, vcc_lo, exec_lo
	s_delay_alu instid0(SALU_CYCLE_1)
	s_or_b32 s29, s0, s29
.LBB1431_97:                            ;   in Loop: Header=BB1431_98 Depth=1
	v_dual_mov_b32 v24, s7 :: v_dual_mov_b32 v23, s6
	s_and_b32 s0, exec_lo, s29
	s_delay_alu instid0(SALU_CYCLE_1) | instskip(NEXT) | instid1(SALU_CYCLE_1)
	s_or_b32 s28, s0, s28
	s_and_not1_b32 exec_lo, exec_lo, s28
	s_cbranch_execz .LBB1431_100
.LBB1431_98:                            ; =>This Inner Loop Header: Depth=1
	s_or_b32 s29, s29, exec_lo
	s_cmp_eq_u64 s[4:5], s[6:7]
	s_cbranch_scc0 .LBB1431_96
; %bb.99:                               ;   in Loop: Header=BB1431_98 Depth=1
	s_mov_b64 s[6:7], s[14:15]
                                        ; implicit-def: $vgpr19_vgpr20
                                        ; implicit-def: $vgpr21_vgpr22
	s_branch .LBB1431_97
.LBB1431_100:
	s_set_inst_prefetch_distance 0x2
	s_or_b32 exec_lo, exec_lo, s28
	v_cmp_gt_i64_e32 vcc_lo, s[14:15], v[23:24]
	s_or_not1_b32 s0, vcc_lo, exec_lo
.LBB1431_101:
	s_or_b32 exec_lo, exec_lo, s27
.LBB1431_102:
	v_or_b32_e32 v19, v25, v26
	s_delay_alu instid0(VALU_DEP_2)
	v_or_b32_e32 v20, v28, v29
	s_and_b32 vcc_lo, exec_lo, s25
	s_cbranch_vccz .LBB1431_194
.LBB1431_103:
	v_or_b32_e32 v19, 7, v39
	s_mov_b32 s25, 0
	s_mov_b32 s27, 0
	s_mov_b32 s28, exec_lo
	s_delay_alu instid0(VALU_DEP_1)
	v_cmpx_gt_u32_e64 s12, v19
	s_cbranch_execz .LBB1431_114
; %bb.104:
	s_and_not1_b32 vcc_lo, exec_lo, s26
	s_mov_b32 s0, 0
	s_cbranch_vccnz .LBB1431_113
; %bb.105:
	v_mul_lo_u32 v23, v2, s14
	v_mul_lo_u32 v24, v1, s15
	v_mad_u64_u32 v[19:20], null, v1, s14, 0
	v_mul_lo_u32 v25, v4, s14
	v_mul_lo_u32 v26, v3, s15
	s_waitcnt lgkmcnt(0)
	v_mad_u64_u32 v[21:22], null, v3, s14, 0
	s_mov_b32 s0, -1
	s_mov_b32 s26, exec_lo
	s_delay_alu instid0(VALU_DEP_4) | instskip(NEXT) | instid1(VALU_DEP_2)
	v_add3_u32 v20, v20, v24, v23
	v_add3_u32 v22, v22, v26, v25
	s_delay_alu instid0(VALU_DEP_2) | instskip(NEXT) | instid1(VALU_DEP_2)
	v_lshlrev_b64 v[19:20], 1, v[19:20]
	v_lshlrev_b64 v[23:24], 1, v[21:22]
	s_delay_alu instid0(VALU_DEP_2) | instskip(NEXT) | instid1(VALU_DEP_3)
	v_add_co_u32 v21, vcc_lo, s16, v19
	v_add_co_ci_u32_e32 v22, vcc_lo, s17, v20, vcc_lo
	s_delay_alu instid0(VALU_DEP_3) | instskip(NEXT) | instid1(VALU_DEP_4)
	v_add_co_u32 v19, vcc_lo, s16, v23
	v_add_co_ci_u32_e32 v20, vcc_lo, s17, v24, vcc_lo
	s_clause 0x1
	global_load_u16 v23, v[21:22], off
	global_load_u16 v24, v[19:20], off
	s_waitcnt vmcnt(0)
	v_cmpx_eq_u16_e64 v23, v24
	s_cbranch_execz .LBB1431_112
; %bb.106:
	v_add_co_u32 v19, vcc_lo, v19, 2
	v_add_co_ci_u32_e32 v20, vcc_lo, 0, v20, vcc_lo
	v_add_co_u32 v21, vcc_lo, v21, 2
	v_add_co_ci_u32_e32 v22, vcc_lo, 0, v22, vcc_lo
	s_add_u32 s4, s14, -1
	s_addc_u32 s5, s15, -1
	s_mov_b64 s[6:7], 0
                                        ; implicit-def: $sgpr29
	s_set_inst_prefetch_distance 0x1
	s_branch .LBB1431_109
	.p2align	6
.LBB1431_107:                           ;   in Loop: Header=BB1431_109 Depth=1
	global_load_u16 v23, v[21:22], off
	global_load_u16 v24, v[19:20], off
	v_add_co_u32 v19, vcc_lo, v19, 2
	v_add_co_ci_u32_e32 v20, vcc_lo, 0, v20, vcc_lo
	v_add_co_u32 v21, s0, v21, 2
	s_delay_alu instid0(VALU_DEP_1)
	v_add_co_ci_u32_e64 v22, s0, 0, v22, s0
	s_add_u32 s6, s6, 1
	s_addc_u32 s7, s7, 0
	s_and_not1_b32 s0, s29, exec_lo
	s_waitcnt vmcnt(0)
	v_cmp_ne_u16_e32 vcc_lo, v23, v24
	s_and_b32 s29, vcc_lo, exec_lo
	s_delay_alu instid0(SALU_CYCLE_1)
	s_or_b32 s29, s0, s29
.LBB1431_108:                           ;   in Loop: Header=BB1431_109 Depth=1
	v_dual_mov_b32 v24, s7 :: v_dual_mov_b32 v23, s6
	s_and_b32 s0, exec_lo, s29
	s_delay_alu instid0(SALU_CYCLE_1) | instskip(NEXT) | instid1(SALU_CYCLE_1)
	s_or_b32 s27, s0, s27
	s_and_not1_b32 exec_lo, exec_lo, s27
	s_cbranch_execz .LBB1431_111
.LBB1431_109:                           ; =>This Inner Loop Header: Depth=1
	s_or_b32 s29, s29, exec_lo
	s_cmp_eq_u64 s[4:5], s[6:7]
	s_cbranch_scc0 .LBB1431_107
; %bb.110:                              ;   in Loop: Header=BB1431_109 Depth=1
	s_mov_b64 s[6:7], s[14:15]
                                        ; implicit-def: $vgpr19_vgpr20
                                        ; implicit-def: $vgpr21_vgpr22
	s_branch .LBB1431_108
.LBB1431_111:
	s_set_inst_prefetch_distance 0x2
	s_or_b32 exec_lo, exec_lo, s27
	v_cmp_gt_i64_e32 vcc_lo, s[14:15], v[23:24]
	s_or_not1_b32 s0, vcc_lo, exec_lo
.LBB1431_112:
	s_or_b32 exec_lo, exec_lo, s26
.LBB1431_113:
	s_delay_alu instid0(SALU_CYCLE_1)
	s_and_b32 s27, s0, exec_lo
.LBB1431_114:
	s_or_b32 exec_lo, exec_lo, s28
	v_or_b32_e32 v19, 6, v39
	s_mov_b32 s26, exec_lo
	s_delay_alu instid0(VALU_DEP_1)
	v_cmpx_gt_u32_e64 s12, v19
	s_cbranch_execz .LBB1431_125
; %bb.115:
	v_cmp_ne_u32_e32 vcc_lo, 1, v27
	s_mov_b32 s0, 0
	s_cbranch_vccnz .LBB1431_124
; %bb.116:
	v_mul_lo_u32 v23, v8, s14
	v_mul_lo_u32 v24, v7, s15
	v_mad_u64_u32 v[19:20], null, v7, s14, 0
	v_mul_lo_u32 v25, v2, s14
	v_mul_lo_u32 v26, v1, s15
	s_waitcnt lgkmcnt(0)
	v_mad_u64_u32 v[21:22], null, v1, s14, 0
	s_mov_b32 s0, -1
	s_mov_b32 s25, exec_lo
	s_delay_alu instid0(VALU_DEP_4) | instskip(NEXT) | instid1(VALU_DEP_2)
	v_add3_u32 v20, v20, v24, v23
	v_add3_u32 v22, v22, v26, v25
	s_delay_alu instid0(VALU_DEP_2) | instskip(NEXT) | instid1(VALU_DEP_2)
	v_lshlrev_b64 v[19:20], 1, v[19:20]
	v_lshlrev_b64 v[23:24], 1, v[21:22]
	s_delay_alu instid0(VALU_DEP_2) | instskip(NEXT) | instid1(VALU_DEP_3)
	v_add_co_u32 v21, vcc_lo, s16, v19
	v_add_co_ci_u32_e32 v22, vcc_lo, s17, v20, vcc_lo
	s_delay_alu instid0(VALU_DEP_3) | instskip(NEXT) | instid1(VALU_DEP_4)
	v_add_co_u32 v19, vcc_lo, s16, v23
	v_add_co_ci_u32_e32 v20, vcc_lo, s17, v24, vcc_lo
	s_clause 0x1
	global_load_u16 v23, v[21:22], off
	global_load_u16 v24, v[19:20], off
	s_waitcnt vmcnt(0)
	v_cmpx_eq_u16_e64 v23, v24
	s_cbranch_execz .LBB1431_123
; %bb.117:
	v_add_co_u32 v19, vcc_lo, v19, 2
	v_add_co_ci_u32_e32 v20, vcc_lo, 0, v20, vcc_lo
	v_add_co_u32 v21, vcc_lo, v21, 2
	v_add_co_ci_u32_e32 v22, vcc_lo, 0, v22, vcc_lo
	s_add_u32 s4, s14, -1
	s_addc_u32 s5, s15, -1
	s_mov_b64 s[6:7], 0
	s_mov_b32 s28, 0
                                        ; implicit-def: $sgpr29
	s_set_inst_prefetch_distance 0x1
	s_branch .LBB1431_120
	.p2align	6
.LBB1431_118:                           ;   in Loop: Header=BB1431_120 Depth=1
	global_load_u16 v23, v[21:22], off
	global_load_u16 v24, v[19:20], off
	v_add_co_u32 v19, vcc_lo, v19, 2
	v_add_co_ci_u32_e32 v20, vcc_lo, 0, v20, vcc_lo
	v_add_co_u32 v21, s0, v21, 2
	s_delay_alu instid0(VALU_DEP_1)
	v_add_co_ci_u32_e64 v22, s0, 0, v22, s0
	s_add_u32 s6, s6, 1
	s_addc_u32 s7, s7, 0
	s_and_not1_b32 s0, s29, exec_lo
	s_waitcnt vmcnt(0)
	v_cmp_ne_u16_e32 vcc_lo, v23, v24
	s_and_b32 s29, vcc_lo, exec_lo
	s_delay_alu instid0(SALU_CYCLE_1)
	s_or_b32 s29, s0, s29
.LBB1431_119:                           ;   in Loop: Header=BB1431_120 Depth=1
	v_dual_mov_b32 v24, s7 :: v_dual_mov_b32 v23, s6
	s_and_b32 s0, exec_lo, s29
	s_delay_alu instid0(SALU_CYCLE_1) | instskip(NEXT) | instid1(SALU_CYCLE_1)
	s_or_b32 s28, s0, s28
	s_and_not1_b32 exec_lo, exec_lo, s28
	s_cbranch_execz .LBB1431_122
.LBB1431_120:                           ; =>This Inner Loop Header: Depth=1
	s_or_b32 s29, s29, exec_lo
	s_cmp_eq_u64 s[4:5], s[6:7]
	s_cbranch_scc0 .LBB1431_118
; %bb.121:                              ;   in Loop: Header=BB1431_120 Depth=1
	s_mov_b64 s[6:7], s[14:15]
                                        ; implicit-def: $vgpr19_vgpr20
                                        ; implicit-def: $vgpr21_vgpr22
	s_branch .LBB1431_119
.LBB1431_122:
	s_set_inst_prefetch_distance 0x2
	s_or_b32 exec_lo, exec_lo, s28
	v_cmp_gt_i64_e32 vcc_lo, s[14:15], v[23:24]
	s_or_not1_b32 s0, vcc_lo, exec_lo
.LBB1431_123:
	s_or_b32 exec_lo, exec_lo, s25
.LBB1431_124:
	s_delay_alu instid0(SALU_CYCLE_1)
	s_and_b32 s25, s0, exec_lo
.LBB1431_125:
	s_or_b32 exec_lo, exec_lo, s26
	v_or_b32_e32 v19, 5, v39
	s_mov_b32 s28, 0
	s_mov_b32 s26, 0
	s_mov_b32 s29, exec_lo
	s_delay_alu instid0(VALU_DEP_1)
	v_cmpx_gt_u32_e64 s12, v19
	s_cbranch_execz .LBB1431_136
; %bb.126:
	v_cmp_ne_u32_e32 vcc_lo, 1, v27
	s_mov_b32 s0, 0
	s_cbranch_vccnz .LBB1431_135
; %bb.127:
	v_mul_lo_u32 v23, v6, s14
	v_mul_lo_u32 v24, v5, s15
	v_mad_u64_u32 v[19:20], null, v5, s14, 0
	v_mul_lo_u32 v25, v8, s14
	v_mul_lo_u32 v26, v7, s15
	s_waitcnt lgkmcnt(0)
	v_mad_u64_u32 v[21:22], null, v7, s14, 0
	s_mov_b32 s0, -1
	s_mov_b32 s26, exec_lo
	s_delay_alu instid0(VALU_DEP_4) | instskip(NEXT) | instid1(VALU_DEP_2)
	v_add3_u32 v20, v20, v24, v23
	v_add3_u32 v22, v22, v26, v25
	s_delay_alu instid0(VALU_DEP_2) | instskip(NEXT) | instid1(VALU_DEP_2)
	v_lshlrev_b64 v[19:20], 1, v[19:20]
	v_lshlrev_b64 v[23:24], 1, v[21:22]
	s_delay_alu instid0(VALU_DEP_2) | instskip(NEXT) | instid1(VALU_DEP_3)
	v_add_co_u32 v21, vcc_lo, s16, v19
	v_add_co_ci_u32_e32 v22, vcc_lo, s17, v20, vcc_lo
	s_delay_alu instid0(VALU_DEP_3) | instskip(NEXT) | instid1(VALU_DEP_4)
	v_add_co_u32 v19, vcc_lo, s16, v23
	v_add_co_ci_u32_e32 v20, vcc_lo, s17, v24, vcc_lo
	s_clause 0x1
	global_load_u16 v23, v[21:22], off
	global_load_u16 v24, v[19:20], off
	s_waitcnt vmcnt(0)
	v_cmpx_eq_u16_e64 v23, v24
	s_cbranch_execz .LBB1431_134
; %bb.128:
	v_add_co_u32 v19, vcc_lo, v19, 2
	v_add_co_ci_u32_e32 v20, vcc_lo, 0, v20, vcc_lo
	v_add_co_u32 v21, vcc_lo, v21, 2
	v_add_co_ci_u32_e32 v22, vcc_lo, 0, v22, vcc_lo
	s_add_u32 s4, s14, -1
	s_addc_u32 s5, s15, -1
	s_mov_b64 s[6:7], 0
	s_mov_b32 s30, 0
                                        ; implicit-def: $sgpr31
	s_set_inst_prefetch_distance 0x1
	s_branch .LBB1431_131
	.p2align	6
.LBB1431_129:                           ;   in Loop: Header=BB1431_131 Depth=1
	global_load_u16 v23, v[21:22], off
	global_load_u16 v24, v[19:20], off
	v_add_co_u32 v19, vcc_lo, v19, 2
	v_add_co_ci_u32_e32 v20, vcc_lo, 0, v20, vcc_lo
	v_add_co_u32 v21, s0, v21, 2
	s_delay_alu instid0(VALU_DEP_1)
	v_add_co_ci_u32_e64 v22, s0, 0, v22, s0
	s_add_u32 s6, s6, 1
	s_addc_u32 s7, s7, 0
	s_and_not1_b32 s0, s31, exec_lo
	s_waitcnt vmcnt(0)
	v_cmp_ne_u16_e32 vcc_lo, v23, v24
	s_and_b32 s31, vcc_lo, exec_lo
	s_delay_alu instid0(SALU_CYCLE_1)
	s_or_b32 s31, s0, s31
.LBB1431_130:                           ;   in Loop: Header=BB1431_131 Depth=1
	v_dual_mov_b32 v24, s7 :: v_dual_mov_b32 v23, s6
	s_and_b32 s0, exec_lo, s31
	s_delay_alu instid0(SALU_CYCLE_1) | instskip(NEXT) | instid1(SALU_CYCLE_1)
	s_or_b32 s30, s0, s30
	s_and_not1_b32 exec_lo, exec_lo, s30
	s_cbranch_execz .LBB1431_133
.LBB1431_131:                           ; =>This Inner Loop Header: Depth=1
	s_or_b32 s31, s31, exec_lo
	s_cmp_eq_u64 s[4:5], s[6:7]
	s_cbranch_scc0 .LBB1431_129
; %bb.132:                              ;   in Loop: Header=BB1431_131 Depth=1
	s_mov_b64 s[6:7], s[14:15]
                                        ; implicit-def: $vgpr19_vgpr20
                                        ; implicit-def: $vgpr21_vgpr22
	s_branch .LBB1431_130
.LBB1431_133:
	s_set_inst_prefetch_distance 0x2
	s_or_b32 exec_lo, exec_lo, s30
	v_cmp_gt_i64_e32 vcc_lo, s[14:15], v[23:24]
	s_or_not1_b32 s0, vcc_lo, exec_lo
.LBB1431_134:
	s_or_b32 exec_lo, exec_lo, s26
.LBB1431_135:
	s_delay_alu instid0(SALU_CYCLE_1)
	s_and_b32 s26, s0, exec_lo
.LBB1431_136:
	s_or_b32 exec_lo, exec_lo, s29
	v_or_b32_e32 v19, 4, v39
	s_mov_b32 s29, exec_lo
	s_delay_alu instid0(VALU_DEP_1)
	v_cmpx_gt_u32_e64 s12, v19
	s_cbranch_execz .LBB1431_147
; %bb.137:
	v_cmp_ne_u32_e32 vcc_lo, 1, v27
	s_mov_b32 s0, 0
	s_cbranch_vccnz .LBB1431_146
; %bb.138:
	v_mul_lo_u32 v23, v12, s14
	v_mul_lo_u32 v24, v11, s15
	v_mad_u64_u32 v[19:20], null, v11, s14, 0
	v_mul_lo_u32 v25, v6, s14
	v_mul_lo_u32 v26, v5, s15
	s_waitcnt lgkmcnt(0)
	v_mad_u64_u32 v[21:22], null, v5, s14, 0
	s_mov_b32 s0, -1
	s_mov_b32 s28, exec_lo
	s_delay_alu instid0(VALU_DEP_4) | instskip(NEXT) | instid1(VALU_DEP_2)
	v_add3_u32 v20, v20, v24, v23
	v_add3_u32 v22, v22, v26, v25
	s_delay_alu instid0(VALU_DEP_2) | instskip(NEXT) | instid1(VALU_DEP_2)
	v_lshlrev_b64 v[19:20], 1, v[19:20]
	v_lshlrev_b64 v[23:24], 1, v[21:22]
	s_delay_alu instid0(VALU_DEP_2) | instskip(NEXT) | instid1(VALU_DEP_3)
	v_add_co_u32 v21, vcc_lo, s16, v19
	v_add_co_ci_u32_e32 v22, vcc_lo, s17, v20, vcc_lo
	s_delay_alu instid0(VALU_DEP_3) | instskip(NEXT) | instid1(VALU_DEP_4)
	v_add_co_u32 v19, vcc_lo, s16, v23
	v_add_co_ci_u32_e32 v20, vcc_lo, s17, v24, vcc_lo
	s_clause 0x1
	global_load_u16 v23, v[21:22], off
	global_load_u16 v24, v[19:20], off
	s_waitcnt vmcnt(0)
	v_cmpx_eq_u16_e64 v23, v24
	s_cbranch_execz .LBB1431_145
; %bb.139:
	v_add_co_u32 v19, vcc_lo, v19, 2
	v_add_co_ci_u32_e32 v20, vcc_lo, 0, v20, vcc_lo
	v_add_co_u32 v21, vcc_lo, v21, 2
	v_add_co_ci_u32_e32 v22, vcc_lo, 0, v22, vcc_lo
	s_add_u32 s4, s14, -1
	s_addc_u32 s5, s15, -1
	s_mov_b64 s[6:7], 0
	s_mov_b32 s30, 0
                                        ; implicit-def: $sgpr31
	s_set_inst_prefetch_distance 0x1
	s_branch .LBB1431_142
	.p2align	6
.LBB1431_140:                           ;   in Loop: Header=BB1431_142 Depth=1
	global_load_u16 v23, v[21:22], off
	global_load_u16 v24, v[19:20], off
	v_add_co_u32 v19, vcc_lo, v19, 2
	v_add_co_ci_u32_e32 v20, vcc_lo, 0, v20, vcc_lo
	v_add_co_u32 v21, s0, v21, 2
	s_delay_alu instid0(VALU_DEP_1)
	v_add_co_ci_u32_e64 v22, s0, 0, v22, s0
	s_add_u32 s6, s6, 1
	s_addc_u32 s7, s7, 0
	s_and_not1_b32 s0, s31, exec_lo
	s_waitcnt vmcnt(0)
	v_cmp_ne_u16_e32 vcc_lo, v23, v24
	s_and_b32 s31, vcc_lo, exec_lo
	s_delay_alu instid0(SALU_CYCLE_1)
	s_or_b32 s31, s0, s31
.LBB1431_141:                           ;   in Loop: Header=BB1431_142 Depth=1
	v_dual_mov_b32 v24, s7 :: v_dual_mov_b32 v23, s6
	s_and_b32 s0, exec_lo, s31
	s_delay_alu instid0(SALU_CYCLE_1) | instskip(NEXT) | instid1(SALU_CYCLE_1)
	s_or_b32 s30, s0, s30
	s_and_not1_b32 exec_lo, exec_lo, s30
	s_cbranch_execz .LBB1431_144
.LBB1431_142:                           ; =>This Inner Loop Header: Depth=1
	s_or_b32 s31, s31, exec_lo
	s_cmp_eq_u64 s[4:5], s[6:7]
	s_cbranch_scc0 .LBB1431_140
; %bb.143:                              ;   in Loop: Header=BB1431_142 Depth=1
	s_mov_b64 s[6:7], s[14:15]
                                        ; implicit-def: $vgpr19_vgpr20
                                        ; implicit-def: $vgpr21_vgpr22
	s_branch .LBB1431_141
.LBB1431_144:
	s_set_inst_prefetch_distance 0x2
	s_or_b32 exec_lo, exec_lo, s30
	v_cmp_gt_i64_e32 vcc_lo, s[14:15], v[23:24]
	s_or_not1_b32 s0, vcc_lo, exec_lo
.LBB1431_145:
	s_or_b32 exec_lo, exec_lo, s28
.LBB1431_146:
	s_delay_alu instid0(SALU_CYCLE_1)
	s_and_b32 s28, s0, exec_lo
.LBB1431_147:
	s_or_b32 exec_lo, exec_lo, s29
	v_or_b32_e32 v19, 3, v39
	s_mov_b32 s30, 0
	s_mov_b32 s29, 0
	s_mov_b32 s31, exec_lo
	s_delay_alu instid0(VALU_DEP_1)
	v_cmpx_gt_u32_e64 s12, v19
	s_cbranch_execz .LBB1431_158
; %bb.148:
	v_cmp_ne_u32_e32 vcc_lo, 1, v27
	s_mov_b32 s0, 0
	s_cbranch_vccnz .LBB1431_157
; %bb.149:
	v_mul_lo_u32 v23, v10, s14
	v_mul_lo_u32 v24, v9, s15
	v_mad_u64_u32 v[19:20], null, v9, s14, 0
	v_mul_lo_u32 v25, v12, s14
	v_mul_lo_u32 v26, v11, s15
	s_waitcnt lgkmcnt(0)
	v_mad_u64_u32 v[21:22], null, v11, s14, 0
	s_mov_b32 s0, -1
	s_mov_b32 s29, exec_lo
	s_delay_alu instid0(VALU_DEP_4) | instskip(NEXT) | instid1(VALU_DEP_2)
	v_add3_u32 v20, v20, v24, v23
	v_add3_u32 v22, v22, v26, v25
	s_delay_alu instid0(VALU_DEP_2) | instskip(NEXT) | instid1(VALU_DEP_2)
	v_lshlrev_b64 v[19:20], 1, v[19:20]
	v_lshlrev_b64 v[23:24], 1, v[21:22]
	s_delay_alu instid0(VALU_DEP_2) | instskip(NEXT) | instid1(VALU_DEP_3)
	v_add_co_u32 v21, vcc_lo, s16, v19
	v_add_co_ci_u32_e32 v22, vcc_lo, s17, v20, vcc_lo
	s_delay_alu instid0(VALU_DEP_3) | instskip(NEXT) | instid1(VALU_DEP_4)
	v_add_co_u32 v19, vcc_lo, s16, v23
	v_add_co_ci_u32_e32 v20, vcc_lo, s17, v24, vcc_lo
	s_clause 0x1
	global_load_u16 v23, v[21:22], off
	global_load_u16 v24, v[19:20], off
	s_waitcnt vmcnt(0)
	v_cmpx_eq_u16_e64 v23, v24
	s_cbranch_execz .LBB1431_156
; %bb.150:
	v_add_co_u32 v19, vcc_lo, v19, 2
	v_add_co_ci_u32_e32 v20, vcc_lo, 0, v20, vcc_lo
	v_add_co_u32 v21, vcc_lo, v21, 2
	v_add_co_ci_u32_e32 v22, vcc_lo, 0, v22, vcc_lo
	s_add_u32 s4, s14, -1
	s_addc_u32 s5, s15, -1
	s_mov_b64 s[6:7], 0
	s_mov_b32 s33, 0
                                        ; implicit-def: $sgpr34
	s_set_inst_prefetch_distance 0x1
	s_branch .LBB1431_153
	.p2align	6
.LBB1431_151:                           ;   in Loop: Header=BB1431_153 Depth=1
	global_load_u16 v23, v[21:22], off
	global_load_u16 v24, v[19:20], off
	v_add_co_u32 v19, vcc_lo, v19, 2
	v_add_co_ci_u32_e32 v20, vcc_lo, 0, v20, vcc_lo
	v_add_co_u32 v21, s0, v21, 2
	s_delay_alu instid0(VALU_DEP_1)
	v_add_co_ci_u32_e64 v22, s0, 0, v22, s0
	s_add_u32 s6, s6, 1
	s_addc_u32 s7, s7, 0
	s_and_not1_b32 s0, s34, exec_lo
	s_waitcnt vmcnt(0)
	v_cmp_ne_u16_e32 vcc_lo, v23, v24
	s_and_b32 s34, vcc_lo, exec_lo
	s_delay_alu instid0(SALU_CYCLE_1)
	s_or_b32 s34, s0, s34
.LBB1431_152:                           ;   in Loop: Header=BB1431_153 Depth=1
	v_dual_mov_b32 v24, s7 :: v_dual_mov_b32 v23, s6
	s_and_b32 s0, exec_lo, s34
	s_delay_alu instid0(SALU_CYCLE_1) | instskip(NEXT) | instid1(SALU_CYCLE_1)
	s_or_b32 s33, s0, s33
	s_and_not1_b32 exec_lo, exec_lo, s33
	s_cbranch_execz .LBB1431_155
.LBB1431_153:                           ; =>This Inner Loop Header: Depth=1
	s_or_b32 s34, s34, exec_lo
	s_cmp_eq_u64 s[4:5], s[6:7]
	s_cbranch_scc0 .LBB1431_151
; %bb.154:                              ;   in Loop: Header=BB1431_153 Depth=1
	s_mov_b64 s[6:7], s[14:15]
                                        ; implicit-def: $vgpr19_vgpr20
                                        ; implicit-def: $vgpr21_vgpr22
	s_branch .LBB1431_152
.LBB1431_155:
	s_set_inst_prefetch_distance 0x2
	s_or_b32 exec_lo, exec_lo, s33
	v_cmp_gt_i64_e32 vcc_lo, s[14:15], v[23:24]
	s_or_not1_b32 s0, vcc_lo, exec_lo
.LBB1431_156:
	s_or_b32 exec_lo, exec_lo, s29
.LBB1431_157:
	s_delay_alu instid0(SALU_CYCLE_1)
	s_and_b32 s29, s0, exec_lo
.LBB1431_158:
	s_or_b32 exec_lo, exec_lo, s31
	v_or_b32_e32 v19, 2, v39
	s_mov_b32 s31, exec_lo
	s_delay_alu instid0(VALU_DEP_1)
	v_cmpx_gt_u32_e64 s12, v19
	s_cbranch_execz .LBB1431_169
; %bb.159:
	v_cmp_ne_u32_e32 vcc_lo, 1, v27
	s_mov_b32 s0, 0
	s_cbranch_vccnz .LBB1431_168
; %bb.160:
	v_mul_lo_u32 v23, v16, s14
	v_mul_lo_u32 v24, v15, s15
	v_mad_u64_u32 v[19:20], null, v15, s14, 0
	v_mul_lo_u32 v25, v10, s14
	v_mul_lo_u32 v26, v9, s15
	s_waitcnt lgkmcnt(0)
	v_mad_u64_u32 v[21:22], null, v9, s14, 0
	s_mov_b32 s0, -1
	s_mov_b32 s30, exec_lo
	s_delay_alu instid0(VALU_DEP_4) | instskip(NEXT) | instid1(VALU_DEP_2)
	v_add3_u32 v20, v20, v24, v23
	v_add3_u32 v22, v22, v26, v25
	s_delay_alu instid0(VALU_DEP_2) | instskip(NEXT) | instid1(VALU_DEP_2)
	v_lshlrev_b64 v[19:20], 1, v[19:20]
	v_lshlrev_b64 v[23:24], 1, v[21:22]
	s_delay_alu instid0(VALU_DEP_2) | instskip(NEXT) | instid1(VALU_DEP_3)
	v_add_co_u32 v21, vcc_lo, s16, v19
	v_add_co_ci_u32_e32 v22, vcc_lo, s17, v20, vcc_lo
	s_delay_alu instid0(VALU_DEP_3) | instskip(NEXT) | instid1(VALU_DEP_4)
	v_add_co_u32 v19, vcc_lo, s16, v23
	v_add_co_ci_u32_e32 v20, vcc_lo, s17, v24, vcc_lo
	s_clause 0x1
	global_load_u16 v23, v[21:22], off
	global_load_u16 v24, v[19:20], off
	s_waitcnt vmcnt(0)
	v_cmpx_eq_u16_e64 v23, v24
	s_cbranch_execz .LBB1431_167
; %bb.161:
	v_add_co_u32 v19, vcc_lo, v19, 2
	v_add_co_ci_u32_e32 v20, vcc_lo, 0, v20, vcc_lo
	v_add_co_u32 v21, vcc_lo, v21, 2
	v_add_co_ci_u32_e32 v22, vcc_lo, 0, v22, vcc_lo
	s_add_u32 s4, s14, -1
	s_addc_u32 s5, s15, -1
	s_mov_b64 s[6:7], 0
	s_mov_b32 s33, 0
                                        ; implicit-def: $sgpr34
	s_set_inst_prefetch_distance 0x1
	s_branch .LBB1431_164
	.p2align	6
.LBB1431_162:                           ;   in Loop: Header=BB1431_164 Depth=1
	global_load_u16 v23, v[21:22], off
	global_load_u16 v24, v[19:20], off
	v_add_co_u32 v19, vcc_lo, v19, 2
	v_add_co_ci_u32_e32 v20, vcc_lo, 0, v20, vcc_lo
	v_add_co_u32 v21, s0, v21, 2
	s_delay_alu instid0(VALU_DEP_1)
	v_add_co_ci_u32_e64 v22, s0, 0, v22, s0
	s_add_u32 s6, s6, 1
	s_addc_u32 s7, s7, 0
	s_and_not1_b32 s0, s34, exec_lo
	s_waitcnt vmcnt(0)
	v_cmp_ne_u16_e32 vcc_lo, v23, v24
	s_and_b32 s34, vcc_lo, exec_lo
	s_delay_alu instid0(SALU_CYCLE_1)
	s_or_b32 s34, s0, s34
.LBB1431_163:                           ;   in Loop: Header=BB1431_164 Depth=1
	v_dual_mov_b32 v24, s7 :: v_dual_mov_b32 v23, s6
	s_and_b32 s0, exec_lo, s34
	s_delay_alu instid0(SALU_CYCLE_1) | instskip(NEXT) | instid1(SALU_CYCLE_1)
	s_or_b32 s33, s0, s33
	s_and_not1_b32 exec_lo, exec_lo, s33
	s_cbranch_execz .LBB1431_166
.LBB1431_164:                           ; =>This Inner Loop Header: Depth=1
	s_or_b32 s34, s34, exec_lo
	s_cmp_eq_u64 s[4:5], s[6:7]
	s_cbranch_scc0 .LBB1431_162
; %bb.165:                              ;   in Loop: Header=BB1431_164 Depth=1
	s_mov_b64 s[6:7], s[14:15]
                                        ; implicit-def: $vgpr19_vgpr20
                                        ; implicit-def: $vgpr21_vgpr22
	s_branch .LBB1431_163
.LBB1431_166:
	s_set_inst_prefetch_distance 0x2
	s_or_b32 exec_lo, exec_lo, s33
	v_cmp_gt_i64_e32 vcc_lo, s[14:15], v[23:24]
	s_or_not1_b32 s0, vcc_lo, exec_lo
.LBB1431_167:
	s_or_b32 exec_lo, exec_lo, s30
.LBB1431_168:
	s_delay_alu instid0(SALU_CYCLE_1)
	s_and_b32 s30, s0, exec_lo
.LBB1431_169:
	s_or_b32 exec_lo, exec_lo, s31
	v_or_b32_e32 v19, 1, v39
	s_mov_b32 s0, 0
	s_mov_b32 s31, exec_lo
	s_delay_alu instid0(VALU_DEP_1)
	v_cmpx_gt_u32_e64 s12, v19
	s_cbranch_execz .LBB1431_180
; %bb.170:
	v_cmp_ne_u32_e32 vcc_lo, 1, v27
	s_cbranch_vccnz .LBB1431_179
; %bb.171:
	v_mul_lo_u32 v23, v14, s14
	v_mul_lo_u32 v24, v13, s15
	v_mad_u64_u32 v[19:20], null, v13, s14, 0
	v_mul_lo_u32 v25, v16, s14
	v_mul_lo_u32 v26, v15, s15
	s_waitcnt lgkmcnt(0)
	v_mad_u64_u32 v[21:22], null, v15, s14, 0
	s_mov_b32 s0, -1
	s_mov_b32 s33, exec_lo
	s_delay_alu instid0(VALU_DEP_4) | instskip(NEXT) | instid1(VALU_DEP_2)
	v_add3_u32 v20, v20, v24, v23
	v_add3_u32 v22, v22, v26, v25
	s_delay_alu instid0(VALU_DEP_2) | instskip(NEXT) | instid1(VALU_DEP_2)
	v_lshlrev_b64 v[19:20], 1, v[19:20]
	v_lshlrev_b64 v[23:24], 1, v[21:22]
	s_delay_alu instid0(VALU_DEP_2) | instskip(NEXT) | instid1(VALU_DEP_3)
	v_add_co_u32 v21, vcc_lo, s16, v19
	v_add_co_ci_u32_e32 v22, vcc_lo, s17, v20, vcc_lo
	s_delay_alu instid0(VALU_DEP_3) | instskip(NEXT) | instid1(VALU_DEP_4)
	v_add_co_u32 v19, vcc_lo, s16, v23
	v_add_co_ci_u32_e32 v20, vcc_lo, s17, v24, vcc_lo
	s_clause 0x1
	global_load_u16 v23, v[21:22], off
	global_load_u16 v24, v[19:20], off
	s_waitcnt vmcnt(0)
	v_cmpx_eq_u16_e64 v23, v24
	s_cbranch_execz .LBB1431_178
; %bb.172:
	v_add_co_u32 v19, vcc_lo, v19, 2
	v_add_co_ci_u32_e32 v20, vcc_lo, 0, v20, vcc_lo
	v_add_co_u32 v21, vcc_lo, v21, 2
	v_add_co_ci_u32_e32 v22, vcc_lo, 0, v22, vcc_lo
	s_add_u32 s4, s14, -1
	s_addc_u32 s5, s15, -1
	s_mov_b64 s[6:7], 0
	s_mov_b32 s34, 0
                                        ; implicit-def: $sgpr35
	s_set_inst_prefetch_distance 0x1
	s_branch .LBB1431_175
	.p2align	6
.LBB1431_173:                           ;   in Loop: Header=BB1431_175 Depth=1
	global_load_u16 v23, v[21:22], off
	global_load_u16 v24, v[19:20], off
	v_add_co_u32 v19, vcc_lo, v19, 2
	v_add_co_ci_u32_e32 v20, vcc_lo, 0, v20, vcc_lo
	v_add_co_u32 v21, s0, v21, 2
	s_delay_alu instid0(VALU_DEP_1)
	v_add_co_ci_u32_e64 v22, s0, 0, v22, s0
	s_add_u32 s6, s6, 1
	s_addc_u32 s7, s7, 0
	s_and_not1_b32 s0, s35, exec_lo
	s_waitcnt vmcnt(0)
	v_cmp_ne_u16_e32 vcc_lo, v23, v24
	s_and_b32 s35, vcc_lo, exec_lo
	s_delay_alu instid0(SALU_CYCLE_1)
	s_or_b32 s35, s0, s35
.LBB1431_174:                           ;   in Loop: Header=BB1431_175 Depth=1
	v_dual_mov_b32 v24, s7 :: v_dual_mov_b32 v23, s6
	s_and_b32 s0, exec_lo, s35
	s_delay_alu instid0(SALU_CYCLE_1) | instskip(NEXT) | instid1(SALU_CYCLE_1)
	s_or_b32 s34, s0, s34
	s_and_not1_b32 exec_lo, exec_lo, s34
	s_cbranch_execz .LBB1431_177
.LBB1431_175:                           ; =>This Inner Loop Header: Depth=1
	s_or_b32 s35, s35, exec_lo
	s_cmp_eq_u64 s[4:5], s[6:7]
	s_cbranch_scc0 .LBB1431_173
; %bb.176:                              ;   in Loop: Header=BB1431_175 Depth=1
	s_mov_b64 s[6:7], s[14:15]
                                        ; implicit-def: $vgpr19_vgpr20
                                        ; implicit-def: $vgpr21_vgpr22
	s_branch .LBB1431_174
.LBB1431_177:
	s_set_inst_prefetch_distance 0x2
	s_or_b32 exec_lo, exec_lo, s34
	v_cmp_gt_i64_e32 vcc_lo, s[14:15], v[23:24]
	s_or_not1_b32 s0, vcc_lo, exec_lo
.LBB1431_178:
	s_or_b32 exec_lo, exec_lo, s33
.LBB1431_179:
	s_delay_alu instid0(SALU_CYCLE_1)
	s_and_b32 s0, s0, exec_lo
.LBB1431_180:
	s_or_b32 exec_lo, exec_lo, s31
	s_waitcnt vmcnt(0) lgkmcnt(0)
	s_barrier
	buffer_gl0_inv
	s_and_saveexec_b32 s4, s3
	s_cbranch_execz .LBB1431_182
; %bb.181:
	v_add_nc_u32_e32 v17, -8, v39
	ds_load_b64 v[17:18], v17
.LBB1431_182:
	s_or_b32 exec_lo, exec_lo, s4
	v_cndmask_b32_e64 v20, 0, 1, s29
	v_cndmask_b32_e64 v22, 0, 1, s26
	;; [unrolled: 1-line block ×7, first 2 shown]
	v_lshlrev_b16 v20, 8, v20
	v_lshlrev_b16 v22, 8, v22
	;; [unrolled: 1-line block ×3, first 2 shown]
	s_mov_b32 s0, 0
	v_lshlrev_b16 v25, 8, v25
	v_or_b32_e32 v19, v19, v20
	v_or_b32_e32 v20, v21, v22
	;; [unrolled: 1-line block ×3, first 2 shown]
	s_mov_b32 s25, exec_lo
	v_and_b32_e32 v23, 0xffff, v25
	v_lshlrev_b32_e32 v24, 16, v19
	v_and_b32_e32 v25, 0xffff, v20
	v_lshlrev_b32_e32 v26, 16, v21
	v_cmpx_gt_u32_e64 s12, v39
	s_cbranch_execz .LBB1431_193
; %bb.183:
	v_cmp_ne_u32_e32 vcc_lo, 1, v27
	s_cbranch_vccnz .LBB1431_192
; %bb.184:
	s_waitcnt lgkmcnt(0)
	v_mul_lo_u32 v22, v18, s14
	v_mul_lo_u32 v27, v17, s15
	v_mad_u64_u32 v[18:19], null, v17, s14, 0
	v_mul_lo_u32 v17, v14, s14
	v_mul_lo_u32 v28, v13, s15
	v_mad_u64_u32 v[20:21], null, v13, s14, 0
	s_mov_b32 s0, -1
	s_mov_b32 s26, exec_lo
	s_delay_alu instid0(VALU_DEP_4) | instskip(NEXT) | instid1(VALU_DEP_2)
	v_add3_u32 v19, v19, v27, v22
	v_add3_u32 v21, v21, v28, v17
	s_delay_alu instid0(VALU_DEP_2) | instskip(NEXT) | instid1(VALU_DEP_2)
	v_lshlrev_b64 v[17:18], 1, v[18:19]
	v_lshlrev_b64 v[21:22], 1, v[20:21]
	s_delay_alu instid0(VALU_DEP_2) | instskip(NEXT) | instid1(VALU_DEP_3)
	v_add_co_u32 v19, vcc_lo, s16, v17
	v_add_co_ci_u32_e32 v20, vcc_lo, s17, v18, vcc_lo
	s_delay_alu instid0(VALU_DEP_3) | instskip(NEXT) | instid1(VALU_DEP_4)
	v_add_co_u32 v17, vcc_lo, s16, v21
	v_add_co_ci_u32_e32 v18, vcc_lo, s17, v22, vcc_lo
	s_clause 0x1
	global_load_u16 v21, v[19:20], off
	global_load_u16 v22, v[17:18], off
	s_waitcnt vmcnt(0)
	v_cmpx_eq_u16_e64 v21, v22
	s_cbranch_execz .LBB1431_191
; %bb.185:
	v_add_co_u32 v17, vcc_lo, v17, 2
	v_add_co_ci_u32_e32 v18, vcc_lo, 0, v18, vcc_lo
	v_add_co_u32 v19, vcc_lo, v19, 2
	v_add_co_ci_u32_e32 v20, vcc_lo, 0, v20, vcc_lo
	s_add_u32 s4, s14, -1
	s_addc_u32 s5, s15, -1
	s_mov_b64 s[6:7], 0
	s_mov_b32 s27, 0
                                        ; implicit-def: $sgpr28
	s_set_inst_prefetch_distance 0x1
	s_branch .LBB1431_188
	.p2align	6
.LBB1431_186:                           ;   in Loop: Header=BB1431_188 Depth=1
	global_load_u16 v21, v[19:20], off
	global_load_u16 v22, v[17:18], off
	v_add_co_u32 v17, vcc_lo, v17, 2
	v_add_co_ci_u32_e32 v18, vcc_lo, 0, v18, vcc_lo
	v_add_co_u32 v19, s0, v19, 2
	s_delay_alu instid0(VALU_DEP_1)
	v_add_co_ci_u32_e64 v20, s0, 0, v20, s0
	s_add_u32 s6, s6, 1
	s_addc_u32 s7, s7, 0
	s_and_not1_b32 s0, s28, exec_lo
	s_waitcnt vmcnt(0)
	v_cmp_ne_u16_e32 vcc_lo, v21, v22
	s_and_b32 s28, vcc_lo, exec_lo
	s_delay_alu instid0(SALU_CYCLE_1)
	s_or_b32 s28, s0, s28
.LBB1431_187:                           ;   in Loop: Header=BB1431_188 Depth=1
	v_dual_mov_b32 v22, s7 :: v_dual_mov_b32 v21, s6
	s_and_b32 s0, exec_lo, s28
	s_delay_alu instid0(SALU_CYCLE_1) | instskip(NEXT) | instid1(SALU_CYCLE_1)
	s_or_b32 s27, s0, s27
	s_and_not1_b32 exec_lo, exec_lo, s27
	s_cbranch_execz .LBB1431_190
.LBB1431_188:                           ; =>This Inner Loop Header: Depth=1
	s_or_b32 s28, s28, exec_lo
	s_cmp_eq_u64 s[4:5], s[6:7]
	s_cbranch_scc0 .LBB1431_186
; %bb.189:                              ;   in Loop: Header=BB1431_188 Depth=1
	s_mov_b64 s[6:7], s[14:15]
                                        ; implicit-def: $vgpr17_vgpr18
                                        ; implicit-def: $vgpr19_vgpr20
	s_branch .LBB1431_187
.LBB1431_190:
	s_set_inst_prefetch_distance 0x2
	s_or_b32 exec_lo, exec_lo, s27
	v_cmp_gt_i64_e32 vcc_lo, s[14:15], v[21:22]
	s_or_not1_b32 s0, vcc_lo, exec_lo
.LBB1431_191:
	s_or_b32 exec_lo, exec_lo, s26
.LBB1431_192:
	s_delay_alu instid0(SALU_CYCLE_1)
	s_and_b32 s0, s0, exec_lo
.LBB1431_193:
	s_or_b32 exec_lo, exec_lo, s25
	v_or_b32_e32 v19, v23, v24
	v_or_b32_e32 v20, v25, v26
.LBB1431_194:
	s_mov_b32 s25, -1
	s_cbranch_execnz .LBB1431_363
.LBB1431_195:
	v_cmp_gt_i64_e64 s26, s[14:15], 0
	s_and_b32 vcc_lo, exec_lo, s22
	ds_store_b64 v39, v[3:4]
	s_cbranch_vccz .LBB1431_203
; %bb.196:
	v_mul_lo_u32 v19, v2, s14
	v_mul_lo_u32 v20, v1, s15
	s_waitcnt vmcnt(0) lgkmcnt(1)
	v_mad_u64_u32 v[17:18], null, v1, s14, 0
	s_mov_b32 s27, 0
	s_and_not1_b32 vcc_lo, exec_lo, s26
	s_mov_b32 s28, 0
	s_delay_alu instid0(VALU_DEP_1) | instskip(NEXT) | instid1(VALU_DEP_1)
	v_add3_u32 v18, v18, v20, v19
	v_lshlrev_b64 v[17:18], 1, v[17:18]
	s_cbranch_vccnz .LBB1431_206
; %bb.197:
	v_mul_lo_u32 v21, v4, s14
	v_mul_lo_u32 v22, v3, s15
	v_mad_u64_u32 v[19:20], null, v3, s14, 0
	s_mov_b32 s28, -1
	s_mov_b32 s29, exec_lo
	s_delay_alu instid0(VALU_DEP_1) | instskip(SKIP_2) | instid1(VALU_DEP_3)
	v_add3_u32 v20, v20, v22, v21
	v_add_co_u32 v21, vcc_lo, s16, v17
	v_add_co_ci_u32_e32 v22, vcc_lo, s17, v18, vcc_lo
	v_lshlrev_b64 v[19:20], 1, v[19:20]
	s_delay_alu instid0(VALU_DEP_1) | instskip(NEXT) | instid1(VALU_DEP_2)
	v_add_co_u32 v19, vcc_lo, s16, v19
	v_add_co_ci_u32_e32 v20, vcc_lo, s17, v20, vcc_lo
	s_clause 0x1
	global_load_u16 v23, v[21:22], off
	global_load_u16 v24, v[19:20], off
	s_waitcnt vmcnt(0)
	v_cmpx_eq_u16_e64 v23, v24
	s_cbranch_execz .LBB1431_205
; %bb.198:
	v_add_co_u32 v19, vcc_lo, v19, 2
	v_add_co_ci_u32_e32 v20, vcc_lo, 0, v20, vcc_lo
	v_add_co_u32 v21, vcc_lo, v21, 2
	v_add_co_ci_u32_e32 v22, vcc_lo, 0, v22, vcc_lo
	s_add_u32 s4, s14, -1
	s_addc_u32 s5, s15, -1
	s_mov_b64 s[6:7], 0
	s_mov_b32 s28, 0
                                        ; implicit-def: $sgpr30
	s_set_inst_prefetch_distance 0x1
	s_branch .LBB1431_201
	.p2align	6
.LBB1431_199:                           ;   in Loop: Header=BB1431_201 Depth=1
	global_load_u16 v23, v[21:22], off
	global_load_u16 v24, v[19:20], off
	v_add_co_u32 v19, vcc_lo, v19, 2
	v_add_co_ci_u32_e32 v20, vcc_lo, 0, v20, vcc_lo
	v_add_co_u32 v21, s0, v21, 2
	s_delay_alu instid0(VALU_DEP_1)
	v_add_co_ci_u32_e64 v22, s0, 0, v22, s0
	s_add_u32 s6, s6, 1
	s_addc_u32 s7, s7, 0
	s_and_not1_b32 s0, s30, exec_lo
	s_waitcnt vmcnt(0)
	v_cmp_ne_u16_e32 vcc_lo, v23, v24
	s_and_b32 s30, vcc_lo, exec_lo
	s_delay_alu instid0(SALU_CYCLE_1)
	s_or_b32 s30, s0, s30
.LBB1431_200:                           ;   in Loop: Header=BB1431_201 Depth=1
	v_dual_mov_b32 v24, s7 :: v_dual_mov_b32 v23, s6
	s_and_b32 s0, exec_lo, s30
	s_delay_alu instid0(SALU_CYCLE_1) | instskip(NEXT) | instid1(SALU_CYCLE_1)
	s_or_b32 s28, s0, s28
	s_and_not1_b32 exec_lo, exec_lo, s28
	s_cbranch_execz .LBB1431_204
.LBB1431_201:                           ; =>This Inner Loop Header: Depth=1
	s_or_b32 s30, s30, exec_lo
	s_cmp_eq_u64 s[4:5], s[6:7]
	s_cbranch_scc0 .LBB1431_199
; %bb.202:                              ;   in Loop: Header=BB1431_201 Depth=1
	s_mov_b64 s[6:7], s[14:15]
                                        ; implicit-def: $vgpr19_vgpr20
                                        ; implicit-def: $vgpr21_vgpr22
	s_branch .LBB1431_200
.LBB1431_203:
                                        ; implicit-def: $sgpr0
                                        ; implicit-def: $vgpr20
	s_cbranch_execnz .LBB1431_272
	s_branch .LBB1431_363
.LBB1431_204:
	s_set_inst_prefetch_distance 0x2
	s_or_b32 exec_lo, exec_lo, s28
	v_cmp_gt_i64_e32 vcc_lo, s[14:15], v[23:24]
	s_or_not1_b32 s28, vcc_lo, exec_lo
.LBB1431_205:
	s_or_b32 exec_lo, exec_lo, s29
.LBB1431_206:
	v_mul_lo_u32 v21, v8, s14
	v_mul_lo_u32 v22, v7, s15
	v_mad_u64_u32 v[19:20], null, v7, s14, 0
	s_and_not1_b32 vcc_lo, exec_lo, s26
	s_delay_alu instid0(VALU_DEP_1) | instskip(NEXT) | instid1(VALU_DEP_1)
	v_add3_u32 v20, v20, v22, v21
	v_lshlrev_b64 v[19:20], 1, v[19:20]
	s_cbranch_vccnz .LBB1431_215
; %bb.207:
	s_delay_alu instid0(VALU_DEP_1) | instskip(NEXT) | instid1(VALU_DEP_2)
	v_add_co_u32 v21, vcc_lo, s16, v19
	v_add_co_ci_u32_e32 v22, vcc_lo, s17, v20, vcc_lo
	v_add_co_u32 v17, vcc_lo, s16, v17
	v_add_co_ci_u32_e32 v18, vcc_lo, s17, v18, vcc_lo
	s_mov_b32 s27, -1
	s_clause 0x1
	global_load_u16 v23, v[21:22], off
	global_load_u16 v24, v[17:18], off
	s_mov_b32 s29, exec_lo
	s_waitcnt vmcnt(0)
	v_cmpx_eq_u16_e64 v23, v24
	s_cbranch_execz .LBB1431_214
; %bb.208:
	v_add_co_u32 v17, vcc_lo, v17, 2
	v_add_co_ci_u32_e32 v18, vcc_lo, 0, v18, vcc_lo
	v_add_co_u32 v21, vcc_lo, v21, 2
	v_add_co_ci_u32_e32 v22, vcc_lo, 0, v22, vcc_lo
	s_add_u32 s4, s14, -1
	s_addc_u32 s5, s15, -1
	s_mov_b64 s[6:7], 0
	s_mov_b32 s27, 0
                                        ; implicit-def: $sgpr30
	s_set_inst_prefetch_distance 0x1
	s_branch .LBB1431_211
	.p2align	6
.LBB1431_209:                           ;   in Loop: Header=BB1431_211 Depth=1
	global_load_u16 v23, v[21:22], off
	global_load_u16 v24, v[17:18], off
	v_add_co_u32 v17, vcc_lo, v17, 2
	v_add_co_ci_u32_e32 v18, vcc_lo, 0, v18, vcc_lo
	v_add_co_u32 v21, s0, v21, 2
	s_delay_alu instid0(VALU_DEP_1)
	v_add_co_ci_u32_e64 v22, s0, 0, v22, s0
	s_add_u32 s6, s6, 1
	s_addc_u32 s7, s7, 0
	s_and_not1_b32 s0, s30, exec_lo
	s_waitcnt vmcnt(0)
	v_cmp_ne_u16_e32 vcc_lo, v23, v24
	s_and_b32 s30, vcc_lo, exec_lo
	s_delay_alu instid0(SALU_CYCLE_1)
	s_or_b32 s30, s0, s30
.LBB1431_210:                           ;   in Loop: Header=BB1431_211 Depth=1
	v_dual_mov_b32 v24, s7 :: v_dual_mov_b32 v23, s6
	s_and_b32 s0, exec_lo, s30
	s_delay_alu instid0(SALU_CYCLE_1) | instskip(NEXT) | instid1(SALU_CYCLE_1)
	s_or_b32 s27, s0, s27
	s_and_not1_b32 exec_lo, exec_lo, s27
	s_cbranch_execz .LBB1431_213
.LBB1431_211:                           ; =>This Inner Loop Header: Depth=1
	s_or_b32 s30, s30, exec_lo
	s_cmp_eq_u64 s[4:5], s[6:7]
	s_cbranch_scc0 .LBB1431_209
; %bb.212:                              ;   in Loop: Header=BB1431_211 Depth=1
	s_mov_b64 s[6:7], s[14:15]
                                        ; implicit-def: $vgpr17_vgpr18
                                        ; implicit-def: $vgpr21_vgpr22
	s_branch .LBB1431_210
.LBB1431_213:
	s_set_inst_prefetch_distance 0x2
	s_or_b32 exec_lo, exec_lo, s27
	v_cmp_gt_i64_e32 vcc_lo, s[14:15], v[23:24]
	s_or_not1_b32 s27, vcc_lo, exec_lo
.LBB1431_214:
	s_or_b32 exec_lo, exec_lo, s29
.LBB1431_215:
	v_mul_lo_u32 v21, v6, s14
	v_mul_lo_u32 v22, v5, s15
	v_mad_u64_u32 v[17:18], null, v5, s14, 0
	s_mov_b32 s29, 0
	s_and_not1_b32 vcc_lo, exec_lo, s26
	s_mov_b32 s30, 0
	s_delay_alu instid0(VALU_DEP_1) | instskip(NEXT) | instid1(VALU_DEP_1)
	v_add3_u32 v18, v18, v22, v21
	v_lshlrev_b64 v[21:22], 1, v[17:18]
	s_cbranch_vccnz .LBB1431_224
; %bb.216:
	s_delay_alu instid0(VALU_DEP_1) | instskip(NEXT) | instid1(VALU_DEP_2)
	v_add_co_u32 v23, vcc_lo, s16, v21
	v_add_co_ci_u32_e32 v24, vcc_lo, s17, v22, vcc_lo
	v_add_co_u32 v17, vcc_lo, s16, v19
	v_add_co_ci_u32_e32 v18, vcc_lo, s17, v20, vcc_lo
	s_mov_b32 s30, -1
	s_clause 0x1
	global_load_u16 v19, v[23:24], off
	global_load_u16 v20, v[17:18], off
	s_mov_b32 s31, exec_lo
	s_waitcnt vmcnt(0)
	v_cmpx_eq_u16_e64 v19, v20
	s_cbranch_execz .LBB1431_223
; %bb.217:
	v_add_co_u32 v17, vcc_lo, v17, 2
	v_add_co_ci_u32_e32 v18, vcc_lo, 0, v18, vcc_lo
	v_add_co_u32 v19, vcc_lo, v23, 2
	v_add_co_ci_u32_e32 v20, vcc_lo, 0, v24, vcc_lo
	s_add_u32 s4, s14, -1
	s_addc_u32 s5, s15, -1
	s_mov_b64 s[6:7], 0
	s_mov_b32 s30, 0
                                        ; implicit-def: $sgpr33
	s_set_inst_prefetch_distance 0x1
	s_branch .LBB1431_220
	.p2align	6
.LBB1431_218:                           ;   in Loop: Header=BB1431_220 Depth=1
	global_load_u16 v23, v[19:20], off
	global_load_u16 v24, v[17:18], off
	v_add_co_u32 v17, vcc_lo, v17, 2
	v_add_co_ci_u32_e32 v18, vcc_lo, 0, v18, vcc_lo
	v_add_co_u32 v19, s0, v19, 2
	s_delay_alu instid0(VALU_DEP_1)
	v_add_co_ci_u32_e64 v20, s0, 0, v20, s0
	s_add_u32 s6, s6, 1
	s_addc_u32 s7, s7, 0
	s_and_not1_b32 s0, s33, exec_lo
	s_waitcnt vmcnt(0)
	v_cmp_ne_u16_e32 vcc_lo, v23, v24
	s_and_b32 s33, vcc_lo, exec_lo
	s_delay_alu instid0(SALU_CYCLE_1)
	s_or_b32 s33, s0, s33
.LBB1431_219:                           ;   in Loop: Header=BB1431_220 Depth=1
	v_dual_mov_b32 v24, s7 :: v_dual_mov_b32 v23, s6
	s_and_b32 s0, exec_lo, s33
	s_delay_alu instid0(SALU_CYCLE_1) | instskip(NEXT) | instid1(SALU_CYCLE_1)
	s_or_b32 s30, s0, s30
	s_and_not1_b32 exec_lo, exec_lo, s30
	s_cbranch_execz .LBB1431_222
.LBB1431_220:                           ; =>This Inner Loop Header: Depth=1
	s_or_b32 s33, s33, exec_lo
	s_cmp_eq_u64 s[4:5], s[6:7]
	s_cbranch_scc0 .LBB1431_218
; %bb.221:                              ;   in Loop: Header=BB1431_220 Depth=1
	s_mov_b64 s[6:7], s[14:15]
                                        ; implicit-def: $vgpr17_vgpr18
                                        ; implicit-def: $vgpr19_vgpr20
	s_branch .LBB1431_219
.LBB1431_222:
	s_set_inst_prefetch_distance 0x2
	s_or_b32 exec_lo, exec_lo, s30
	v_cmp_gt_i64_e32 vcc_lo, s[14:15], v[23:24]
	s_or_not1_b32 s30, vcc_lo, exec_lo
.LBB1431_223:
	s_or_b32 exec_lo, exec_lo, s31
.LBB1431_224:
	v_mul_lo_u32 v19, v12, s14
	v_mul_lo_u32 v20, v11, s15
	v_mad_u64_u32 v[17:18], null, v11, s14, 0
	s_and_not1_b32 vcc_lo, exec_lo, s26
	s_delay_alu instid0(VALU_DEP_1) | instskip(NEXT) | instid1(VALU_DEP_1)
	v_add3_u32 v18, v18, v20, v19
	v_lshlrev_b64 v[17:18], 1, v[17:18]
	s_cbranch_vccnz .LBB1431_233
; %bb.225:
	s_delay_alu instid0(VALU_DEP_1) | instskip(NEXT) | instid1(VALU_DEP_2)
	v_add_co_u32 v23, vcc_lo, s16, v17
	v_add_co_ci_u32_e32 v24, vcc_lo, s17, v18, vcc_lo
	v_add_co_u32 v19, vcc_lo, s16, v21
	v_add_co_ci_u32_e32 v20, vcc_lo, s17, v22, vcc_lo
	s_mov_b32 s29, -1
	s_clause 0x1
	global_load_u16 v21, v[23:24], off
	global_load_u16 v22, v[19:20], off
	s_mov_b32 s31, exec_lo
	s_waitcnt vmcnt(0)
	v_cmpx_eq_u16_e64 v21, v22
	s_cbranch_execz .LBB1431_232
; %bb.226:
	v_add_co_u32 v19, vcc_lo, v19, 2
	v_add_co_ci_u32_e32 v20, vcc_lo, 0, v20, vcc_lo
	v_add_co_u32 v21, vcc_lo, v23, 2
	v_add_co_ci_u32_e32 v22, vcc_lo, 0, v24, vcc_lo
	s_add_u32 s4, s14, -1
	s_addc_u32 s5, s15, -1
	s_mov_b64 s[6:7], 0
	s_mov_b32 s29, 0
                                        ; implicit-def: $sgpr33
	s_set_inst_prefetch_distance 0x1
	s_branch .LBB1431_229
	.p2align	6
.LBB1431_227:                           ;   in Loop: Header=BB1431_229 Depth=1
	global_load_u16 v23, v[21:22], off
	global_load_u16 v24, v[19:20], off
	v_add_co_u32 v19, vcc_lo, v19, 2
	v_add_co_ci_u32_e32 v20, vcc_lo, 0, v20, vcc_lo
	v_add_co_u32 v21, s0, v21, 2
	s_delay_alu instid0(VALU_DEP_1)
	v_add_co_ci_u32_e64 v22, s0, 0, v22, s0
	s_add_u32 s6, s6, 1
	s_addc_u32 s7, s7, 0
	s_and_not1_b32 s0, s33, exec_lo
	s_waitcnt vmcnt(0)
	v_cmp_ne_u16_e32 vcc_lo, v23, v24
	s_and_b32 s33, vcc_lo, exec_lo
	s_delay_alu instid0(SALU_CYCLE_1)
	s_or_b32 s33, s0, s33
.LBB1431_228:                           ;   in Loop: Header=BB1431_229 Depth=1
	v_dual_mov_b32 v24, s7 :: v_dual_mov_b32 v23, s6
	s_and_b32 s0, exec_lo, s33
	s_delay_alu instid0(SALU_CYCLE_1) | instskip(NEXT) | instid1(SALU_CYCLE_1)
	s_or_b32 s29, s0, s29
	s_and_not1_b32 exec_lo, exec_lo, s29
	s_cbranch_execz .LBB1431_231
.LBB1431_229:                           ; =>This Inner Loop Header: Depth=1
	s_or_b32 s33, s33, exec_lo
	s_cmp_eq_u64 s[4:5], s[6:7]
	s_cbranch_scc0 .LBB1431_227
; %bb.230:                              ;   in Loop: Header=BB1431_229 Depth=1
	s_mov_b64 s[6:7], s[14:15]
                                        ; implicit-def: $vgpr19_vgpr20
                                        ; implicit-def: $vgpr21_vgpr22
	s_branch .LBB1431_228
.LBB1431_231:
	s_set_inst_prefetch_distance 0x2
	s_or_b32 exec_lo, exec_lo, s29
	v_cmp_gt_i64_e32 vcc_lo, s[14:15], v[23:24]
	s_or_not1_b32 s29, vcc_lo, exec_lo
.LBB1431_232:
	s_or_b32 exec_lo, exec_lo, s31
.LBB1431_233:
	v_mul_lo_u32 v21, v10, s14
	v_mul_lo_u32 v22, v9, s15
	v_mad_u64_u32 v[19:20], null, v9, s14, 0
	s_mov_b32 s31, 0
	s_and_not1_b32 vcc_lo, exec_lo, s26
	s_mov_b32 s33, 0
	s_delay_alu instid0(VALU_DEP_1) | instskip(NEXT) | instid1(VALU_DEP_1)
	v_add3_u32 v20, v20, v22, v21
	v_lshlrev_b64 v[21:22], 1, v[19:20]
	s_cbranch_vccnz .LBB1431_242
; %bb.234:
	s_delay_alu instid0(VALU_DEP_1) | instskip(NEXT) | instid1(VALU_DEP_2)
	v_add_co_u32 v19, vcc_lo, s16, v21
	v_add_co_ci_u32_e32 v20, vcc_lo, s17, v22, vcc_lo
	v_add_co_u32 v17, vcc_lo, s16, v17
	v_add_co_ci_u32_e32 v18, vcc_lo, s17, v18, vcc_lo
	s_mov_b32 s33, -1
	s_clause 0x1
	global_load_u16 v23, v[19:20], off
	global_load_u16 v24, v[17:18], off
	s_mov_b32 s34, exec_lo
	s_waitcnt vmcnt(0)
	v_cmpx_eq_u16_e64 v23, v24
	s_cbranch_execz .LBB1431_241
; %bb.235:
	v_add_co_u32 v17, vcc_lo, v17, 2
	v_add_co_ci_u32_e32 v18, vcc_lo, 0, v18, vcc_lo
	v_add_co_u32 v19, vcc_lo, v19, 2
	v_add_co_ci_u32_e32 v20, vcc_lo, 0, v20, vcc_lo
	s_add_u32 s4, s14, -1
	s_addc_u32 s5, s15, -1
	s_mov_b64 s[6:7], 0
	s_mov_b32 s33, 0
                                        ; implicit-def: $sgpr35
	s_set_inst_prefetch_distance 0x1
	s_branch .LBB1431_238
	.p2align	6
.LBB1431_236:                           ;   in Loop: Header=BB1431_238 Depth=1
	global_load_u16 v23, v[19:20], off
	global_load_u16 v24, v[17:18], off
	v_add_co_u32 v17, vcc_lo, v17, 2
	v_add_co_ci_u32_e32 v18, vcc_lo, 0, v18, vcc_lo
	v_add_co_u32 v19, s0, v19, 2
	s_delay_alu instid0(VALU_DEP_1)
	v_add_co_ci_u32_e64 v20, s0, 0, v20, s0
	s_add_u32 s6, s6, 1
	s_addc_u32 s7, s7, 0
	s_and_not1_b32 s0, s35, exec_lo
	s_waitcnt vmcnt(0)
	v_cmp_ne_u16_e32 vcc_lo, v23, v24
	s_and_b32 s35, vcc_lo, exec_lo
	s_delay_alu instid0(SALU_CYCLE_1)
	s_or_b32 s35, s0, s35
.LBB1431_237:                           ;   in Loop: Header=BB1431_238 Depth=1
	v_dual_mov_b32 v24, s7 :: v_dual_mov_b32 v23, s6
	s_and_b32 s0, exec_lo, s35
	s_delay_alu instid0(SALU_CYCLE_1) | instskip(NEXT) | instid1(SALU_CYCLE_1)
	s_or_b32 s33, s0, s33
	s_and_not1_b32 exec_lo, exec_lo, s33
	s_cbranch_execz .LBB1431_240
.LBB1431_238:                           ; =>This Inner Loop Header: Depth=1
	s_or_b32 s35, s35, exec_lo
	s_cmp_eq_u64 s[4:5], s[6:7]
	s_cbranch_scc0 .LBB1431_236
; %bb.239:                              ;   in Loop: Header=BB1431_238 Depth=1
	s_mov_b64 s[6:7], s[14:15]
                                        ; implicit-def: $vgpr17_vgpr18
                                        ; implicit-def: $vgpr19_vgpr20
	s_branch .LBB1431_237
.LBB1431_240:
	s_set_inst_prefetch_distance 0x2
	s_or_b32 exec_lo, exec_lo, s33
	v_cmp_gt_i64_e32 vcc_lo, s[14:15], v[23:24]
	s_or_not1_b32 s33, vcc_lo, exec_lo
.LBB1431_241:
	s_or_b32 exec_lo, exec_lo, s34
.LBB1431_242:
	v_mul_lo_u32 v19, v16, s14
	v_mul_lo_u32 v20, v15, s15
	v_mad_u64_u32 v[17:18], null, v15, s14, 0
	s_and_not1_b32 vcc_lo, exec_lo, s26
	s_delay_alu instid0(VALU_DEP_1) | instskip(NEXT) | instid1(VALU_DEP_1)
	v_add3_u32 v18, v18, v20, v19
	v_lshlrev_b64 v[19:20], 1, v[17:18]
	s_cbranch_vccnz .LBB1431_251
; %bb.243:
	s_delay_alu instid0(VALU_DEP_1) | instskip(NEXT) | instid1(VALU_DEP_2)
	v_add_co_u32 v23, vcc_lo, s16, v19
	v_add_co_ci_u32_e32 v24, vcc_lo, s17, v20, vcc_lo
	v_add_co_u32 v17, vcc_lo, s16, v21
	v_add_co_ci_u32_e32 v18, vcc_lo, s17, v22, vcc_lo
	s_mov_b32 s31, -1
	s_clause 0x1
	global_load_u16 v21, v[23:24], off
	global_load_u16 v22, v[17:18], off
	s_mov_b32 s34, exec_lo
	s_waitcnt vmcnt(0)
	v_cmpx_eq_u16_e64 v21, v22
	s_cbranch_execz .LBB1431_250
; %bb.244:
	v_add_co_u32 v17, vcc_lo, v17, 2
	v_add_co_ci_u32_e32 v18, vcc_lo, 0, v18, vcc_lo
	v_add_co_u32 v21, vcc_lo, v23, 2
	v_add_co_ci_u32_e32 v22, vcc_lo, 0, v24, vcc_lo
	s_add_u32 s4, s14, -1
	s_addc_u32 s5, s15, -1
	s_mov_b64 s[6:7], 0
	s_mov_b32 s31, 0
                                        ; implicit-def: $sgpr35
	s_set_inst_prefetch_distance 0x1
	s_branch .LBB1431_247
	.p2align	6
.LBB1431_245:                           ;   in Loop: Header=BB1431_247 Depth=1
	global_load_u16 v23, v[21:22], off
	global_load_u16 v24, v[17:18], off
	v_add_co_u32 v17, vcc_lo, v17, 2
	v_add_co_ci_u32_e32 v18, vcc_lo, 0, v18, vcc_lo
	v_add_co_u32 v21, s0, v21, 2
	s_delay_alu instid0(VALU_DEP_1)
	v_add_co_ci_u32_e64 v22, s0, 0, v22, s0
	s_add_u32 s6, s6, 1
	s_addc_u32 s7, s7, 0
	s_and_not1_b32 s0, s35, exec_lo
	s_waitcnt vmcnt(0)
	v_cmp_ne_u16_e32 vcc_lo, v23, v24
	s_and_b32 s35, vcc_lo, exec_lo
	s_delay_alu instid0(SALU_CYCLE_1)
	s_or_b32 s35, s0, s35
.LBB1431_246:                           ;   in Loop: Header=BB1431_247 Depth=1
	v_dual_mov_b32 v24, s7 :: v_dual_mov_b32 v23, s6
	s_and_b32 s0, exec_lo, s35
	s_delay_alu instid0(SALU_CYCLE_1) | instskip(NEXT) | instid1(SALU_CYCLE_1)
	s_or_b32 s31, s0, s31
	s_and_not1_b32 exec_lo, exec_lo, s31
	s_cbranch_execz .LBB1431_249
.LBB1431_247:                           ; =>This Inner Loop Header: Depth=1
	s_or_b32 s35, s35, exec_lo
	s_cmp_eq_u64 s[4:5], s[6:7]
	s_cbranch_scc0 .LBB1431_245
; %bb.248:                              ;   in Loop: Header=BB1431_247 Depth=1
	s_mov_b64 s[6:7], s[14:15]
                                        ; implicit-def: $vgpr17_vgpr18
                                        ; implicit-def: $vgpr21_vgpr22
	s_branch .LBB1431_246
.LBB1431_249:
	s_set_inst_prefetch_distance 0x2
	s_or_b32 exec_lo, exec_lo, s31
	v_cmp_gt_i64_e32 vcc_lo, s[14:15], v[23:24]
	s_or_not1_b32 s31, vcc_lo, exec_lo
.LBB1431_250:
	s_or_b32 exec_lo, exec_lo, s34
.LBB1431_251:
	v_mul_lo_u32 v21, v14, s14
	v_mul_lo_u32 v22, v13, s15
	v_mad_u64_u32 v[17:18], null, v13, s14, 0
	s_and_not1_b32 vcc_lo, exec_lo, s26
	s_mov_b32 s0, 0
	s_delay_alu instid0(VALU_DEP_1)
	v_add3_u32 v18, v18, v22, v21
	s_cbranch_vccnz .LBB1431_260
; %bb.252:
	s_delay_alu instid0(VALU_DEP_1) | instskip(SKIP_2) | instid1(VALU_DEP_1)
	v_lshlrev_b64 v[21:22], 1, v[17:18]
	s_mov_b32 s0, -1
	s_mov_b32 s34, exec_lo
	v_add_co_u32 v21, vcc_lo, s16, v21
	s_delay_alu instid0(VALU_DEP_2)
	v_add_co_ci_u32_e32 v22, vcc_lo, s17, v22, vcc_lo
	v_add_co_u32 v19, vcc_lo, s16, v19
	v_add_co_ci_u32_e32 v20, vcc_lo, s17, v20, vcc_lo
	s_clause 0x1
	global_load_u16 v23, v[21:22], off
	global_load_u16 v24, v[19:20], off
	s_waitcnt vmcnt(0)
	v_cmpx_eq_u16_e64 v23, v24
	s_cbranch_execz .LBB1431_259
; %bb.253:
	v_add_co_u32 v19, vcc_lo, v19, 2
	v_add_co_ci_u32_e32 v20, vcc_lo, 0, v20, vcc_lo
	v_add_co_u32 v21, vcc_lo, v21, 2
	v_add_co_ci_u32_e32 v22, vcc_lo, 0, v22, vcc_lo
	s_add_u32 s4, s14, -1
	s_addc_u32 s5, s15, -1
	s_mov_b64 s[6:7], 0
	s_mov_b32 s35, 0
                                        ; implicit-def: $sgpr36
	s_set_inst_prefetch_distance 0x1
	s_branch .LBB1431_256
	.p2align	6
.LBB1431_254:                           ;   in Loop: Header=BB1431_256 Depth=1
	global_load_u16 v23, v[21:22], off
	global_load_u16 v24, v[19:20], off
	v_add_co_u32 v19, vcc_lo, v19, 2
	v_add_co_ci_u32_e32 v20, vcc_lo, 0, v20, vcc_lo
	v_add_co_u32 v21, s0, v21, 2
	s_delay_alu instid0(VALU_DEP_1)
	v_add_co_ci_u32_e64 v22, s0, 0, v22, s0
	s_add_u32 s6, s6, 1
	s_addc_u32 s7, s7, 0
	s_and_not1_b32 s0, s36, exec_lo
	s_waitcnt vmcnt(0)
	v_cmp_ne_u16_e32 vcc_lo, v23, v24
	s_and_b32 s36, vcc_lo, exec_lo
	s_delay_alu instid0(SALU_CYCLE_1)
	s_or_b32 s36, s0, s36
.LBB1431_255:                           ;   in Loop: Header=BB1431_256 Depth=1
	v_dual_mov_b32 v24, s7 :: v_dual_mov_b32 v23, s6
	s_and_b32 s0, exec_lo, s36
	s_delay_alu instid0(SALU_CYCLE_1) | instskip(NEXT) | instid1(SALU_CYCLE_1)
	s_or_b32 s35, s0, s35
	s_and_not1_b32 exec_lo, exec_lo, s35
	s_cbranch_execz .LBB1431_258
.LBB1431_256:                           ; =>This Inner Loop Header: Depth=1
	s_or_b32 s36, s36, exec_lo
	s_cmp_eq_u64 s[4:5], s[6:7]
	s_cbranch_scc0 .LBB1431_254
; %bb.257:                              ;   in Loop: Header=BB1431_256 Depth=1
	s_mov_b64 s[6:7], s[14:15]
                                        ; implicit-def: $vgpr19_vgpr20
                                        ; implicit-def: $vgpr21_vgpr22
	s_branch .LBB1431_255
.LBB1431_258:
	s_set_inst_prefetch_distance 0x2
	s_or_b32 exec_lo, exec_lo, s35
	v_cmp_gt_i64_e32 vcc_lo, s[14:15], v[23:24]
	s_or_not1_b32 s0, vcc_lo, exec_lo
.LBB1431_259:
	s_or_b32 exec_lo, exec_lo, s34
.LBB1431_260:
	v_cndmask_b32_e64 v20, 0, 1, s33
	v_cndmask_b32_e64 v21, 0, 1, s30
	;; [unrolled: 1-line block ×7, first 2 shown]
	v_lshlrev_b16 v21, 8, v21
	v_lshlrev_b16 v22, 8, v22
	;; [unrolled: 1-line block ×4, first 2 shown]
	s_waitcnt lgkmcnt(0)
	v_or_b32_e32 v21, v24, v21
	v_or_b32_e32 v22, v25, v22
	v_or_b32_e32 v23, 1, v23
	v_or_b32_e32 v19, v19, v20
	s_barrier
	v_and_b32_e32 v20, 0xffff, v21
	v_lshlrev_b32_e32 v21, 16, v22
	v_and_b32_e32 v22, 0xffff, v23
	v_lshlrev_b32_e32 v19, 16, v19
	buffer_gl0_inv
                                        ; implicit-def: $sgpr0
	v_or_b32_e32 v20, v20, v21
	v_or_b32_e32 v19, v22, v19
	s_and_saveexec_b32 s4, s3
	s_delay_alu instid0(SALU_CYCLE_1)
	s_xor_b32 s27, exec_lo, s4
	s_cbranch_execz .LBB1431_271
; %bb.261:
	s_and_not1_b32 vcc_lo, exec_lo, s26
	s_mov_b32 s0, 0
	s_cbranch_vccnz .LBB1431_270
; %bb.262:
	v_add_nc_u32_e32 v21, -8, v39
	v_lshlrev_b64 v[17:18], 1, v[17:18]
	s_mov_b32 s0, -1
	s_mov_b32 s28, exec_lo
	ds_load_b64 v[21:22], v21
	s_waitcnt lgkmcnt(0)
	v_mul_lo_u32 v24, v22, s14
	v_mul_lo_u32 v25, v21, s15
	v_mad_u64_u32 v[22:23], null, v21, s14, 0
	s_delay_alu instid0(VALU_DEP_1) | instskip(NEXT) | instid1(VALU_DEP_1)
	v_add3_u32 v23, v23, v25, v24
	v_lshlrev_b64 v[21:22], 1, v[22:23]
	s_delay_alu instid0(VALU_DEP_1) | instskip(NEXT) | instid1(VALU_DEP_2)
	v_add_co_u32 v21, vcc_lo, s16, v21
	v_add_co_ci_u32_e32 v22, vcc_lo, s17, v22, vcc_lo
	v_add_co_u32 v17, vcc_lo, s16, v17
	v_add_co_ci_u32_e32 v18, vcc_lo, s17, v18, vcc_lo
	s_clause 0x1
	global_load_u16 v23, v[21:22], off
	global_load_u16 v24, v[17:18], off
	s_waitcnt vmcnt(0)
	v_cmpx_eq_u16_e64 v23, v24
	s_cbranch_execz .LBB1431_269
; %bb.263:
	v_add_co_u32 v17, vcc_lo, v17, 2
	v_add_co_ci_u32_e32 v18, vcc_lo, 0, v18, vcc_lo
	v_add_co_u32 v21, vcc_lo, v21, 2
	v_add_co_ci_u32_e32 v22, vcc_lo, 0, v22, vcc_lo
	s_add_u32 s4, s14, -1
	s_addc_u32 s5, s15, -1
	s_mov_b64 s[6:7], 0
	s_mov_b32 s29, 0
                                        ; implicit-def: $sgpr30
	s_set_inst_prefetch_distance 0x1
	s_branch .LBB1431_266
	.p2align	6
.LBB1431_264:                           ;   in Loop: Header=BB1431_266 Depth=1
	global_load_u16 v23, v[21:22], off
	global_load_u16 v24, v[17:18], off
	v_add_co_u32 v17, vcc_lo, v17, 2
	v_add_co_ci_u32_e32 v18, vcc_lo, 0, v18, vcc_lo
	v_add_co_u32 v21, s0, v21, 2
	s_delay_alu instid0(VALU_DEP_1)
	v_add_co_ci_u32_e64 v22, s0, 0, v22, s0
	s_add_u32 s6, s6, 1
	s_addc_u32 s7, s7, 0
	s_and_not1_b32 s0, s30, exec_lo
	s_waitcnt vmcnt(0)
	v_cmp_ne_u16_e32 vcc_lo, v23, v24
	s_and_b32 s30, vcc_lo, exec_lo
	s_delay_alu instid0(SALU_CYCLE_1)
	s_or_b32 s30, s0, s30
.LBB1431_265:                           ;   in Loop: Header=BB1431_266 Depth=1
	v_dual_mov_b32 v24, s7 :: v_dual_mov_b32 v23, s6
	s_and_b32 s0, exec_lo, s30
	s_delay_alu instid0(SALU_CYCLE_1) | instskip(NEXT) | instid1(SALU_CYCLE_1)
	s_or_b32 s29, s0, s29
	s_and_not1_b32 exec_lo, exec_lo, s29
	s_cbranch_execz .LBB1431_268
.LBB1431_266:                           ; =>This Inner Loop Header: Depth=1
	s_or_b32 s30, s30, exec_lo
	s_cmp_eq_u64 s[4:5], s[6:7]
	s_cbranch_scc0 .LBB1431_264
; %bb.267:                              ;   in Loop: Header=BB1431_266 Depth=1
	s_mov_b64 s[6:7], s[14:15]
                                        ; implicit-def: $vgpr17_vgpr18
                                        ; implicit-def: $vgpr21_vgpr22
	s_branch .LBB1431_265
.LBB1431_268:
	s_set_inst_prefetch_distance 0x2
	s_or_b32 exec_lo, exec_lo, s29
	v_cmp_gt_i64_e32 vcc_lo, s[14:15], v[23:24]
	s_or_not1_b32 s0, vcc_lo, exec_lo
.LBB1431_269:
	s_or_b32 exec_lo, exec_lo, s28
.LBB1431_270:
	s_delay_alu instid0(SALU_CYCLE_1)
	s_and_b32 s0, s0, exec_lo
	s_or_b32 s25, s25, exec_lo
.LBB1431_271:
	s_or_b32 exec_lo, exec_lo, s27
	s_branch .LBB1431_363
.LBB1431_272:
	s_waitcnt vmcnt(0) lgkmcnt(1)
	v_or_b32_e32 v17, 7, v39
	s_mov_b32 s27, 0
	s_mov_b32 s28, 0
	s_mov_b32 s29, exec_lo
	s_delay_alu instid0(VALU_DEP_1)
	v_cmpx_gt_u32_e64 s12, v17
	s_cbranch_execz .LBB1431_283
; %bb.273:
	s_and_not1_b32 vcc_lo, exec_lo, s26
	s_mov_b32 s0, 0
	s_cbranch_vccnz .LBB1431_282
; %bb.274:
	v_mul_lo_u32 v21, v2, s14
	v_mul_lo_u32 v22, v1, s15
	v_mad_u64_u32 v[17:18], null, v1, s14, 0
	v_mul_lo_u32 v23, v4, s14
	v_mul_lo_u32 v24, v3, s15
	v_mad_u64_u32 v[19:20], null, v3, s14, 0
	s_mov_b32 s0, -1
	s_mov_b32 s28, exec_lo
	s_delay_alu instid0(VALU_DEP_4) | instskip(NEXT) | instid1(VALU_DEP_2)
	v_add3_u32 v18, v18, v22, v21
	v_add3_u32 v20, v20, v24, v23
	s_delay_alu instid0(VALU_DEP_2) | instskip(NEXT) | instid1(VALU_DEP_2)
	v_lshlrev_b64 v[17:18], 1, v[17:18]
	v_lshlrev_b64 v[21:22], 1, v[19:20]
	s_delay_alu instid0(VALU_DEP_2) | instskip(NEXT) | instid1(VALU_DEP_3)
	v_add_co_u32 v19, vcc_lo, s16, v17
	v_add_co_ci_u32_e32 v20, vcc_lo, s17, v18, vcc_lo
	s_delay_alu instid0(VALU_DEP_3) | instskip(NEXT) | instid1(VALU_DEP_4)
	v_add_co_u32 v17, vcc_lo, s16, v21
	v_add_co_ci_u32_e32 v18, vcc_lo, s17, v22, vcc_lo
	s_clause 0x1
	global_load_u16 v21, v[19:20], off
	global_load_u16 v22, v[17:18], off
	s_waitcnt vmcnt(0)
	v_cmpx_eq_u16_e64 v21, v22
	s_cbranch_execz .LBB1431_281
; %bb.275:
	v_add_co_u32 v17, vcc_lo, v17, 2
	v_add_co_ci_u32_e32 v18, vcc_lo, 0, v18, vcc_lo
	v_add_co_u32 v19, vcc_lo, v19, 2
	v_add_co_ci_u32_e32 v20, vcc_lo, 0, v20, vcc_lo
	s_add_u32 s4, s14, -1
	s_addc_u32 s5, s15, -1
	s_mov_b64 s[6:7], 0
	s_mov_b32 s30, 0
                                        ; implicit-def: $sgpr31
	s_set_inst_prefetch_distance 0x1
	s_branch .LBB1431_278
	.p2align	6
.LBB1431_276:                           ;   in Loop: Header=BB1431_278 Depth=1
	global_load_u16 v21, v[19:20], off
	global_load_u16 v22, v[17:18], off
	v_add_co_u32 v17, vcc_lo, v17, 2
	v_add_co_ci_u32_e32 v18, vcc_lo, 0, v18, vcc_lo
	v_add_co_u32 v19, s0, v19, 2
	s_delay_alu instid0(VALU_DEP_1)
	v_add_co_ci_u32_e64 v20, s0, 0, v20, s0
	s_add_u32 s6, s6, 1
	s_addc_u32 s7, s7, 0
	s_and_not1_b32 s0, s31, exec_lo
	s_waitcnt vmcnt(0)
	v_cmp_ne_u16_e32 vcc_lo, v21, v22
	s_and_b32 s31, vcc_lo, exec_lo
	s_delay_alu instid0(SALU_CYCLE_1)
	s_or_b32 s31, s0, s31
.LBB1431_277:                           ;   in Loop: Header=BB1431_278 Depth=1
	v_dual_mov_b32 v22, s7 :: v_dual_mov_b32 v21, s6
	s_and_b32 s0, exec_lo, s31
	s_delay_alu instid0(SALU_CYCLE_1) | instskip(NEXT) | instid1(SALU_CYCLE_1)
	s_or_b32 s30, s0, s30
	s_and_not1_b32 exec_lo, exec_lo, s30
	s_cbranch_execz .LBB1431_280
.LBB1431_278:                           ; =>This Inner Loop Header: Depth=1
	s_or_b32 s31, s31, exec_lo
	s_cmp_eq_u64 s[4:5], s[6:7]
	s_cbranch_scc0 .LBB1431_276
; %bb.279:                              ;   in Loop: Header=BB1431_278 Depth=1
	s_mov_b64 s[6:7], s[14:15]
                                        ; implicit-def: $vgpr17_vgpr18
                                        ; implicit-def: $vgpr19_vgpr20
	s_branch .LBB1431_277
.LBB1431_280:
	s_set_inst_prefetch_distance 0x2
	s_or_b32 exec_lo, exec_lo, s30
	v_cmp_gt_i64_e32 vcc_lo, s[14:15], v[21:22]
	s_or_not1_b32 s0, vcc_lo, exec_lo
.LBB1431_281:
	s_or_b32 exec_lo, exec_lo, s28
.LBB1431_282:
	s_delay_alu instid0(SALU_CYCLE_1)
	s_and_b32 s28, s0, exec_lo
.LBB1431_283:
	s_or_b32 exec_lo, exec_lo, s29
	v_or_b32_e32 v17, 6, v39
	s_mov_b32 s29, exec_lo
	s_delay_alu instid0(VALU_DEP_1)
	v_cmpx_gt_u32_e64 s12, v17
	s_cbranch_execz .LBB1431_294
; %bb.284:
	s_and_not1_b32 vcc_lo, exec_lo, s26
	s_mov_b32 s0, 0
	s_cbranch_vccnz .LBB1431_293
; %bb.285:
	v_mul_lo_u32 v21, v8, s14
	v_mul_lo_u32 v22, v7, s15
	v_mad_u64_u32 v[17:18], null, v7, s14, 0
	v_mul_lo_u32 v23, v2, s14
	v_mul_lo_u32 v24, v1, s15
	v_mad_u64_u32 v[19:20], null, v1, s14, 0
	s_mov_b32 s0, -1
	s_mov_b32 s27, exec_lo
	s_delay_alu instid0(VALU_DEP_4) | instskip(NEXT) | instid1(VALU_DEP_2)
	v_add3_u32 v18, v18, v22, v21
	v_add3_u32 v20, v20, v24, v23
	s_delay_alu instid0(VALU_DEP_2) | instskip(NEXT) | instid1(VALU_DEP_2)
	v_lshlrev_b64 v[17:18], 1, v[17:18]
	v_lshlrev_b64 v[21:22], 1, v[19:20]
	s_delay_alu instid0(VALU_DEP_2) | instskip(NEXT) | instid1(VALU_DEP_3)
	v_add_co_u32 v19, vcc_lo, s16, v17
	v_add_co_ci_u32_e32 v20, vcc_lo, s17, v18, vcc_lo
	s_delay_alu instid0(VALU_DEP_3) | instskip(NEXT) | instid1(VALU_DEP_4)
	v_add_co_u32 v17, vcc_lo, s16, v21
	v_add_co_ci_u32_e32 v18, vcc_lo, s17, v22, vcc_lo
	s_clause 0x1
	global_load_u16 v21, v[19:20], off
	global_load_u16 v22, v[17:18], off
	s_waitcnt vmcnt(0)
	v_cmpx_eq_u16_e64 v21, v22
	s_cbranch_execz .LBB1431_292
; %bb.286:
	v_add_co_u32 v17, vcc_lo, v17, 2
	v_add_co_ci_u32_e32 v18, vcc_lo, 0, v18, vcc_lo
	v_add_co_u32 v19, vcc_lo, v19, 2
	v_add_co_ci_u32_e32 v20, vcc_lo, 0, v20, vcc_lo
	s_add_u32 s4, s14, -1
	s_addc_u32 s5, s15, -1
	s_mov_b64 s[6:7], 0
	s_mov_b32 s30, 0
                                        ; implicit-def: $sgpr31
	s_set_inst_prefetch_distance 0x1
	s_branch .LBB1431_289
	.p2align	6
.LBB1431_287:                           ;   in Loop: Header=BB1431_289 Depth=1
	global_load_u16 v21, v[19:20], off
	global_load_u16 v22, v[17:18], off
	v_add_co_u32 v17, vcc_lo, v17, 2
	v_add_co_ci_u32_e32 v18, vcc_lo, 0, v18, vcc_lo
	v_add_co_u32 v19, s0, v19, 2
	s_delay_alu instid0(VALU_DEP_1)
	v_add_co_ci_u32_e64 v20, s0, 0, v20, s0
	s_add_u32 s6, s6, 1
	s_addc_u32 s7, s7, 0
	s_and_not1_b32 s0, s31, exec_lo
	s_waitcnt vmcnt(0)
	v_cmp_ne_u16_e32 vcc_lo, v21, v22
	s_and_b32 s31, vcc_lo, exec_lo
	s_delay_alu instid0(SALU_CYCLE_1)
	s_or_b32 s31, s0, s31
.LBB1431_288:                           ;   in Loop: Header=BB1431_289 Depth=1
	v_dual_mov_b32 v22, s7 :: v_dual_mov_b32 v21, s6
	s_and_b32 s0, exec_lo, s31
	s_delay_alu instid0(SALU_CYCLE_1) | instskip(NEXT) | instid1(SALU_CYCLE_1)
	s_or_b32 s30, s0, s30
	s_and_not1_b32 exec_lo, exec_lo, s30
	s_cbranch_execz .LBB1431_291
.LBB1431_289:                           ; =>This Inner Loop Header: Depth=1
	s_or_b32 s31, s31, exec_lo
	s_cmp_eq_u64 s[4:5], s[6:7]
	s_cbranch_scc0 .LBB1431_287
; %bb.290:                              ;   in Loop: Header=BB1431_289 Depth=1
	s_mov_b64 s[6:7], s[14:15]
                                        ; implicit-def: $vgpr17_vgpr18
                                        ; implicit-def: $vgpr19_vgpr20
	s_branch .LBB1431_288
.LBB1431_291:
	s_set_inst_prefetch_distance 0x2
	s_or_b32 exec_lo, exec_lo, s30
	v_cmp_gt_i64_e32 vcc_lo, s[14:15], v[21:22]
	s_or_not1_b32 s0, vcc_lo, exec_lo
.LBB1431_292:
	s_or_b32 exec_lo, exec_lo, s27
.LBB1431_293:
	s_delay_alu instid0(SALU_CYCLE_1)
	s_and_b32 s27, s0, exec_lo
.LBB1431_294:
	s_or_b32 exec_lo, exec_lo, s29
	v_or_b32_e32 v17, 5, v39
	s_mov_b32 s29, 0
	s_mov_b32 s30, 0
	s_mov_b32 s31, exec_lo
	s_delay_alu instid0(VALU_DEP_1)
	v_cmpx_gt_u32_e64 s12, v17
	s_cbranch_execz .LBB1431_305
; %bb.295:
	s_and_not1_b32 vcc_lo, exec_lo, s26
	s_mov_b32 s0, 0
	s_cbranch_vccnz .LBB1431_304
; %bb.296:
	v_mul_lo_u32 v21, v6, s14
	v_mul_lo_u32 v22, v5, s15
	v_mad_u64_u32 v[17:18], null, v5, s14, 0
	v_mul_lo_u32 v23, v8, s14
	v_mul_lo_u32 v24, v7, s15
	v_mad_u64_u32 v[19:20], null, v7, s14, 0
	s_mov_b32 s0, -1
	s_mov_b32 s30, exec_lo
	s_delay_alu instid0(VALU_DEP_4) | instskip(NEXT) | instid1(VALU_DEP_2)
	v_add3_u32 v18, v18, v22, v21
	v_add3_u32 v20, v20, v24, v23
	s_delay_alu instid0(VALU_DEP_2) | instskip(NEXT) | instid1(VALU_DEP_2)
	v_lshlrev_b64 v[17:18], 1, v[17:18]
	v_lshlrev_b64 v[21:22], 1, v[19:20]
	s_delay_alu instid0(VALU_DEP_2) | instskip(NEXT) | instid1(VALU_DEP_3)
	v_add_co_u32 v19, vcc_lo, s16, v17
	v_add_co_ci_u32_e32 v20, vcc_lo, s17, v18, vcc_lo
	s_delay_alu instid0(VALU_DEP_3) | instskip(NEXT) | instid1(VALU_DEP_4)
	v_add_co_u32 v17, vcc_lo, s16, v21
	v_add_co_ci_u32_e32 v18, vcc_lo, s17, v22, vcc_lo
	s_clause 0x1
	global_load_u16 v21, v[19:20], off
	global_load_u16 v22, v[17:18], off
	s_waitcnt vmcnt(0)
	v_cmpx_eq_u16_e64 v21, v22
	s_cbranch_execz .LBB1431_303
; %bb.297:
	v_add_co_u32 v17, vcc_lo, v17, 2
	v_add_co_ci_u32_e32 v18, vcc_lo, 0, v18, vcc_lo
	v_add_co_u32 v19, vcc_lo, v19, 2
	v_add_co_ci_u32_e32 v20, vcc_lo, 0, v20, vcc_lo
	s_add_u32 s4, s14, -1
	s_addc_u32 s5, s15, -1
	s_mov_b64 s[6:7], 0
	s_mov_b32 s33, 0
                                        ; implicit-def: $sgpr34
	s_set_inst_prefetch_distance 0x1
	s_branch .LBB1431_300
	.p2align	6
.LBB1431_298:                           ;   in Loop: Header=BB1431_300 Depth=1
	global_load_u16 v21, v[19:20], off
	global_load_u16 v22, v[17:18], off
	v_add_co_u32 v17, vcc_lo, v17, 2
	v_add_co_ci_u32_e32 v18, vcc_lo, 0, v18, vcc_lo
	v_add_co_u32 v19, s0, v19, 2
	s_delay_alu instid0(VALU_DEP_1)
	v_add_co_ci_u32_e64 v20, s0, 0, v20, s0
	s_add_u32 s6, s6, 1
	s_addc_u32 s7, s7, 0
	s_and_not1_b32 s0, s34, exec_lo
	s_waitcnt vmcnt(0)
	v_cmp_ne_u16_e32 vcc_lo, v21, v22
	s_and_b32 s34, vcc_lo, exec_lo
	s_delay_alu instid0(SALU_CYCLE_1)
	s_or_b32 s34, s0, s34
.LBB1431_299:                           ;   in Loop: Header=BB1431_300 Depth=1
	v_dual_mov_b32 v22, s7 :: v_dual_mov_b32 v21, s6
	s_and_b32 s0, exec_lo, s34
	s_delay_alu instid0(SALU_CYCLE_1) | instskip(NEXT) | instid1(SALU_CYCLE_1)
	s_or_b32 s33, s0, s33
	s_and_not1_b32 exec_lo, exec_lo, s33
	s_cbranch_execz .LBB1431_302
.LBB1431_300:                           ; =>This Inner Loop Header: Depth=1
	s_or_b32 s34, s34, exec_lo
	s_cmp_eq_u64 s[4:5], s[6:7]
	s_cbranch_scc0 .LBB1431_298
; %bb.301:                              ;   in Loop: Header=BB1431_300 Depth=1
	s_mov_b64 s[6:7], s[14:15]
                                        ; implicit-def: $vgpr17_vgpr18
                                        ; implicit-def: $vgpr19_vgpr20
	s_branch .LBB1431_299
.LBB1431_302:
	s_set_inst_prefetch_distance 0x2
	s_or_b32 exec_lo, exec_lo, s33
	v_cmp_gt_i64_e32 vcc_lo, s[14:15], v[21:22]
	s_or_not1_b32 s0, vcc_lo, exec_lo
.LBB1431_303:
	s_or_b32 exec_lo, exec_lo, s30
.LBB1431_304:
	s_delay_alu instid0(SALU_CYCLE_1)
	s_and_b32 s30, s0, exec_lo
.LBB1431_305:
	s_or_b32 exec_lo, exec_lo, s31
	v_or_b32_e32 v17, 4, v39
	s_mov_b32 s31, exec_lo
	s_delay_alu instid0(VALU_DEP_1)
	v_cmpx_gt_u32_e64 s12, v17
	s_cbranch_execz .LBB1431_316
; %bb.306:
	s_and_not1_b32 vcc_lo, exec_lo, s26
	s_mov_b32 s0, 0
	s_cbranch_vccnz .LBB1431_315
; %bb.307:
	v_mul_lo_u32 v21, v12, s14
	v_mul_lo_u32 v22, v11, s15
	v_mad_u64_u32 v[17:18], null, v11, s14, 0
	v_mul_lo_u32 v23, v6, s14
	v_mul_lo_u32 v24, v5, s15
	v_mad_u64_u32 v[19:20], null, v5, s14, 0
	s_mov_b32 s0, -1
	s_mov_b32 s29, exec_lo
	s_delay_alu instid0(VALU_DEP_4) | instskip(NEXT) | instid1(VALU_DEP_2)
	v_add3_u32 v18, v18, v22, v21
	v_add3_u32 v20, v20, v24, v23
	s_delay_alu instid0(VALU_DEP_2) | instskip(NEXT) | instid1(VALU_DEP_2)
	v_lshlrev_b64 v[17:18], 1, v[17:18]
	v_lshlrev_b64 v[21:22], 1, v[19:20]
	s_delay_alu instid0(VALU_DEP_2) | instskip(NEXT) | instid1(VALU_DEP_3)
	v_add_co_u32 v19, vcc_lo, s16, v17
	v_add_co_ci_u32_e32 v20, vcc_lo, s17, v18, vcc_lo
	s_delay_alu instid0(VALU_DEP_3) | instskip(NEXT) | instid1(VALU_DEP_4)
	v_add_co_u32 v17, vcc_lo, s16, v21
	v_add_co_ci_u32_e32 v18, vcc_lo, s17, v22, vcc_lo
	s_clause 0x1
	global_load_u16 v21, v[19:20], off
	global_load_u16 v22, v[17:18], off
	s_waitcnt vmcnt(0)
	v_cmpx_eq_u16_e64 v21, v22
	s_cbranch_execz .LBB1431_314
; %bb.308:
	v_add_co_u32 v17, vcc_lo, v17, 2
	v_add_co_ci_u32_e32 v18, vcc_lo, 0, v18, vcc_lo
	v_add_co_u32 v19, vcc_lo, v19, 2
	v_add_co_ci_u32_e32 v20, vcc_lo, 0, v20, vcc_lo
	s_add_u32 s4, s14, -1
	s_addc_u32 s5, s15, -1
	s_mov_b64 s[6:7], 0
	s_mov_b32 s33, 0
                                        ; implicit-def: $sgpr34
	s_set_inst_prefetch_distance 0x1
	s_branch .LBB1431_311
	.p2align	6
.LBB1431_309:                           ;   in Loop: Header=BB1431_311 Depth=1
	global_load_u16 v21, v[19:20], off
	global_load_u16 v22, v[17:18], off
	v_add_co_u32 v17, vcc_lo, v17, 2
	v_add_co_ci_u32_e32 v18, vcc_lo, 0, v18, vcc_lo
	v_add_co_u32 v19, s0, v19, 2
	s_delay_alu instid0(VALU_DEP_1)
	v_add_co_ci_u32_e64 v20, s0, 0, v20, s0
	s_add_u32 s6, s6, 1
	s_addc_u32 s7, s7, 0
	s_and_not1_b32 s0, s34, exec_lo
	s_waitcnt vmcnt(0)
	v_cmp_ne_u16_e32 vcc_lo, v21, v22
	s_and_b32 s34, vcc_lo, exec_lo
	s_delay_alu instid0(SALU_CYCLE_1)
	s_or_b32 s34, s0, s34
.LBB1431_310:                           ;   in Loop: Header=BB1431_311 Depth=1
	v_dual_mov_b32 v22, s7 :: v_dual_mov_b32 v21, s6
	s_and_b32 s0, exec_lo, s34
	s_delay_alu instid0(SALU_CYCLE_1) | instskip(NEXT) | instid1(SALU_CYCLE_1)
	s_or_b32 s33, s0, s33
	s_and_not1_b32 exec_lo, exec_lo, s33
	s_cbranch_execz .LBB1431_313
.LBB1431_311:                           ; =>This Inner Loop Header: Depth=1
	s_or_b32 s34, s34, exec_lo
	s_cmp_eq_u64 s[4:5], s[6:7]
	s_cbranch_scc0 .LBB1431_309
; %bb.312:                              ;   in Loop: Header=BB1431_311 Depth=1
	s_mov_b64 s[6:7], s[14:15]
                                        ; implicit-def: $vgpr17_vgpr18
                                        ; implicit-def: $vgpr19_vgpr20
	s_branch .LBB1431_310
.LBB1431_313:
	s_set_inst_prefetch_distance 0x2
	s_or_b32 exec_lo, exec_lo, s33
	v_cmp_gt_i64_e32 vcc_lo, s[14:15], v[21:22]
	s_or_not1_b32 s0, vcc_lo, exec_lo
.LBB1431_314:
	s_or_b32 exec_lo, exec_lo, s29
.LBB1431_315:
	s_delay_alu instid0(SALU_CYCLE_1)
	s_and_b32 s29, s0, exec_lo
.LBB1431_316:
	s_or_b32 exec_lo, exec_lo, s31
	v_or_b32_e32 v17, 3, v39
	s_mov_b32 s33, 0
	s_mov_b32 s31, 0
	s_mov_b32 s34, exec_lo
	s_delay_alu instid0(VALU_DEP_1)
	v_cmpx_gt_u32_e64 s12, v17
	s_cbranch_execz .LBB1431_327
; %bb.317:
	s_and_not1_b32 vcc_lo, exec_lo, s26
	s_mov_b32 s0, 0
	s_cbranch_vccnz .LBB1431_326
; %bb.318:
	v_mul_lo_u32 v21, v10, s14
	v_mul_lo_u32 v22, v9, s15
	v_mad_u64_u32 v[17:18], null, v9, s14, 0
	v_mul_lo_u32 v23, v12, s14
	v_mul_lo_u32 v24, v11, s15
	v_mad_u64_u32 v[19:20], null, v11, s14, 0
	s_mov_b32 s0, -1
	s_mov_b32 s31, exec_lo
	s_delay_alu instid0(VALU_DEP_4) | instskip(NEXT) | instid1(VALU_DEP_2)
	v_add3_u32 v18, v18, v22, v21
	v_add3_u32 v20, v20, v24, v23
	s_delay_alu instid0(VALU_DEP_2) | instskip(NEXT) | instid1(VALU_DEP_2)
	v_lshlrev_b64 v[17:18], 1, v[17:18]
	v_lshlrev_b64 v[21:22], 1, v[19:20]
	s_delay_alu instid0(VALU_DEP_2) | instskip(NEXT) | instid1(VALU_DEP_3)
	v_add_co_u32 v19, vcc_lo, s16, v17
	v_add_co_ci_u32_e32 v20, vcc_lo, s17, v18, vcc_lo
	s_delay_alu instid0(VALU_DEP_3) | instskip(NEXT) | instid1(VALU_DEP_4)
	v_add_co_u32 v17, vcc_lo, s16, v21
	v_add_co_ci_u32_e32 v18, vcc_lo, s17, v22, vcc_lo
	s_clause 0x1
	global_load_u16 v21, v[19:20], off
	global_load_u16 v22, v[17:18], off
	s_waitcnt vmcnt(0)
	v_cmpx_eq_u16_e64 v21, v22
	s_cbranch_execz .LBB1431_325
; %bb.319:
	v_add_co_u32 v17, vcc_lo, v17, 2
	v_add_co_ci_u32_e32 v18, vcc_lo, 0, v18, vcc_lo
	v_add_co_u32 v19, vcc_lo, v19, 2
	v_add_co_ci_u32_e32 v20, vcc_lo, 0, v20, vcc_lo
	s_add_u32 s4, s14, -1
	s_addc_u32 s5, s15, -1
	s_mov_b64 s[6:7], 0
	s_mov_b32 s35, 0
                                        ; implicit-def: $sgpr36
	s_set_inst_prefetch_distance 0x1
	s_branch .LBB1431_322
	.p2align	6
.LBB1431_320:                           ;   in Loop: Header=BB1431_322 Depth=1
	global_load_u16 v21, v[19:20], off
	global_load_u16 v22, v[17:18], off
	v_add_co_u32 v17, vcc_lo, v17, 2
	v_add_co_ci_u32_e32 v18, vcc_lo, 0, v18, vcc_lo
	v_add_co_u32 v19, s0, v19, 2
	s_delay_alu instid0(VALU_DEP_1)
	v_add_co_ci_u32_e64 v20, s0, 0, v20, s0
	s_add_u32 s6, s6, 1
	s_addc_u32 s7, s7, 0
	s_and_not1_b32 s0, s36, exec_lo
	s_waitcnt vmcnt(0)
	v_cmp_ne_u16_e32 vcc_lo, v21, v22
	s_and_b32 s36, vcc_lo, exec_lo
	s_delay_alu instid0(SALU_CYCLE_1)
	s_or_b32 s36, s0, s36
.LBB1431_321:                           ;   in Loop: Header=BB1431_322 Depth=1
	v_dual_mov_b32 v22, s7 :: v_dual_mov_b32 v21, s6
	s_and_b32 s0, exec_lo, s36
	s_delay_alu instid0(SALU_CYCLE_1) | instskip(NEXT) | instid1(SALU_CYCLE_1)
	s_or_b32 s35, s0, s35
	s_and_not1_b32 exec_lo, exec_lo, s35
	s_cbranch_execz .LBB1431_324
.LBB1431_322:                           ; =>This Inner Loop Header: Depth=1
	s_or_b32 s36, s36, exec_lo
	s_cmp_eq_u64 s[4:5], s[6:7]
	s_cbranch_scc0 .LBB1431_320
; %bb.323:                              ;   in Loop: Header=BB1431_322 Depth=1
	s_mov_b64 s[6:7], s[14:15]
                                        ; implicit-def: $vgpr17_vgpr18
                                        ; implicit-def: $vgpr19_vgpr20
	s_branch .LBB1431_321
.LBB1431_324:
	s_set_inst_prefetch_distance 0x2
	s_or_b32 exec_lo, exec_lo, s35
	v_cmp_gt_i64_e32 vcc_lo, s[14:15], v[21:22]
	s_or_not1_b32 s0, vcc_lo, exec_lo
.LBB1431_325:
	s_or_b32 exec_lo, exec_lo, s31
.LBB1431_326:
	s_delay_alu instid0(SALU_CYCLE_1)
	s_and_b32 s31, s0, exec_lo
.LBB1431_327:
	s_or_b32 exec_lo, exec_lo, s34
	v_or_b32_e32 v17, 2, v39
	s_mov_b32 s34, exec_lo
	s_delay_alu instid0(VALU_DEP_1)
	v_cmpx_gt_u32_e64 s12, v17
	s_cbranch_execz .LBB1431_338
; %bb.328:
	s_and_not1_b32 vcc_lo, exec_lo, s26
	s_mov_b32 s0, 0
	s_cbranch_vccnz .LBB1431_337
; %bb.329:
	v_mul_lo_u32 v21, v16, s14
	v_mul_lo_u32 v22, v15, s15
	v_mad_u64_u32 v[17:18], null, v15, s14, 0
	v_mul_lo_u32 v23, v10, s14
	v_mul_lo_u32 v24, v9, s15
	v_mad_u64_u32 v[19:20], null, v9, s14, 0
	s_mov_b32 s0, -1
	s_mov_b32 s33, exec_lo
	s_delay_alu instid0(VALU_DEP_4) | instskip(NEXT) | instid1(VALU_DEP_2)
	v_add3_u32 v18, v18, v22, v21
	v_add3_u32 v20, v20, v24, v23
	s_delay_alu instid0(VALU_DEP_2) | instskip(NEXT) | instid1(VALU_DEP_2)
	v_lshlrev_b64 v[17:18], 1, v[17:18]
	v_lshlrev_b64 v[21:22], 1, v[19:20]
	s_delay_alu instid0(VALU_DEP_2) | instskip(NEXT) | instid1(VALU_DEP_3)
	v_add_co_u32 v19, vcc_lo, s16, v17
	v_add_co_ci_u32_e32 v20, vcc_lo, s17, v18, vcc_lo
	s_delay_alu instid0(VALU_DEP_3) | instskip(NEXT) | instid1(VALU_DEP_4)
	v_add_co_u32 v17, vcc_lo, s16, v21
	v_add_co_ci_u32_e32 v18, vcc_lo, s17, v22, vcc_lo
	s_clause 0x1
	global_load_u16 v21, v[19:20], off
	global_load_u16 v22, v[17:18], off
	s_waitcnt vmcnt(0)
	v_cmpx_eq_u16_e64 v21, v22
	s_cbranch_execz .LBB1431_336
; %bb.330:
	v_add_co_u32 v17, vcc_lo, v17, 2
	v_add_co_ci_u32_e32 v18, vcc_lo, 0, v18, vcc_lo
	v_add_co_u32 v19, vcc_lo, v19, 2
	v_add_co_ci_u32_e32 v20, vcc_lo, 0, v20, vcc_lo
	s_add_u32 s4, s14, -1
	s_addc_u32 s5, s15, -1
	s_mov_b64 s[6:7], 0
	s_mov_b32 s35, 0
                                        ; implicit-def: $sgpr36
	s_set_inst_prefetch_distance 0x1
	s_branch .LBB1431_333
	.p2align	6
.LBB1431_331:                           ;   in Loop: Header=BB1431_333 Depth=1
	global_load_u16 v21, v[19:20], off
	global_load_u16 v22, v[17:18], off
	v_add_co_u32 v17, vcc_lo, v17, 2
	v_add_co_ci_u32_e32 v18, vcc_lo, 0, v18, vcc_lo
	v_add_co_u32 v19, s0, v19, 2
	s_delay_alu instid0(VALU_DEP_1)
	v_add_co_ci_u32_e64 v20, s0, 0, v20, s0
	s_add_u32 s6, s6, 1
	s_addc_u32 s7, s7, 0
	s_and_not1_b32 s0, s36, exec_lo
	s_waitcnt vmcnt(0)
	v_cmp_ne_u16_e32 vcc_lo, v21, v22
	s_and_b32 s36, vcc_lo, exec_lo
	s_delay_alu instid0(SALU_CYCLE_1)
	s_or_b32 s36, s0, s36
.LBB1431_332:                           ;   in Loop: Header=BB1431_333 Depth=1
	v_dual_mov_b32 v22, s7 :: v_dual_mov_b32 v21, s6
	s_and_b32 s0, exec_lo, s36
	s_delay_alu instid0(SALU_CYCLE_1) | instskip(NEXT) | instid1(SALU_CYCLE_1)
	s_or_b32 s35, s0, s35
	s_and_not1_b32 exec_lo, exec_lo, s35
	s_cbranch_execz .LBB1431_335
.LBB1431_333:                           ; =>This Inner Loop Header: Depth=1
	s_or_b32 s36, s36, exec_lo
	s_cmp_eq_u64 s[4:5], s[6:7]
	s_cbranch_scc0 .LBB1431_331
; %bb.334:                              ;   in Loop: Header=BB1431_333 Depth=1
	s_mov_b64 s[6:7], s[14:15]
                                        ; implicit-def: $vgpr17_vgpr18
                                        ; implicit-def: $vgpr19_vgpr20
	s_branch .LBB1431_332
.LBB1431_335:
	s_set_inst_prefetch_distance 0x2
	s_or_b32 exec_lo, exec_lo, s35
	v_cmp_gt_i64_e32 vcc_lo, s[14:15], v[21:22]
	s_or_not1_b32 s0, vcc_lo, exec_lo
.LBB1431_336:
	s_or_b32 exec_lo, exec_lo, s33
.LBB1431_337:
	s_delay_alu instid0(SALU_CYCLE_1)
	s_and_b32 s33, s0, exec_lo
.LBB1431_338:
	s_or_b32 exec_lo, exec_lo, s34
	v_or_b32_e32 v17, 1, v39
	s_mov_b32 s0, 0
	s_mov_b32 s34, exec_lo
	s_delay_alu instid0(VALU_DEP_1)
	v_cmpx_gt_u32_e64 s12, v17
	s_cbranch_execz .LBB1431_349
; %bb.339:
	s_and_not1_b32 vcc_lo, exec_lo, s26
	s_cbranch_vccnz .LBB1431_348
; %bb.340:
	v_mul_lo_u32 v21, v14, s14
	v_mul_lo_u32 v22, v13, s15
	v_mad_u64_u32 v[17:18], null, v13, s14, 0
	v_mul_lo_u32 v23, v16, s14
	v_mul_lo_u32 v24, v15, s15
	v_mad_u64_u32 v[19:20], null, v15, s14, 0
	s_mov_b32 s0, -1
	s_mov_b32 s35, exec_lo
	s_delay_alu instid0(VALU_DEP_4) | instskip(NEXT) | instid1(VALU_DEP_2)
	v_add3_u32 v18, v18, v22, v21
	v_add3_u32 v20, v20, v24, v23
	s_delay_alu instid0(VALU_DEP_2) | instskip(NEXT) | instid1(VALU_DEP_2)
	v_lshlrev_b64 v[17:18], 1, v[17:18]
	v_lshlrev_b64 v[21:22], 1, v[19:20]
	s_delay_alu instid0(VALU_DEP_2) | instskip(NEXT) | instid1(VALU_DEP_3)
	v_add_co_u32 v19, vcc_lo, s16, v17
	v_add_co_ci_u32_e32 v20, vcc_lo, s17, v18, vcc_lo
	s_delay_alu instid0(VALU_DEP_3) | instskip(NEXT) | instid1(VALU_DEP_4)
	v_add_co_u32 v17, vcc_lo, s16, v21
	v_add_co_ci_u32_e32 v18, vcc_lo, s17, v22, vcc_lo
	s_clause 0x1
	global_load_u16 v21, v[19:20], off
	global_load_u16 v22, v[17:18], off
	s_waitcnt vmcnt(0)
	v_cmpx_eq_u16_e64 v21, v22
	s_cbranch_execz .LBB1431_347
; %bb.341:
	v_add_co_u32 v17, vcc_lo, v17, 2
	v_add_co_ci_u32_e32 v18, vcc_lo, 0, v18, vcc_lo
	v_add_co_u32 v19, vcc_lo, v19, 2
	v_add_co_ci_u32_e32 v20, vcc_lo, 0, v20, vcc_lo
	s_add_u32 s4, s14, -1
	s_addc_u32 s5, s15, -1
	s_mov_b64 s[6:7], 0
	s_mov_b32 s36, 0
                                        ; implicit-def: $sgpr37
	s_set_inst_prefetch_distance 0x1
	s_branch .LBB1431_344
	.p2align	6
.LBB1431_342:                           ;   in Loop: Header=BB1431_344 Depth=1
	global_load_u16 v21, v[19:20], off
	global_load_u16 v22, v[17:18], off
	v_add_co_u32 v17, vcc_lo, v17, 2
	v_add_co_ci_u32_e32 v18, vcc_lo, 0, v18, vcc_lo
	v_add_co_u32 v19, s0, v19, 2
	s_delay_alu instid0(VALU_DEP_1)
	v_add_co_ci_u32_e64 v20, s0, 0, v20, s0
	s_add_u32 s6, s6, 1
	s_addc_u32 s7, s7, 0
	s_and_not1_b32 s0, s37, exec_lo
	s_waitcnt vmcnt(0)
	v_cmp_ne_u16_e32 vcc_lo, v21, v22
	s_and_b32 s37, vcc_lo, exec_lo
	s_delay_alu instid0(SALU_CYCLE_1)
	s_or_b32 s37, s0, s37
.LBB1431_343:                           ;   in Loop: Header=BB1431_344 Depth=1
	v_dual_mov_b32 v22, s7 :: v_dual_mov_b32 v21, s6
	s_and_b32 s0, exec_lo, s37
	s_delay_alu instid0(SALU_CYCLE_1) | instskip(NEXT) | instid1(SALU_CYCLE_1)
	s_or_b32 s36, s0, s36
	s_and_not1_b32 exec_lo, exec_lo, s36
	s_cbranch_execz .LBB1431_346
.LBB1431_344:                           ; =>This Inner Loop Header: Depth=1
	s_or_b32 s37, s37, exec_lo
	s_cmp_eq_u64 s[4:5], s[6:7]
	s_cbranch_scc0 .LBB1431_342
; %bb.345:                              ;   in Loop: Header=BB1431_344 Depth=1
	s_mov_b64 s[6:7], s[14:15]
                                        ; implicit-def: $vgpr17_vgpr18
                                        ; implicit-def: $vgpr19_vgpr20
	s_branch .LBB1431_343
.LBB1431_346:
	s_set_inst_prefetch_distance 0x2
	s_or_b32 exec_lo, exec_lo, s36
	v_cmp_gt_i64_e32 vcc_lo, s[14:15], v[21:22]
	s_or_not1_b32 s0, vcc_lo, exec_lo
.LBB1431_347:
	s_or_b32 exec_lo, exec_lo, s35
.LBB1431_348:
	s_delay_alu instid0(SALU_CYCLE_1)
	s_and_b32 s0, s0, exec_lo
.LBB1431_349:
	s_or_b32 exec_lo, exec_lo, s34
	v_cndmask_b32_e64 v18, 0, 1, s31
	v_cndmask_b32_e64 v19, 0, 1, s30
	v_cndmask_b32_e64 v20, 0, 1, s28
	v_cndmask_b32_e64 v21, 0, 1, s0
	v_cndmask_b32_e64 v17, 0, 1, s33
	v_cndmask_b32_e64 v22, 0, 1, s29
	v_cndmask_b32_e64 v23, 0, 1, s27
	v_lshlrev_b16 v19, 8, v19
	v_lshlrev_b16 v20, 8, v20
	v_lshlrev_b16 v21, 8, v21
	v_lshlrev_b16 v18, 8, v18
	s_waitcnt lgkmcnt(0)
	v_or_b32_e32 v19, v22, v19
	v_or_b32_e32 v20, v23, v20
	;; [unrolled: 1-line block ×4, first 2 shown]
	s_barrier
	v_and_b32_e32 v18, 0xffff, v19
	v_lshlrev_b32_e32 v19, 16, v20
	v_and_b32_e32 v21, 0xffff, v21
	v_lshlrev_b32_e32 v17, 16, v17
	buffer_gl0_inv
                                        ; implicit-def: $sgpr0
	v_or_b32_e32 v20, v18, v19
	v_or_b32_e32 v19, v21, v17
	s_and_saveexec_b32 s27, s3
	s_cbranch_execz .LBB1431_362
; %bb.350:
	s_mov_b32 s0, 0
	s_mov_b32 s3, exec_lo
	v_cmpx_gt_u32_e64 s12, v39
	s_cbranch_execz .LBB1431_361
; %bb.351:
	s_and_not1_b32 vcc_lo, exec_lo, s26
	s_cbranch_vccnz .LBB1431_360
; %bb.352:
	v_add_nc_u32_e32 v17, -8, v39
	v_mul_lo_u32 v25, v14, s14
	v_mul_lo_u32 v26, v13, s15
	s_mov_b32 s0, -1
	ds_load_b64 v[17:18], v17
	s_waitcnt lgkmcnt(0)
	v_mul_lo_u32 v23, v18, s14
	v_mul_lo_u32 v24, v17, s15
	v_mad_u64_u32 v[21:22], null, v17, s14, 0
	v_mad_u64_u32 v[17:18], null, v13, s14, 0
	s_delay_alu instid0(VALU_DEP_2) | instskip(NEXT) | instid1(VALU_DEP_2)
	v_add3_u32 v22, v22, v24, v23
	v_add3_u32 v18, v18, v26, v25
	s_delay_alu instid0(VALU_DEP_2) | instskip(NEXT) | instid1(VALU_DEP_2)
	v_lshlrev_b64 v[21:22], 1, v[21:22]
	v_lshlrev_b64 v[17:18], 1, v[17:18]
	s_delay_alu instid0(VALU_DEP_2) | instskip(NEXT) | instid1(VALU_DEP_3)
	v_add_co_u32 v21, vcc_lo, s16, v21
	v_add_co_ci_u32_e32 v22, vcc_lo, s17, v22, vcc_lo
	s_delay_alu instid0(VALU_DEP_3) | instskip(NEXT) | instid1(VALU_DEP_4)
	v_add_co_u32 v17, vcc_lo, s16, v17
	v_add_co_ci_u32_e32 v18, vcc_lo, s17, v18, vcc_lo
	s_clause 0x1
	global_load_u16 v23, v[21:22], off
	global_load_u16 v24, v[17:18], off
	s_mov_b32 s16, exec_lo
	s_waitcnt vmcnt(0)
	v_cmpx_eq_u16_e64 v23, v24
	s_cbranch_execz .LBB1431_359
; %bb.353:
	v_add_co_u32 v17, vcc_lo, v17, 2
	v_add_co_ci_u32_e32 v18, vcc_lo, 0, v18, vcc_lo
	v_add_co_u32 v21, vcc_lo, v21, 2
	v_add_co_ci_u32_e32 v22, vcc_lo, 0, v22, vcc_lo
	s_add_u32 s4, s14, -1
	s_addc_u32 s5, s15, -1
	s_mov_b64 s[6:7], 0
	s_mov_b32 s17, 0
                                        ; implicit-def: $sgpr26
	s_set_inst_prefetch_distance 0x1
	s_branch .LBB1431_356
	.p2align	6
.LBB1431_354:                           ;   in Loop: Header=BB1431_356 Depth=1
	global_load_u16 v23, v[21:22], off
	global_load_u16 v24, v[17:18], off
	v_add_co_u32 v17, vcc_lo, v17, 2
	v_add_co_ci_u32_e32 v18, vcc_lo, 0, v18, vcc_lo
	v_add_co_u32 v21, s0, v21, 2
	s_delay_alu instid0(VALU_DEP_1)
	v_add_co_ci_u32_e64 v22, s0, 0, v22, s0
	s_add_u32 s6, s6, 1
	s_addc_u32 s7, s7, 0
	s_and_not1_b32 s0, s26, exec_lo
	s_waitcnt vmcnt(0)
	v_cmp_ne_u16_e32 vcc_lo, v23, v24
	s_and_b32 s26, vcc_lo, exec_lo
	s_delay_alu instid0(SALU_CYCLE_1)
	s_or_b32 s26, s0, s26
.LBB1431_355:                           ;   in Loop: Header=BB1431_356 Depth=1
	v_dual_mov_b32 v24, s7 :: v_dual_mov_b32 v23, s6
	s_and_b32 s0, exec_lo, s26
	s_delay_alu instid0(SALU_CYCLE_1) | instskip(NEXT) | instid1(SALU_CYCLE_1)
	s_or_b32 s17, s0, s17
	s_and_not1_b32 exec_lo, exec_lo, s17
	s_cbranch_execz .LBB1431_358
.LBB1431_356:                           ; =>This Inner Loop Header: Depth=1
	s_or_b32 s26, s26, exec_lo
	s_cmp_eq_u64 s[4:5], s[6:7]
	s_cbranch_scc0 .LBB1431_354
; %bb.357:                              ;   in Loop: Header=BB1431_356 Depth=1
	s_mov_b64 s[6:7], s[14:15]
                                        ; implicit-def: $vgpr17_vgpr18
                                        ; implicit-def: $vgpr21_vgpr22
	s_branch .LBB1431_355
.LBB1431_358:
	s_set_inst_prefetch_distance 0x2
	s_or_b32 exec_lo, exec_lo, s17
	v_cmp_gt_i64_e32 vcc_lo, s[14:15], v[23:24]
	s_or_not1_b32 s0, vcc_lo, exec_lo
.LBB1431_359:
	s_or_b32 exec_lo, exec_lo, s16
.LBB1431_360:
	s_delay_alu instid0(SALU_CYCLE_1)
	s_and_b32 s0, s0, exec_lo
.LBB1431_361:
	s_or_b32 exec_lo, exec_lo, s3
	s_delay_alu instid0(SALU_CYCLE_1)
	s_and_b32 s0, s0, exec_lo
	s_or_b32 s25, s25, exec_lo
.LBB1431_362:
	s_or_b32 exec_lo, exec_lo, s27
.LBB1431_363:
	s_and_saveexec_b32 s3, s25
	s_cbranch_execz .LBB1431_365
; %bb.364:
	s_waitcnt vmcnt(0) lgkmcnt(0)
	v_and_b32_e32 v17, 0xffffff00, v19
	v_cndmask_b32_e64 v18, 0, 1, s0
	s_delay_alu instid0(VALU_DEP_1) | instskip(NEXT) | instid1(VALU_DEP_1)
	v_or_b32_e32 v17, v18, v17
	v_and_b32_e32 v17, 0xffff, v17
	s_delay_alu instid0(VALU_DEP_1)
	v_and_or_b32 v19, 0xffff0000, v19, v17
.LBB1431_365:
	s_or_b32 exec_lo, exec_lo, s3
	s_delay_alu instid0(SALU_CYCLE_1)
	s_and_not1_b32 vcc_lo, exec_lo, s1
	s_cbranch_vccnz .LBB1431_367
; %bb.366:
	v_cmp_gt_u32_e32 vcc_lo, s12, v39
	s_waitcnt vmcnt(0) lgkmcnt(0)
	v_or_b32_e32 v18, 1, v39
	v_and_b32_e32 v21, 0xffffff00, v20
	v_or_b32_e32 v22, 2, v39
	v_cndmask_b32_e32 v17, 0, v19, vcc_lo
	s_delay_alu instid0(VALU_DEP_4) | instskip(SKIP_1) | instid1(VALU_DEP_4)
	v_cmp_gt_u32_e32 vcc_lo, s12, v18
	v_or_b32_e32 v18, 4, v39
	v_cmp_gt_u32_e64 s0, s12, v22
	v_or_b32_e32 v22, 3, v39
	v_and_b32_e32 v17, 0xff, v17
	s_delay_alu instid0(VALU_DEP_2) | instskip(NEXT) | instid1(VALU_DEP_2)
	v_cmp_gt_u32_e64 s1, s12, v22
	v_cndmask_b32_e32 v17, v17, v19, vcc_lo
	v_cmp_gt_u32_e32 vcc_lo, s12, v18
	v_cndmask_b32_e32 v18, v21, v20, vcc_lo
	v_or_b32_e32 v21, 5, v39
	s_delay_alu instid0(VALU_DEP_2) | instskip(SKIP_1) | instid1(VALU_DEP_1)
	v_and_b32_e32 v18, 0xffff00ff, v18
	v_and_b32_e32 v17, 0xffff, v17
	v_cndmask_b32_e64 v17, v17, v19, s0
	s_delay_alu instid0(VALU_DEP_4) | instskip(SKIP_1) | instid1(VALU_DEP_3)
	v_cmp_gt_u32_e64 s0, s12, v21
	v_or_b32_e32 v21, 6, v39
	v_and_b32_e32 v17, 0xffffff, v17
	s_delay_alu instid0(VALU_DEP_3) | instskip(NEXT) | instid1(VALU_DEP_2)
	v_cndmask_b32_e64 v18, v18, v20, s0
	v_cndmask_b32_e64 v17, v17, v19, s1
	s_delay_alu instid0(VALU_DEP_1) | instskip(SKIP_2) | instid1(VALU_DEP_3)
	v_dual_cndmask_b32 v17, v17, v19 :: v_dual_and_b32 v18, 0xff00ffff, v18
	v_cmp_gt_u32_e32 vcc_lo, s12, v21
	v_or_b32_e32 v21, 7, v39
	v_cndmask_b32_e64 v17, v17, v19, s0
	s_delay_alu instid0(VALU_DEP_1) | instskip(NEXT) | instid1(VALU_DEP_1)
	v_dual_cndmask_b32 v18, v18, v20 :: v_dual_cndmask_b32 v17, v17, v19
	v_and_b32_e32 v18, 0xffffff, v18
	s_delay_alu instid0(VALU_DEP_4) | instskip(NEXT) | instid1(VALU_DEP_2)
	v_cmp_gt_u32_e32 vcc_lo, s12, v21
	v_dual_cndmask_b32 v20, v18, v20 :: v_dual_cndmask_b32 v19, v17, v19
.LBB1431_367:
	s_delay_alu instid0(VALU_DEP_1) | instskip(SKIP_1) | instid1(VALU_DEP_2)
	v_and_b32_e32 v28, 0xff, v19
	s_waitcnt vmcnt(0) lgkmcnt(0)
	v_alignbit_b32 v17, v20, v19, 24
	v_bfe_u32 v30, v19, 8, 8
	v_bfe_u32 v32, v19, 16, 8
	v_and_b32_e32 v36, 0xff, v20
	v_bfe_u32 v38, v20, 8, 8
	v_and_b32_e32 v34, 0xff, v17
	v_add_nc_u32_e32 v17, v30, v28
	v_mbcnt_lo_u32_b32 v42, -1, 0
	v_bfe_u32 v41, v20, 16, 8
	v_lshrrev_b32_e32 v40, 24, v20
	v_lshrrev_b32_e32 v43, 5, v0
	v_add3_u32 v17, v17, v32, v34
	v_and_b32_e32 v18, 15, v42
	v_and_b32_e32 v21, 16, v42
	s_and_b32 vcc_lo, exec_lo, s24
	s_mov_b32 s7, -1
	v_add3_u32 v17, v17, v36, v38
	v_cmp_eq_u32_e64 s3, 0, v18
	v_cmp_lt_u32_e64 s0, 1, v18
	v_cmp_lt_u32_e64 s4, 3, v18
	;; [unrolled: 1-line block ×3, first 2 shown]
	v_add3_u32 v44, v17, v41, v40
	v_or_b32_e32 v17, 31, v0
	v_cmp_eq_u32_e64 s6, 0, v21
	s_barrier
	buffer_gl0_inv
	v_cmp_eq_u32_e64 s5, v17, v0
	s_cbranch_vccz .LBB1431_398
; %bb.368:
	v_mov_b32_dpp v17, v44 row_shr:1 row_mask:0xf bank_mask:0xf
	s_delay_alu instid0(VALU_DEP_1) | instskip(NEXT) | instid1(VALU_DEP_1)
	v_cndmask_b32_e64 v17, v17, 0, s3
	v_add_nc_u32_e32 v17, v17, v44
	s_delay_alu instid0(VALU_DEP_1) | instskip(NEXT) | instid1(VALU_DEP_1)
	v_mov_b32_dpp v18, v17 row_shr:2 row_mask:0xf bank_mask:0xf
	v_cndmask_b32_e64 v18, 0, v18, s0
	s_delay_alu instid0(VALU_DEP_1) | instskip(NEXT) | instid1(VALU_DEP_1)
	v_add_nc_u32_e32 v17, v17, v18
	v_mov_b32_dpp v18, v17 row_shr:4 row_mask:0xf bank_mask:0xf
	s_delay_alu instid0(VALU_DEP_1) | instskip(NEXT) | instid1(VALU_DEP_1)
	v_cndmask_b32_e64 v18, 0, v18, s4
	v_add_nc_u32_e32 v17, v17, v18
	s_delay_alu instid0(VALU_DEP_1) | instskip(NEXT) | instid1(VALU_DEP_1)
	v_mov_b32_dpp v18, v17 row_shr:8 row_mask:0xf bank_mask:0xf
	v_cndmask_b32_e64 v18, 0, v18, s1
	s_delay_alu instid0(VALU_DEP_1) | instskip(SKIP_3) | instid1(VALU_DEP_1)
	v_add_nc_u32_e32 v17, v17, v18
	ds_swizzle_b32 v18, v17 offset:swizzle(BROADCAST,32,15)
	s_waitcnt lgkmcnt(0)
	v_cndmask_b32_e64 v18, v18, 0, s6
	v_add_nc_u32_e32 v17, v17, v18
	s_and_saveexec_b32 s7, s5
	s_cbranch_execz .LBB1431_370
; %bb.369:
	v_lshlrev_b32_e32 v18, 2, v43
	ds_store_b32 v18, v17
.LBB1431_370:
	s_or_b32 exec_lo, exec_lo, s7
	s_delay_alu instid0(SALU_CYCLE_1)
	s_mov_b32 s7, exec_lo
	s_waitcnt lgkmcnt(0)
	s_barrier
	buffer_gl0_inv
	v_cmpx_gt_u32_e32 16, v0
	s_cbranch_execz .LBB1431_372
; %bb.371:
	v_lshlrev_b32_e32 v18, 2, v0
	ds_load_b32 v21, v18
	s_waitcnt lgkmcnt(0)
	v_mov_b32_dpp v22, v21 row_shr:1 row_mask:0xf bank_mask:0xf
	s_delay_alu instid0(VALU_DEP_1) | instskip(NEXT) | instid1(VALU_DEP_1)
	v_cndmask_b32_e64 v22, v22, 0, s3
	v_add_nc_u32_e32 v21, v22, v21
	s_delay_alu instid0(VALU_DEP_1) | instskip(NEXT) | instid1(VALU_DEP_1)
	v_mov_b32_dpp v22, v21 row_shr:2 row_mask:0xf bank_mask:0xf
	v_cndmask_b32_e64 v22, 0, v22, s0
	s_delay_alu instid0(VALU_DEP_1) | instskip(NEXT) | instid1(VALU_DEP_1)
	v_add_nc_u32_e32 v21, v21, v22
	v_mov_b32_dpp v22, v21 row_shr:4 row_mask:0xf bank_mask:0xf
	s_delay_alu instid0(VALU_DEP_1) | instskip(NEXT) | instid1(VALU_DEP_1)
	v_cndmask_b32_e64 v22, 0, v22, s4
	v_add_nc_u32_e32 v21, v21, v22
	s_delay_alu instid0(VALU_DEP_1) | instskip(NEXT) | instid1(VALU_DEP_1)
	v_mov_b32_dpp v22, v21 row_shr:8 row_mask:0xf bank_mask:0xf
	v_cndmask_b32_e64 v22, 0, v22, s1
	s_delay_alu instid0(VALU_DEP_1)
	v_add_nc_u32_e32 v21, v21, v22
	ds_store_b32 v18, v21
.LBB1431_372:
	s_or_b32 exec_lo, exec_lo, s7
	v_cmp_gt_u32_e32 vcc_lo, 32, v0
	s_mov_b32 s12, exec_lo
	s_waitcnt lgkmcnt(0)
	s_barrier
	buffer_gl0_inv
                                        ; implicit-def: $vgpr27
	v_cmpx_lt_u32_e32 31, v0
	s_cbranch_execz .LBB1431_374
; %bb.373:
	v_lshl_add_u32 v18, v43, 2, -4
	ds_load_b32 v27, v18
	s_waitcnt lgkmcnt(0)
	v_add_nc_u32_e32 v17, v27, v17
.LBB1431_374:
	s_or_b32 exec_lo, exec_lo, s12
	v_add_nc_u32_e32 v18, -1, v42
	s_delay_alu instid0(VALU_DEP_1) | instskip(NEXT) | instid1(VALU_DEP_1)
	v_cmp_gt_i32_e64 s7, 0, v18
	v_cndmask_b32_e64 v18, v18, v42, s7
	v_cmp_eq_u32_e64 s7, 0, v42
	s_delay_alu instid0(VALU_DEP_2)
	v_lshlrev_b32_e32 v18, 2, v18
	ds_bpermute_b32 v29, v18, v17
	s_and_saveexec_b32 s12, vcc_lo
	s_cbranch_execz .LBB1431_397
; %bb.375:
	v_mov_b32_e32 v23, 0
	ds_load_b32 v17, v23 offset:60
	s_and_saveexec_b32 s14, s7
	s_cbranch_execz .LBB1431_377
; %bb.376:
	s_add_i32 s16, s23, 32
	s_mov_b32 s17, 0
	v_mov_b32_e32 v18, 1
	s_lshl_b64 s[16:17], s[16:17], 3
	s_delay_alu instid0(SALU_CYCLE_1)
	s_add_u32 s16, s18, s16
	s_addc_u32 s17, s19, s17
	s_waitcnt lgkmcnt(0)
	global_store_b64 v23, v[17:18], s[16:17]
.LBB1431_377:
	s_or_b32 exec_lo, exec_lo, s14
	v_xad_u32 v21, v42, -1, s23
	s_mov_b32 s15, 0
	s_mov_b32 s14, exec_lo
	s_delay_alu instid0(VALU_DEP_1) | instskip(NEXT) | instid1(VALU_DEP_1)
	v_add_nc_u32_e32 v22, 32, v21
	v_lshlrev_b64 v[22:23], 3, v[22:23]
	s_delay_alu instid0(VALU_DEP_1) | instskip(NEXT) | instid1(VALU_DEP_2)
	v_add_co_u32 v25, vcc_lo, s18, v22
	v_add_co_ci_u32_e32 v26, vcc_lo, s19, v23, vcc_lo
	global_load_b64 v[23:24], v[25:26], off glc
	s_waitcnt vmcnt(0)
	v_and_b32_e32 v18, 0xff, v24
	s_delay_alu instid0(VALU_DEP_1)
	v_cmpx_eq_u16_e32 0, v18
	s_cbranch_execz .LBB1431_383
; %bb.378:
	s_mov_b32 s16, 1
	.p2align	6
.LBB1431_379:                           ; =>This Loop Header: Depth=1
                                        ;     Child Loop BB1431_380 Depth 2
	s_delay_alu instid0(SALU_CYCLE_1)
	s_max_u32 s17, s16, 1
.LBB1431_380:                           ;   Parent Loop BB1431_379 Depth=1
                                        ; =>  This Inner Loop Header: Depth=2
	s_delay_alu instid0(SALU_CYCLE_1)
	s_add_i32 s17, s17, -1
	s_sleep 1
	s_cmp_eq_u32 s17, 0
	s_cbranch_scc0 .LBB1431_380
; %bb.381:                              ;   in Loop: Header=BB1431_379 Depth=1
	global_load_b64 v[23:24], v[25:26], off glc
	s_cmp_lt_u32 s16, 32
	s_cselect_b32 s17, -1, 0
	s_delay_alu instid0(SALU_CYCLE_1) | instskip(SKIP_3) | instid1(VALU_DEP_1)
	s_cmp_lg_u32 s17, 0
	s_addc_u32 s16, s16, 0
	s_waitcnt vmcnt(0)
	v_and_b32_e32 v18, 0xff, v24
	v_cmp_ne_u16_e32 vcc_lo, 0, v18
	s_or_b32 s15, vcc_lo, s15
	s_delay_alu instid0(SALU_CYCLE_1)
	s_and_not1_b32 exec_lo, exec_lo, s15
	s_cbranch_execnz .LBB1431_379
; %bb.382:
	s_or_b32 exec_lo, exec_lo, s15
.LBB1431_383:
	s_delay_alu instid0(SALU_CYCLE_1)
	s_or_b32 exec_lo, exec_lo, s14
	v_cmp_ne_u32_e32 vcc_lo, 31, v42
	v_and_b32_e32 v22, 0xff, v24
	v_lshlrev_b32_e64 v31, v42, -1
	v_add_nc_u32_e32 v35, 2, v42
	v_add_nc_u32_e32 v45, 4, v42
	v_add_co_ci_u32_e32 v18, vcc_lo, 0, v42, vcc_lo
	v_cmp_eq_u16_e32 vcc_lo, 2, v22
	v_add_nc_u32_e32 v48, 8, v42
	v_add_nc_u32_e32 v50, 16, v42
	v_and_or_b32 v22, vcc_lo, v31, 0x80000000
	v_cmp_gt_u32_e32 vcc_lo, 30, v42
	s_delay_alu instid0(VALU_DEP_2) | instskip(SKIP_1) | instid1(VALU_DEP_2)
	v_ctz_i32_b32_e32 v22, v22
	v_cndmask_b32_e64 v26, 0, 1, vcc_lo
	v_cmp_lt_u32_e32 vcc_lo, v42, v22
	v_lshlrev_b32_e32 v18, 2, v18
	s_delay_alu instid0(VALU_DEP_3)
	v_lshlrev_b32_e32 v26, 1, v26
	ds_bpermute_b32 v25, v18, v23
	v_add_lshl_u32 v33, v26, v42, 2
	s_waitcnt lgkmcnt(0)
	v_cndmask_b32_e32 v25, 0, v25, vcc_lo
	v_cmp_gt_u32_e32 vcc_lo, 28, v42
	s_delay_alu instid0(VALU_DEP_2) | instskip(SKIP_4) | instid1(VALU_DEP_1)
	v_add_nc_u32_e32 v23, v25, v23
	v_cndmask_b32_e64 v26, 0, 1, vcc_lo
	v_cmp_le_u32_e32 vcc_lo, v35, v22
	ds_bpermute_b32 v25, v33, v23
	v_lshlrev_b32_e32 v26, 2, v26
	v_add_lshl_u32 v37, v26, v42, 2
	s_waitcnt lgkmcnt(0)
	v_cndmask_b32_e32 v25, 0, v25, vcc_lo
	v_cmp_gt_u32_e32 vcc_lo, 24, v42
	s_delay_alu instid0(VALU_DEP_2) | instskip(SKIP_4) | instid1(VALU_DEP_1)
	v_add_nc_u32_e32 v23, v23, v25
	v_cndmask_b32_e64 v26, 0, 1, vcc_lo
	v_cmp_le_u32_e32 vcc_lo, v45, v22
	ds_bpermute_b32 v25, v37, v23
	v_lshlrev_b32_e32 v26, 3, v26
	;; [unrolled: 10-line block ×3, first 2 shown]
	v_add_lshl_u32 v49, v26, v42, 2
	s_waitcnt lgkmcnt(0)
	v_cndmask_b32_e32 v25, 0, v25, vcc_lo
	v_cmp_le_u32_e32 vcc_lo, v50, v22
	s_delay_alu instid0(VALU_DEP_2) | instskip(SKIP_3) | instid1(VALU_DEP_1)
	v_add_nc_u32_e32 v23, v23, v25
	ds_bpermute_b32 v25, v49, v23
	s_waitcnt lgkmcnt(0)
	v_cndmask_b32_e32 v22, 0, v25, vcc_lo
	v_dual_mov_b32 v22, 0 :: v_dual_add_nc_u32 v23, v23, v22
	s_branch .LBB1431_385
.LBB1431_384:                           ;   in Loop: Header=BB1431_385 Depth=1
	s_or_b32 exec_lo, exec_lo, s14
	ds_bpermute_b32 v26, v18, v23
	v_and_b32_e32 v25, 0xff, v24
	v_subrev_nc_u32_e32 v21, 32, v21
	s_delay_alu instid0(VALU_DEP_2) | instskip(SKIP_1) | instid1(VALU_DEP_1)
	v_cmp_eq_u16_e32 vcc_lo, 2, v25
	v_and_or_b32 v25, vcc_lo, v31, 0x80000000
	v_ctz_i32_b32_e32 v25, v25
	s_delay_alu instid0(VALU_DEP_1) | instskip(SKIP_3) | instid1(VALU_DEP_2)
	v_cmp_lt_u32_e32 vcc_lo, v42, v25
	s_waitcnt lgkmcnt(0)
	v_cndmask_b32_e32 v26, 0, v26, vcc_lo
	v_cmp_le_u32_e32 vcc_lo, v35, v25
	v_add_nc_u32_e32 v23, v26, v23
	ds_bpermute_b32 v26, v33, v23
	s_waitcnt lgkmcnt(0)
	v_cndmask_b32_e32 v26, 0, v26, vcc_lo
	v_cmp_le_u32_e32 vcc_lo, v45, v25
	s_delay_alu instid0(VALU_DEP_2) | instskip(SKIP_4) | instid1(VALU_DEP_2)
	v_add_nc_u32_e32 v23, v23, v26
	ds_bpermute_b32 v26, v37, v23
	s_waitcnt lgkmcnt(0)
	v_cndmask_b32_e32 v26, 0, v26, vcc_lo
	v_cmp_le_u32_e32 vcc_lo, v48, v25
	v_add_nc_u32_e32 v23, v23, v26
	ds_bpermute_b32 v26, v47, v23
	s_waitcnt lgkmcnt(0)
	v_cndmask_b32_e32 v26, 0, v26, vcc_lo
	v_cmp_le_u32_e32 vcc_lo, v50, v25
	s_delay_alu instid0(VALU_DEP_2) | instskip(SKIP_3) | instid1(VALU_DEP_1)
	v_add_nc_u32_e32 v23, v23, v26
	ds_bpermute_b32 v26, v49, v23
	s_waitcnt lgkmcnt(0)
	v_cndmask_b32_e32 v25, 0, v26, vcc_lo
	v_add3_u32 v23, v25, v46, v23
.LBB1431_385:                           ; =>This Loop Header: Depth=1
                                        ;     Child Loop BB1431_388 Depth 2
                                        ;       Child Loop BB1431_389 Depth 3
	v_and_b32_e32 v24, 0xff, v24
	s_delay_alu instid0(VALU_DEP_2) | instskip(NEXT) | instid1(VALU_DEP_2)
	v_mov_b32_e32 v46, v23
	v_cmp_ne_u16_e32 vcc_lo, 2, v24
	v_cndmask_b32_e64 v24, 0, 1, vcc_lo
	;;#ASMSTART
	;;#ASMEND
	s_delay_alu instid0(VALU_DEP_1)
	v_cmp_ne_u32_e32 vcc_lo, 0, v24
	s_cmp_lg_u32 vcc_lo, exec_lo
	s_cbranch_scc1 .LBB1431_392
; %bb.386:                              ;   in Loop: Header=BB1431_385 Depth=1
	v_lshlrev_b64 v[23:24], 3, v[21:22]
	s_mov_b32 s14, exec_lo
	s_delay_alu instid0(VALU_DEP_1) | instskip(NEXT) | instid1(VALU_DEP_2)
	v_add_co_u32 v25, vcc_lo, s18, v23
	v_add_co_ci_u32_e32 v26, vcc_lo, s19, v24, vcc_lo
	global_load_b64 v[23:24], v[25:26], off glc
	s_waitcnt vmcnt(0)
	v_and_b32_e32 v51, 0xff, v24
	s_delay_alu instid0(VALU_DEP_1)
	v_cmpx_eq_u16_e32 0, v51
	s_cbranch_execz .LBB1431_384
; %bb.387:                              ;   in Loop: Header=BB1431_385 Depth=1
	s_mov_b32 s16, 1
	s_mov_b32 s15, 0
	.p2align	6
.LBB1431_388:                           ;   Parent Loop BB1431_385 Depth=1
                                        ; =>  This Loop Header: Depth=2
                                        ;       Child Loop BB1431_389 Depth 3
	s_max_u32 s17, s16, 1
.LBB1431_389:                           ;   Parent Loop BB1431_385 Depth=1
                                        ;     Parent Loop BB1431_388 Depth=2
                                        ; =>    This Inner Loop Header: Depth=3
	s_delay_alu instid0(SALU_CYCLE_1)
	s_add_i32 s17, s17, -1
	s_sleep 1
	s_cmp_eq_u32 s17, 0
	s_cbranch_scc0 .LBB1431_389
; %bb.390:                              ;   in Loop: Header=BB1431_388 Depth=2
	global_load_b64 v[23:24], v[25:26], off glc
	s_cmp_lt_u32 s16, 32
	s_cselect_b32 s17, -1, 0
	s_delay_alu instid0(SALU_CYCLE_1) | instskip(SKIP_3) | instid1(VALU_DEP_1)
	s_cmp_lg_u32 s17, 0
	s_addc_u32 s16, s16, 0
	s_waitcnt vmcnt(0)
	v_and_b32_e32 v51, 0xff, v24
	v_cmp_ne_u16_e32 vcc_lo, 0, v51
	s_or_b32 s15, vcc_lo, s15
	s_delay_alu instid0(SALU_CYCLE_1)
	s_and_not1_b32 exec_lo, exec_lo, s15
	s_cbranch_execnz .LBB1431_388
; %bb.391:                              ;   in Loop: Header=BB1431_385 Depth=1
	s_or_b32 exec_lo, exec_lo, s15
	s_branch .LBB1431_384
.LBB1431_392:                           ;   in Loop: Header=BB1431_385 Depth=1
                                        ; implicit-def: $vgpr23
                                        ; implicit-def: $vgpr24
	s_cbranch_execz .LBB1431_385
; %bb.393:
	s_and_saveexec_b32 s14, s7
	s_cbranch_execz .LBB1431_395
; %bb.394:
	s_add_i32 s16, s23, 32
	s_mov_b32 s17, 0
	v_dual_mov_b32 v22, 2 :: v_dual_add_nc_u32 v21, v46, v17
	s_lshl_b64 s[16:17], s[16:17], 3
	v_mov_b32_e32 v18, 0
	v_add_nc_u32_e64 v23, 0x8400, 0
	s_add_u32 s16, s18, s16
	s_addc_u32 s17, s19, s17
	global_store_b64 v18, v[21:22], s[16:17]
	ds_store_2addr_b32 v23, v17, v46 offset1:2
.LBB1431_395:
	s_or_b32 exec_lo, exec_lo, s14
	s_delay_alu instid0(SALU_CYCLE_1)
	s_and_b32 exec_lo, exec_lo, s2
	s_cbranch_execz .LBB1431_397
; %bb.396:
	v_mov_b32_e32 v17, 0
	ds_store_b32 v17, v46 offset:60
.LBB1431_397:
	s_or_b32 exec_lo, exec_lo, s12
	v_mov_b32_e32 v17, 0
	s_waitcnt lgkmcnt(0)
	s_waitcnt_vscnt null, 0x0
	s_barrier
	buffer_gl0_inv
	v_cndmask_b32_e64 v18, v29, v27, s7
	ds_load_b32 v17, v17 offset:60
	s_waitcnt lgkmcnt(0)
	s_barrier
	buffer_gl0_inv
	v_cndmask_b32_e64 v18, v18, 0, s2
	s_delay_alu instid0(VALU_DEP_1) | instskip(SKIP_1) | instid1(VALU_DEP_2)
	v_add_nc_u32_e32 v37, v17, v18
	v_add_nc_u32_e64 v17, 0x8400, 0
	v_add_nc_u32_e32 v35, v37, v28
	ds_load_2addr_b32 v[17:18], v17 offset1:2
	v_add_nc_u32_e32 v33, v35, v30
	s_delay_alu instid0(VALU_DEP_1) | instskip(NEXT) | instid1(VALU_DEP_1)
	v_add_nc_u32_e32 v31, v33, v32
	v_add_nc_u32_e32 v29, v31, v34
	s_delay_alu instid0(VALU_DEP_1) | instskip(NEXT) | instid1(VALU_DEP_1)
	v_add_nc_u32_e32 v27, v29, v36
	v_add_nc_u32_e32 v25, v27, v38
	s_delay_alu instid0(VALU_DEP_1)
	v_add_nc_u32_e32 v23, v25, v41
	v_lshrrev_b64 v[21:22], 24, v[19:20]
	s_branch .LBB1431_408
.LBB1431_398:
                                        ; implicit-def: $vgpr23
                                        ; implicit-def: $vgpr25
                                        ; implicit-def: $vgpr27
                                        ; implicit-def: $vgpr29
                                        ; implicit-def: $vgpr31
                                        ; implicit-def: $vgpr33
                                        ; implicit-def: $vgpr35
                                        ; implicit-def: $vgpr37
                                        ; implicit-def: $vgpr18
	v_lshrrev_b64 v[21:22], 24, v[19:20]
	s_and_b32 vcc_lo, exec_lo, s7
	s_cbranch_vccz .LBB1431_408
; %bb.399:
	s_waitcnt lgkmcnt(0)
	v_mov_b32_dpp v17, v44 row_shr:1 row_mask:0xf bank_mask:0xf
	s_delay_alu instid0(VALU_DEP_1) | instskip(NEXT) | instid1(VALU_DEP_1)
	v_cndmask_b32_e64 v17, v17, 0, s3
	v_add_nc_u32_e32 v17, v17, v44
	s_delay_alu instid0(VALU_DEP_1) | instskip(NEXT) | instid1(VALU_DEP_1)
	v_mov_b32_dpp v18, v17 row_shr:2 row_mask:0xf bank_mask:0xf
	v_cndmask_b32_e64 v18, 0, v18, s0
	s_delay_alu instid0(VALU_DEP_1) | instskip(NEXT) | instid1(VALU_DEP_1)
	v_add_nc_u32_e32 v17, v17, v18
	v_mov_b32_dpp v18, v17 row_shr:4 row_mask:0xf bank_mask:0xf
	s_delay_alu instid0(VALU_DEP_1) | instskip(NEXT) | instid1(VALU_DEP_1)
	v_cndmask_b32_e64 v18, 0, v18, s4
	v_add_nc_u32_e32 v17, v17, v18
	s_delay_alu instid0(VALU_DEP_1) | instskip(NEXT) | instid1(VALU_DEP_1)
	v_mov_b32_dpp v18, v17 row_shr:8 row_mask:0xf bank_mask:0xf
	v_cndmask_b32_e64 v18, 0, v18, s1
	s_delay_alu instid0(VALU_DEP_1) | instskip(SKIP_3) | instid1(VALU_DEP_1)
	v_add_nc_u32_e32 v17, v17, v18
	ds_swizzle_b32 v18, v17 offset:swizzle(BROADCAST,32,15)
	s_waitcnt lgkmcnt(0)
	v_cndmask_b32_e64 v18, v18, 0, s6
	v_add_nc_u32_e32 v17, v17, v18
	s_and_saveexec_b32 s6, s5
	s_cbranch_execz .LBB1431_401
; %bb.400:
	v_lshlrev_b32_e32 v18, 2, v43
	ds_store_b32 v18, v17
.LBB1431_401:
	s_or_b32 exec_lo, exec_lo, s6
	s_delay_alu instid0(SALU_CYCLE_1)
	s_mov_b32 s5, exec_lo
	s_waitcnt lgkmcnt(0)
	s_barrier
	buffer_gl0_inv
	v_cmpx_gt_u32_e32 16, v0
	s_cbranch_execz .LBB1431_403
; %bb.402:
	v_lshlrev_b32_e32 v18, 2, v0
	ds_load_b32 v22, v18
	s_waitcnt lgkmcnt(0)
	v_mov_b32_dpp v23, v22 row_shr:1 row_mask:0xf bank_mask:0xf
	s_delay_alu instid0(VALU_DEP_1) | instskip(NEXT) | instid1(VALU_DEP_1)
	v_cndmask_b32_e64 v23, v23, 0, s3
	v_add_nc_u32_e32 v22, v23, v22
	s_delay_alu instid0(VALU_DEP_1) | instskip(NEXT) | instid1(VALU_DEP_1)
	v_mov_b32_dpp v23, v22 row_shr:2 row_mask:0xf bank_mask:0xf
	v_cndmask_b32_e64 v23, 0, v23, s0
	s_delay_alu instid0(VALU_DEP_1) | instskip(NEXT) | instid1(VALU_DEP_1)
	v_add_nc_u32_e32 v22, v22, v23
	v_mov_b32_dpp v23, v22 row_shr:4 row_mask:0xf bank_mask:0xf
	s_delay_alu instid0(VALU_DEP_1) | instskip(NEXT) | instid1(VALU_DEP_1)
	v_cndmask_b32_e64 v23, 0, v23, s4
	v_add_nc_u32_e32 v22, v22, v23
	s_delay_alu instid0(VALU_DEP_1) | instskip(NEXT) | instid1(VALU_DEP_1)
	v_mov_b32_dpp v23, v22 row_shr:8 row_mask:0xf bank_mask:0xf
	v_cndmask_b32_e64 v23, 0, v23, s1
	s_delay_alu instid0(VALU_DEP_1)
	v_add_nc_u32_e32 v22, v22, v23
	ds_store_b32 v18, v22
.LBB1431_403:
	s_or_b32 exec_lo, exec_lo, s5
	v_mov_b32_e32 v18, 0
	v_mov_b32_e32 v22, 0
	s_mov_b32 s0, exec_lo
	s_waitcnt lgkmcnt(0)
	s_barrier
	buffer_gl0_inv
	v_cmpx_lt_u32_e32 31, v0
	s_cbranch_execz .LBB1431_405
; %bb.404:
	v_lshl_add_u32 v22, v43, 2, -4
	ds_load_b32 v22, v22
.LBB1431_405:
	s_or_b32 exec_lo, exec_lo, s0
	v_add_nc_u32_e32 v23, -1, v42
	s_waitcnt lgkmcnt(0)
	v_add_nc_u32_e32 v17, v22, v17
	s_delay_alu instid0(VALU_DEP_2) | instskip(SKIP_1) | instid1(VALU_DEP_1)
	v_cmp_gt_i32_e32 vcc_lo, 0, v23
	v_cndmask_b32_e32 v23, v23, v42, vcc_lo
	v_lshlrev_b32_e32 v23, 2, v23
	ds_bpermute_b32 v23, v23, v17
	ds_load_b32 v17, v18 offset:60
	s_and_saveexec_b32 s0, s2
	s_cbranch_execz .LBB1431_407
; %bb.406:
	v_mov_b32_e32 v24, 0
	v_mov_b32_e32 v18, 2
	s_waitcnt lgkmcnt(0)
	global_store_b64 v24, v[17:18], s[18:19] offset:256
.LBB1431_407:
	s_or_b32 exec_lo, exec_lo, s0
	v_cmp_eq_u32_e32 vcc_lo, 0, v42
	s_waitcnt lgkmcnt(0)
	s_waitcnt_vscnt null, 0x0
	s_barrier
	buffer_gl0_inv
	v_cndmask_b32_e32 v18, v23, v22, vcc_lo
	s_delay_alu instid0(VALU_DEP_1) | instskip(NEXT) | instid1(VALU_DEP_1)
	v_cndmask_b32_e64 v37, v18, 0, s2
	v_dual_mov_b32 v18, 0 :: v_dual_add_nc_u32 v35, v37, v28
	s_delay_alu instid0(VALU_DEP_1) | instskip(NEXT) | instid1(VALU_DEP_1)
	v_add_nc_u32_e32 v33, v35, v30
	v_add_nc_u32_e32 v31, v33, v32
	s_delay_alu instid0(VALU_DEP_1) | instskip(NEXT) | instid1(VALU_DEP_1)
	v_add_nc_u32_e32 v29, v31, v34
	v_add_nc_u32_e32 v27, v29, v36
	;; [unrolled: 3-line block ×3, first 2 shown]
.LBB1431_408:
	s_waitcnt lgkmcnt(0)
	v_cmp_gt_u32_e32 vcc_lo, 0x201, v17
	v_lshrrev_b32_e32 v43, 8, v19
	v_lshrrev_b32_e32 v42, 16, v19
	;; [unrolled: 1-line block ×4, first 2 shown]
	s_mov_b32 s0, -1
	s_cbranch_vccnz .LBB1431_412
; %bb.409:
	s_and_b32 vcc_lo, exec_lo, s0
	s_cbranch_vccnz .LBB1431_437
.LBB1431_410:
	s_and_b32 s0, s2, s13
	s_delay_alu instid0(SALU_CYCLE_1)
	s_and_saveexec_b32 s1, s0
	s_cbranch_execnz .LBB1431_457
.LBB1431_411:
	s_nop 0
	s_sendmsg sendmsg(MSG_DEALLOC_VGPRS)
	s_endpgm
.LBB1431_412:
	v_add_nc_u32_e32 v24, v18, v17
	s_delay_alu instid0(VALU_DEP_1) | instskip(SKIP_1) | instid1(SALU_CYCLE_1)
	v_cmp_lt_u32_e32 vcc_lo, v37, v24
	s_or_b32 s1, s22, vcc_lo
	s_and_saveexec_b32 s0, s1
	s_cbranch_execz .LBB1431_415
; %bb.413:
	v_and_b32_e32 v26, 1, v19
	s_delay_alu instid0(VALU_DEP_1)
	v_cmp_eq_u32_e32 vcc_lo, 1, v26
	s_and_b32 exec_lo, exec_lo, vcc_lo
	s_cbranch_execz .LBB1431_415
; %bb.414:
	v_mov_b32_e32 v38, 0
	s_lshl_b64 s[4:5], s[10:11], 3
	s_delay_alu instid0(SALU_CYCLE_1) | instskip(SKIP_1) | instid1(VALU_DEP_1)
	s_add_u32 s1, s20, s4
	s_addc_u32 s3, s21, s5
	v_lshlrev_b64 v[44:45], 3, v[37:38]
	s_delay_alu instid0(VALU_DEP_1) | instskip(NEXT) | instid1(VALU_DEP_2)
	v_add_co_u32 v44, vcc_lo, s1, v44
	v_add_co_ci_u32_e32 v45, vcc_lo, s3, v45, vcc_lo
	global_store_b64 v[44:45], v[13:14], off
.LBB1431_415:
	s_or_b32 exec_lo, exec_lo, s0
	v_cmp_lt_u32_e32 vcc_lo, v35, v24
	s_or_b32 s1, s22, vcc_lo
	s_delay_alu instid0(SALU_CYCLE_1)
	s_and_saveexec_b32 s0, s1
	s_cbranch_execz .LBB1431_418
; %bb.416:
	v_and_b32_e32 v26, 1, v43
	s_delay_alu instid0(VALU_DEP_1)
	v_cmp_eq_u32_e32 vcc_lo, 1, v26
	s_and_b32 exec_lo, exec_lo, vcc_lo
	s_cbranch_execz .LBB1431_418
; %bb.417:
	v_mov_b32_e32 v36, 0
	s_lshl_b64 s[4:5], s[10:11], 3
	s_delay_alu instid0(SALU_CYCLE_1) | instskip(SKIP_1) | instid1(VALU_DEP_1)
	s_add_u32 s1, s20, s4
	s_addc_u32 s3, s21, s5
	v_lshlrev_b64 v[44:45], 3, v[35:36]
	s_delay_alu instid0(VALU_DEP_1) | instskip(NEXT) | instid1(VALU_DEP_2)
	v_add_co_u32 v44, vcc_lo, s1, v44
	v_add_co_ci_u32_e32 v45, vcc_lo, s3, v45, vcc_lo
	global_store_b64 v[44:45], v[15:16], off
.LBB1431_418:
	s_or_b32 exec_lo, exec_lo, s0
	v_cmp_lt_u32_e32 vcc_lo, v33, v24
	s_or_b32 s1, s22, vcc_lo
	s_delay_alu instid0(SALU_CYCLE_1)
	;; [unrolled: 24-line block ×7, first 2 shown]
	s_and_saveexec_b32 s0, s1
	s_cbranch_execz .LBB1431_436
; %bb.434:
	v_and_b32_e32 v24, 1, v40
	s_delay_alu instid0(VALU_DEP_1)
	v_cmp_eq_u32_e32 vcc_lo, 1, v24
	s_and_b32 exec_lo, exec_lo, vcc_lo
	s_cbranch_execz .LBB1431_436
; %bb.435:
	v_mov_b32_e32 v24, 0
	s_lshl_b64 s[4:5], s[10:11], 3
	s_delay_alu instid0(SALU_CYCLE_1) | instskip(SKIP_1) | instid1(VALU_DEP_1)
	s_add_u32 s1, s20, s4
	s_addc_u32 s3, s21, s5
	v_lshlrev_b64 v[44:45], 3, v[23:24]
	s_delay_alu instid0(VALU_DEP_1) | instskip(NEXT) | instid1(VALU_DEP_2)
	v_add_co_u32 v44, vcc_lo, s1, v44
	v_add_co_ci_u32_e32 v45, vcc_lo, s3, v45, vcc_lo
	global_store_b64 v[44:45], v[3:4], off
.LBB1431_436:
	s_or_b32 exec_lo, exec_lo, s0
	s_branch .LBB1431_410
.LBB1431_437:
	v_and_b32_e32 v19, 1, v19
	s_mov_b32 s0, exec_lo
	s_delay_alu instid0(VALU_DEP_1)
	v_cmpx_eq_u32_e32 1, v19
	s_cbranch_execz .LBB1431_439
; %bb.438:
	v_sub_nc_u32_e32 v19, v37, v18
	s_delay_alu instid0(VALU_DEP_1)
	v_lshlrev_b32_e32 v19, 3, v19
	ds_store_b64 v19, v[13:14]
.LBB1431_439:
	s_or_b32 exec_lo, exec_lo, s0
	v_and_b32_e32 v13, 1, v43
	s_mov_b32 s0, exec_lo
	s_delay_alu instid0(VALU_DEP_1)
	v_cmpx_eq_u32_e32 1, v13
	s_cbranch_execz .LBB1431_441
; %bb.440:
	v_sub_nc_u32_e32 v13, v35, v18
	s_delay_alu instid0(VALU_DEP_1)
	v_lshlrev_b32_e32 v13, 3, v13
	ds_store_b64 v13, v[15:16]
.LBB1431_441:
	s_or_b32 exec_lo, exec_lo, s0
	v_and_b32_e32 v13, 1, v42
	s_mov_b32 s0, exec_lo
	s_delay_alu instid0(VALU_DEP_1)
	v_cmpx_eq_u32_e32 1, v13
	s_cbranch_execz .LBB1431_443
; %bb.442:
	v_sub_nc_u32_e32 v13, v33, v18
	s_delay_alu instid0(VALU_DEP_1)
	v_lshlrev_b32_e32 v13, 3, v13
	ds_store_b64 v13, v[9:10]
.LBB1431_443:
	s_or_b32 exec_lo, exec_lo, s0
	v_and_b32_e32 v9, 1, v21
	s_mov_b32 s0, exec_lo
	s_delay_alu instid0(VALU_DEP_1)
	v_cmpx_eq_u32_e32 1, v9
	s_cbranch_execz .LBB1431_445
; %bb.444:
	v_sub_nc_u32_e32 v9, v31, v18
	s_delay_alu instid0(VALU_DEP_1)
	v_lshlrev_b32_e32 v9, 3, v9
	ds_store_b64 v9, v[11:12]
.LBB1431_445:
	s_or_b32 exec_lo, exec_lo, s0
	v_and_b32_e32 v9, 1, v20
	s_mov_b32 s0, exec_lo
	s_delay_alu instid0(VALU_DEP_1)
	v_cmpx_eq_u32_e32 1, v9
	s_cbranch_execz .LBB1431_447
; %bb.446:
	v_sub_nc_u32_e32 v9, v29, v18
	s_delay_alu instid0(VALU_DEP_1)
	v_lshlrev_b32_e32 v9, 3, v9
	ds_store_b64 v9, v[5:6]
.LBB1431_447:
	s_or_b32 exec_lo, exec_lo, s0
	v_and_b32_e32 v5, 1, v41
	s_mov_b32 s0, exec_lo
	s_delay_alu instid0(VALU_DEP_1)
	v_cmpx_eq_u32_e32 1, v5
	s_cbranch_execz .LBB1431_449
; %bb.448:
	v_sub_nc_u32_e32 v5, v27, v18
	s_delay_alu instid0(VALU_DEP_1)
	v_lshlrev_b32_e32 v5, 3, v5
	ds_store_b64 v5, v[7:8]
.LBB1431_449:
	s_or_b32 exec_lo, exec_lo, s0
	v_and_b32_e32 v5, 1, v22
	s_mov_b32 s0, exec_lo
	s_delay_alu instid0(VALU_DEP_1)
	v_cmpx_eq_u32_e32 1, v5
	s_cbranch_execz .LBB1431_451
; %bb.450:
	v_sub_nc_u32_e32 v5, v25, v18
	s_delay_alu instid0(VALU_DEP_1)
	v_lshlrev_b32_e32 v5, 3, v5
	ds_store_b64 v5, v[1:2]
.LBB1431_451:
	s_or_b32 exec_lo, exec_lo, s0
	v_and_b32_e32 v1, 1, v40
	s_mov_b32 s0, exec_lo
	s_delay_alu instid0(VALU_DEP_1)
	v_cmpx_eq_u32_e32 1, v1
	s_cbranch_execz .LBB1431_453
; %bb.452:
	v_sub_nc_u32_e32 v1, v23, v18
	s_delay_alu instid0(VALU_DEP_1)
	v_lshlrev_b32_e32 v1, 3, v1
	ds_store_b64 v1, v[3:4]
.LBB1431_453:
	s_or_b32 exec_lo, exec_lo, s0
	s_delay_alu instid0(SALU_CYCLE_1)
	s_mov_b32 s1, exec_lo
	s_waitcnt lgkmcnt(0)
	s_waitcnt_vscnt null, 0x0
	s_barrier
	buffer_gl0_inv
	v_cmpx_lt_u32_e64 v0, v17
	s_cbranch_execz .LBB1431_456
; %bb.454:
	v_dual_mov_b32 v2, 0 :: v_dual_mov_b32 v1, v18
	s_lshl_b64 s[4:5], s[10:11], 3
	s_mov_b32 s3, 0
	s_delay_alu instid0(VALU_DEP_1) | instskip(NEXT) | instid1(VALU_DEP_1)
	v_lshlrev_b64 v[1:2], 3, v[1:2]
	v_add_co_u32 v1, vcc_lo, s4, v1
	s_delay_alu instid0(VALU_DEP_2) | instskip(NEXT) | instid1(VALU_DEP_2)
	v_add_co_ci_u32_e32 v2, vcc_lo, s5, v2, vcc_lo
	v_add_co_u32 v1, vcc_lo, s20, v1
	s_delay_alu instid0(VALU_DEP_2) | instskip(NEXT) | instid1(VALU_DEP_2)
	v_add_co_ci_u32_e32 v2, vcc_lo, s21, v2, vcc_lo
	v_add_co_u32 v1, vcc_lo, v1, v39
	s_delay_alu instid0(VALU_DEP_2)
	v_add_co_ci_u32_e32 v2, vcc_lo, 0, v2, vcc_lo
	.p2align	6
.LBB1431_455:                           ; =>This Inner Loop Header: Depth=1
	ds_load_b64 v[3:4], v39
	v_add_nc_u32_e32 v0, 0x200, v0
	v_add_nc_u32_e32 v39, 0x1000, v39
	s_delay_alu instid0(VALU_DEP_2) | instskip(SKIP_4) | instid1(VALU_DEP_1)
	v_cmp_ge_u32_e32 vcc_lo, v0, v17
	s_or_b32 s3, vcc_lo, s3
	s_waitcnt lgkmcnt(0)
	global_store_b64 v[1:2], v[3:4], off
	v_add_co_u32 v1, s0, 0x1000, v1
	v_add_co_ci_u32_e64 v2, s0, 0, v2, s0
	s_and_not1_b32 exec_lo, exec_lo, s3
	s_cbranch_execnz .LBB1431_455
.LBB1431_456:
	s_or_b32 exec_lo, exec_lo, s1
	s_and_b32 s0, s2, s13
	s_delay_alu instid0(SALU_CYCLE_1)
	s_and_saveexec_b32 s1, s0
	s_cbranch_execz .LBB1431_411
.LBB1431_457:
	v_add_co_u32 v0, s0, s10, v17
	s_delay_alu instid0(VALU_DEP_1) | instskip(SKIP_1) | instid1(VALU_DEP_3)
	v_add_co_ci_u32_e64 v1, null, s11, 0, s0
	v_mov_b32_e32 v2, 0
	v_add_co_u32 v0, vcc_lo, v0, v18
	s_delay_alu instid0(VALU_DEP_3)
	v_add_co_ci_u32_e32 v1, vcc_lo, 0, v1, vcc_lo
	global_store_b64 v2, v[0:1], s[8:9]
	s_nop 0
	s_sendmsg sendmsg(MSG_DEALLOC_VGPRS)
	s_endpgm
	.section	.rodata,"a",@progbits
	.p2align	6, 0x0
	.amdhsa_kernel _ZN7rocprim17ROCPRIM_400000_NS6detail17trampoline_kernelINS0_14default_configENS1_25partition_config_selectorILNS1_17partition_subalgoE8ElNS0_10empty_typeEbEEZZNS1_14partition_implILS5_8ELb0ES3_jPlPS6_PKS6_NS0_5tupleIJS9_S6_EEENSD_IJSA_SA_EEENS0_18inequality_wrapperIZN2at6native12_GLOBAL__N_124unique_dim_cuda_templateItEESt5tupleIJNSH_6TensorESM_SM_EERKSM_lbbbEUlllE0_EEPmJS6_EEE10hipError_tPvRmT3_T4_T5_T6_T7_T9_mT8_P12ihipStream_tbDpT10_ENKUlT_T0_E_clISt17integral_constantIbLb1EES1C_EEDaS17_S18_EUlS17_E_NS1_11comp_targetILNS1_3genE9ELNS1_11target_archE1100ELNS1_3gpuE3ELNS1_3repE0EEENS1_30default_config_static_selectorELNS0_4arch9wavefront6targetE0EEEvT1_
		.amdhsa_group_segment_fixed_size 33804
		.amdhsa_private_segment_fixed_size 0
		.amdhsa_kernarg_size 136
		.amdhsa_user_sgpr_count 15
		.amdhsa_user_sgpr_dispatch_ptr 0
		.amdhsa_user_sgpr_queue_ptr 0
		.amdhsa_user_sgpr_kernarg_segment_ptr 1
		.amdhsa_user_sgpr_dispatch_id 0
		.amdhsa_user_sgpr_private_segment_size 0
		.amdhsa_wavefront_size32 1
		.amdhsa_uses_dynamic_stack 0
		.amdhsa_enable_private_segment 0
		.amdhsa_system_sgpr_workgroup_id_x 1
		.amdhsa_system_sgpr_workgroup_id_y 0
		.amdhsa_system_sgpr_workgroup_id_z 0
		.amdhsa_system_sgpr_workgroup_info 0
		.amdhsa_system_vgpr_workitem_id 0
		.amdhsa_next_free_vgpr 52
		.amdhsa_next_free_sgpr 38
		.amdhsa_reserve_vcc 1
		.amdhsa_float_round_mode_32 0
		.amdhsa_float_round_mode_16_64 0
		.amdhsa_float_denorm_mode_32 3
		.amdhsa_float_denorm_mode_16_64 3
		.amdhsa_dx10_clamp 1
		.amdhsa_ieee_mode 1
		.amdhsa_fp16_overflow 0
		.amdhsa_workgroup_processor_mode 1
		.amdhsa_memory_ordered 1
		.amdhsa_forward_progress 0
		.amdhsa_shared_vgpr_count 0
		.amdhsa_exception_fp_ieee_invalid_op 0
		.amdhsa_exception_fp_denorm_src 0
		.amdhsa_exception_fp_ieee_div_zero 0
		.amdhsa_exception_fp_ieee_overflow 0
		.amdhsa_exception_fp_ieee_underflow 0
		.amdhsa_exception_fp_ieee_inexact 0
		.amdhsa_exception_int_div_zero 0
	.end_amdhsa_kernel
	.section	.text._ZN7rocprim17ROCPRIM_400000_NS6detail17trampoline_kernelINS0_14default_configENS1_25partition_config_selectorILNS1_17partition_subalgoE8ElNS0_10empty_typeEbEEZZNS1_14partition_implILS5_8ELb0ES3_jPlPS6_PKS6_NS0_5tupleIJS9_S6_EEENSD_IJSA_SA_EEENS0_18inequality_wrapperIZN2at6native12_GLOBAL__N_124unique_dim_cuda_templateItEESt5tupleIJNSH_6TensorESM_SM_EERKSM_lbbbEUlllE0_EEPmJS6_EEE10hipError_tPvRmT3_T4_T5_T6_T7_T9_mT8_P12ihipStream_tbDpT10_ENKUlT_T0_E_clISt17integral_constantIbLb1EES1C_EEDaS17_S18_EUlS17_E_NS1_11comp_targetILNS1_3genE9ELNS1_11target_archE1100ELNS1_3gpuE3ELNS1_3repE0EEENS1_30default_config_static_selectorELNS0_4arch9wavefront6targetE0EEEvT1_,"axG",@progbits,_ZN7rocprim17ROCPRIM_400000_NS6detail17trampoline_kernelINS0_14default_configENS1_25partition_config_selectorILNS1_17partition_subalgoE8ElNS0_10empty_typeEbEEZZNS1_14partition_implILS5_8ELb0ES3_jPlPS6_PKS6_NS0_5tupleIJS9_S6_EEENSD_IJSA_SA_EEENS0_18inequality_wrapperIZN2at6native12_GLOBAL__N_124unique_dim_cuda_templateItEESt5tupleIJNSH_6TensorESM_SM_EERKSM_lbbbEUlllE0_EEPmJS6_EEE10hipError_tPvRmT3_T4_T5_T6_T7_T9_mT8_P12ihipStream_tbDpT10_ENKUlT_T0_E_clISt17integral_constantIbLb1EES1C_EEDaS17_S18_EUlS17_E_NS1_11comp_targetILNS1_3genE9ELNS1_11target_archE1100ELNS1_3gpuE3ELNS1_3repE0EEENS1_30default_config_static_selectorELNS0_4arch9wavefront6targetE0EEEvT1_,comdat
.Lfunc_end1431:
	.size	_ZN7rocprim17ROCPRIM_400000_NS6detail17trampoline_kernelINS0_14default_configENS1_25partition_config_selectorILNS1_17partition_subalgoE8ElNS0_10empty_typeEbEEZZNS1_14partition_implILS5_8ELb0ES3_jPlPS6_PKS6_NS0_5tupleIJS9_S6_EEENSD_IJSA_SA_EEENS0_18inequality_wrapperIZN2at6native12_GLOBAL__N_124unique_dim_cuda_templateItEESt5tupleIJNSH_6TensorESM_SM_EERKSM_lbbbEUlllE0_EEPmJS6_EEE10hipError_tPvRmT3_T4_T5_T6_T7_T9_mT8_P12ihipStream_tbDpT10_ENKUlT_T0_E_clISt17integral_constantIbLb1EES1C_EEDaS17_S18_EUlS17_E_NS1_11comp_targetILNS1_3genE9ELNS1_11target_archE1100ELNS1_3gpuE3ELNS1_3repE0EEENS1_30default_config_static_selectorELNS0_4arch9wavefront6targetE0EEEvT1_, .Lfunc_end1431-_ZN7rocprim17ROCPRIM_400000_NS6detail17trampoline_kernelINS0_14default_configENS1_25partition_config_selectorILNS1_17partition_subalgoE8ElNS0_10empty_typeEbEEZZNS1_14partition_implILS5_8ELb0ES3_jPlPS6_PKS6_NS0_5tupleIJS9_S6_EEENSD_IJSA_SA_EEENS0_18inequality_wrapperIZN2at6native12_GLOBAL__N_124unique_dim_cuda_templateItEESt5tupleIJNSH_6TensorESM_SM_EERKSM_lbbbEUlllE0_EEPmJS6_EEE10hipError_tPvRmT3_T4_T5_T6_T7_T9_mT8_P12ihipStream_tbDpT10_ENKUlT_T0_E_clISt17integral_constantIbLb1EES1C_EEDaS17_S18_EUlS17_E_NS1_11comp_targetILNS1_3genE9ELNS1_11target_archE1100ELNS1_3gpuE3ELNS1_3repE0EEENS1_30default_config_static_selectorELNS0_4arch9wavefront6targetE0EEEvT1_
                                        ; -- End function
	.section	.AMDGPU.csdata,"",@progbits
; Kernel info:
; codeLenInByte = 18520
; NumSgprs: 40
; NumVgprs: 52
; ScratchSize: 0
; MemoryBound: 0
; FloatMode: 240
; IeeeMode: 1
; LDSByteSize: 33804 bytes/workgroup (compile time only)
; SGPRBlocks: 4
; VGPRBlocks: 6
; NumSGPRsForWavesPerEU: 40
; NumVGPRsForWavesPerEU: 52
; Occupancy: 12
; WaveLimiterHint : 1
; COMPUTE_PGM_RSRC2:SCRATCH_EN: 0
; COMPUTE_PGM_RSRC2:USER_SGPR: 15
; COMPUTE_PGM_RSRC2:TRAP_HANDLER: 0
; COMPUTE_PGM_RSRC2:TGID_X_EN: 1
; COMPUTE_PGM_RSRC2:TGID_Y_EN: 0
; COMPUTE_PGM_RSRC2:TGID_Z_EN: 0
; COMPUTE_PGM_RSRC2:TIDIG_COMP_CNT: 0
	.section	.text._ZN7rocprim17ROCPRIM_400000_NS6detail17trampoline_kernelINS0_14default_configENS1_25partition_config_selectorILNS1_17partition_subalgoE8ElNS0_10empty_typeEbEEZZNS1_14partition_implILS5_8ELb0ES3_jPlPS6_PKS6_NS0_5tupleIJS9_S6_EEENSD_IJSA_SA_EEENS0_18inequality_wrapperIZN2at6native12_GLOBAL__N_124unique_dim_cuda_templateItEESt5tupleIJNSH_6TensorESM_SM_EERKSM_lbbbEUlllE0_EEPmJS6_EEE10hipError_tPvRmT3_T4_T5_T6_T7_T9_mT8_P12ihipStream_tbDpT10_ENKUlT_T0_E_clISt17integral_constantIbLb1EES1C_EEDaS17_S18_EUlS17_E_NS1_11comp_targetILNS1_3genE8ELNS1_11target_archE1030ELNS1_3gpuE2ELNS1_3repE0EEENS1_30default_config_static_selectorELNS0_4arch9wavefront6targetE0EEEvT1_,"axG",@progbits,_ZN7rocprim17ROCPRIM_400000_NS6detail17trampoline_kernelINS0_14default_configENS1_25partition_config_selectorILNS1_17partition_subalgoE8ElNS0_10empty_typeEbEEZZNS1_14partition_implILS5_8ELb0ES3_jPlPS6_PKS6_NS0_5tupleIJS9_S6_EEENSD_IJSA_SA_EEENS0_18inequality_wrapperIZN2at6native12_GLOBAL__N_124unique_dim_cuda_templateItEESt5tupleIJNSH_6TensorESM_SM_EERKSM_lbbbEUlllE0_EEPmJS6_EEE10hipError_tPvRmT3_T4_T5_T6_T7_T9_mT8_P12ihipStream_tbDpT10_ENKUlT_T0_E_clISt17integral_constantIbLb1EES1C_EEDaS17_S18_EUlS17_E_NS1_11comp_targetILNS1_3genE8ELNS1_11target_archE1030ELNS1_3gpuE2ELNS1_3repE0EEENS1_30default_config_static_selectorELNS0_4arch9wavefront6targetE0EEEvT1_,comdat
	.globl	_ZN7rocprim17ROCPRIM_400000_NS6detail17trampoline_kernelINS0_14default_configENS1_25partition_config_selectorILNS1_17partition_subalgoE8ElNS0_10empty_typeEbEEZZNS1_14partition_implILS5_8ELb0ES3_jPlPS6_PKS6_NS0_5tupleIJS9_S6_EEENSD_IJSA_SA_EEENS0_18inequality_wrapperIZN2at6native12_GLOBAL__N_124unique_dim_cuda_templateItEESt5tupleIJNSH_6TensorESM_SM_EERKSM_lbbbEUlllE0_EEPmJS6_EEE10hipError_tPvRmT3_T4_T5_T6_T7_T9_mT8_P12ihipStream_tbDpT10_ENKUlT_T0_E_clISt17integral_constantIbLb1EES1C_EEDaS17_S18_EUlS17_E_NS1_11comp_targetILNS1_3genE8ELNS1_11target_archE1030ELNS1_3gpuE2ELNS1_3repE0EEENS1_30default_config_static_selectorELNS0_4arch9wavefront6targetE0EEEvT1_ ; -- Begin function _ZN7rocprim17ROCPRIM_400000_NS6detail17trampoline_kernelINS0_14default_configENS1_25partition_config_selectorILNS1_17partition_subalgoE8ElNS0_10empty_typeEbEEZZNS1_14partition_implILS5_8ELb0ES3_jPlPS6_PKS6_NS0_5tupleIJS9_S6_EEENSD_IJSA_SA_EEENS0_18inequality_wrapperIZN2at6native12_GLOBAL__N_124unique_dim_cuda_templateItEESt5tupleIJNSH_6TensorESM_SM_EERKSM_lbbbEUlllE0_EEPmJS6_EEE10hipError_tPvRmT3_T4_T5_T6_T7_T9_mT8_P12ihipStream_tbDpT10_ENKUlT_T0_E_clISt17integral_constantIbLb1EES1C_EEDaS17_S18_EUlS17_E_NS1_11comp_targetILNS1_3genE8ELNS1_11target_archE1030ELNS1_3gpuE2ELNS1_3repE0EEENS1_30default_config_static_selectorELNS0_4arch9wavefront6targetE0EEEvT1_
	.p2align	8
	.type	_ZN7rocprim17ROCPRIM_400000_NS6detail17trampoline_kernelINS0_14default_configENS1_25partition_config_selectorILNS1_17partition_subalgoE8ElNS0_10empty_typeEbEEZZNS1_14partition_implILS5_8ELb0ES3_jPlPS6_PKS6_NS0_5tupleIJS9_S6_EEENSD_IJSA_SA_EEENS0_18inequality_wrapperIZN2at6native12_GLOBAL__N_124unique_dim_cuda_templateItEESt5tupleIJNSH_6TensorESM_SM_EERKSM_lbbbEUlllE0_EEPmJS6_EEE10hipError_tPvRmT3_T4_T5_T6_T7_T9_mT8_P12ihipStream_tbDpT10_ENKUlT_T0_E_clISt17integral_constantIbLb1EES1C_EEDaS17_S18_EUlS17_E_NS1_11comp_targetILNS1_3genE8ELNS1_11target_archE1030ELNS1_3gpuE2ELNS1_3repE0EEENS1_30default_config_static_selectorELNS0_4arch9wavefront6targetE0EEEvT1_,@function
_ZN7rocprim17ROCPRIM_400000_NS6detail17trampoline_kernelINS0_14default_configENS1_25partition_config_selectorILNS1_17partition_subalgoE8ElNS0_10empty_typeEbEEZZNS1_14partition_implILS5_8ELb0ES3_jPlPS6_PKS6_NS0_5tupleIJS9_S6_EEENSD_IJSA_SA_EEENS0_18inequality_wrapperIZN2at6native12_GLOBAL__N_124unique_dim_cuda_templateItEESt5tupleIJNSH_6TensorESM_SM_EERKSM_lbbbEUlllE0_EEPmJS6_EEE10hipError_tPvRmT3_T4_T5_T6_T7_T9_mT8_P12ihipStream_tbDpT10_ENKUlT_T0_E_clISt17integral_constantIbLb1EES1C_EEDaS17_S18_EUlS17_E_NS1_11comp_targetILNS1_3genE8ELNS1_11target_archE1030ELNS1_3gpuE2ELNS1_3repE0EEENS1_30default_config_static_selectorELNS0_4arch9wavefront6targetE0EEEvT1_: ; @_ZN7rocprim17ROCPRIM_400000_NS6detail17trampoline_kernelINS0_14default_configENS1_25partition_config_selectorILNS1_17partition_subalgoE8ElNS0_10empty_typeEbEEZZNS1_14partition_implILS5_8ELb0ES3_jPlPS6_PKS6_NS0_5tupleIJS9_S6_EEENSD_IJSA_SA_EEENS0_18inequality_wrapperIZN2at6native12_GLOBAL__N_124unique_dim_cuda_templateItEESt5tupleIJNSH_6TensorESM_SM_EERKSM_lbbbEUlllE0_EEPmJS6_EEE10hipError_tPvRmT3_T4_T5_T6_T7_T9_mT8_P12ihipStream_tbDpT10_ENKUlT_T0_E_clISt17integral_constantIbLb1EES1C_EEDaS17_S18_EUlS17_E_NS1_11comp_targetILNS1_3genE8ELNS1_11target_archE1030ELNS1_3gpuE2ELNS1_3repE0EEENS1_30default_config_static_selectorELNS0_4arch9wavefront6targetE0EEEvT1_
; %bb.0:
	.section	.rodata,"a",@progbits
	.p2align	6, 0x0
	.amdhsa_kernel _ZN7rocprim17ROCPRIM_400000_NS6detail17trampoline_kernelINS0_14default_configENS1_25partition_config_selectorILNS1_17partition_subalgoE8ElNS0_10empty_typeEbEEZZNS1_14partition_implILS5_8ELb0ES3_jPlPS6_PKS6_NS0_5tupleIJS9_S6_EEENSD_IJSA_SA_EEENS0_18inequality_wrapperIZN2at6native12_GLOBAL__N_124unique_dim_cuda_templateItEESt5tupleIJNSH_6TensorESM_SM_EERKSM_lbbbEUlllE0_EEPmJS6_EEE10hipError_tPvRmT3_T4_T5_T6_T7_T9_mT8_P12ihipStream_tbDpT10_ENKUlT_T0_E_clISt17integral_constantIbLb1EES1C_EEDaS17_S18_EUlS17_E_NS1_11comp_targetILNS1_3genE8ELNS1_11target_archE1030ELNS1_3gpuE2ELNS1_3repE0EEENS1_30default_config_static_selectorELNS0_4arch9wavefront6targetE0EEEvT1_
		.amdhsa_group_segment_fixed_size 0
		.amdhsa_private_segment_fixed_size 0
		.amdhsa_kernarg_size 136
		.amdhsa_user_sgpr_count 15
		.amdhsa_user_sgpr_dispatch_ptr 0
		.amdhsa_user_sgpr_queue_ptr 0
		.amdhsa_user_sgpr_kernarg_segment_ptr 1
		.amdhsa_user_sgpr_dispatch_id 0
		.amdhsa_user_sgpr_private_segment_size 0
		.amdhsa_wavefront_size32 1
		.amdhsa_uses_dynamic_stack 0
		.amdhsa_enable_private_segment 0
		.amdhsa_system_sgpr_workgroup_id_x 1
		.amdhsa_system_sgpr_workgroup_id_y 0
		.amdhsa_system_sgpr_workgroup_id_z 0
		.amdhsa_system_sgpr_workgroup_info 0
		.amdhsa_system_vgpr_workitem_id 0
		.amdhsa_next_free_vgpr 1
		.amdhsa_next_free_sgpr 1
		.amdhsa_reserve_vcc 0
		.amdhsa_float_round_mode_32 0
		.amdhsa_float_round_mode_16_64 0
		.amdhsa_float_denorm_mode_32 3
		.amdhsa_float_denorm_mode_16_64 3
		.amdhsa_dx10_clamp 1
		.amdhsa_ieee_mode 1
		.amdhsa_fp16_overflow 0
		.amdhsa_workgroup_processor_mode 1
		.amdhsa_memory_ordered 1
		.amdhsa_forward_progress 0
		.amdhsa_shared_vgpr_count 0
		.amdhsa_exception_fp_ieee_invalid_op 0
		.amdhsa_exception_fp_denorm_src 0
		.amdhsa_exception_fp_ieee_div_zero 0
		.amdhsa_exception_fp_ieee_overflow 0
		.amdhsa_exception_fp_ieee_underflow 0
		.amdhsa_exception_fp_ieee_inexact 0
		.amdhsa_exception_int_div_zero 0
	.end_amdhsa_kernel
	.section	.text._ZN7rocprim17ROCPRIM_400000_NS6detail17trampoline_kernelINS0_14default_configENS1_25partition_config_selectorILNS1_17partition_subalgoE8ElNS0_10empty_typeEbEEZZNS1_14partition_implILS5_8ELb0ES3_jPlPS6_PKS6_NS0_5tupleIJS9_S6_EEENSD_IJSA_SA_EEENS0_18inequality_wrapperIZN2at6native12_GLOBAL__N_124unique_dim_cuda_templateItEESt5tupleIJNSH_6TensorESM_SM_EERKSM_lbbbEUlllE0_EEPmJS6_EEE10hipError_tPvRmT3_T4_T5_T6_T7_T9_mT8_P12ihipStream_tbDpT10_ENKUlT_T0_E_clISt17integral_constantIbLb1EES1C_EEDaS17_S18_EUlS17_E_NS1_11comp_targetILNS1_3genE8ELNS1_11target_archE1030ELNS1_3gpuE2ELNS1_3repE0EEENS1_30default_config_static_selectorELNS0_4arch9wavefront6targetE0EEEvT1_,"axG",@progbits,_ZN7rocprim17ROCPRIM_400000_NS6detail17trampoline_kernelINS0_14default_configENS1_25partition_config_selectorILNS1_17partition_subalgoE8ElNS0_10empty_typeEbEEZZNS1_14partition_implILS5_8ELb0ES3_jPlPS6_PKS6_NS0_5tupleIJS9_S6_EEENSD_IJSA_SA_EEENS0_18inequality_wrapperIZN2at6native12_GLOBAL__N_124unique_dim_cuda_templateItEESt5tupleIJNSH_6TensorESM_SM_EERKSM_lbbbEUlllE0_EEPmJS6_EEE10hipError_tPvRmT3_T4_T5_T6_T7_T9_mT8_P12ihipStream_tbDpT10_ENKUlT_T0_E_clISt17integral_constantIbLb1EES1C_EEDaS17_S18_EUlS17_E_NS1_11comp_targetILNS1_3genE8ELNS1_11target_archE1030ELNS1_3gpuE2ELNS1_3repE0EEENS1_30default_config_static_selectorELNS0_4arch9wavefront6targetE0EEEvT1_,comdat
.Lfunc_end1432:
	.size	_ZN7rocprim17ROCPRIM_400000_NS6detail17trampoline_kernelINS0_14default_configENS1_25partition_config_selectorILNS1_17partition_subalgoE8ElNS0_10empty_typeEbEEZZNS1_14partition_implILS5_8ELb0ES3_jPlPS6_PKS6_NS0_5tupleIJS9_S6_EEENSD_IJSA_SA_EEENS0_18inequality_wrapperIZN2at6native12_GLOBAL__N_124unique_dim_cuda_templateItEESt5tupleIJNSH_6TensorESM_SM_EERKSM_lbbbEUlllE0_EEPmJS6_EEE10hipError_tPvRmT3_T4_T5_T6_T7_T9_mT8_P12ihipStream_tbDpT10_ENKUlT_T0_E_clISt17integral_constantIbLb1EES1C_EEDaS17_S18_EUlS17_E_NS1_11comp_targetILNS1_3genE8ELNS1_11target_archE1030ELNS1_3gpuE2ELNS1_3repE0EEENS1_30default_config_static_selectorELNS0_4arch9wavefront6targetE0EEEvT1_, .Lfunc_end1432-_ZN7rocprim17ROCPRIM_400000_NS6detail17trampoline_kernelINS0_14default_configENS1_25partition_config_selectorILNS1_17partition_subalgoE8ElNS0_10empty_typeEbEEZZNS1_14partition_implILS5_8ELb0ES3_jPlPS6_PKS6_NS0_5tupleIJS9_S6_EEENSD_IJSA_SA_EEENS0_18inequality_wrapperIZN2at6native12_GLOBAL__N_124unique_dim_cuda_templateItEESt5tupleIJNSH_6TensorESM_SM_EERKSM_lbbbEUlllE0_EEPmJS6_EEE10hipError_tPvRmT3_T4_T5_T6_T7_T9_mT8_P12ihipStream_tbDpT10_ENKUlT_T0_E_clISt17integral_constantIbLb1EES1C_EEDaS17_S18_EUlS17_E_NS1_11comp_targetILNS1_3genE8ELNS1_11target_archE1030ELNS1_3gpuE2ELNS1_3repE0EEENS1_30default_config_static_selectorELNS0_4arch9wavefront6targetE0EEEvT1_
                                        ; -- End function
	.section	.AMDGPU.csdata,"",@progbits
; Kernel info:
; codeLenInByte = 0
; NumSgprs: 0
; NumVgprs: 0
; ScratchSize: 0
; MemoryBound: 0
; FloatMode: 240
; IeeeMode: 1
; LDSByteSize: 0 bytes/workgroup (compile time only)
; SGPRBlocks: 0
; VGPRBlocks: 0
; NumSGPRsForWavesPerEU: 1
; NumVGPRsForWavesPerEU: 1
; Occupancy: 16
; WaveLimiterHint : 0
; COMPUTE_PGM_RSRC2:SCRATCH_EN: 0
; COMPUTE_PGM_RSRC2:USER_SGPR: 15
; COMPUTE_PGM_RSRC2:TRAP_HANDLER: 0
; COMPUTE_PGM_RSRC2:TGID_X_EN: 1
; COMPUTE_PGM_RSRC2:TGID_Y_EN: 0
; COMPUTE_PGM_RSRC2:TGID_Z_EN: 0
; COMPUTE_PGM_RSRC2:TIDIG_COMP_CNT: 0
	.section	.text._ZN7rocprim17ROCPRIM_400000_NS6detail17trampoline_kernelINS0_14default_configENS1_25partition_config_selectorILNS1_17partition_subalgoE8ElNS0_10empty_typeEbEEZZNS1_14partition_implILS5_8ELb0ES3_jPlPS6_PKS6_NS0_5tupleIJS9_S6_EEENSD_IJSA_SA_EEENS0_18inequality_wrapperIZN2at6native12_GLOBAL__N_124unique_dim_cuda_templateItEESt5tupleIJNSH_6TensorESM_SM_EERKSM_lbbbEUlllE0_EEPmJS6_EEE10hipError_tPvRmT3_T4_T5_T6_T7_T9_mT8_P12ihipStream_tbDpT10_ENKUlT_T0_E_clISt17integral_constantIbLb1EES1B_IbLb0EEEEDaS17_S18_EUlS17_E_NS1_11comp_targetILNS1_3genE0ELNS1_11target_archE4294967295ELNS1_3gpuE0ELNS1_3repE0EEENS1_30default_config_static_selectorELNS0_4arch9wavefront6targetE0EEEvT1_,"axG",@progbits,_ZN7rocprim17ROCPRIM_400000_NS6detail17trampoline_kernelINS0_14default_configENS1_25partition_config_selectorILNS1_17partition_subalgoE8ElNS0_10empty_typeEbEEZZNS1_14partition_implILS5_8ELb0ES3_jPlPS6_PKS6_NS0_5tupleIJS9_S6_EEENSD_IJSA_SA_EEENS0_18inequality_wrapperIZN2at6native12_GLOBAL__N_124unique_dim_cuda_templateItEESt5tupleIJNSH_6TensorESM_SM_EERKSM_lbbbEUlllE0_EEPmJS6_EEE10hipError_tPvRmT3_T4_T5_T6_T7_T9_mT8_P12ihipStream_tbDpT10_ENKUlT_T0_E_clISt17integral_constantIbLb1EES1B_IbLb0EEEEDaS17_S18_EUlS17_E_NS1_11comp_targetILNS1_3genE0ELNS1_11target_archE4294967295ELNS1_3gpuE0ELNS1_3repE0EEENS1_30default_config_static_selectorELNS0_4arch9wavefront6targetE0EEEvT1_,comdat
	.globl	_ZN7rocprim17ROCPRIM_400000_NS6detail17trampoline_kernelINS0_14default_configENS1_25partition_config_selectorILNS1_17partition_subalgoE8ElNS0_10empty_typeEbEEZZNS1_14partition_implILS5_8ELb0ES3_jPlPS6_PKS6_NS0_5tupleIJS9_S6_EEENSD_IJSA_SA_EEENS0_18inequality_wrapperIZN2at6native12_GLOBAL__N_124unique_dim_cuda_templateItEESt5tupleIJNSH_6TensorESM_SM_EERKSM_lbbbEUlllE0_EEPmJS6_EEE10hipError_tPvRmT3_T4_T5_T6_T7_T9_mT8_P12ihipStream_tbDpT10_ENKUlT_T0_E_clISt17integral_constantIbLb1EES1B_IbLb0EEEEDaS17_S18_EUlS17_E_NS1_11comp_targetILNS1_3genE0ELNS1_11target_archE4294967295ELNS1_3gpuE0ELNS1_3repE0EEENS1_30default_config_static_selectorELNS0_4arch9wavefront6targetE0EEEvT1_ ; -- Begin function _ZN7rocprim17ROCPRIM_400000_NS6detail17trampoline_kernelINS0_14default_configENS1_25partition_config_selectorILNS1_17partition_subalgoE8ElNS0_10empty_typeEbEEZZNS1_14partition_implILS5_8ELb0ES3_jPlPS6_PKS6_NS0_5tupleIJS9_S6_EEENSD_IJSA_SA_EEENS0_18inequality_wrapperIZN2at6native12_GLOBAL__N_124unique_dim_cuda_templateItEESt5tupleIJNSH_6TensorESM_SM_EERKSM_lbbbEUlllE0_EEPmJS6_EEE10hipError_tPvRmT3_T4_T5_T6_T7_T9_mT8_P12ihipStream_tbDpT10_ENKUlT_T0_E_clISt17integral_constantIbLb1EES1B_IbLb0EEEEDaS17_S18_EUlS17_E_NS1_11comp_targetILNS1_3genE0ELNS1_11target_archE4294967295ELNS1_3gpuE0ELNS1_3repE0EEENS1_30default_config_static_selectorELNS0_4arch9wavefront6targetE0EEEvT1_
	.p2align	8
	.type	_ZN7rocprim17ROCPRIM_400000_NS6detail17trampoline_kernelINS0_14default_configENS1_25partition_config_selectorILNS1_17partition_subalgoE8ElNS0_10empty_typeEbEEZZNS1_14partition_implILS5_8ELb0ES3_jPlPS6_PKS6_NS0_5tupleIJS9_S6_EEENSD_IJSA_SA_EEENS0_18inequality_wrapperIZN2at6native12_GLOBAL__N_124unique_dim_cuda_templateItEESt5tupleIJNSH_6TensorESM_SM_EERKSM_lbbbEUlllE0_EEPmJS6_EEE10hipError_tPvRmT3_T4_T5_T6_T7_T9_mT8_P12ihipStream_tbDpT10_ENKUlT_T0_E_clISt17integral_constantIbLb1EES1B_IbLb0EEEEDaS17_S18_EUlS17_E_NS1_11comp_targetILNS1_3genE0ELNS1_11target_archE4294967295ELNS1_3gpuE0ELNS1_3repE0EEENS1_30default_config_static_selectorELNS0_4arch9wavefront6targetE0EEEvT1_,@function
_ZN7rocprim17ROCPRIM_400000_NS6detail17trampoline_kernelINS0_14default_configENS1_25partition_config_selectorILNS1_17partition_subalgoE8ElNS0_10empty_typeEbEEZZNS1_14partition_implILS5_8ELb0ES3_jPlPS6_PKS6_NS0_5tupleIJS9_S6_EEENSD_IJSA_SA_EEENS0_18inequality_wrapperIZN2at6native12_GLOBAL__N_124unique_dim_cuda_templateItEESt5tupleIJNSH_6TensorESM_SM_EERKSM_lbbbEUlllE0_EEPmJS6_EEE10hipError_tPvRmT3_T4_T5_T6_T7_T9_mT8_P12ihipStream_tbDpT10_ENKUlT_T0_E_clISt17integral_constantIbLb1EES1B_IbLb0EEEEDaS17_S18_EUlS17_E_NS1_11comp_targetILNS1_3genE0ELNS1_11target_archE4294967295ELNS1_3gpuE0ELNS1_3repE0EEENS1_30default_config_static_selectorELNS0_4arch9wavefront6targetE0EEEvT1_: ; @_ZN7rocprim17ROCPRIM_400000_NS6detail17trampoline_kernelINS0_14default_configENS1_25partition_config_selectorILNS1_17partition_subalgoE8ElNS0_10empty_typeEbEEZZNS1_14partition_implILS5_8ELb0ES3_jPlPS6_PKS6_NS0_5tupleIJS9_S6_EEENSD_IJSA_SA_EEENS0_18inequality_wrapperIZN2at6native12_GLOBAL__N_124unique_dim_cuda_templateItEESt5tupleIJNSH_6TensorESM_SM_EERKSM_lbbbEUlllE0_EEPmJS6_EEE10hipError_tPvRmT3_T4_T5_T6_T7_T9_mT8_P12ihipStream_tbDpT10_ENKUlT_T0_E_clISt17integral_constantIbLb1EES1B_IbLb0EEEEDaS17_S18_EUlS17_E_NS1_11comp_targetILNS1_3genE0ELNS1_11target_archE4294967295ELNS1_3gpuE0ELNS1_3repE0EEENS1_30default_config_static_selectorELNS0_4arch9wavefront6targetE0EEEvT1_
; %bb.0:
	.section	.rodata,"a",@progbits
	.p2align	6, 0x0
	.amdhsa_kernel _ZN7rocprim17ROCPRIM_400000_NS6detail17trampoline_kernelINS0_14default_configENS1_25partition_config_selectorILNS1_17partition_subalgoE8ElNS0_10empty_typeEbEEZZNS1_14partition_implILS5_8ELb0ES3_jPlPS6_PKS6_NS0_5tupleIJS9_S6_EEENSD_IJSA_SA_EEENS0_18inequality_wrapperIZN2at6native12_GLOBAL__N_124unique_dim_cuda_templateItEESt5tupleIJNSH_6TensorESM_SM_EERKSM_lbbbEUlllE0_EEPmJS6_EEE10hipError_tPvRmT3_T4_T5_T6_T7_T9_mT8_P12ihipStream_tbDpT10_ENKUlT_T0_E_clISt17integral_constantIbLb1EES1B_IbLb0EEEEDaS17_S18_EUlS17_E_NS1_11comp_targetILNS1_3genE0ELNS1_11target_archE4294967295ELNS1_3gpuE0ELNS1_3repE0EEENS1_30default_config_static_selectorELNS0_4arch9wavefront6targetE0EEEvT1_
		.amdhsa_group_segment_fixed_size 0
		.amdhsa_private_segment_fixed_size 0
		.amdhsa_kernarg_size 120
		.amdhsa_user_sgpr_count 15
		.amdhsa_user_sgpr_dispatch_ptr 0
		.amdhsa_user_sgpr_queue_ptr 0
		.amdhsa_user_sgpr_kernarg_segment_ptr 1
		.amdhsa_user_sgpr_dispatch_id 0
		.amdhsa_user_sgpr_private_segment_size 0
		.amdhsa_wavefront_size32 1
		.amdhsa_uses_dynamic_stack 0
		.amdhsa_enable_private_segment 0
		.amdhsa_system_sgpr_workgroup_id_x 1
		.amdhsa_system_sgpr_workgroup_id_y 0
		.amdhsa_system_sgpr_workgroup_id_z 0
		.amdhsa_system_sgpr_workgroup_info 0
		.amdhsa_system_vgpr_workitem_id 0
		.amdhsa_next_free_vgpr 1
		.amdhsa_next_free_sgpr 1
		.amdhsa_reserve_vcc 0
		.amdhsa_float_round_mode_32 0
		.amdhsa_float_round_mode_16_64 0
		.amdhsa_float_denorm_mode_32 3
		.amdhsa_float_denorm_mode_16_64 3
		.amdhsa_dx10_clamp 1
		.amdhsa_ieee_mode 1
		.amdhsa_fp16_overflow 0
		.amdhsa_workgroup_processor_mode 1
		.amdhsa_memory_ordered 1
		.amdhsa_forward_progress 0
		.amdhsa_shared_vgpr_count 0
		.amdhsa_exception_fp_ieee_invalid_op 0
		.amdhsa_exception_fp_denorm_src 0
		.amdhsa_exception_fp_ieee_div_zero 0
		.amdhsa_exception_fp_ieee_overflow 0
		.amdhsa_exception_fp_ieee_underflow 0
		.amdhsa_exception_fp_ieee_inexact 0
		.amdhsa_exception_int_div_zero 0
	.end_amdhsa_kernel
	.section	.text._ZN7rocprim17ROCPRIM_400000_NS6detail17trampoline_kernelINS0_14default_configENS1_25partition_config_selectorILNS1_17partition_subalgoE8ElNS0_10empty_typeEbEEZZNS1_14partition_implILS5_8ELb0ES3_jPlPS6_PKS6_NS0_5tupleIJS9_S6_EEENSD_IJSA_SA_EEENS0_18inequality_wrapperIZN2at6native12_GLOBAL__N_124unique_dim_cuda_templateItEESt5tupleIJNSH_6TensorESM_SM_EERKSM_lbbbEUlllE0_EEPmJS6_EEE10hipError_tPvRmT3_T4_T5_T6_T7_T9_mT8_P12ihipStream_tbDpT10_ENKUlT_T0_E_clISt17integral_constantIbLb1EES1B_IbLb0EEEEDaS17_S18_EUlS17_E_NS1_11comp_targetILNS1_3genE0ELNS1_11target_archE4294967295ELNS1_3gpuE0ELNS1_3repE0EEENS1_30default_config_static_selectorELNS0_4arch9wavefront6targetE0EEEvT1_,"axG",@progbits,_ZN7rocprim17ROCPRIM_400000_NS6detail17trampoline_kernelINS0_14default_configENS1_25partition_config_selectorILNS1_17partition_subalgoE8ElNS0_10empty_typeEbEEZZNS1_14partition_implILS5_8ELb0ES3_jPlPS6_PKS6_NS0_5tupleIJS9_S6_EEENSD_IJSA_SA_EEENS0_18inequality_wrapperIZN2at6native12_GLOBAL__N_124unique_dim_cuda_templateItEESt5tupleIJNSH_6TensorESM_SM_EERKSM_lbbbEUlllE0_EEPmJS6_EEE10hipError_tPvRmT3_T4_T5_T6_T7_T9_mT8_P12ihipStream_tbDpT10_ENKUlT_T0_E_clISt17integral_constantIbLb1EES1B_IbLb0EEEEDaS17_S18_EUlS17_E_NS1_11comp_targetILNS1_3genE0ELNS1_11target_archE4294967295ELNS1_3gpuE0ELNS1_3repE0EEENS1_30default_config_static_selectorELNS0_4arch9wavefront6targetE0EEEvT1_,comdat
.Lfunc_end1433:
	.size	_ZN7rocprim17ROCPRIM_400000_NS6detail17trampoline_kernelINS0_14default_configENS1_25partition_config_selectorILNS1_17partition_subalgoE8ElNS0_10empty_typeEbEEZZNS1_14partition_implILS5_8ELb0ES3_jPlPS6_PKS6_NS0_5tupleIJS9_S6_EEENSD_IJSA_SA_EEENS0_18inequality_wrapperIZN2at6native12_GLOBAL__N_124unique_dim_cuda_templateItEESt5tupleIJNSH_6TensorESM_SM_EERKSM_lbbbEUlllE0_EEPmJS6_EEE10hipError_tPvRmT3_T4_T5_T6_T7_T9_mT8_P12ihipStream_tbDpT10_ENKUlT_T0_E_clISt17integral_constantIbLb1EES1B_IbLb0EEEEDaS17_S18_EUlS17_E_NS1_11comp_targetILNS1_3genE0ELNS1_11target_archE4294967295ELNS1_3gpuE0ELNS1_3repE0EEENS1_30default_config_static_selectorELNS0_4arch9wavefront6targetE0EEEvT1_, .Lfunc_end1433-_ZN7rocprim17ROCPRIM_400000_NS6detail17trampoline_kernelINS0_14default_configENS1_25partition_config_selectorILNS1_17partition_subalgoE8ElNS0_10empty_typeEbEEZZNS1_14partition_implILS5_8ELb0ES3_jPlPS6_PKS6_NS0_5tupleIJS9_S6_EEENSD_IJSA_SA_EEENS0_18inequality_wrapperIZN2at6native12_GLOBAL__N_124unique_dim_cuda_templateItEESt5tupleIJNSH_6TensorESM_SM_EERKSM_lbbbEUlllE0_EEPmJS6_EEE10hipError_tPvRmT3_T4_T5_T6_T7_T9_mT8_P12ihipStream_tbDpT10_ENKUlT_T0_E_clISt17integral_constantIbLb1EES1B_IbLb0EEEEDaS17_S18_EUlS17_E_NS1_11comp_targetILNS1_3genE0ELNS1_11target_archE4294967295ELNS1_3gpuE0ELNS1_3repE0EEENS1_30default_config_static_selectorELNS0_4arch9wavefront6targetE0EEEvT1_
                                        ; -- End function
	.section	.AMDGPU.csdata,"",@progbits
; Kernel info:
; codeLenInByte = 0
; NumSgprs: 0
; NumVgprs: 0
; ScratchSize: 0
; MemoryBound: 0
; FloatMode: 240
; IeeeMode: 1
; LDSByteSize: 0 bytes/workgroup (compile time only)
; SGPRBlocks: 0
; VGPRBlocks: 0
; NumSGPRsForWavesPerEU: 1
; NumVGPRsForWavesPerEU: 1
; Occupancy: 16
; WaveLimiterHint : 0
; COMPUTE_PGM_RSRC2:SCRATCH_EN: 0
; COMPUTE_PGM_RSRC2:USER_SGPR: 15
; COMPUTE_PGM_RSRC2:TRAP_HANDLER: 0
; COMPUTE_PGM_RSRC2:TGID_X_EN: 1
; COMPUTE_PGM_RSRC2:TGID_Y_EN: 0
; COMPUTE_PGM_RSRC2:TGID_Z_EN: 0
; COMPUTE_PGM_RSRC2:TIDIG_COMP_CNT: 0
	.section	.text._ZN7rocprim17ROCPRIM_400000_NS6detail17trampoline_kernelINS0_14default_configENS1_25partition_config_selectorILNS1_17partition_subalgoE8ElNS0_10empty_typeEbEEZZNS1_14partition_implILS5_8ELb0ES3_jPlPS6_PKS6_NS0_5tupleIJS9_S6_EEENSD_IJSA_SA_EEENS0_18inequality_wrapperIZN2at6native12_GLOBAL__N_124unique_dim_cuda_templateItEESt5tupleIJNSH_6TensorESM_SM_EERKSM_lbbbEUlllE0_EEPmJS6_EEE10hipError_tPvRmT3_T4_T5_T6_T7_T9_mT8_P12ihipStream_tbDpT10_ENKUlT_T0_E_clISt17integral_constantIbLb1EES1B_IbLb0EEEEDaS17_S18_EUlS17_E_NS1_11comp_targetILNS1_3genE5ELNS1_11target_archE942ELNS1_3gpuE9ELNS1_3repE0EEENS1_30default_config_static_selectorELNS0_4arch9wavefront6targetE0EEEvT1_,"axG",@progbits,_ZN7rocprim17ROCPRIM_400000_NS6detail17trampoline_kernelINS0_14default_configENS1_25partition_config_selectorILNS1_17partition_subalgoE8ElNS0_10empty_typeEbEEZZNS1_14partition_implILS5_8ELb0ES3_jPlPS6_PKS6_NS0_5tupleIJS9_S6_EEENSD_IJSA_SA_EEENS0_18inequality_wrapperIZN2at6native12_GLOBAL__N_124unique_dim_cuda_templateItEESt5tupleIJNSH_6TensorESM_SM_EERKSM_lbbbEUlllE0_EEPmJS6_EEE10hipError_tPvRmT3_T4_T5_T6_T7_T9_mT8_P12ihipStream_tbDpT10_ENKUlT_T0_E_clISt17integral_constantIbLb1EES1B_IbLb0EEEEDaS17_S18_EUlS17_E_NS1_11comp_targetILNS1_3genE5ELNS1_11target_archE942ELNS1_3gpuE9ELNS1_3repE0EEENS1_30default_config_static_selectorELNS0_4arch9wavefront6targetE0EEEvT1_,comdat
	.globl	_ZN7rocprim17ROCPRIM_400000_NS6detail17trampoline_kernelINS0_14default_configENS1_25partition_config_selectorILNS1_17partition_subalgoE8ElNS0_10empty_typeEbEEZZNS1_14partition_implILS5_8ELb0ES3_jPlPS6_PKS6_NS0_5tupleIJS9_S6_EEENSD_IJSA_SA_EEENS0_18inequality_wrapperIZN2at6native12_GLOBAL__N_124unique_dim_cuda_templateItEESt5tupleIJNSH_6TensorESM_SM_EERKSM_lbbbEUlllE0_EEPmJS6_EEE10hipError_tPvRmT3_T4_T5_T6_T7_T9_mT8_P12ihipStream_tbDpT10_ENKUlT_T0_E_clISt17integral_constantIbLb1EES1B_IbLb0EEEEDaS17_S18_EUlS17_E_NS1_11comp_targetILNS1_3genE5ELNS1_11target_archE942ELNS1_3gpuE9ELNS1_3repE0EEENS1_30default_config_static_selectorELNS0_4arch9wavefront6targetE0EEEvT1_ ; -- Begin function _ZN7rocprim17ROCPRIM_400000_NS6detail17trampoline_kernelINS0_14default_configENS1_25partition_config_selectorILNS1_17partition_subalgoE8ElNS0_10empty_typeEbEEZZNS1_14partition_implILS5_8ELb0ES3_jPlPS6_PKS6_NS0_5tupleIJS9_S6_EEENSD_IJSA_SA_EEENS0_18inequality_wrapperIZN2at6native12_GLOBAL__N_124unique_dim_cuda_templateItEESt5tupleIJNSH_6TensorESM_SM_EERKSM_lbbbEUlllE0_EEPmJS6_EEE10hipError_tPvRmT3_T4_T5_T6_T7_T9_mT8_P12ihipStream_tbDpT10_ENKUlT_T0_E_clISt17integral_constantIbLb1EES1B_IbLb0EEEEDaS17_S18_EUlS17_E_NS1_11comp_targetILNS1_3genE5ELNS1_11target_archE942ELNS1_3gpuE9ELNS1_3repE0EEENS1_30default_config_static_selectorELNS0_4arch9wavefront6targetE0EEEvT1_
	.p2align	8
	.type	_ZN7rocprim17ROCPRIM_400000_NS6detail17trampoline_kernelINS0_14default_configENS1_25partition_config_selectorILNS1_17partition_subalgoE8ElNS0_10empty_typeEbEEZZNS1_14partition_implILS5_8ELb0ES3_jPlPS6_PKS6_NS0_5tupleIJS9_S6_EEENSD_IJSA_SA_EEENS0_18inequality_wrapperIZN2at6native12_GLOBAL__N_124unique_dim_cuda_templateItEESt5tupleIJNSH_6TensorESM_SM_EERKSM_lbbbEUlllE0_EEPmJS6_EEE10hipError_tPvRmT3_T4_T5_T6_T7_T9_mT8_P12ihipStream_tbDpT10_ENKUlT_T0_E_clISt17integral_constantIbLb1EES1B_IbLb0EEEEDaS17_S18_EUlS17_E_NS1_11comp_targetILNS1_3genE5ELNS1_11target_archE942ELNS1_3gpuE9ELNS1_3repE0EEENS1_30default_config_static_selectorELNS0_4arch9wavefront6targetE0EEEvT1_,@function
_ZN7rocprim17ROCPRIM_400000_NS6detail17trampoline_kernelINS0_14default_configENS1_25partition_config_selectorILNS1_17partition_subalgoE8ElNS0_10empty_typeEbEEZZNS1_14partition_implILS5_8ELb0ES3_jPlPS6_PKS6_NS0_5tupleIJS9_S6_EEENSD_IJSA_SA_EEENS0_18inequality_wrapperIZN2at6native12_GLOBAL__N_124unique_dim_cuda_templateItEESt5tupleIJNSH_6TensorESM_SM_EERKSM_lbbbEUlllE0_EEPmJS6_EEE10hipError_tPvRmT3_T4_T5_T6_T7_T9_mT8_P12ihipStream_tbDpT10_ENKUlT_T0_E_clISt17integral_constantIbLb1EES1B_IbLb0EEEEDaS17_S18_EUlS17_E_NS1_11comp_targetILNS1_3genE5ELNS1_11target_archE942ELNS1_3gpuE9ELNS1_3repE0EEENS1_30default_config_static_selectorELNS0_4arch9wavefront6targetE0EEEvT1_: ; @_ZN7rocprim17ROCPRIM_400000_NS6detail17trampoline_kernelINS0_14default_configENS1_25partition_config_selectorILNS1_17partition_subalgoE8ElNS0_10empty_typeEbEEZZNS1_14partition_implILS5_8ELb0ES3_jPlPS6_PKS6_NS0_5tupleIJS9_S6_EEENSD_IJSA_SA_EEENS0_18inequality_wrapperIZN2at6native12_GLOBAL__N_124unique_dim_cuda_templateItEESt5tupleIJNSH_6TensorESM_SM_EERKSM_lbbbEUlllE0_EEPmJS6_EEE10hipError_tPvRmT3_T4_T5_T6_T7_T9_mT8_P12ihipStream_tbDpT10_ENKUlT_T0_E_clISt17integral_constantIbLb1EES1B_IbLb0EEEEDaS17_S18_EUlS17_E_NS1_11comp_targetILNS1_3genE5ELNS1_11target_archE942ELNS1_3gpuE9ELNS1_3repE0EEENS1_30default_config_static_selectorELNS0_4arch9wavefront6targetE0EEEvT1_
; %bb.0:
	.section	.rodata,"a",@progbits
	.p2align	6, 0x0
	.amdhsa_kernel _ZN7rocprim17ROCPRIM_400000_NS6detail17trampoline_kernelINS0_14default_configENS1_25partition_config_selectorILNS1_17partition_subalgoE8ElNS0_10empty_typeEbEEZZNS1_14partition_implILS5_8ELb0ES3_jPlPS6_PKS6_NS0_5tupleIJS9_S6_EEENSD_IJSA_SA_EEENS0_18inequality_wrapperIZN2at6native12_GLOBAL__N_124unique_dim_cuda_templateItEESt5tupleIJNSH_6TensorESM_SM_EERKSM_lbbbEUlllE0_EEPmJS6_EEE10hipError_tPvRmT3_T4_T5_T6_T7_T9_mT8_P12ihipStream_tbDpT10_ENKUlT_T0_E_clISt17integral_constantIbLb1EES1B_IbLb0EEEEDaS17_S18_EUlS17_E_NS1_11comp_targetILNS1_3genE5ELNS1_11target_archE942ELNS1_3gpuE9ELNS1_3repE0EEENS1_30default_config_static_selectorELNS0_4arch9wavefront6targetE0EEEvT1_
		.amdhsa_group_segment_fixed_size 0
		.amdhsa_private_segment_fixed_size 0
		.amdhsa_kernarg_size 120
		.amdhsa_user_sgpr_count 15
		.amdhsa_user_sgpr_dispatch_ptr 0
		.amdhsa_user_sgpr_queue_ptr 0
		.amdhsa_user_sgpr_kernarg_segment_ptr 1
		.amdhsa_user_sgpr_dispatch_id 0
		.amdhsa_user_sgpr_private_segment_size 0
		.amdhsa_wavefront_size32 1
		.amdhsa_uses_dynamic_stack 0
		.amdhsa_enable_private_segment 0
		.amdhsa_system_sgpr_workgroup_id_x 1
		.amdhsa_system_sgpr_workgroup_id_y 0
		.amdhsa_system_sgpr_workgroup_id_z 0
		.amdhsa_system_sgpr_workgroup_info 0
		.amdhsa_system_vgpr_workitem_id 0
		.amdhsa_next_free_vgpr 1
		.amdhsa_next_free_sgpr 1
		.amdhsa_reserve_vcc 0
		.amdhsa_float_round_mode_32 0
		.amdhsa_float_round_mode_16_64 0
		.amdhsa_float_denorm_mode_32 3
		.amdhsa_float_denorm_mode_16_64 3
		.amdhsa_dx10_clamp 1
		.amdhsa_ieee_mode 1
		.amdhsa_fp16_overflow 0
		.amdhsa_workgroup_processor_mode 1
		.amdhsa_memory_ordered 1
		.amdhsa_forward_progress 0
		.amdhsa_shared_vgpr_count 0
		.amdhsa_exception_fp_ieee_invalid_op 0
		.amdhsa_exception_fp_denorm_src 0
		.amdhsa_exception_fp_ieee_div_zero 0
		.amdhsa_exception_fp_ieee_overflow 0
		.amdhsa_exception_fp_ieee_underflow 0
		.amdhsa_exception_fp_ieee_inexact 0
		.amdhsa_exception_int_div_zero 0
	.end_amdhsa_kernel
	.section	.text._ZN7rocprim17ROCPRIM_400000_NS6detail17trampoline_kernelINS0_14default_configENS1_25partition_config_selectorILNS1_17partition_subalgoE8ElNS0_10empty_typeEbEEZZNS1_14partition_implILS5_8ELb0ES3_jPlPS6_PKS6_NS0_5tupleIJS9_S6_EEENSD_IJSA_SA_EEENS0_18inequality_wrapperIZN2at6native12_GLOBAL__N_124unique_dim_cuda_templateItEESt5tupleIJNSH_6TensorESM_SM_EERKSM_lbbbEUlllE0_EEPmJS6_EEE10hipError_tPvRmT3_T4_T5_T6_T7_T9_mT8_P12ihipStream_tbDpT10_ENKUlT_T0_E_clISt17integral_constantIbLb1EES1B_IbLb0EEEEDaS17_S18_EUlS17_E_NS1_11comp_targetILNS1_3genE5ELNS1_11target_archE942ELNS1_3gpuE9ELNS1_3repE0EEENS1_30default_config_static_selectorELNS0_4arch9wavefront6targetE0EEEvT1_,"axG",@progbits,_ZN7rocprim17ROCPRIM_400000_NS6detail17trampoline_kernelINS0_14default_configENS1_25partition_config_selectorILNS1_17partition_subalgoE8ElNS0_10empty_typeEbEEZZNS1_14partition_implILS5_8ELb0ES3_jPlPS6_PKS6_NS0_5tupleIJS9_S6_EEENSD_IJSA_SA_EEENS0_18inequality_wrapperIZN2at6native12_GLOBAL__N_124unique_dim_cuda_templateItEESt5tupleIJNSH_6TensorESM_SM_EERKSM_lbbbEUlllE0_EEPmJS6_EEE10hipError_tPvRmT3_T4_T5_T6_T7_T9_mT8_P12ihipStream_tbDpT10_ENKUlT_T0_E_clISt17integral_constantIbLb1EES1B_IbLb0EEEEDaS17_S18_EUlS17_E_NS1_11comp_targetILNS1_3genE5ELNS1_11target_archE942ELNS1_3gpuE9ELNS1_3repE0EEENS1_30default_config_static_selectorELNS0_4arch9wavefront6targetE0EEEvT1_,comdat
.Lfunc_end1434:
	.size	_ZN7rocprim17ROCPRIM_400000_NS6detail17trampoline_kernelINS0_14default_configENS1_25partition_config_selectorILNS1_17partition_subalgoE8ElNS0_10empty_typeEbEEZZNS1_14partition_implILS5_8ELb0ES3_jPlPS6_PKS6_NS0_5tupleIJS9_S6_EEENSD_IJSA_SA_EEENS0_18inequality_wrapperIZN2at6native12_GLOBAL__N_124unique_dim_cuda_templateItEESt5tupleIJNSH_6TensorESM_SM_EERKSM_lbbbEUlllE0_EEPmJS6_EEE10hipError_tPvRmT3_T4_T5_T6_T7_T9_mT8_P12ihipStream_tbDpT10_ENKUlT_T0_E_clISt17integral_constantIbLb1EES1B_IbLb0EEEEDaS17_S18_EUlS17_E_NS1_11comp_targetILNS1_3genE5ELNS1_11target_archE942ELNS1_3gpuE9ELNS1_3repE0EEENS1_30default_config_static_selectorELNS0_4arch9wavefront6targetE0EEEvT1_, .Lfunc_end1434-_ZN7rocprim17ROCPRIM_400000_NS6detail17trampoline_kernelINS0_14default_configENS1_25partition_config_selectorILNS1_17partition_subalgoE8ElNS0_10empty_typeEbEEZZNS1_14partition_implILS5_8ELb0ES3_jPlPS6_PKS6_NS0_5tupleIJS9_S6_EEENSD_IJSA_SA_EEENS0_18inequality_wrapperIZN2at6native12_GLOBAL__N_124unique_dim_cuda_templateItEESt5tupleIJNSH_6TensorESM_SM_EERKSM_lbbbEUlllE0_EEPmJS6_EEE10hipError_tPvRmT3_T4_T5_T6_T7_T9_mT8_P12ihipStream_tbDpT10_ENKUlT_T0_E_clISt17integral_constantIbLb1EES1B_IbLb0EEEEDaS17_S18_EUlS17_E_NS1_11comp_targetILNS1_3genE5ELNS1_11target_archE942ELNS1_3gpuE9ELNS1_3repE0EEENS1_30default_config_static_selectorELNS0_4arch9wavefront6targetE0EEEvT1_
                                        ; -- End function
	.section	.AMDGPU.csdata,"",@progbits
; Kernel info:
; codeLenInByte = 0
; NumSgprs: 0
; NumVgprs: 0
; ScratchSize: 0
; MemoryBound: 0
; FloatMode: 240
; IeeeMode: 1
; LDSByteSize: 0 bytes/workgroup (compile time only)
; SGPRBlocks: 0
; VGPRBlocks: 0
; NumSGPRsForWavesPerEU: 1
; NumVGPRsForWavesPerEU: 1
; Occupancy: 16
; WaveLimiterHint : 0
; COMPUTE_PGM_RSRC2:SCRATCH_EN: 0
; COMPUTE_PGM_RSRC2:USER_SGPR: 15
; COMPUTE_PGM_RSRC2:TRAP_HANDLER: 0
; COMPUTE_PGM_RSRC2:TGID_X_EN: 1
; COMPUTE_PGM_RSRC2:TGID_Y_EN: 0
; COMPUTE_PGM_RSRC2:TGID_Z_EN: 0
; COMPUTE_PGM_RSRC2:TIDIG_COMP_CNT: 0
	.section	.text._ZN7rocprim17ROCPRIM_400000_NS6detail17trampoline_kernelINS0_14default_configENS1_25partition_config_selectorILNS1_17partition_subalgoE8ElNS0_10empty_typeEbEEZZNS1_14partition_implILS5_8ELb0ES3_jPlPS6_PKS6_NS0_5tupleIJS9_S6_EEENSD_IJSA_SA_EEENS0_18inequality_wrapperIZN2at6native12_GLOBAL__N_124unique_dim_cuda_templateItEESt5tupleIJNSH_6TensorESM_SM_EERKSM_lbbbEUlllE0_EEPmJS6_EEE10hipError_tPvRmT3_T4_T5_T6_T7_T9_mT8_P12ihipStream_tbDpT10_ENKUlT_T0_E_clISt17integral_constantIbLb1EES1B_IbLb0EEEEDaS17_S18_EUlS17_E_NS1_11comp_targetILNS1_3genE4ELNS1_11target_archE910ELNS1_3gpuE8ELNS1_3repE0EEENS1_30default_config_static_selectorELNS0_4arch9wavefront6targetE0EEEvT1_,"axG",@progbits,_ZN7rocprim17ROCPRIM_400000_NS6detail17trampoline_kernelINS0_14default_configENS1_25partition_config_selectorILNS1_17partition_subalgoE8ElNS0_10empty_typeEbEEZZNS1_14partition_implILS5_8ELb0ES3_jPlPS6_PKS6_NS0_5tupleIJS9_S6_EEENSD_IJSA_SA_EEENS0_18inequality_wrapperIZN2at6native12_GLOBAL__N_124unique_dim_cuda_templateItEESt5tupleIJNSH_6TensorESM_SM_EERKSM_lbbbEUlllE0_EEPmJS6_EEE10hipError_tPvRmT3_T4_T5_T6_T7_T9_mT8_P12ihipStream_tbDpT10_ENKUlT_T0_E_clISt17integral_constantIbLb1EES1B_IbLb0EEEEDaS17_S18_EUlS17_E_NS1_11comp_targetILNS1_3genE4ELNS1_11target_archE910ELNS1_3gpuE8ELNS1_3repE0EEENS1_30default_config_static_selectorELNS0_4arch9wavefront6targetE0EEEvT1_,comdat
	.globl	_ZN7rocprim17ROCPRIM_400000_NS6detail17trampoline_kernelINS0_14default_configENS1_25partition_config_selectorILNS1_17partition_subalgoE8ElNS0_10empty_typeEbEEZZNS1_14partition_implILS5_8ELb0ES3_jPlPS6_PKS6_NS0_5tupleIJS9_S6_EEENSD_IJSA_SA_EEENS0_18inequality_wrapperIZN2at6native12_GLOBAL__N_124unique_dim_cuda_templateItEESt5tupleIJNSH_6TensorESM_SM_EERKSM_lbbbEUlllE0_EEPmJS6_EEE10hipError_tPvRmT3_T4_T5_T6_T7_T9_mT8_P12ihipStream_tbDpT10_ENKUlT_T0_E_clISt17integral_constantIbLb1EES1B_IbLb0EEEEDaS17_S18_EUlS17_E_NS1_11comp_targetILNS1_3genE4ELNS1_11target_archE910ELNS1_3gpuE8ELNS1_3repE0EEENS1_30default_config_static_selectorELNS0_4arch9wavefront6targetE0EEEvT1_ ; -- Begin function _ZN7rocprim17ROCPRIM_400000_NS6detail17trampoline_kernelINS0_14default_configENS1_25partition_config_selectorILNS1_17partition_subalgoE8ElNS0_10empty_typeEbEEZZNS1_14partition_implILS5_8ELb0ES3_jPlPS6_PKS6_NS0_5tupleIJS9_S6_EEENSD_IJSA_SA_EEENS0_18inequality_wrapperIZN2at6native12_GLOBAL__N_124unique_dim_cuda_templateItEESt5tupleIJNSH_6TensorESM_SM_EERKSM_lbbbEUlllE0_EEPmJS6_EEE10hipError_tPvRmT3_T4_T5_T6_T7_T9_mT8_P12ihipStream_tbDpT10_ENKUlT_T0_E_clISt17integral_constantIbLb1EES1B_IbLb0EEEEDaS17_S18_EUlS17_E_NS1_11comp_targetILNS1_3genE4ELNS1_11target_archE910ELNS1_3gpuE8ELNS1_3repE0EEENS1_30default_config_static_selectorELNS0_4arch9wavefront6targetE0EEEvT1_
	.p2align	8
	.type	_ZN7rocprim17ROCPRIM_400000_NS6detail17trampoline_kernelINS0_14default_configENS1_25partition_config_selectorILNS1_17partition_subalgoE8ElNS0_10empty_typeEbEEZZNS1_14partition_implILS5_8ELb0ES3_jPlPS6_PKS6_NS0_5tupleIJS9_S6_EEENSD_IJSA_SA_EEENS0_18inequality_wrapperIZN2at6native12_GLOBAL__N_124unique_dim_cuda_templateItEESt5tupleIJNSH_6TensorESM_SM_EERKSM_lbbbEUlllE0_EEPmJS6_EEE10hipError_tPvRmT3_T4_T5_T6_T7_T9_mT8_P12ihipStream_tbDpT10_ENKUlT_T0_E_clISt17integral_constantIbLb1EES1B_IbLb0EEEEDaS17_S18_EUlS17_E_NS1_11comp_targetILNS1_3genE4ELNS1_11target_archE910ELNS1_3gpuE8ELNS1_3repE0EEENS1_30default_config_static_selectorELNS0_4arch9wavefront6targetE0EEEvT1_,@function
_ZN7rocprim17ROCPRIM_400000_NS6detail17trampoline_kernelINS0_14default_configENS1_25partition_config_selectorILNS1_17partition_subalgoE8ElNS0_10empty_typeEbEEZZNS1_14partition_implILS5_8ELb0ES3_jPlPS6_PKS6_NS0_5tupleIJS9_S6_EEENSD_IJSA_SA_EEENS0_18inequality_wrapperIZN2at6native12_GLOBAL__N_124unique_dim_cuda_templateItEESt5tupleIJNSH_6TensorESM_SM_EERKSM_lbbbEUlllE0_EEPmJS6_EEE10hipError_tPvRmT3_T4_T5_T6_T7_T9_mT8_P12ihipStream_tbDpT10_ENKUlT_T0_E_clISt17integral_constantIbLb1EES1B_IbLb0EEEEDaS17_S18_EUlS17_E_NS1_11comp_targetILNS1_3genE4ELNS1_11target_archE910ELNS1_3gpuE8ELNS1_3repE0EEENS1_30default_config_static_selectorELNS0_4arch9wavefront6targetE0EEEvT1_: ; @_ZN7rocprim17ROCPRIM_400000_NS6detail17trampoline_kernelINS0_14default_configENS1_25partition_config_selectorILNS1_17partition_subalgoE8ElNS0_10empty_typeEbEEZZNS1_14partition_implILS5_8ELb0ES3_jPlPS6_PKS6_NS0_5tupleIJS9_S6_EEENSD_IJSA_SA_EEENS0_18inequality_wrapperIZN2at6native12_GLOBAL__N_124unique_dim_cuda_templateItEESt5tupleIJNSH_6TensorESM_SM_EERKSM_lbbbEUlllE0_EEPmJS6_EEE10hipError_tPvRmT3_T4_T5_T6_T7_T9_mT8_P12ihipStream_tbDpT10_ENKUlT_T0_E_clISt17integral_constantIbLb1EES1B_IbLb0EEEEDaS17_S18_EUlS17_E_NS1_11comp_targetILNS1_3genE4ELNS1_11target_archE910ELNS1_3gpuE8ELNS1_3repE0EEENS1_30default_config_static_selectorELNS0_4arch9wavefront6targetE0EEEvT1_
; %bb.0:
	.section	.rodata,"a",@progbits
	.p2align	6, 0x0
	.amdhsa_kernel _ZN7rocprim17ROCPRIM_400000_NS6detail17trampoline_kernelINS0_14default_configENS1_25partition_config_selectorILNS1_17partition_subalgoE8ElNS0_10empty_typeEbEEZZNS1_14partition_implILS5_8ELb0ES3_jPlPS6_PKS6_NS0_5tupleIJS9_S6_EEENSD_IJSA_SA_EEENS0_18inequality_wrapperIZN2at6native12_GLOBAL__N_124unique_dim_cuda_templateItEESt5tupleIJNSH_6TensorESM_SM_EERKSM_lbbbEUlllE0_EEPmJS6_EEE10hipError_tPvRmT3_T4_T5_T6_T7_T9_mT8_P12ihipStream_tbDpT10_ENKUlT_T0_E_clISt17integral_constantIbLb1EES1B_IbLb0EEEEDaS17_S18_EUlS17_E_NS1_11comp_targetILNS1_3genE4ELNS1_11target_archE910ELNS1_3gpuE8ELNS1_3repE0EEENS1_30default_config_static_selectorELNS0_4arch9wavefront6targetE0EEEvT1_
		.amdhsa_group_segment_fixed_size 0
		.amdhsa_private_segment_fixed_size 0
		.amdhsa_kernarg_size 120
		.amdhsa_user_sgpr_count 15
		.amdhsa_user_sgpr_dispatch_ptr 0
		.amdhsa_user_sgpr_queue_ptr 0
		.amdhsa_user_sgpr_kernarg_segment_ptr 1
		.amdhsa_user_sgpr_dispatch_id 0
		.amdhsa_user_sgpr_private_segment_size 0
		.amdhsa_wavefront_size32 1
		.amdhsa_uses_dynamic_stack 0
		.amdhsa_enable_private_segment 0
		.amdhsa_system_sgpr_workgroup_id_x 1
		.amdhsa_system_sgpr_workgroup_id_y 0
		.amdhsa_system_sgpr_workgroup_id_z 0
		.amdhsa_system_sgpr_workgroup_info 0
		.amdhsa_system_vgpr_workitem_id 0
		.amdhsa_next_free_vgpr 1
		.amdhsa_next_free_sgpr 1
		.amdhsa_reserve_vcc 0
		.amdhsa_float_round_mode_32 0
		.amdhsa_float_round_mode_16_64 0
		.amdhsa_float_denorm_mode_32 3
		.amdhsa_float_denorm_mode_16_64 3
		.amdhsa_dx10_clamp 1
		.amdhsa_ieee_mode 1
		.amdhsa_fp16_overflow 0
		.amdhsa_workgroup_processor_mode 1
		.amdhsa_memory_ordered 1
		.amdhsa_forward_progress 0
		.amdhsa_shared_vgpr_count 0
		.amdhsa_exception_fp_ieee_invalid_op 0
		.amdhsa_exception_fp_denorm_src 0
		.amdhsa_exception_fp_ieee_div_zero 0
		.amdhsa_exception_fp_ieee_overflow 0
		.amdhsa_exception_fp_ieee_underflow 0
		.amdhsa_exception_fp_ieee_inexact 0
		.amdhsa_exception_int_div_zero 0
	.end_amdhsa_kernel
	.section	.text._ZN7rocprim17ROCPRIM_400000_NS6detail17trampoline_kernelINS0_14default_configENS1_25partition_config_selectorILNS1_17partition_subalgoE8ElNS0_10empty_typeEbEEZZNS1_14partition_implILS5_8ELb0ES3_jPlPS6_PKS6_NS0_5tupleIJS9_S6_EEENSD_IJSA_SA_EEENS0_18inequality_wrapperIZN2at6native12_GLOBAL__N_124unique_dim_cuda_templateItEESt5tupleIJNSH_6TensorESM_SM_EERKSM_lbbbEUlllE0_EEPmJS6_EEE10hipError_tPvRmT3_T4_T5_T6_T7_T9_mT8_P12ihipStream_tbDpT10_ENKUlT_T0_E_clISt17integral_constantIbLb1EES1B_IbLb0EEEEDaS17_S18_EUlS17_E_NS1_11comp_targetILNS1_3genE4ELNS1_11target_archE910ELNS1_3gpuE8ELNS1_3repE0EEENS1_30default_config_static_selectorELNS0_4arch9wavefront6targetE0EEEvT1_,"axG",@progbits,_ZN7rocprim17ROCPRIM_400000_NS6detail17trampoline_kernelINS0_14default_configENS1_25partition_config_selectorILNS1_17partition_subalgoE8ElNS0_10empty_typeEbEEZZNS1_14partition_implILS5_8ELb0ES3_jPlPS6_PKS6_NS0_5tupleIJS9_S6_EEENSD_IJSA_SA_EEENS0_18inequality_wrapperIZN2at6native12_GLOBAL__N_124unique_dim_cuda_templateItEESt5tupleIJNSH_6TensorESM_SM_EERKSM_lbbbEUlllE0_EEPmJS6_EEE10hipError_tPvRmT3_T4_T5_T6_T7_T9_mT8_P12ihipStream_tbDpT10_ENKUlT_T0_E_clISt17integral_constantIbLb1EES1B_IbLb0EEEEDaS17_S18_EUlS17_E_NS1_11comp_targetILNS1_3genE4ELNS1_11target_archE910ELNS1_3gpuE8ELNS1_3repE0EEENS1_30default_config_static_selectorELNS0_4arch9wavefront6targetE0EEEvT1_,comdat
.Lfunc_end1435:
	.size	_ZN7rocprim17ROCPRIM_400000_NS6detail17trampoline_kernelINS0_14default_configENS1_25partition_config_selectorILNS1_17partition_subalgoE8ElNS0_10empty_typeEbEEZZNS1_14partition_implILS5_8ELb0ES3_jPlPS6_PKS6_NS0_5tupleIJS9_S6_EEENSD_IJSA_SA_EEENS0_18inequality_wrapperIZN2at6native12_GLOBAL__N_124unique_dim_cuda_templateItEESt5tupleIJNSH_6TensorESM_SM_EERKSM_lbbbEUlllE0_EEPmJS6_EEE10hipError_tPvRmT3_T4_T5_T6_T7_T9_mT8_P12ihipStream_tbDpT10_ENKUlT_T0_E_clISt17integral_constantIbLb1EES1B_IbLb0EEEEDaS17_S18_EUlS17_E_NS1_11comp_targetILNS1_3genE4ELNS1_11target_archE910ELNS1_3gpuE8ELNS1_3repE0EEENS1_30default_config_static_selectorELNS0_4arch9wavefront6targetE0EEEvT1_, .Lfunc_end1435-_ZN7rocprim17ROCPRIM_400000_NS6detail17trampoline_kernelINS0_14default_configENS1_25partition_config_selectorILNS1_17partition_subalgoE8ElNS0_10empty_typeEbEEZZNS1_14partition_implILS5_8ELb0ES3_jPlPS6_PKS6_NS0_5tupleIJS9_S6_EEENSD_IJSA_SA_EEENS0_18inequality_wrapperIZN2at6native12_GLOBAL__N_124unique_dim_cuda_templateItEESt5tupleIJNSH_6TensorESM_SM_EERKSM_lbbbEUlllE0_EEPmJS6_EEE10hipError_tPvRmT3_T4_T5_T6_T7_T9_mT8_P12ihipStream_tbDpT10_ENKUlT_T0_E_clISt17integral_constantIbLb1EES1B_IbLb0EEEEDaS17_S18_EUlS17_E_NS1_11comp_targetILNS1_3genE4ELNS1_11target_archE910ELNS1_3gpuE8ELNS1_3repE0EEENS1_30default_config_static_selectorELNS0_4arch9wavefront6targetE0EEEvT1_
                                        ; -- End function
	.section	.AMDGPU.csdata,"",@progbits
; Kernel info:
; codeLenInByte = 0
; NumSgprs: 0
; NumVgprs: 0
; ScratchSize: 0
; MemoryBound: 0
; FloatMode: 240
; IeeeMode: 1
; LDSByteSize: 0 bytes/workgroup (compile time only)
; SGPRBlocks: 0
; VGPRBlocks: 0
; NumSGPRsForWavesPerEU: 1
; NumVGPRsForWavesPerEU: 1
; Occupancy: 16
; WaveLimiterHint : 0
; COMPUTE_PGM_RSRC2:SCRATCH_EN: 0
; COMPUTE_PGM_RSRC2:USER_SGPR: 15
; COMPUTE_PGM_RSRC2:TRAP_HANDLER: 0
; COMPUTE_PGM_RSRC2:TGID_X_EN: 1
; COMPUTE_PGM_RSRC2:TGID_Y_EN: 0
; COMPUTE_PGM_RSRC2:TGID_Z_EN: 0
; COMPUTE_PGM_RSRC2:TIDIG_COMP_CNT: 0
	.section	.text._ZN7rocprim17ROCPRIM_400000_NS6detail17trampoline_kernelINS0_14default_configENS1_25partition_config_selectorILNS1_17partition_subalgoE8ElNS0_10empty_typeEbEEZZNS1_14partition_implILS5_8ELb0ES3_jPlPS6_PKS6_NS0_5tupleIJS9_S6_EEENSD_IJSA_SA_EEENS0_18inequality_wrapperIZN2at6native12_GLOBAL__N_124unique_dim_cuda_templateItEESt5tupleIJNSH_6TensorESM_SM_EERKSM_lbbbEUlllE0_EEPmJS6_EEE10hipError_tPvRmT3_T4_T5_T6_T7_T9_mT8_P12ihipStream_tbDpT10_ENKUlT_T0_E_clISt17integral_constantIbLb1EES1B_IbLb0EEEEDaS17_S18_EUlS17_E_NS1_11comp_targetILNS1_3genE3ELNS1_11target_archE908ELNS1_3gpuE7ELNS1_3repE0EEENS1_30default_config_static_selectorELNS0_4arch9wavefront6targetE0EEEvT1_,"axG",@progbits,_ZN7rocprim17ROCPRIM_400000_NS6detail17trampoline_kernelINS0_14default_configENS1_25partition_config_selectorILNS1_17partition_subalgoE8ElNS0_10empty_typeEbEEZZNS1_14partition_implILS5_8ELb0ES3_jPlPS6_PKS6_NS0_5tupleIJS9_S6_EEENSD_IJSA_SA_EEENS0_18inequality_wrapperIZN2at6native12_GLOBAL__N_124unique_dim_cuda_templateItEESt5tupleIJNSH_6TensorESM_SM_EERKSM_lbbbEUlllE0_EEPmJS6_EEE10hipError_tPvRmT3_T4_T5_T6_T7_T9_mT8_P12ihipStream_tbDpT10_ENKUlT_T0_E_clISt17integral_constantIbLb1EES1B_IbLb0EEEEDaS17_S18_EUlS17_E_NS1_11comp_targetILNS1_3genE3ELNS1_11target_archE908ELNS1_3gpuE7ELNS1_3repE0EEENS1_30default_config_static_selectorELNS0_4arch9wavefront6targetE0EEEvT1_,comdat
	.globl	_ZN7rocprim17ROCPRIM_400000_NS6detail17trampoline_kernelINS0_14default_configENS1_25partition_config_selectorILNS1_17partition_subalgoE8ElNS0_10empty_typeEbEEZZNS1_14partition_implILS5_8ELb0ES3_jPlPS6_PKS6_NS0_5tupleIJS9_S6_EEENSD_IJSA_SA_EEENS0_18inequality_wrapperIZN2at6native12_GLOBAL__N_124unique_dim_cuda_templateItEESt5tupleIJNSH_6TensorESM_SM_EERKSM_lbbbEUlllE0_EEPmJS6_EEE10hipError_tPvRmT3_T4_T5_T6_T7_T9_mT8_P12ihipStream_tbDpT10_ENKUlT_T0_E_clISt17integral_constantIbLb1EES1B_IbLb0EEEEDaS17_S18_EUlS17_E_NS1_11comp_targetILNS1_3genE3ELNS1_11target_archE908ELNS1_3gpuE7ELNS1_3repE0EEENS1_30default_config_static_selectorELNS0_4arch9wavefront6targetE0EEEvT1_ ; -- Begin function _ZN7rocprim17ROCPRIM_400000_NS6detail17trampoline_kernelINS0_14default_configENS1_25partition_config_selectorILNS1_17partition_subalgoE8ElNS0_10empty_typeEbEEZZNS1_14partition_implILS5_8ELb0ES3_jPlPS6_PKS6_NS0_5tupleIJS9_S6_EEENSD_IJSA_SA_EEENS0_18inequality_wrapperIZN2at6native12_GLOBAL__N_124unique_dim_cuda_templateItEESt5tupleIJNSH_6TensorESM_SM_EERKSM_lbbbEUlllE0_EEPmJS6_EEE10hipError_tPvRmT3_T4_T5_T6_T7_T9_mT8_P12ihipStream_tbDpT10_ENKUlT_T0_E_clISt17integral_constantIbLb1EES1B_IbLb0EEEEDaS17_S18_EUlS17_E_NS1_11comp_targetILNS1_3genE3ELNS1_11target_archE908ELNS1_3gpuE7ELNS1_3repE0EEENS1_30default_config_static_selectorELNS0_4arch9wavefront6targetE0EEEvT1_
	.p2align	8
	.type	_ZN7rocprim17ROCPRIM_400000_NS6detail17trampoline_kernelINS0_14default_configENS1_25partition_config_selectorILNS1_17partition_subalgoE8ElNS0_10empty_typeEbEEZZNS1_14partition_implILS5_8ELb0ES3_jPlPS6_PKS6_NS0_5tupleIJS9_S6_EEENSD_IJSA_SA_EEENS0_18inequality_wrapperIZN2at6native12_GLOBAL__N_124unique_dim_cuda_templateItEESt5tupleIJNSH_6TensorESM_SM_EERKSM_lbbbEUlllE0_EEPmJS6_EEE10hipError_tPvRmT3_T4_T5_T6_T7_T9_mT8_P12ihipStream_tbDpT10_ENKUlT_T0_E_clISt17integral_constantIbLb1EES1B_IbLb0EEEEDaS17_S18_EUlS17_E_NS1_11comp_targetILNS1_3genE3ELNS1_11target_archE908ELNS1_3gpuE7ELNS1_3repE0EEENS1_30default_config_static_selectorELNS0_4arch9wavefront6targetE0EEEvT1_,@function
_ZN7rocprim17ROCPRIM_400000_NS6detail17trampoline_kernelINS0_14default_configENS1_25partition_config_selectorILNS1_17partition_subalgoE8ElNS0_10empty_typeEbEEZZNS1_14partition_implILS5_8ELb0ES3_jPlPS6_PKS6_NS0_5tupleIJS9_S6_EEENSD_IJSA_SA_EEENS0_18inequality_wrapperIZN2at6native12_GLOBAL__N_124unique_dim_cuda_templateItEESt5tupleIJNSH_6TensorESM_SM_EERKSM_lbbbEUlllE0_EEPmJS6_EEE10hipError_tPvRmT3_T4_T5_T6_T7_T9_mT8_P12ihipStream_tbDpT10_ENKUlT_T0_E_clISt17integral_constantIbLb1EES1B_IbLb0EEEEDaS17_S18_EUlS17_E_NS1_11comp_targetILNS1_3genE3ELNS1_11target_archE908ELNS1_3gpuE7ELNS1_3repE0EEENS1_30default_config_static_selectorELNS0_4arch9wavefront6targetE0EEEvT1_: ; @_ZN7rocprim17ROCPRIM_400000_NS6detail17trampoline_kernelINS0_14default_configENS1_25partition_config_selectorILNS1_17partition_subalgoE8ElNS0_10empty_typeEbEEZZNS1_14partition_implILS5_8ELb0ES3_jPlPS6_PKS6_NS0_5tupleIJS9_S6_EEENSD_IJSA_SA_EEENS0_18inequality_wrapperIZN2at6native12_GLOBAL__N_124unique_dim_cuda_templateItEESt5tupleIJNSH_6TensorESM_SM_EERKSM_lbbbEUlllE0_EEPmJS6_EEE10hipError_tPvRmT3_T4_T5_T6_T7_T9_mT8_P12ihipStream_tbDpT10_ENKUlT_T0_E_clISt17integral_constantIbLb1EES1B_IbLb0EEEEDaS17_S18_EUlS17_E_NS1_11comp_targetILNS1_3genE3ELNS1_11target_archE908ELNS1_3gpuE7ELNS1_3repE0EEENS1_30default_config_static_selectorELNS0_4arch9wavefront6targetE0EEEvT1_
; %bb.0:
	.section	.rodata,"a",@progbits
	.p2align	6, 0x0
	.amdhsa_kernel _ZN7rocprim17ROCPRIM_400000_NS6detail17trampoline_kernelINS0_14default_configENS1_25partition_config_selectorILNS1_17partition_subalgoE8ElNS0_10empty_typeEbEEZZNS1_14partition_implILS5_8ELb0ES3_jPlPS6_PKS6_NS0_5tupleIJS9_S6_EEENSD_IJSA_SA_EEENS0_18inequality_wrapperIZN2at6native12_GLOBAL__N_124unique_dim_cuda_templateItEESt5tupleIJNSH_6TensorESM_SM_EERKSM_lbbbEUlllE0_EEPmJS6_EEE10hipError_tPvRmT3_T4_T5_T6_T7_T9_mT8_P12ihipStream_tbDpT10_ENKUlT_T0_E_clISt17integral_constantIbLb1EES1B_IbLb0EEEEDaS17_S18_EUlS17_E_NS1_11comp_targetILNS1_3genE3ELNS1_11target_archE908ELNS1_3gpuE7ELNS1_3repE0EEENS1_30default_config_static_selectorELNS0_4arch9wavefront6targetE0EEEvT1_
		.amdhsa_group_segment_fixed_size 0
		.amdhsa_private_segment_fixed_size 0
		.amdhsa_kernarg_size 120
		.amdhsa_user_sgpr_count 15
		.amdhsa_user_sgpr_dispatch_ptr 0
		.amdhsa_user_sgpr_queue_ptr 0
		.amdhsa_user_sgpr_kernarg_segment_ptr 1
		.amdhsa_user_sgpr_dispatch_id 0
		.amdhsa_user_sgpr_private_segment_size 0
		.amdhsa_wavefront_size32 1
		.amdhsa_uses_dynamic_stack 0
		.amdhsa_enable_private_segment 0
		.amdhsa_system_sgpr_workgroup_id_x 1
		.amdhsa_system_sgpr_workgroup_id_y 0
		.amdhsa_system_sgpr_workgroup_id_z 0
		.amdhsa_system_sgpr_workgroup_info 0
		.amdhsa_system_vgpr_workitem_id 0
		.amdhsa_next_free_vgpr 1
		.amdhsa_next_free_sgpr 1
		.amdhsa_reserve_vcc 0
		.amdhsa_float_round_mode_32 0
		.amdhsa_float_round_mode_16_64 0
		.amdhsa_float_denorm_mode_32 3
		.amdhsa_float_denorm_mode_16_64 3
		.amdhsa_dx10_clamp 1
		.amdhsa_ieee_mode 1
		.amdhsa_fp16_overflow 0
		.amdhsa_workgroup_processor_mode 1
		.amdhsa_memory_ordered 1
		.amdhsa_forward_progress 0
		.amdhsa_shared_vgpr_count 0
		.amdhsa_exception_fp_ieee_invalid_op 0
		.amdhsa_exception_fp_denorm_src 0
		.amdhsa_exception_fp_ieee_div_zero 0
		.amdhsa_exception_fp_ieee_overflow 0
		.amdhsa_exception_fp_ieee_underflow 0
		.amdhsa_exception_fp_ieee_inexact 0
		.amdhsa_exception_int_div_zero 0
	.end_amdhsa_kernel
	.section	.text._ZN7rocprim17ROCPRIM_400000_NS6detail17trampoline_kernelINS0_14default_configENS1_25partition_config_selectorILNS1_17partition_subalgoE8ElNS0_10empty_typeEbEEZZNS1_14partition_implILS5_8ELb0ES3_jPlPS6_PKS6_NS0_5tupleIJS9_S6_EEENSD_IJSA_SA_EEENS0_18inequality_wrapperIZN2at6native12_GLOBAL__N_124unique_dim_cuda_templateItEESt5tupleIJNSH_6TensorESM_SM_EERKSM_lbbbEUlllE0_EEPmJS6_EEE10hipError_tPvRmT3_T4_T5_T6_T7_T9_mT8_P12ihipStream_tbDpT10_ENKUlT_T0_E_clISt17integral_constantIbLb1EES1B_IbLb0EEEEDaS17_S18_EUlS17_E_NS1_11comp_targetILNS1_3genE3ELNS1_11target_archE908ELNS1_3gpuE7ELNS1_3repE0EEENS1_30default_config_static_selectorELNS0_4arch9wavefront6targetE0EEEvT1_,"axG",@progbits,_ZN7rocprim17ROCPRIM_400000_NS6detail17trampoline_kernelINS0_14default_configENS1_25partition_config_selectorILNS1_17partition_subalgoE8ElNS0_10empty_typeEbEEZZNS1_14partition_implILS5_8ELb0ES3_jPlPS6_PKS6_NS0_5tupleIJS9_S6_EEENSD_IJSA_SA_EEENS0_18inequality_wrapperIZN2at6native12_GLOBAL__N_124unique_dim_cuda_templateItEESt5tupleIJNSH_6TensorESM_SM_EERKSM_lbbbEUlllE0_EEPmJS6_EEE10hipError_tPvRmT3_T4_T5_T6_T7_T9_mT8_P12ihipStream_tbDpT10_ENKUlT_T0_E_clISt17integral_constantIbLb1EES1B_IbLb0EEEEDaS17_S18_EUlS17_E_NS1_11comp_targetILNS1_3genE3ELNS1_11target_archE908ELNS1_3gpuE7ELNS1_3repE0EEENS1_30default_config_static_selectorELNS0_4arch9wavefront6targetE0EEEvT1_,comdat
.Lfunc_end1436:
	.size	_ZN7rocprim17ROCPRIM_400000_NS6detail17trampoline_kernelINS0_14default_configENS1_25partition_config_selectorILNS1_17partition_subalgoE8ElNS0_10empty_typeEbEEZZNS1_14partition_implILS5_8ELb0ES3_jPlPS6_PKS6_NS0_5tupleIJS9_S6_EEENSD_IJSA_SA_EEENS0_18inequality_wrapperIZN2at6native12_GLOBAL__N_124unique_dim_cuda_templateItEESt5tupleIJNSH_6TensorESM_SM_EERKSM_lbbbEUlllE0_EEPmJS6_EEE10hipError_tPvRmT3_T4_T5_T6_T7_T9_mT8_P12ihipStream_tbDpT10_ENKUlT_T0_E_clISt17integral_constantIbLb1EES1B_IbLb0EEEEDaS17_S18_EUlS17_E_NS1_11comp_targetILNS1_3genE3ELNS1_11target_archE908ELNS1_3gpuE7ELNS1_3repE0EEENS1_30default_config_static_selectorELNS0_4arch9wavefront6targetE0EEEvT1_, .Lfunc_end1436-_ZN7rocprim17ROCPRIM_400000_NS6detail17trampoline_kernelINS0_14default_configENS1_25partition_config_selectorILNS1_17partition_subalgoE8ElNS0_10empty_typeEbEEZZNS1_14partition_implILS5_8ELb0ES3_jPlPS6_PKS6_NS0_5tupleIJS9_S6_EEENSD_IJSA_SA_EEENS0_18inequality_wrapperIZN2at6native12_GLOBAL__N_124unique_dim_cuda_templateItEESt5tupleIJNSH_6TensorESM_SM_EERKSM_lbbbEUlllE0_EEPmJS6_EEE10hipError_tPvRmT3_T4_T5_T6_T7_T9_mT8_P12ihipStream_tbDpT10_ENKUlT_T0_E_clISt17integral_constantIbLb1EES1B_IbLb0EEEEDaS17_S18_EUlS17_E_NS1_11comp_targetILNS1_3genE3ELNS1_11target_archE908ELNS1_3gpuE7ELNS1_3repE0EEENS1_30default_config_static_selectorELNS0_4arch9wavefront6targetE0EEEvT1_
                                        ; -- End function
	.section	.AMDGPU.csdata,"",@progbits
; Kernel info:
; codeLenInByte = 0
; NumSgprs: 0
; NumVgprs: 0
; ScratchSize: 0
; MemoryBound: 0
; FloatMode: 240
; IeeeMode: 1
; LDSByteSize: 0 bytes/workgroup (compile time only)
; SGPRBlocks: 0
; VGPRBlocks: 0
; NumSGPRsForWavesPerEU: 1
; NumVGPRsForWavesPerEU: 1
; Occupancy: 16
; WaveLimiterHint : 0
; COMPUTE_PGM_RSRC2:SCRATCH_EN: 0
; COMPUTE_PGM_RSRC2:USER_SGPR: 15
; COMPUTE_PGM_RSRC2:TRAP_HANDLER: 0
; COMPUTE_PGM_RSRC2:TGID_X_EN: 1
; COMPUTE_PGM_RSRC2:TGID_Y_EN: 0
; COMPUTE_PGM_RSRC2:TGID_Z_EN: 0
; COMPUTE_PGM_RSRC2:TIDIG_COMP_CNT: 0
	.section	.text._ZN7rocprim17ROCPRIM_400000_NS6detail17trampoline_kernelINS0_14default_configENS1_25partition_config_selectorILNS1_17partition_subalgoE8ElNS0_10empty_typeEbEEZZNS1_14partition_implILS5_8ELb0ES3_jPlPS6_PKS6_NS0_5tupleIJS9_S6_EEENSD_IJSA_SA_EEENS0_18inequality_wrapperIZN2at6native12_GLOBAL__N_124unique_dim_cuda_templateItEESt5tupleIJNSH_6TensorESM_SM_EERKSM_lbbbEUlllE0_EEPmJS6_EEE10hipError_tPvRmT3_T4_T5_T6_T7_T9_mT8_P12ihipStream_tbDpT10_ENKUlT_T0_E_clISt17integral_constantIbLb1EES1B_IbLb0EEEEDaS17_S18_EUlS17_E_NS1_11comp_targetILNS1_3genE2ELNS1_11target_archE906ELNS1_3gpuE6ELNS1_3repE0EEENS1_30default_config_static_selectorELNS0_4arch9wavefront6targetE0EEEvT1_,"axG",@progbits,_ZN7rocprim17ROCPRIM_400000_NS6detail17trampoline_kernelINS0_14default_configENS1_25partition_config_selectorILNS1_17partition_subalgoE8ElNS0_10empty_typeEbEEZZNS1_14partition_implILS5_8ELb0ES3_jPlPS6_PKS6_NS0_5tupleIJS9_S6_EEENSD_IJSA_SA_EEENS0_18inequality_wrapperIZN2at6native12_GLOBAL__N_124unique_dim_cuda_templateItEESt5tupleIJNSH_6TensorESM_SM_EERKSM_lbbbEUlllE0_EEPmJS6_EEE10hipError_tPvRmT3_T4_T5_T6_T7_T9_mT8_P12ihipStream_tbDpT10_ENKUlT_T0_E_clISt17integral_constantIbLb1EES1B_IbLb0EEEEDaS17_S18_EUlS17_E_NS1_11comp_targetILNS1_3genE2ELNS1_11target_archE906ELNS1_3gpuE6ELNS1_3repE0EEENS1_30default_config_static_selectorELNS0_4arch9wavefront6targetE0EEEvT1_,comdat
	.globl	_ZN7rocprim17ROCPRIM_400000_NS6detail17trampoline_kernelINS0_14default_configENS1_25partition_config_selectorILNS1_17partition_subalgoE8ElNS0_10empty_typeEbEEZZNS1_14partition_implILS5_8ELb0ES3_jPlPS6_PKS6_NS0_5tupleIJS9_S6_EEENSD_IJSA_SA_EEENS0_18inequality_wrapperIZN2at6native12_GLOBAL__N_124unique_dim_cuda_templateItEESt5tupleIJNSH_6TensorESM_SM_EERKSM_lbbbEUlllE0_EEPmJS6_EEE10hipError_tPvRmT3_T4_T5_T6_T7_T9_mT8_P12ihipStream_tbDpT10_ENKUlT_T0_E_clISt17integral_constantIbLb1EES1B_IbLb0EEEEDaS17_S18_EUlS17_E_NS1_11comp_targetILNS1_3genE2ELNS1_11target_archE906ELNS1_3gpuE6ELNS1_3repE0EEENS1_30default_config_static_selectorELNS0_4arch9wavefront6targetE0EEEvT1_ ; -- Begin function _ZN7rocprim17ROCPRIM_400000_NS6detail17trampoline_kernelINS0_14default_configENS1_25partition_config_selectorILNS1_17partition_subalgoE8ElNS0_10empty_typeEbEEZZNS1_14partition_implILS5_8ELb0ES3_jPlPS6_PKS6_NS0_5tupleIJS9_S6_EEENSD_IJSA_SA_EEENS0_18inequality_wrapperIZN2at6native12_GLOBAL__N_124unique_dim_cuda_templateItEESt5tupleIJNSH_6TensorESM_SM_EERKSM_lbbbEUlllE0_EEPmJS6_EEE10hipError_tPvRmT3_T4_T5_T6_T7_T9_mT8_P12ihipStream_tbDpT10_ENKUlT_T0_E_clISt17integral_constantIbLb1EES1B_IbLb0EEEEDaS17_S18_EUlS17_E_NS1_11comp_targetILNS1_3genE2ELNS1_11target_archE906ELNS1_3gpuE6ELNS1_3repE0EEENS1_30default_config_static_selectorELNS0_4arch9wavefront6targetE0EEEvT1_
	.p2align	8
	.type	_ZN7rocprim17ROCPRIM_400000_NS6detail17trampoline_kernelINS0_14default_configENS1_25partition_config_selectorILNS1_17partition_subalgoE8ElNS0_10empty_typeEbEEZZNS1_14partition_implILS5_8ELb0ES3_jPlPS6_PKS6_NS0_5tupleIJS9_S6_EEENSD_IJSA_SA_EEENS0_18inequality_wrapperIZN2at6native12_GLOBAL__N_124unique_dim_cuda_templateItEESt5tupleIJNSH_6TensorESM_SM_EERKSM_lbbbEUlllE0_EEPmJS6_EEE10hipError_tPvRmT3_T4_T5_T6_T7_T9_mT8_P12ihipStream_tbDpT10_ENKUlT_T0_E_clISt17integral_constantIbLb1EES1B_IbLb0EEEEDaS17_S18_EUlS17_E_NS1_11comp_targetILNS1_3genE2ELNS1_11target_archE906ELNS1_3gpuE6ELNS1_3repE0EEENS1_30default_config_static_selectorELNS0_4arch9wavefront6targetE0EEEvT1_,@function
_ZN7rocprim17ROCPRIM_400000_NS6detail17trampoline_kernelINS0_14default_configENS1_25partition_config_selectorILNS1_17partition_subalgoE8ElNS0_10empty_typeEbEEZZNS1_14partition_implILS5_8ELb0ES3_jPlPS6_PKS6_NS0_5tupleIJS9_S6_EEENSD_IJSA_SA_EEENS0_18inequality_wrapperIZN2at6native12_GLOBAL__N_124unique_dim_cuda_templateItEESt5tupleIJNSH_6TensorESM_SM_EERKSM_lbbbEUlllE0_EEPmJS6_EEE10hipError_tPvRmT3_T4_T5_T6_T7_T9_mT8_P12ihipStream_tbDpT10_ENKUlT_T0_E_clISt17integral_constantIbLb1EES1B_IbLb0EEEEDaS17_S18_EUlS17_E_NS1_11comp_targetILNS1_3genE2ELNS1_11target_archE906ELNS1_3gpuE6ELNS1_3repE0EEENS1_30default_config_static_selectorELNS0_4arch9wavefront6targetE0EEEvT1_: ; @_ZN7rocprim17ROCPRIM_400000_NS6detail17trampoline_kernelINS0_14default_configENS1_25partition_config_selectorILNS1_17partition_subalgoE8ElNS0_10empty_typeEbEEZZNS1_14partition_implILS5_8ELb0ES3_jPlPS6_PKS6_NS0_5tupleIJS9_S6_EEENSD_IJSA_SA_EEENS0_18inequality_wrapperIZN2at6native12_GLOBAL__N_124unique_dim_cuda_templateItEESt5tupleIJNSH_6TensorESM_SM_EERKSM_lbbbEUlllE0_EEPmJS6_EEE10hipError_tPvRmT3_T4_T5_T6_T7_T9_mT8_P12ihipStream_tbDpT10_ENKUlT_T0_E_clISt17integral_constantIbLb1EES1B_IbLb0EEEEDaS17_S18_EUlS17_E_NS1_11comp_targetILNS1_3genE2ELNS1_11target_archE906ELNS1_3gpuE6ELNS1_3repE0EEENS1_30default_config_static_selectorELNS0_4arch9wavefront6targetE0EEEvT1_
; %bb.0:
	.section	.rodata,"a",@progbits
	.p2align	6, 0x0
	.amdhsa_kernel _ZN7rocprim17ROCPRIM_400000_NS6detail17trampoline_kernelINS0_14default_configENS1_25partition_config_selectorILNS1_17partition_subalgoE8ElNS0_10empty_typeEbEEZZNS1_14partition_implILS5_8ELb0ES3_jPlPS6_PKS6_NS0_5tupleIJS9_S6_EEENSD_IJSA_SA_EEENS0_18inequality_wrapperIZN2at6native12_GLOBAL__N_124unique_dim_cuda_templateItEESt5tupleIJNSH_6TensorESM_SM_EERKSM_lbbbEUlllE0_EEPmJS6_EEE10hipError_tPvRmT3_T4_T5_T6_T7_T9_mT8_P12ihipStream_tbDpT10_ENKUlT_T0_E_clISt17integral_constantIbLb1EES1B_IbLb0EEEEDaS17_S18_EUlS17_E_NS1_11comp_targetILNS1_3genE2ELNS1_11target_archE906ELNS1_3gpuE6ELNS1_3repE0EEENS1_30default_config_static_selectorELNS0_4arch9wavefront6targetE0EEEvT1_
		.amdhsa_group_segment_fixed_size 0
		.amdhsa_private_segment_fixed_size 0
		.amdhsa_kernarg_size 120
		.amdhsa_user_sgpr_count 15
		.amdhsa_user_sgpr_dispatch_ptr 0
		.amdhsa_user_sgpr_queue_ptr 0
		.amdhsa_user_sgpr_kernarg_segment_ptr 1
		.amdhsa_user_sgpr_dispatch_id 0
		.amdhsa_user_sgpr_private_segment_size 0
		.amdhsa_wavefront_size32 1
		.amdhsa_uses_dynamic_stack 0
		.amdhsa_enable_private_segment 0
		.amdhsa_system_sgpr_workgroup_id_x 1
		.amdhsa_system_sgpr_workgroup_id_y 0
		.amdhsa_system_sgpr_workgroup_id_z 0
		.amdhsa_system_sgpr_workgroup_info 0
		.amdhsa_system_vgpr_workitem_id 0
		.amdhsa_next_free_vgpr 1
		.amdhsa_next_free_sgpr 1
		.amdhsa_reserve_vcc 0
		.amdhsa_float_round_mode_32 0
		.amdhsa_float_round_mode_16_64 0
		.amdhsa_float_denorm_mode_32 3
		.amdhsa_float_denorm_mode_16_64 3
		.amdhsa_dx10_clamp 1
		.amdhsa_ieee_mode 1
		.amdhsa_fp16_overflow 0
		.amdhsa_workgroup_processor_mode 1
		.amdhsa_memory_ordered 1
		.amdhsa_forward_progress 0
		.amdhsa_shared_vgpr_count 0
		.amdhsa_exception_fp_ieee_invalid_op 0
		.amdhsa_exception_fp_denorm_src 0
		.amdhsa_exception_fp_ieee_div_zero 0
		.amdhsa_exception_fp_ieee_overflow 0
		.amdhsa_exception_fp_ieee_underflow 0
		.amdhsa_exception_fp_ieee_inexact 0
		.amdhsa_exception_int_div_zero 0
	.end_amdhsa_kernel
	.section	.text._ZN7rocprim17ROCPRIM_400000_NS6detail17trampoline_kernelINS0_14default_configENS1_25partition_config_selectorILNS1_17partition_subalgoE8ElNS0_10empty_typeEbEEZZNS1_14partition_implILS5_8ELb0ES3_jPlPS6_PKS6_NS0_5tupleIJS9_S6_EEENSD_IJSA_SA_EEENS0_18inequality_wrapperIZN2at6native12_GLOBAL__N_124unique_dim_cuda_templateItEESt5tupleIJNSH_6TensorESM_SM_EERKSM_lbbbEUlllE0_EEPmJS6_EEE10hipError_tPvRmT3_T4_T5_T6_T7_T9_mT8_P12ihipStream_tbDpT10_ENKUlT_T0_E_clISt17integral_constantIbLb1EES1B_IbLb0EEEEDaS17_S18_EUlS17_E_NS1_11comp_targetILNS1_3genE2ELNS1_11target_archE906ELNS1_3gpuE6ELNS1_3repE0EEENS1_30default_config_static_selectorELNS0_4arch9wavefront6targetE0EEEvT1_,"axG",@progbits,_ZN7rocprim17ROCPRIM_400000_NS6detail17trampoline_kernelINS0_14default_configENS1_25partition_config_selectorILNS1_17partition_subalgoE8ElNS0_10empty_typeEbEEZZNS1_14partition_implILS5_8ELb0ES3_jPlPS6_PKS6_NS0_5tupleIJS9_S6_EEENSD_IJSA_SA_EEENS0_18inequality_wrapperIZN2at6native12_GLOBAL__N_124unique_dim_cuda_templateItEESt5tupleIJNSH_6TensorESM_SM_EERKSM_lbbbEUlllE0_EEPmJS6_EEE10hipError_tPvRmT3_T4_T5_T6_T7_T9_mT8_P12ihipStream_tbDpT10_ENKUlT_T0_E_clISt17integral_constantIbLb1EES1B_IbLb0EEEEDaS17_S18_EUlS17_E_NS1_11comp_targetILNS1_3genE2ELNS1_11target_archE906ELNS1_3gpuE6ELNS1_3repE0EEENS1_30default_config_static_selectorELNS0_4arch9wavefront6targetE0EEEvT1_,comdat
.Lfunc_end1437:
	.size	_ZN7rocprim17ROCPRIM_400000_NS6detail17trampoline_kernelINS0_14default_configENS1_25partition_config_selectorILNS1_17partition_subalgoE8ElNS0_10empty_typeEbEEZZNS1_14partition_implILS5_8ELb0ES3_jPlPS6_PKS6_NS0_5tupleIJS9_S6_EEENSD_IJSA_SA_EEENS0_18inequality_wrapperIZN2at6native12_GLOBAL__N_124unique_dim_cuda_templateItEESt5tupleIJNSH_6TensorESM_SM_EERKSM_lbbbEUlllE0_EEPmJS6_EEE10hipError_tPvRmT3_T4_T5_T6_T7_T9_mT8_P12ihipStream_tbDpT10_ENKUlT_T0_E_clISt17integral_constantIbLb1EES1B_IbLb0EEEEDaS17_S18_EUlS17_E_NS1_11comp_targetILNS1_3genE2ELNS1_11target_archE906ELNS1_3gpuE6ELNS1_3repE0EEENS1_30default_config_static_selectorELNS0_4arch9wavefront6targetE0EEEvT1_, .Lfunc_end1437-_ZN7rocprim17ROCPRIM_400000_NS6detail17trampoline_kernelINS0_14default_configENS1_25partition_config_selectorILNS1_17partition_subalgoE8ElNS0_10empty_typeEbEEZZNS1_14partition_implILS5_8ELb0ES3_jPlPS6_PKS6_NS0_5tupleIJS9_S6_EEENSD_IJSA_SA_EEENS0_18inequality_wrapperIZN2at6native12_GLOBAL__N_124unique_dim_cuda_templateItEESt5tupleIJNSH_6TensorESM_SM_EERKSM_lbbbEUlllE0_EEPmJS6_EEE10hipError_tPvRmT3_T4_T5_T6_T7_T9_mT8_P12ihipStream_tbDpT10_ENKUlT_T0_E_clISt17integral_constantIbLb1EES1B_IbLb0EEEEDaS17_S18_EUlS17_E_NS1_11comp_targetILNS1_3genE2ELNS1_11target_archE906ELNS1_3gpuE6ELNS1_3repE0EEENS1_30default_config_static_selectorELNS0_4arch9wavefront6targetE0EEEvT1_
                                        ; -- End function
	.section	.AMDGPU.csdata,"",@progbits
; Kernel info:
; codeLenInByte = 0
; NumSgprs: 0
; NumVgprs: 0
; ScratchSize: 0
; MemoryBound: 0
; FloatMode: 240
; IeeeMode: 1
; LDSByteSize: 0 bytes/workgroup (compile time only)
; SGPRBlocks: 0
; VGPRBlocks: 0
; NumSGPRsForWavesPerEU: 1
; NumVGPRsForWavesPerEU: 1
; Occupancy: 16
; WaveLimiterHint : 0
; COMPUTE_PGM_RSRC2:SCRATCH_EN: 0
; COMPUTE_PGM_RSRC2:USER_SGPR: 15
; COMPUTE_PGM_RSRC2:TRAP_HANDLER: 0
; COMPUTE_PGM_RSRC2:TGID_X_EN: 1
; COMPUTE_PGM_RSRC2:TGID_Y_EN: 0
; COMPUTE_PGM_RSRC2:TGID_Z_EN: 0
; COMPUTE_PGM_RSRC2:TIDIG_COMP_CNT: 0
	.section	.text._ZN7rocprim17ROCPRIM_400000_NS6detail17trampoline_kernelINS0_14default_configENS1_25partition_config_selectorILNS1_17partition_subalgoE8ElNS0_10empty_typeEbEEZZNS1_14partition_implILS5_8ELb0ES3_jPlPS6_PKS6_NS0_5tupleIJS9_S6_EEENSD_IJSA_SA_EEENS0_18inequality_wrapperIZN2at6native12_GLOBAL__N_124unique_dim_cuda_templateItEESt5tupleIJNSH_6TensorESM_SM_EERKSM_lbbbEUlllE0_EEPmJS6_EEE10hipError_tPvRmT3_T4_T5_T6_T7_T9_mT8_P12ihipStream_tbDpT10_ENKUlT_T0_E_clISt17integral_constantIbLb1EES1B_IbLb0EEEEDaS17_S18_EUlS17_E_NS1_11comp_targetILNS1_3genE10ELNS1_11target_archE1200ELNS1_3gpuE4ELNS1_3repE0EEENS1_30default_config_static_selectorELNS0_4arch9wavefront6targetE0EEEvT1_,"axG",@progbits,_ZN7rocprim17ROCPRIM_400000_NS6detail17trampoline_kernelINS0_14default_configENS1_25partition_config_selectorILNS1_17partition_subalgoE8ElNS0_10empty_typeEbEEZZNS1_14partition_implILS5_8ELb0ES3_jPlPS6_PKS6_NS0_5tupleIJS9_S6_EEENSD_IJSA_SA_EEENS0_18inequality_wrapperIZN2at6native12_GLOBAL__N_124unique_dim_cuda_templateItEESt5tupleIJNSH_6TensorESM_SM_EERKSM_lbbbEUlllE0_EEPmJS6_EEE10hipError_tPvRmT3_T4_T5_T6_T7_T9_mT8_P12ihipStream_tbDpT10_ENKUlT_T0_E_clISt17integral_constantIbLb1EES1B_IbLb0EEEEDaS17_S18_EUlS17_E_NS1_11comp_targetILNS1_3genE10ELNS1_11target_archE1200ELNS1_3gpuE4ELNS1_3repE0EEENS1_30default_config_static_selectorELNS0_4arch9wavefront6targetE0EEEvT1_,comdat
	.globl	_ZN7rocprim17ROCPRIM_400000_NS6detail17trampoline_kernelINS0_14default_configENS1_25partition_config_selectorILNS1_17partition_subalgoE8ElNS0_10empty_typeEbEEZZNS1_14partition_implILS5_8ELb0ES3_jPlPS6_PKS6_NS0_5tupleIJS9_S6_EEENSD_IJSA_SA_EEENS0_18inequality_wrapperIZN2at6native12_GLOBAL__N_124unique_dim_cuda_templateItEESt5tupleIJNSH_6TensorESM_SM_EERKSM_lbbbEUlllE0_EEPmJS6_EEE10hipError_tPvRmT3_T4_T5_T6_T7_T9_mT8_P12ihipStream_tbDpT10_ENKUlT_T0_E_clISt17integral_constantIbLb1EES1B_IbLb0EEEEDaS17_S18_EUlS17_E_NS1_11comp_targetILNS1_3genE10ELNS1_11target_archE1200ELNS1_3gpuE4ELNS1_3repE0EEENS1_30default_config_static_selectorELNS0_4arch9wavefront6targetE0EEEvT1_ ; -- Begin function _ZN7rocprim17ROCPRIM_400000_NS6detail17trampoline_kernelINS0_14default_configENS1_25partition_config_selectorILNS1_17partition_subalgoE8ElNS0_10empty_typeEbEEZZNS1_14partition_implILS5_8ELb0ES3_jPlPS6_PKS6_NS0_5tupleIJS9_S6_EEENSD_IJSA_SA_EEENS0_18inequality_wrapperIZN2at6native12_GLOBAL__N_124unique_dim_cuda_templateItEESt5tupleIJNSH_6TensorESM_SM_EERKSM_lbbbEUlllE0_EEPmJS6_EEE10hipError_tPvRmT3_T4_T5_T6_T7_T9_mT8_P12ihipStream_tbDpT10_ENKUlT_T0_E_clISt17integral_constantIbLb1EES1B_IbLb0EEEEDaS17_S18_EUlS17_E_NS1_11comp_targetILNS1_3genE10ELNS1_11target_archE1200ELNS1_3gpuE4ELNS1_3repE0EEENS1_30default_config_static_selectorELNS0_4arch9wavefront6targetE0EEEvT1_
	.p2align	8
	.type	_ZN7rocprim17ROCPRIM_400000_NS6detail17trampoline_kernelINS0_14default_configENS1_25partition_config_selectorILNS1_17partition_subalgoE8ElNS0_10empty_typeEbEEZZNS1_14partition_implILS5_8ELb0ES3_jPlPS6_PKS6_NS0_5tupleIJS9_S6_EEENSD_IJSA_SA_EEENS0_18inequality_wrapperIZN2at6native12_GLOBAL__N_124unique_dim_cuda_templateItEESt5tupleIJNSH_6TensorESM_SM_EERKSM_lbbbEUlllE0_EEPmJS6_EEE10hipError_tPvRmT3_T4_T5_T6_T7_T9_mT8_P12ihipStream_tbDpT10_ENKUlT_T0_E_clISt17integral_constantIbLb1EES1B_IbLb0EEEEDaS17_S18_EUlS17_E_NS1_11comp_targetILNS1_3genE10ELNS1_11target_archE1200ELNS1_3gpuE4ELNS1_3repE0EEENS1_30default_config_static_selectorELNS0_4arch9wavefront6targetE0EEEvT1_,@function
_ZN7rocprim17ROCPRIM_400000_NS6detail17trampoline_kernelINS0_14default_configENS1_25partition_config_selectorILNS1_17partition_subalgoE8ElNS0_10empty_typeEbEEZZNS1_14partition_implILS5_8ELb0ES3_jPlPS6_PKS6_NS0_5tupleIJS9_S6_EEENSD_IJSA_SA_EEENS0_18inequality_wrapperIZN2at6native12_GLOBAL__N_124unique_dim_cuda_templateItEESt5tupleIJNSH_6TensorESM_SM_EERKSM_lbbbEUlllE0_EEPmJS6_EEE10hipError_tPvRmT3_T4_T5_T6_T7_T9_mT8_P12ihipStream_tbDpT10_ENKUlT_T0_E_clISt17integral_constantIbLb1EES1B_IbLb0EEEEDaS17_S18_EUlS17_E_NS1_11comp_targetILNS1_3genE10ELNS1_11target_archE1200ELNS1_3gpuE4ELNS1_3repE0EEENS1_30default_config_static_selectorELNS0_4arch9wavefront6targetE0EEEvT1_: ; @_ZN7rocprim17ROCPRIM_400000_NS6detail17trampoline_kernelINS0_14default_configENS1_25partition_config_selectorILNS1_17partition_subalgoE8ElNS0_10empty_typeEbEEZZNS1_14partition_implILS5_8ELb0ES3_jPlPS6_PKS6_NS0_5tupleIJS9_S6_EEENSD_IJSA_SA_EEENS0_18inequality_wrapperIZN2at6native12_GLOBAL__N_124unique_dim_cuda_templateItEESt5tupleIJNSH_6TensorESM_SM_EERKSM_lbbbEUlllE0_EEPmJS6_EEE10hipError_tPvRmT3_T4_T5_T6_T7_T9_mT8_P12ihipStream_tbDpT10_ENKUlT_T0_E_clISt17integral_constantIbLb1EES1B_IbLb0EEEEDaS17_S18_EUlS17_E_NS1_11comp_targetILNS1_3genE10ELNS1_11target_archE1200ELNS1_3gpuE4ELNS1_3repE0EEENS1_30default_config_static_selectorELNS0_4arch9wavefront6targetE0EEEvT1_
; %bb.0:
	.section	.rodata,"a",@progbits
	.p2align	6, 0x0
	.amdhsa_kernel _ZN7rocprim17ROCPRIM_400000_NS6detail17trampoline_kernelINS0_14default_configENS1_25partition_config_selectorILNS1_17partition_subalgoE8ElNS0_10empty_typeEbEEZZNS1_14partition_implILS5_8ELb0ES3_jPlPS6_PKS6_NS0_5tupleIJS9_S6_EEENSD_IJSA_SA_EEENS0_18inequality_wrapperIZN2at6native12_GLOBAL__N_124unique_dim_cuda_templateItEESt5tupleIJNSH_6TensorESM_SM_EERKSM_lbbbEUlllE0_EEPmJS6_EEE10hipError_tPvRmT3_T4_T5_T6_T7_T9_mT8_P12ihipStream_tbDpT10_ENKUlT_T0_E_clISt17integral_constantIbLb1EES1B_IbLb0EEEEDaS17_S18_EUlS17_E_NS1_11comp_targetILNS1_3genE10ELNS1_11target_archE1200ELNS1_3gpuE4ELNS1_3repE0EEENS1_30default_config_static_selectorELNS0_4arch9wavefront6targetE0EEEvT1_
		.amdhsa_group_segment_fixed_size 0
		.amdhsa_private_segment_fixed_size 0
		.amdhsa_kernarg_size 120
		.amdhsa_user_sgpr_count 15
		.amdhsa_user_sgpr_dispatch_ptr 0
		.amdhsa_user_sgpr_queue_ptr 0
		.amdhsa_user_sgpr_kernarg_segment_ptr 1
		.amdhsa_user_sgpr_dispatch_id 0
		.amdhsa_user_sgpr_private_segment_size 0
		.amdhsa_wavefront_size32 1
		.amdhsa_uses_dynamic_stack 0
		.amdhsa_enable_private_segment 0
		.amdhsa_system_sgpr_workgroup_id_x 1
		.amdhsa_system_sgpr_workgroup_id_y 0
		.amdhsa_system_sgpr_workgroup_id_z 0
		.amdhsa_system_sgpr_workgroup_info 0
		.amdhsa_system_vgpr_workitem_id 0
		.amdhsa_next_free_vgpr 1
		.amdhsa_next_free_sgpr 1
		.amdhsa_reserve_vcc 0
		.amdhsa_float_round_mode_32 0
		.amdhsa_float_round_mode_16_64 0
		.amdhsa_float_denorm_mode_32 3
		.amdhsa_float_denorm_mode_16_64 3
		.amdhsa_dx10_clamp 1
		.amdhsa_ieee_mode 1
		.amdhsa_fp16_overflow 0
		.amdhsa_workgroup_processor_mode 1
		.amdhsa_memory_ordered 1
		.amdhsa_forward_progress 0
		.amdhsa_shared_vgpr_count 0
		.amdhsa_exception_fp_ieee_invalid_op 0
		.amdhsa_exception_fp_denorm_src 0
		.amdhsa_exception_fp_ieee_div_zero 0
		.amdhsa_exception_fp_ieee_overflow 0
		.amdhsa_exception_fp_ieee_underflow 0
		.amdhsa_exception_fp_ieee_inexact 0
		.amdhsa_exception_int_div_zero 0
	.end_amdhsa_kernel
	.section	.text._ZN7rocprim17ROCPRIM_400000_NS6detail17trampoline_kernelINS0_14default_configENS1_25partition_config_selectorILNS1_17partition_subalgoE8ElNS0_10empty_typeEbEEZZNS1_14partition_implILS5_8ELb0ES3_jPlPS6_PKS6_NS0_5tupleIJS9_S6_EEENSD_IJSA_SA_EEENS0_18inequality_wrapperIZN2at6native12_GLOBAL__N_124unique_dim_cuda_templateItEESt5tupleIJNSH_6TensorESM_SM_EERKSM_lbbbEUlllE0_EEPmJS6_EEE10hipError_tPvRmT3_T4_T5_T6_T7_T9_mT8_P12ihipStream_tbDpT10_ENKUlT_T0_E_clISt17integral_constantIbLb1EES1B_IbLb0EEEEDaS17_S18_EUlS17_E_NS1_11comp_targetILNS1_3genE10ELNS1_11target_archE1200ELNS1_3gpuE4ELNS1_3repE0EEENS1_30default_config_static_selectorELNS0_4arch9wavefront6targetE0EEEvT1_,"axG",@progbits,_ZN7rocprim17ROCPRIM_400000_NS6detail17trampoline_kernelINS0_14default_configENS1_25partition_config_selectorILNS1_17partition_subalgoE8ElNS0_10empty_typeEbEEZZNS1_14partition_implILS5_8ELb0ES3_jPlPS6_PKS6_NS0_5tupleIJS9_S6_EEENSD_IJSA_SA_EEENS0_18inequality_wrapperIZN2at6native12_GLOBAL__N_124unique_dim_cuda_templateItEESt5tupleIJNSH_6TensorESM_SM_EERKSM_lbbbEUlllE0_EEPmJS6_EEE10hipError_tPvRmT3_T4_T5_T6_T7_T9_mT8_P12ihipStream_tbDpT10_ENKUlT_T0_E_clISt17integral_constantIbLb1EES1B_IbLb0EEEEDaS17_S18_EUlS17_E_NS1_11comp_targetILNS1_3genE10ELNS1_11target_archE1200ELNS1_3gpuE4ELNS1_3repE0EEENS1_30default_config_static_selectorELNS0_4arch9wavefront6targetE0EEEvT1_,comdat
.Lfunc_end1438:
	.size	_ZN7rocprim17ROCPRIM_400000_NS6detail17trampoline_kernelINS0_14default_configENS1_25partition_config_selectorILNS1_17partition_subalgoE8ElNS0_10empty_typeEbEEZZNS1_14partition_implILS5_8ELb0ES3_jPlPS6_PKS6_NS0_5tupleIJS9_S6_EEENSD_IJSA_SA_EEENS0_18inequality_wrapperIZN2at6native12_GLOBAL__N_124unique_dim_cuda_templateItEESt5tupleIJNSH_6TensorESM_SM_EERKSM_lbbbEUlllE0_EEPmJS6_EEE10hipError_tPvRmT3_T4_T5_T6_T7_T9_mT8_P12ihipStream_tbDpT10_ENKUlT_T0_E_clISt17integral_constantIbLb1EES1B_IbLb0EEEEDaS17_S18_EUlS17_E_NS1_11comp_targetILNS1_3genE10ELNS1_11target_archE1200ELNS1_3gpuE4ELNS1_3repE0EEENS1_30default_config_static_selectorELNS0_4arch9wavefront6targetE0EEEvT1_, .Lfunc_end1438-_ZN7rocprim17ROCPRIM_400000_NS6detail17trampoline_kernelINS0_14default_configENS1_25partition_config_selectorILNS1_17partition_subalgoE8ElNS0_10empty_typeEbEEZZNS1_14partition_implILS5_8ELb0ES3_jPlPS6_PKS6_NS0_5tupleIJS9_S6_EEENSD_IJSA_SA_EEENS0_18inequality_wrapperIZN2at6native12_GLOBAL__N_124unique_dim_cuda_templateItEESt5tupleIJNSH_6TensorESM_SM_EERKSM_lbbbEUlllE0_EEPmJS6_EEE10hipError_tPvRmT3_T4_T5_T6_T7_T9_mT8_P12ihipStream_tbDpT10_ENKUlT_T0_E_clISt17integral_constantIbLb1EES1B_IbLb0EEEEDaS17_S18_EUlS17_E_NS1_11comp_targetILNS1_3genE10ELNS1_11target_archE1200ELNS1_3gpuE4ELNS1_3repE0EEENS1_30default_config_static_selectorELNS0_4arch9wavefront6targetE0EEEvT1_
                                        ; -- End function
	.section	.AMDGPU.csdata,"",@progbits
; Kernel info:
; codeLenInByte = 0
; NumSgprs: 0
; NumVgprs: 0
; ScratchSize: 0
; MemoryBound: 0
; FloatMode: 240
; IeeeMode: 1
; LDSByteSize: 0 bytes/workgroup (compile time only)
; SGPRBlocks: 0
; VGPRBlocks: 0
; NumSGPRsForWavesPerEU: 1
; NumVGPRsForWavesPerEU: 1
; Occupancy: 15
; WaveLimiterHint : 0
; COMPUTE_PGM_RSRC2:SCRATCH_EN: 0
; COMPUTE_PGM_RSRC2:USER_SGPR: 15
; COMPUTE_PGM_RSRC2:TRAP_HANDLER: 0
; COMPUTE_PGM_RSRC2:TGID_X_EN: 1
; COMPUTE_PGM_RSRC2:TGID_Y_EN: 0
; COMPUTE_PGM_RSRC2:TGID_Z_EN: 0
; COMPUTE_PGM_RSRC2:TIDIG_COMP_CNT: 0
	.section	.text._ZN7rocprim17ROCPRIM_400000_NS6detail17trampoline_kernelINS0_14default_configENS1_25partition_config_selectorILNS1_17partition_subalgoE8ElNS0_10empty_typeEbEEZZNS1_14partition_implILS5_8ELb0ES3_jPlPS6_PKS6_NS0_5tupleIJS9_S6_EEENSD_IJSA_SA_EEENS0_18inequality_wrapperIZN2at6native12_GLOBAL__N_124unique_dim_cuda_templateItEESt5tupleIJNSH_6TensorESM_SM_EERKSM_lbbbEUlllE0_EEPmJS6_EEE10hipError_tPvRmT3_T4_T5_T6_T7_T9_mT8_P12ihipStream_tbDpT10_ENKUlT_T0_E_clISt17integral_constantIbLb1EES1B_IbLb0EEEEDaS17_S18_EUlS17_E_NS1_11comp_targetILNS1_3genE9ELNS1_11target_archE1100ELNS1_3gpuE3ELNS1_3repE0EEENS1_30default_config_static_selectorELNS0_4arch9wavefront6targetE0EEEvT1_,"axG",@progbits,_ZN7rocprim17ROCPRIM_400000_NS6detail17trampoline_kernelINS0_14default_configENS1_25partition_config_selectorILNS1_17partition_subalgoE8ElNS0_10empty_typeEbEEZZNS1_14partition_implILS5_8ELb0ES3_jPlPS6_PKS6_NS0_5tupleIJS9_S6_EEENSD_IJSA_SA_EEENS0_18inequality_wrapperIZN2at6native12_GLOBAL__N_124unique_dim_cuda_templateItEESt5tupleIJNSH_6TensorESM_SM_EERKSM_lbbbEUlllE0_EEPmJS6_EEE10hipError_tPvRmT3_T4_T5_T6_T7_T9_mT8_P12ihipStream_tbDpT10_ENKUlT_T0_E_clISt17integral_constantIbLb1EES1B_IbLb0EEEEDaS17_S18_EUlS17_E_NS1_11comp_targetILNS1_3genE9ELNS1_11target_archE1100ELNS1_3gpuE3ELNS1_3repE0EEENS1_30default_config_static_selectorELNS0_4arch9wavefront6targetE0EEEvT1_,comdat
	.globl	_ZN7rocprim17ROCPRIM_400000_NS6detail17trampoline_kernelINS0_14default_configENS1_25partition_config_selectorILNS1_17partition_subalgoE8ElNS0_10empty_typeEbEEZZNS1_14partition_implILS5_8ELb0ES3_jPlPS6_PKS6_NS0_5tupleIJS9_S6_EEENSD_IJSA_SA_EEENS0_18inequality_wrapperIZN2at6native12_GLOBAL__N_124unique_dim_cuda_templateItEESt5tupleIJNSH_6TensorESM_SM_EERKSM_lbbbEUlllE0_EEPmJS6_EEE10hipError_tPvRmT3_T4_T5_T6_T7_T9_mT8_P12ihipStream_tbDpT10_ENKUlT_T0_E_clISt17integral_constantIbLb1EES1B_IbLb0EEEEDaS17_S18_EUlS17_E_NS1_11comp_targetILNS1_3genE9ELNS1_11target_archE1100ELNS1_3gpuE3ELNS1_3repE0EEENS1_30default_config_static_selectorELNS0_4arch9wavefront6targetE0EEEvT1_ ; -- Begin function _ZN7rocprim17ROCPRIM_400000_NS6detail17trampoline_kernelINS0_14default_configENS1_25partition_config_selectorILNS1_17partition_subalgoE8ElNS0_10empty_typeEbEEZZNS1_14partition_implILS5_8ELb0ES3_jPlPS6_PKS6_NS0_5tupleIJS9_S6_EEENSD_IJSA_SA_EEENS0_18inequality_wrapperIZN2at6native12_GLOBAL__N_124unique_dim_cuda_templateItEESt5tupleIJNSH_6TensorESM_SM_EERKSM_lbbbEUlllE0_EEPmJS6_EEE10hipError_tPvRmT3_T4_T5_T6_T7_T9_mT8_P12ihipStream_tbDpT10_ENKUlT_T0_E_clISt17integral_constantIbLb1EES1B_IbLb0EEEEDaS17_S18_EUlS17_E_NS1_11comp_targetILNS1_3genE9ELNS1_11target_archE1100ELNS1_3gpuE3ELNS1_3repE0EEENS1_30default_config_static_selectorELNS0_4arch9wavefront6targetE0EEEvT1_
	.p2align	8
	.type	_ZN7rocprim17ROCPRIM_400000_NS6detail17trampoline_kernelINS0_14default_configENS1_25partition_config_selectorILNS1_17partition_subalgoE8ElNS0_10empty_typeEbEEZZNS1_14partition_implILS5_8ELb0ES3_jPlPS6_PKS6_NS0_5tupleIJS9_S6_EEENSD_IJSA_SA_EEENS0_18inequality_wrapperIZN2at6native12_GLOBAL__N_124unique_dim_cuda_templateItEESt5tupleIJNSH_6TensorESM_SM_EERKSM_lbbbEUlllE0_EEPmJS6_EEE10hipError_tPvRmT3_T4_T5_T6_T7_T9_mT8_P12ihipStream_tbDpT10_ENKUlT_T0_E_clISt17integral_constantIbLb1EES1B_IbLb0EEEEDaS17_S18_EUlS17_E_NS1_11comp_targetILNS1_3genE9ELNS1_11target_archE1100ELNS1_3gpuE3ELNS1_3repE0EEENS1_30default_config_static_selectorELNS0_4arch9wavefront6targetE0EEEvT1_,@function
_ZN7rocprim17ROCPRIM_400000_NS6detail17trampoline_kernelINS0_14default_configENS1_25partition_config_selectorILNS1_17partition_subalgoE8ElNS0_10empty_typeEbEEZZNS1_14partition_implILS5_8ELb0ES3_jPlPS6_PKS6_NS0_5tupleIJS9_S6_EEENSD_IJSA_SA_EEENS0_18inequality_wrapperIZN2at6native12_GLOBAL__N_124unique_dim_cuda_templateItEESt5tupleIJNSH_6TensorESM_SM_EERKSM_lbbbEUlllE0_EEPmJS6_EEE10hipError_tPvRmT3_T4_T5_T6_T7_T9_mT8_P12ihipStream_tbDpT10_ENKUlT_T0_E_clISt17integral_constantIbLb1EES1B_IbLb0EEEEDaS17_S18_EUlS17_E_NS1_11comp_targetILNS1_3genE9ELNS1_11target_archE1100ELNS1_3gpuE3ELNS1_3repE0EEENS1_30default_config_static_selectorELNS0_4arch9wavefront6targetE0EEEvT1_: ; @_ZN7rocprim17ROCPRIM_400000_NS6detail17trampoline_kernelINS0_14default_configENS1_25partition_config_selectorILNS1_17partition_subalgoE8ElNS0_10empty_typeEbEEZZNS1_14partition_implILS5_8ELb0ES3_jPlPS6_PKS6_NS0_5tupleIJS9_S6_EEENSD_IJSA_SA_EEENS0_18inequality_wrapperIZN2at6native12_GLOBAL__N_124unique_dim_cuda_templateItEESt5tupleIJNSH_6TensorESM_SM_EERKSM_lbbbEUlllE0_EEPmJS6_EEE10hipError_tPvRmT3_T4_T5_T6_T7_T9_mT8_P12ihipStream_tbDpT10_ENKUlT_T0_E_clISt17integral_constantIbLb1EES1B_IbLb0EEEEDaS17_S18_EUlS17_E_NS1_11comp_targetILNS1_3genE9ELNS1_11target_archE1100ELNS1_3gpuE3ELNS1_3repE0EEENS1_30default_config_static_selectorELNS0_4arch9wavefront6targetE0EEEvT1_
; %bb.0:
	s_clause 0x3
	s_load_b128 s[4:7], s[0:1], 0x8
	s_load_b256 s[16:23], s[0:1], 0x40
	s_load_b32 s14, s[0:1], 0x70
	s_load_b128 s[8:11], s[0:1], 0x60
	s_mov_b32 s3, 0
	v_lshlrev_b32_e32 v39, 3, v0
	v_lshrrev_b32_e32 v17, 2, v0
	v_or_b32_e32 v24, 0x200, v0
	v_or_b32_e32 v22, 0x400, v0
	v_or_b32_e32 v23, 0x600, v0
	v_or_b32_e32 v21, 0x800, v0
	v_or_b32_e32 v20, 0xa00, v0
	v_or_b32_e32 v19, 0xc00, v0
	v_or_b32_e32 v18, 0xe00, v0
	s_waitcnt lgkmcnt(0)
	s_lshl_b64 s[24:25], s[6:7], 3
	s_load_b64 s[12:13], s[18:19], 0x0
	s_add_u32 s26, s4, s24
	s_addc_u32 s5, s5, s25
	s_add_i32 s24, s14, -1
	s_lshl_b32 s14, s14, 12
	s_lshl_b32 s4, s24, 12
	;; [unrolled: 1-line block ×3, first 2 shown]
	s_add_i32 s4, s6, s4
	s_add_u32 s18, s6, s14
	s_addc_u32 s19, s7, 0
	s_cmp_eq_u32 s15, s24
	v_cmp_ge_u64_e64 s18, s[18:19], s[20:21]
	s_cselect_b32 s14, -1, 0
	s_lshl_b64 s[2:3], s[2:3], 3
	s_delay_alu instid0(VALU_DEP_1) | instskip(NEXT) | instid1(SALU_CYCLE_1)
	s_and_b32 s24, s14, s18
	s_xor_b32 s21, s24, -1
	s_add_u32 s2, s26, s2
	s_addc_u32 s3, s5, s3
	s_and_b32 vcc_lo, exec_lo, s21
	s_mov_b32 s5, -1
	s_cbranch_vccz .LBB1439_2
; %bb.1:
	v_add_co_u32 v9, s5, s2, v39
	s_delay_alu instid0(VALU_DEP_1)
	v_add_co_ci_u32_e64 v10, null, s3, 0, s5
	global_load_b64 v[1:2], v39, s[2:3]
	v_add_co_u32 v3, vcc_lo, v9, 0x2000
	v_add_co_ci_u32_e32 v4, vcc_lo, 0, v10, vcc_lo
	v_add_co_u32 v5, vcc_lo, v9, 0x4000
	v_add_co_ci_u32_e32 v6, vcc_lo, 0, v10, vcc_lo
	;; [unrolled: 2-line block ×4, first 2 shown]
	s_clause 0x6
	global_load_b64 v[11:12], v[3:4], off offset:-4096
	global_load_b64 v[3:4], v[3:4], off
	global_load_b64 v[13:14], v[5:6], off offset:-4096
	global_load_b64 v[5:6], v[5:6], off
	;; [unrolled: 2-line block ×3, first 2 shown]
	global_load_b64 v[9:10], v[9:10], off
	v_lshrrev_b32_e32 v26, 2, v24
	v_lshrrev_b32_e32 v27, 2, v22
	v_lshrrev_b32_e32 v28, 2, v23
	v_lshrrev_b32_e32 v29, 2, v21
	v_and_b32_e32 v25, 0x78, v17
	v_lshrrev_b32_e32 v30, 2, v20
	v_lshrrev_b32_e32 v31, 2, v19
	;; [unrolled: 1-line block ×3, first 2 shown]
	v_and_b32_e32 v26, 0xf8, v26
	v_and_b32_e32 v27, 0x178, v27
	;; [unrolled: 1-line block ×4, first 2 shown]
	v_add_nc_u32_e32 v25, v25, v39
	v_and_b32_e32 v30, 0x2f8, v30
	v_and_b32_e32 v31, 0x378, v31
	;; [unrolled: 1-line block ×3, first 2 shown]
	v_add_nc_u32_e32 v26, v26, v39
	v_add_nc_u32_e32 v27, v27, v39
	v_add_nc_u32_e32 v28, v28, v39
	v_add_nc_u32_e32 v29, v29, v39
	s_mov_b32 s5, 0
	v_add_nc_u32_e32 v30, v30, v39
	v_add_nc_u32_e32 v31, v31, v39
	;; [unrolled: 1-line block ×3, first 2 shown]
	s_waitcnt vmcnt(7)
	ds_store_b64 v25, v[1:2]
	s_waitcnt vmcnt(6)
	ds_store_b64 v26, v[11:12] offset:4096
	s_waitcnt vmcnt(5)
	ds_store_b64 v27, v[3:4] offset:8192
	;; [unrolled: 2-line block ×7, first 2 shown]
	s_waitcnt lgkmcnt(0)
	s_barrier
.LBB1439_2:
	s_and_not1_b32 vcc_lo, exec_lo, s5
	s_sub_i32 s20, s20, s4
	s_cbranch_vccnz .LBB1439_13
; %bb.3:
	s_mov_b32 s4, exec_lo
                                        ; implicit-def: $vgpr1_vgpr2_vgpr3_vgpr4_vgpr5_vgpr6_vgpr7_vgpr8_vgpr9_vgpr10_vgpr11_vgpr12_vgpr13_vgpr14_vgpr15_vgpr16
	v_cmpx_gt_u32_e64 s20, v0
	s_cbranch_execnz .LBB1439_23
; %bb.4:
	s_or_b32 exec_lo, exec_lo, s4
	s_delay_alu instid0(SALU_CYCLE_1)
	s_mov_b32 s4, exec_lo
	v_cmpx_gt_u32_e64 s20, v24
	s_cbranch_execnz .LBB1439_24
.LBB1439_5:
	s_or_b32 exec_lo, exec_lo, s4
	s_delay_alu instid0(SALU_CYCLE_1)
	s_mov_b32 s4, exec_lo
	v_cmpx_gt_u32_e64 s20, v22
	s_cbranch_execnz .LBB1439_25
.LBB1439_6:
	s_or_b32 exec_lo, exec_lo, s4
	s_delay_alu instid0(SALU_CYCLE_1)
	s_mov_b32 s4, exec_lo
	v_cmpx_gt_u32_e64 s20, v23
	s_cbranch_execnz .LBB1439_26
.LBB1439_7:
	s_or_b32 exec_lo, exec_lo, s4
	s_delay_alu instid0(SALU_CYCLE_1)
	s_mov_b32 s4, exec_lo
	v_cmpx_gt_u32_e64 s20, v21
	s_cbranch_execnz .LBB1439_27
.LBB1439_8:
	s_or_b32 exec_lo, exec_lo, s4
	s_delay_alu instid0(SALU_CYCLE_1)
	s_mov_b32 s4, exec_lo
	v_cmpx_gt_u32_e64 s20, v20
	s_cbranch_execnz .LBB1439_28
.LBB1439_9:
	s_or_b32 exec_lo, exec_lo, s4
	s_delay_alu instid0(SALU_CYCLE_1)
	s_mov_b32 s4, exec_lo
	v_cmpx_gt_u32_e64 s20, v19
	s_cbranch_execnz .LBB1439_29
.LBB1439_10:
	s_or_b32 exec_lo, exec_lo, s4
	s_delay_alu instid0(SALU_CYCLE_1)
	s_mov_b32 s4, exec_lo
	v_cmpx_gt_u32_e64 s20, v18
	s_cbranch_execz .LBB1439_12
.LBB1439_11:
	v_lshlrev_b32_e32 v15, 3, v18
	global_load_b64 v[15:16], v15, s[2:3]
.LBB1439_12:
	s_or_b32 exec_lo, exec_lo, s4
	v_lshrrev_b32_e32 v24, 2, v24
	v_lshrrev_b32_e32 v22, 2, v22
	;; [unrolled: 1-line block ×4, first 2 shown]
	v_and_b32_e32 v25, 0x78, v17
	v_lshrrev_b32_e32 v20, 2, v20
	v_lshrrev_b32_e32 v19, 2, v19
	;; [unrolled: 1-line block ×3, first 2 shown]
	v_and_b32_e32 v24, 0xf8, v24
	v_and_b32_e32 v22, 0x1f8, v22
	;; [unrolled: 1-line block ×4, first 2 shown]
	v_add_nc_u32_e32 v25, v25, v39
	v_and_b32_e32 v20, 0x3f8, v20
	v_and_b32_e32 v19, 0x3f8, v19
	v_and_b32_e32 v18, 0x3f8, v18
	v_add_nc_u32_e32 v24, v24, v39
	v_add_nc_u32_e32 v22, v22, v39
	;; [unrolled: 1-line block ×7, first 2 shown]
	s_waitcnt vmcnt(0)
	ds_store_b64 v25, v[1:2]
	ds_store_b64 v24, v[3:4] offset:4096
	ds_store_b64 v22, v[5:6] offset:8192
	;; [unrolled: 1-line block ×7, first 2 shown]
	s_waitcnt lgkmcnt(0)
	s_barrier
.LBB1439_13:
	v_add_lshl_u32 v1, v17, v39, 3
	s_waitcnt lgkmcnt(0)
	buffer_gl0_inv
	s_cmp_lg_u32 s15, 0
	v_cmp_gt_i64_e64 s26, s[22:23], 0
	s_cselect_b32 s25, -1, 0
	ds_load_2addr_b64 v[13:16], v1 offset1:1
	ds_load_2addr_b64 v[9:12], v1 offset0:2 offset1:3
	ds_load_2addr_b64 v[5:8], v1 offset0:4 offset1:5
	;; [unrolled: 1-line block ×3, first 2 shown]
	s_cmp_lg_u64 s[6:7], 0
	s_mov_b32 s18, 0
	s_cselect_b32 s4, -1, 0
	s_waitcnt lgkmcnt(0)
	s_or_b32 s4, s25, s4
	s_barrier
	s_and_b32 vcc_lo, exec_lo, s4
	buffer_gl0_inv
	s_cbranch_vccz .LBB1439_22
; %bb.14:
	s_add_u32 s2, s2, -8
	s_addc_u32 s3, s3, -1
	v_cndmask_b32_e64 v25, 0, 1, s26
	s_load_b64 s[4:5], s[2:3], 0x0
	s_and_b32 vcc_lo, exec_lo, s21
	ds_store_b64 v39, v[3:4]
	v_cmp_ne_u32_e64 s2, 1, v25
	s_cbranch_vccz .LBB1439_30
; %bb.15:
	v_mul_lo_u32 v19, v2, s22
	v_mul_lo_u32 v20, v1, s23
	v_mad_u64_u32 v[17:18], null, v1, s22, 0
	s_mov_b32 s3, 0
	s_and_b32 vcc_lo, exec_lo, s2
	s_mov_b32 s27, 0
	s_delay_alu instid0(VALU_DEP_1) | instskip(NEXT) | instid1(VALU_DEP_1)
	v_add3_u32 v18, v18, v20, v19
	v_lshlrev_b64 v[17:18], 1, v[17:18]
	s_cbranch_vccnz .LBB1439_33
; %bb.16:
	v_mul_lo_u32 v21, v4, s22
	v_mul_lo_u32 v22, v3, s23
	v_mad_u64_u32 v[19:20], null, v3, s22, 0
	s_mov_b32 s27, -1
	s_mov_b32 s28, exec_lo
	s_delay_alu instid0(VALU_DEP_1) | instskip(SKIP_2) | instid1(VALU_DEP_3)
	v_add3_u32 v20, v20, v22, v21
	v_add_co_u32 v21, vcc_lo, s8, v17
	v_add_co_ci_u32_e32 v22, vcc_lo, s9, v18, vcc_lo
	v_lshlrev_b64 v[19:20], 1, v[19:20]
	s_delay_alu instid0(VALU_DEP_1) | instskip(NEXT) | instid1(VALU_DEP_2)
	v_add_co_u32 v19, vcc_lo, s8, v19
	v_add_co_ci_u32_e32 v20, vcc_lo, s9, v20, vcc_lo
	s_clause 0x1
	global_load_u16 v23, v[21:22], off
	global_load_u16 v24, v[19:20], off
	s_waitcnt vmcnt(0)
	v_cmpx_eq_u16_e64 v23, v24
	s_cbranch_execz .LBB1439_32
; %bb.17:
	v_add_co_u32 v19, vcc_lo, v19, 2
	v_add_co_ci_u32_e32 v20, vcc_lo, 0, v20, vcc_lo
	v_add_co_u32 v21, vcc_lo, v21, 2
	v_add_co_ci_u32_e32 v22, vcc_lo, 0, v22, vcc_lo
	s_add_u32 s6, s22, -1
	s_addc_u32 s7, s23, -1
	s_mov_b64 s[18:19], 0
	s_mov_b32 s27, 0
                                        ; implicit-def: $sgpr29
	s_set_inst_prefetch_distance 0x1
	s_branch .LBB1439_20
	.p2align	6
.LBB1439_18:                            ;   in Loop: Header=BB1439_20 Depth=1
	global_load_u16 v23, v[21:22], off
	global_load_u16 v24, v[19:20], off
	v_add_co_u32 v19, vcc_lo, v19, 2
	v_add_co_ci_u32_e32 v20, vcc_lo, 0, v20, vcc_lo
	v_add_co_u32 v21, s2, v21, 2
	s_delay_alu instid0(VALU_DEP_1)
	v_add_co_ci_u32_e64 v22, s2, 0, v22, s2
	s_add_u32 s18, s18, 1
	s_addc_u32 s19, s19, 0
	s_and_not1_b32 s2, s29, exec_lo
	s_waitcnt vmcnt(0)
	v_cmp_ne_u16_e32 vcc_lo, v23, v24
	s_and_b32 s29, vcc_lo, exec_lo
	s_delay_alu instid0(SALU_CYCLE_1)
	s_or_b32 s29, s2, s29
.LBB1439_19:                            ;   in Loop: Header=BB1439_20 Depth=1
	v_dual_mov_b32 v24, s19 :: v_dual_mov_b32 v23, s18
	s_and_b32 s2, exec_lo, s29
	s_delay_alu instid0(SALU_CYCLE_1) | instskip(NEXT) | instid1(SALU_CYCLE_1)
	s_or_b32 s27, s2, s27
	s_and_not1_b32 exec_lo, exec_lo, s27
	s_cbranch_execz .LBB1439_31
.LBB1439_20:                            ; =>This Inner Loop Header: Depth=1
	s_or_b32 s29, s29, exec_lo
	s_cmp_eq_u64 s[6:7], s[18:19]
	s_cbranch_scc0 .LBB1439_18
; %bb.21:                               ;   in Loop: Header=BB1439_20 Depth=1
	s_mov_b64 s[18:19], s[22:23]
                                        ; implicit-def: $vgpr19_vgpr20
                                        ; implicit-def: $vgpr21_vgpr22
	s_branch .LBB1439_19
.LBB1439_22:
                                        ; implicit-def: $sgpr2
                                        ; implicit-def: $vgpr18
	s_branch .LBB1439_191
.LBB1439_23:
	global_load_b64 v[1:2], v39, s[2:3]
	s_or_b32 exec_lo, exec_lo, s4
	s_delay_alu instid0(SALU_CYCLE_1)
	s_mov_b32 s4, exec_lo
	v_cmpx_gt_u32_e64 s20, v24
	s_cbranch_execz .LBB1439_5
.LBB1439_24:
	v_lshlrev_b32_e32 v3, 3, v24
	global_load_b64 v[3:4], v3, s[2:3]
	s_or_b32 exec_lo, exec_lo, s4
	s_delay_alu instid0(SALU_CYCLE_1)
	s_mov_b32 s4, exec_lo
	v_cmpx_gt_u32_e64 s20, v22
	s_cbranch_execz .LBB1439_6
.LBB1439_25:
	v_lshlrev_b32_e32 v5, 3, v22
	global_load_b64 v[5:6], v5, s[2:3]
	s_or_b32 exec_lo, exec_lo, s4
	s_delay_alu instid0(SALU_CYCLE_1)
	s_mov_b32 s4, exec_lo
	v_cmpx_gt_u32_e64 s20, v23
	s_cbranch_execz .LBB1439_7
.LBB1439_26:
	v_lshlrev_b32_e32 v7, 3, v23
	global_load_b64 v[7:8], v7, s[2:3]
	s_or_b32 exec_lo, exec_lo, s4
	s_delay_alu instid0(SALU_CYCLE_1)
	s_mov_b32 s4, exec_lo
	v_cmpx_gt_u32_e64 s20, v21
	s_cbranch_execz .LBB1439_8
.LBB1439_27:
	v_lshlrev_b32_e32 v9, 3, v21
	global_load_b64 v[9:10], v9, s[2:3]
	s_or_b32 exec_lo, exec_lo, s4
	s_delay_alu instid0(SALU_CYCLE_1)
	s_mov_b32 s4, exec_lo
	v_cmpx_gt_u32_e64 s20, v20
	s_cbranch_execz .LBB1439_9
.LBB1439_28:
	v_lshlrev_b32_e32 v11, 3, v20
	global_load_b64 v[11:12], v11, s[2:3]
	s_or_b32 exec_lo, exec_lo, s4
	s_delay_alu instid0(SALU_CYCLE_1)
	s_mov_b32 s4, exec_lo
	v_cmpx_gt_u32_e64 s20, v19
	s_cbranch_execz .LBB1439_10
.LBB1439_29:
	v_lshlrev_b32_e32 v13, 3, v19
	global_load_b64 v[13:14], v13, s[2:3]
	s_or_b32 exec_lo, exec_lo, s4
	s_delay_alu instid0(SALU_CYCLE_1)
	s_mov_b32 s4, exec_lo
	v_cmpx_gt_u32_e64 s20, v18
	s_cbranch_execnz .LBB1439_11
	s_branch .LBB1439_12
.LBB1439_30:
                                        ; implicit-def: $sgpr2
                                        ; implicit-def: $vgpr18
	s_cbranch_execnz .LBB1439_99
	s_branch .LBB1439_190
.LBB1439_31:
	s_set_inst_prefetch_distance 0x2
	s_or_b32 exec_lo, exec_lo, s27
	v_cmp_gt_i64_e32 vcc_lo, s[22:23], v[23:24]
	s_or_not1_b32 s27, vcc_lo, exec_lo
.LBB1439_32:
	s_or_b32 exec_lo, exec_lo, s28
.LBB1439_33:
	v_mul_lo_u32 v21, v8, s22
	v_mul_lo_u32 v22, v7, s23
	v_mad_u64_u32 v[19:20], null, v7, s22, 0
	s_and_not1_b32 vcc_lo, exec_lo, s26
	s_delay_alu instid0(VALU_DEP_1) | instskip(NEXT) | instid1(VALU_DEP_1)
	v_add3_u32 v20, v20, v22, v21
	v_lshlrev_b64 v[19:20], 1, v[19:20]
	s_cbranch_vccnz .LBB1439_42
; %bb.34:
	s_delay_alu instid0(VALU_DEP_1) | instskip(NEXT) | instid1(VALU_DEP_2)
	v_add_co_u32 v21, vcc_lo, s8, v19
	v_add_co_ci_u32_e32 v22, vcc_lo, s9, v20, vcc_lo
	v_add_co_u32 v17, vcc_lo, s8, v17
	v_add_co_ci_u32_e32 v18, vcc_lo, s9, v18, vcc_lo
	s_mov_b32 s3, -1
	s_clause 0x1
	global_load_u16 v23, v[21:22], off
	global_load_u16 v24, v[17:18], off
	s_mov_b32 s28, exec_lo
	s_waitcnt vmcnt(0)
	v_cmpx_eq_u16_e64 v23, v24
	s_cbranch_execz .LBB1439_41
; %bb.35:
	v_add_co_u32 v17, vcc_lo, v17, 2
	v_add_co_ci_u32_e32 v18, vcc_lo, 0, v18, vcc_lo
	v_add_co_u32 v21, vcc_lo, v21, 2
	v_add_co_ci_u32_e32 v22, vcc_lo, 0, v22, vcc_lo
	s_add_u32 s6, s22, -1
	s_addc_u32 s7, s23, -1
	s_mov_b64 s[18:19], 0
	s_mov_b32 s3, 0
                                        ; implicit-def: $sgpr29
	s_set_inst_prefetch_distance 0x1
	s_branch .LBB1439_38
	.p2align	6
.LBB1439_36:                            ;   in Loop: Header=BB1439_38 Depth=1
	global_load_u16 v23, v[21:22], off
	global_load_u16 v24, v[17:18], off
	v_add_co_u32 v17, vcc_lo, v17, 2
	v_add_co_ci_u32_e32 v18, vcc_lo, 0, v18, vcc_lo
	v_add_co_u32 v21, s2, v21, 2
	s_delay_alu instid0(VALU_DEP_1)
	v_add_co_ci_u32_e64 v22, s2, 0, v22, s2
	s_add_u32 s18, s18, 1
	s_addc_u32 s19, s19, 0
	s_and_not1_b32 s2, s29, exec_lo
	s_waitcnt vmcnt(0)
	v_cmp_ne_u16_e32 vcc_lo, v23, v24
	s_and_b32 s29, vcc_lo, exec_lo
	s_delay_alu instid0(SALU_CYCLE_1)
	s_or_b32 s29, s2, s29
.LBB1439_37:                            ;   in Loop: Header=BB1439_38 Depth=1
	v_dual_mov_b32 v24, s19 :: v_dual_mov_b32 v23, s18
	s_and_b32 s2, exec_lo, s29
	s_delay_alu instid0(SALU_CYCLE_1) | instskip(NEXT) | instid1(SALU_CYCLE_1)
	s_or_b32 s3, s2, s3
	s_and_not1_b32 exec_lo, exec_lo, s3
	s_cbranch_execz .LBB1439_40
.LBB1439_38:                            ; =>This Inner Loop Header: Depth=1
	s_or_b32 s29, s29, exec_lo
	s_cmp_eq_u64 s[6:7], s[18:19]
	s_cbranch_scc0 .LBB1439_36
; %bb.39:                               ;   in Loop: Header=BB1439_38 Depth=1
	s_mov_b64 s[18:19], s[22:23]
                                        ; implicit-def: $vgpr17_vgpr18
                                        ; implicit-def: $vgpr21_vgpr22
	s_branch .LBB1439_37
.LBB1439_40:
	s_set_inst_prefetch_distance 0x2
	s_or_b32 exec_lo, exec_lo, s3
	v_cmp_gt_i64_e32 vcc_lo, s[22:23], v[23:24]
	s_or_not1_b32 s3, vcc_lo, exec_lo
.LBB1439_41:
	s_or_b32 exec_lo, exec_lo, s28
.LBB1439_42:
	v_mul_lo_u32 v21, v6, s22
	v_mul_lo_u32 v22, v5, s23
	v_mad_u64_u32 v[17:18], null, v5, s22, 0
	s_mov_b32 s28, 0
	s_and_not1_b32 vcc_lo, exec_lo, s26
	s_mov_b32 s29, 0
	s_delay_alu instid0(VALU_DEP_1) | instskip(NEXT) | instid1(VALU_DEP_1)
	v_add3_u32 v18, v18, v22, v21
	v_lshlrev_b64 v[21:22], 1, v[17:18]
	s_cbranch_vccnz .LBB1439_51
; %bb.43:
	s_delay_alu instid0(VALU_DEP_1) | instskip(NEXT) | instid1(VALU_DEP_2)
	v_add_co_u32 v23, vcc_lo, s8, v21
	v_add_co_ci_u32_e32 v24, vcc_lo, s9, v22, vcc_lo
	v_add_co_u32 v17, vcc_lo, s8, v19
	v_add_co_ci_u32_e32 v18, vcc_lo, s9, v20, vcc_lo
	s_mov_b32 s29, -1
	s_clause 0x1
	global_load_u16 v19, v[23:24], off
	global_load_u16 v20, v[17:18], off
	s_mov_b32 s30, exec_lo
	s_waitcnt vmcnt(0)
	v_cmpx_eq_u16_e64 v19, v20
	s_cbranch_execz .LBB1439_50
; %bb.44:
	v_add_co_u32 v17, vcc_lo, v17, 2
	v_add_co_ci_u32_e32 v18, vcc_lo, 0, v18, vcc_lo
	v_add_co_u32 v19, vcc_lo, v23, 2
	v_add_co_ci_u32_e32 v20, vcc_lo, 0, v24, vcc_lo
	s_add_u32 s6, s22, -1
	s_addc_u32 s7, s23, -1
	s_mov_b64 s[18:19], 0
	s_mov_b32 s29, 0
                                        ; implicit-def: $sgpr31
	s_set_inst_prefetch_distance 0x1
	s_branch .LBB1439_47
	.p2align	6
.LBB1439_45:                            ;   in Loop: Header=BB1439_47 Depth=1
	global_load_u16 v23, v[19:20], off
	global_load_u16 v24, v[17:18], off
	v_add_co_u32 v17, vcc_lo, v17, 2
	v_add_co_ci_u32_e32 v18, vcc_lo, 0, v18, vcc_lo
	v_add_co_u32 v19, s2, v19, 2
	s_delay_alu instid0(VALU_DEP_1)
	v_add_co_ci_u32_e64 v20, s2, 0, v20, s2
	s_add_u32 s18, s18, 1
	s_addc_u32 s19, s19, 0
	s_and_not1_b32 s2, s31, exec_lo
	s_waitcnt vmcnt(0)
	v_cmp_ne_u16_e32 vcc_lo, v23, v24
	s_and_b32 s31, vcc_lo, exec_lo
	s_delay_alu instid0(SALU_CYCLE_1)
	s_or_b32 s31, s2, s31
.LBB1439_46:                            ;   in Loop: Header=BB1439_47 Depth=1
	v_dual_mov_b32 v24, s19 :: v_dual_mov_b32 v23, s18
	s_and_b32 s2, exec_lo, s31
	s_delay_alu instid0(SALU_CYCLE_1) | instskip(NEXT) | instid1(SALU_CYCLE_1)
	s_or_b32 s29, s2, s29
	s_and_not1_b32 exec_lo, exec_lo, s29
	s_cbranch_execz .LBB1439_49
.LBB1439_47:                            ; =>This Inner Loop Header: Depth=1
	s_or_b32 s31, s31, exec_lo
	s_cmp_eq_u64 s[6:7], s[18:19]
	s_cbranch_scc0 .LBB1439_45
; %bb.48:                               ;   in Loop: Header=BB1439_47 Depth=1
	s_mov_b64 s[18:19], s[22:23]
                                        ; implicit-def: $vgpr17_vgpr18
                                        ; implicit-def: $vgpr19_vgpr20
	s_branch .LBB1439_46
.LBB1439_49:
	s_set_inst_prefetch_distance 0x2
	s_or_b32 exec_lo, exec_lo, s29
	v_cmp_gt_i64_e32 vcc_lo, s[22:23], v[23:24]
	s_or_not1_b32 s29, vcc_lo, exec_lo
.LBB1439_50:
	s_or_b32 exec_lo, exec_lo, s30
.LBB1439_51:
	v_mul_lo_u32 v19, v12, s22
	v_mul_lo_u32 v20, v11, s23
	v_mad_u64_u32 v[17:18], null, v11, s22, 0
	s_and_not1_b32 vcc_lo, exec_lo, s26
	s_delay_alu instid0(VALU_DEP_1) | instskip(NEXT) | instid1(VALU_DEP_1)
	v_add3_u32 v18, v18, v20, v19
	v_lshlrev_b64 v[17:18], 1, v[17:18]
	s_cbranch_vccnz .LBB1439_60
; %bb.52:
	s_delay_alu instid0(VALU_DEP_1) | instskip(NEXT) | instid1(VALU_DEP_2)
	v_add_co_u32 v23, vcc_lo, s8, v17
	v_add_co_ci_u32_e32 v24, vcc_lo, s9, v18, vcc_lo
	v_add_co_u32 v19, vcc_lo, s8, v21
	v_add_co_ci_u32_e32 v20, vcc_lo, s9, v22, vcc_lo
	s_mov_b32 s28, -1
	s_clause 0x1
	global_load_u16 v21, v[23:24], off
	global_load_u16 v22, v[19:20], off
	s_mov_b32 s30, exec_lo
	s_waitcnt vmcnt(0)
	v_cmpx_eq_u16_e64 v21, v22
	s_cbranch_execz .LBB1439_59
; %bb.53:
	v_add_co_u32 v19, vcc_lo, v19, 2
	v_add_co_ci_u32_e32 v20, vcc_lo, 0, v20, vcc_lo
	v_add_co_u32 v21, vcc_lo, v23, 2
	v_add_co_ci_u32_e32 v22, vcc_lo, 0, v24, vcc_lo
	s_add_u32 s6, s22, -1
	s_addc_u32 s7, s23, -1
	s_mov_b64 s[18:19], 0
	s_mov_b32 s28, 0
                                        ; implicit-def: $sgpr31
	s_set_inst_prefetch_distance 0x1
	s_branch .LBB1439_56
	.p2align	6
.LBB1439_54:                            ;   in Loop: Header=BB1439_56 Depth=1
	global_load_u16 v23, v[21:22], off
	global_load_u16 v24, v[19:20], off
	v_add_co_u32 v19, vcc_lo, v19, 2
	v_add_co_ci_u32_e32 v20, vcc_lo, 0, v20, vcc_lo
	v_add_co_u32 v21, s2, v21, 2
	s_delay_alu instid0(VALU_DEP_1)
	v_add_co_ci_u32_e64 v22, s2, 0, v22, s2
	s_add_u32 s18, s18, 1
	s_addc_u32 s19, s19, 0
	s_and_not1_b32 s2, s31, exec_lo
	s_waitcnt vmcnt(0)
	v_cmp_ne_u16_e32 vcc_lo, v23, v24
	s_and_b32 s31, vcc_lo, exec_lo
	s_delay_alu instid0(SALU_CYCLE_1)
	s_or_b32 s31, s2, s31
.LBB1439_55:                            ;   in Loop: Header=BB1439_56 Depth=1
	v_dual_mov_b32 v24, s19 :: v_dual_mov_b32 v23, s18
	s_and_b32 s2, exec_lo, s31
	s_delay_alu instid0(SALU_CYCLE_1) | instskip(NEXT) | instid1(SALU_CYCLE_1)
	s_or_b32 s28, s2, s28
	s_and_not1_b32 exec_lo, exec_lo, s28
	s_cbranch_execz .LBB1439_58
.LBB1439_56:                            ; =>This Inner Loop Header: Depth=1
	s_or_b32 s31, s31, exec_lo
	s_cmp_eq_u64 s[6:7], s[18:19]
	s_cbranch_scc0 .LBB1439_54
; %bb.57:                               ;   in Loop: Header=BB1439_56 Depth=1
	s_mov_b64 s[18:19], s[22:23]
                                        ; implicit-def: $vgpr19_vgpr20
                                        ; implicit-def: $vgpr21_vgpr22
	s_branch .LBB1439_55
.LBB1439_58:
	s_set_inst_prefetch_distance 0x2
	s_or_b32 exec_lo, exec_lo, s28
	v_cmp_gt_i64_e32 vcc_lo, s[22:23], v[23:24]
	s_or_not1_b32 s28, vcc_lo, exec_lo
.LBB1439_59:
	s_or_b32 exec_lo, exec_lo, s30
.LBB1439_60:
	v_mul_lo_u32 v21, v10, s22
	v_mul_lo_u32 v22, v9, s23
	v_mad_u64_u32 v[19:20], null, v9, s22, 0
	s_mov_b32 s30, 0
	s_and_not1_b32 vcc_lo, exec_lo, s26
	s_mov_b32 s31, 0
	s_delay_alu instid0(VALU_DEP_1) | instskip(NEXT) | instid1(VALU_DEP_1)
	v_add3_u32 v20, v20, v22, v21
	v_lshlrev_b64 v[21:22], 1, v[19:20]
	s_cbranch_vccnz .LBB1439_69
; %bb.61:
	s_delay_alu instid0(VALU_DEP_1) | instskip(NEXT) | instid1(VALU_DEP_2)
	v_add_co_u32 v19, vcc_lo, s8, v21
	v_add_co_ci_u32_e32 v20, vcc_lo, s9, v22, vcc_lo
	v_add_co_u32 v17, vcc_lo, s8, v17
	v_add_co_ci_u32_e32 v18, vcc_lo, s9, v18, vcc_lo
	s_mov_b32 s31, -1
	s_clause 0x1
	global_load_u16 v23, v[19:20], off
	global_load_u16 v24, v[17:18], off
	s_mov_b32 s33, exec_lo
	s_waitcnt vmcnt(0)
	v_cmpx_eq_u16_e64 v23, v24
	s_cbranch_execz .LBB1439_68
; %bb.62:
	v_add_co_u32 v17, vcc_lo, v17, 2
	v_add_co_ci_u32_e32 v18, vcc_lo, 0, v18, vcc_lo
	v_add_co_u32 v19, vcc_lo, v19, 2
	v_add_co_ci_u32_e32 v20, vcc_lo, 0, v20, vcc_lo
	s_add_u32 s6, s22, -1
	s_addc_u32 s7, s23, -1
	s_mov_b64 s[18:19], 0
	s_mov_b32 s31, 0
                                        ; implicit-def: $sgpr34
	s_set_inst_prefetch_distance 0x1
	s_branch .LBB1439_65
	.p2align	6
.LBB1439_63:                            ;   in Loop: Header=BB1439_65 Depth=1
	global_load_u16 v23, v[19:20], off
	global_load_u16 v24, v[17:18], off
	v_add_co_u32 v17, vcc_lo, v17, 2
	v_add_co_ci_u32_e32 v18, vcc_lo, 0, v18, vcc_lo
	v_add_co_u32 v19, s2, v19, 2
	s_delay_alu instid0(VALU_DEP_1)
	v_add_co_ci_u32_e64 v20, s2, 0, v20, s2
	s_add_u32 s18, s18, 1
	s_addc_u32 s19, s19, 0
	s_and_not1_b32 s2, s34, exec_lo
	s_waitcnt vmcnt(0)
	v_cmp_ne_u16_e32 vcc_lo, v23, v24
	s_and_b32 s34, vcc_lo, exec_lo
	s_delay_alu instid0(SALU_CYCLE_1)
	s_or_b32 s34, s2, s34
.LBB1439_64:                            ;   in Loop: Header=BB1439_65 Depth=1
	v_dual_mov_b32 v24, s19 :: v_dual_mov_b32 v23, s18
	s_and_b32 s2, exec_lo, s34
	s_delay_alu instid0(SALU_CYCLE_1) | instskip(NEXT) | instid1(SALU_CYCLE_1)
	s_or_b32 s31, s2, s31
	s_and_not1_b32 exec_lo, exec_lo, s31
	s_cbranch_execz .LBB1439_67
.LBB1439_65:                            ; =>This Inner Loop Header: Depth=1
	s_or_b32 s34, s34, exec_lo
	s_cmp_eq_u64 s[6:7], s[18:19]
	s_cbranch_scc0 .LBB1439_63
; %bb.66:                               ;   in Loop: Header=BB1439_65 Depth=1
	s_mov_b64 s[18:19], s[22:23]
                                        ; implicit-def: $vgpr17_vgpr18
                                        ; implicit-def: $vgpr19_vgpr20
	s_branch .LBB1439_64
.LBB1439_67:
	s_set_inst_prefetch_distance 0x2
	s_or_b32 exec_lo, exec_lo, s31
	v_cmp_gt_i64_e32 vcc_lo, s[22:23], v[23:24]
	s_or_not1_b32 s31, vcc_lo, exec_lo
.LBB1439_68:
	s_or_b32 exec_lo, exec_lo, s33
.LBB1439_69:
	v_mul_lo_u32 v19, v16, s22
	v_mul_lo_u32 v20, v15, s23
	v_mad_u64_u32 v[17:18], null, v15, s22, 0
	s_and_not1_b32 vcc_lo, exec_lo, s26
	s_delay_alu instid0(VALU_DEP_1) | instskip(NEXT) | instid1(VALU_DEP_1)
	v_add3_u32 v18, v18, v20, v19
	v_lshlrev_b64 v[19:20], 1, v[17:18]
	s_cbranch_vccnz .LBB1439_78
; %bb.70:
	s_delay_alu instid0(VALU_DEP_1) | instskip(NEXT) | instid1(VALU_DEP_2)
	v_add_co_u32 v23, vcc_lo, s8, v19
	v_add_co_ci_u32_e32 v24, vcc_lo, s9, v20, vcc_lo
	v_add_co_u32 v17, vcc_lo, s8, v21
	v_add_co_ci_u32_e32 v18, vcc_lo, s9, v22, vcc_lo
	s_mov_b32 s30, -1
	s_clause 0x1
	global_load_u16 v21, v[23:24], off
	global_load_u16 v22, v[17:18], off
	s_mov_b32 s33, exec_lo
	s_waitcnt vmcnt(0)
	v_cmpx_eq_u16_e64 v21, v22
	s_cbranch_execz .LBB1439_77
; %bb.71:
	v_add_co_u32 v17, vcc_lo, v17, 2
	v_add_co_ci_u32_e32 v18, vcc_lo, 0, v18, vcc_lo
	v_add_co_u32 v21, vcc_lo, v23, 2
	v_add_co_ci_u32_e32 v22, vcc_lo, 0, v24, vcc_lo
	s_add_u32 s6, s22, -1
	s_addc_u32 s7, s23, -1
	s_mov_b64 s[18:19], 0
	s_mov_b32 s30, 0
                                        ; implicit-def: $sgpr34
	s_set_inst_prefetch_distance 0x1
	s_branch .LBB1439_74
	.p2align	6
.LBB1439_72:                            ;   in Loop: Header=BB1439_74 Depth=1
	global_load_u16 v23, v[21:22], off
	global_load_u16 v24, v[17:18], off
	v_add_co_u32 v17, vcc_lo, v17, 2
	v_add_co_ci_u32_e32 v18, vcc_lo, 0, v18, vcc_lo
	v_add_co_u32 v21, s2, v21, 2
	s_delay_alu instid0(VALU_DEP_1)
	v_add_co_ci_u32_e64 v22, s2, 0, v22, s2
	s_add_u32 s18, s18, 1
	s_addc_u32 s19, s19, 0
	s_and_not1_b32 s2, s34, exec_lo
	s_waitcnt vmcnt(0)
	v_cmp_ne_u16_e32 vcc_lo, v23, v24
	s_and_b32 s34, vcc_lo, exec_lo
	s_delay_alu instid0(SALU_CYCLE_1)
	s_or_b32 s34, s2, s34
.LBB1439_73:                            ;   in Loop: Header=BB1439_74 Depth=1
	v_dual_mov_b32 v24, s19 :: v_dual_mov_b32 v23, s18
	s_and_b32 s2, exec_lo, s34
	s_delay_alu instid0(SALU_CYCLE_1) | instskip(NEXT) | instid1(SALU_CYCLE_1)
	s_or_b32 s30, s2, s30
	s_and_not1_b32 exec_lo, exec_lo, s30
	s_cbranch_execz .LBB1439_76
.LBB1439_74:                            ; =>This Inner Loop Header: Depth=1
	s_or_b32 s34, s34, exec_lo
	s_cmp_eq_u64 s[6:7], s[18:19]
	s_cbranch_scc0 .LBB1439_72
; %bb.75:                               ;   in Loop: Header=BB1439_74 Depth=1
	s_mov_b64 s[18:19], s[22:23]
                                        ; implicit-def: $vgpr17_vgpr18
                                        ; implicit-def: $vgpr21_vgpr22
	s_branch .LBB1439_73
.LBB1439_76:
	s_set_inst_prefetch_distance 0x2
	s_or_b32 exec_lo, exec_lo, s30
	v_cmp_gt_i64_e32 vcc_lo, s[22:23], v[23:24]
	s_or_not1_b32 s30, vcc_lo, exec_lo
.LBB1439_77:
	s_or_b32 exec_lo, exec_lo, s33
.LBB1439_78:
	v_mul_lo_u32 v21, v14, s22
	v_mul_lo_u32 v22, v13, s23
	v_mad_u64_u32 v[17:18], null, v13, s22, 0
	s_and_not1_b32 vcc_lo, exec_lo, s26
	s_mov_b32 s2, 0
	s_delay_alu instid0(VALU_DEP_1) | instskip(NEXT) | instid1(VALU_DEP_1)
	v_add3_u32 v18, v18, v22, v21
	v_lshlrev_b64 v[17:18], 1, v[17:18]
	s_cbranch_vccnz .LBB1439_87
; %bb.79:
	s_delay_alu instid0(VALU_DEP_1) | instskip(NEXT) | instid1(VALU_DEP_2)
	v_add_co_u32 v21, vcc_lo, s8, v17
	v_add_co_ci_u32_e32 v22, vcc_lo, s9, v18, vcc_lo
	v_add_co_u32 v19, vcc_lo, s8, v19
	v_add_co_ci_u32_e32 v20, vcc_lo, s9, v20, vcc_lo
	s_mov_b32 s2, -1
	s_clause 0x1
	global_load_u16 v23, v[21:22], off
	global_load_u16 v24, v[19:20], off
	s_mov_b32 s33, exec_lo
	s_waitcnt vmcnt(0)
	v_cmpx_eq_u16_e64 v23, v24
	s_cbranch_execz .LBB1439_86
; %bb.80:
	v_add_co_u32 v19, vcc_lo, v19, 2
	v_add_co_ci_u32_e32 v20, vcc_lo, 0, v20, vcc_lo
	v_add_co_u32 v21, vcc_lo, v21, 2
	v_add_co_ci_u32_e32 v22, vcc_lo, 0, v22, vcc_lo
	s_add_u32 s6, s22, -1
	s_addc_u32 s7, s23, -1
	s_mov_b64 s[18:19], 0
	s_mov_b32 s34, 0
                                        ; implicit-def: $sgpr35
	s_set_inst_prefetch_distance 0x1
	s_branch .LBB1439_83
	.p2align	6
.LBB1439_81:                            ;   in Loop: Header=BB1439_83 Depth=1
	global_load_u16 v23, v[21:22], off
	global_load_u16 v24, v[19:20], off
	v_add_co_u32 v19, vcc_lo, v19, 2
	v_add_co_ci_u32_e32 v20, vcc_lo, 0, v20, vcc_lo
	v_add_co_u32 v21, s2, v21, 2
	s_delay_alu instid0(VALU_DEP_1)
	v_add_co_ci_u32_e64 v22, s2, 0, v22, s2
	s_add_u32 s18, s18, 1
	s_addc_u32 s19, s19, 0
	s_and_not1_b32 s2, s35, exec_lo
	s_waitcnt vmcnt(0)
	v_cmp_ne_u16_e32 vcc_lo, v23, v24
	s_and_b32 s35, vcc_lo, exec_lo
	s_delay_alu instid0(SALU_CYCLE_1)
	s_or_b32 s35, s2, s35
.LBB1439_82:                            ;   in Loop: Header=BB1439_83 Depth=1
	v_dual_mov_b32 v24, s19 :: v_dual_mov_b32 v23, s18
	s_and_b32 s2, exec_lo, s35
	s_delay_alu instid0(SALU_CYCLE_1) | instskip(NEXT) | instid1(SALU_CYCLE_1)
	s_or_b32 s34, s2, s34
	s_and_not1_b32 exec_lo, exec_lo, s34
	s_cbranch_execz .LBB1439_85
.LBB1439_83:                            ; =>This Inner Loop Header: Depth=1
	s_or_b32 s35, s35, exec_lo
	s_cmp_eq_u64 s[6:7], s[18:19]
	s_cbranch_scc0 .LBB1439_81
; %bb.84:                               ;   in Loop: Header=BB1439_83 Depth=1
	s_mov_b64 s[18:19], s[22:23]
                                        ; implicit-def: $vgpr19_vgpr20
                                        ; implicit-def: $vgpr21_vgpr22
	s_branch .LBB1439_82
.LBB1439_85:
	s_set_inst_prefetch_distance 0x2
	s_or_b32 exec_lo, exec_lo, s34
	v_cmp_gt_i64_e32 vcc_lo, s[22:23], v[23:24]
	s_or_not1_b32 s2, vcc_lo, exec_lo
.LBB1439_86:
	s_or_b32 exec_lo, exec_lo, s33
.LBB1439_87:
	s_waitcnt lgkmcnt(0)
	v_dual_mov_b32 v20, s5 :: v_dual_mov_b32 v19, s4
	s_mov_b32 s6, exec_lo
	s_barrier
	buffer_gl0_inv
	v_cmpx_ne_u32_e32 0, v0
	s_cbranch_execz .LBB1439_89
; %bb.88:
	v_add_nc_u32_e32 v19, -8, v39
	ds_load_b64 v[19:20], v19
.LBB1439_89:
	s_or_b32 exec_lo, exec_lo, s6
	v_cndmask_b32_e64 v22, 0, 1, s31
	v_cndmask_b32_e64 v24, 0, 1, s29
	;; [unrolled: 1-line block ×7, first 2 shown]
	v_lshlrev_b16 v22, 8, v22
	v_lshlrev_b16 v24, 8, v24
	v_lshlrev_b16 v26, 8, v26
	v_lshlrev_b16 v27, 8, v27
	s_mov_b32 s3, 0
	v_or_b32_e32 v21, v21, v22
	v_or_b32_e32 v22, v23, v24
	;; [unrolled: 1-line block ×3, first 2 shown]
	v_and_b32_e32 v23, 0xffff, v27
	s_and_not1_b32 vcc_lo, exec_lo, s26
	v_lshlrev_b32_e32 v24, 16, v21
	v_and_b32_e32 v26, 0xffff, v22
	v_lshlrev_b32_e32 v27, 16, v28
	s_mov_b32 s2, 0
	s_cbranch_vccnz .LBB1439_98
; %bb.90:
	s_waitcnt lgkmcnt(0)
	v_mul_lo_u32 v22, v20, s22
	v_mul_lo_u32 v28, v19, s23
	v_mad_u64_u32 v[20:21], null, v19, s22, 0
	s_mov_b32 s2, -1
	s_mov_b32 s27, exec_lo
	s_delay_alu instid0(VALU_DEP_1) | instskip(NEXT) | instid1(VALU_DEP_1)
	v_add3_u32 v21, v21, v28, v22
	v_lshlrev_b64 v[19:20], 1, v[20:21]
	s_delay_alu instid0(VALU_DEP_1) | instskip(NEXT) | instid1(VALU_DEP_2)
	v_add_co_u32 v19, vcc_lo, s8, v19
	v_add_co_ci_u32_e32 v20, vcc_lo, s9, v20, vcc_lo
	v_add_co_u32 v17, vcc_lo, s8, v17
	v_add_co_ci_u32_e32 v18, vcc_lo, s9, v18, vcc_lo
	s_clause 0x1
	global_load_u16 v21, v[19:20], off
	global_load_u16 v22, v[17:18], off
	s_waitcnt vmcnt(0)
	v_cmpx_eq_u16_e64 v21, v22
	s_cbranch_execz .LBB1439_97
; %bb.91:
	v_add_co_u32 v17, vcc_lo, v17, 2
	v_add_co_ci_u32_e32 v18, vcc_lo, 0, v18, vcc_lo
	v_add_co_u32 v19, vcc_lo, v19, 2
	v_add_co_ci_u32_e32 v20, vcc_lo, 0, v20, vcc_lo
	s_add_u32 s6, s22, -1
	s_addc_u32 s7, s23, -1
	s_mov_b64 s[18:19], 0
	s_mov_b32 s28, 0
                                        ; implicit-def: $sgpr29
	s_set_inst_prefetch_distance 0x1
	s_branch .LBB1439_94
	.p2align	6
.LBB1439_92:                            ;   in Loop: Header=BB1439_94 Depth=1
	global_load_u16 v21, v[19:20], off
	global_load_u16 v22, v[17:18], off
	v_add_co_u32 v17, vcc_lo, v17, 2
	v_add_co_ci_u32_e32 v18, vcc_lo, 0, v18, vcc_lo
	v_add_co_u32 v19, s2, v19, 2
	s_delay_alu instid0(VALU_DEP_1)
	v_add_co_ci_u32_e64 v20, s2, 0, v20, s2
	s_add_u32 s18, s18, 1
	s_addc_u32 s19, s19, 0
	s_and_not1_b32 s2, s29, exec_lo
	s_waitcnt vmcnt(0)
	v_cmp_ne_u16_e32 vcc_lo, v21, v22
	s_and_b32 s29, vcc_lo, exec_lo
	s_delay_alu instid0(SALU_CYCLE_1)
	s_or_b32 s29, s2, s29
.LBB1439_93:                            ;   in Loop: Header=BB1439_94 Depth=1
	v_dual_mov_b32 v22, s19 :: v_dual_mov_b32 v21, s18
	s_and_b32 s2, exec_lo, s29
	s_delay_alu instid0(SALU_CYCLE_1) | instskip(NEXT) | instid1(SALU_CYCLE_1)
	s_or_b32 s28, s2, s28
	s_and_not1_b32 exec_lo, exec_lo, s28
	s_cbranch_execz .LBB1439_96
.LBB1439_94:                            ; =>This Inner Loop Header: Depth=1
	s_or_b32 s29, s29, exec_lo
	s_cmp_eq_u64 s[6:7], s[18:19]
	s_cbranch_scc0 .LBB1439_92
; %bb.95:                               ;   in Loop: Header=BB1439_94 Depth=1
	s_mov_b64 s[18:19], s[22:23]
                                        ; implicit-def: $vgpr17_vgpr18
                                        ; implicit-def: $vgpr19_vgpr20
	s_branch .LBB1439_93
.LBB1439_96:
	s_set_inst_prefetch_distance 0x2
	s_or_b32 exec_lo, exec_lo, s28
	v_cmp_gt_i64_e32 vcc_lo, s[22:23], v[21:22]
	s_or_not1_b32 s2, vcc_lo, exec_lo
.LBB1439_97:
	s_or_b32 exec_lo, exec_lo, s27
.LBB1439_98:
	v_or_b32_e32 v17, v23, v24
	s_delay_alu instid0(VALU_DEP_2)
	v_or_b32_e32 v18, v26, v27
	s_and_b32 vcc_lo, exec_lo, s3
	s_cbranch_vccz .LBB1439_190
.LBB1439_99:
	v_or_b32_e32 v17, 7, v39
	s_mov_b32 s3, 0
	s_mov_b32 s27, 0
	s_mov_b32 s28, exec_lo
	s_delay_alu instid0(VALU_DEP_1)
	v_cmpx_gt_u32_e64 s20, v17
	s_cbranch_execz .LBB1439_110
; %bb.100:
	s_and_not1_b32 vcc_lo, exec_lo, s26
	s_mov_b32 s2, 0
	s_cbranch_vccnz .LBB1439_109
; %bb.101:
	v_mul_lo_u32 v21, v2, s22
	v_mul_lo_u32 v22, v1, s23
	v_mad_u64_u32 v[17:18], null, v1, s22, 0
	v_mul_lo_u32 v23, v4, s22
	v_mul_lo_u32 v24, v3, s23
	s_waitcnt lgkmcnt(0)
	v_mad_u64_u32 v[19:20], null, v3, s22, 0
	s_mov_b32 s2, -1
	s_mov_b32 s26, exec_lo
	s_delay_alu instid0(VALU_DEP_4) | instskip(NEXT) | instid1(VALU_DEP_2)
	v_add3_u32 v18, v18, v22, v21
	v_add3_u32 v20, v20, v24, v23
	s_delay_alu instid0(VALU_DEP_2) | instskip(NEXT) | instid1(VALU_DEP_2)
	v_lshlrev_b64 v[17:18], 1, v[17:18]
	v_lshlrev_b64 v[21:22], 1, v[19:20]
	s_delay_alu instid0(VALU_DEP_2) | instskip(NEXT) | instid1(VALU_DEP_3)
	v_add_co_u32 v19, vcc_lo, s8, v17
	v_add_co_ci_u32_e32 v20, vcc_lo, s9, v18, vcc_lo
	s_delay_alu instid0(VALU_DEP_3) | instskip(NEXT) | instid1(VALU_DEP_4)
	v_add_co_u32 v17, vcc_lo, s8, v21
	v_add_co_ci_u32_e32 v18, vcc_lo, s9, v22, vcc_lo
	s_clause 0x1
	global_load_u16 v21, v[19:20], off
	global_load_u16 v22, v[17:18], off
	s_waitcnt vmcnt(0)
	v_cmpx_eq_u16_e64 v21, v22
	s_cbranch_execz .LBB1439_108
; %bb.102:
	v_add_co_u32 v17, vcc_lo, v17, 2
	v_add_co_ci_u32_e32 v18, vcc_lo, 0, v18, vcc_lo
	v_add_co_u32 v19, vcc_lo, v19, 2
	v_add_co_ci_u32_e32 v20, vcc_lo, 0, v20, vcc_lo
	s_add_u32 s6, s22, -1
	s_addc_u32 s7, s23, -1
	s_mov_b64 s[18:19], 0
                                        ; implicit-def: $sgpr29
	s_set_inst_prefetch_distance 0x1
	s_branch .LBB1439_105
	.p2align	6
.LBB1439_103:                           ;   in Loop: Header=BB1439_105 Depth=1
	global_load_u16 v21, v[19:20], off
	global_load_u16 v22, v[17:18], off
	v_add_co_u32 v17, vcc_lo, v17, 2
	v_add_co_ci_u32_e32 v18, vcc_lo, 0, v18, vcc_lo
	v_add_co_u32 v19, s2, v19, 2
	s_delay_alu instid0(VALU_DEP_1)
	v_add_co_ci_u32_e64 v20, s2, 0, v20, s2
	s_add_u32 s18, s18, 1
	s_addc_u32 s19, s19, 0
	s_and_not1_b32 s2, s29, exec_lo
	s_waitcnt vmcnt(0)
	v_cmp_ne_u16_e32 vcc_lo, v21, v22
	s_and_b32 s29, vcc_lo, exec_lo
	s_delay_alu instid0(SALU_CYCLE_1)
	s_or_b32 s29, s2, s29
.LBB1439_104:                           ;   in Loop: Header=BB1439_105 Depth=1
	v_dual_mov_b32 v22, s19 :: v_dual_mov_b32 v21, s18
	s_and_b32 s2, exec_lo, s29
	s_delay_alu instid0(SALU_CYCLE_1) | instskip(NEXT) | instid1(SALU_CYCLE_1)
	s_or_b32 s27, s2, s27
	s_and_not1_b32 exec_lo, exec_lo, s27
	s_cbranch_execz .LBB1439_107
.LBB1439_105:                           ; =>This Inner Loop Header: Depth=1
	s_or_b32 s29, s29, exec_lo
	s_cmp_eq_u64 s[6:7], s[18:19]
	s_cbranch_scc0 .LBB1439_103
; %bb.106:                              ;   in Loop: Header=BB1439_105 Depth=1
	s_mov_b64 s[18:19], s[22:23]
                                        ; implicit-def: $vgpr17_vgpr18
                                        ; implicit-def: $vgpr19_vgpr20
	s_branch .LBB1439_104
.LBB1439_107:
	s_set_inst_prefetch_distance 0x2
	s_or_b32 exec_lo, exec_lo, s27
	v_cmp_gt_i64_e32 vcc_lo, s[22:23], v[21:22]
	s_or_not1_b32 s2, vcc_lo, exec_lo
.LBB1439_108:
	s_or_b32 exec_lo, exec_lo, s26
.LBB1439_109:
	s_delay_alu instid0(SALU_CYCLE_1)
	s_and_b32 s27, s2, exec_lo
.LBB1439_110:
	s_or_b32 exec_lo, exec_lo, s28
	v_or_b32_e32 v17, 6, v39
	s_mov_b32 s26, exec_lo
	s_delay_alu instid0(VALU_DEP_1)
	v_cmpx_gt_u32_e64 s20, v17
	s_cbranch_execz .LBB1439_121
; %bb.111:
	v_cmp_ne_u32_e32 vcc_lo, 1, v25
	s_mov_b32 s2, 0
	s_cbranch_vccnz .LBB1439_120
; %bb.112:
	v_mul_lo_u32 v21, v8, s22
	v_mul_lo_u32 v22, v7, s23
	v_mad_u64_u32 v[17:18], null, v7, s22, 0
	v_mul_lo_u32 v23, v2, s22
	v_mul_lo_u32 v24, v1, s23
	s_waitcnt lgkmcnt(0)
	v_mad_u64_u32 v[19:20], null, v1, s22, 0
	s_mov_b32 s2, -1
	s_mov_b32 s3, exec_lo
	s_delay_alu instid0(VALU_DEP_4) | instskip(NEXT) | instid1(VALU_DEP_2)
	v_add3_u32 v18, v18, v22, v21
	v_add3_u32 v20, v20, v24, v23
	s_delay_alu instid0(VALU_DEP_2) | instskip(NEXT) | instid1(VALU_DEP_2)
	v_lshlrev_b64 v[17:18], 1, v[17:18]
	v_lshlrev_b64 v[21:22], 1, v[19:20]
	s_delay_alu instid0(VALU_DEP_2) | instskip(NEXT) | instid1(VALU_DEP_3)
	v_add_co_u32 v19, vcc_lo, s8, v17
	v_add_co_ci_u32_e32 v20, vcc_lo, s9, v18, vcc_lo
	s_delay_alu instid0(VALU_DEP_3) | instskip(NEXT) | instid1(VALU_DEP_4)
	v_add_co_u32 v17, vcc_lo, s8, v21
	v_add_co_ci_u32_e32 v18, vcc_lo, s9, v22, vcc_lo
	s_clause 0x1
	global_load_u16 v21, v[19:20], off
	global_load_u16 v22, v[17:18], off
	s_waitcnt vmcnt(0)
	v_cmpx_eq_u16_e64 v21, v22
	s_cbranch_execz .LBB1439_119
; %bb.113:
	v_add_co_u32 v17, vcc_lo, v17, 2
	v_add_co_ci_u32_e32 v18, vcc_lo, 0, v18, vcc_lo
	v_add_co_u32 v19, vcc_lo, v19, 2
	v_add_co_ci_u32_e32 v20, vcc_lo, 0, v20, vcc_lo
	s_add_u32 s6, s22, -1
	s_addc_u32 s7, s23, -1
	s_mov_b64 s[18:19], 0
	s_mov_b32 s28, 0
                                        ; implicit-def: $sgpr29
	s_set_inst_prefetch_distance 0x1
	s_branch .LBB1439_116
	.p2align	6
.LBB1439_114:                           ;   in Loop: Header=BB1439_116 Depth=1
	global_load_u16 v21, v[19:20], off
	global_load_u16 v22, v[17:18], off
	v_add_co_u32 v17, vcc_lo, v17, 2
	v_add_co_ci_u32_e32 v18, vcc_lo, 0, v18, vcc_lo
	v_add_co_u32 v19, s2, v19, 2
	s_delay_alu instid0(VALU_DEP_1)
	v_add_co_ci_u32_e64 v20, s2, 0, v20, s2
	s_add_u32 s18, s18, 1
	s_addc_u32 s19, s19, 0
	s_and_not1_b32 s2, s29, exec_lo
	s_waitcnt vmcnt(0)
	v_cmp_ne_u16_e32 vcc_lo, v21, v22
	s_and_b32 s29, vcc_lo, exec_lo
	s_delay_alu instid0(SALU_CYCLE_1)
	s_or_b32 s29, s2, s29
.LBB1439_115:                           ;   in Loop: Header=BB1439_116 Depth=1
	v_dual_mov_b32 v22, s19 :: v_dual_mov_b32 v21, s18
	s_and_b32 s2, exec_lo, s29
	s_delay_alu instid0(SALU_CYCLE_1) | instskip(NEXT) | instid1(SALU_CYCLE_1)
	s_or_b32 s28, s2, s28
	s_and_not1_b32 exec_lo, exec_lo, s28
	s_cbranch_execz .LBB1439_118
.LBB1439_116:                           ; =>This Inner Loop Header: Depth=1
	s_or_b32 s29, s29, exec_lo
	s_cmp_eq_u64 s[6:7], s[18:19]
	s_cbranch_scc0 .LBB1439_114
; %bb.117:                              ;   in Loop: Header=BB1439_116 Depth=1
	s_mov_b64 s[18:19], s[22:23]
                                        ; implicit-def: $vgpr17_vgpr18
                                        ; implicit-def: $vgpr19_vgpr20
	s_branch .LBB1439_115
.LBB1439_118:
	s_set_inst_prefetch_distance 0x2
	s_or_b32 exec_lo, exec_lo, s28
	v_cmp_gt_i64_e32 vcc_lo, s[22:23], v[21:22]
	s_or_not1_b32 s2, vcc_lo, exec_lo
.LBB1439_119:
	s_or_b32 exec_lo, exec_lo, s3
.LBB1439_120:
	s_delay_alu instid0(SALU_CYCLE_1)
	s_and_b32 s3, s2, exec_lo
.LBB1439_121:
	s_or_b32 exec_lo, exec_lo, s26
	v_or_b32_e32 v17, 5, v39
	s_mov_b32 s28, 0
	s_mov_b32 s26, 0
	s_mov_b32 s29, exec_lo
	s_delay_alu instid0(VALU_DEP_1)
	v_cmpx_gt_u32_e64 s20, v17
	s_cbranch_execz .LBB1439_132
; %bb.122:
	v_cmp_ne_u32_e32 vcc_lo, 1, v25
	s_mov_b32 s2, 0
	s_cbranch_vccnz .LBB1439_131
; %bb.123:
	v_mul_lo_u32 v21, v6, s22
	v_mul_lo_u32 v22, v5, s23
	v_mad_u64_u32 v[17:18], null, v5, s22, 0
	v_mul_lo_u32 v23, v8, s22
	v_mul_lo_u32 v24, v7, s23
	s_waitcnt lgkmcnt(0)
	v_mad_u64_u32 v[19:20], null, v7, s22, 0
	s_mov_b32 s2, -1
	s_mov_b32 s26, exec_lo
	s_delay_alu instid0(VALU_DEP_4) | instskip(NEXT) | instid1(VALU_DEP_2)
	v_add3_u32 v18, v18, v22, v21
	v_add3_u32 v20, v20, v24, v23
	s_delay_alu instid0(VALU_DEP_2) | instskip(NEXT) | instid1(VALU_DEP_2)
	v_lshlrev_b64 v[17:18], 1, v[17:18]
	v_lshlrev_b64 v[21:22], 1, v[19:20]
	s_delay_alu instid0(VALU_DEP_2) | instskip(NEXT) | instid1(VALU_DEP_3)
	v_add_co_u32 v19, vcc_lo, s8, v17
	v_add_co_ci_u32_e32 v20, vcc_lo, s9, v18, vcc_lo
	s_delay_alu instid0(VALU_DEP_3) | instskip(NEXT) | instid1(VALU_DEP_4)
	v_add_co_u32 v17, vcc_lo, s8, v21
	v_add_co_ci_u32_e32 v18, vcc_lo, s9, v22, vcc_lo
	s_clause 0x1
	global_load_u16 v21, v[19:20], off
	global_load_u16 v22, v[17:18], off
	s_waitcnt vmcnt(0)
	v_cmpx_eq_u16_e64 v21, v22
	s_cbranch_execz .LBB1439_130
; %bb.124:
	v_add_co_u32 v17, vcc_lo, v17, 2
	v_add_co_ci_u32_e32 v18, vcc_lo, 0, v18, vcc_lo
	v_add_co_u32 v19, vcc_lo, v19, 2
	v_add_co_ci_u32_e32 v20, vcc_lo, 0, v20, vcc_lo
	s_add_u32 s6, s22, -1
	s_addc_u32 s7, s23, -1
	s_mov_b64 s[18:19], 0
	s_mov_b32 s30, 0
                                        ; implicit-def: $sgpr31
	s_set_inst_prefetch_distance 0x1
	s_branch .LBB1439_127
	.p2align	6
.LBB1439_125:                           ;   in Loop: Header=BB1439_127 Depth=1
	global_load_u16 v21, v[19:20], off
	global_load_u16 v22, v[17:18], off
	v_add_co_u32 v17, vcc_lo, v17, 2
	v_add_co_ci_u32_e32 v18, vcc_lo, 0, v18, vcc_lo
	v_add_co_u32 v19, s2, v19, 2
	s_delay_alu instid0(VALU_DEP_1)
	v_add_co_ci_u32_e64 v20, s2, 0, v20, s2
	s_add_u32 s18, s18, 1
	s_addc_u32 s19, s19, 0
	s_and_not1_b32 s2, s31, exec_lo
	s_waitcnt vmcnt(0)
	v_cmp_ne_u16_e32 vcc_lo, v21, v22
	s_and_b32 s31, vcc_lo, exec_lo
	s_delay_alu instid0(SALU_CYCLE_1)
	s_or_b32 s31, s2, s31
.LBB1439_126:                           ;   in Loop: Header=BB1439_127 Depth=1
	v_dual_mov_b32 v22, s19 :: v_dual_mov_b32 v21, s18
	s_and_b32 s2, exec_lo, s31
	s_delay_alu instid0(SALU_CYCLE_1) | instskip(NEXT) | instid1(SALU_CYCLE_1)
	s_or_b32 s30, s2, s30
	s_and_not1_b32 exec_lo, exec_lo, s30
	s_cbranch_execz .LBB1439_129
.LBB1439_127:                           ; =>This Inner Loop Header: Depth=1
	s_or_b32 s31, s31, exec_lo
	s_cmp_eq_u64 s[6:7], s[18:19]
	s_cbranch_scc0 .LBB1439_125
; %bb.128:                              ;   in Loop: Header=BB1439_127 Depth=1
	s_mov_b64 s[18:19], s[22:23]
                                        ; implicit-def: $vgpr17_vgpr18
                                        ; implicit-def: $vgpr19_vgpr20
	s_branch .LBB1439_126
.LBB1439_129:
	s_set_inst_prefetch_distance 0x2
	s_or_b32 exec_lo, exec_lo, s30
	v_cmp_gt_i64_e32 vcc_lo, s[22:23], v[21:22]
	s_or_not1_b32 s2, vcc_lo, exec_lo
.LBB1439_130:
	s_or_b32 exec_lo, exec_lo, s26
.LBB1439_131:
	s_delay_alu instid0(SALU_CYCLE_1)
	s_and_b32 s26, s2, exec_lo
.LBB1439_132:
	s_or_b32 exec_lo, exec_lo, s29
	v_or_b32_e32 v17, 4, v39
	s_mov_b32 s29, exec_lo
	s_delay_alu instid0(VALU_DEP_1)
	v_cmpx_gt_u32_e64 s20, v17
	s_cbranch_execz .LBB1439_143
; %bb.133:
	v_cmp_ne_u32_e32 vcc_lo, 1, v25
	s_mov_b32 s2, 0
	s_cbranch_vccnz .LBB1439_142
; %bb.134:
	v_mul_lo_u32 v21, v12, s22
	v_mul_lo_u32 v22, v11, s23
	v_mad_u64_u32 v[17:18], null, v11, s22, 0
	v_mul_lo_u32 v23, v6, s22
	v_mul_lo_u32 v24, v5, s23
	s_waitcnt lgkmcnt(0)
	v_mad_u64_u32 v[19:20], null, v5, s22, 0
	s_mov_b32 s2, -1
	s_mov_b32 s28, exec_lo
	s_delay_alu instid0(VALU_DEP_4) | instskip(NEXT) | instid1(VALU_DEP_2)
	v_add3_u32 v18, v18, v22, v21
	v_add3_u32 v20, v20, v24, v23
	s_delay_alu instid0(VALU_DEP_2) | instskip(NEXT) | instid1(VALU_DEP_2)
	v_lshlrev_b64 v[17:18], 1, v[17:18]
	v_lshlrev_b64 v[21:22], 1, v[19:20]
	s_delay_alu instid0(VALU_DEP_2) | instskip(NEXT) | instid1(VALU_DEP_3)
	v_add_co_u32 v19, vcc_lo, s8, v17
	v_add_co_ci_u32_e32 v20, vcc_lo, s9, v18, vcc_lo
	s_delay_alu instid0(VALU_DEP_3) | instskip(NEXT) | instid1(VALU_DEP_4)
	v_add_co_u32 v17, vcc_lo, s8, v21
	v_add_co_ci_u32_e32 v18, vcc_lo, s9, v22, vcc_lo
	s_clause 0x1
	global_load_u16 v21, v[19:20], off
	global_load_u16 v22, v[17:18], off
	s_waitcnt vmcnt(0)
	v_cmpx_eq_u16_e64 v21, v22
	s_cbranch_execz .LBB1439_141
; %bb.135:
	v_add_co_u32 v17, vcc_lo, v17, 2
	v_add_co_ci_u32_e32 v18, vcc_lo, 0, v18, vcc_lo
	v_add_co_u32 v19, vcc_lo, v19, 2
	v_add_co_ci_u32_e32 v20, vcc_lo, 0, v20, vcc_lo
	s_add_u32 s6, s22, -1
	s_addc_u32 s7, s23, -1
	s_mov_b64 s[18:19], 0
	s_mov_b32 s30, 0
                                        ; implicit-def: $sgpr31
	s_set_inst_prefetch_distance 0x1
	s_branch .LBB1439_138
	.p2align	6
.LBB1439_136:                           ;   in Loop: Header=BB1439_138 Depth=1
	global_load_u16 v21, v[19:20], off
	global_load_u16 v22, v[17:18], off
	v_add_co_u32 v17, vcc_lo, v17, 2
	v_add_co_ci_u32_e32 v18, vcc_lo, 0, v18, vcc_lo
	v_add_co_u32 v19, s2, v19, 2
	s_delay_alu instid0(VALU_DEP_1)
	v_add_co_ci_u32_e64 v20, s2, 0, v20, s2
	s_add_u32 s18, s18, 1
	s_addc_u32 s19, s19, 0
	s_and_not1_b32 s2, s31, exec_lo
	s_waitcnt vmcnt(0)
	v_cmp_ne_u16_e32 vcc_lo, v21, v22
	s_and_b32 s31, vcc_lo, exec_lo
	s_delay_alu instid0(SALU_CYCLE_1)
	s_or_b32 s31, s2, s31
.LBB1439_137:                           ;   in Loop: Header=BB1439_138 Depth=1
	v_dual_mov_b32 v22, s19 :: v_dual_mov_b32 v21, s18
	s_and_b32 s2, exec_lo, s31
	s_delay_alu instid0(SALU_CYCLE_1) | instskip(NEXT) | instid1(SALU_CYCLE_1)
	s_or_b32 s30, s2, s30
	s_and_not1_b32 exec_lo, exec_lo, s30
	s_cbranch_execz .LBB1439_140
.LBB1439_138:                           ; =>This Inner Loop Header: Depth=1
	s_or_b32 s31, s31, exec_lo
	s_cmp_eq_u64 s[6:7], s[18:19]
	s_cbranch_scc0 .LBB1439_136
; %bb.139:                              ;   in Loop: Header=BB1439_138 Depth=1
	s_mov_b64 s[18:19], s[22:23]
                                        ; implicit-def: $vgpr17_vgpr18
                                        ; implicit-def: $vgpr19_vgpr20
	s_branch .LBB1439_137
.LBB1439_140:
	s_set_inst_prefetch_distance 0x2
	s_or_b32 exec_lo, exec_lo, s30
	v_cmp_gt_i64_e32 vcc_lo, s[22:23], v[21:22]
	s_or_not1_b32 s2, vcc_lo, exec_lo
.LBB1439_141:
	s_or_b32 exec_lo, exec_lo, s28
.LBB1439_142:
	s_delay_alu instid0(SALU_CYCLE_1)
	s_and_b32 s28, s2, exec_lo
.LBB1439_143:
	s_or_b32 exec_lo, exec_lo, s29
	v_or_b32_e32 v17, 3, v39
	s_mov_b32 s30, 0
	s_mov_b32 s29, 0
	s_mov_b32 s31, exec_lo
	s_delay_alu instid0(VALU_DEP_1)
	v_cmpx_gt_u32_e64 s20, v17
	s_cbranch_execz .LBB1439_154
; %bb.144:
	v_cmp_ne_u32_e32 vcc_lo, 1, v25
	s_mov_b32 s2, 0
	s_cbranch_vccnz .LBB1439_153
; %bb.145:
	v_mul_lo_u32 v21, v10, s22
	v_mul_lo_u32 v22, v9, s23
	v_mad_u64_u32 v[17:18], null, v9, s22, 0
	v_mul_lo_u32 v23, v12, s22
	v_mul_lo_u32 v24, v11, s23
	s_waitcnt lgkmcnt(0)
	v_mad_u64_u32 v[19:20], null, v11, s22, 0
	s_mov_b32 s2, -1
	s_mov_b32 s29, exec_lo
	s_delay_alu instid0(VALU_DEP_4) | instskip(NEXT) | instid1(VALU_DEP_2)
	v_add3_u32 v18, v18, v22, v21
	v_add3_u32 v20, v20, v24, v23
	s_delay_alu instid0(VALU_DEP_2) | instskip(NEXT) | instid1(VALU_DEP_2)
	v_lshlrev_b64 v[17:18], 1, v[17:18]
	v_lshlrev_b64 v[21:22], 1, v[19:20]
	s_delay_alu instid0(VALU_DEP_2) | instskip(NEXT) | instid1(VALU_DEP_3)
	v_add_co_u32 v19, vcc_lo, s8, v17
	v_add_co_ci_u32_e32 v20, vcc_lo, s9, v18, vcc_lo
	s_delay_alu instid0(VALU_DEP_3) | instskip(NEXT) | instid1(VALU_DEP_4)
	v_add_co_u32 v17, vcc_lo, s8, v21
	v_add_co_ci_u32_e32 v18, vcc_lo, s9, v22, vcc_lo
	s_clause 0x1
	global_load_u16 v21, v[19:20], off
	global_load_u16 v22, v[17:18], off
	s_waitcnt vmcnt(0)
	v_cmpx_eq_u16_e64 v21, v22
	s_cbranch_execz .LBB1439_152
; %bb.146:
	v_add_co_u32 v17, vcc_lo, v17, 2
	v_add_co_ci_u32_e32 v18, vcc_lo, 0, v18, vcc_lo
	v_add_co_u32 v19, vcc_lo, v19, 2
	v_add_co_ci_u32_e32 v20, vcc_lo, 0, v20, vcc_lo
	s_add_u32 s6, s22, -1
	s_addc_u32 s7, s23, -1
	s_mov_b64 s[18:19], 0
	s_mov_b32 s33, 0
                                        ; implicit-def: $sgpr34
	s_set_inst_prefetch_distance 0x1
	s_branch .LBB1439_149
	.p2align	6
.LBB1439_147:                           ;   in Loop: Header=BB1439_149 Depth=1
	global_load_u16 v21, v[19:20], off
	global_load_u16 v22, v[17:18], off
	v_add_co_u32 v17, vcc_lo, v17, 2
	v_add_co_ci_u32_e32 v18, vcc_lo, 0, v18, vcc_lo
	v_add_co_u32 v19, s2, v19, 2
	s_delay_alu instid0(VALU_DEP_1)
	v_add_co_ci_u32_e64 v20, s2, 0, v20, s2
	s_add_u32 s18, s18, 1
	s_addc_u32 s19, s19, 0
	s_and_not1_b32 s2, s34, exec_lo
	s_waitcnt vmcnt(0)
	v_cmp_ne_u16_e32 vcc_lo, v21, v22
	s_and_b32 s34, vcc_lo, exec_lo
	s_delay_alu instid0(SALU_CYCLE_1)
	s_or_b32 s34, s2, s34
.LBB1439_148:                           ;   in Loop: Header=BB1439_149 Depth=1
	v_dual_mov_b32 v22, s19 :: v_dual_mov_b32 v21, s18
	s_and_b32 s2, exec_lo, s34
	s_delay_alu instid0(SALU_CYCLE_1) | instskip(NEXT) | instid1(SALU_CYCLE_1)
	s_or_b32 s33, s2, s33
	s_and_not1_b32 exec_lo, exec_lo, s33
	s_cbranch_execz .LBB1439_151
.LBB1439_149:                           ; =>This Inner Loop Header: Depth=1
	s_or_b32 s34, s34, exec_lo
	s_cmp_eq_u64 s[6:7], s[18:19]
	s_cbranch_scc0 .LBB1439_147
; %bb.150:                              ;   in Loop: Header=BB1439_149 Depth=1
	s_mov_b64 s[18:19], s[22:23]
                                        ; implicit-def: $vgpr17_vgpr18
                                        ; implicit-def: $vgpr19_vgpr20
	s_branch .LBB1439_148
.LBB1439_151:
	s_set_inst_prefetch_distance 0x2
	s_or_b32 exec_lo, exec_lo, s33
	v_cmp_gt_i64_e32 vcc_lo, s[22:23], v[21:22]
	s_or_not1_b32 s2, vcc_lo, exec_lo
.LBB1439_152:
	s_or_b32 exec_lo, exec_lo, s29
.LBB1439_153:
	s_delay_alu instid0(SALU_CYCLE_1)
	s_and_b32 s29, s2, exec_lo
.LBB1439_154:
	s_or_b32 exec_lo, exec_lo, s31
	v_or_b32_e32 v17, 2, v39
	s_mov_b32 s31, exec_lo
	s_delay_alu instid0(VALU_DEP_1)
	v_cmpx_gt_u32_e64 s20, v17
	s_cbranch_execz .LBB1439_165
; %bb.155:
	v_cmp_ne_u32_e32 vcc_lo, 1, v25
	s_mov_b32 s2, 0
	s_cbranch_vccnz .LBB1439_164
; %bb.156:
	v_mul_lo_u32 v21, v16, s22
	v_mul_lo_u32 v22, v15, s23
	v_mad_u64_u32 v[17:18], null, v15, s22, 0
	v_mul_lo_u32 v23, v10, s22
	v_mul_lo_u32 v24, v9, s23
	s_waitcnt lgkmcnt(0)
	v_mad_u64_u32 v[19:20], null, v9, s22, 0
	s_mov_b32 s2, -1
	s_mov_b32 s30, exec_lo
	s_delay_alu instid0(VALU_DEP_4) | instskip(NEXT) | instid1(VALU_DEP_2)
	v_add3_u32 v18, v18, v22, v21
	v_add3_u32 v20, v20, v24, v23
	s_delay_alu instid0(VALU_DEP_2) | instskip(NEXT) | instid1(VALU_DEP_2)
	v_lshlrev_b64 v[17:18], 1, v[17:18]
	v_lshlrev_b64 v[21:22], 1, v[19:20]
	s_delay_alu instid0(VALU_DEP_2) | instskip(NEXT) | instid1(VALU_DEP_3)
	v_add_co_u32 v19, vcc_lo, s8, v17
	v_add_co_ci_u32_e32 v20, vcc_lo, s9, v18, vcc_lo
	s_delay_alu instid0(VALU_DEP_3) | instskip(NEXT) | instid1(VALU_DEP_4)
	v_add_co_u32 v17, vcc_lo, s8, v21
	v_add_co_ci_u32_e32 v18, vcc_lo, s9, v22, vcc_lo
	s_clause 0x1
	global_load_u16 v21, v[19:20], off
	global_load_u16 v22, v[17:18], off
	s_waitcnt vmcnt(0)
	v_cmpx_eq_u16_e64 v21, v22
	s_cbranch_execz .LBB1439_163
; %bb.157:
	v_add_co_u32 v17, vcc_lo, v17, 2
	v_add_co_ci_u32_e32 v18, vcc_lo, 0, v18, vcc_lo
	v_add_co_u32 v19, vcc_lo, v19, 2
	v_add_co_ci_u32_e32 v20, vcc_lo, 0, v20, vcc_lo
	s_add_u32 s6, s22, -1
	s_addc_u32 s7, s23, -1
	s_mov_b64 s[18:19], 0
	s_mov_b32 s33, 0
                                        ; implicit-def: $sgpr34
	s_set_inst_prefetch_distance 0x1
	s_branch .LBB1439_160
	.p2align	6
.LBB1439_158:                           ;   in Loop: Header=BB1439_160 Depth=1
	global_load_u16 v21, v[19:20], off
	global_load_u16 v22, v[17:18], off
	v_add_co_u32 v17, vcc_lo, v17, 2
	v_add_co_ci_u32_e32 v18, vcc_lo, 0, v18, vcc_lo
	v_add_co_u32 v19, s2, v19, 2
	s_delay_alu instid0(VALU_DEP_1)
	v_add_co_ci_u32_e64 v20, s2, 0, v20, s2
	s_add_u32 s18, s18, 1
	s_addc_u32 s19, s19, 0
	s_and_not1_b32 s2, s34, exec_lo
	s_waitcnt vmcnt(0)
	v_cmp_ne_u16_e32 vcc_lo, v21, v22
	s_and_b32 s34, vcc_lo, exec_lo
	s_delay_alu instid0(SALU_CYCLE_1)
	s_or_b32 s34, s2, s34
.LBB1439_159:                           ;   in Loop: Header=BB1439_160 Depth=1
	v_dual_mov_b32 v22, s19 :: v_dual_mov_b32 v21, s18
	s_and_b32 s2, exec_lo, s34
	s_delay_alu instid0(SALU_CYCLE_1) | instskip(NEXT) | instid1(SALU_CYCLE_1)
	s_or_b32 s33, s2, s33
	s_and_not1_b32 exec_lo, exec_lo, s33
	s_cbranch_execz .LBB1439_162
.LBB1439_160:                           ; =>This Inner Loop Header: Depth=1
	s_or_b32 s34, s34, exec_lo
	s_cmp_eq_u64 s[6:7], s[18:19]
	s_cbranch_scc0 .LBB1439_158
; %bb.161:                              ;   in Loop: Header=BB1439_160 Depth=1
	s_mov_b64 s[18:19], s[22:23]
                                        ; implicit-def: $vgpr17_vgpr18
                                        ; implicit-def: $vgpr19_vgpr20
	s_branch .LBB1439_159
.LBB1439_162:
	s_set_inst_prefetch_distance 0x2
	s_or_b32 exec_lo, exec_lo, s33
	v_cmp_gt_i64_e32 vcc_lo, s[22:23], v[21:22]
	s_or_not1_b32 s2, vcc_lo, exec_lo
.LBB1439_163:
	s_or_b32 exec_lo, exec_lo, s30
.LBB1439_164:
	s_delay_alu instid0(SALU_CYCLE_1)
	s_and_b32 s30, s2, exec_lo
.LBB1439_165:
	s_or_b32 exec_lo, exec_lo, s31
	v_or_b32_e32 v17, 1, v39
	s_mov_b32 s2, 0
	s_mov_b32 s31, exec_lo
	s_delay_alu instid0(VALU_DEP_1)
	v_cmpx_gt_u32_e64 s20, v17
	s_cbranch_execz .LBB1439_176
; %bb.166:
	v_cmp_ne_u32_e32 vcc_lo, 1, v25
	s_cbranch_vccnz .LBB1439_175
; %bb.167:
	v_mul_lo_u32 v21, v14, s22
	v_mul_lo_u32 v22, v13, s23
	v_mad_u64_u32 v[17:18], null, v13, s22, 0
	v_mul_lo_u32 v23, v16, s22
	v_mul_lo_u32 v24, v15, s23
	s_waitcnt lgkmcnt(0)
	v_mad_u64_u32 v[19:20], null, v15, s22, 0
	s_mov_b32 s2, -1
	s_mov_b32 s33, exec_lo
	s_delay_alu instid0(VALU_DEP_4) | instskip(NEXT) | instid1(VALU_DEP_2)
	v_add3_u32 v18, v18, v22, v21
	v_add3_u32 v20, v20, v24, v23
	s_delay_alu instid0(VALU_DEP_2) | instskip(NEXT) | instid1(VALU_DEP_2)
	v_lshlrev_b64 v[17:18], 1, v[17:18]
	v_lshlrev_b64 v[21:22], 1, v[19:20]
	s_delay_alu instid0(VALU_DEP_2) | instskip(NEXT) | instid1(VALU_DEP_3)
	v_add_co_u32 v19, vcc_lo, s8, v17
	v_add_co_ci_u32_e32 v20, vcc_lo, s9, v18, vcc_lo
	s_delay_alu instid0(VALU_DEP_3) | instskip(NEXT) | instid1(VALU_DEP_4)
	v_add_co_u32 v17, vcc_lo, s8, v21
	v_add_co_ci_u32_e32 v18, vcc_lo, s9, v22, vcc_lo
	s_clause 0x1
	global_load_u16 v21, v[19:20], off
	global_load_u16 v22, v[17:18], off
	s_waitcnt vmcnt(0)
	v_cmpx_eq_u16_e64 v21, v22
	s_cbranch_execz .LBB1439_174
; %bb.168:
	v_add_co_u32 v17, vcc_lo, v17, 2
	v_add_co_ci_u32_e32 v18, vcc_lo, 0, v18, vcc_lo
	v_add_co_u32 v19, vcc_lo, v19, 2
	v_add_co_ci_u32_e32 v20, vcc_lo, 0, v20, vcc_lo
	s_add_u32 s6, s22, -1
	s_addc_u32 s7, s23, -1
	s_mov_b64 s[18:19], 0
	s_mov_b32 s34, 0
                                        ; implicit-def: $sgpr35
	s_set_inst_prefetch_distance 0x1
	s_branch .LBB1439_171
	.p2align	6
.LBB1439_169:                           ;   in Loop: Header=BB1439_171 Depth=1
	global_load_u16 v21, v[19:20], off
	global_load_u16 v22, v[17:18], off
	v_add_co_u32 v17, vcc_lo, v17, 2
	v_add_co_ci_u32_e32 v18, vcc_lo, 0, v18, vcc_lo
	v_add_co_u32 v19, s2, v19, 2
	s_delay_alu instid0(VALU_DEP_1)
	v_add_co_ci_u32_e64 v20, s2, 0, v20, s2
	s_add_u32 s18, s18, 1
	s_addc_u32 s19, s19, 0
	s_and_not1_b32 s2, s35, exec_lo
	s_waitcnt vmcnt(0)
	v_cmp_ne_u16_e32 vcc_lo, v21, v22
	s_and_b32 s35, vcc_lo, exec_lo
	s_delay_alu instid0(SALU_CYCLE_1)
	s_or_b32 s35, s2, s35
.LBB1439_170:                           ;   in Loop: Header=BB1439_171 Depth=1
	v_dual_mov_b32 v22, s19 :: v_dual_mov_b32 v21, s18
	s_and_b32 s2, exec_lo, s35
	s_delay_alu instid0(SALU_CYCLE_1) | instskip(NEXT) | instid1(SALU_CYCLE_1)
	s_or_b32 s34, s2, s34
	s_and_not1_b32 exec_lo, exec_lo, s34
	s_cbranch_execz .LBB1439_173
.LBB1439_171:                           ; =>This Inner Loop Header: Depth=1
	s_or_b32 s35, s35, exec_lo
	s_cmp_eq_u64 s[6:7], s[18:19]
	s_cbranch_scc0 .LBB1439_169
; %bb.172:                              ;   in Loop: Header=BB1439_171 Depth=1
	s_mov_b64 s[18:19], s[22:23]
                                        ; implicit-def: $vgpr17_vgpr18
                                        ; implicit-def: $vgpr19_vgpr20
	s_branch .LBB1439_170
.LBB1439_173:
	s_set_inst_prefetch_distance 0x2
	s_or_b32 exec_lo, exec_lo, s34
	v_cmp_gt_i64_e32 vcc_lo, s[22:23], v[21:22]
	s_or_not1_b32 s2, vcc_lo, exec_lo
.LBB1439_174:
	s_or_b32 exec_lo, exec_lo, s33
.LBB1439_175:
	s_delay_alu instid0(SALU_CYCLE_1)
	s_and_b32 s2, s2, exec_lo
.LBB1439_176:
	s_or_b32 exec_lo, exec_lo, s31
	s_waitcnt lgkmcnt(0)
	v_dual_mov_b32 v18, s5 :: v_dual_mov_b32 v17, s4
	s_mov_b32 s4, exec_lo
	s_barrier
	buffer_gl0_inv
	v_cmpx_ne_u32_e32 0, v0
	s_cbranch_execz .LBB1439_178
; %bb.177:
	v_add_nc_u32_e32 v17, -8, v39
	ds_load_b64 v[17:18], v17
.LBB1439_178:
	s_or_b32 exec_lo, exec_lo, s4
	v_cndmask_b32_e64 v20, 0, 1, s29
	v_cndmask_b32_e64 v22, 0, 1, s26
	;; [unrolled: 1-line block ×7, first 2 shown]
	v_lshlrev_b16 v20, 8, v20
	v_lshlrev_b16 v22, 8, v22
	;; [unrolled: 1-line block ×3, first 2 shown]
	s_mov_b32 s2, 0
	v_lshlrev_b16 v26, 8, v26
	v_or_b32_e32 v19, v19, v20
	v_or_b32_e32 v20, v21, v22
	;; [unrolled: 1-line block ×3, first 2 shown]
	s_mov_b32 s3, exec_lo
	v_and_b32_e32 v23, 0xffff, v26
	v_lshlrev_b32_e32 v24, 16, v19
	v_and_b32_e32 v26, 0xffff, v20
	v_lshlrev_b32_e32 v27, 16, v21
	v_cmpx_gt_u32_e64 s20, v39
	s_cbranch_execz .LBB1439_189
; %bb.179:
	v_cmp_ne_u32_e32 vcc_lo, 1, v25
	s_cbranch_vccnz .LBB1439_188
; %bb.180:
	s_waitcnt lgkmcnt(0)
	v_mul_lo_u32 v22, v18, s22
	v_mul_lo_u32 v25, v17, s23
	v_mad_u64_u32 v[18:19], null, v17, s22, 0
	v_mul_lo_u32 v17, v14, s22
	v_mul_lo_u32 v28, v13, s23
	v_mad_u64_u32 v[20:21], null, v13, s22, 0
	s_mov_b32 s2, -1
	s_mov_b32 s18, exec_lo
	s_delay_alu instid0(VALU_DEP_4) | instskip(NEXT) | instid1(VALU_DEP_2)
	v_add3_u32 v19, v19, v25, v22
	v_add3_u32 v21, v21, v28, v17
	s_delay_alu instid0(VALU_DEP_2) | instskip(NEXT) | instid1(VALU_DEP_2)
	v_lshlrev_b64 v[17:18], 1, v[18:19]
	v_lshlrev_b64 v[21:22], 1, v[20:21]
	s_delay_alu instid0(VALU_DEP_2) | instskip(NEXT) | instid1(VALU_DEP_3)
	v_add_co_u32 v19, vcc_lo, s8, v17
	v_add_co_ci_u32_e32 v20, vcc_lo, s9, v18, vcc_lo
	s_delay_alu instid0(VALU_DEP_3) | instskip(NEXT) | instid1(VALU_DEP_4)
	v_add_co_u32 v17, vcc_lo, s8, v21
	v_add_co_ci_u32_e32 v18, vcc_lo, s9, v22, vcc_lo
	s_clause 0x1
	global_load_u16 v21, v[19:20], off
	global_load_u16 v22, v[17:18], off
	s_waitcnt vmcnt(0)
	v_cmpx_eq_u16_e64 v21, v22
	s_cbranch_execz .LBB1439_187
; %bb.181:
	v_add_co_u32 v17, vcc_lo, v17, 2
	v_add_co_ci_u32_e32 v18, vcc_lo, 0, v18, vcc_lo
	v_add_co_u32 v19, vcc_lo, v19, 2
	v_add_co_ci_u32_e32 v20, vcc_lo, 0, v20, vcc_lo
	s_add_u32 s4, s22, -1
	s_addc_u32 s5, s23, -1
	s_mov_b64 s[6:7], 0
	s_mov_b32 s19, 0
                                        ; implicit-def: $sgpr26
	s_set_inst_prefetch_distance 0x1
	s_branch .LBB1439_184
	.p2align	6
.LBB1439_182:                           ;   in Loop: Header=BB1439_184 Depth=1
	global_load_u16 v21, v[19:20], off
	global_load_u16 v22, v[17:18], off
	v_add_co_u32 v17, vcc_lo, v17, 2
	v_add_co_ci_u32_e32 v18, vcc_lo, 0, v18, vcc_lo
	v_add_co_u32 v19, s2, v19, 2
	s_delay_alu instid0(VALU_DEP_1)
	v_add_co_ci_u32_e64 v20, s2, 0, v20, s2
	s_add_u32 s6, s6, 1
	s_addc_u32 s7, s7, 0
	s_and_not1_b32 s2, s26, exec_lo
	s_waitcnt vmcnt(0)
	v_cmp_ne_u16_e32 vcc_lo, v21, v22
	s_and_b32 s26, vcc_lo, exec_lo
	s_delay_alu instid0(SALU_CYCLE_1)
	s_or_b32 s26, s2, s26
.LBB1439_183:                           ;   in Loop: Header=BB1439_184 Depth=1
	v_dual_mov_b32 v22, s7 :: v_dual_mov_b32 v21, s6
	s_and_b32 s2, exec_lo, s26
	s_delay_alu instid0(SALU_CYCLE_1) | instskip(NEXT) | instid1(SALU_CYCLE_1)
	s_or_b32 s19, s2, s19
	s_and_not1_b32 exec_lo, exec_lo, s19
	s_cbranch_execz .LBB1439_186
.LBB1439_184:                           ; =>This Inner Loop Header: Depth=1
	s_or_b32 s26, s26, exec_lo
	s_cmp_eq_u64 s[4:5], s[6:7]
	s_cbranch_scc0 .LBB1439_182
; %bb.185:                              ;   in Loop: Header=BB1439_184 Depth=1
	s_mov_b64 s[6:7], s[22:23]
                                        ; implicit-def: $vgpr17_vgpr18
                                        ; implicit-def: $vgpr19_vgpr20
	s_branch .LBB1439_183
.LBB1439_186:
	s_set_inst_prefetch_distance 0x2
	s_or_b32 exec_lo, exec_lo, s19
	v_cmp_gt_i64_e32 vcc_lo, s[22:23], v[21:22]
	s_or_not1_b32 s2, vcc_lo, exec_lo
.LBB1439_187:
	s_or_b32 exec_lo, exec_lo, s18
.LBB1439_188:
	s_delay_alu instid0(SALU_CYCLE_1)
	s_and_b32 s2, s2, exec_lo
.LBB1439_189:
	s_or_b32 exec_lo, exec_lo, s3
	s_waitcnt lgkmcnt(0)
	v_or_b32_e32 v17, v23, v24
	v_or_b32_e32 v18, v26, v27
.LBB1439_190:
	s_mov_b32 s18, -1
	s_cbranch_execnz .LBB1439_359
.LBB1439_191:
	v_cmp_gt_i64_e64 s3, s[22:23], 0
	s_and_b32 vcc_lo, exec_lo, s21
	ds_store_b64 v39, v[3:4]
	s_cbranch_vccz .LBB1439_199
; %bb.192:
	s_waitcnt lgkmcnt(0)
	v_mul_lo_u32 v19, v2, s22
	v_mul_lo_u32 v20, v1, s23
	v_mad_u64_u32 v[17:18], null, v1, s22, 0
	s_mov_b32 s19, 0
	s_and_not1_b32 vcc_lo, exec_lo, s3
	s_mov_b32 s26, 0
	s_delay_alu instid0(VALU_DEP_1) | instskip(NEXT) | instid1(VALU_DEP_1)
	v_add3_u32 v18, v18, v20, v19
	v_lshlrev_b64 v[17:18], 1, v[17:18]
	s_cbranch_vccnz .LBB1439_202
; %bb.193:
	v_mul_lo_u32 v21, v4, s22
	v_mul_lo_u32 v22, v3, s23
	v_mad_u64_u32 v[19:20], null, v3, s22, 0
	s_mov_b32 s26, -1
	s_mov_b32 s27, exec_lo
	s_delay_alu instid0(VALU_DEP_1) | instskip(SKIP_2) | instid1(VALU_DEP_3)
	v_add3_u32 v20, v20, v22, v21
	v_add_co_u32 v21, vcc_lo, s8, v17
	v_add_co_ci_u32_e32 v22, vcc_lo, s9, v18, vcc_lo
	v_lshlrev_b64 v[19:20], 1, v[19:20]
	s_delay_alu instid0(VALU_DEP_1) | instskip(NEXT) | instid1(VALU_DEP_2)
	v_add_co_u32 v19, vcc_lo, s8, v19
	v_add_co_ci_u32_e32 v20, vcc_lo, s9, v20, vcc_lo
	s_clause 0x1
	global_load_u16 v23, v[21:22], off
	global_load_u16 v24, v[19:20], off
	s_waitcnt vmcnt(0)
	v_cmpx_eq_u16_e64 v23, v24
	s_cbranch_execz .LBB1439_201
; %bb.194:
	v_add_co_u32 v19, vcc_lo, v19, 2
	v_add_co_ci_u32_e32 v20, vcc_lo, 0, v20, vcc_lo
	v_add_co_u32 v21, vcc_lo, v21, 2
	v_add_co_ci_u32_e32 v22, vcc_lo, 0, v22, vcc_lo
	s_add_u32 s4, s22, -1
	s_addc_u32 s5, s23, -1
	s_mov_b64 s[6:7], 0
	s_mov_b32 s26, 0
                                        ; implicit-def: $sgpr28
	s_set_inst_prefetch_distance 0x1
	s_branch .LBB1439_197
	.p2align	6
.LBB1439_195:                           ;   in Loop: Header=BB1439_197 Depth=1
	global_load_u16 v23, v[21:22], off
	global_load_u16 v24, v[19:20], off
	v_add_co_u32 v19, vcc_lo, v19, 2
	v_add_co_ci_u32_e32 v20, vcc_lo, 0, v20, vcc_lo
	v_add_co_u32 v21, s2, v21, 2
	s_delay_alu instid0(VALU_DEP_1)
	v_add_co_ci_u32_e64 v22, s2, 0, v22, s2
	s_add_u32 s6, s6, 1
	s_addc_u32 s7, s7, 0
	s_and_not1_b32 s2, s28, exec_lo
	s_waitcnt vmcnt(0)
	v_cmp_ne_u16_e32 vcc_lo, v23, v24
	s_and_b32 s28, vcc_lo, exec_lo
	s_delay_alu instid0(SALU_CYCLE_1)
	s_or_b32 s28, s2, s28
.LBB1439_196:                           ;   in Loop: Header=BB1439_197 Depth=1
	v_dual_mov_b32 v24, s7 :: v_dual_mov_b32 v23, s6
	s_and_b32 s2, exec_lo, s28
	s_delay_alu instid0(SALU_CYCLE_1) | instskip(NEXT) | instid1(SALU_CYCLE_1)
	s_or_b32 s26, s2, s26
	s_and_not1_b32 exec_lo, exec_lo, s26
	s_cbranch_execz .LBB1439_200
.LBB1439_197:                           ; =>This Inner Loop Header: Depth=1
	s_or_b32 s28, s28, exec_lo
	s_cmp_eq_u64 s[4:5], s[6:7]
	s_cbranch_scc0 .LBB1439_195
; %bb.198:                              ;   in Loop: Header=BB1439_197 Depth=1
	s_mov_b64 s[6:7], s[22:23]
                                        ; implicit-def: $vgpr19_vgpr20
                                        ; implicit-def: $vgpr21_vgpr22
	s_branch .LBB1439_196
.LBB1439_199:
	s_waitcnt lgkmcnt(0)
                                        ; implicit-def: $sgpr2
                                        ; implicit-def: $vgpr18
	s_cbranch_execnz .LBB1439_268
	s_branch .LBB1439_359
.LBB1439_200:
	s_set_inst_prefetch_distance 0x2
	s_or_b32 exec_lo, exec_lo, s26
	v_cmp_gt_i64_e32 vcc_lo, s[22:23], v[23:24]
	s_or_not1_b32 s26, vcc_lo, exec_lo
.LBB1439_201:
	s_or_b32 exec_lo, exec_lo, s27
.LBB1439_202:
	v_mul_lo_u32 v21, v8, s22
	v_mul_lo_u32 v22, v7, s23
	v_mad_u64_u32 v[19:20], null, v7, s22, 0
	s_and_not1_b32 vcc_lo, exec_lo, s3
	s_delay_alu instid0(VALU_DEP_1) | instskip(NEXT) | instid1(VALU_DEP_1)
	v_add3_u32 v20, v20, v22, v21
	v_lshlrev_b64 v[19:20], 1, v[19:20]
	s_cbranch_vccnz .LBB1439_211
; %bb.203:
	s_delay_alu instid0(VALU_DEP_1) | instskip(NEXT) | instid1(VALU_DEP_2)
	v_add_co_u32 v21, vcc_lo, s8, v19
	v_add_co_ci_u32_e32 v22, vcc_lo, s9, v20, vcc_lo
	v_add_co_u32 v17, vcc_lo, s8, v17
	v_add_co_ci_u32_e32 v18, vcc_lo, s9, v18, vcc_lo
	s_mov_b32 s19, -1
	s_clause 0x1
	global_load_u16 v23, v[21:22], off
	global_load_u16 v24, v[17:18], off
	s_mov_b32 s27, exec_lo
	s_waitcnt vmcnt(0)
	v_cmpx_eq_u16_e64 v23, v24
	s_cbranch_execz .LBB1439_210
; %bb.204:
	v_add_co_u32 v17, vcc_lo, v17, 2
	v_add_co_ci_u32_e32 v18, vcc_lo, 0, v18, vcc_lo
	v_add_co_u32 v21, vcc_lo, v21, 2
	v_add_co_ci_u32_e32 v22, vcc_lo, 0, v22, vcc_lo
	s_add_u32 s4, s22, -1
	s_addc_u32 s5, s23, -1
	s_mov_b64 s[6:7], 0
	s_mov_b32 s19, 0
                                        ; implicit-def: $sgpr28
	s_set_inst_prefetch_distance 0x1
	s_branch .LBB1439_207
	.p2align	6
.LBB1439_205:                           ;   in Loop: Header=BB1439_207 Depth=1
	global_load_u16 v23, v[21:22], off
	global_load_u16 v24, v[17:18], off
	v_add_co_u32 v17, vcc_lo, v17, 2
	v_add_co_ci_u32_e32 v18, vcc_lo, 0, v18, vcc_lo
	v_add_co_u32 v21, s2, v21, 2
	s_delay_alu instid0(VALU_DEP_1)
	v_add_co_ci_u32_e64 v22, s2, 0, v22, s2
	s_add_u32 s6, s6, 1
	s_addc_u32 s7, s7, 0
	s_and_not1_b32 s2, s28, exec_lo
	s_waitcnt vmcnt(0)
	v_cmp_ne_u16_e32 vcc_lo, v23, v24
	s_and_b32 s28, vcc_lo, exec_lo
	s_delay_alu instid0(SALU_CYCLE_1)
	s_or_b32 s28, s2, s28
.LBB1439_206:                           ;   in Loop: Header=BB1439_207 Depth=1
	v_dual_mov_b32 v24, s7 :: v_dual_mov_b32 v23, s6
	s_and_b32 s2, exec_lo, s28
	s_delay_alu instid0(SALU_CYCLE_1) | instskip(NEXT) | instid1(SALU_CYCLE_1)
	s_or_b32 s19, s2, s19
	s_and_not1_b32 exec_lo, exec_lo, s19
	s_cbranch_execz .LBB1439_209
.LBB1439_207:                           ; =>This Inner Loop Header: Depth=1
	s_or_b32 s28, s28, exec_lo
	s_cmp_eq_u64 s[4:5], s[6:7]
	s_cbranch_scc0 .LBB1439_205
; %bb.208:                              ;   in Loop: Header=BB1439_207 Depth=1
	s_mov_b64 s[6:7], s[22:23]
                                        ; implicit-def: $vgpr17_vgpr18
                                        ; implicit-def: $vgpr21_vgpr22
	s_branch .LBB1439_206
.LBB1439_209:
	s_set_inst_prefetch_distance 0x2
	s_or_b32 exec_lo, exec_lo, s19
	v_cmp_gt_i64_e32 vcc_lo, s[22:23], v[23:24]
	s_or_not1_b32 s19, vcc_lo, exec_lo
.LBB1439_210:
	s_or_b32 exec_lo, exec_lo, s27
.LBB1439_211:
	v_mul_lo_u32 v21, v6, s22
	v_mul_lo_u32 v22, v5, s23
	v_mad_u64_u32 v[17:18], null, v5, s22, 0
	s_mov_b32 s27, 0
	s_and_not1_b32 vcc_lo, exec_lo, s3
	s_mov_b32 s28, 0
	s_delay_alu instid0(VALU_DEP_1) | instskip(NEXT) | instid1(VALU_DEP_1)
	v_add3_u32 v18, v18, v22, v21
	v_lshlrev_b64 v[21:22], 1, v[17:18]
	s_cbranch_vccnz .LBB1439_220
; %bb.212:
	s_delay_alu instid0(VALU_DEP_1) | instskip(NEXT) | instid1(VALU_DEP_2)
	v_add_co_u32 v23, vcc_lo, s8, v21
	v_add_co_ci_u32_e32 v24, vcc_lo, s9, v22, vcc_lo
	v_add_co_u32 v17, vcc_lo, s8, v19
	v_add_co_ci_u32_e32 v18, vcc_lo, s9, v20, vcc_lo
	s_mov_b32 s28, -1
	s_clause 0x1
	global_load_u16 v19, v[23:24], off
	global_load_u16 v20, v[17:18], off
	s_mov_b32 s29, exec_lo
	s_waitcnt vmcnt(0)
	v_cmpx_eq_u16_e64 v19, v20
	s_cbranch_execz .LBB1439_219
; %bb.213:
	v_add_co_u32 v17, vcc_lo, v17, 2
	v_add_co_ci_u32_e32 v18, vcc_lo, 0, v18, vcc_lo
	v_add_co_u32 v19, vcc_lo, v23, 2
	v_add_co_ci_u32_e32 v20, vcc_lo, 0, v24, vcc_lo
	s_add_u32 s4, s22, -1
	s_addc_u32 s5, s23, -1
	s_mov_b64 s[6:7], 0
	s_mov_b32 s28, 0
                                        ; implicit-def: $sgpr30
	s_set_inst_prefetch_distance 0x1
	s_branch .LBB1439_216
	.p2align	6
.LBB1439_214:                           ;   in Loop: Header=BB1439_216 Depth=1
	global_load_u16 v23, v[19:20], off
	global_load_u16 v24, v[17:18], off
	v_add_co_u32 v17, vcc_lo, v17, 2
	v_add_co_ci_u32_e32 v18, vcc_lo, 0, v18, vcc_lo
	v_add_co_u32 v19, s2, v19, 2
	s_delay_alu instid0(VALU_DEP_1)
	v_add_co_ci_u32_e64 v20, s2, 0, v20, s2
	s_add_u32 s6, s6, 1
	s_addc_u32 s7, s7, 0
	s_and_not1_b32 s2, s30, exec_lo
	s_waitcnt vmcnt(0)
	v_cmp_ne_u16_e32 vcc_lo, v23, v24
	s_and_b32 s30, vcc_lo, exec_lo
	s_delay_alu instid0(SALU_CYCLE_1)
	s_or_b32 s30, s2, s30
.LBB1439_215:                           ;   in Loop: Header=BB1439_216 Depth=1
	v_dual_mov_b32 v24, s7 :: v_dual_mov_b32 v23, s6
	s_and_b32 s2, exec_lo, s30
	s_delay_alu instid0(SALU_CYCLE_1) | instskip(NEXT) | instid1(SALU_CYCLE_1)
	s_or_b32 s28, s2, s28
	s_and_not1_b32 exec_lo, exec_lo, s28
	s_cbranch_execz .LBB1439_218
.LBB1439_216:                           ; =>This Inner Loop Header: Depth=1
	s_or_b32 s30, s30, exec_lo
	s_cmp_eq_u64 s[4:5], s[6:7]
	s_cbranch_scc0 .LBB1439_214
; %bb.217:                              ;   in Loop: Header=BB1439_216 Depth=1
	s_mov_b64 s[6:7], s[22:23]
                                        ; implicit-def: $vgpr17_vgpr18
                                        ; implicit-def: $vgpr19_vgpr20
	s_branch .LBB1439_215
.LBB1439_218:
	s_set_inst_prefetch_distance 0x2
	s_or_b32 exec_lo, exec_lo, s28
	v_cmp_gt_i64_e32 vcc_lo, s[22:23], v[23:24]
	s_or_not1_b32 s28, vcc_lo, exec_lo
.LBB1439_219:
	s_or_b32 exec_lo, exec_lo, s29
.LBB1439_220:
	v_mul_lo_u32 v19, v12, s22
	v_mul_lo_u32 v20, v11, s23
	v_mad_u64_u32 v[17:18], null, v11, s22, 0
	s_and_not1_b32 vcc_lo, exec_lo, s3
	s_delay_alu instid0(VALU_DEP_1) | instskip(NEXT) | instid1(VALU_DEP_1)
	v_add3_u32 v18, v18, v20, v19
	v_lshlrev_b64 v[17:18], 1, v[17:18]
	s_cbranch_vccnz .LBB1439_229
; %bb.221:
	s_delay_alu instid0(VALU_DEP_1) | instskip(NEXT) | instid1(VALU_DEP_2)
	v_add_co_u32 v23, vcc_lo, s8, v17
	v_add_co_ci_u32_e32 v24, vcc_lo, s9, v18, vcc_lo
	v_add_co_u32 v19, vcc_lo, s8, v21
	v_add_co_ci_u32_e32 v20, vcc_lo, s9, v22, vcc_lo
	s_mov_b32 s27, -1
	s_clause 0x1
	global_load_u16 v21, v[23:24], off
	global_load_u16 v22, v[19:20], off
	s_mov_b32 s29, exec_lo
	s_waitcnt vmcnt(0)
	v_cmpx_eq_u16_e64 v21, v22
	s_cbranch_execz .LBB1439_228
; %bb.222:
	v_add_co_u32 v19, vcc_lo, v19, 2
	v_add_co_ci_u32_e32 v20, vcc_lo, 0, v20, vcc_lo
	v_add_co_u32 v21, vcc_lo, v23, 2
	v_add_co_ci_u32_e32 v22, vcc_lo, 0, v24, vcc_lo
	s_add_u32 s4, s22, -1
	s_addc_u32 s5, s23, -1
	s_mov_b64 s[6:7], 0
	s_mov_b32 s27, 0
                                        ; implicit-def: $sgpr30
	s_set_inst_prefetch_distance 0x1
	s_branch .LBB1439_225
	.p2align	6
.LBB1439_223:                           ;   in Loop: Header=BB1439_225 Depth=1
	global_load_u16 v23, v[21:22], off
	global_load_u16 v24, v[19:20], off
	v_add_co_u32 v19, vcc_lo, v19, 2
	v_add_co_ci_u32_e32 v20, vcc_lo, 0, v20, vcc_lo
	v_add_co_u32 v21, s2, v21, 2
	s_delay_alu instid0(VALU_DEP_1)
	v_add_co_ci_u32_e64 v22, s2, 0, v22, s2
	s_add_u32 s6, s6, 1
	s_addc_u32 s7, s7, 0
	s_and_not1_b32 s2, s30, exec_lo
	s_waitcnt vmcnt(0)
	v_cmp_ne_u16_e32 vcc_lo, v23, v24
	s_and_b32 s30, vcc_lo, exec_lo
	s_delay_alu instid0(SALU_CYCLE_1)
	s_or_b32 s30, s2, s30
.LBB1439_224:                           ;   in Loop: Header=BB1439_225 Depth=1
	v_dual_mov_b32 v24, s7 :: v_dual_mov_b32 v23, s6
	s_and_b32 s2, exec_lo, s30
	s_delay_alu instid0(SALU_CYCLE_1) | instskip(NEXT) | instid1(SALU_CYCLE_1)
	s_or_b32 s27, s2, s27
	s_and_not1_b32 exec_lo, exec_lo, s27
	s_cbranch_execz .LBB1439_227
.LBB1439_225:                           ; =>This Inner Loop Header: Depth=1
	s_or_b32 s30, s30, exec_lo
	s_cmp_eq_u64 s[4:5], s[6:7]
	s_cbranch_scc0 .LBB1439_223
; %bb.226:                              ;   in Loop: Header=BB1439_225 Depth=1
	s_mov_b64 s[6:7], s[22:23]
                                        ; implicit-def: $vgpr19_vgpr20
                                        ; implicit-def: $vgpr21_vgpr22
	s_branch .LBB1439_224
.LBB1439_227:
	s_set_inst_prefetch_distance 0x2
	s_or_b32 exec_lo, exec_lo, s27
	v_cmp_gt_i64_e32 vcc_lo, s[22:23], v[23:24]
	s_or_not1_b32 s27, vcc_lo, exec_lo
.LBB1439_228:
	s_or_b32 exec_lo, exec_lo, s29
.LBB1439_229:
	v_mul_lo_u32 v21, v10, s22
	v_mul_lo_u32 v22, v9, s23
	v_mad_u64_u32 v[19:20], null, v9, s22, 0
	s_mov_b32 s29, 0
	s_and_not1_b32 vcc_lo, exec_lo, s3
	s_mov_b32 s30, 0
	s_delay_alu instid0(VALU_DEP_1) | instskip(NEXT) | instid1(VALU_DEP_1)
	v_add3_u32 v20, v20, v22, v21
	v_lshlrev_b64 v[19:20], 1, v[19:20]
	s_cbranch_vccnz .LBB1439_238
; %bb.230:
	s_delay_alu instid0(VALU_DEP_1) | instskip(NEXT) | instid1(VALU_DEP_2)
	v_add_co_u32 v21, vcc_lo, s8, v19
	v_add_co_ci_u32_e32 v22, vcc_lo, s9, v20, vcc_lo
	v_add_co_u32 v17, vcc_lo, s8, v17
	v_add_co_ci_u32_e32 v18, vcc_lo, s9, v18, vcc_lo
	s_mov_b32 s30, -1
	s_clause 0x1
	global_load_u16 v23, v[21:22], off
	global_load_u16 v24, v[17:18], off
	s_mov_b32 s31, exec_lo
	s_waitcnt vmcnt(0)
	v_cmpx_eq_u16_e64 v23, v24
	s_cbranch_execz .LBB1439_237
; %bb.231:
	v_add_co_u32 v17, vcc_lo, v17, 2
	v_add_co_ci_u32_e32 v18, vcc_lo, 0, v18, vcc_lo
	v_add_co_u32 v21, vcc_lo, v21, 2
	v_add_co_ci_u32_e32 v22, vcc_lo, 0, v22, vcc_lo
	s_add_u32 s4, s22, -1
	s_addc_u32 s5, s23, -1
	s_mov_b64 s[6:7], 0
	s_mov_b32 s30, 0
                                        ; implicit-def: $sgpr33
	s_set_inst_prefetch_distance 0x1
	s_branch .LBB1439_234
	.p2align	6
.LBB1439_232:                           ;   in Loop: Header=BB1439_234 Depth=1
	global_load_u16 v23, v[21:22], off
	global_load_u16 v24, v[17:18], off
	v_add_co_u32 v17, vcc_lo, v17, 2
	v_add_co_ci_u32_e32 v18, vcc_lo, 0, v18, vcc_lo
	v_add_co_u32 v21, s2, v21, 2
	s_delay_alu instid0(VALU_DEP_1)
	v_add_co_ci_u32_e64 v22, s2, 0, v22, s2
	s_add_u32 s6, s6, 1
	s_addc_u32 s7, s7, 0
	s_and_not1_b32 s2, s33, exec_lo
	s_waitcnt vmcnt(0)
	v_cmp_ne_u16_e32 vcc_lo, v23, v24
	s_and_b32 s33, vcc_lo, exec_lo
	s_delay_alu instid0(SALU_CYCLE_1)
	s_or_b32 s33, s2, s33
.LBB1439_233:                           ;   in Loop: Header=BB1439_234 Depth=1
	v_dual_mov_b32 v24, s7 :: v_dual_mov_b32 v23, s6
	s_and_b32 s2, exec_lo, s33
	s_delay_alu instid0(SALU_CYCLE_1) | instskip(NEXT) | instid1(SALU_CYCLE_1)
	s_or_b32 s30, s2, s30
	s_and_not1_b32 exec_lo, exec_lo, s30
	s_cbranch_execz .LBB1439_236
.LBB1439_234:                           ; =>This Inner Loop Header: Depth=1
	s_or_b32 s33, s33, exec_lo
	s_cmp_eq_u64 s[4:5], s[6:7]
	s_cbranch_scc0 .LBB1439_232
; %bb.235:                              ;   in Loop: Header=BB1439_234 Depth=1
	s_mov_b64 s[6:7], s[22:23]
                                        ; implicit-def: $vgpr17_vgpr18
                                        ; implicit-def: $vgpr21_vgpr22
	s_branch .LBB1439_233
.LBB1439_236:
	s_set_inst_prefetch_distance 0x2
	s_or_b32 exec_lo, exec_lo, s30
	v_cmp_gt_i64_e32 vcc_lo, s[22:23], v[23:24]
	s_or_not1_b32 s30, vcc_lo, exec_lo
.LBB1439_237:
	s_or_b32 exec_lo, exec_lo, s31
.LBB1439_238:
	v_mul_lo_u32 v21, v16, s22
	v_mul_lo_u32 v22, v15, s23
	v_mad_u64_u32 v[17:18], null, v15, s22, 0
	s_and_not1_b32 vcc_lo, exec_lo, s3
	s_delay_alu instid0(VALU_DEP_1) | instskip(NEXT) | instid1(VALU_DEP_1)
	v_add3_u32 v18, v18, v22, v21
	v_lshlrev_b64 v[17:18], 1, v[17:18]
	s_cbranch_vccnz .LBB1439_247
; %bb.239:
	s_delay_alu instid0(VALU_DEP_1) | instskip(NEXT) | instid1(VALU_DEP_2)
	v_add_co_u32 v21, vcc_lo, s8, v17
	v_add_co_ci_u32_e32 v22, vcc_lo, s9, v18, vcc_lo
	v_add_co_u32 v19, vcc_lo, s8, v19
	v_add_co_ci_u32_e32 v20, vcc_lo, s9, v20, vcc_lo
	s_mov_b32 s29, -1
	s_clause 0x1
	global_load_u16 v23, v[21:22], off
	global_load_u16 v24, v[19:20], off
	s_mov_b32 s31, exec_lo
	s_waitcnt vmcnt(0)
	v_cmpx_eq_u16_e64 v23, v24
	s_cbranch_execz .LBB1439_246
; %bb.240:
	v_add_co_u32 v19, vcc_lo, v19, 2
	v_add_co_ci_u32_e32 v20, vcc_lo, 0, v20, vcc_lo
	v_add_co_u32 v21, vcc_lo, v21, 2
	v_add_co_ci_u32_e32 v22, vcc_lo, 0, v22, vcc_lo
	s_add_u32 s4, s22, -1
	s_addc_u32 s5, s23, -1
	s_mov_b64 s[6:7], 0
	s_mov_b32 s29, 0
                                        ; implicit-def: $sgpr33
	s_set_inst_prefetch_distance 0x1
	s_branch .LBB1439_243
	.p2align	6
.LBB1439_241:                           ;   in Loop: Header=BB1439_243 Depth=1
	global_load_u16 v23, v[21:22], off
	global_load_u16 v24, v[19:20], off
	v_add_co_u32 v19, vcc_lo, v19, 2
	v_add_co_ci_u32_e32 v20, vcc_lo, 0, v20, vcc_lo
	v_add_co_u32 v21, s2, v21, 2
	s_delay_alu instid0(VALU_DEP_1)
	v_add_co_ci_u32_e64 v22, s2, 0, v22, s2
	s_add_u32 s6, s6, 1
	s_addc_u32 s7, s7, 0
	s_and_not1_b32 s2, s33, exec_lo
	s_waitcnt vmcnt(0)
	v_cmp_ne_u16_e32 vcc_lo, v23, v24
	s_and_b32 s33, vcc_lo, exec_lo
	s_delay_alu instid0(SALU_CYCLE_1)
	s_or_b32 s33, s2, s33
.LBB1439_242:                           ;   in Loop: Header=BB1439_243 Depth=1
	v_dual_mov_b32 v24, s7 :: v_dual_mov_b32 v23, s6
	s_and_b32 s2, exec_lo, s33
	s_delay_alu instid0(SALU_CYCLE_1) | instskip(NEXT) | instid1(SALU_CYCLE_1)
	s_or_b32 s29, s2, s29
	s_and_not1_b32 exec_lo, exec_lo, s29
	s_cbranch_execz .LBB1439_245
.LBB1439_243:                           ; =>This Inner Loop Header: Depth=1
	s_or_b32 s33, s33, exec_lo
	s_cmp_eq_u64 s[4:5], s[6:7]
	s_cbranch_scc0 .LBB1439_241
; %bb.244:                              ;   in Loop: Header=BB1439_243 Depth=1
	s_mov_b64 s[6:7], s[22:23]
                                        ; implicit-def: $vgpr19_vgpr20
                                        ; implicit-def: $vgpr21_vgpr22
	s_branch .LBB1439_242
.LBB1439_245:
	s_set_inst_prefetch_distance 0x2
	s_or_b32 exec_lo, exec_lo, s29
	v_cmp_gt_i64_e32 vcc_lo, s[22:23], v[23:24]
	s_or_not1_b32 s29, vcc_lo, exec_lo
.LBB1439_246:
	s_or_b32 exec_lo, exec_lo, s31
.LBB1439_247:
	v_mul_lo_u32 v21, v14, s22
	v_mul_lo_u32 v22, v13, s23
	v_mad_u64_u32 v[19:20], null, v13, s22, 0
	s_and_not1_b32 vcc_lo, exec_lo, s3
	s_mov_b32 s2, 0
	s_delay_alu instid0(VALU_DEP_1)
	v_add3_u32 v20, v20, v22, v21
	s_cbranch_vccnz .LBB1439_256
; %bb.248:
	s_delay_alu instid0(VALU_DEP_1) | instskip(SKIP_2) | instid1(VALU_DEP_1)
	v_lshlrev_b64 v[21:22], 1, v[19:20]
	s_mov_b32 s2, -1
	s_mov_b32 s31, exec_lo
	v_add_co_u32 v21, vcc_lo, s8, v21
	s_delay_alu instid0(VALU_DEP_2)
	v_add_co_ci_u32_e32 v22, vcc_lo, s9, v22, vcc_lo
	v_add_co_u32 v17, vcc_lo, s8, v17
	v_add_co_ci_u32_e32 v18, vcc_lo, s9, v18, vcc_lo
	s_clause 0x1
	global_load_u16 v23, v[21:22], off
	global_load_u16 v24, v[17:18], off
	s_waitcnt vmcnt(0)
	v_cmpx_eq_u16_e64 v23, v24
	s_cbranch_execz .LBB1439_255
; %bb.249:
	v_add_co_u32 v17, vcc_lo, v17, 2
	v_add_co_ci_u32_e32 v18, vcc_lo, 0, v18, vcc_lo
	v_add_co_u32 v21, vcc_lo, v21, 2
	v_add_co_ci_u32_e32 v22, vcc_lo, 0, v22, vcc_lo
	s_add_u32 s4, s22, -1
	s_addc_u32 s5, s23, -1
	s_mov_b64 s[6:7], 0
	s_mov_b32 s33, 0
                                        ; implicit-def: $sgpr34
	s_set_inst_prefetch_distance 0x1
	s_branch .LBB1439_252
	.p2align	6
.LBB1439_250:                           ;   in Loop: Header=BB1439_252 Depth=1
	global_load_u16 v23, v[21:22], off
	global_load_u16 v24, v[17:18], off
	v_add_co_u32 v17, vcc_lo, v17, 2
	v_add_co_ci_u32_e32 v18, vcc_lo, 0, v18, vcc_lo
	v_add_co_u32 v21, s2, v21, 2
	s_delay_alu instid0(VALU_DEP_1)
	v_add_co_ci_u32_e64 v22, s2, 0, v22, s2
	s_add_u32 s6, s6, 1
	s_addc_u32 s7, s7, 0
	s_and_not1_b32 s2, s34, exec_lo
	s_waitcnt vmcnt(0)
	v_cmp_ne_u16_e32 vcc_lo, v23, v24
	s_and_b32 s34, vcc_lo, exec_lo
	s_delay_alu instid0(SALU_CYCLE_1)
	s_or_b32 s34, s2, s34
.LBB1439_251:                           ;   in Loop: Header=BB1439_252 Depth=1
	v_dual_mov_b32 v24, s7 :: v_dual_mov_b32 v23, s6
	s_and_b32 s2, exec_lo, s34
	s_delay_alu instid0(SALU_CYCLE_1) | instskip(NEXT) | instid1(SALU_CYCLE_1)
	s_or_b32 s33, s2, s33
	s_and_not1_b32 exec_lo, exec_lo, s33
	s_cbranch_execz .LBB1439_254
.LBB1439_252:                           ; =>This Inner Loop Header: Depth=1
	s_or_b32 s34, s34, exec_lo
	s_cmp_eq_u64 s[4:5], s[6:7]
	s_cbranch_scc0 .LBB1439_250
; %bb.253:                              ;   in Loop: Header=BB1439_252 Depth=1
	s_mov_b64 s[6:7], s[22:23]
                                        ; implicit-def: $vgpr17_vgpr18
                                        ; implicit-def: $vgpr21_vgpr22
	s_branch .LBB1439_251
.LBB1439_254:
	s_set_inst_prefetch_distance 0x2
	s_or_b32 exec_lo, exec_lo, s33
	v_cmp_gt_i64_e32 vcc_lo, s[22:23], v[23:24]
	s_or_not1_b32 s2, vcc_lo, exec_lo
.LBB1439_255:
	s_or_b32 exec_lo, exec_lo, s31
.LBB1439_256:
	v_cndmask_b32_e64 v18, 0, 1, s30
	v_cndmask_b32_e64 v21, 0, 1, s28
	;; [unrolled: 1-line block ×7, first 2 shown]
	v_lshlrev_b16 v21, 8, v21
	v_lshlrev_b16 v22, 8, v22
	;; [unrolled: 1-line block ×4, first 2 shown]
	s_delay_alu instid0(VALU_DEP_4) | instskip(NEXT) | instid1(VALU_DEP_4)
	v_or_b32_e32 v21, v24, v21
	v_or_b32_e32 v22, v25, v22
	s_delay_alu instid0(VALU_DEP_4) | instskip(NEXT) | instid1(VALU_DEP_4)
	v_or_b32_e32 v23, 1, v23
	v_or_b32_e32 v17, v17, v18
	s_barrier
	v_and_b32_e32 v18, 0xffff, v21
	v_lshlrev_b32_e32 v21, 16, v22
	v_and_b32_e32 v22, 0xffff, v23
	v_lshlrev_b32_e32 v17, 16, v17
	buffer_gl0_inv
                                        ; implicit-def: $sgpr2
	s_mov_b32 s4, exec_lo
	v_or_b32_e32 v18, v18, v21
	v_or_b32_e32 v17, v22, v17
	v_cmpx_ne_u32_e32 0, v0
	s_xor_b32 s19, exec_lo, s4
	s_cbranch_execz .LBB1439_267
; %bb.257:
	s_and_not1_b32 vcc_lo, exec_lo, s3
	s_mov_b32 s2, 0
	s_cbranch_vccnz .LBB1439_266
; %bb.258:
	v_add_nc_u32_e32 v21, -8, v39
	v_lshlrev_b64 v[19:20], 1, v[19:20]
	s_mov_b32 s2, -1
	s_mov_b32 s26, exec_lo
	ds_load_b64 v[21:22], v21
	s_waitcnt lgkmcnt(0)
	v_mul_lo_u32 v24, v22, s22
	v_mul_lo_u32 v25, v21, s23
	v_mad_u64_u32 v[22:23], null, v21, s22, 0
	s_delay_alu instid0(VALU_DEP_1) | instskip(NEXT) | instid1(VALU_DEP_1)
	v_add3_u32 v23, v23, v25, v24
	v_lshlrev_b64 v[21:22], 1, v[22:23]
	s_delay_alu instid0(VALU_DEP_1) | instskip(NEXT) | instid1(VALU_DEP_2)
	v_add_co_u32 v21, vcc_lo, s8, v21
	v_add_co_ci_u32_e32 v22, vcc_lo, s9, v22, vcc_lo
	v_add_co_u32 v19, vcc_lo, s8, v19
	v_add_co_ci_u32_e32 v20, vcc_lo, s9, v20, vcc_lo
	s_clause 0x1
	global_load_u16 v23, v[21:22], off
	global_load_u16 v24, v[19:20], off
	s_waitcnt vmcnt(0)
	v_cmpx_eq_u16_e64 v23, v24
	s_cbranch_execz .LBB1439_265
; %bb.259:
	v_add_co_u32 v19, vcc_lo, v19, 2
	v_add_co_ci_u32_e32 v20, vcc_lo, 0, v20, vcc_lo
	v_add_co_u32 v21, vcc_lo, v21, 2
	v_add_co_ci_u32_e32 v22, vcc_lo, 0, v22, vcc_lo
	s_add_u32 s4, s22, -1
	s_addc_u32 s5, s23, -1
	s_mov_b64 s[6:7], 0
	s_mov_b32 s27, 0
                                        ; implicit-def: $sgpr28
	s_set_inst_prefetch_distance 0x1
	s_branch .LBB1439_262
	.p2align	6
.LBB1439_260:                           ;   in Loop: Header=BB1439_262 Depth=1
	global_load_u16 v23, v[21:22], off
	global_load_u16 v24, v[19:20], off
	v_add_co_u32 v19, vcc_lo, v19, 2
	v_add_co_ci_u32_e32 v20, vcc_lo, 0, v20, vcc_lo
	v_add_co_u32 v21, s2, v21, 2
	s_delay_alu instid0(VALU_DEP_1)
	v_add_co_ci_u32_e64 v22, s2, 0, v22, s2
	s_add_u32 s6, s6, 1
	s_addc_u32 s7, s7, 0
	s_and_not1_b32 s2, s28, exec_lo
	s_waitcnt vmcnt(0)
	v_cmp_ne_u16_e32 vcc_lo, v23, v24
	s_and_b32 s28, vcc_lo, exec_lo
	s_delay_alu instid0(SALU_CYCLE_1)
	s_or_b32 s28, s2, s28
.LBB1439_261:                           ;   in Loop: Header=BB1439_262 Depth=1
	v_dual_mov_b32 v24, s7 :: v_dual_mov_b32 v23, s6
	s_and_b32 s2, exec_lo, s28
	s_delay_alu instid0(SALU_CYCLE_1) | instskip(NEXT) | instid1(SALU_CYCLE_1)
	s_or_b32 s27, s2, s27
	s_and_not1_b32 exec_lo, exec_lo, s27
	s_cbranch_execz .LBB1439_264
.LBB1439_262:                           ; =>This Inner Loop Header: Depth=1
	s_or_b32 s28, s28, exec_lo
	s_cmp_eq_u64 s[4:5], s[6:7]
	s_cbranch_scc0 .LBB1439_260
; %bb.263:                              ;   in Loop: Header=BB1439_262 Depth=1
	s_mov_b64 s[6:7], s[22:23]
                                        ; implicit-def: $vgpr19_vgpr20
                                        ; implicit-def: $vgpr21_vgpr22
	s_branch .LBB1439_261
.LBB1439_264:
	s_set_inst_prefetch_distance 0x2
	s_or_b32 exec_lo, exec_lo, s27
	v_cmp_gt_i64_e32 vcc_lo, s[22:23], v[23:24]
	s_or_not1_b32 s2, vcc_lo, exec_lo
.LBB1439_265:
	s_or_b32 exec_lo, exec_lo, s26
.LBB1439_266:
	s_delay_alu instid0(SALU_CYCLE_1)
	s_and_b32 s2, s2, exec_lo
	s_or_b32 s18, s18, exec_lo
.LBB1439_267:
	s_or_b32 exec_lo, exec_lo, s19
	s_branch .LBB1439_359
.LBB1439_268:
	v_or_b32_e32 v17, 7, v39
	s_mov_b32 s19, 0
	s_mov_b32 s26, 0
	s_mov_b32 s27, exec_lo
	s_delay_alu instid0(VALU_DEP_1)
	v_cmpx_gt_u32_e64 s20, v17
	s_cbranch_execz .LBB1439_279
; %bb.269:
	s_and_not1_b32 vcc_lo, exec_lo, s3
	s_mov_b32 s2, 0
	s_cbranch_vccnz .LBB1439_278
; %bb.270:
	v_mul_lo_u32 v21, v2, s22
	v_mul_lo_u32 v22, v1, s23
	v_mad_u64_u32 v[17:18], null, v1, s22, 0
	v_mul_lo_u32 v23, v4, s22
	v_mul_lo_u32 v24, v3, s23
	v_mad_u64_u32 v[19:20], null, v3, s22, 0
	s_mov_b32 s2, -1
	s_mov_b32 s26, exec_lo
	s_delay_alu instid0(VALU_DEP_4) | instskip(NEXT) | instid1(VALU_DEP_2)
	v_add3_u32 v18, v18, v22, v21
	v_add3_u32 v20, v20, v24, v23
	s_delay_alu instid0(VALU_DEP_2) | instskip(NEXT) | instid1(VALU_DEP_2)
	v_lshlrev_b64 v[17:18], 1, v[17:18]
	v_lshlrev_b64 v[21:22], 1, v[19:20]
	s_delay_alu instid0(VALU_DEP_2) | instskip(NEXT) | instid1(VALU_DEP_3)
	v_add_co_u32 v19, vcc_lo, s8, v17
	v_add_co_ci_u32_e32 v20, vcc_lo, s9, v18, vcc_lo
	s_delay_alu instid0(VALU_DEP_3) | instskip(NEXT) | instid1(VALU_DEP_4)
	v_add_co_u32 v17, vcc_lo, s8, v21
	v_add_co_ci_u32_e32 v18, vcc_lo, s9, v22, vcc_lo
	s_clause 0x1
	global_load_u16 v21, v[19:20], off
	global_load_u16 v22, v[17:18], off
	s_waitcnt vmcnt(0)
	v_cmpx_eq_u16_e64 v21, v22
	s_cbranch_execz .LBB1439_277
; %bb.271:
	v_add_co_u32 v17, vcc_lo, v17, 2
	v_add_co_ci_u32_e32 v18, vcc_lo, 0, v18, vcc_lo
	v_add_co_u32 v19, vcc_lo, v19, 2
	v_add_co_ci_u32_e32 v20, vcc_lo, 0, v20, vcc_lo
	s_add_u32 s4, s22, -1
	s_addc_u32 s5, s23, -1
	s_mov_b64 s[6:7], 0
	s_mov_b32 s28, 0
                                        ; implicit-def: $sgpr29
	s_set_inst_prefetch_distance 0x1
	s_branch .LBB1439_274
	.p2align	6
.LBB1439_272:                           ;   in Loop: Header=BB1439_274 Depth=1
	global_load_u16 v21, v[19:20], off
	global_load_u16 v22, v[17:18], off
	v_add_co_u32 v17, vcc_lo, v17, 2
	v_add_co_ci_u32_e32 v18, vcc_lo, 0, v18, vcc_lo
	v_add_co_u32 v19, s2, v19, 2
	s_delay_alu instid0(VALU_DEP_1)
	v_add_co_ci_u32_e64 v20, s2, 0, v20, s2
	s_add_u32 s6, s6, 1
	s_addc_u32 s7, s7, 0
	s_and_not1_b32 s2, s29, exec_lo
	s_waitcnt vmcnt(0)
	v_cmp_ne_u16_e32 vcc_lo, v21, v22
	s_and_b32 s29, vcc_lo, exec_lo
	s_delay_alu instid0(SALU_CYCLE_1)
	s_or_b32 s29, s2, s29
.LBB1439_273:                           ;   in Loop: Header=BB1439_274 Depth=1
	v_dual_mov_b32 v22, s7 :: v_dual_mov_b32 v21, s6
	s_and_b32 s2, exec_lo, s29
	s_delay_alu instid0(SALU_CYCLE_1) | instskip(NEXT) | instid1(SALU_CYCLE_1)
	s_or_b32 s28, s2, s28
	s_and_not1_b32 exec_lo, exec_lo, s28
	s_cbranch_execz .LBB1439_276
.LBB1439_274:                           ; =>This Inner Loop Header: Depth=1
	s_or_b32 s29, s29, exec_lo
	s_cmp_eq_u64 s[4:5], s[6:7]
	s_cbranch_scc0 .LBB1439_272
; %bb.275:                              ;   in Loop: Header=BB1439_274 Depth=1
	s_mov_b64 s[6:7], s[22:23]
                                        ; implicit-def: $vgpr17_vgpr18
                                        ; implicit-def: $vgpr19_vgpr20
	s_branch .LBB1439_273
.LBB1439_276:
	s_set_inst_prefetch_distance 0x2
	s_or_b32 exec_lo, exec_lo, s28
	v_cmp_gt_i64_e32 vcc_lo, s[22:23], v[21:22]
	s_or_not1_b32 s2, vcc_lo, exec_lo
.LBB1439_277:
	s_or_b32 exec_lo, exec_lo, s26
.LBB1439_278:
	s_delay_alu instid0(SALU_CYCLE_1)
	s_and_b32 s26, s2, exec_lo
.LBB1439_279:
	s_or_b32 exec_lo, exec_lo, s27
	v_or_b32_e32 v17, 6, v39
	s_mov_b32 s27, exec_lo
	s_delay_alu instid0(VALU_DEP_1)
	v_cmpx_gt_u32_e64 s20, v17
	s_cbranch_execz .LBB1439_290
; %bb.280:
	s_and_not1_b32 vcc_lo, exec_lo, s3
	s_mov_b32 s2, 0
	s_cbranch_vccnz .LBB1439_289
; %bb.281:
	v_mul_lo_u32 v21, v8, s22
	v_mul_lo_u32 v22, v7, s23
	v_mad_u64_u32 v[17:18], null, v7, s22, 0
	v_mul_lo_u32 v23, v2, s22
	v_mul_lo_u32 v24, v1, s23
	v_mad_u64_u32 v[19:20], null, v1, s22, 0
	s_mov_b32 s2, -1
	s_mov_b32 s19, exec_lo
	s_delay_alu instid0(VALU_DEP_4) | instskip(NEXT) | instid1(VALU_DEP_2)
	v_add3_u32 v18, v18, v22, v21
	v_add3_u32 v20, v20, v24, v23
	s_delay_alu instid0(VALU_DEP_2) | instskip(NEXT) | instid1(VALU_DEP_2)
	v_lshlrev_b64 v[17:18], 1, v[17:18]
	v_lshlrev_b64 v[21:22], 1, v[19:20]
	s_delay_alu instid0(VALU_DEP_2) | instskip(NEXT) | instid1(VALU_DEP_3)
	v_add_co_u32 v19, vcc_lo, s8, v17
	v_add_co_ci_u32_e32 v20, vcc_lo, s9, v18, vcc_lo
	s_delay_alu instid0(VALU_DEP_3) | instskip(NEXT) | instid1(VALU_DEP_4)
	v_add_co_u32 v17, vcc_lo, s8, v21
	v_add_co_ci_u32_e32 v18, vcc_lo, s9, v22, vcc_lo
	s_clause 0x1
	global_load_u16 v21, v[19:20], off
	global_load_u16 v22, v[17:18], off
	s_waitcnt vmcnt(0)
	v_cmpx_eq_u16_e64 v21, v22
	s_cbranch_execz .LBB1439_288
; %bb.282:
	v_add_co_u32 v17, vcc_lo, v17, 2
	v_add_co_ci_u32_e32 v18, vcc_lo, 0, v18, vcc_lo
	v_add_co_u32 v19, vcc_lo, v19, 2
	v_add_co_ci_u32_e32 v20, vcc_lo, 0, v20, vcc_lo
	s_add_u32 s4, s22, -1
	s_addc_u32 s5, s23, -1
	s_mov_b64 s[6:7], 0
	s_mov_b32 s28, 0
                                        ; implicit-def: $sgpr29
	s_set_inst_prefetch_distance 0x1
	s_branch .LBB1439_285
	.p2align	6
.LBB1439_283:                           ;   in Loop: Header=BB1439_285 Depth=1
	global_load_u16 v21, v[19:20], off
	global_load_u16 v22, v[17:18], off
	v_add_co_u32 v17, vcc_lo, v17, 2
	v_add_co_ci_u32_e32 v18, vcc_lo, 0, v18, vcc_lo
	v_add_co_u32 v19, s2, v19, 2
	s_delay_alu instid0(VALU_DEP_1)
	v_add_co_ci_u32_e64 v20, s2, 0, v20, s2
	s_add_u32 s6, s6, 1
	s_addc_u32 s7, s7, 0
	s_and_not1_b32 s2, s29, exec_lo
	s_waitcnt vmcnt(0)
	v_cmp_ne_u16_e32 vcc_lo, v21, v22
	s_and_b32 s29, vcc_lo, exec_lo
	s_delay_alu instid0(SALU_CYCLE_1)
	s_or_b32 s29, s2, s29
.LBB1439_284:                           ;   in Loop: Header=BB1439_285 Depth=1
	v_dual_mov_b32 v22, s7 :: v_dual_mov_b32 v21, s6
	s_and_b32 s2, exec_lo, s29
	s_delay_alu instid0(SALU_CYCLE_1) | instskip(NEXT) | instid1(SALU_CYCLE_1)
	s_or_b32 s28, s2, s28
	s_and_not1_b32 exec_lo, exec_lo, s28
	s_cbranch_execz .LBB1439_287
.LBB1439_285:                           ; =>This Inner Loop Header: Depth=1
	s_or_b32 s29, s29, exec_lo
	s_cmp_eq_u64 s[4:5], s[6:7]
	s_cbranch_scc0 .LBB1439_283
; %bb.286:                              ;   in Loop: Header=BB1439_285 Depth=1
	s_mov_b64 s[6:7], s[22:23]
                                        ; implicit-def: $vgpr17_vgpr18
                                        ; implicit-def: $vgpr19_vgpr20
	s_branch .LBB1439_284
.LBB1439_287:
	s_set_inst_prefetch_distance 0x2
	s_or_b32 exec_lo, exec_lo, s28
	v_cmp_gt_i64_e32 vcc_lo, s[22:23], v[21:22]
	s_or_not1_b32 s2, vcc_lo, exec_lo
.LBB1439_288:
	s_or_b32 exec_lo, exec_lo, s19
.LBB1439_289:
	s_delay_alu instid0(SALU_CYCLE_1)
	s_and_b32 s19, s2, exec_lo
.LBB1439_290:
	s_or_b32 exec_lo, exec_lo, s27
	v_or_b32_e32 v17, 5, v39
	s_mov_b32 s27, 0
	s_mov_b32 s28, 0
	s_mov_b32 s29, exec_lo
	s_delay_alu instid0(VALU_DEP_1)
	v_cmpx_gt_u32_e64 s20, v17
	s_cbranch_execz .LBB1439_301
; %bb.291:
	s_and_not1_b32 vcc_lo, exec_lo, s3
	s_mov_b32 s2, 0
	s_cbranch_vccnz .LBB1439_300
; %bb.292:
	v_mul_lo_u32 v21, v6, s22
	v_mul_lo_u32 v22, v5, s23
	v_mad_u64_u32 v[17:18], null, v5, s22, 0
	v_mul_lo_u32 v23, v8, s22
	v_mul_lo_u32 v24, v7, s23
	v_mad_u64_u32 v[19:20], null, v7, s22, 0
	s_mov_b32 s2, -1
	s_mov_b32 s28, exec_lo
	s_delay_alu instid0(VALU_DEP_4) | instskip(NEXT) | instid1(VALU_DEP_2)
	v_add3_u32 v18, v18, v22, v21
	v_add3_u32 v20, v20, v24, v23
	s_delay_alu instid0(VALU_DEP_2) | instskip(NEXT) | instid1(VALU_DEP_2)
	v_lshlrev_b64 v[17:18], 1, v[17:18]
	v_lshlrev_b64 v[21:22], 1, v[19:20]
	s_delay_alu instid0(VALU_DEP_2) | instskip(NEXT) | instid1(VALU_DEP_3)
	v_add_co_u32 v19, vcc_lo, s8, v17
	v_add_co_ci_u32_e32 v20, vcc_lo, s9, v18, vcc_lo
	s_delay_alu instid0(VALU_DEP_3) | instskip(NEXT) | instid1(VALU_DEP_4)
	v_add_co_u32 v17, vcc_lo, s8, v21
	v_add_co_ci_u32_e32 v18, vcc_lo, s9, v22, vcc_lo
	s_clause 0x1
	global_load_u16 v21, v[19:20], off
	global_load_u16 v22, v[17:18], off
	s_waitcnt vmcnt(0)
	v_cmpx_eq_u16_e64 v21, v22
	s_cbranch_execz .LBB1439_299
; %bb.293:
	v_add_co_u32 v17, vcc_lo, v17, 2
	v_add_co_ci_u32_e32 v18, vcc_lo, 0, v18, vcc_lo
	v_add_co_u32 v19, vcc_lo, v19, 2
	v_add_co_ci_u32_e32 v20, vcc_lo, 0, v20, vcc_lo
	s_add_u32 s4, s22, -1
	s_addc_u32 s5, s23, -1
	s_mov_b64 s[6:7], 0
	s_mov_b32 s30, 0
                                        ; implicit-def: $sgpr31
	s_set_inst_prefetch_distance 0x1
	s_branch .LBB1439_296
	.p2align	6
.LBB1439_294:                           ;   in Loop: Header=BB1439_296 Depth=1
	global_load_u16 v21, v[19:20], off
	global_load_u16 v22, v[17:18], off
	v_add_co_u32 v17, vcc_lo, v17, 2
	v_add_co_ci_u32_e32 v18, vcc_lo, 0, v18, vcc_lo
	v_add_co_u32 v19, s2, v19, 2
	s_delay_alu instid0(VALU_DEP_1)
	v_add_co_ci_u32_e64 v20, s2, 0, v20, s2
	s_add_u32 s6, s6, 1
	s_addc_u32 s7, s7, 0
	s_and_not1_b32 s2, s31, exec_lo
	s_waitcnt vmcnt(0)
	v_cmp_ne_u16_e32 vcc_lo, v21, v22
	s_and_b32 s31, vcc_lo, exec_lo
	s_delay_alu instid0(SALU_CYCLE_1)
	s_or_b32 s31, s2, s31
.LBB1439_295:                           ;   in Loop: Header=BB1439_296 Depth=1
	v_dual_mov_b32 v22, s7 :: v_dual_mov_b32 v21, s6
	s_and_b32 s2, exec_lo, s31
	s_delay_alu instid0(SALU_CYCLE_1) | instskip(NEXT) | instid1(SALU_CYCLE_1)
	s_or_b32 s30, s2, s30
	s_and_not1_b32 exec_lo, exec_lo, s30
	s_cbranch_execz .LBB1439_298
.LBB1439_296:                           ; =>This Inner Loop Header: Depth=1
	s_or_b32 s31, s31, exec_lo
	s_cmp_eq_u64 s[4:5], s[6:7]
	s_cbranch_scc0 .LBB1439_294
; %bb.297:                              ;   in Loop: Header=BB1439_296 Depth=1
	s_mov_b64 s[6:7], s[22:23]
                                        ; implicit-def: $vgpr17_vgpr18
                                        ; implicit-def: $vgpr19_vgpr20
	s_branch .LBB1439_295
.LBB1439_298:
	s_set_inst_prefetch_distance 0x2
	s_or_b32 exec_lo, exec_lo, s30
	v_cmp_gt_i64_e32 vcc_lo, s[22:23], v[21:22]
	s_or_not1_b32 s2, vcc_lo, exec_lo
.LBB1439_299:
	s_or_b32 exec_lo, exec_lo, s28
.LBB1439_300:
	s_delay_alu instid0(SALU_CYCLE_1)
	s_and_b32 s28, s2, exec_lo
.LBB1439_301:
	s_or_b32 exec_lo, exec_lo, s29
	v_or_b32_e32 v17, 4, v39
	s_mov_b32 s29, exec_lo
	s_delay_alu instid0(VALU_DEP_1)
	v_cmpx_gt_u32_e64 s20, v17
	s_cbranch_execz .LBB1439_312
; %bb.302:
	s_and_not1_b32 vcc_lo, exec_lo, s3
	s_mov_b32 s2, 0
	s_cbranch_vccnz .LBB1439_311
; %bb.303:
	v_mul_lo_u32 v21, v12, s22
	v_mul_lo_u32 v22, v11, s23
	v_mad_u64_u32 v[17:18], null, v11, s22, 0
	v_mul_lo_u32 v23, v6, s22
	v_mul_lo_u32 v24, v5, s23
	v_mad_u64_u32 v[19:20], null, v5, s22, 0
	s_mov_b32 s2, -1
	s_mov_b32 s27, exec_lo
	s_delay_alu instid0(VALU_DEP_4) | instskip(NEXT) | instid1(VALU_DEP_2)
	v_add3_u32 v18, v18, v22, v21
	v_add3_u32 v20, v20, v24, v23
	s_delay_alu instid0(VALU_DEP_2) | instskip(NEXT) | instid1(VALU_DEP_2)
	v_lshlrev_b64 v[17:18], 1, v[17:18]
	v_lshlrev_b64 v[21:22], 1, v[19:20]
	s_delay_alu instid0(VALU_DEP_2) | instskip(NEXT) | instid1(VALU_DEP_3)
	v_add_co_u32 v19, vcc_lo, s8, v17
	v_add_co_ci_u32_e32 v20, vcc_lo, s9, v18, vcc_lo
	s_delay_alu instid0(VALU_DEP_3) | instskip(NEXT) | instid1(VALU_DEP_4)
	v_add_co_u32 v17, vcc_lo, s8, v21
	v_add_co_ci_u32_e32 v18, vcc_lo, s9, v22, vcc_lo
	s_clause 0x1
	global_load_u16 v21, v[19:20], off
	global_load_u16 v22, v[17:18], off
	s_waitcnt vmcnt(0)
	v_cmpx_eq_u16_e64 v21, v22
	s_cbranch_execz .LBB1439_310
; %bb.304:
	v_add_co_u32 v17, vcc_lo, v17, 2
	v_add_co_ci_u32_e32 v18, vcc_lo, 0, v18, vcc_lo
	v_add_co_u32 v19, vcc_lo, v19, 2
	v_add_co_ci_u32_e32 v20, vcc_lo, 0, v20, vcc_lo
	s_add_u32 s4, s22, -1
	s_addc_u32 s5, s23, -1
	s_mov_b64 s[6:7], 0
	s_mov_b32 s30, 0
                                        ; implicit-def: $sgpr31
	s_set_inst_prefetch_distance 0x1
	s_branch .LBB1439_307
	.p2align	6
.LBB1439_305:                           ;   in Loop: Header=BB1439_307 Depth=1
	global_load_u16 v21, v[19:20], off
	global_load_u16 v22, v[17:18], off
	v_add_co_u32 v17, vcc_lo, v17, 2
	v_add_co_ci_u32_e32 v18, vcc_lo, 0, v18, vcc_lo
	v_add_co_u32 v19, s2, v19, 2
	s_delay_alu instid0(VALU_DEP_1)
	v_add_co_ci_u32_e64 v20, s2, 0, v20, s2
	s_add_u32 s6, s6, 1
	s_addc_u32 s7, s7, 0
	s_and_not1_b32 s2, s31, exec_lo
	s_waitcnt vmcnt(0)
	v_cmp_ne_u16_e32 vcc_lo, v21, v22
	s_and_b32 s31, vcc_lo, exec_lo
	s_delay_alu instid0(SALU_CYCLE_1)
	s_or_b32 s31, s2, s31
.LBB1439_306:                           ;   in Loop: Header=BB1439_307 Depth=1
	v_dual_mov_b32 v22, s7 :: v_dual_mov_b32 v21, s6
	s_and_b32 s2, exec_lo, s31
	s_delay_alu instid0(SALU_CYCLE_1) | instskip(NEXT) | instid1(SALU_CYCLE_1)
	s_or_b32 s30, s2, s30
	s_and_not1_b32 exec_lo, exec_lo, s30
	s_cbranch_execz .LBB1439_309
.LBB1439_307:                           ; =>This Inner Loop Header: Depth=1
	s_or_b32 s31, s31, exec_lo
	s_cmp_eq_u64 s[4:5], s[6:7]
	s_cbranch_scc0 .LBB1439_305
; %bb.308:                              ;   in Loop: Header=BB1439_307 Depth=1
	s_mov_b64 s[6:7], s[22:23]
                                        ; implicit-def: $vgpr17_vgpr18
                                        ; implicit-def: $vgpr19_vgpr20
	s_branch .LBB1439_306
.LBB1439_309:
	s_set_inst_prefetch_distance 0x2
	s_or_b32 exec_lo, exec_lo, s30
	v_cmp_gt_i64_e32 vcc_lo, s[22:23], v[21:22]
	s_or_not1_b32 s2, vcc_lo, exec_lo
.LBB1439_310:
	s_or_b32 exec_lo, exec_lo, s27
.LBB1439_311:
	s_delay_alu instid0(SALU_CYCLE_1)
	s_and_b32 s27, s2, exec_lo
.LBB1439_312:
	s_or_b32 exec_lo, exec_lo, s29
	v_or_b32_e32 v17, 3, v39
	s_mov_b32 s30, 0
	s_mov_b32 s29, 0
	s_mov_b32 s31, exec_lo
	s_delay_alu instid0(VALU_DEP_1)
	v_cmpx_gt_u32_e64 s20, v17
	s_cbranch_execz .LBB1439_323
; %bb.313:
	s_and_not1_b32 vcc_lo, exec_lo, s3
	s_mov_b32 s2, 0
	s_cbranch_vccnz .LBB1439_322
; %bb.314:
	v_mul_lo_u32 v21, v10, s22
	v_mul_lo_u32 v22, v9, s23
	v_mad_u64_u32 v[17:18], null, v9, s22, 0
	v_mul_lo_u32 v23, v12, s22
	v_mul_lo_u32 v24, v11, s23
	v_mad_u64_u32 v[19:20], null, v11, s22, 0
	s_mov_b32 s2, -1
	s_mov_b32 s29, exec_lo
	s_delay_alu instid0(VALU_DEP_4) | instskip(NEXT) | instid1(VALU_DEP_2)
	v_add3_u32 v18, v18, v22, v21
	v_add3_u32 v20, v20, v24, v23
	s_delay_alu instid0(VALU_DEP_2) | instskip(NEXT) | instid1(VALU_DEP_2)
	v_lshlrev_b64 v[17:18], 1, v[17:18]
	v_lshlrev_b64 v[21:22], 1, v[19:20]
	s_delay_alu instid0(VALU_DEP_2) | instskip(NEXT) | instid1(VALU_DEP_3)
	v_add_co_u32 v19, vcc_lo, s8, v17
	v_add_co_ci_u32_e32 v20, vcc_lo, s9, v18, vcc_lo
	s_delay_alu instid0(VALU_DEP_3) | instskip(NEXT) | instid1(VALU_DEP_4)
	v_add_co_u32 v17, vcc_lo, s8, v21
	v_add_co_ci_u32_e32 v18, vcc_lo, s9, v22, vcc_lo
	s_clause 0x1
	global_load_u16 v21, v[19:20], off
	global_load_u16 v22, v[17:18], off
	s_waitcnt vmcnt(0)
	v_cmpx_eq_u16_e64 v21, v22
	s_cbranch_execz .LBB1439_321
; %bb.315:
	v_add_co_u32 v17, vcc_lo, v17, 2
	v_add_co_ci_u32_e32 v18, vcc_lo, 0, v18, vcc_lo
	v_add_co_u32 v19, vcc_lo, v19, 2
	v_add_co_ci_u32_e32 v20, vcc_lo, 0, v20, vcc_lo
	s_add_u32 s4, s22, -1
	s_addc_u32 s5, s23, -1
	s_mov_b64 s[6:7], 0
	s_mov_b32 s33, 0
                                        ; implicit-def: $sgpr34
	s_set_inst_prefetch_distance 0x1
	s_branch .LBB1439_318
	.p2align	6
.LBB1439_316:                           ;   in Loop: Header=BB1439_318 Depth=1
	global_load_u16 v21, v[19:20], off
	global_load_u16 v22, v[17:18], off
	v_add_co_u32 v17, vcc_lo, v17, 2
	v_add_co_ci_u32_e32 v18, vcc_lo, 0, v18, vcc_lo
	v_add_co_u32 v19, s2, v19, 2
	s_delay_alu instid0(VALU_DEP_1)
	v_add_co_ci_u32_e64 v20, s2, 0, v20, s2
	s_add_u32 s6, s6, 1
	s_addc_u32 s7, s7, 0
	s_and_not1_b32 s2, s34, exec_lo
	s_waitcnt vmcnt(0)
	v_cmp_ne_u16_e32 vcc_lo, v21, v22
	s_and_b32 s34, vcc_lo, exec_lo
	s_delay_alu instid0(SALU_CYCLE_1)
	s_or_b32 s34, s2, s34
.LBB1439_317:                           ;   in Loop: Header=BB1439_318 Depth=1
	v_dual_mov_b32 v22, s7 :: v_dual_mov_b32 v21, s6
	s_and_b32 s2, exec_lo, s34
	s_delay_alu instid0(SALU_CYCLE_1) | instskip(NEXT) | instid1(SALU_CYCLE_1)
	s_or_b32 s33, s2, s33
	s_and_not1_b32 exec_lo, exec_lo, s33
	s_cbranch_execz .LBB1439_320
.LBB1439_318:                           ; =>This Inner Loop Header: Depth=1
	s_or_b32 s34, s34, exec_lo
	s_cmp_eq_u64 s[4:5], s[6:7]
	s_cbranch_scc0 .LBB1439_316
; %bb.319:                              ;   in Loop: Header=BB1439_318 Depth=1
	s_mov_b64 s[6:7], s[22:23]
                                        ; implicit-def: $vgpr17_vgpr18
                                        ; implicit-def: $vgpr19_vgpr20
	s_branch .LBB1439_317
.LBB1439_320:
	s_set_inst_prefetch_distance 0x2
	s_or_b32 exec_lo, exec_lo, s33
	v_cmp_gt_i64_e32 vcc_lo, s[22:23], v[21:22]
	s_or_not1_b32 s2, vcc_lo, exec_lo
.LBB1439_321:
	s_or_b32 exec_lo, exec_lo, s29
.LBB1439_322:
	s_delay_alu instid0(SALU_CYCLE_1)
	s_and_b32 s29, s2, exec_lo
.LBB1439_323:
	s_or_b32 exec_lo, exec_lo, s31
	v_or_b32_e32 v17, 2, v39
	s_mov_b32 s31, exec_lo
	s_delay_alu instid0(VALU_DEP_1)
	v_cmpx_gt_u32_e64 s20, v17
	s_cbranch_execz .LBB1439_334
; %bb.324:
	s_and_not1_b32 vcc_lo, exec_lo, s3
	s_mov_b32 s2, 0
	s_cbranch_vccnz .LBB1439_333
; %bb.325:
	v_mul_lo_u32 v21, v16, s22
	v_mul_lo_u32 v22, v15, s23
	v_mad_u64_u32 v[17:18], null, v15, s22, 0
	v_mul_lo_u32 v23, v10, s22
	v_mul_lo_u32 v24, v9, s23
	v_mad_u64_u32 v[19:20], null, v9, s22, 0
	s_mov_b32 s2, -1
	s_mov_b32 s30, exec_lo
	s_delay_alu instid0(VALU_DEP_4) | instskip(NEXT) | instid1(VALU_DEP_2)
	v_add3_u32 v18, v18, v22, v21
	v_add3_u32 v20, v20, v24, v23
	s_delay_alu instid0(VALU_DEP_2) | instskip(NEXT) | instid1(VALU_DEP_2)
	v_lshlrev_b64 v[17:18], 1, v[17:18]
	v_lshlrev_b64 v[21:22], 1, v[19:20]
	s_delay_alu instid0(VALU_DEP_2) | instskip(NEXT) | instid1(VALU_DEP_3)
	v_add_co_u32 v19, vcc_lo, s8, v17
	v_add_co_ci_u32_e32 v20, vcc_lo, s9, v18, vcc_lo
	s_delay_alu instid0(VALU_DEP_3) | instskip(NEXT) | instid1(VALU_DEP_4)
	v_add_co_u32 v17, vcc_lo, s8, v21
	v_add_co_ci_u32_e32 v18, vcc_lo, s9, v22, vcc_lo
	s_clause 0x1
	global_load_u16 v21, v[19:20], off
	global_load_u16 v22, v[17:18], off
	s_waitcnt vmcnt(0)
	v_cmpx_eq_u16_e64 v21, v22
	s_cbranch_execz .LBB1439_332
; %bb.326:
	v_add_co_u32 v17, vcc_lo, v17, 2
	v_add_co_ci_u32_e32 v18, vcc_lo, 0, v18, vcc_lo
	v_add_co_u32 v19, vcc_lo, v19, 2
	v_add_co_ci_u32_e32 v20, vcc_lo, 0, v20, vcc_lo
	s_add_u32 s4, s22, -1
	s_addc_u32 s5, s23, -1
	s_mov_b64 s[6:7], 0
	s_mov_b32 s33, 0
                                        ; implicit-def: $sgpr34
	s_set_inst_prefetch_distance 0x1
	s_branch .LBB1439_329
	.p2align	6
.LBB1439_327:                           ;   in Loop: Header=BB1439_329 Depth=1
	global_load_u16 v21, v[19:20], off
	global_load_u16 v22, v[17:18], off
	v_add_co_u32 v17, vcc_lo, v17, 2
	v_add_co_ci_u32_e32 v18, vcc_lo, 0, v18, vcc_lo
	v_add_co_u32 v19, s2, v19, 2
	s_delay_alu instid0(VALU_DEP_1)
	v_add_co_ci_u32_e64 v20, s2, 0, v20, s2
	s_add_u32 s6, s6, 1
	s_addc_u32 s7, s7, 0
	s_and_not1_b32 s2, s34, exec_lo
	s_waitcnt vmcnt(0)
	v_cmp_ne_u16_e32 vcc_lo, v21, v22
	s_and_b32 s34, vcc_lo, exec_lo
	s_delay_alu instid0(SALU_CYCLE_1)
	s_or_b32 s34, s2, s34
.LBB1439_328:                           ;   in Loop: Header=BB1439_329 Depth=1
	v_dual_mov_b32 v22, s7 :: v_dual_mov_b32 v21, s6
	s_and_b32 s2, exec_lo, s34
	s_delay_alu instid0(SALU_CYCLE_1) | instskip(NEXT) | instid1(SALU_CYCLE_1)
	s_or_b32 s33, s2, s33
	s_and_not1_b32 exec_lo, exec_lo, s33
	s_cbranch_execz .LBB1439_331
.LBB1439_329:                           ; =>This Inner Loop Header: Depth=1
	s_or_b32 s34, s34, exec_lo
	s_cmp_eq_u64 s[4:5], s[6:7]
	s_cbranch_scc0 .LBB1439_327
; %bb.330:                              ;   in Loop: Header=BB1439_329 Depth=1
	s_mov_b64 s[6:7], s[22:23]
                                        ; implicit-def: $vgpr17_vgpr18
                                        ; implicit-def: $vgpr19_vgpr20
	s_branch .LBB1439_328
.LBB1439_331:
	s_set_inst_prefetch_distance 0x2
	s_or_b32 exec_lo, exec_lo, s33
	v_cmp_gt_i64_e32 vcc_lo, s[22:23], v[21:22]
	s_or_not1_b32 s2, vcc_lo, exec_lo
.LBB1439_332:
	s_or_b32 exec_lo, exec_lo, s30
.LBB1439_333:
	s_delay_alu instid0(SALU_CYCLE_1)
	s_and_b32 s30, s2, exec_lo
.LBB1439_334:
	s_or_b32 exec_lo, exec_lo, s31
	v_or_b32_e32 v17, 1, v39
	s_mov_b32 s2, 0
	s_mov_b32 s31, exec_lo
	s_delay_alu instid0(VALU_DEP_1)
	v_cmpx_gt_u32_e64 s20, v17
	s_cbranch_execz .LBB1439_345
; %bb.335:
	s_and_not1_b32 vcc_lo, exec_lo, s3
	s_cbranch_vccnz .LBB1439_344
; %bb.336:
	v_mul_lo_u32 v21, v14, s22
	v_mul_lo_u32 v22, v13, s23
	v_mad_u64_u32 v[17:18], null, v13, s22, 0
	v_mul_lo_u32 v23, v16, s22
	v_mul_lo_u32 v24, v15, s23
	v_mad_u64_u32 v[19:20], null, v15, s22, 0
	s_mov_b32 s2, -1
	s_mov_b32 s33, exec_lo
	s_delay_alu instid0(VALU_DEP_4) | instskip(NEXT) | instid1(VALU_DEP_2)
	v_add3_u32 v18, v18, v22, v21
	v_add3_u32 v20, v20, v24, v23
	s_delay_alu instid0(VALU_DEP_2) | instskip(NEXT) | instid1(VALU_DEP_2)
	v_lshlrev_b64 v[17:18], 1, v[17:18]
	v_lshlrev_b64 v[21:22], 1, v[19:20]
	s_delay_alu instid0(VALU_DEP_2) | instskip(NEXT) | instid1(VALU_DEP_3)
	v_add_co_u32 v19, vcc_lo, s8, v17
	v_add_co_ci_u32_e32 v20, vcc_lo, s9, v18, vcc_lo
	s_delay_alu instid0(VALU_DEP_3) | instskip(NEXT) | instid1(VALU_DEP_4)
	v_add_co_u32 v17, vcc_lo, s8, v21
	v_add_co_ci_u32_e32 v18, vcc_lo, s9, v22, vcc_lo
	s_clause 0x1
	global_load_u16 v21, v[19:20], off
	global_load_u16 v22, v[17:18], off
	s_waitcnt vmcnt(0)
	v_cmpx_eq_u16_e64 v21, v22
	s_cbranch_execz .LBB1439_343
; %bb.337:
	v_add_co_u32 v17, vcc_lo, v17, 2
	v_add_co_ci_u32_e32 v18, vcc_lo, 0, v18, vcc_lo
	v_add_co_u32 v19, vcc_lo, v19, 2
	v_add_co_ci_u32_e32 v20, vcc_lo, 0, v20, vcc_lo
	s_add_u32 s4, s22, -1
	s_addc_u32 s5, s23, -1
	s_mov_b64 s[6:7], 0
	s_mov_b32 s34, 0
                                        ; implicit-def: $sgpr35
	s_set_inst_prefetch_distance 0x1
	s_branch .LBB1439_340
	.p2align	6
.LBB1439_338:                           ;   in Loop: Header=BB1439_340 Depth=1
	global_load_u16 v21, v[19:20], off
	global_load_u16 v22, v[17:18], off
	v_add_co_u32 v17, vcc_lo, v17, 2
	v_add_co_ci_u32_e32 v18, vcc_lo, 0, v18, vcc_lo
	v_add_co_u32 v19, s2, v19, 2
	s_delay_alu instid0(VALU_DEP_1)
	v_add_co_ci_u32_e64 v20, s2, 0, v20, s2
	s_add_u32 s6, s6, 1
	s_addc_u32 s7, s7, 0
	s_and_not1_b32 s2, s35, exec_lo
	s_waitcnt vmcnt(0)
	v_cmp_ne_u16_e32 vcc_lo, v21, v22
	s_and_b32 s35, vcc_lo, exec_lo
	s_delay_alu instid0(SALU_CYCLE_1)
	s_or_b32 s35, s2, s35
.LBB1439_339:                           ;   in Loop: Header=BB1439_340 Depth=1
	v_dual_mov_b32 v22, s7 :: v_dual_mov_b32 v21, s6
	s_and_b32 s2, exec_lo, s35
	s_delay_alu instid0(SALU_CYCLE_1) | instskip(NEXT) | instid1(SALU_CYCLE_1)
	s_or_b32 s34, s2, s34
	s_and_not1_b32 exec_lo, exec_lo, s34
	s_cbranch_execz .LBB1439_342
.LBB1439_340:                           ; =>This Inner Loop Header: Depth=1
	s_or_b32 s35, s35, exec_lo
	s_cmp_eq_u64 s[4:5], s[6:7]
	s_cbranch_scc0 .LBB1439_338
; %bb.341:                              ;   in Loop: Header=BB1439_340 Depth=1
	s_mov_b64 s[6:7], s[22:23]
                                        ; implicit-def: $vgpr17_vgpr18
                                        ; implicit-def: $vgpr19_vgpr20
	s_branch .LBB1439_339
.LBB1439_342:
	s_set_inst_prefetch_distance 0x2
	s_or_b32 exec_lo, exec_lo, s34
	v_cmp_gt_i64_e32 vcc_lo, s[22:23], v[21:22]
	s_or_not1_b32 s2, vcc_lo, exec_lo
.LBB1439_343:
	s_or_b32 exec_lo, exec_lo, s33
.LBB1439_344:
	s_delay_alu instid0(SALU_CYCLE_1)
	s_and_b32 s2, s2, exec_lo
.LBB1439_345:
	s_or_b32 exec_lo, exec_lo, s31
	v_cndmask_b32_e64 v18, 0, 1, s29
	v_cndmask_b32_e64 v19, 0, 1, s28
	;; [unrolled: 1-line block ×7, first 2 shown]
	v_lshlrev_b16 v19, 8, v19
	v_lshlrev_b16 v20, 8, v20
	;; [unrolled: 1-line block ×4, first 2 shown]
	s_mov_b32 s19, exec_lo
	v_or_b32_e32 v19, v22, v19
	v_or_b32_e32 v20, v23, v20
	;; [unrolled: 1-line block ×4, first 2 shown]
	s_delay_alu instid0(VALU_DEP_4) | instskip(NEXT) | instid1(VALU_DEP_4)
	v_and_b32_e32 v18, 0xffff, v19
	v_lshlrev_b32_e32 v19, 16, v20
	s_delay_alu instid0(VALU_DEP_4) | instskip(NEXT) | instid1(VALU_DEP_4)
	v_and_b32_e32 v20, 0xffff, v21
	v_lshlrev_b32_e32 v17, 16, v17
	s_barrier
	buffer_gl0_inv
	v_or_b32_e32 v18, v18, v19
                                        ; implicit-def: $sgpr2
	v_or_b32_e32 v17, v20, v17
	v_cmpx_ne_u32_e32 0, v0
	s_cbranch_execz .LBB1439_358
; %bb.346:
	s_mov_b32 s2, 0
	s_mov_b32 s26, exec_lo
	v_cmpx_gt_u32_e64 s20, v39
	s_cbranch_execz .LBB1439_357
; %bb.347:
	s_and_not1_b32 vcc_lo, exec_lo, s3
	s_cbranch_vccnz .LBB1439_356
; %bb.348:
	v_add_nc_u32_e32 v19, -8, v39
	v_mul_lo_u32 v26, v13, s23
	v_mad_u64_u32 v[22:23], null, v13, s22, 0
	s_mov_b32 s2, -1
	ds_load_b64 v[19:20], v19
	s_mov_b32 s3, exec_lo
	s_waitcnt lgkmcnt(0)
	v_mul_lo_u32 v24, v20, s22
	v_mul_lo_u32 v25, v19, s23
	v_mad_u64_u32 v[20:21], null, v19, s22, 0
	v_mul_lo_u32 v19, v14, s22
	s_delay_alu instid0(VALU_DEP_2) | instskip(NEXT) | instid1(VALU_DEP_2)
	v_add3_u32 v21, v21, v25, v24
	v_add3_u32 v23, v23, v26, v19
	s_delay_alu instid0(VALU_DEP_2) | instskip(NEXT) | instid1(VALU_DEP_2)
	v_lshlrev_b64 v[19:20], 1, v[20:21]
	v_lshlrev_b64 v[23:24], 1, v[22:23]
	s_delay_alu instid0(VALU_DEP_2) | instskip(NEXT) | instid1(VALU_DEP_3)
	v_add_co_u32 v21, vcc_lo, s8, v19
	v_add_co_ci_u32_e32 v22, vcc_lo, s9, v20, vcc_lo
	s_delay_alu instid0(VALU_DEP_3) | instskip(NEXT) | instid1(VALU_DEP_4)
	v_add_co_u32 v19, vcc_lo, s8, v23
	v_add_co_ci_u32_e32 v20, vcc_lo, s9, v24, vcc_lo
	s_clause 0x1
	global_load_u16 v23, v[21:22], off
	global_load_u16 v24, v[19:20], off
	s_waitcnt vmcnt(0)
	v_cmpx_eq_u16_e64 v23, v24
	s_cbranch_execz .LBB1439_355
; %bb.349:
	v_add_co_u32 v19, vcc_lo, v19, 2
	v_add_co_ci_u32_e32 v20, vcc_lo, 0, v20, vcc_lo
	v_add_co_u32 v21, vcc_lo, v21, 2
	v_add_co_ci_u32_e32 v22, vcc_lo, 0, v22, vcc_lo
	s_add_u32 s4, s22, -1
	s_addc_u32 s5, s23, -1
	s_mov_b64 s[6:7], 0
	s_mov_b32 s8, 0
                                        ; implicit-def: $sgpr9
	s_set_inst_prefetch_distance 0x1
	s_branch .LBB1439_352
	.p2align	6
.LBB1439_350:                           ;   in Loop: Header=BB1439_352 Depth=1
	global_load_u16 v23, v[21:22], off
	global_load_u16 v24, v[19:20], off
	v_add_co_u32 v19, vcc_lo, v19, 2
	v_add_co_ci_u32_e32 v20, vcc_lo, 0, v20, vcc_lo
	v_add_co_u32 v21, s2, v21, 2
	s_delay_alu instid0(VALU_DEP_1)
	v_add_co_ci_u32_e64 v22, s2, 0, v22, s2
	s_add_u32 s6, s6, 1
	s_addc_u32 s7, s7, 0
	s_and_not1_b32 s2, s9, exec_lo
	s_waitcnt vmcnt(0)
	v_cmp_ne_u16_e32 vcc_lo, v23, v24
	s_and_b32 s9, vcc_lo, exec_lo
	s_delay_alu instid0(SALU_CYCLE_1)
	s_or_b32 s9, s2, s9
.LBB1439_351:                           ;   in Loop: Header=BB1439_352 Depth=1
	v_dual_mov_b32 v24, s7 :: v_dual_mov_b32 v23, s6
	s_and_b32 s2, exec_lo, s9
	s_delay_alu instid0(SALU_CYCLE_1) | instskip(NEXT) | instid1(SALU_CYCLE_1)
	s_or_b32 s8, s2, s8
	s_and_not1_b32 exec_lo, exec_lo, s8
	s_cbranch_execz .LBB1439_354
.LBB1439_352:                           ; =>This Inner Loop Header: Depth=1
	s_or_b32 s9, s9, exec_lo
	s_cmp_eq_u64 s[4:5], s[6:7]
	s_cbranch_scc0 .LBB1439_350
; %bb.353:                              ;   in Loop: Header=BB1439_352 Depth=1
	s_mov_b64 s[6:7], s[22:23]
                                        ; implicit-def: $vgpr19_vgpr20
                                        ; implicit-def: $vgpr21_vgpr22
	s_branch .LBB1439_351
.LBB1439_354:
	s_set_inst_prefetch_distance 0x2
	s_or_b32 exec_lo, exec_lo, s8
	v_cmp_gt_i64_e32 vcc_lo, s[22:23], v[23:24]
	s_or_not1_b32 s2, vcc_lo, exec_lo
.LBB1439_355:
	s_or_b32 exec_lo, exec_lo, s3
.LBB1439_356:
	s_delay_alu instid0(SALU_CYCLE_1)
	s_and_b32 s2, s2, exec_lo
.LBB1439_357:
	s_or_b32 exec_lo, exec_lo, s26
	s_delay_alu instid0(SALU_CYCLE_1)
	s_and_b32 s2, s2, exec_lo
	s_or_b32 s18, s18, exec_lo
.LBB1439_358:
	s_or_b32 exec_lo, exec_lo, s19
.LBB1439_359:
	s_and_saveexec_b32 s3, s18
	s_cbranch_execz .LBB1439_361
; %bb.360:
	s_waitcnt lgkmcnt(0)
	v_and_b32_e32 v19, 0xffffff00, v17
	v_cndmask_b32_e64 v20, 0, 1, s2
	s_delay_alu instid0(VALU_DEP_1) | instskip(NEXT) | instid1(VALU_DEP_1)
	v_or_b32_e32 v19, v20, v19
	v_and_b32_e32 v19, 0xffff, v19
	s_delay_alu instid0(VALU_DEP_1)
	v_and_or_b32 v17, 0xffff0000, v17, v19
.LBB1439_361:
	s_or_b32 exec_lo, exec_lo, s3
	s_delay_alu instid0(SALU_CYCLE_1)
	s_and_not1_b32 vcc_lo, exec_lo, s24
	s_cbranch_vccnz .LBB1439_363
; %bb.362:
	v_cmp_gt_u32_e32 vcc_lo, s20, v39
	s_waitcnt lgkmcnt(0)
	v_or_b32_e32 v20, 1, v39
	v_and_b32_e32 v21, 0xffffff00, v18
	v_or_b32_e32 v22, 2, v39
	v_cndmask_b32_e32 v19, 0, v17, vcc_lo
	s_delay_alu instid0(VALU_DEP_4) | instskip(SKIP_1) | instid1(VALU_DEP_4)
	v_cmp_gt_u32_e32 vcc_lo, s20, v20
	v_or_b32_e32 v20, 4, v39
	v_cmp_gt_u32_e64 s2, s20, v22
	v_or_b32_e32 v22, 3, v39
	v_and_b32_e32 v19, 0xff, v19
	s_delay_alu instid0(VALU_DEP_2) | instskip(NEXT) | instid1(VALU_DEP_2)
	v_cmp_gt_u32_e64 s3, s20, v22
	v_cndmask_b32_e32 v19, v19, v17, vcc_lo
	v_cmp_gt_u32_e32 vcc_lo, s20, v20
	v_cndmask_b32_e32 v20, v21, v18, vcc_lo
	v_or_b32_e32 v21, 5, v39
	s_delay_alu instid0(VALU_DEP_2) | instskip(SKIP_1) | instid1(VALU_DEP_1)
	v_and_b32_e32 v20, 0xffff00ff, v20
	v_and_b32_e32 v19, 0xffff, v19
	v_cndmask_b32_e64 v19, v19, v17, s2
	s_delay_alu instid0(VALU_DEP_4) | instskip(SKIP_1) | instid1(VALU_DEP_3)
	v_cmp_gt_u32_e64 s2, s20, v21
	v_or_b32_e32 v21, 6, v39
	v_and_b32_e32 v19, 0xffffff, v19
	s_delay_alu instid0(VALU_DEP_3) | instskip(NEXT) | instid1(VALU_DEP_2)
	v_cndmask_b32_e64 v20, v20, v18, s2
	v_cndmask_b32_e64 v19, v19, v17, s3
	s_delay_alu instid0(VALU_DEP_1) | instskip(SKIP_2) | instid1(VALU_DEP_3)
	v_dual_cndmask_b32 v19, v19, v17 :: v_dual_and_b32 v20, 0xff00ffff, v20
	v_cmp_gt_u32_e32 vcc_lo, s20, v21
	v_or_b32_e32 v21, 7, v39
	v_cndmask_b32_e64 v19, v19, v17, s2
	s_delay_alu instid0(VALU_DEP_1) | instskip(NEXT) | instid1(VALU_DEP_1)
	v_dual_cndmask_b32 v20, v20, v18 :: v_dual_cndmask_b32 v19, v19, v17
	v_and_b32_e32 v20, 0xffffff, v20
	s_delay_alu instid0(VALU_DEP_4) | instskip(NEXT) | instid1(VALU_DEP_2)
	v_cmp_gt_u32_e32 vcc_lo, s20, v21
	v_dual_cndmask_b32 v18, v20, v18 :: v_dual_cndmask_b32 v17, v19, v17
.LBB1439_363:
	s_delay_alu instid0(VALU_DEP_1) | instskip(SKIP_1) | instid1(VALU_DEP_2)
	v_and_b32_e32 v26, 0xff, v17
	s_waitcnt lgkmcnt(0)
	v_alignbit_b32 v19, v18, v17, 24
	v_bfe_u32 v28, v17, 8, 8
	v_bfe_u32 v30, v17, 16, 8
	v_and_b32_e32 v34, 0xff, v18
	v_bfe_u32 v36, v18, 8, 8
	v_and_b32_e32 v32, 0xff, v19
	v_add_nc_u32_e32 v19, v28, v26
	v_mbcnt_lo_u32_b32 v41, -1, 0
	v_bfe_u32 v38, v18, 16, 8
	v_lshrrev_b32_e32 v40, 24, v18
	v_lshrrev_b32_e32 v42, 5, v0
	v_add3_u32 v19, v19, v30, v32
	v_and_b32_e32 v20, 15, v41
	v_and_b32_e32 v21, 16, v41
	s_and_b32 vcc_lo, exec_lo, s25
	s_mov_b32 s18, -1
	v_add3_u32 v19, v19, v34, v36
	v_cmp_eq_u32_e64 s4, 0, v20
	v_cmp_lt_u32_e64 s2, 1, v20
	v_cmp_lt_u32_e64 s5, 3, v20
	;; [unrolled: 1-line block ×3, first 2 shown]
	v_add3_u32 v43, v19, v38, v40
	v_or_b32_e32 v19, 31, v0
	v_cmp_eq_u32_e64 s7, 0, v21
	s_barrier
	buffer_gl0_inv
	v_cmp_eq_u32_e64 s6, v19, v0
	s_cbranch_vccz .LBB1439_394
; %bb.364:
	v_mov_b32_dpp v19, v43 row_shr:1 row_mask:0xf bank_mask:0xf
	s_delay_alu instid0(VALU_DEP_1) | instskip(NEXT) | instid1(VALU_DEP_1)
	v_cndmask_b32_e64 v19, v19, 0, s4
	v_add_nc_u32_e32 v19, v19, v43
	s_delay_alu instid0(VALU_DEP_1) | instskip(NEXT) | instid1(VALU_DEP_1)
	v_mov_b32_dpp v20, v19 row_shr:2 row_mask:0xf bank_mask:0xf
	v_cndmask_b32_e64 v20, 0, v20, s2
	s_delay_alu instid0(VALU_DEP_1) | instskip(NEXT) | instid1(VALU_DEP_1)
	v_add_nc_u32_e32 v19, v19, v20
	v_mov_b32_dpp v20, v19 row_shr:4 row_mask:0xf bank_mask:0xf
	s_delay_alu instid0(VALU_DEP_1) | instskip(NEXT) | instid1(VALU_DEP_1)
	v_cndmask_b32_e64 v20, 0, v20, s5
	v_add_nc_u32_e32 v19, v19, v20
	s_delay_alu instid0(VALU_DEP_1) | instskip(NEXT) | instid1(VALU_DEP_1)
	v_mov_b32_dpp v20, v19 row_shr:8 row_mask:0xf bank_mask:0xf
	v_cndmask_b32_e64 v20, 0, v20, s3
	s_delay_alu instid0(VALU_DEP_1) | instskip(SKIP_3) | instid1(VALU_DEP_1)
	v_add_nc_u32_e32 v19, v19, v20
	ds_swizzle_b32 v20, v19 offset:swizzle(BROADCAST,32,15)
	s_waitcnt lgkmcnt(0)
	v_cndmask_b32_e64 v20, v20, 0, s7
	v_add_nc_u32_e32 v19, v19, v20
	s_and_saveexec_b32 s8, s6
	s_cbranch_execz .LBB1439_366
; %bb.365:
	v_lshlrev_b32_e32 v20, 2, v42
	ds_store_b32 v20, v19
.LBB1439_366:
	s_or_b32 exec_lo, exec_lo, s8
	s_delay_alu instid0(SALU_CYCLE_1)
	s_mov_b32 s8, exec_lo
	s_waitcnt lgkmcnt(0)
	s_barrier
	buffer_gl0_inv
	v_cmpx_gt_u32_e32 16, v0
	s_cbranch_execz .LBB1439_368
; %bb.367:
	v_lshlrev_b32_e32 v20, 2, v0
	ds_load_b32 v21, v20
	s_waitcnt lgkmcnt(0)
	v_mov_b32_dpp v22, v21 row_shr:1 row_mask:0xf bank_mask:0xf
	s_delay_alu instid0(VALU_DEP_1) | instskip(NEXT) | instid1(VALU_DEP_1)
	v_cndmask_b32_e64 v22, v22, 0, s4
	v_add_nc_u32_e32 v21, v22, v21
	s_delay_alu instid0(VALU_DEP_1) | instskip(NEXT) | instid1(VALU_DEP_1)
	v_mov_b32_dpp v22, v21 row_shr:2 row_mask:0xf bank_mask:0xf
	v_cndmask_b32_e64 v22, 0, v22, s2
	s_delay_alu instid0(VALU_DEP_1) | instskip(NEXT) | instid1(VALU_DEP_1)
	v_add_nc_u32_e32 v21, v21, v22
	v_mov_b32_dpp v22, v21 row_shr:4 row_mask:0xf bank_mask:0xf
	s_delay_alu instid0(VALU_DEP_1) | instskip(NEXT) | instid1(VALU_DEP_1)
	v_cndmask_b32_e64 v22, 0, v22, s5
	v_add_nc_u32_e32 v21, v21, v22
	s_delay_alu instid0(VALU_DEP_1) | instskip(NEXT) | instid1(VALU_DEP_1)
	v_mov_b32_dpp v22, v21 row_shr:8 row_mask:0xf bank_mask:0xf
	v_cndmask_b32_e64 v22, 0, v22, s3
	s_delay_alu instid0(VALU_DEP_1)
	v_add_nc_u32_e32 v21, v21, v22
	ds_store_b32 v20, v21
.LBB1439_368:
	s_or_b32 exec_lo, exec_lo, s8
	v_cmp_gt_u32_e32 vcc_lo, 32, v0
	s_mov_b32 s9, exec_lo
	s_waitcnt lgkmcnt(0)
	s_barrier
	buffer_gl0_inv
                                        ; implicit-def: $vgpr27
	v_cmpx_lt_u32_e32 31, v0
	s_cbranch_execz .LBB1439_370
; %bb.369:
	v_lshl_add_u32 v20, v42, 2, -4
	ds_load_b32 v27, v20
	s_waitcnt lgkmcnt(0)
	v_add_nc_u32_e32 v19, v27, v19
.LBB1439_370:
	s_or_b32 exec_lo, exec_lo, s9
	v_add_nc_u32_e32 v20, -1, v41
	s_delay_alu instid0(VALU_DEP_1) | instskip(NEXT) | instid1(VALU_DEP_1)
	v_cmp_gt_i32_e64 s8, 0, v20
	v_cndmask_b32_e64 v20, v20, v41, s8
	v_cmp_eq_u32_e64 s8, 0, v41
	s_delay_alu instid0(VALU_DEP_2)
	v_lshlrev_b32_e32 v20, 2, v20
	ds_bpermute_b32 v29, v20, v19
	s_and_saveexec_b32 s9, vcc_lo
	s_cbranch_execz .LBB1439_393
; %bb.371:
	v_mov_b32_e32 v22, 0
	ds_load_b32 v19, v22 offset:60
	s_and_saveexec_b32 s18, s8
	s_cbranch_execz .LBB1439_373
; %bb.372:
	s_add_i32 s22, s15, 32
	s_mov_b32 s23, 0
	v_mov_b32_e32 v20, 1
	s_lshl_b64 s[22:23], s[22:23], 3
	s_delay_alu instid0(SALU_CYCLE_1)
	s_add_u32 s22, s10, s22
	s_addc_u32 s23, s11, s23
	s_waitcnt lgkmcnt(0)
	global_store_b64 v22, v[19:20], s[22:23]
.LBB1439_373:
	s_or_b32 exec_lo, exec_lo, s18
	v_xad_u32 v20, v41, -1, s15
	s_mov_b32 s19, 0
	s_mov_b32 s18, exec_lo
	s_delay_alu instid0(VALU_DEP_1) | instskip(NEXT) | instid1(VALU_DEP_1)
	v_add_nc_u32_e32 v21, 32, v20
	v_lshlrev_b64 v[21:22], 3, v[21:22]
	s_delay_alu instid0(VALU_DEP_1) | instskip(NEXT) | instid1(VALU_DEP_2)
	v_add_co_u32 v24, vcc_lo, s10, v21
	v_add_co_ci_u32_e32 v25, vcc_lo, s11, v22, vcc_lo
	global_load_b64 v[22:23], v[24:25], off glc
	s_waitcnt vmcnt(0)
	v_and_b32_e32 v21, 0xff, v23
	s_delay_alu instid0(VALU_DEP_1)
	v_cmpx_eq_u16_e32 0, v21
	s_cbranch_execz .LBB1439_379
; %bb.374:
	s_mov_b32 s20, 1
	.p2align	6
.LBB1439_375:                           ; =>This Loop Header: Depth=1
                                        ;     Child Loop BB1439_376 Depth 2
	s_delay_alu instid0(SALU_CYCLE_1)
	s_max_u32 s22, s20, 1
.LBB1439_376:                           ;   Parent Loop BB1439_375 Depth=1
                                        ; =>  This Inner Loop Header: Depth=2
	s_delay_alu instid0(SALU_CYCLE_1)
	s_add_i32 s22, s22, -1
	s_sleep 1
	s_cmp_eq_u32 s22, 0
	s_cbranch_scc0 .LBB1439_376
; %bb.377:                              ;   in Loop: Header=BB1439_375 Depth=1
	global_load_b64 v[22:23], v[24:25], off glc
	s_cmp_lt_u32 s20, 32
	s_cselect_b32 s22, -1, 0
	s_delay_alu instid0(SALU_CYCLE_1) | instskip(SKIP_3) | instid1(VALU_DEP_1)
	s_cmp_lg_u32 s22, 0
	s_addc_u32 s20, s20, 0
	s_waitcnt vmcnt(0)
	v_and_b32_e32 v21, 0xff, v23
	v_cmp_ne_u16_e32 vcc_lo, 0, v21
	s_or_b32 s19, vcc_lo, s19
	s_delay_alu instid0(SALU_CYCLE_1)
	s_and_not1_b32 exec_lo, exec_lo, s19
	s_cbranch_execnz .LBB1439_375
; %bb.378:
	s_or_b32 exec_lo, exec_lo, s19
.LBB1439_379:
	s_delay_alu instid0(SALU_CYCLE_1)
	s_or_b32 exec_lo, exec_lo, s18
	v_cmp_ne_u32_e32 vcc_lo, 31, v41
	v_lshlrev_b32_e64 v33, v41, -1
	v_add_nc_u32_e32 v37, 2, v41
	v_add_nc_u32_e32 v46, 4, v41
	;; [unrolled: 1-line block ×3, first 2 shown]
	v_add_co_ci_u32_e32 v21, vcc_lo, 0, v41, vcc_lo
	v_add_nc_u32_e32 v50, 16, v41
	s_delay_alu instid0(VALU_DEP_2)
	v_lshlrev_b32_e32 v31, 2, v21
	v_and_b32_e32 v21, 0xff, v23
	ds_bpermute_b32 v24, v31, v22
	v_cmp_eq_u16_e32 vcc_lo, 2, v21
	v_and_or_b32 v21, vcc_lo, v33, 0x80000000
	v_cmp_gt_u32_e32 vcc_lo, 30, v41
	s_delay_alu instid0(VALU_DEP_2) | instskip(SKIP_1) | instid1(VALU_DEP_2)
	v_ctz_i32_b32_e32 v21, v21
	v_cndmask_b32_e64 v25, 0, 1, vcc_lo
	v_cmp_lt_u32_e32 vcc_lo, v41, v21
	s_waitcnt lgkmcnt(0)
	s_delay_alu instid0(VALU_DEP_2) | instskip(NEXT) | instid1(VALU_DEP_1)
	v_dual_cndmask_b32 v24, 0, v24 :: v_dual_lshlrev_b32 v25, 1, v25
	v_add_lshl_u32 v35, v25, v41, 2
	v_cmp_gt_u32_e32 vcc_lo, 28, v41
	s_delay_alu instid0(VALU_DEP_3) | instskip(SKIP_4) | instid1(VALU_DEP_1)
	v_add_nc_u32_e32 v22, v24, v22
	v_cndmask_b32_e64 v25, 0, 1, vcc_lo
	v_cmp_le_u32_e32 vcc_lo, v37, v21
	ds_bpermute_b32 v24, v35, v22
	v_lshlrev_b32_e32 v25, 2, v25
	v_add_lshl_u32 v44, v25, v41, 2
	s_waitcnt lgkmcnt(0)
	v_cndmask_b32_e32 v24, 0, v24, vcc_lo
	v_cmp_gt_u32_e32 vcc_lo, 24, v41
	s_delay_alu instid0(VALU_DEP_2) | instskip(SKIP_4) | instid1(VALU_DEP_1)
	v_add_nc_u32_e32 v22, v22, v24
	v_cndmask_b32_e64 v25, 0, 1, vcc_lo
	v_cmp_le_u32_e32 vcc_lo, v46, v21
	ds_bpermute_b32 v24, v44, v22
	v_lshlrev_b32_e32 v25, 3, v25
	v_add_lshl_u32 v47, v25, v41, 2
	s_waitcnt lgkmcnt(0)
	v_cndmask_b32_e32 v24, 0, v24, vcc_lo
	v_cmp_gt_u32_e32 vcc_lo, 16, v41
	s_delay_alu instid0(VALU_DEP_2) | instskip(SKIP_4) | instid1(VALU_DEP_1)
	v_add_nc_u32_e32 v22, v22, v24
	v_cndmask_b32_e64 v25, 0, 1, vcc_lo
	v_cmp_le_u32_e32 vcc_lo, v48, v21
	ds_bpermute_b32 v24, v47, v22
	v_lshlrev_b32_e32 v25, 4, v25
	v_add_lshl_u32 v49, v25, v41, 2
	s_waitcnt lgkmcnt(0)
	v_cndmask_b32_e32 v24, 0, v24, vcc_lo
	v_cmp_le_u32_e32 vcc_lo, v50, v21
	s_delay_alu instid0(VALU_DEP_2) | instskip(SKIP_3) | instid1(VALU_DEP_1)
	v_add_nc_u32_e32 v22, v22, v24
	ds_bpermute_b32 v24, v49, v22
	s_waitcnt lgkmcnt(0)
	v_cndmask_b32_e32 v21, 0, v24, vcc_lo
	v_dual_mov_b32 v21, 0 :: v_dual_add_nc_u32 v22, v22, v21
	s_branch .LBB1439_381
.LBB1439_380:                           ;   in Loop: Header=BB1439_381 Depth=1
	s_or_b32 exec_lo, exec_lo, s18
	ds_bpermute_b32 v25, v31, v22
	v_and_b32_e32 v24, 0xff, v23
	v_subrev_nc_u32_e32 v20, 32, v20
	s_delay_alu instid0(VALU_DEP_2) | instskip(SKIP_1) | instid1(VALU_DEP_1)
	v_cmp_eq_u16_e32 vcc_lo, 2, v24
	v_and_or_b32 v24, vcc_lo, v33, 0x80000000
	v_ctz_i32_b32_e32 v24, v24
	s_delay_alu instid0(VALU_DEP_1) | instskip(SKIP_3) | instid1(VALU_DEP_2)
	v_cmp_lt_u32_e32 vcc_lo, v41, v24
	s_waitcnt lgkmcnt(0)
	v_cndmask_b32_e32 v25, 0, v25, vcc_lo
	v_cmp_le_u32_e32 vcc_lo, v37, v24
	v_add_nc_u32_e32 v22, v25, v22
	ds_bpermute_b32 v25, v35, v22
	s_waitcnt lgkmcnt(0)
	v_cndmask_b32_e32 v25, 0, v25, vcc_lo
	v_cmp_le_u32_e32 vcc_lo, v46, v24
	s_delay_alu instid0(VALU_DEP_2) | instskip(SKIP_4) | instid1(VALU_DEP_2)
	v_add_nc_u32_e32 v22, v22, v25
	ds_bpermute_b32 v25, v44, v22
	s_waitcnt lgkmcnt(0)
	v_cndmask_b32_e32 v25, 0, v25, vcc_lo
	v_cmp_le_u32_e32 vcc_lo, v48, v24
	v_add_nc_u32_e32 v22, v22, v25
	ds_bpermute_b32 v25, v47, v22
	s_waitcnt lgkmcnt(0)
	v_cndmask_b32_e32 v25, 0, v25, vcc_lo
	v_cmp_le_u32_e32 vcc_lo, v50, v24
	s_delay_alu instid0(VALU_DEP_2) | instskip(SKIP_3) | instid1(VALU_DEP_1)
	v_add_nc_u32_e32 v22, v22, v25
	ds_bpermute_b32 v25, v49, v22
	s_waitcnt lgkmcnt(0)
	v_cndmask_b32_e32 v24, 0, v25, vcc_lo
	v_add3_u32 v22, v24, v45, v22
.LBB1439_381:                           ; =>This Loop Header: Depth=1
                                        ;     Child Loop BB1439_384 Depth 2
                                        ;       Child Loop BB1439_385 Depth 3
	v_and_b32_e32 v23, 0xff, v23
	s_delay_alu instid0(VALU_DEP_2) | instskip(NEXT) | instid1(VALU_DEP_2)
	v_mov_b32_e32 v45, v22
	v_cmp_ne_u16_e32 vcc_lo, 2, v23
	v_cndmask_b32_e64 v23, 0, 1, vcc_lo
	;;#ASMSTART
	;;#ASMEND
	s_delay_alu instid0(VALU_DEP_1)
	v_cmp_ne_u32_e32 vcc_lo, 0, v23
	s_cmp_lg_u32 vcc_lo, exec_lo
	s_cbranch_scc1 .LBB1439_388
; %bb.382:                              ;   in Loop: Header=BB1439_381 Depth=1
	v_lshlrev_b64 v[22:23], 3, v[20:21]
	s_mov_b32 s18, exec_lo
	s_delay_alu instid0(VALU_DEP_1) | instskip(NEXT) | instid1(VALU_DEP_2)
	v_add_co_u32 v24, vcc_lo, s10, v22
	v_add_co_ci_u32_e32 v25, vcc_lo, s11, v23, vcc_lo
	global_load_b64 v[22:23], v[24:25], off glc
	s_waitcnt vmcnt(0)
	v_and_b32_e32 v51, 0xff, v23
	s_delay_alu instid0(VALU_DEP_1)
	v_cmpx_eq_u16_e32 0, v51
	s_cbranch_execz .LBB1439_380
; %bb.383:                              ;   in Loop: Header=BB1439_381 Depth=1
	s_mov_b32 s20, 1
	s_mov_b32 s19, 0
	.p2align	6
.LBB1439_384:                           ;   Parent Loop BB1439_381 Depth=1
                                        ; =>  This Loop Header: Depth=2
                                        ;       Child Loop BB1439_385 Depth 3
	s_max_u32 s22, s20, 1
.LBB1439_385:                           ;   Parent Loop BB1439_381 Depth=1
                                        ;     Parent Loop BB1439_384 Depth=2
                                        ; =>    This Inner Loop Header: Depth=3
	s_delay_alu instid0(SALU_CYCLE_1)
	s_add_i32 s22, s22, -1
	s_sleep 1
	s_cmp_eq_u32 s22, 0
	s_cbranch_scc0 .LBB1439_385
; %bb.386:                              ;   in Loop: Header=BB1439_384 Depth=2
	global_load_b64 v[22:23], v[24:25], off glc
	s_cmp_lt_u32 s20, 32
	s_cselect_b32 s22, -1, 0
	s_delay_alu instid0(SALU_CYCLE_1) | instskip(SKIP_3) | instid1(VALU_DEP_1)
	s_cmp_lg_u32 s22, 0
	s_addc_u32 s20, s20, 0
	s_waitcnt vmcnt(0)
	v_and_b32_e32 v51, 0xff, v23
	v_cmp_ne_u16_e32 vcc_lo, 0, v51
	s_or_b32 s19, vcc_lo, s19
	s_delay_alu instid0(SALU_CYCLE_1)
	s_and_not1_b32 exec_lo, exec_lo, s19
	s_cbranch_execnz .LBB1439_384
; %bb.387:                              ;   in Loop: Header=BB1439_381 Depth=1
	s_or_b32 exec_lo, exec_lo, s19
	s_branch .LBB1439_380
.LBB1439_388:                           ;   in Loop: Header=BB1439_381 Depth=1
                                        ; implicit-def: $vgpr22
                                        ; implicit-def: $vgpr23
	s_cbranch_execz .LBB1439_381
; %bb.389:
	s_and_saveexec_b32 s18, s8
	s_cbranch_execz .LBB1439_391
; %bb.390:
	s_add_i32 s22, s15, 32
	s_mov_b32 s23, 0
	v_dual_mov_b32 v21, 2 :: v_dual_add_nc_u32 v20, v45, v19
	s_lshl_b64 s[22:23], s[22:23], 3
	v_mov_b32_e32 v22, 0
	v_add_nc_u32_e64 v23, 0x8400, 0
	s_add_u32 s22, s10, s22
	s_addc_u32 s23, s11, s23
	global_store_b64 v22, v[20:21], s[22:23]
	ds_store_2addr_b32 v23, v19, v45 offset1:2
.LBB1439_391:
	s_or_b32 exec_lo, exec_lo, s18
	v_cmp_eq_u32_e32 vcc_lo, 0, v0
	s_and_b32 exec_lo, exec_lo, vcc_lo
	s_cbranch_execz .LBB1439_393
; %bb.392:
	v_mov_b32_e32 v19, 0
	ds_store_b32 v19, v45 offset:60
.LBB1439_393:
	s_or_b32 exec_lo, exec_lo, s9
	s_waitcnt lgkmcnt(0)
	v_cndmask_b32_e64 v20, v29, v27, s8
	v_cmp_ne_u32_e32 vcc_lo, 0, v0
	v_mov_b32_e32 v19, 0
	s_waitcnt_vscnt null, 0x0
	s_barrier
	buffer_gl0_inv
	v_cndmask_b32_e32 v20, 0, v20, vcc_lo
	ds_load_b32 v19, v19 offset:60
	s_waitcnt lgkmcnt(0)
	s_barrier
	buffer_gl0_inv
	v_add_nc_u32_e32 v37, v19, v20
	v_add_nc_u32_e64 v19, 0x8400, 0
	s_delay_alu instid0(VALU_DEP_2) | instskip(SKIP_2) | instid1(VALU_DEP_1)
	v_add_nc_u32_e32 v35, v37, v26
	ds_load_2addr_b32 v[19:20], v19 offset1:2
	v_add_nc_u32_e32 v33, v35, v28
	v_add_nc_u32_e32 v31, v33, v30
	s_delay_alu instid0(VALU_DEP_1) | instskip(NEXT) | instid1(VALU_DEP_1)
	v_add_nc_u32_e32 v29, v31, v32
	v_add_nc_u32_e32 v27, v29, v34
	s_delay_alu instid0(VALU_DEP_1) | instskip(NEXT) | instid1(VALU_DEP_1)
	v_add_nc_u32_e32 v25, v27, v36
	v_add_nc_u32_e32 v23, v25, v38
	s_load_b64 s[8:9], s[0:1], 0x28
	v_lshrrev_b64 v[21:22], 24, v[17:18]
	s_branch .LBB1439_404
.LBB1439_394:
                                        ; implicit-def: $vgpr23
                                        ; implicit-def: $vgpr25
                                        ; implicit-def: $vgpr27
                                        ; implicit-def: $vgpr29
                                        ; implicit-def: $vgpr31
                                        ; implicit-def: $vgpr33
                                        ; implicit-def: $vgpr35
                                        ; implicit-def: $vgpr37
                                        ; implicit-def: $vgpr20
	s_load_b64 s[8:9], s[0:1], 0x28
	v_lshrrev_b64 v[21:22], 24, v[17:18]
	s_and_b32 vcc_lo, exec_lo, s18
	s_cbranch_vccz .LBB1439_404
; %bb.395:
	s_waitcnt lgkmcnt(0)
	v_mov_b32_dpp v19, v43 row_shr:1 row_mask:0xf bank_mask:0xf
	s_delay_alu instid0(VALU_DEP_1) | instskip(NEXT) | instid1(VALU_DEP_1)
	v_cndmask_b32_e64 v19, v19, 0, s4
	v_add_nc_u32_e32 v19, v19, v43
	s_delay_alu instid0(VALU_DEP_1) | instskip(NEXT) | instid1(VALU_DEP_1)
	v_mov_b32_dpp v20, v19 row_shr:2 row_mask:0xf bank_mask:0xf
	v_cndmask_b32_e64 v20, 0, v20, s2
	s_delay_alu instid0(VALU_DEP_1) | instskip(NEXT) | instid1(VALU_DEP_1)
	v_add_nc_u32_e32 v19, v19, v20
	v_mov_b32_dpp v20, v19 row_shr:4 row_mask:0xf bank_mask:0xf
	s_delay_alu instid0(VALU_DEP_1) | instskip(NEXT) | instid1(VALU_DEP_1)
	v_cndmask_b32_e64 v20, 0, v20, s5
	v_add_nc_u32_e32 v19, v19, v20
	s_delay_alu instid0(VALU_DEP_1) | instskip(NEXT) | instid1(VALU_DEP_1)
	v_mov_b32_dpp v20, v19 row_shr:8 row_mask:0xf bank_mask:0xf
	v_cndmask_b32_e64 v20, 0, v20, s3
	s_delay_alu instid0(VALU_DEP_1) | instskip(SKIP_3) | instid1(VALU_DEP_1)
	v_add_nc_u32_e32 v19, v19, v20
	ds_swizzle_b32 v20, v19 offset:swizzle(BROADCAST,32,15)
	s_waitcnt lgkmcnt(0)
	v_cndmask_b32_e64 v20, v20, 0, s7
	v_add_nc_u32_e32 v19, v19, v20
	s_and_saveexec_b32 s0, s6
	s_cbranch_execz .LBB1439_397
; %bb.396:
	v_lshlrev_b32_e32 v20, 2, v42
	ds_store_b32 v20, v19
.LBB1439_397:
	s_or_b32 exec_lo, exec_lo, s0
	s_delay_alu instid0(SALU_CYCLE_1)
	s_mov_b32 s0, exec_lo
	s_waitcnt lgkmcnt(0)
	s_barrier
	buffer_gl0_inv
	v_cmpx_gt_u32_e32 16, v0
	s_cbranch_execz .LBB1439_399
; %bb.398:
	v_lshlrev_b32_e32 v20, 2, v0
	ds_load_b32 v22, v20
	s_waitcnt lgkmcnt(0)
	v_mov_b32_dpp v23, v22 row_shr:1 row_mask:0xf bank_mask:0xf
	s_delay_alu instid0(VALU_DEP_1) | instskip(NEXT) | instid1(VALU_DEP_1)
	v_cndmask_b32_e64 v23, v23, 0, s4
	v_add_nc_u32_e32 v22, v23, v22
	s_delay_alu instid0(VALU_DEP_1) | instskip(NEXT) | instid1(VALU_DEP_1)
	v_mov_b32_dpp v23, v22 row_shr:2 row_mask:0xf bank_mask:0xf
	v_cndmask_b32_e64 v23, 0, v23, s2
	s_delay_alu instid0(VALU_DEP_1) | instskip(NEXT) | instid1(VALU_DEP_1)
	v_add_nc_u32_e32 v22, v22, v23
	v_mov_b32_dpp v23, v22 row_shr:4 row_mask:0xf bank_mask:0xf
	s_delay_alu instid0(VALU_DEP_1) | instskip(NEXT) | instid1(VALU_DEP_1)
	v_cndmask_b32_e64 v23, 0, v23, s5
	v_add_nc_u32_e32 v22, v22, v23
	s_delay_alu instid0(VALU_DEP_1) | instskip(NEXT) | instid1(VALU_DEP_1)
	v_mov_b32_dpp v23, v22 row_shr:8 row_mask:0xf bank_mask:0xf
	v_cndmask_b32_e64 v23, 0, v23, s3
	s_delay_alu instid0(VALU_DEP_1)
	v_add_nc_u32_e32 v22, v22, v23
	ds_store_b32 v20, v22
.LBB1439_399:
	s_or_b32 exec_lo, exec_lo, s0
	v_mov_b32_e32 v20, 0
	v_mov_b32_e32 v22, 0
	s_mov_b32 s0, exec_lo
	s_waitcnt lgkmcnt(0)
	s_barrier
	buffer_gl0_inv
	v_cmpx_lt_u32_e32 31, v0
	s_cbranch_execz .LBB1439_401
; %bb.400:
	v_lshl_add_u32 v22, v42, 2, -4
	ds_load_b32 v22, v22
.LBB1439_401:
	s_or_b32 exec_lo, exec_lo, s0
	v_add_nc_u32_e32 v23, -1, v41
	s_waitcnt lgkmcnt(0)
	v_add_nc_u32_e32 v19, v22, v19
	s_delay_alu instid0(VALU_DEP_2) | instskip(SKIP_2) | instid1(VALU_DEP_2)
	v_cmp_gt_i32_e32 vcc_lo, 0, v23
	v_cndmask_b32_e32 v23, v23, v41, vcc_lo
	v_cmp_eq_u32_e32 vcc_lo, 0, v0
	v_lshlrev_b32_e32 v23, 2, v23
	ds_bpermute_b32 v23, v23, v19
	ds_load_b32 v19, v20 offset:60
	s_and_saveexec_b32 s0, vcc_lo
	s_cbranch_execz .LBB1439_403
; %bb.402:
	v_mov_b32_e32 v24, 0
	v_mov_b32_e32 v20, 2
	s_waitcnt lgkmcnt(0)
	global_store_b64 v24, v[19:20], s[10:11] offset:256
.LBB1439_403:
	s_or_b32 exec_lo, exec_lo, s0
	v_cmp_eq_u32_e64 s0, 0, v41
	s_waitcnt lgkmcnt(0)
	s_waitcnt_vscnt null, 0x0
	s_barrier
	buffer_gl0_inv
	v_cndmask_b32_e64 v20, v23, v22, s0
	s_delay_alu instid0(VALU_DEP_1) | instskip(NEXT) | instid1(VALU_DEP_1)
	v_cndmask_b32_e64 v37, v20, 0, vcc_lo
	v_dual_mov_b32 v20, 0 :: v_dual_add_nc_u32 v35, v37, v26
	s_delay_alu instid0(VALU_DEP_1) | instskip(NEXT) | instid1(VALU_DEP_1)
	v_add_nc_u32_e32 v33, v35, v28
	v_add_nc_u32_e32 v31, v33, v30
	s_delay_alu instid0(VALU_DEP_1) | instskip(NEXT) | instid1(VALU_DEP_1)
	v_add_nc_u32_e32 v29, v31, v32
	v_add_nc_u32_e32 v27, v29, v34
	;; [unrolled: 3-line block ×3, first 2 shown]
.LBB1439_404:
	s_waitcnt lgkmcnt(0)
	v_cmp_gt_u32_e32 vcc_lo, 0x201, v19
	v_lshrrev_b32_e32 v43, 8, v17
	v_lshrrev_b32_e32 v42, 16, v17
	;; [unrolled: 1-line block ×4, first 2 shown]
	s_mov_b32 s0, -1
	s_cbranch_vccnz .LBB1439_408
; %bb.405:
	s_and_b32 vcc_lo, exec_lo, s0
	s_cbranch_vccnz .LBB1439_433
.LBB1439_406:
	v_cmp_eq_u32_e32 vcc_lo, 0, v0
	s_and_b32 s0, vcc_lo, s14
	s_delay_alu instid0(SALU_CYCLE_1)
	s_and_saveexec_b32 s1, s0
	s_cbranch_execnz .LBB1439_453
.LBB1439_407:
	s_nop 0
	s_sendmsg sendmsg(MSG_DEALLOC_VGPRS)
	s_endpgm
.LBB1439_408:
	v_add_nc_u32_e32 v24, v20, v19
	s_delay_alu instid0(VALU_DEP_1) | instskip(SKIP_1) | instid1(SALU_CYCLE_1)
	v_cmp_lt_u32_e32 vcc_lo, v37, v24
	s_or_b32 s1, s21, vcc_lo
	s_and_saveexec_b32 s0, s1
	s_cbranch_execz .LBB1439_411
; %bb.409:
	v_and_b32_e32 v26, 1, v17
	s_delay_alu instid0(VALU_DEP_1)
	v_cmp_eq_u32_e32 vcc_lo, 1, v26
	s_and_b32 exec_lo, exec_lo, vcc_lo
	s_cbranch_execz .LBB1439_411
; %bb.410:
	v_mov_b32_e32 v38, 0
	s_lshl_b64 s[2:3], s[12:13], 3
	s_delay_alu instid0(SALU_CYCLE_1) | instskip(SKIP_1) | instid1(VALU_DEP_1)
	s_add_u32 s1, s8, s2
	s_addc_u32 s2, s9, s3
	v_lshlrev_b64 v[44:45], 3, v[37:38]
	s_delay_alu instid0(VALU_DEP_1) | instskip(NEXT) | instid1(VALU_DEP_2)
	v_add_co_u32 v44, vcc_lo, s1, v44
	v_add_co_ci_u32_e32 v45, vcc_lo, s2, v45, vcc_lo
	global_store_b64 v[44:45], v[13:14], off
.LBB1439_411:
	s_or_b32 exec_lo, exec_lo, s0
	v_cmp_lt_u32_e32 vcc_lo, v35, v24
	s_or_b32 s1, s21, vcc_lo
	s_delay_alu instid0(SALU_CYCLE_1)
	s_and_saveexec_b32 s0, s1
	s_cbranch_execz .LBB1439_414
; %bb.412:
	v_and_b32_e32 v26, 1, v43
	s_delay_alu instid0(VALU_DEP_1)
	v_cmp_eq_u32_e32 vcc_lo, 1, v26
	s_and_b32 exec_lo, exec_lo, vcc_lo
	s_cbranch_execz .LBB1439_414
; %bb.413:
	v_mov_b32_e32 v36, 0
	s_lshl_b64 s[2:3], s[12:13], 3
	s_delay_alu instid0(SALU_CYCLE_1) | instskip(SKIP_1) | instid1(VALU_DEP_1)
	s_add_u32 s1, s8, s2
	s_addc_u32 s2, s9, s3
	v_lshlrev_b64 v[44:45], 3, v[35:36]
	s_delay_alu instid0(VALU_DEP_1) | instskip(NEXT) | instid1(VALU_DEP_2)
	v_add_co_u32 v44, vcc_lo, s1, v44
	v_add_co_ci_u32_e32 v45, vcc_lo, s2, v45, vcc_lo
	global_store_b64 v[44:45], v[15:16], off
.LBB1439_414:
	s_or_b32 exec_lo, exec_lo, s0
	v_cmp_lt_u32_e32 vcc_lo, v33, v24
	s_or_b32 s1, s21, vcc_lo
	s_delay_alu instid0(SALU_CYCLE_1)
	;; [unrolled: 24-line block ×7, first 2 shown]
	s_and_saveexec_b32 s0, s1
	s_cbranch_execz .LBB1439_432
; %bb.430:
	v_and_b32_e32 v24, 1, v40
	s_delay_alu instid0(VALU_DEP_1)
	v_cmp_eq_u32_e32 vcc_lo, 1, v24
	s_and_b32 exec_lo, exec_lo, vcc_lo
	s_cbranch_execz .LBB1439_432
; %bb.431:
	v_mov_b32_e32 v24, 0
	s_lshl_b64 s[2:3], s[12:13], 3
	s_delay_alu instid0(SALU_CYCLE_1) | instskip(SKIP_1) | instid1(VALU_DEP_1)
	s_add_u32 s1, s8, s2
	s_addc_u32 s2, s9, s3
	v_lshlrev_b64 v[44:45], 3, v[23:24]
	s_delay_alu instid0(VALU_DEP_1) | instskip(NEXT) | instid1(VALU_DEP_2)
	v_add_co_u32 v44, vcc_lo, s1, v44
	v_add_co_ci_u32_e32 v45, vcc_lo, s2, v45, vcc_lo
	global_store_b64 v[44:45], v[3:4], off
.LBB1439_432:
	s_or_b32 exec_lo, exec_lo, s0
	s_branch .LBB1439_406
.LBB1439_433:
	v_and_b32_e32 v17, 1, v17
	s_mov_b32 s0, exec_lo
	s_delay_alu instid0(VALU_DEP_1)
	v_cmpx_eq_u32_e32 1, v17
	s_cbranch_execz .LBB1439_435
; %bb.434:
	v_sub_nc_u32_e32 v17, v37, v20
	s_delay_alu instid0(VALU_DEP_1)
	v_lshlrev_b32_e32 v17, 3, v17
	ds_store_b64 v17, v[13:14]
.LBB1439_435:
	s_or_b32 exec_lo, exec_lo, s0
	v_and_b32_e32 v13, 1, v43
	s_mov_b32 s0, exec_lo
	s_delay_alu instid0(VALU_DEP_1)
	v_cmpx_eq_u32_e32 1, v13
	s_cbranch_execz .LBB1439_437
; %bb.436:
	v_sub_nc_u32_e32 v13, v35, v20
	s_delay_alu instid0(VALU_DEP_1)
	v_lshlrev_b32_e32 v13, 3, v13
	ds_store_b64 v13, v[15:16]
.LBB1439_437:
	s_or_b32 exec_lo, exec_lo, s0
	;; [unrolled: 12-line block ×8, first 2 shown]
	s_delay_alu instid0(SALU_CYCLE_1)
	s_mov_b32 s1, exec_lo
	s_waitcnt lgkmcnt(0)
	s_waitcnt_vscnt null, 0x0
	s_barrier
	buffer_gl0_inv
	v_cmpx_lt_u32_e64 v0, v19
	s_cbranch_execz .LBB1439_452
; %bb.450:
	v_dual_mov_b32 v2, 0 :: v_dual_mov_b32 v1, v20
	s_lshl_b64 s[2:3], s[12:13], 3
	v_mov_b32_e32 v3, v0
	s_delay_alu instid0(VALU_DEP_2) | instskip(NEXT) | instid1(VALU_DEP_1)
	v_lshlrev_b64 v[1:2], 3, v[1:2]
	v_add_co_u32 v1, vcc_lo, s2, v1
	s_delay_alu instid0(VALU_DEP_2) | instskip(SKIP_1) | instid1(VALU_DEP_2)
	v_add_co_ci_u32_e32 v2, vcc_lo, s3, v2, vcc_lo
	s_mov_b32 s2, 0
	v_add_co_u32 v1, vcc_lo, s8, v1
	s_delay_alu instid0(VALU_DEP_2) | instskip(NEXT) | instid1(VALU_DEP_2)
	v_add_co_ci_u32_e32 v2, vcc_lo, s9, v2, vcc_lo
	v_add_co_u32 v1, vcc_lo, v1, v39
	s_delay_alu instid0(VALU_DEP_2)
	v_add_co_ci_u32_e32 v2, vcc_lo, 0, v2, vcc_lo
	.p2align	6
.LBB1439_451:                           ; =>This Inner Loop Header: Depth=1
	ds_load_b64 v[4:5], v39
	v_add_nc_u32_e32 v3, 0x200, v3
	v_add_nc_u32_e32 v39, 0x1000, v39
	s_delay_alu instid0(VALU_DEP_2) | instskip(SKIP_4) | instid1(VALU_DEP_1)
	v_cmp_ge_u32_e32 vcc_lo, v3, v19
	s_or_b32 s2, vcc_lo, s2
	s_waitcnt lgkmcnt(0)
	global_store_b64 v[1:2], v[4:5], off
	v_add_co_u32 v1, s0, 0x1000, v1
	v_add_co_ci_u32_e64 v2, s0, 0, v2, s0
	s_and_not1_b32 exec_lo, exec_lo, s2
	s_cbranch_execnz .LBB1439_451
.LBB1439_452:
	s_or_b32 exec_lo, exec_lo, s1
	v_cmp_eq_u32_e32 vcc_lo, 0, v0
	s_and_b32 s0, vcc_lo, s14
	s_delay_alu instid0(SALU_CYCLE_1)
	s_and_saveexec_b32 s1, s0
	s_cbranch_execz .LBB1439_407
.LBB1439_453:
	v_add_co_u32 v0, s0, s12, v19
	s_delay_alu instid0(VALU_DEP_1) | instskip(SKIP_1) | instid1(VALU_DEP_3)
	v_add_co_ci_u32_e64 v1, null, s13, 0, s0
	v_mov_b32_e32 v2, 0
	v_add_co_u32 v0, vcc_lo, v0, v20
	s_delay_alu instid0(VALU_DEP_3)
	v_add_co_ci_u32_e32 v1, vcc_lo, 0, v1, vcc_lo
	global_store_b64 v2, v[0:1], s[16:17]
	s_nop 0
	s_sendmsg sendmsg(MSG_DEALLOC_VGPRS)
	s_endpgm
	.section	.rodata,"a",@progbits
	.p2align	6, 0x0
	.amdhsa_kernel _ZN7rocprim17ROCPRIM_400000_NS6detail17trampoline_kernelINS0_14default_configENS1_25partition_config_selectorILNS1_17partition_subalgoE8ElNS0_10empty_typeEbEEZZNS1_14partition_implILS5_8ELb0ES3_jPlPS6_PKS6_NS0_5tupleIJS9_S6_EEENSD_IJSA_SA_EEENS0_18inequality_wrapperIZN2at6native12_GLOBAL__N_124unique_dim_cuda_templateItEESt5tupleIJNSH_6TensorESM_SM_EERKSM_lbbbEUlllE0_EEPmJS6_EEE10hipError_tPvRmT3_T4_T5_T6_T7_T9_mT8_P12ihipStream_tbDpT10_ENKUlT_T0_E_clISt17integral_constantIbLb1EES1B_IbLb0EEEEDaS17_S18_EUlS17_E_NS1_11comp_targetILNS1_3genE9ELNS1_11target_archE1100ELNS1_3gpuE3ELNS1_3repE0EEENS1_30default_config_static_selectorELNS0_4arch9wavefront6targetE0EEEvT1_
		.amdhsa_group_segment_fixed_size 33804
		.amdhsa_private_segment_fixed_size 0
		.amdhsa_kernarg_size 120
		.amdhsa_user_sgpr_count 15
		.amdhsa_user_sgpr_dispatch_ptr 0
		.amdhsa_user_sgpr_queue_ptr 0
		.amdhsa_user_sgpr_kernarg_segment_ptr 1
		.amdhsa_user_sgpr_dispatch_id 0
		.amdhsa_user_sgpr_private_segment_size 0
		.amdhsa_wavefront_size32 1
		.amdhsa_uses_dynamic_stack 0
		.amdhsa_enable_private_segment 0
		.amdhsa_system_sgpr_workgroup_id_x 1
		.amdhsa_system_sgpr_workgroup_id_y 0
		.amdhsa_system_sgpr_workgroup_id_z 0
		.amdhsa_system_sgpr_workgroup_info 0
		.amdhsa_system_vgpr_workitem_id 0
		.amdhsa_next_free_vgpr 52
		.amdhsa_next_free_sgpr 36
		.amdhsa_reserve_vcc 1
		.amdhsa_float_round_mode_32 0
		.amdhsa_float_round_mode_16_64 0
		.amdhsa_float_denorm_mode_32 3
		.amdhsa_float_denorm_mode_16_64 3
		.amdhsa_dx10_clamp 1
		.amdhsa_ieee_mode 1
		.amdhsa_fp16_overflow 0
		.amdhsa_workgroup_processor_mode 1
		.amdhsa_memory_ordered 1
		.amdhsa_forward_progress 0
		.amdhsa_shared_vgpr_count 0
		.amdhsa_exception_fp_ieee_invalid_op 0
		.amdhsa_exception_fp_denorm_src 0
		.amdhsa_exception_fp_ieee_div_zero 0
		.amdhsa_exception_fp_ieee_overflow 0
		.amdhsa_exception_fp_ieee_underflow 0
		.amdhsa_exception_fp_ieee_inexact 0
		.amdhsa_exception_int_div_zero 0
	.end_amdhsa_kernel
	.section	.text._ZN7rocprim17ROCPRIM_400000_NS6detail17trampoline_kernelINS0_14default_configENS1_25partition_config_selectorILNS1_17partition_subalgoE8ElNS0_10empty_typeEbEEZZNS1_14partition_implILS5_8ELb0ES3_jPlPS6_PKS6_NS0_5tupleIJS9_S6_EEENSD_IJSA_SA_EEENS0_18inequality_wrapperIZN2at6native12_GLOBAL__N_124unique_dim_cuda_templateItEESt5tupleIJNSH_6TensorESM_SM_EERKSM_lbbbEUlllE0_EEPmJS6_EEE10hipError_tPvRmT3_T4_T5_T6_T7_T9_mT8_P12ihipStream_tbDpT10_ENKUlT_T0_E_clISt17integral_constantIbLb1EES1B_IbLb0EEEEDaS17_S18_EUlS17_E_NS1_11comp_targetILNS1_3genE9ELNS1_11target_archE1100ELNS1_3gpuE3ELNS1_3repE0EEENS1_30default_config_static_selectorELNS0_4arch9wavefront6targetE0EEEvT1_,"axG",@progbits,_ZN7rocprim17ROCPRIM_400000_NS6detail17trampoline_kernelINS0_14default_configENS1_25partition_config_selectorILNS1_17partition_subalgoE8ElNS0_10empty_typeEbEEZZNS1_14partition_implILS5_8ELb0ES3_jPlPS6_PKS6_NS0_5tupleIJS9_S6_EEENSD_IJSA_SA_EEENS0_18inequality_wrapperIZN2at6native12_GLOBAL__N_124unique_dim_cuda_templateItEESt5tupleIJNSH_6TensorESM_SM_EERKSM_lbbbEUlllE0_EEPmJS6_EEE10hipError_tPvRmT3_T4_T5_T6_T7_T9_mT8_P12ihipStream_tbDpT10_ENKUlT_T0_E_clISt17integral_constantIbLb1EES1B_IbLb0EEEEDaS17_S18_EUlS17_E_NS1_11comp_targetILNS1_3genE9ELNS1_11target_archE1100ELNS1_3gpuE3ELNS1_3repE0EEENS1_30default_config_static_selectorELNS0_4arch9wavefront6targetE0EEEvT1_,comdat
.Lfunc_end1439:
	.size	_ZN7rocprim17ROCPRIM_400000_NS6detail17trampoline_kernelINS0_14default_configENS1_25partition_config_selectorILNS1_17partition_subalgoE8ElNS0_10empty_typeEbEEZZNS1_14partition_implILS5_8ELb0ES3_jPlPS6_PKS6_NS0_5tupleIJS9_S6_EEENSD_IJSA_SA_EEENS0_18inequality_wrapperIZN2at6native12_GLOBAL__N_124unique_dim_cuda_templateItEESt5tupleIJNSH_6TensorESM_SM_EERKSM_lbbbEUlllE0_EEPmJS6_EEE10hipError_tPvRmT3_T4_T5_T6_T7_T9_mT8_P12ihipStream_tbDpT10_ENKUlT_T0_E_clISt17integral_constantIbLb1EES1B_IbLb0EEEEDaS17_S18_EUlS17_E_NS1_11comp_targetILNS1_3genE9ELNS1_11target_archE1100ELNS1_3gpuE3ELNS1_3repE0EEENS1_30default_config_static_selectorELNS0_4arch9wavefront6targetE0EEEvT1_, .Lfunc_end1439-_ZN7rocprim17ROCPRIM_400000_NS6detail17trampoline_kernelINS0_14default_configENS1_25partition_config_selectorILNS1_17partition_subalgoE8ElNS0_10empty_typeEbEEZZNS1_14partition_implILS5_8ELb0ES3_jPlPS6_PKS6_NS0_5tupleIJS9_S6_EEENSD_IJSA_SA_EEENS0_18inequality_wrapperIZN2at6native12_GLOBAL__N_124unique_dim_cuda_templateItEESt5tupleIJNSH_6TensorESM_SM_EERKSM_lbbbEUlllE0_EEPmJS6_EEE10hipError_tPvRmT3_T4_T5_T6_T7_T9_mT8_P12ihipStream_tbDpT10_ENKUlT_T0_E_clISt17integral_constantIbLb1EES1B_IbLb0EEEEDaS17_S18_EUlS17_E_NS1_11comp_targetILNS1_3genE9ELNS1_11target_archE1100ELNS1_3gpuE3ELNS1_3repE0EEENS1_30default_config_static_selectorELNS0_4arch9wavefront6targetE0EEEvT1_
                                        ; -- End function
	.section	.AMDGPU.csdata,"",@progbits
; Kernel info:
; codeLenInByte = 18332
; NumSgprs: 38
; NumVgprs: 52
; ScratchSize: 0
; MemoryBound: 0
; FloatMode: 240
; IeeeMode: 1
; LDSByteSize: 33804 bytes/workgroup (compile time only)
; SGPRBlocks: 4
; VGPRBlocks: 6
; NumSGPRsForWavesPerEU: 38
; NumVGPRsForWavesPerEU: 52
; Occupancy: 12
; WaveLimiterHint : 1
; COMPUTE_PGM_RSRC2:SCRATCH_EN: 0
; COMPUTE_PGM_RSRC2:USER_SGPR: 15
; COMPUTE_PGM_RSRC2:TRAP_HANDLER: 0
; COMPUTE_PGM_RSRC2:TGID_X_EN: 1
; COMPUTE_PGM_RSRC2:TGID_Y_EN: 0
; COMPUTE_PGM_RSRC2:TGID_Z_EN: 0
; COMPUTE_PGM_RSRC2:TIDIG_COMP_CNT: 0
	.section	.text._ZN7rocprim17ROCPRIM_400000_NS6detail17trampoline_kernelINS0_14default_configENS1_25partition_config_selectorILNS1_17partition_subalgoE8ElNS0_10empty_typeEbEEZZNS1_14partition_implILS5_8ELb0ES3_jPlPS6_PKS6_NS0_5tupleIJS9_S6_EEENSD_IJSA_SA_EEENS0_18inequality_wrapperIZN2at6native12_GLOBAL__N_124unique_dim_cuda_templateItEESt5tupleIJNSH_6TensorESM_SM_EERKSM_lbbbEUlllE0_EEPmJS6_EEE10hipError_tPvRmT3_T4_T5_T6_T7_T9_mT8_P12ihipStream_tbDpT10_ENKUlT_T0_E_clISt17integral_constantIbLb1EES1B_IbLb0EEEEDaS17_S18_EUlS17_E_NS1_11comp_targetILNS1_3genE8ELNS1_11target_archE1030ELNS1_3gpuE2ELNS1_3repE0EEENS1_30default_config_static_selectorELNS0_4arch9wavefront6targetE0EEEvT1_,"axG",@progbits,_ZN7rocprim17ROCPRIM_400000_NS6detail17trampoline_kernelINS0_14default_configENS1_25partition_config_selectorILNS1_17partition_subalgoE8ElNS0_10empty_typeEbEEZZNS1_14partition_implILS5_8ELb0ES3_jPlPS6_PKS6_NS0_5tupleIJS9_S6_EEENSD_IJSA_SA_EEENS0_18inequality_wrapperIZN2at6native12_GLOBAL__N_124unique_dim_cuda_templateItEESt5tupleIJNSH_6TensorESM_SM_EERKSM_lbbbEUlllE0_EEPmJS6_EEE10hipError_tPvRmT3_T4_T5_T6_T7_T9_mT8_P12ihipStream_tbDpT10_ENKUlT_T0_E_clISt17integral_constantIbLb1EES1B_IbLb0EEEEDaS17_S18_EUlS17_E_NS1_11comp_targetILNS1_3genE8ELNS1_11target_archE1030ELNS1_3gpuE2ELNS1_3repE0EEENS1_30default_config_static_selectorELNS0_4arch9wavefront6targetE0EEEvT1_,comdat
	.globl	_ZN7rocprim17ROCPRIM_400000_NS6detail17trampoline_kernelINS0_14default_configENS1_25partition_config_selectorILNS1_17partition_subalgoE8ElNS0_10empty_typeEbEEZZNS1_14partition_implILS5_8ELb0ES3_jPlPS6_PKS6_NS0_5tupleIJS9_S6_EEENSD_IJSA_SA_EEENS0_18inequality_wrapperIZN2at6native12_GLOBAL__N_124unique_dim_cuda_templateItEESt5tupleIJNSH_6TensorESM_SM_EERKSM_lbbbEUlllE0_EEPmJS6_EEE10hipError_tPvRmT3_T4_T5_T6_T7_T9_mT8_P12ihipStream_tbDpT10_ENKUlT_T0_E_clISt17integral_constantIbLb1EES1B_IbLb0EEEEDaS17_S18_EUlS17_E_NS1_11comp_targetILNS1_3genE8ELNS1_11target_archE1030ELNS1_3gpuE2ELNS1_3repE0EEENS1_30default_config_static_selectorELNS0_4arch9wavefront6targetE0EEEvT1_ ; -- Begin function _ZN7rocprim17ROCPRIM_400000_NS6detail17trampoline_kernelINS0_14default_configENS1_25partition_config_selectorILNS1_17partition_subalgoE8ElNS0_10empty_typeEbEEZZNS1_14partition_implILS5_8ELb0ES3_jPlPS6_PKS6_NS0_5tupleIJS9_S6_EEENSD_IJSA_SA_EEENS0_18inequality_wrapperIZN2at6native12_GLOBAL__N_124unique_dim_cuda_templateItEESt5tupleIJNSH_6TensorESM_SM_EERKSM_lbbbEUlllE0_EEPmJS6_EEE10hipError_tPvRmT3_T4_T5_T6_T7_T9_mT8_P12ihipStream_tbDpT10_ENKUlT_T0_E_clISt17integral_constantIbLb1EES1B_IbLb0EEEEDaS17_S18_EUlS17_E_NS1_11comp_targetILNS1_3genE8ELNS1_11target_archE1030ELNS1_3gpuE2ELNS1_3repE0EEENS1_30default_config_static_selectorELNS0_4arch9wavefront6targetE0EEEvT1_
	.p2align	8
	.type	_ZN7rocprim17ROCPRIM_400000_NS6detail17trampoline_kernelINS0_14default_configENS1_25partition_config_selectorILNS1_17partition_subalgoE8ElNS0_10empty_typeEbEEZZNS1_14partition_implILS5_8ELb0ES3_jPlPS6_PKS6_NS0_5tupleIJS9_S6_EEENSD_IJSA_SA_EEENS0_18inequality_wrapperIZN2at6native12_GLOBAL__N_124unique_dim_cuda_templateItEESt5tupleIJNSH_6TensorESM_SM_EERKSM_lbbbEUlllE0_EEPmJS6_EEE10hipError_tPvRmT3_T4_T5_T6_T7_T9_mT8_P12ihipStream_tbDpT10_ENKUlT_T0_E_clISt17integral_constantIbLb1EES1B_IbLb0EEEEDaS17_S18_EUlS17_E_NS1_11comp_targetILNS1_3genE8ELNS1_11target_archE1030ELNS1_3gpuE2ELNS1_3repE0EEENS1_30default_config_static_selectorELNS0_4arch9wavefront6targetE0EEEvT1_,@function
_ZN7rocprim17ROCPRIM_400000_NS6detail17trampoline_kernelINS0_14default_configENS1_25partition_config_selectorILNS1_17partition_subalgoE8ElNS0_10empty_typeEbEEZZNS1_14partition_implILS5_8ELb0ES3_jPlPS6_PKS6_NS0_5tupleIJS9_S6_EEENSD_IJSA_SA_EEENS0_18inequality_wrapperIZN2at6native12_GLOBAL__N_124unique_dim_cuda_templateItEESt5tupleIJNSH_6TensorESM_SM_EERKSM_lbbbEUlllE0_EEPmJS6_EEE10hipError_tPvRmT3_T4_T5_T6_T7_T9_mT8_P12ihipStream_tbDpT10_ENKUlT_T0_E_clISt17integral_constantIbLb1EES1B_IbLb0EEEEDaS17_S18_EUlS17_E_NS1_11comp_targetILNS1_3genE8ELNS1_11target_archE1030ELNS1_3gpuE2ELNS1_3repE0EEENS1_30default_config_static_selectorELNS0_4arch9wavefront6targetE0EEEvT1_: ; @_ZN7rocprim17ROCPRIM_400000_NS6detail17trampoline_kernelINS0_14default_configENS1_25partition_config_selectorILNS1_17partition_subalgoE8ElNS0_10empty_typeEbEEZZNS1_14partition_implILS5_8ELb0ES3_jPlPS6_PKS6_NS0_5tupleIJS9_S6_EEENSD_IJSA_SA_EEENS0_18inequality_wrapperIZN2at6native12_GLOBAL__N_124unique_dim_cuda_templateItEESt5tupleIJNSH_6TensorESM_SM_EERKSM_lbbbEUlllE0_EEPmJS6_EEE10hipError_tPvRmT3_T4_T5_T6_T7_T9_mT8_P12ihipStream_tbDpT10_ENKUlT_T0_E_clISt17integral_constantIbLb1EES1B_IbLb0EEEEDaS17_S18_EUlS17_E_NS1_11comp_targetILNS1_3genE8ELNS1_11target_archE1030ELNS1_3gpuE2ELNS1_3repE0EEENS1_30default_config_static_selectorELNS0_4arch9wavefront6targetE0EEEvT1_
; %bb.0:
	.section	.rodata,"a",@progbits
	.p2align	6, 0x0
	.amdhsa_kernel _ZN7rocprim17ROCPRIM_400000_NS6detail17trampoline_kernelINS0_14default_configENS1_25partition_config_selectorILNS1_17partition_subalgoE8ElNS0_10empty_typeEbEEZZNS1_14partition_implILS5_8ELb0ES3_jPlPS6_PKS6_NS0_5tupleIJS9_S6_EEENSD_IJSA_SA_EEENS0_18inequality_wrapperIZN2at6native12_GLOBAL__N_124unique_dim_cuda_templateItEESt5tupleIJNSH_6TensorESM_SM_EERKSM_lbbbEUlllE0_EEPmJS6_EEE10hipError_tPvRmT3_T4_T5_T6_T7_T9_mT8_P12ihipStream_tbDpT10_ENKUlT_T0_E_clISt17integral_constantIbLb1EES1B_IbLb0EEEEDaS17_S18_EUlS17_E_NS1_11comp_targetILNS1_3genE8ELNS1_11target_archE1030ELNS1_3gpuE2ELNS1_3repE0EEENS1_30default_config_static_selectorELNS0_4arch9wavefront6targetE0EEEvT1_
		.amdhsa_group_segment_fixed_size 0
		.amdhsa_private_segment_fixed_size 0
		.amdhsa_kernarg_size 120
		.amdhsa_user_sgpr_count 15
		.amdhsa_user_sgpr_dispatch_ptr 0
		.amdhsa_user_sgpr_queue_ptr 0
		.amdhsa_user_sgpr_kernarg_segment_ptr 1
		.amdhsa_user_sgpr_dispatch_id 0
		.amdhsa_user_sgpr_private_segment_size 0
		.amdhsa_wavefront_size32 1
		.amdhsa_uses_dynamic_stack 0
		.amdhsa_enable_private_segment 0
		.amdhsa_system_sgpr_workgroup_id_x 1
		.amdhsa_system_sgpr_workgroup_id_y 0
		.amdhsa_system_sgpr_workgroup_id_z 0
		.amdhsa_system_sgpr_workgroup_info 0
		.amdhsa_system_vgpr_workitem_id 0
		.amdhsa_next_free_vgpr 1
		.amdhsa_next_free_sgpr 1
		.amdhsa_reserve_vcc 0
		.amdhsa_float_round_mode_32 0
		.amdhsa_float_round_mode_16_64 0
		.amdhsa_float_denorm_mode_32 3
		.amdhsa_float_denorm_mode_16_64 3
		.amdhsa_dx10_clamp 1
		.amdhsa_ieee_mode 1
		.amdhsa_fp16_overflow 0
		.amdhsa_workgroup_processor_mode 1
		.amdhsa_memory_ordered 1
		.amdhsa_forward_progress 0
		.amdhsa_shared_vgpr_count 0
		.amdhsa_exception_fp_ieee_invalid_op 0
		.amdhsa_exception_fp_denorm_src 0
		.amdhsa_exception_fp_ieee_div_zero 0
		.amdhsa_exception_fp_ieee_overflow 0
		.amdhsa_exception_fp_ieee_underflow 0
		.amdhsa_exception_fp_ieee_inexact 0
		.amdhsa_exception_int_div_zero 0
	.end_amdhsa_kernel
	.section	.text._ZN7rocprim17ROCPRIM_400000_NS6detail17trampoline_kernelINS0_14default_configENS1_25partition_config_selectorILNS1_17partition_subalgoE8ElNS0_10empty_typeEbEEZZNS1_14partition_implILS5_8ELb0ES3_jPlPS6_PKS6_NS0_5tupleIJS9_S6_EEENSD_IJSA_SA_EEENS0_18inequality_wrapperIZN2at6native12_GLOBAL__N_124unique_dim_cuda_templateItEESt5tupleIJNSH_6TensorESM_SM_EERKSM_lbbbEUlllE0_EEPmJS6_EEE10hipError_tPvRmT3_T4_T5_T6_T7_T9_mT8_P12ihipStream_tbDpT10_ENKUlT_T0_E_clISt17integral_constantIbLb1EES1B_IbLb0EEEEDaS17_S18_EUlS17_E_NS1_11comp_targetILNS1_3genE8ELNS1_11target_archE1030ELNS1_3gpuE2ELNS1_3repE0EEENS1_30default_config_static_selectorELNS0_4arch9wavefront6targetE0EEEvT1_,"axG",@progbits,_ZN7rocprim17ROCPRIM_400000_NS6detail17trampoline_kernelINS0_14default_configENS1_25partition_config_selectorILNS1_17partition_subalgoE8ElNS0_10empty_typeEbEEZZNS1_14partition_implILS5_8ELb0ES3_jPlPS6_PKS6_NS0_5tupleIJS9_S6_EEENSD_IJSA_SA_EEENS0_18inequality_wrapperIZN2at6native12_GLOBAL__N_124unique_dim_cuda_templateItEESt5tupleIJNSH_6TensorESM_SM_EERKSM_lbbbEUlllE0_EEPmJS6_EEE10hipError_tPvRmT3_T4_T5_T6_T7_T9_mT8_P12ihipStream_tbDpT10_ENKUlT_T0_E_clISt17integral_constantIbLb1EES1B_IbLb0EEEEDaS17_S18_EUlS17_E_NS1_11comp_targetILNS1_3genE8ELNS1_11target_archE1030ELNS1_3gpuE2ELNS1_3repE0EEENS1_30default_config_static_selectorELNS0_4arch9wavefront6targetE0EEEvT1_,comdat
.Lfunc_end1440:
	.size	_ZN7rocprim17ROCPRIM_400000_NS6detail17trampoline_kernelINS0_14default_configENS1_25partition_config_selectorILNS1_17partition_subalgoE8ElNS0_10empty_typeEbEEZZNS1_14partition_implILS5_8ELb0ES3_jPlPS6_PKS6_NS0_5tupleIJS9_S6_EEENSD_IJSA_SA_EEENS0_18inequality_wrapperIZN2at6native12_GLOBAL__N_124unique_dim_cuda_templateItEESt5tupleIJNSH_6TensorESM_SM_EERKSM_lbbbEUlllE0_EEPmJS6_EEE10hipError_tPvRmT3_T4_T5_T6_T7_T9_mT8_P12ihipStream_tbDpT10_ENKUlT_T0_E_clISt17integral_constantIbLb1EES1B_IbLb0EEEEDaS17_S18_EUlS17_E_NS1_11comp_targetILNS1_3genE8ELNS1_11target_archE1030ELNS1_3gpuE2ELNS1_3repE0EEENS1_30default_config_static_selectorELNS0_4arch9wavefront6targetE0EEEvT1_, .Lfunc_end1440-_ZN7rocprim17ROCPRIM_400000_NS6detail17trampoline_kernelINS0_14default_configENS1_25partition_config_selectorILNS1_17partition_subalgoE8ElNS0_10empty_typeEbEEZZNS1_14partition_implILS5_8ELb0ES3_jPlPS6_PKS6_NS0_5tupleIJS9_S6_EEENSD_IJSA_SA_EEENS0_18inequality_wrapperIZN2at6native12_GLOBAL__N_124unique_dim_cuda_templateItEESt5tupleIJNSH_6TensorESM_SM_EERKSM_lbbbEUlllE0_EEPmJS6_EEE10hipError_tPvRmT3_T4_T5_T6_T7_T9_mT8_P12ihipStream_tbDpT10_ENKUlT_T0_E_clISt17integral_constantIbLb1EES1B_IbLb0EEEEDaS17_S18_EUlS17_E_NS1_11comp_targetILNS1_3genE8ELNS1_11target_archE1030ELNS1_3gpuE2ELNS1_3repE0EEENS1_30default_config_static_selectorELNS0_4arch9wavefront6targetE0EEEvT1_
                                        ; -- End function
	.section	.AMDGPU.csdata,"",@progbits
; Kernel info:
; codeLenInByte = 0
; NumSgprs: 0
; NumVgprs: 0
; ScratchSize: 0
; MemoryBound: 0
; FloatMode: 240
; IeeeMode: 1
; LDSByteSize: 0 bytes/workgroup (compile time only)
; SGPRBlocks: 0
; VGPRBlocks: 0
; NumSGPRsForWavesPerEU: 1
; NumVGPRsForWavesPerEU: 1
; Occupancy: 16
; WaveLimiterHint : 0
; COMPUTE_PGM_RSRC2:SCRATCH_EN: 0
; COMPUTE_PGM_RSRC2:USER_SGPR: 15
; COMPUTE_PGM_RSRC2:TRAP_HANDLER: 0
; COMPUTE_PGM_RSRC2:TGID_X_EN: 1
; COMPUTE_PGM_RSRC2:TGID_Y_EN: 0
; COMPUTE_PGM_RSRC2:TGID_Z_EN: 0
; COMPUTE_PGM_RSRC2:TIDIG_COMP_CNT: 0
	.section	.text._ZN7rocprim17ROCPRIM_400000_NS6detail17trampoline_kernelINS0_14default_configENS1_25partition_config_selectorILNS1_17partition_subalgoE8ElNS0_10empty_typeEbEEZZNS1_14partition_implILS5_8ELb0ES3_jPlPS6_PKS6_NS0_5tupleIJS9_S6_EEENSD_IJSA_SA_EEENS0_18inequality_wrapperIZN2at6native12_GLOBAL__N_124unique_dim_cuda_templateItEESt5tupleIJNSH_6TensorESM_SM_EERKSM_lbbbEUlllE0_EEPmJS6_EEE10hipError_tPvRmT3_T4_T5_T6_T7_T9_mT8_P12ihipStream_tbDpT10_ENKUlT_T0_E_clISt17integral_constantIbLb0EES1B_IbLb1EEEEDaS17_S18_EUlS17_E_NS1_11comp_targetILNS1_3genE0ELNS1_11target_archE4294967295ELNS1_3gpuE0ELNS1_3repE0EEENS1_30default_config_static_selectorELNS0_4arch9wavefront6targetE0EEEvT1_,"axG",@progbits,_ZN7rocprim17ROCPRIM_400000_NS6detail17trampoline_kernelINS0_14default_configENS1_25partition_config_selectorILNS1_17partition_subalgoE8ElNS0_10empty_typeEbEEZZNS1_14partition_implILS5_8ELb0ES3_jPlPS6_PKS6_NS0_5tupleIJS9_S6_EEENSD_IJSA_SA_EEENS0_18inequality_wrapperIZN2at6native12_GLOBAL__N_124unique_dim_cuda_templateItEESt5tupleIJNSH_6TensorESM_SM_EERKSM_lbbbEUlllE0_EEPmJS6_EEE10hipError_tPvRmT3_T4_T5_T6_T7_T9_mT8_P12ihipStream_tbDpT10_ENKUlT_T0_E_clISt17integral_constantIbLb0EES1B_IbLb1EEEEDaS17_S18_EUlS17_E_NS1_11comp_targetILNS1_3genE0ELNS1_11target_archE4294967295ELNS1_3gpuE0ELNS1_3repE0EEENS1_30default_config_static_selectorELNS0_4arch9wavefront6targetE0EEEvT1_,comdat
	.globl	_ZN7rocprim17ROCPRIM_400000_NS6detail17trampoline_kernelINS0_14default_configENS1_25partition_config_selectorILNS1_17partition_subalgoE8ElNS0_10empty_typeEbEEZZNS1_14partition_implILS5_8ELb0ES3_jPlPS6_PKS6_NS0_5tupleIJS9_S6_EEENSD_IJSA_SA_EEENS0_18inequality_wrapperIZN2at6native12_GLOBAL__N_124unique_dim_cuda_templateItEESt5tupleIJNSH_6TensorESM_SM_EERKSM_lbbbEUlllE0_EEPmJS6_EEE10hipError_tPvRmT3_T4_T5_T6_T7_T9_mT8_P12ihipStream_tbDpT10_ENKUlT_T0_E_clISt17integral_constantIbLb0EES1B_IbLb1EEEEDaS17_S18_EUlS17_E_NS1_11comp_targetILNS1_3genE0ELNS1_11target_archE4294967295ELNS1_3gpuE0ELNS1_3repE0EEENS1_30default_config_static_selectorELNS0_4arch9wavefront6targetE0EEEvT1_ ; -- Begin function _ZN7rocprim17ROCPRIM_400000_NS6detail17trampoline_kernelINS0_14default_configENS1_25partition_config_selectorILNS1_17partition_subalgoE8ElNS0_10empty_typeEbEEZZNS1_14partition_implILS5_8ELb0ES3_jPlPS6_PKS6_NS0_5tupleIJS9_S6_EEENSD_IJSA_SA_EEENS0_18inequality_wrapperIZN2at6native12_GLOBAL__N_124unique_dim_cuda_templateItEESt5tupleIJNSH_6TensorESM_SM_EERKSM_lbbbEUlllE0_EEPmJS6_EEE10hipError_tPvRmT3_T4_T5_T6_T7_T9_mT8_P12ihipStream_tbDpT10_ENKUlT_T0_E_clISt17integral_constantIbLb0EES1B_IbLb1EEEEDaS17_S18_EUlS17_E_NS1_11comp_targetILNS1_3genE0ELNS1_11target_archE4294967295ELNS1_3gpuE0ELNS1_3repE0EEENS1_30default_config_static_selectorELNS0_4arch9wavefront6targetE0EEEvT1_
	.p2align	8
	.type	_ZN7rocprim17ROCPRIM_400000_NS6detail17trampoline_kernelINS0_14default_configENS1_25partition_config_selectorILNS1_17partition_subalgoE8ElNS0_10empty_typeEbEEZZNS1_14partition_implILS5_8ELb0ES3_jPlPS6_PKS6_NS0_5tupleIJS9_S6_EEENSD_IJSA_SA_EEENS0_18inequality_wrapperIZN2at6native12_GLOBAL__N_124unique_dim_cuda_templateItEESt5tupleIJNSH_6TensorESM_SM_EERKSM_lbbbEUlllE0_EEPmJS6_EEE10hipError_tPvRmT3_T4_T5_T6_T7_T9_mT8_P12ihipStream_tbDpT10_ENKUlT_T0_E_clISt17integral_constantIbLb0EES1B_IbLb1EEEEDaS17_S18_EUlS17_E_NS1_11comp_targetILNS1_3genE0ELNS1_11target_archE4294967295ELNS1_3gpuE0ELNS1_3repE0EEENS1_30default_config_static_selectorELNS0_4arch9wavefront6targetE0EEEvT1_,@function
_ZN7rocprim17ROCPRIM_400000_NS6detail17trampoline_kernelINS0_14default_configENS1_25partition_config_selectorILNS1_17partition_subalgoE8ElNS0_10empty_typeEbEEZZNS1_14partition_implILS5_8ELb0ES3_jPlPS6_PKS6_NS0_5tupleIJS9_S6_EEENSD_IJSA_SA_EEENS0_18inequality_wrapperIZN2at6native12_GLOBAL__N_124unique_dim_cuda_templateItEESt5tupleIJNSH_6TensorESM_SM_EERKSM_lbbbEUlllE0_EEPmJS6_EEE10hipError_tPvRmT3_T4_T5_T6_T7_T9_mT8_P12ihipStream_tbDpT10_ENKUlT_T0_E_clISt17integral_constantIbLb0EES1B_IbLb1EEEEDaS17_S18_EUlS17_E_NS1_11comp_targetILNS1_3genE0ELNS1_11target_archE4294967295ELNS1_3gpuE0ELNS1_3repE0EEENS1_30default_config_static_selectorELNS0_4arch9wavefront6targetE0EEEvT1_: ; @_ZN7rocprim17ROCPRIM_400000_NS6detail17trampoline_kernelINS0_14default_configENS1_25partition_config_selectorILNS1_17partition_subalgoE8ElNS0_10empty_typeEbEEZZNS1_14partition_implILS5_8ELb0ES3_jPlPS6_PKS6_NS0_5tupleIJS9_S6_EEENSD_IJSA_SA_EEENS0_18inequality_wrapperIZN2at6native12_GLOBAL__N_124unique_dim_cuda_templateItEESt5tupleIJNSH_6TensorESM_SM_EERKSM_lbbbEUlllE0_EEPmJS6_EEE10hipError_tPvRmT3_T4_T5_T6_T7_T9_mT8_P12ihipStream_tbDpT10_ENKUlT_T0_E_clISt17integral_constantIbLb0EES1B_IbLb1EEEEDaS17_S18_EUlS17_E_NS1_11comp_targetILNS1_3genE0ELNS1_11target_archE4294967295ELNS1_3gpuE0ELNS1_3repE0EEENS1_30default_config_static_selectorELNS0_4arch9wavefront6targetE0EEEvT1_
; %bb.0:
	.section	.rodata,"a",@progbits
	.p2align	6, 0x0
	.amdhsa_kernel _ZN7rocprim17ROCPRIM_400000_NS6detail17trampoline_kernelINS0_14default_configENS1_25partition_config_selectorILNS1_17partition_subalgoE8ElNS0_10empty_typeEbEEZZNS1_14partition_implILS5_8ELb0ES3_jPlPS6_PKS6_NS0_5tupleIJS9_S6_EEENSD_IJSA_SA_EEENS0_18inequality_wrapperIZN2at6native12_GLOBAL__N_124unique_dim_cuda_templateItEESt5tupleIJNSH_6TensorESM_SM_EERKSM_lbbbEUlllE0_EEPmJS6_EEE10hipError_tPvRmT3_T4_T5_T6_T7_T9_mT8_P12ihipStream_tbDpT10_ENKUlT_T0_E_clISt17integral_constantIbLb0EES1B_IbLb1EEEEDaS17_S18_EUlS17_E_NS1_11comp_targetILNS1_3genE0ELNS1_11target_archE4294967295ELNS1_3gpuE0ELNS1_3repE0EEENS1_30default_config_static_selectorELNS0_4arch9wavefront6targetE0EEEvT1_
		.amdhsa_group_segment_fixed_size 0
		.amdhsa_private_segment_fixed_size 0
		.amdhsa_kernarg_size 136
		.amdhsa_user_sgpr_count 15
		.amdhsa_user_sgpr_dispatch_ptr 0
		.amdhsa_user_sgpr_queue_ptr 0
		.amdhsa_user_sgpr_kernarg_segment_ptr 1
		.amdhsa_user_sgpr_dispatch_id 0
		.amdhsa_user_sgpr_private_segment_size 0
		.amdhsa_wavefront_size32 1
		.amdhsa_uses_dynamic_stack 0
		.amdhsa_enable_private_segment 0
		.amdhsa_system_sgpr_workgroup_id_x 1
		.amdhsa_system_sgpr_workgroup_id_y 0
		.amdhsa_system_sgpr_workgroup_id_z 0
		.amdhsa_system_sgpr_workgroup_info 0
		.amdhsa_system_vgpr_workitem_id 0
		.amdhsa_next_free_vgpr 1
		.amdhsa_next_free_sgpr 1
		.amdhsa_reserve_vcc 0
		.amdhsa_float_round_mode_32 0
		.amdhsa_float_round_mode_16_64 0
		.amdhsa_float_denorm_mode_32 3
		.amdhsa_float_denorm_mode_16_64 3
		.amdhsa_dx10_clamp 1
		.amdhsa_ieee_mode 1
		.amdhsa_fp16_overflow 0
		.amdhsa_workgroup_processor_mode 1
		.amdhsa_memory_ordered 1
		.amdhsa_forward_progress 0
		.amdhsa_shared_vgpr_count 0
		.amdhsa_exception_fp_ieee_invalid_op 0
		.amdhsa_exception_fp_denorm_src 0
		.amdhsa_exception_fp_ieee_div_zero 0
		.amdhsa_exception_fp_ieee_overflow 0
		.amdhsa_exception_fp_ieee_underflow 0
		.amdhsa_exception_fp_ieee_inexact 0
		.amdhsa_exception_int_div_zero 0
	.end_amdhsa_kernel
	.section	.text._ZN7rocprim17ROCPRIM_400000_NS6detail17trampoline_kernelINS0_14default_configENS1_25partition_config_selectorILNS1_17partition_subalgoE8ElNS0_10empty_typeEbEEZZNS1_14partition_implILS5_8ELb0ES3_jPlPS6_PKS6_NS0_5tupleIJS9_S6_EEENSD_IJSA_SA_EEENS0_18inequality_wrapperIZN2at6native12_GLOBAL__N_124unique_dim_cuda_templateItEESt5tupleIJNSH_6TensorESM_SM_EERKSM_lbbbEUlllE0_EEPmJS6_EEE10hipError_tPvRmT3_T4_T5_T6_T7_T9_mT8_P12ihipStream_tbDpT10_ENKUlT_T0_E_clISt17integral_constantIbLb0EES1B_IbLb1EEEEDaS17_S18_EUlS17_E_NS1_11comp_targetILNS1_3genE0ELNS1_11target_archE4294967295ELNS1_3gpuE0ELNS1_3repE0EEENS1_30default_config_static_selectorELNS0_4arch9wavefront6targetE0EEEvT1_,"axG",@progbits,_ZN7rocprim17ROCPRIM_400000_NS6detail17trampoline_kernelINS0_14default_configENS1_25partition_config_selectorILNS1_17partition_subalgoE8ElNS0_10empty_typeEbEEZZNS1_14partition_implILS5_8ELb0ES3_jPlPS6_PKS6_NS0_5tupleIJS9_S6_EEENSD_IJSA_SA_EEENS0_18inequality_wrapperIZN2at6native12_GLOBAL__N_124unique_dim_cuda_templateItEESt5tupleIJNSH_6TensorESM_SM_EERKSM_lbbbEUlllE0_EEPmJS6_EEE10hipError_tPvRmT3_T4_T5_T6_T7_T9_mT8_P12ihipStream_tbDpT10_ENKUlT_T0_E_clISt17integral_constantIbLb0EES1B_IbLb1EEEEDaS17_S18_EUlS17_E_NS1_11comp_targetILNS1_3genE0ELNS1_11target_archE4294967295ELNS1_3gpuE0ELNS1_3repE0EEENS1_30default_config_static_selectorELNS0_4arch9wavefront6targetE0EEEvT1_,comdat
.Lfunc_end1441:
	.size	_ZN7rocprim17ROCPRIM_400000_NS6detail17trampoline_kernelINS0_14default_configENS1_25partition_config_selectorILNS1_17partition_subalgoE8ElNS0_10empty_typeEbEEZZNS1_14partition_implILS5_8ELb0ES3_jPlPS6_PKS6_NS0_5tupleIJS9_S6_EEENSD_IJSA_SA_EEENS0_18inequality_wrapperIZN2at6native12_GLOBAL__N_124unique_dim_cuda_templateItEESt5tupleIJNSH_6TensorESM_SM_EERKSM_lbbbEUlllE0_EEPmJS6_EEE10hipError_tPvRmT3_T4_T5_T6_T7_T9_mT8_P12ihipStream_tbDpT10_ENKUlT_T0_E_clISt17integral_constantIbLb0EES1B_IbLb1EEEEDaS17_S18_EUlS17_E_NS1_11comp_targetILNS1_3genE0ELNS1_11target_archE4294967295ELNS1_3gpuE0ELNS1_3repE0EEENS1_30default_config_static_selectorELNS0_4arch9wavefront6targetE0EEEvT1_, .Lfunc_end1441-_ZN7rocprim17ROCPRIM_400000_NS6detail17trampoline_kernelINS0_14default_configENS1_25partition_config_selectorILNS1_17partition_subalgoE8ElNS0_10empty_typeEbEEZZNS1_14partition_implILS5_8ELb0ES3_jPlPS6_PKS6_NS0_5tupleIJS9_S6_EEENSD_IJSA_SA_EEENS0_18inequality_wrapperIZN2at6native12_GLOBAL__N_124unique_dim_cuda_templateItEESt5tupleIJNSH_6TensorESM_SM_EERKSM_lbbbEUlllE0_EEPmJS6_EEE10hipError_tPvRmT3_T4_T5_T6_T7_T9_mT8_P12ihipStream_tbDpT10_ENKUlT_T0_E_clISt17integral_constantIbLb0EES1B_IbLb1EEEEDaS17_S18_EUlS17_E_NS1_11comp_targetILNS1_3genE0ELNS1_11target_archE4294967295ELNS1_3gpuE0ELNS1_3repE0EEENS1_30default_config_static_selectorELNS0_4arch9wavefront6targetE0EEEvT1_
                                        ; -- End function
	.section	.AMDGPU.csdata,"",@progbits
; Kernel info:
; codeLenInByte = 0
; NumSgprs: 0
; NumVgprs: 0
; ScratchSize: 0
; MemoryBound: 0
; FloatMode: 240
; IeeeMode: 1
; LDSByteSize: 0 bytes/workgroup (compile time only)
; SGPRBlocks: 0
; VGPRBlocks: 0
; NumSGPRsForWavesPerEU: 1
; NumVGPRsForWavesPerEU: 1
; Occupancy: 16
; WaveLimiterHint : 0
; COMPUTE_PGM_RSRC2:SCRATCH_EN: 0
; COMPUTE_PGM_RSRC2:USER_SGPR: 15
; COMPUTE_PGM_RSRC2:TRAP_HANDLER: 0
; COMPUTE_PGM_RSRC2:TGID_X_EN: 1
; COMPUTE_PGM_RSRC2:TGID_Y_EN: 0
; COMPUTE_PGM_RSRC2:TGID_Z_EN: 0
; COMPUTE_PGM_RSRC2:TIDIG_COMP_CNT: 0
	.section	.text._ZN7rocprim17ROCPRIM_400000_NS6detail17trampoline_kernelINS0_14default_configENS1_25partition_config_selectorILNS1_17partition_subalgoE8ElNS0_10empty_typeEbEEZZNS1_14partition_implILS5_8ELb0ES3_jPlPS6_PKS6_NS0_5tupleIJS9_S6_EEENSD_IJSA_SA_EEENS0_18inequality_wrapperIZN2at6native12_GLOBAL__N_124unique_dim_cuda_templateItEESt5tupleIJNSH_6TensorESM_SM_EERKSM_lbbbEUlllE0_EEPmJS6_EEE10hipError_tPvRmT3_T4_T5_T6_T7_T9_mT8_P12ihipStream_tbDpT10_ENKUlT_T0_E_clISt17integral_constantIbLb0EES1B_IbLb1EEEEDaS17_S18_EUlS17_E_NS1_11comp_targetILNS1_3genE5ELNS1_11target_archE942ELNS1_3gpuE9ELNS1_3repE0EEENS1_30default_config_static_selectorELNS0_4arch9wavefront6targetE0EEEvT1_,"axG",@progbits,_ZN7rocprim17ROCPRIM_400000_NS6detail17trampoline_kernelINS0_14default_configENS1_25partition_config_selectorILNS1_17partition_subalgoE8ElNS0_10empty_typeEbEEZZNS1_14partition_implILS5_8ELb0ES3_jPlPS6_PKS6_NS0_5tupleIJS9_S6_EEENSD_IJSA_SA_EEENS0_18inequality_wrapperIZN2at6native12_GLOBAL__N_124unique_dim_cuda_templateItEESt5tupleIJNSH_6TensorESM_SM_EERKSM_lbbbEUlllE0_EEPmJS6_EEE10hipError_tPvRmT3_T4_T5_T6_T7_T9_mT8_P12ihipStream_tbDpT10_ENKUlT_T0_E_clISt17integral_constantIbLb0EES1B_IbLb1EEEEDaS17_S18_EUlS17_E_NS1_11comp_targetILNS1_3genE5ELNS1_11target_archE942ELNS1_3gpuE9ELNS1_3repE0EEENS1_30default_config_static_selectorELNS0_4arch9wavefront6targetE0EEEvT1_,comdat
	.globl	_ZN7rocprim17ROCPRIM_400000_NS6detail17trampoline_kernelINS0_14default_configENS1_25partition_config_selectorILNS1_17partition_subalgoE8ElNS0_10empty_typeEbEEZZNS1_14partition_implILS5_8ELb0ES3_jPlPS6_PKS6_NS0_5tupleIJS9_S6_EEENSD_IJSA_SA_EEENS0_18inequality_wrapperIZN2at6native12_GLOBAL__N_124unique_dim_cuda_templateItEESt5tupleIJNSH_6TensorESM_SM_EERKSM_lbbbEUlllE0_EEPmJS6_EEE10hipError_tPvRmT3_T4_T5_T6_T7_T9_mT8_P12ihipStream_tbDpT10_ENKUlT_T0_E_clISt17integral_constantIbLb0EES1B_IbLb1EEEEDaS17_S18_EUlS17_E_NS1_11comp_targetILNS1_3genE5ELNS1_11target_archE942ELNS1_3gpuE9ELNS1_3repE0EEENS1_30default_config_static_selectorELNS0_4arch9wavefront6targetE0EEEvT1_ ; -- Begin function _ZN7rocprim17ROCPRIM_400000_NS6detail17trampoline_kernelINS0_14default_configENS1_25partition_config_selectorILNS1_17partition_subalgoE8ElNS0_10empty_typeEbEEZZNS1_14partition_implILS5_8ELb0ES3_jPlPS6_PKS6_NS0_5tupleIJS9_S6_EEENSD_IJSA_SA_EEENS0_18inequality_wrapperIZN2at6native12_GLOBAL__N_124unique_dim_cuda_templateItEESt5tupleIJNSH_6TensorESM_SM_EERKSM_lbbbEUlllE0_EEPmJS6_EEE10hipError_tPvRmT3_T4_T5_T6_T7_T9_mT8_P12ihipStream_tbDpT10_ENKUlT_T0_E_clISt17integral_constantIbLb0EES1B_IbLb1EEEEDaS17_S18_EUlS17_E_NS1_11comp_targetILNS1_3genE5ELNS1_11target_archE942ELNS1_3gpuE9ELNS1_3repE0EEENS1_30default_config_static_selectorELNS0_4arch9wavefront6targetE0EEEvT1_
	.p2align	8
	.type	_ZN7rocprim17ROCPRIM_400000_NS6detail17trampoline_kernelINS0_14default_configENS1_25partition_config_selectorILNS1_17partition_subalgoE8ElNS0_10empty_typeEbEEZZNS1_14partition_implILS5_8ELb0ES3_jPlPS6_PKS6_NS0_5tupleIJS9_S6_EEENSD_IJSA_SA_EEENS0_18inequality_wrapperIZN2at6native12_GLOBAL__N_124unique_dim_cuda_templateItEESt5tupleIJNSH_6TensorESM_SM_EERKSM_lbbbEUlllE0_EEPmJS6_EEE10hipError_tPvRmT3_T4_T5_T6_T7_T9_mT8_P12ihipStream_tbDpT10_ENKUlT_T0_E_clISt17integral_constantIbLb0EES1B_IbLb1EEEEDaS17_S18_EUlS17_E_NS1_11comp_targetILNS1_3genE5ELNS1_11target_archE942ELNS1_3gpuE9ELNS1_3repE0EEENS1_30default_config_static_selectorELNS0_4arch9wavefront6targetE0EEEvT1_,@function
_ZN7rocprim17ROCPRIM_400000_NS6detail17trampoline_kernelINS0_14default_configENS1_25partition_config_selectorILNS1_17partition_subalgoE8ElNS0_10empty_typeEbEEZZNS1_14partition_implILS5_8ELb0ES3_jPlPS6_PKS6_NS0_5tupleIJS9_S6_EEENSD_IJSA_SA_EEENS0_18inequality_wrapperIZN2at6native12_GLOBAL__N_124unique_dim_cuda_templateItEESt5tupleIJNSH_6TensorESM_SM_EERKSM_lbbbEUlllE0_EEPmJS6_EEE10hipError_tPvRmT3_T4_T5_T6_T7_T9_mT8_P12ihipStream_tbDpT10_ENKUlT_T0_E_clISt17integral_constantIbLb0EES1B_IbLb1EEEEDaS17_S18_EUlS17_E_NS1_11comp_targetILNS1_3genE5ELNS1_11target_archE942ELNS1_3gpuE9ELNS1_3repE0EEENS1_30default_config_static_selectorELNS0_4arch9wavefront6targetE0EEEvT1_: ; @_ZN7rocprim17ROCPRIM_400000_NS6detail17trampoline_kernelINS0_14default_configENS1_25partition_config_selectorILNS1_17partition_subalgoE8ElNS0_10empty_typeEbEEZZNS1_14partition_implILS5_8ELb0ES3_jPlPS6_PKS6_NS0_5tupleIJS9_S6_EEENSD_IJSA_SA_EEENS0_18inequality_wrapperIZN2at6native12_GLOBAL__N_124unique_dim_cuda_templateItEESt5tupleIJNSH_6TensorESM_SM_EERKSM_lbbbEUlllE0_EEPmJS6_EEE10hipError_tPvRmT3_T4_T5_T6_T7_T9_mT8_P12ihipStream_tbDpT10_ENKUlT_T0_E_clISt17integral_constantIbLb0EES1B_IbLb1EEEEDaS17_S18_EUlS17_E_NS1_11comp_targetILNS1_3genE5ELNS1_11target_archE942ELNS1_3gpuE9ELNS1_3repE0EEENS1_30default_config_static_selectorELNS0_4arch9wavefront6targetE0EEEvT1_
; %bb.0:
	.section	.rodata,"a",@progbits
	.p2align	6, 0x0
	.amdhsa_kernel _ZN7rocprim17ROCPRIM_400000_NS6detail17trampoline_kernelINS0_14default_configENS1_25partition_config_selectorILNS1_17partition_subalgoE8ElNS0_10empty_typeEbEEZZNS1_14partition_implILS5_8ELb0ES3_jPlPS6_PKS6_NS0_5tupleIJS9_S6_EEENSD_IJSA_SA_EEENS0_18inequality_wrapperIZN2at6native12_GLOBAL__N_124unique_dim_cuda_templateItEESt5tupleIJNSH_6TensorESM_SM_EERKSM_lbbbEUlllE0_EEPmJS6_EEE10hipError_tPvRmT3_T4_T5_T6_T7_T9_mT8_P12ihipStream_tbDpT10_ENKUlT_T0_E_clISt17integral_constantIbLb0EES1B_IbLb1EEEEDaS17_S18_EUlS17_E_NS1_11comp_targetILNS1_3genE5ELNS1_11target_archE942ELNS1_3gpuE9ELNS1_3repE0EEENS1_30default_config_static_selectorELNS0_4arch9wavefront6targetE0EEEvT1_
		.amdhsa_group_segment_fixed_size 0
		.amdhsa_private_segment_fixed_size 0
		.amdhsa_kernarg_size 136
		.amdhsa_user_sgpr_count 15
		.amdhsa_user_sgpr_dispatch_ptr 0
		.amdhsa_user_sgpr_queue_ptr 0
		.amdhsa_user_sgpr_kernarg_segment_ptr 1
		.amdhsa_user_sgpr_dispatch_id 0
		.amdhsa_user_sgpr_private_segment_size 0
		.amdhsa_wavefront_size32 1
		.amdhsa_uses_dynamic_stack 0
		.amdhsa_enable_private_segment 0
		.amdhsa_system_sgpr_workgroup_id_x 1
		.amdhsa_system_sgpr_workgroup_id_y 0
		.amdhsa_system_sgpr_workgroup_id_z 0
		.amdhsa_system_sgpr_workgroup_info 0
		.amdhsa_system_vgpr_workitem_id 0
		.amdhsa_next_free_vgpr 1
		.amdhsa_next_free_sgpr 1
		.amdhsa_reserve_vcc 0
		.amdhsa_float_round_mode_32 0
		.amdhsa_float_round_mode_16_64 0
		.amdhsa_float_denorm_mode_32 3
		.amdhsa_float_denorm_mode_16_64 3
		.amdhsa_dx10_clamp 1
		.amdhsa_ieee_mode 1
		.amdhsa_fp16_overflow 0
		.amdhsa_workgroup_processor_mode 1
		.amdhsa_memory_ordered 1
		.amdhsa_forward_progress 0
		.amdhsa_shared_vgpr_count 0
		.amdhsa_exception_fp_ieee_invalid_op 0
		.amdhsa_exception_fp_denorm_src 0
		.amdhsa_exception_fp_ieee_div_zero 0
		.amdhsa_exception_fp_ieee_overflow 0
		.amdhsa_exception_fp_ieee_underflow 0
		.amdhsa_exception_fp_ieee_inexact 0
		.amdhsa_exception_int_div_zero 0
	.end_amdhsa_kernel
	.section	.text._ZN7rocprim17ROCPRIM_400000_NS6detail17trampoline_kernelINS0_14default_configENS1_25partition_config_selectorILNS1_17partition_subalgoE8ElNS0_10empty_typeEbEEZZNS1_14partition_implILS5_8ELb0ES3_jPlPS6_PKS6_NS0_5tupleIJS9_S6_EEENSD_IJSA_SA_EEENS0_18inequality_wrapperIZN2at6native12_GLOBAL__N_124unique_dim_cuda_templateItEESt5tupleIJNSH_6TensorESM_SM_EERKSM_lbbbEUlllE0_EEPmJS6_EEE10hipError_tPvRmT3_T4_T5_T6_T7_T9_mT8_P12ihipStream_tbDpT10_ENKUlT_T0_E_clISt17integral_constantIbLb0EES1B_IbLb1EEEEDaS17_S18_EUlS17_E_NS1_11comp_targetILNS1_3genE5ELNS1_11target_archE942ELNS1_3gpuE9ELNS1_3repE0EEENS1_30default_config_static_selectorELNS0_4arch9wavefront6targetE0EEEvT1_,"axG",@progbits,_ZN7rocprim17ROCPRIM_400000_NS6detail17trampoline_kernelINS0_14default_configENS1_25partition_config_selectorILNS1_17partition_subalgoE8ElNS0_10empty_typeEbEEZZNS1_14partition_implILS5_8ELb0ES3_jPlPS6_PKS6_NS0_5tupleIJS9_S6_EEENSD_IJSA_SA_EEENS0_18inequality_wrapperIZN2at6native12_GLOBAL__N_124unique_dim_cuda_templateItEESt5tupleIJNSH_6TensorESM_SM_EERKSM_lbbbEUlllE0_EEPmJS6_EEE10hipError_tPvRmT3_T4_T5_T6_T7_T9_mT8_P12ihipStream_tbDpT10_ENKUlT_T0_E_clISt17integral_constantIbLb0EES1B_IbLb1EEEEDaS17_S18_EUlS17_E_NS1_11comp_targetILNS1_3genE5ELNS1_11target_archE942ELNS1_3gpuE9ELNS1_3repE0EEENS1_30default_config_static_selectorELNS0_4arch9wavefront6targetE0EEEvT1_,comdat
.Lfunc_end1442:
	.size	_ZN7rocprim17ROCPRIM_400000_NS6detail17trampoline_kernelINS0_14default_configENS1_25partition_config_selectorILNS1_17partition_subalgoE8ElNS0_10empty_typeEbEEZZNS1_14partition_implILS5_8ELb0ES3_jPlPS6_PKS6_NS0_5tupleIJS9_S6_EEENSD_IJSA_SA_EEENS0_18inequality_wrapperIZN2at6native12_GLOBAL__N_124unique_dim_cuda_templateItEESt5tupleIJNSH_6TensorESM_SM_EERKSM_lbbbEUlllE0_EEPmJS6_EEE10hipError_tPvRmT3_T4_T5_T6_T7_T9_mT8_P12ihipStream_tbDpT10_ENKUlT_T0_E_clISt17integral_constantIbLb0EES1B_IbLb1EEEEDaS17_S18_EUlS17_E_NS1_11comp_targetILNS1_3genE5ELNS1_11target_archE942ELNS1_3gpuE9ELNS1_3repE0EEENS1_30default_config_static_selectorELNS0_4arch9wavefront6targetE0EEEvT1_, .Lfunc_end1442-_ZN7rocprim17ROCPRIM_400000_NS6detail17trampoline_kernelINS0_14default_configENS1_25partition_config_selectorILNS1_17partition_subalgoE8ElNS0_10empty_typeEbEEZZNS1_14partition_implILS5_8ELb0ES3_jPlPS6_PKS6_NS0_5tupleIJS9_S6_EEENSD_IJSA_SA_EEENS0_18inequality_wrapperIZN2at6native12_GLOBAL__N_124unique_dim_cuda_templateItEESt5tupleIJNSH_6TensorESM_SM_EERKSM_lbbbEUlllE0_EEPmJS6_EEE10hipError_tPvRmT3_T4_T5_T6_T7_T9_mT8_P12ihipStream_tbDpT10_ENKUlT_T0_E_clISt17integral_constantIbLb0EES1B_IbLb1EEEEDaS17_S18_EUlS17_E_NS1_11comp_targetILNS1_3genE5ELNS1_11target_archE942ELNS1_3gpuE9ELNS1_3repE0EEENS1_30default_config_static_selectorELNS0_4arch9wavefront6targetE0EEEvT1_
                                        ; -- End function
	.section	.AMDGPU.csdata,"",@progbits
; Kernel info:
; codeLenInByte = 0
; NumSgprs: 0
; NumVgprs: 0
; ScratchSize: 0
; MemoryBound: 0
; FloatMode: 240
; IeeeMode: 1
; LDSByteSize: 0 bytes/workgroup (compile time only)
; SGPRBlocks: 0
; VGPRBlocks: 0
; NumSGPRsForWavesPerEU: 1
; NumVGPRsForWavesPerEU: 1
; Occupancy: 16
; WaveLimiterHint : 0
; COMPUTE_PGM_RSRC2:SCRATCH_EN: 0
; COMPUTE_PGM_RSRC2:USER_SGPR: 15
; COMPUTE_PGM_RSRC2:TRAP_HANDLER: 0
; COMPUTE_PGM_RSRC2:TGID_X_EN: 1
; COMPUTE_PGM_RSRC2:TGID_Y_EN: 0
; COMPUTE_PGM_RSRC2:TGID_Z_EN: 0
; COMPUTE_PGM_RSRC2:TIDIG_COMP_CNT: 0
	.section	.text._ZN7rocprim17ROCPRIM_400000_NS6detail17trampoline_kernelINS0_14default_configENS1_25partition_config_selectorILNS1_17partition_subalgoE8ElNS0_10empty_typeEbEEZZNS1_14partition_implILS5_8ELb0ES3_jPlPS6_PKS6_NS0_5tupleIJS9_S6_EEENSD_IJSA_SA_EEENS0_18inequality_wrapperIZN2at6native12_GLOBAL__N_124unique_dim_cuda_templateItEESt5tupleIJNSH_6TensorESM_SM_EERKSM_lbbbEUlllE0_EEPmJS6_EEE10hipError_tPvRmT3_T4_T5_T6_T7_T9_mT8_P12ihipStream_tbDpT10_ENKUlT_T0_E_clISt17integral_constantIbLb0EES1B_IbLb1EEEEDaS17_S18_EUlS17_E_NS1_11comp_targetILNS1_3genE4ELNS1_11target_archE910ELNS1_3gpuE8ELNS1_3repE0EEENS1_30default_config_static_selectorELNS0_4arch9wavefront6targetE0EEEvT1_,"axG",@progbits,_ZN7rocprim17ROCPRIM_400000_NS6detail17trampoline_kernelINS0_14default_configENS1_25partition_config_selectorILNS1_17partition_subalgoE8ElNS0_10empty_typeEbEEZZNS1_14partition_implILS5_8ELb0ES3_jPlPS6_PKS6_NS0_5tupleIJS9_S6_EEENSD_IJSA_SA_EEENS0_18inequality_wrapperIZN2at6native12_GLOBAL__N_124unique_dim_cuda_templateItEESt5tupleIJNSH_6TensorESM_SM_EERKSM_lbbbEUlllE0_EEPmJS6_EEE10hipError_tPvRmT3_T4_T5_T6_T7_T9_mT8_P12ihipStream_tbDpT10_ENKUlT_T0_E_clISt17integral_constantIbLb0EES1B_IbLb1EEEEDaS17_S18_EUlS17_E_NS1_11comp_targetILNS1_3genE4ELNS1_11target_archE910ELNS1_3gpuE8ELNS1_3repE0EEENS1_30default_config_static_selectorELNS0_4arch9wavefront6targetE0EEEvT1_,comdat
	.globl	_ZN7rocprim17ROCPRIM_400000_NS6detail17trampoline_kernelINS0_14default_configENS1_25partition_config_selectorILNS1_17partition_subalgoE8ElNS0_10empty_typeEbEEZZNS1_14partition_implILS5_8ELb0ES3_jPlPS6_PKS6_NS0_5tupleIJS9_S6_EEENSD_IJSA_SA_EEENS0_18inequality_wrapperIZN2at6native12_GLOBAL__N_124unique_dim_cuda_templateItEESt5tupleIJNSH_6TensorESM_SM_EERKSM_lbbbEUlllE0_EEPmJS6_EEE10hipError_tPvRmT3_T4_T5_T6_T7_T9_mT8_P12ihipStream_tbDpT10_ENKUlT_T0_E_clISt17integral_constantIbLb0EES1B_IbLb1EEEEDaS17_S18_EUlS17_E_NS1_11comp_targetILNS1_3genE4ELNS1_11target_archE910ELNS1_3gpuE8ELNS1_3repE0EEENS1_30default_config_static_selectorELNS0_4arch9wavefront6targetE0EEEvT1_ ; -- Begin function _ZN7rocprim17ROCPRIM_400000_NS6detail17trampoline_kernelINS0_14default_configENS1_25partition_config_selectorILNS1_17partition_subalgoE8ElNS0_10empty_typeEbEEZZNS1_14partition_implILS5_8ELb0ES3_jPlPS6_PKS6_NS0_5tupleIJS9_S6_EEENSD_IJSA_SA_EEENS0_18inequality_wrapperIZN2at6native12_GLOBAL__N_124unique_dim_cuda_templateItEESt5tupleIJNSH_6TensorESM_SM_EERKSM_lbbbEUlllE0_EEPmJS6_EEE10hipError_tPvRmT3_T4_T5_T6_T7_T9_mT8_P12ihipStream_tbDpT10_ENKUlT_T0_E_clISt17integral_constantIbLb0EES1B_IbLb1EEEEDaS17_S18_EUlS17_E_NS1_11comp_targetILNS1_3genE4ELNS1_11target_archE910ELNS1_3gpuE8ELNS1_3repE0EEENS1_30default_config_static_selectorELNS0_4arch9wavefront6targetE0EEEvT1_
	.p2align	8
	.type	_ZN7rocprim17ROCPRIM_400000_NS6detail17trampoline_kernelINS0_14default_configENS1_25partition_config_selectorILNS1_17partition_subalgoE8ElNS0_10empty_typeEbEEZZNS1_14partition_implILS5_8ELb0ES3_jPlPS6_PKS6_NS0_5tupleIJS9_S6_EEENSD_IJSA_SA_EEENS0_18inequality_wrapperIZN2at6native12_GLOBAL__N_124unique_dim_cuda_templateItEESt5tupleIJNSH_6TensorESM_SM_EERKSM_lbbbEUlllE0_EEPmJS6_EEE10hipError_tPvRmT3_T4_T5_T6_T7_T9_mT8_P12ihipStream_tbDpT10_ENKUlT_T0_E_clISt17integral_constantIbLb0EES1B_IbLb1EEEEDaS17_S18_EUlS17_E_NS1_11comp_targetILNS1_3genE4ELNS1_11target_archE910ELNS1_3gpuE8ELNS1_3repE0EEENS1_30default_config_static_selectorELNS0_4arch9wavefront6targetE0EEEvT1_,@function
_ZN7rocprim17ROCPRIM_400000_NS6detail17trampoline_kernelINS0_14default_configENS1_25partition_config_selectorILNS1_17partition_subalgoE8ElNS0_10empty_typeEbEEZZNS1_14partition_implILS5_8ELb0ES3_jPlPS6_PKS6_NS0_5tupleIJS9_S6_EEENSD_IJSA_SA_EEENS0_18inequality_wrapperIZN2at6native12_GLOBAL__N_124unique_dim_cuda_templateItEESt5tupleIJNSH_6TensorESM_SM_EERKSM_lbbbEUlllE0_EEPmJS6_EEE10hipError_tPvRmT3_T4_T5_T6_T7_T9_mT8_P12ihipStream_tbDpT10_ENKUlT_T0_E_clISt17integral_constantIbLb0EES1B_IbLb1EEEEDaS17_S18_EUlS17_E_NS1_11comp_targetILNS1_3genE4ELNS1_11target_archE910ELNS1_3gpuE8ELNS1_3repE0EEENS1_30default_config_static_selectorELNS0_4arch9wavefront6targetE0EEEvT1_: ; @_ZN7rocprim17ROCPRIM_400000_NS6detail17trampoline_kernelINS0_14default_configENS1_25partition_config_selectorILNS1_17partition_subalgoE8ElNS0_10empty_typeEbEEZZNS1_14partition_implILS5_8ELb0ES3_jPlPS6_PKS6_NS0_5tupleIJS9_S6_EEENSD_IJSA_SA_EEENS0_18inequality_wrapperIZN2at6native12_GLOBAL__N_124unique_dim_cuda_templateItEESt5tupleIJNSH_6TensorESM_SM_EERKSM_lbbbEUlllE0_EEPmJS6_EEE10hipError_tPvRmT3_T4_T5_T6_T7_T9_mT8_P12ihipStream_tbDpT10_ENKUlT_T0_E_clISt17integral_constantIbLb0EES1B_IbLb1EEEEDaS17_S18_EUlS17_E_NS1_11comp_targetILNS1_3genE4ELNS1_11target_archE910ELNS1_3gpuE8ELNS1_3repE0EEENS1_30default_config_static_selectorELNS0_4arch9wavefront6targetE0EEEvT1_
; %bb.0:
	.section	.rodata,"a",@progbits
	.p2align	6, 0x0
	.amdhsa_kernel _ZN7rocprim17ROCPRIM_400000_NS6detail17trampoline_kernelINS0_14default_configENS1_25partition_config_selectorILNS1_17partition_subalgoE8ElNS0_10empty_typeEbEEZZNS1_14partition_implILS5_8ELb0ES3_jPlPS6_PKS6_NS0_5tupleIJS9_S6_EEENSD_IJSA_SA_EEENS0_18inequality_wrapperIZN2at6native12_GLOBAL__N_124unique_dim_cuda_templateItEESt5tupleIJNSH_6TensorESM_SM_EERKSM_lbbbEUlllE0_EEPmJS6_EEE10hipError_tPvRmT3_T4_T5_T6_T7_T9_mT8_P12ihipStream_tbDpT10_ENKUlT_T0_E_clISt17integral_constantIbLb0EES1B_IbLb1EEEEDaS17_S18_EUlS17_E_NS1_11comp_targetILNS1_3genE4ELNS1_11target_archE910ELNS1_3gpuE8ELNS1_3repE0EEENS1_30default_config_static_selectorELNS0_4arch9wavefront6targetE0EEEvT1_
		.amdhsa_group_segment_fixed_size 0
		.amdhsa_private_segment_fixed_size 0
		.amdhsa_kernarg_size 136
		.amdhsa_user_sgpr_count 15
		.amdhsa_user_sgpr_dispatch_ptr 0
		.amdhsa_user_sgpr_queue_ptr 0
		.amdhsa_user_sgpr_kernarg_segment_ptr 1
		.amdhsa_user_sgpr_dispatch_id 0
		.amdhsa_user_sgpr_private_segment_size 0
		.amdhsa_wavefront_size32 1
		.amdhsa_uses_dynamic_stack 0
		.amdhsa_enable_private_segment 0
		.amdhsa_system_sgpr_workgroup_id_x 1
		.amdhsa_system_sgpr_workgroup_id_y 0
		.amdhsa_system_sgpr_workgroup_id_z 0
		.amdhsa_system_sgpr_workgroup_info 0
		.amdhsa_system_vgpr_workitem_id 0
		.amdhsa_next_free_vgpr 1
		.amdhsa_next_free_sgpr 1
		.amdhsa_reserve_vcc 0
		.amdhsa_float_round_mode_32 0
		.amdhsa_float_round_mode_16_64 0
		.amdhsa_float_denorm_mode_32 3
		.amdhsa_float_denorm_mode_16_64 3
		.amdhsa_dx10_clamp 1
		.amdhsa_ieee_mode 1
		.amdhsa_fp16_overflow 0
		.amdhsa_workgroup_processor_mode 1
		.amdhsa_memory_ordered 1
		.amdhsa_forward_progress 0
		.amdhsa_shared_vgpr_count 0
		.amdhsa_exception_fp_ieee_invalid_op 0
		.amdhsa_exception_fp_denorm_src 0
		.amdhsa_exception_fp_ieee_div_zero 0
		.amdhsa_exception_fp_ieee_overflow 0
		.amdhsa_exception_fp_ieee_underflow 0
		.amdhsa_exception_fp_ieee_inexact 0
		.amdhsa_exception_int_div_zero 0
	.end_amdhsa_kernel
	.section	.text._ZN7rocprim17ROCPRIM_400000_NS6detail17trampoline_kernelINS0_14default_configENS1_25partition_config_selectorILNS1_17partition_subalgoE8ElNS0_10empty_typeEbEEZZNS1_14partition_implILS5_8ELb0ES3_jPlPS6_PKS6_NS0_5tupleIJS9_S6_EEENSD_IJSA_SA_EEENS0_18inequality_wrapperIZN2at6native12_GLOBAL__N_124unique_dim_cuda_templateItEESt5tupleIJNSH_6TensorESM_SM_EERKSM_lbbbEUlllE0_EEPmJS6_EEE10hipError_tPvRmT3_T4_T5_T6_T7_T9_mT8_P12ihipStream_tbDpT10_ENKUlT_T0_E_clISt17integral_constantIbLb0EES1B_IbLb1EEEEDaS17_S18_EUlS17_E_NS1_11comp_targetILNS1_3genE4ELNS1_11target_archE910ELNS1_3gpuE8ELNS1_3repE0EEENS1_30default_config_static_selectorELNS0_4arch9wavefront6targetE0EEEvT1_,"axG",@progbits,_ZN7rocprim17ROCPRIM_400000_NS6detail17trampoline_kernelINS0_14default_configENS1_25partition_config_selectorILNS1_17partition_subalgoE8ElNS0_10empty_typeEbEEZZNS1_14partition_implILS5_8ELb0ES3_jPlPS6_PKS6_NS0_5tupleIJS9_S6_EEENSD_IJSA_SA_EEENS0_18inequality_wrapperIZN2at6native12_GLOBAL__N_124unique_dim_cuda_templateItEESt5tupleIJNSH_6TensorESM_SM_EERKSM_lbbbEUlllE0_EEPmJS6_EEE10hipError_tPvRmT3_T4_T5_T6_T7_T9_mT8_P12ihipStream_tbDpT10_ENKUlT_T0_E_clISt17integral_constantIbLb0EES1B_IbLb1EEEEDaS17_S18_EUlS17_E_NS1_11comp_targetILNS1_3genE4ELNS1_11target_archE910ELNS1_3gpuE8ELNS1_3repE0EEENS1_30default_config_static_selectorELNS0_4arch9wavefront6targetE0EEEvT1_,comdat
.Lfunc_end1443:
	.size	_ZN7rocprim17ROCPRIM_400000_NS6detail17trampoline_kernelINS0_14default_configENS1_25partition_config_selectorILNS1_17partition_subalgoE8ElNS0_10empty_typeEbEEZZNS1_14partition_implILS5_8ELb0ES3_jPlPS6_PKS6_NS0_5tupleIJS9_S6_EEENSD_IJSA_SA_EEENS0_18inequality_wrapperIZN2at6native12_GLOBAL__N_124unique_dim_cuda_templateItEESt5tupleIJNSH_6TensorESM_SM_EERKSM_lbbbEUlllE0_EEPmJS6_EEE10hipError_tPvRmT3_T4_T5_T6_T7_T9_mT8_P12ihipStream_tbDpT10_ENKUlT_T0_E_clISt17integral_constantIbLb0EES1B_IbLb1EEEEDaS17_S18_EUlS17_E_NS1_11comp_targetILNS1_3genE4ELNS1_11target_archE910ELNS1_3gpuE8ELNS1_3repE0EEENS1_30default_config_static_selectorELNS0_4arch9wavefront6targetE0EEEvT1_, .Lfunc_end1443-_ZN7rocprim17ROCPRIM_400000_NS6detail17trampoline_kernelINS0_14default_configENS1_25partition_config_selectorILNS1_17partition_subalgoE8ElNS0_10empty_typeEbEEZZNS1_14partition_implILS5_8ELb0ES3_jPlPS6_PKS6_NS0_5tupleIJS9_S6_EEENSD_IJSA_SA_EEENS0_18inequality_wrapperIZN2at6native12_GLOBAL__N_124unique_dim_cuda_templateItEESt5tupleIJNSH_6TensorESM_SM_EERKSM_lbbbEUlllE0_EEPmJS6_EEE10hipError_tPvRmT3_T4_T5_T6_T7_T9_mT8_P12ihipStream_tbDpT10_ENKUlT_T0_E_clISt17integral_constantIbLb0EES1B_IbLb1EEEEDaS17_S18_EUlS17_E_NS1_11comp_targetILNS1_3genE4ELNS1_11target_archE910ELNS1_3gpuE8ELNS1_3repE0EEENS1_30default_config_static_selectorELNS0_4arch9wavefront6targetE0EEEvT1_
                                        ; -- End function
	.section	.AMDGPU.csdata,"",@progbits
; Kernel info:
; codeLenInByte = 0
; NumSgprs: 0
; NumVgprs: 0
; ScratchSize: 0
; MemoryBound: 0
; FloatMode: 240
; IeeeMode: 1
; LDSByteSize: 0 bytes/workgroup (compile time only)
; SGPRBlocks: 0
; VGPRBlocks: 0
; NumSGPRsForWavesPerEU: 1
; NumVGPRsForWavesPerEU: 1
; Occupancy: 16
; WaveLimiterHint : 0
; COMPUTE_PGM_RSRC2:SCRATCH_EN: 0
; COMPUTE_PGM_RSRC2:USER_SGPR: 15
; COMPUTE_PGM_RSRC2:TRAP_HANDLER: 0
; COMPUTE_PGM_RSRC2:TGID_X_EN: 1
; COMPUTE_PGM_RSRC2:TGID_Y_EN: 0
; COMPUTE_PGM_RSRC2:TGID_Z_EN: 0
; COMPUTE_PGM_RSRC2:TIDIG_COMP_CNT: 0
	.section	.text._ZN7rocprim17ROCPRIM_400000_NS6detail17trampoline_kernelINS0_14default_configENS1_25partition_config_selectorILNS1_17partition_subalgoE8ElNS0_10empty_typeEbEEZZNS1_14partition_implILS5_8ELb0ES3_jPlPS6_PKS6_NS0_5tupleIJS9_S6_EEENSD_IJSA_SA_EEENS0_18inequality_wrapperIZN2at6native12_GLOBAL__N_124unique_dim_cuda_templateItEESt5tupleIJNSH_6TensorESM_SM_EERKSM_lbbbEUlllE0_EEPmJS6_EEE10hipError_tPvRmT3_T4_T5_T6_T7_T9_mT8_P12ihipStream_tbDpT10_ENKUlT_T0_E_clISt17integral_constantIbLb0EES1B_IbLb1EEEEDaS17_S18_EUlS17_E_NS1_11comp_targetILNS1_3genE3ELNS1_11target_archE908ELNS1_3gpuE7ELNS1_3repE0EEENS1_30default_config_static_selectorELNS0_4arch9wavefront6targetE0EEEvT1_,"axG",@progbits,_ZN7rocprim17ROCPRIM_400000_NS6detail17trampoline_kernelINS0_14default_configENS1_25partition_config_selectorILNS1_17partition_subalgoE8ElNS0_10empty_typeEbEEZZNS1_14partition_implILS5_8ELb0ES3_jPlPS6_PKS6_NS0_5tupleIJS9_S6_EEENSD_IJSA_SA_EEENS0_18inequality_wrapperIZN2at6native12_GLOBAL__N_124unique_dim_cuda_templateItEESt5tupleIJNSH_6TensorESM_SM_EERKSM_lbbbEUlllE0_EEPmJS6_EEE10hipError_tPvRmT3_T4_T5_T6_T7_T9_mT8_P12ihipStream_tbDpT10_ENKUlT_T0_E_clISt17integral_constantIbLb0EES1B_IbLb1EEEEDaS17_S18_EUlS17_E_NS1_11comp_targetILNS1_3genE3ELNS1_11target_archE908ELNS1_3gpuE7ELNS1_3repE0EEENS1_30default_config_static_selectorELNS0_4arch9wavefront6targetE0EEEvT1_,comdat
	.globl	_ZN7rocprim17ROCPRIM_400000_NS6detail17trampoline_kernelINS0_14default_configENS1_25partition_config_selectorILNS1_17partition_subalgoE8ElNS0_10empty_typeEbEEZZNS1_14partition_implILS5_8ELb0ES3_jPlPS6_PKS6_NS0_5tupleIJS9_S6_EEENSD_IJSA_SA_EEENS0_18inequality_wrapperIZN2at6native12_GLOBAL__N_124unique_dim_cuda_templateItEESt5tupleIJNSH_6TensorESM_SM_EERKSM_lbbbEUlllE0_EEPmJS6_EEE10hipError_tPvRmT3_T4_T5_T6_T7_T9_mT8_P12ihipStream_tbDpT10_ENKUlT_T0_E_clISt17integral_constantIbLb0EES1B_IbLb1EEEEDaS17_S18_EUlS17_E_NS1_11comp_targetILNS1_3genE3ELNS1_11target_archE908ELNS1_3gpuE7ELNS1_3repE0EEENS1_30default_config_static_selectorELNS0_4arch9wavefront6targetE0EEEvT1_ ; -- Begin function _ZN7rocprim17ROCPRIM_400000_NS6detail17trampoline_kernelINS0_14default_configENS1_25partition_config_selectorILNS1_17partition_subalgoE8ElNS0_10empty_typeEbEEZZNS1_14partition_implILS5_8ELb0ES3_jPlPS6_PKS6_NS0_5tupleIJS9_S6_EEENSD_IJSA_SA_EEENS0_18inequality_wrapperIZN2at6native12_GLOBAL__N_124unique_dim_cuda_templateItEESt5tupleIJNSH_6TensorESM_SM_EERKSM_lbbbEUlllE0_EEPmJS6_EEE10hipError_tPvRmT3_T4_T5_T6_T7_T9_mT8_P12ihipStream_tbDpT10_ENKUlT_T0_E_clISt17integral_constantIbLb0EES1B_IbLb1EEEEDaS17_S18_EUlS17_E_NS1_11comp_targetILNS1_3genE3ELNS1_11target_archE908ELNS1_3gpuE7ELNS1_3repE0EEENS1_30default_config_static_selectorELNS0_4arch9wavefront6targetE0EEEvT1_
	.p2align	8
	.type	_ZN7rocprim17ROCPRIM_400000_NS6detail17trampoline_kernelINS0_14default_configENS1_25partition_config_selectorILNS1_17partition_subalgoE8ElNS0_10empty_typeEbEEZZNS1_14partition_implILS5_8ELb0ES3_jPlPS6_PKS6_NS0_5tupleIJS9_S6_EEENSD_IJSA_SA_EEENS0_18inequality_wrapperIZN2at6native12_GLOBAL__N_124unique_dim_cuda_templateItEESt5tupleIJNSH_6TensorESM_SM_EERKSM_lbbbEUlllE0_EEPmJS6_EEE10hipError_tPvRmT3_T4_T5_T6_T7_T9_mT8_P12ihipStream_tbDpT10_ENKUlT_T0_E_clISt17integral_constantIbLb0EES1B_IbLb1EEEEDaS17_S18_EUlS17_E_NS1_11comp_targetILNS1_3genE3ELNS1_11target_archE908ELNS1_3gpuE7ELNS1_3repE0EEENS1_30default_config_static_selectorELNS0_4arch9wavefront6targetE0EEEvT1_,@function
_ZN7rocprim17ROCPRIM_400000_NS6detail17trampoline_kernelINS0_14default_configENS1_25partition_config_selectorILNS1_17partition_subalgoE8ElNS0_10empty_typeEbEEZZNS1_14partition_implILS5_8ELb0ES3_jPlPS6_PKS6_NS0_5tupleIJS9_S6_EEENSD_IJSA_SA_EEENS0_18inequality_wrapperIZN2at6native12_GLOBAL__N_124unique_dim_cuda_templateItEESt5tupleIJNSH_6TensorESM_SM_EERKSM_lbbbEUlllE0_EEPmJS6_EEE10hipError_tPvRmT3_T4_T5_T6_T7_T9_mT8_P12ihipStream_tbDpT10_ENKUlT_T0_E_clISt17integral_constantIbLb0EES1B_IbLb1EEEEDaS17_S18_EUlS17_E_NS1_11comp_targetILNS1_3genE3ELNS1_11target_archE908ELNS1_3gpuE7ELNS1_3repE0EEENS1_30default_config_static_selectorELNS0_4arch9wavefront6targetE0EEEvT1_: ; @_ZN7rocprim17ROCPRIM_400000_NS6detail17trampoline_kernelINS0_14default_configENS1_25partition_config_selectorILNS1_17partition_subalgoE8ElNS0_10empty_typeEbEEZZNS1_14partition_implILS5_8ELb0ES3_jPlPS6_PKS6_NS0_5tupleIJS9_S6_EEENSD_IJSA_SA_EEENS0_18inequality_wrapperIZN2at6native12_GLOBAL__N_124unique_dim_cuda_templateItEESt5tupleIJNSH_6TensorESM_SM_EERKSM_lbbbEUlllE0_EEPmJS6_EEE10hipError_tPvRmT3_T4_T5_T6_T7_T9_mT8_P12ihipStream_tbDpT10_ENKUlT_T0_E_clISt17integral_constantIbLb0EES1B_IbLb1EEEEDaS17_S18_EUlS17_E_NS1_11comp_targetILNS1_3genE3ELNS1_11target_archE908ELNS1_3gpuE7ELNS1_3repE0EEENS1_30default_config_static_selectorELNS0_4arch9wavefront6targetE0EEEvT1_
; %bb.0:
	.section	.rodata,"a",@progbits
	.p2align	6, 0x0
	.amdhsa_kernel _ZN7rocprim17ROCPRIM_400000_NS6detail17trampoline_kernelINS0_14default_configENS1_25partition_config_selectorILNS1_17partition_subalgoE8ElNS0_10empty_typeEbEEZZNS1_14partition_implILS5_8ELb0ES3_jPlPS6_PKS6_NS0_5tupleIJS9_S6_EEENSD_IJSA_SA_EEENS0_18inequality_wrapperIZN2at6native12_GLOBAL__N_124unique_dim_cuda_templateItEESt5tupleIJNSH_6TensorESM_SM_EERKSM_lbbbEUlllE0_EEPmJS6_EEE10hipError_tPvRmT3_T4_T5_T6_T7_T9_mT8_P12ihipStream_tbDpT10_ENKUlT_T0_E_clISt17integral_constantIbLb0EES1B_IbLb1EEEEDaS17_S18_EUlS17_E_NS1_11comp_targetILNS1_3genE3ELNS1_11target_archE908ELNS1_3gpuE7ELNS1_3repE0EEENS1_30default_config_static_selectorELNS0_4arch9wavefront6targetE0EEEvT1_
		.amdhsa_group_segment_fixed_size 0
		.amdhsa_private_segment_fixed_size 0
		.amdhsa_kernarg_size 136
		.amdhsa_user_sgpr_count 15
		.amdhsa_user_sgpr_dispatch_ptr 0
		.amdhsa_user_sgpr_queue_ptr 0
		.amdhsa_user_sgpr_kernarg_segment_ptr 1
		.amdhsa_user_sgpr_dispatch_id 0
		.amdhsa_user_sgpr_private_segment_size 0
		.amdhsa_wavefront_size32 1
		.amdhsa_uses_dynamic_stack 0
		.amdhsa_enable_private_segment 0
		.amdhsa_system_sgpr_workgroup_id_x 1
		.amdhsa_system_sgpr_workgroup_id_y 0
		.amdhsa_system_sgpr_workgroup_id_z 0
		.amdhsa_system_sgpr_workgroup_info 0
		.amdhsa_system_vgpr_workitem_id 0
		.amdhsa_next_free_vgpr 1
		.amdhsa_next_free_sgpr 1
		.amdhsa_reserve_vcc 0
		.amdhsa_float_round_mode_32 0
		.amdhsa_float_round_mode_16_64 0
		.amdhsa_float_denorm_mode_32 3
		.amdhsa_float_denorm_mode_16_64 3
		.amdhsa_dx10_clamp 1
		.amdhsa_ieee_mode 1
		.amdhsa_fp16_overflow 0
		.amdhsa_workgroup_processor_mode 1
		.amdhsa_memory_ordered 1
		.amdhsa_forward_progress 0
		.amdhsa_shared_vgpr_count 0
		.amdhsa_exception_fp_ieee_invalid_op 0
		.amdhsa_exception_fp_denorm_src 0
		.amdhsa_exception_fp_ieee_div_zero 0
		.amdhsa_exception_fp_ieee_overflow 0
		.amdhsa_exception_fp_ieee_underflow 0
		.amdhsa_exception_fp_ieee_inexact 0
		.amdhsa_exception_int_div_zero 0
	.end_amdhsa_kernel
	.section	.text._ZN7rocprim17ROCPRIM_400000_NS6detail17trampoline_kernelINS0_14default_configENS1_25partition_config_selectorILNS1_17partition_subalgoE8ElNS0_10empty_typeEbEEZZNS1_14partition_implILS5_8ELb0ES3_jPlPS6_PKS6_NS0_5tupleIJS9_S6_EEENSD_IJSA_SA_EEENS0_18inequality_wrapperIZN2at6native12_GLOBAL__N_124unique_dim_cuda_templateItEESt5tupleIJNSH_6TensorESM_SM_EERKSM_lbbbEUlllE0_EEPmJS6_EEE10hipError_tPvRmT3_T4_T5_T6_T7_T9_mT8_P12ihipStream_tbDpT10_ENKUlT_T0_E_clISt17integral_constantIbLb0EES1B_IbLb1EEEEDaS17_S18_EUlS17_E_NS1_11comp_targetILNS1_3genE3ELNS1_11target_archE908ELNS1_3gpuE7ELNS1_3repE0EEENS1_30default_config_static_selectorELNS0_4arch9wavefront6targetE0EEEvT1_,"axG",@progbits,_ZN7rocprim17ROCPRIM_400000_NS6detail17trampoline_kernelINS0_14default_configENS1_25partition_config_selectorILNS1_17partition_subalgoE8ElNS0_10empty_typeEbEEZZNS1_14partition_implILS5_8ELb0ES3_jPlPS6_PKS6_NS0_5tupleIJS9_S6_EEENSD_IJSA_SA_EEENS0_18inequality_wrapperIZN2at6native12_GLOBAL__N_124unique_dim_cuda_templateItEESt5tupleIJNSH_6TensorESM_SM_EERKSM_lbbbEUlllE0_EEPmJS6_EEE10hipError_tPvRmT3_T4_T5_T6_T7_T9_mT8_P12ihipStream_tbDpT10_ENKUlT_T0_E_clISt17integral_constantIbLb0EES1B_IbLb1EEEEDaS17_S18_EUlS17_E_NS1_11comp_targetILNS1_3genE3ELNS1_11target_archE908ELNS1_3gpuE7ELNS1_3repE0EEENS1_30default_config_static_selectorELNS0_4arch9wavefront6targetE0EEEvT1_,comdat
.Lfunc_end1444:
	.size	_ZN7rocprim17ROCPRIM_400000_NS6detail17trampoline_kernelINS0_14default_configENS1_25partition_config_selectorILNS1_17partition_subalgoE8ElNS0_10empty_typeEbEEZZNS1_14partition_implILS5_8ELb0ES3_jPlPS6_PKS6_NS0_5tupleIJS9_S6_EEENSD_IJSA_SA_EEENS0_18inequality_wrapperIZN2at6native12_GLOBAL__N_124unique_dim_cuda_templateItEESt5tupleIJNSH_6TensorESM_SM_EERKSM_lbbbEUlllE0_EEPmJS6_EEE10hipError_tPvRmT3_T4_T5_T6_T7_T9_mT8_P12ihipStream_tbDpT10_ENKUlT_T0_E_clISt17integral_constantIbLb0EES1B_IbLb1EEEEDaS17_S18_EUlS17_E_NS1_11comp_targetILNS1_3genE3ELNS1_11target_archE908ELNS1_3gpuE7ELNS1_3repE0EEENS1_30default_config_static_selectorELNS0_4arch9wavefront6targetE0EEEvT1_, .Lfunc_end1444-_ZN7rocprim17ROCPRIM_400000_NS6detail17trampoline_kernelINS0_14default_configENS1_25partition_config_selectorILNS1_17partition_subalgoE8ElNS0_10empty_typeEbEEZZNS1_14partition_implILS5_8ELb0ES3_jPlPS6_PKS6_NS0_5tupleIJS9_S6_EEENSD_IJSA_SA_EEENS0_18inequality_wrapperIZN2at6native12_GLOBAL__N_124unique_dim_cuda_templateItEESt5tupleIJNSH_6TensorESM_SM_EERKSM_lbbbEUlllE0_EEPmJS6_EEE10hipError_tPvRmT3_T4_T5_T6_T7_T9_mT8_P12ihipStream_tbDpT10_ENKUlT_T0_E_clISt17integral_constantIbLb0EES1B_IbLb1EEEEDaS17_S18_EUlS17_E_NS1_11comp_targetILNS1_3genE3ELNS1_11target_archE908ELNS1_3gpuE7ELNS1_3repE0EEENS1_30default_config_static_selectorELNS0_4arch9wavefront6targetE0EEEvT1_
                                        ; -- End function
	.section	.AMDGPU.csdata,"",@progbits
; Kernel info:
; codeLenInByte = 0
; NumSgprs: 0
; NumVgprs: 0
; ScratchSize: 0
; MemoryBound: 0
; FloatMode: 240
; IeeeMode: 1
; LDSByteSize: 0 bytes/workgroup (compile time only)
; SGPRBlocks: 0
; VGPRBlocks: 0
; NumSGPRsForWavesPerEU: 1
; NumVGPRsForWavesPerEU: 1
; Occupancy: 16
; WaveLimiterHint : 0
; COMPUTE_PGM_RSRC2:SCRATCH_EN: 0
; COMPUTE_PGM_RSRC2:USER_SGPR: 15
; COMPUTE_PGM_RSRC2:TRAP_HANDLER: 0
; COMPUTE_PGM_RSRC2:TGID_X_EN: 1
; COMPUTE_PGM_RSRC2:TGID_Y_EN: 0
; COMPUTE_PGM_RSRC2:TGID_Z_EN: 0
; COMPUTE_PGM_RSRC2:TIDIG_COMP_CNT: 0
	.section	.text._ZN7rocprim17ROCPRIM_400000_NS6detail17trampoline_kernelINS0_14default_configENS1_25partition_config_selectorILNS1_17partition_subalgoE8ElNS0_10empty_typeEbEEZZNS1_14partition_implILS5_8ELb0ES3_jPlPS6_PKS6_NS0_5tupleIJS9_S6_EEENSD_IJSA_SA_EEENS0_18inequality_wrapperIZN2at6native12_GLOBAL__N_124unique_dim_cuda_templateItEESt5tupleIJNSH_6TensorESM_SM_EERKSM_lbbbEUlllE0_EEPmJS6_EEE10hipError_tPvRmT3_T4_T5_T6_T7_T9_mT8_P12ihipStream_tbDpT10_ENKUlT_T0_E_clISt17integral_constantIbLb0EES1B_IbLb1EEEEDaS17_S18_EUlS17_E_NS1_11comp_targetILNS1_3genE2ELNS1_11target_archE906ELNS1_3gpuE6ELNS1_3repE0EEENS1_30default_config_static_selectorELNS0_4arch9wavefront6targetE0EEEvT1_,"axG",@progbits,_ZN7rocprim17ROCPRIM_400000_NS6detail17trampoline_kernelINS0_14default_configENS1_25partition_config_selectorILNS1_17partition_subalgoE8ElNS0_10empty_typeEbEEZZNS1_14partition_implILS5_8ELb0ES3_jPlPS6_PKS6_NS0_5tupleIJS9_S6_EEENSD_IJSA_SA_EEENS0_18inequality_wrapperIZN2at6native12_GLOBAL__N_124unique_dim_cuda_templateItEESt5tupleIJNSH_6TensorESM_SM_EERKSM_lbbbEUlllE0_EEPmJS6_EEE10hipError_tPvRmT3_T4_T5_T6_T7_T9_mT8_P12ihipStream_tbDpT10_ENKUlT_T0_E_clISt17integral_constantIbLb0EES1B_IbLb1EEEEDaS17_S18_EUlS17_E_NS1_11comp_targetILNS1_3genE2ELNS1_11target_archE906ELNS1_3gpuE6ELNS1_3repE0EEENS1_30default_config_static_selectorELNS0_4arch9wavefront6targetE0EEEvT1_,comdat
	.globl	_ZN7rocprim17ROCPRIM_400000_NS6detail17trampoline_kernelINS0_14default_configENS1_25partition_config_selectorILNS1_17partition_subalgoE8ElNS0_10empty_typeEbEEZZNS1_14partition_implILS5_8ELb0ES3_jPlPS6_PKS6_NS0_5tupleIJS9_S6_EEENSD_IJSA_SA_EEENS0_18inequality_wrapperIZN2at6native12_GLOBAL__N_124unique_dim_cuda_templateItEESt5tupleIJNSH_6TensorESM_SM_EERKSM_lbbbEUlllE0_EEPmJS6_EEE10hipError_tPvRmT3_T4_T5_T6_T7_T9_mT8_P12ihipStream_tbDpT10_ENKUlT_T0_E_clISt17integral_constantIbLb0EES1B_IbLb1EEEEDaS17_S18_EUlS17_E_NS1_11comp_targetILNS1_3genE2ELNS1_11target_archE906ELNS1_3gpuE6ELNS1_3repE0EEENS1_30default_config_static_selectorELNS0_4arch9wavefront6targetE0EEEvT1_ ; -- Begin function _ZN7rocprim17ROCPRIM_400000_NS6detail17trampoline_kernelINS0_14default_configENS1_25partition_config_selectorILNS1_17partition_subalgoE8ElNS0_10empty_typeEbEEZZNS1_14partition_implILS5_8ELb0ES3_jPlPS6_PKS6_NS0_5tupleIJS9_S6_EEENSD_IJSA_SA_EEENS0_18inequality_wrapperIZN2at6native12_GLOBAL__N_124unique_dim_cuda_templateItEESt5tupleIJNSH_6TensorESM_SM_EERKSM_lbbbEUlllE0_EEPmJS6_EEE10hipError_tPvRmT3_T4_T5_T6_T7_T9_mT8_P12ihipStream_tbDpT10_ENKUlT_T0_E_clISt17integral_constantIbLb0EES1B_IbLb1EEEEDaS17_S18_EUlS17_E_NS1_11comp_targetILNS1_3genE2ELNS1_11target_archE906ELNS1_3gpuE6ELNS1_3repE0EEENS1_30default_config_static_selectorELNS0_4arch9wavefront6targetE0EEEvT1_
	.p2align	8
	.type	_ZN7rocprim17ROCPRIM_400000_NS6detail17trampoline_kernelINS0_14default_configENS1_25partition_config_selectorILNS1_17partition_subalgoE8ElNS0_10empty_typeEbEEZZNS1_14partition_implILS5_8ELb0ES3_jPlPS6_PKS6_NS0_5tupleIJS9_S6_EEENSD_IJSA_SA_EEENS0_18inequality_wrapperIZN2at6native12_GLOBAL__N_124unique_dim_cuda_templateItEESt5tupleIJNSH_6TensorESM_SM_EERKSM_lbbbEUlllE0_EEPmJS6_EEE10hipError_tPvRmT3_T4_T5_T6_T7_T9_mT8_P12ihipStream_tbDpT10_ENKUlT_T0_E_clISt17integral_constantIbLb0EES1B_IbLb1EEEEDaS17_S18_EUlS17_E_NS1_11comp_targetILNS1_3genE2ELNS1_11target_archE906ELNS1_3gpuE6ELNS1_3repE0EEENS1_30default_config_static_selectorELNS0_4arch9wavefront6targetE0EEEvT1_,@function
_ZN7rocprim17ROCPRIM_400000_NS6detail17trampoline_kernelINS0_14default_configENS1_25partition_config_selectorILNS1_17partition_subalgoE8ElNS0_10empty_typeEbEEZZNS1_14partition_implILS5_8ELb0ES3_jPlPS6_PKS6_NS0_5tupleIJS9_S6_EEENSD_IJSA_SA_EEENS0_18inequality_wrapperIZN2at6native12_GLOBAL__N_124unique_dim_cuda_templateItEESt5tupleIJNSH_6TensorESM_SM_EERKSM_lbbbEUlllE0_EEPmJS6_EEE10hipError_tPvRmT3_T4_T5_T6_T7_T9_mT8_P12ihipStream_tbDpT10_ENKUlT_T0_E_clISt17integral_constantIbLb0EES1B_IbLb1EEEEDaS17_S18_EUlS17_E_NS1_11comp_targetILNS1_3genE2ELNS1_11target_archE906ELNS1_3gpuE6ELNS1_3repE0EEENS1_30default_config_static_selectorELNS0_4arch9wavefront6targetE0EEEvT1_: ; @_ZN7rocprim17ROCPRIM_400000_NS6detail17trampoline_kernelINS0_14default_configENS1_25partition_config_selectorILNS1_17partition_subalgoE8ElNS0_10empty_typeEbEEZZNS1_14partition_implILS5_8ELb0ES3_jPlPS6_PKS6_NS0_5tupleIJS9_S6_EEENSD_IJSA_SA_EEENS0_18inequality_wrapperIZN2at6native12_GLOBAL__N_124unique_dim_cuda_templateItEESt5tupleIJNSH_6TensorESM_SM_EERKSM_lbbbEUlllE0_EEPmJS6_EEE10hipError_tPvRmT3_T4_T5_T6_T7_T9_mT8_P12ihipStream_tbDpT10_ENKUlT_T0_E_clISt17integral_constantIbLb0EES1B_IbLb1EEEEDaS17_S18_EUlS17_E_NS1_11comp_targetILNS1_3genE2ELNS1_11target_archE906ELNS1_3gpuE6ELNS1_3repE0EEENS1_30default_config_static_selectorELNS0_4arch9wavefront6targetE0EEEvT1_
; %bb.0:
	.section	.rodata,"a",@progbits
	.p2align	6, 0x0
	.amdhsa_kernel _ZN7rocprim17ROCPRIM_400000_NS6detail17trampoline_kernelINS0_14default_configENS1_25partition_config_selectorILNS1_17partition_subalgoE8ElNS0_10empty_typeEbEEZZNS1_14partition_implILS5_8ELb0ES3_jPlPS6_PKS6_NS0_5tupleIJS9_S6_EEENSD_IJSA_SA_EEENS0_18inequality_wrapperIZN2at6native12_GLOBAL__N_124unique_dim_cuda_templateItEESt5tupleIJNSH_6TensorESM_SM_EERKSM_lbbbEUlllE0_EEPmJS6_EEE10hipError_tPvRmT3_T4_T5_T6_T7_T9_mT8_P12ihipStream_tbDpT10_ENKUlT_T0_E_clISt17integral_constantIbLb0EES1B_IbLb1EEEEDaS17_S18_EUlS17_E_NS1_11comp_targetILNS1_3genE2ELNS1_11target_archE906ELNS1_3gpuE6ELNS1_3repE0EEENS1_30default_config_static_selectorELNS0_4arch9wavefront6targetE0EEEvT1_
		.amdhsa_group_segment_fixed_size 0
		.amdhsa_private_segment_fixed_size 0
		.amdhsa_kernarg_size 136
		.amdhsa_user_sgpr_count 15
		.amdhsa_user_sgpr_dispatch_ptr 0
		.amdhsa_user_sgpr_queue_ptr 0
		.amdhsa_user_sgpr_kernarg_segment_ptr 1
		.amdhsa_user_sgpr_dispatch_id 0
		.amdhsa_user_sgpr_private_segment_size 0
		.amdhsa_wavefront_size32 1
		.amdhsa_uses_dynamic_stack 0
		.amdhsa_enable_private_segment 0
		.amdhsa_system_sgpr_workgroup_id_x 1
		.amdhsa_system_sgpr_workgroup_id_y 0
		.amdhsa_system_sgpr_workgroup_id_z 0
		.amdhsa_system_sgpr_workgroup_info 0
		.amdhsa_system_vgpr_workitem_id 0
		.amdhsa_next_free_vgpr 1
		.amdhsa_next_free_sgpr 1
		.amdhsa_reserve_vcc 0
		.amdhsa_float_round_mode_32 0
		.amdhsa_float_round_mode_16_64 0
		.amdhsa_float_denorm_mode_32 3
		.amdhsa_float_denorm_mode_16_64 3
		.amdhsa_dx10_clamp 1
		.amdhsa_ieee_mode 1
		.amdhsa_fp16_overflow 0
		.amdhsa_workgroup_processor_mode 1
		.amdhsa_memory_ordered 1
		.amdhsa_forward_progress 0
		.amdhsa_shared_vgpr_count 0
		.amdhsa_exception_fp_ieee_invalid_op 0
		.amdhsa_exception_fp_denorm_src 0
		.amdhsa_exception_fp_ieee_div_zero 0
		.amdhsa_exception_fp_ieee_overflow 0
		.amdhsa_exception_fp_ieee_underflow 0
		.amdhsa_exception_fp_ieee_inexact 0
		.amdhsa_exception_int_div_zero 0
	.end_amdhsa_kernel
	.section	.text._ZN7rocprim17ROCPRIM_400000_NS6detail17trampoline_kernelINS0_14default_configENS1_25partition_config_selectorILNS1_17partition_subalgoE8ElNS0_10empty_typeEbEEZZNS1_14partition_implILS5_8ELb0ES3_jPlPS6_PKS6_NS0_5tupleIJS9_S6_EEENSD_IJSA_SA_EEENS0_18inequality_wrapperIZN2at6native12_GLOBAL__N_124unique_dim_cuda_templateItEESt5tupleIJNSH_6TensorESM_SM_EERKSM_lbbbEUlllE0_EEPmJS6_EEE10hipError_tPvRmT3_T4_T5_T6_T7_T9_mT8_P12ihipStream_tbDpT10_ENKUlT_T0_E_clISt17integral_constantIbLb0EES1B_IbLb1EEEEDaS17_S18_EUlS17_E_NS1_11comp_targetILNS1_3genE2ELNS1_11target_archE906ELNS1_3gpuE6ELNS1_3repE0EEENS1_30default_config_static_selectorELNS0_4arch9wavefront6targetE0EEEvT1_,"axG",@progbits,_ZN7rocprim17ROCPRIM_400000_NS6detail17trampoline_kernelINS0_14default_configENS1_25partition_config_selectorILNS1_17partition_subalgoE8ElNS0_10empty_typeEbEEZZNS1_14partition_implILS5_8ELb0ES3_jPlPS6_PKS6_NS0_5tupleIJS9_S6_EEENSD_IJSA_SA_EEENS0_18inequality_wrapperIZN2at6native12_GLOBAL__N_124unique_dim_cuda_templateItEESt5tupleIJNSH_6TensorESM_SM_EERKSM_lbbbEUlllE0_EEPmJS6_EEE10hipError_tPvRmT3_T4_T5_T6_T7_T9_mT8_P12ihipStream_tbDpT10_ENKUlT_T0_E_clISt17integral_constantIbLb0EES1B_IbLb1EEEEDaS17_S18_EUlS17_E_NS1_11comp_targetILNS1_3genE2ELNS1_11target_archE906ELNS1_3gpuE6ELNS1_3repE0EEENS1_30default_config_static_selectorELNS0_4arch9wavefront6targetE0EEEvT1_,comdat
.Lfunc_end1445:
	.size	_ZN7rocprim17ROCPRIM_400000_NS6detail17trampoline_kernelINS0_14default_configENS1_25partition_config_selectorILNS1_17partition_subalgoE8ElNS0_10empty_typeEbEEZZNS1_14partition_implILS5_8ELb0ES3_jPlPS6_PKS6_NS0_5tupleIJS9_S6_EEENSD_IJSA_SA_EEENS0_18inequality_wrapperIZN2at6native12_GLOBAL__N_124unique_dim_cuda_templateItEESt5tupleIJNSH_6TensorESM_SM_EERKSM_lbbbEUlllE0_EEPmJS6_EEE10hipError_tPvRmT3_T4_T5_T6_T7_T9_mT8_P12ihipStream_tbDpT10_ENKUlT_T0_E_clISt17integral_constantIbLb0EES1B_IbLb1EEEEDaS17_S18_EUlS17_E_NS1_11comp_targetILNS1_3genE2ELNS1_11target_archE906ELNS1_3gpuE6ELNS1_3repE0EEENS1_30default_config_static_selectorELNS0_4arch9wavefront6targetE0EEEvT1_, .Lfunc_end1445-_ZN7rocprim17ROCPRIM_400000_NS6detail17trampoline_kernelINS0_14default_configENS1_25partition_config_selectorILNS1_17partition_subalgoE8ElNS0_10empty_typeEbEEZZNS1_14partition_implILS5_8ELb0ES3_jPlPS6_PKS6_NS0_5tupleIJS9_S6_EEENSD_IJSA_SA_EEENS0_18inequality_wrapperIZN2at6native12_GLOBAL__N_124unique_dim_cuda_templateItEESt5tupleIJNSH_6TensorESM_SM_EERKSM_lbbbEUlllE0_EEPmJS6_EEE10hipError_tPvRmT3_T4_T5_T6_T7_T9_mT8_P12ihipStream_tbDpT10_ENKUlT_T0_E_clISt17integral_constantIbLb0EES1B_IbLb1EEEEDaS17_S18_EUlS17_E_NS1_11comp_targetILNS1_3genE2ELNS1_11target_archE906ELNS1_3gpuE6ELNS1_3repE0EEENS1_30default_config_static_selectorELNS0_4arch9wavefront6targetE0EEEvT1_
                                        ; -- End function
	.section	.AMDGPU.csdata,"",@progbits
; Kernel info:
; codeLenInByte = 0
; NumSgprs: 0
; NumVgprs: 0
; ScratchSize: 0
; MemoryBound: 0
; FloatMode: 240
; IeeeMode: 1
; LDSByteSize: 0 bytes/workgroup (compile time only)
; SGPRBlocks: 0
; VGPRBlocks: 0
; NumSGPRsForWavesPerEU: 1
; NumVGPRsForWavesPerEU: 1
; Occupancy: 16
; WaveLimiterHint : 0
; COMPUTE_PGM_RSRC2:SCRATCH_EN: 0
; COMPUTE_PGM_RSRC2:USER_SGPR: 15
; COMPUTE_PGM_RSRC2:TRAP_HANDLER: 0
; COMPUTE_PGM_RSRC2:TGID_X_EN: 1
; COMPUTE_PGM_RSRC2:TGID_Y_EN: 0
; COMPUTE_PGM_RSRC2:TGID_Z_EN: 0
; COMPUTE_PGM_RSRC2:TIDIG_COMP_CNT: 0
	.section	.text._ZN7rocprim17ROCPRIM_400000_NS6detail17trampoline_kernelINS0_14default_configENS1_25partition_config_selectorILNS1_17partition_subalgoE8ElNS0_10empty_typeEbEEZZNS1_14partition_implILS5_8ELb0ES3_jPlPS6_PKS6_NS0_5tupleIJS9_S6_EEENSD_IJSA_SA_EEENS0_18inequality_wrapperIZN2at6native12_GLOBAL__N_124unique_dim_cuda_templateItEESt5tupleIJNSH_6TensorESM_SM_EERKSM_lbbbEUlllE0_EEPmJS6_EEE10hipError_tPvRmT3_T4_T5_T6_T7_T9_mT8_P12ihipStream_tbDpT10_ENKUlT_T0_E_clISt17integral_constantIbLb0EES1B_IbLb1EEEEDaS17_S18_EUlS17_E_NS1_11comp_targetILNS1_3genE10ELNS1_11target_archE1200ELNS1_3gpuE4ELNS1_3repE0EEENS1_30default_config_static_selectorELNS0_4arch9wavefront6targetE0EEEvT1_,"axG",@progbits,_ZN7rocprim17ROCPRIM_400000_NS6detail17trampoline_kernelINS0_14default_configENS1_25partition_config_selectorILNS1_17partition_subalgoE8ElNS0_10empty_typeEbEEZZNS1_14partition_implILS5_8ELb0ES3_jPlPS6_PKS6_NS0_5tupleIJS9_S6_EEENSD_IJSA_SA_EEENS0_18inequality_wrapperIZN2at6native12_GLOBAL__N_124unique_dim_cuda_templateItEESt5tupleIJNSH_6TensorESM_SM_EERKSM_lbbbEUlllE0_EEPmJS6_EEE10hipError_tPvRmT3_T4_T5_T6_T7_T9_mT8_P12ihipStream_tbDpT10_ENKUlT_T0_E_clISt17integral_constantIbLb0EES1B_IbLb1EEEEDaS17_S18_EUlS17_E_NS1_11comp_targetILNS1_3genE10ELNS1_11target_archE1200ELNS1_3gpuE4ELNS1_3repE0EEENS1_30default_config_static_selectorELNS0_4arch9wavefront6targetE0EEEvT1_,comdat
	.globl	_ZN7rocprim17ROCPRIM_400000_NS6detail17trampoline_kernelINS0_14default_configENS1_25partition_config_selectorILNS1_17partition_subalgoE8ElNS0_10empty_typeEbEEZZNS1_14partition_implILS5_8ELb0ES3_jPlPS6_PKS6_NS0_5tupleIJS9_S6_EEENSD_IJSA_SA_EEENS0_18inequality_wrapperIZN2at6native12_GLOBAL__N_124unique_dim_cuda_templateItEESt5tupleIJNSH_6TensorESM_SM_EERKSM_lbbbEUlllE0_EEPmJS6_EEE10hipError_tPvRmT3_T4_T5_T6_T7_T9_mT8_P12ihipStream_tbDpT10_ENKUlT_T0_E_clISt17integral_constantIbLb0EES1B_IbLb1EEEEDaS17_S18_EUlS17_E_NS1_11comp_targetILNS1_3genE10ELNS1_11target_archE1200ELNS1_3gpuE4ELNS1_3repE0EEENS1_30default_config_static_selectorELNS0_4arch9wavefront6targetE0EEEvT1_ ; -- Begin function _ZN7rocprim17ROCPRIM_400000_NS6detail17trampoline_kernelINS0_14default_configENS1_25partition_config_selectorILNS1_17partition_subalgoE8ElNS0_10empty_typeEbEEZZNS1_14partition_implILS5_8ELb0ES3_jPlPS6_PKS6_NS0_5tupleIJS9_S6_EEENSD_IJSA_SA_EEENS0_18inequality_wrapperIZN2at6native12_GLOBAL__N_124unique_dim_cuda_templateItEESt5tupleIJNSH_6TensorESM_SM_EERKSM_lbbbEUlllE0_EEPmJS6_EEE10hipError_tPvRmT3_T4_T5_T6_T7_T9_mT8_P12ihipStream_tbDpT10_ENKUlT_T0_E_clISt17integral_constantIbLb0EES1B_IbLb1EEEEDaS17_S18_EUlS17_E_NS1_11comp_targetILNS1_3genE10ELNS1_11target_archE1200ELNS1_3gpuE4ELNS1_3repE0EEENS1_30default_config_static_selectorELNS0_4arch9wavefront6targetE0EEEvT1_
	.p2align	8
	.type	_ZN7rocprim17ROCPRIM_400000_NS6detail17trampoline_kernelINS0_14default_configENS1_25partition_config_selectorILNS1_17partition_subalgoE8ElNS0_10empty_typeEbEEZZNS1_14partition_implILS5_8ELb0ES3_jPlPS6_PKS6_NS0_5tupleIJS9_S6_EEENSD_IJSA_SA_EEENS0_18inequality_wrapperIZN2at6native12_GLOBAL__N_124unique_dim_cuda_templateItEESt5tupleIJNSH_6TensorESM_SM_EERKSM_lbbbEUlllE0_EEPmJS6_EEE10hipError_tPvRmT3_T4_T5_T6_T7_T9_mT8_P12ihipStream_tbDpT10_ENKUlT_T0_E_clISt17integral_constantIbLb0EES1B_IbLb1EEEEDaS17_S18_EUlS17_E_NS1_11comp_targetILNS1_3genE10ELNS1_11target_archE1200ELNS1_3gpuE4ELNS1_3repE0EEENS1_30default_config_static_selectorELNS0_4arch9wavefront6targetE0EEEvT1_,@function
_ZN7rocprim17ROCPRIM_400000_NS6detail17trampoline_kernelINS0_14default_configENS1_25partition_config_selectorILNS1_17partition_subalgoE8ElNS0_10empty_typeEbEEZZNS1_14partition_implILS5_8ELb0ES3_jPlPS6_PKS6_NS0_5tupleIJS9_S6_EEENSD_IJSA_SA_EEENS0_18inequality_wrapperIZN2at6native12_GLOBAL__N_124unique_dim_cuda_templateItEESt5tupleIJNSH_6TensorESM_SM_EERKSM_lbbbEUlllE0_EEPmJS6_EEE10hipError_tPvRmT3_T4_T5_T6_T7_T9_mT8_P12ihipStream_tbDpT10_ENKUlT_T0_E_clISt17integral_constantIbLb0EES1B_IbLb1EEEEDaS17_S18_EUlS17_E_NS1_11comp_targetILNS1_3genE10ELNS1_11target_archE1200ELNS1_3gpuE4ELNS1_3repE0EEENS1_30default_config_static_selectorELNS0_4arch9wavefront6targetE0EEEvT1_: ; @_ZN7rocprim17ROCPRIM_400000_NS6detail17trampoline_kernelINS0_14default_configENS1_25partition_config_selectorILNS1_17partition_subalgoE8ElNS0_10empty_typeEbEEZZNS1_14partition_implILS5_8ELb0ES3_jPlPS6_PKS6_NS0_5tupleIJS9_S6_EEENSD_IJSA_SA_EEENS0_18inequality_wrapperIZN2at6native12_GLOBAL__N_124unique_dim_cuda_templateItEESt5tupleIJNSH_6TensorESM_SM_EERKSM_lbbbEUlllE0_EEPmJS6_EEE10hipError_tPvRmT3_T4_T5_T6_T7_T9_mT8_P12ihipStream_tbDpT10_ENKUlT_T0_E_clISt17integral_constantIbLb0EES1B_IbLb1EEEEDaS17_S18_EUlS17_E_NS1_11comp_targetILNS1_3genE10ELNS1_11target_archE1200ELNS1_3gpuE4ELNS1_3repE0EEENS1_30default_config_static_selectorELNS0_4arch9wavefront6targetE0EEEvT1_
; %bb.0:
	.section	.rodata,"a",@progbits
	.p2align	6, 0x0
	.amdhsa_kernel _ZN7rocprim17ROCPRIM_400000_NS6detail17trampoline_kernelINS0_14default_configENS1_25partition_config_selectorILNS1_17partition_subalgoE8ElNS0_10empty_typeEbEEZZNS1_14partition_implILS5_8ELb0ES3_jPlPS6_PKS6_NS0_5tupleIJS9_S6_EEENSD_IJSA_SA_EEENS0_18inequality_wrapperIZN2at6native12_GLOBAL__N_124unique_dim_cuda_templateItEESt5tupleIJNSH_6TensorESM_SM_EERKSM_lbbbEUlllE0_EEPmJS6_EEE10hipError_tPvRmT3_T4_T5_T6_T7_T9_mT8_P12ihipStream_tbDpT10_ENKUlT_T0_E_clISt17integral_constantIbLb0EES1B_IbLb1EEEEDaS17_S18_EUlS17_E_NS1_11comp_targetILNS1_3genE10ELNS1_11target_archE1200ELNS1_3gpuE4ELNS1_3repE0EEENS1_30default_config_static_selectorELNS0_4arch9wavefront6targetE0EEEvT1_
		.amdhsa_group_segment_fixed_size 0
		.amdhsa_private_segment_fixed_size 0
		.amdhsa_kernarg_size 136
		.amdhsa_user_sgpr_count 15
		.amdhsa_user_sgpr_dispatch_ptr 0
		.amdhsa_user_sgpr_queue_ptr 0
		.amdhsa_user_sgpr_kernarg_segment_ptr 1
		.amdhsa_user_sgpr_dispatch_id 0
		.amdhsa_user_sgpr_private_segment_size 0
		.amdhsa_wavefront_size32 1
		.amdhsa_uses_dynamic_stack 0
		.amdhsa_enable_private_segment 0
		.amdhsa_system_sgpr_workgroup_id_x 1
		.amdhsa_system_sgpr_workgroup_id_y 0
		.amdhsa_system_sgpr_workgroup_id_z 0
		.amdhsa_system_sgpr_workgroup_info 0
		.amdhsa_system_vgpr_workitem_id 0
		.amdhsa_next_free_vgpr 1
		.amdhsa_next_free_sgpr 1
		.amdhsa_reserve_vcc 0
		.amdhsa_float_round_mode_32 0
		.amdhsa_float_round_mode_16_64 0
		.amdhsa_float_denorm_mode_32 3
		.amdhsa_float_denorm_mode_16_64 3
		.amdhsa_dx10_clamp 1
		.amdhsa_ieee_mode 1
		.amdhsa_fp16_overflow 0
		.amdhsa_workgroup_processor_mode 1
		.amdhsa_memory_ordered 1
		.amdhsa_forward_progress 0
		.amdhsa_shared_vgpr_count 0
		.amdhsa_exception_fp_ieee_invalid_op 0
		.amdhsa_exception_fp_denorm_src 0
		.amdhsa_exception_fp_ieee_div_zero 0
		.amdhsa_exception_fp_ieee_overflow 0
		.amdhsa_exception_fp_ieee_underflow 0
		.amdhsa_exception_fp_ieee_inexact 0
		.amdhsa_exception_int_div_zero 0
	.end_amdhsa_kernel
	.section	.text._ZN7rocprim17ROCPRIM_400000_NS6detail17trampoline_kernelINS0_14default_configENS1_25partition_config_selectorILNS1_17partition_subalgoE8ElNS0_10empty_typeEbEEZZNS1_14partition_implILS5_8ELb0ES3_jPlPS6_PKS6_NS0_5tupleIJS9_S6_EEENSD_IJSA_SA_EEENS0_18inequality_wrapperIZN2at6native12_GLOBAL__N_124unique_dim_cuda_templateItEESt5tupleIJNSH_6TensorESM_SM_EERKSM_lbbbEUlllE0_EEPmJS6_EEE10hipError_tPvRmT3_T4_T5_T6_T7_T9_mT8_P12ihipStream_tbDpT10_ENKUlT_T0_E_clISt17integral_constantIbLb0EES1B_IbLb1EEEEDaS17_S18_EUlS17_E_NS1_11comp_targetILNS1_3genE10ELNS1_11target_archE1200ELNS1_3gpuE4ELNS1_3repE0EEENS1_30default_config_static_selectorELNS0_4arch9wavefront6targetE0EEEvT1_,"axG",@progbits,_ZN7rocprim17ROCPRIM_400000_NS6detail17trampoline_kernelINS0_14default_configENS1_25partition_config_selectorILNS1_17partition_subalgoE8ElNS0_10empty_typeEbEEZZNS1_14partition_implILS5_8ELb0ES3_jPlPS6_PKS6_NS0_5tupleIJS9_S6_EEENSD_IJSA_SA_EEENS0_18inequality_wrapperIZN2at6native12_GLOBAL__N_124unique_dim_cuda_templateItEESt5tupleIJNSH_6TensorESM_SM_EERKSM_lbbbEUlllE0_EEPmJS6_EEE10hipError_tPvRmT3_T4_T5_T6_T7_T9_mT8_P12ihipStream_tbDpT10_ENKUlT_T0_E_clISt17integral_constantIbLb0EES1B_IbLb1EEEEDaS17_S18_EUlS17_E_NS1_11comp_targetILNS1_3genE10ELNS1_11target_archE1200ELNS1_3gpuE4ELNS1_3repE0EEENS1_30default_config_static_selectorELNS0_4arch9wavefront6targetE0EEEvT1_,comdat
.Lfunc_end1446:
	.size	_ZN7rocprim17ROCPRIM_400000_NS6detail17trampoline_kernelINS0_14default_configENS1_25partition_config_selectorILNS1_17partition_subalgoE8ElNS0_10empty_typeEbEEZZNS1_14partition_implILS5_8ELb0ES3_jPlPS6_PKS6_NS0_5tupleIJS9_S6_EEENSD_IJSA_SA_EEENS0_18inequality_wrapperIZN2at6native12_GLOBAL__N_124unique_dim_cuda_templateItEESt5tupleIJNSH_6TensorESM_SM_EERKSM_lbbbEUlllE0_EEPmJS6_EEE10hipError_tPvRmT3_T4_T5_T6_T7_T9_mT8_P12ihipStream_tbDpT10_ENKUlT_T0_E_clISt17integral_constantIbLb0EES1B_IbLb1EEEEDaS17_S18_EUlS17_E_NS1_11comp_targetILNS1_3genE10ELNS1_11target_archE1200ELNS1_3gpuE4ELNS1_3repE0EEENS1_30default_config_static_selectorELNS0_4arch9wavefront6targetE0EEEvT1_, .Lfunc_end1446-_ZN7rocprim17ROCPRIM_400000_NS6detail17trampoline_kernelINS0_14default_configENS1_25partition_config_selectorILNS1_17partition_subalgoE8ElNS0_10empty_typeEbEEZZNS1_14partition_implILS5_8ELb0ES3_jPlPS6_PKS6_NS0_5tupleIJS9_S6_EEENSD_IJSA_SA_EEENS0_18inequality_wrapperIZN2at6native12_GLOBAL__N_124unique_dim_cuda_templateItEESt5tupleIJNSH_6TensorESM_SM_EERKSM_lbbbEUlllE0_EEPmJS6_EEE10hipError_tPvRmT3_T4_T5_T6_T7_T9_mT8_P12ihipStream_tbDpT10_ENKUlT_T0_E_clISt17integral_constantIbLb0EES1B_IbLb1EEEEDaS17_S18_EUlS17_E_NS1_11comp_targetILNS1_3genE10ELNS1_11target_archE1200ELNS1_3gpuE4ELNS1_3repE0EEENS1_30default_config_static_selectorELNS0_4arch9wavefront6targetE0EEEvT1_
                                        ; -- End function
	.section	.AMDGPU.csdata,"",@progbits
; Kernel info:
; codeLenInByte = 0
; NumSgprs: 0
; NumVgprs: 0
; ScratchSize: 0
; MemoryBound: 0
; FloatMode: 240
; IeeeMode: 1
; LDSByteSize: 0 bytes/workgroup (compile time only)
; SGPRBlocks: 0
; VGPRBlocks: 0
; NumSGPRsForWavesPerEU: 1
; NumVGPRsForWavesPerEU: 1
; Occupancy: 15
; WaveLimiterHint : 0
; COMPUTE_PGM_RSRC2:SCRATCH_EN: 0
; COMPUTE_PGM_RSRC2:USER_SGPR: 15
; COMPUTE_PGM_RSRC2:TRAP_HANDLER: 0
; COMPUTE_PGM_RSRC2:TGID_X_EN: 1
; COMPUTE_PGM_RSRC2:TGID_Y_EN: 0
; COMPUTE_PGM_RSRC2:TGID_Z_EN: 0
; COMPUTE_PGM_RSRC2:TIDIG_COMP_CNT: 0
	.section	.text._ZN7rocprim17ROCPRIM_400000_NS6detail17trampoline_kernelINS0_14default_configENS1_25partition_config_selectorILNS1_17partition_subalgoE8ElNS0_10empty_typeEbEEZZNS1_14partition_implILS5_8ELb0ES3_jPlPS6_PKS6_NS0_5tupleIJS9_S6_EEENSD_IJSA_SA_EEENS0_18inequality_wrapperIZN2at6native12_GLOBAL__N_124unique_dim_cuda_templateItEESt5tupleIJNSH_6TensorESM_SM_EERKSM_lbbbEUlllE0_EEPmJS6_EEE10hipError_tPvRmT3_T4_T5_T6_T7_T9_mT8_P12ihipStream_tbDpT10_ENKUlT_T0_E_clISt17integral_constantIbLb0EES1B_IbLb1EEEEDaS17_S18_EUlS17_E_NS1_11comp_targetILNS1_3genE9ELNS1_11target_archE1100ELNS1_3gpuE3ELNS1_3repE0EEENS1_30default_config_static_selectorELNS0_4arch9wavefront6targetE0EEEvT1_,"axG",@progbits,_ZN7rocprim17ROCPRIM_400000_NS6detail17trampoline_kernelINS0_14default_configENS1_25partition_config_selectorILNS1_17partition_subalgoE8ElNS0_10empty_typeEbEEZZNS1_14partition_implILS5_8ELb0ES3_jPlPS6_PKS6_NS0_5tupleIJS9_S6_EEENSD_IJSA_SA_EEENS0_18inequality_wrapperIZN2at6native12_GLOBAL__N_124unique_dim_cuda_templateItEESt5tupleIJNSH_6TensorESM_SM_EERKSM_lbbbEUlllE0_EEPmJS6_EEE10hipError_tPvRmT3_T4_T5_T6_T7_T9_mT8_P12ihipStream_tbDpT10_ENKUlT_T0_E_clISt17integral_constantIbLb0EES1B_IbLb1EEEEDaS17_S18_EUlS17_E_NS1_11comp_targetILNS1_3genE9ELNS1_11target_archE1100ELNS1_3gpuE3ELNS1_3repE0EEENS1_30default_config_static_selectorELNS0_4arch9wavefront6targetE0EEEvT1_,comdat
	.globl	_ZN7rocprim17ROCPRIM_400000_NS6detail17trampoline_kernelINS0_14default_configENS1_25partition_config_selectorILNS1_17partition_subalgoE8ElNS0_10empty_typeEbEEZZNS1_14partition_implILS5_8ELb0ES3_jPlPS6_PKS6_NS0_5tupleIJS9_S6_EEENSD_IJSA_SA_EEENS0_18inequality_wrapperIZN2at6native12_GLOBAL__N_124unique_dim_cuda_templateItEESt5tupleIJNSH_6TensorESM_SM_EERKSM_lbbbEUlllE0_EEPmJS6_EEE10hipError_tPvRmT3_T4_T5_T6_T7_T9_mT8_P12ihipStream_tbDpT10_ENKUlT_T0_E_clISt17integral_constantIbLb0EES1B_IbLb1EEEEDaS17_S18_EUlS17_E_NS1_11comp_targetILNS1_3genE9ELNS1_11target_archE1100ELNS1_3gpuE3ELNS1_3repE0EEENS1_30default_config_static_selectorELNS0_4arch9wavefront6targetE0EEEvT1_ ; -- Begin function _ZN7rocprim17ROCPRIM_400000_NS6detail17trampoline_kernelINS0_14default_configENS1_25partition_config_selectorILNS1_17partition_subalgoE8ElNS0_10empty_typeEbEEZZNS1_14partition_implILS5_8ELb0ES3_jPlPS6_PKS6_NS0_5tupleIJS9_S6_EEENSD_IJSA_SA_EEENS0_18inequality_wrapperIZN2at6native12_GLOBAL__N_124unique_dim_cuda_templateItEESt5tupleIJNSH_6TensorESM_SM_EERKSM_lbbbEUlllE0_EEPmJS6_EEE10hipError_tPvRmT3_T4_T5_T6_T7_T9_mT8_P12ihipStream_tbDpT10_ENKUlT_T0_E_clISt17integral_constantIbLb0EES1B_IbLb1EEEEDaS17_S18_EUlS17_E_NS1_11comp_targetILNS1_3genE9ELNS1_11target_archE1100ELNS1_3gpuE3ELNS1_3repE0EEENS1_30default_config_static_selectorELNS0_4arch9wavefront6targetE0EEEvT1_
	.p2align	8
	.type	_ZN7rocprim17ROCPRIM_400000_NS6detail17trampoline_kernelINS0_14default_configENS1_25partition_config_selectorILNS1_17partition_subalgoE8ElNS0_10empty_typeEbEEZZNS1_14partition_implILS5_8ELb0ES3_jPlPS6_PKS6_NS0_5tupleIJS9_S6_EEENSD_IJSA_SA_EEENS0_18inequality_wrapperIZN2at6native12_GLOBAL__N_124unique_dim_cuda_templateItEESt5tupleIJNSH_6TensorESM_SM_EERKSM_lbbbEUlllE0_EEPmJS6_EEE10hipError_tPvRmT3_T4_T5_T6_T7_T9_mT8_P12ihipStream_tbDpT10_ENKUlT_T0_E_clISt17integral_constantIbLb0EES1B_IbLb1EEEEDaS17_S18_EUlS17_E_NS1_11comp_targetILNS1_3genE9ELNS1_11target_archE1100ELNS1_3gpuE3ELNS1_3repE0EEENS1_30default_config_static_selectorELNS0_4arch9wavefront6targetE0EEEvT1_,@function
_ZN7rocprim17ROCPRIM_400000_NS6detail17trampoline_kernelINS0_14default_configENS1_25partition_config_selectorILNS1_17partition_subalgoE8ElNS0_10empty_typeEbEEZZNS1_14partition_implILS5_8ELb0ES3_jPlPS6_PKS6_NS0_5tupleIJS9_S6_EEENSD_IJSA_SA_EEENS0_18inequality_wrapperIZN2at6native12_GLOBAL__N_124unique_dim_cuda_templateItEESt5tupleIJNSH_6TensorESM_SM_EERKSM_lbbbEUlllE0_EEPmJS6_EEE10hipError_tPvRmT3_T4_T5_T6_T7_T9_mT8_P12ihipStream_tbDpT10_ENKUlT_T0_E_clISt17integral_constantIbLb0EES1B_IbLb1EEEEDaS17_S18_EUlS17_E_NS1_11comp_targetILNS1_3genE9ELNS1_11target_archE1100ELNS1_3gpuE3ELNS1_3repE0EEENS1_30default_config_static_selectorELNS0_4arch9wavefront6targetE0EEEvT1_: ; @_ZN7rocprim17ROCPRIM_400000_NS6detail17trampoline_kernelINS0_14default_configENS1_25partition_config_selectorILNS1_17partition_subalgoE8ElNS0_10empty_typeEbEEZZNS1_14partition_implILS5_8ELb0ES3_jPlPS6_PKS6_NS0_5tupleIJS9_S6_EEENSD_IJSA_SA_EEENS0_18inequality_wrapperIZN2at6native12_GLOBAL__N_124unique_dim_cuda_templateItEESt5tupleIJNSH_6TensorESM_SM_EERKSM_lbbbEUlllE0_EEPmJS6_EEE10hipError_tPvRmT3_T4_T5_T6_T7_T9_mT8_P12ihipStream_tbDpT10_ENKUlT_T0_E_clISt17integral_constantIbLb0EES1B_IbLb1EEEEDaS17_S18_EUlS17_E_NS1_11comp_targetILNS1_3genE9ELNS1_11target_archE1100ELNS1_3gpuE3ELNS1_3repE0EEENS1_30default_config_static_selectorELNS0_4arch9wavefront6targetE0EEEvT1_
; %bb.0:
	s_clause 0x2
	s_load_b64 s[20:21], s[0:1], 0x28
	s_load_b256 s[8:15], s[0:1], 0x40
	s_load_b128 s[16:19], s[0:1], 0x60
	v_cmp_ne_u32_e64 s3, 0, v0
	v_cmp_eq_u32_e64 s2, 0, v0
	s_delay_alu instid0(VALU_DEP_1)
	s_and_saveexec_b32 s4, s2
	s_cbranch_execz .LBB1447_4
; %bb.1:
	s_mov_b32 s6, exec_lo
	s_mov_b32 s5, exec_lo
	v_mbcnt_lo_u32_b32 v1, s6, 0
                                        ; implicit-def: $vgpr2
	s_delay_alu instid0(VALU_DEP_1)
	v_cmpx_eq_u32_e32 0, v1
	s_cbranch_execz .LBB1447_3
; %bb.2:
	s_load_b64 s[22:23], s[0:1], 0x78
	s_bcnt1_i32_b32 s6, s6
	s_delay_alu instid0(SALU_CYCLE_1)
	v_dual_mov_b32 v2, 0 :: v_dual_mov_b32 v3, s6
	s_waitcnt lgkmcnt(0)
	global_atomic_add_u32 v2, v2, v3, s[22:23] glc
.LBB1447_3:
	s_or_b32 exec_lo, exec_lo, s5
	s_waitcnt vmcnt(0)
	v_readfirstlane_b32 s5, v2
	s_delay_alu instid0(VALU_DEP_1)
	v_dual_mov_b32 v2, 0 :: v_dual_add_nc_u32 v1, s5, v1
	ds_store_b32 v2, v1
.LBB1447_4:
	s_or_b32 exec_lo, exec_lo, s4
	v_dual_mov_b32 v2, 0 :: v_dual_lshlrev_b32 v39, 3, v0
	s_clause 0x1
	s_load_b128 s[4:7], s[0:1], 0x8
	s_load_b32 s0, s[0:1], 0x70
	s_waitcnt lgkmcnt(0)
	s_barrier
	buffer_gl0_inv
	ds_load_b32 v1, v2
	s_waitcnt lgkmcnt(0)
	s_barrier
	buffer_gl0_inv
	global_load_b64 v[3:4], v2, s[10:11]
	v_lshrrev_b32_e32 v19, 2, v0
	v_or_b32_e32 v26, 0x200, v0
	v_or_b32_e32 v25, 0x400, v0
	;; [unrolled: 1-line block ×7, first 2 shown]
	s_lshl_b64 s[10:11], s[6:7], 3
	s_delay_alu instid0(SALU_CYCLE_1)
	s_add_u32 s10, s4, s10
	s_addc_u32 s11, s5, s11
	s_add_i32 s1, s0, -1
	v_readfirstlane_b32 s23, v1
	s_lshl_b32 s4, s1, 12
	v_lshlrev_b32_e32 v1, 12, v1
	s_lshl_b32 s5, s0, 12
	s_add_i32 s0, s6, s4
	s_add_u32 s4, s6, s5
	s_addc_u32 s5, s7, 0
	v_lshlrev_b64 v[1:2], 3, v[1:2]
	v_cmp_ge_u64_e64 s4, s[4:5], s[12:13]
	s_cmp_eq_u32 s23, s1
	s_cselect_b32 s13, -1, 0
	s_delay_alu instid0(VALU_DEP_2) | instskip(NEXT) | instid1(VALU_DEP_2)
	v_add_co_u32 v17, vcc_lo, s10, v1
	s_and_b32 s1, s4, s13
	v_add_co_ci_u32_e32 v18, vcc_lo, s11, v2, vcc_lo
	s_xor_b32 s22, s1, -1
	s_mov_b32 s4, -1
	s_and_b32 vcc_lo, exec_lo, s22
	s_waitcnt vmcnt(0)
	v_readfirstlane_b32 s10, v3
	v_readfirstlane_b32 s11, v4
	s_cbranch_vccz .LBB1447_6
; %bb.5:
	v_add_co_u32 v9, vcc_lo, v17, v39
	v_add_co_ci_u32_e32 v10, vcc_lo, 0, v18, vcc_lo
	v_readfirstlane_b32 s4, v17
	s_delay_alu instid0(VALU_DEP_3) | instskip(NEXT) | instid1(VALU_DEP_3)
	v_add_co_u32 v3, vcc_lo, v9, 0x2000
	v_add_co_ci_u32_e32 v4, vcc_lo, 0, v10, vcc_lo
	v_add_co_u32 v5, vcc_lo, v9, 0x4000
	v_add_co_ci_u32_e32 v6, vcc_lo, 0, v10, vcc_lo
	v_add_co_u32 v7, vcc_lo, v9, 0x6000
	v_readfirstlane_b32 s5, v18
	v_add_co_ci_u32_e32 v8, vcc_lo, 0, v10, vcc_lo
	v_add_co_u32 v9, vcc_lo, 0x7000, v9
	v_add_co_ci_u32_e32 v10, vcc_lo, 0, v10, vcc_lo
	s_clause 0x7
	global_load_b64 v[1:2], v39, s[4:5]
	global_load_b64 v[11:12], v[3:4], off offset:-4096
	global_load_b64 v[3:4], v[3:4], off
	global_load_b64 v[13:14], v[5:6], off offset:-4096
	global_load_b64 v[5:6], v[5:6], off
	;; [unrolled: 2-line block ×3, first 2 shown]
	global_load_b64 v[9:10], v[9:10], off
	v_lshrrev_b32_e32 v28, 2, v26
	v_lshrrev_b32_e32 v29, 2, v25
	;; [unrolled: 1-line block ×4, first 2 shown]
	v_and_b32_e32 v27, 0x78, v19
	v_lshrrev_b32_e32 v32, 2, v22
	v_lshrrev_b32_e32 v33, 2, v21
	;; [unrolled: 1-line block ×3, first 2 shown]
	v_and_b32_e32 v28, 0xf8, v28
	v_and_b32_e32 v29, 0x178, v29
	;; [unrolled: 1-line block ×4, first 2 shown]
	v_add_nc_u32_e32 v27, v27, v39
	v_and_b32_e32 v32, 0x2f8, v32
	v_and_b32_e32 v33, 0x378, v33
	;; [unrolled: 1-line block ×3, first 2 shown]
	v_add_nc_u32_e32 v28, v28, v39
	v_add_nc_u32_e32 v29, v29, v39
	;; [unrolled: 1-line block ×4, first 2 shown]
	s_mov_b32 s4, 0
	v_add_nc_u32_e32 v32, v32, v39
	v_add_nc_u32_e32 v33, v33, v39
	;; [unrolled: 1-line block ×3, first 2 shown]
	s_waitcnt vmcnt(7)
	ds_store_b64 v27, v[1:2]
	s_waitcnt vmcnt(6)
	ds_store_b64 v28, v[11:12] offset:4096
	s_waitcnt vmcnt(5)
	ds_store_b64 v29, v[3:4] offset:8192
	;; [unrolled: 2-line block ×7, first 2 shown]
	s_waitcnt lgkmcnt(0)
	s_barrier
.LBB1447_6:
	s_and_not1_b32 vcc_lo, exec_lo, s4
	s_sub_i32 s12, s12, s0
	s_cbranch_vccnz .LBB1447_17
; %bb.7:
	s_mov_b32 s0, exec_lo
                                        ; implicit-def: $vgpr1_vgpr2_vgpr3_vgpr4_vgpr5_vgpr6_vgpr7_vgpr8_vgpr9_vgpr10_vgpr11_vgpr12_vgpr13_vgpr14_vgpr15_vgpr16
	v_cmpx_gt_u32_e64 s12, v0
	s_cbranch_execnz .LBB1447_27
; %bb.8:
	s_or_b32 exec_lo, exec_lo, s0
	s_delay_alu instid0(SALU_CYCLE_1)
	s_mov_b32 s0, exec_lo
	v_cmpx_gt_u32_e64 s12, v26
	s_cbranch_execnz .LBB1447_28
.LBB1447_9:
	s_or_b32 exec_lo, exec_lo, s0
	s_delay_alu instid0(SALU_CYCLE_1)
	s_mov_b32 s0, exec_lo
	v_cmpx_gt_u32_e64 s12, v25
	s_cbranch_execnz .LBB1447_29
.LBB1447_10:
	s_or_b32 exec_lo, exec_lo, s0
	s_delay_alu instid0(SALU_CYCLE_1)
	s_mov_b32 s0, exec_lo
	v_cmpx_gt_u32_e64 s12, v24
	s_cbranch_execnz .LBB1447_30
.LBB1447_11:
	s_or_b32 exec_lo, exec_lo, s0
	s_delay_alu instid0(SALU_CYCLE_1)
	s_mov_b32 s0, exec_lo
	v_cmpx_gt_u32_e64 s12, v23
	s_cbranch_execnz .LBB1447_31
.LBB1447_12:
	s_or_b32 exec_lo, exec_lo, s0
	s_delay_alu instid0(SALU_CYCLE_1)
	s_mov_b32 s0, exec_lo
	v_cmpx_gt_u32_e64 s12, v22
	s_cbranch_execnz .LBB1447_32
.LBB1447_13:
	s_or_b32 exec_lo, exec_lo, s0
	s_delay_alu instid0(SALU_CYCLE_1)
	s_mov_b32 s0, exec_lo
	v_cmpx_gt_u32_e64 s12, v21
	s_cbranch_execnz .LBB1447_33
.LBB1447_14:
	s_or_b32 exec_lo, exec_lo, s0
	s_delay_alu instid0(SALU_CYCLE_1)
	s_mov_b32 s0, exec_lo
	v_cmpx_gt_u32_e64 s12, v20
	s_cbranch_execz .LBB1447_16
.LBB1447_15:
	v_lshlrev_b32_e32 v15, 3, v20
	v_readfirstlane_b32 s4, v17
	v_readfirstlane_b32 s5, v18
	global_load_b64 v[15:16], v15, s[4:5]
.LBB1447_16:
	s_or_b32 exec_lo, exec_lo, s0
	v_lshrrev_b32_e32 v26, 2, v26
	v_lshrrev_b32_e32 v25, 2, v25
	;; [unrolled: 1-line block ×4, first 2 shown]
	v_and_b32_e32 v27, 0x78, v19
	v_lshrrev_b32_e32 v22, 2, v22
	v_lshrrev_b32_e32 v21, 2, v21
	;; [unrolled: 1-line block ×3, first 2 shown]
	v_and_b32_e32 v26, 0xf8, v26
	v_and_b32_e32 v25, 0x1f8, v25
	;; [unrolled: 1-line block ×4, first 2 shown]
	v_add_nc_u32_e32 v27, v27, v39
	v_and_b32_e32 v22, 0x3f8, v22
	v_and_b32_e32 v21, 0x3f8, v21
	;; [unrolled: 1-line block ×3, first 2 shown]
	v_add_nc_u32_e32 v26, v26, v39
	v_add_nc_u32_e32 v25, v25, v39
	;; [unrolled: 1-line block ×7, first 2 shown]
	s_waitcnt vmcnt(0)
	ds_store_b64 v27, v[1:2]
	ds_store_b64 v26, v[3:4] offset:4096
	ds_store_b64 v25, v[5:6] offset:8192
	;; [unrolled: 1-line block ×7, first 2 shown]
	s_waitcnt lgkmcnt(0)
	s_barrier
.LBB1447_17:
	v_add_lshl_u32 v1, v19, v39, 3
	buffer_gl0_inv
	s_cmp_lg_u32 s23, 0
	v_cmp_gt_i64_e64 s26, s[14:15], 0
	s_cselect_b32 s24, -1, 0
	ds_load_2addr_b64 v[13:16], v1 offset1:1
	ds_load_2addr_b64 v[9:12], v1 offset0:2 offset1:3
	ds_load_2addr_b64 v[5:8], v1 offset0:4 offset1:5
	;; [unrolled: 1-line block ×3, first 2 shown]
	s_cmp_lg_u64 s[6:7], 0
	s_mov_b32 s25, 0
	s_cselect_b32 s0, -1, 0
	s_waitcnt lgkmcnt(0)
	s_or_b32 s0, s0, s24
	s_barrier
	s_and_b32 vcc_lo, exec_lo, s0
	buffer_gl0_inv
	s_cbranch_vccz .LBB1447_26
; %bb.18:
	global_load_b64 v[17:18], v[17:18], off offset:-8
	v_cndmask_b32_e64 v27, 0, 1, s26
	s_and_b32 vcc_lo, exec_lo, s22
	ds_store_b64 v39, v[3:4]
	v_cmp_ne_u32_e64 s0, 1, v27
	s_cbranch_vccz .LBB1447_34
; %bb.19:
	v_mul_lo_u32 v21, v2, s14
	v_mul_lo_u32 v22, v1, s15
	v_mad_u64_u32 v[19:20], null, v1, s14, 0
	s_and_b32 vcc_lo, exec_lo, s0
	s_mov_b32 s27, 0
	s_delay_alu instid0(VALU_DEP_1) | instskip(NEXT) | instid1(VALU_DEP_1)
	v_add3_u32 v20, v20, v22, v21
	v_lshlrev_b64 v[19:20], 1, v[19:20]
	s_cbranch_vccnz .LBB1447_37
; %bb.20:
	v_mul_lo_u32 v23, v4, s14
	v_mul_lo_u32 v24, v3, s15
	v_mad_u64_u32 v[21:22], null, v3, s14, 0
	s_mov_b32 s27, -1
	s_mov_b32 s28, exec_lo
	s_delay_alu instid0(VALU_DEP_1) | instskip(SKIP_2) | instid1(VALU_DEP_3)
	v_add3_u32 v22, v22, v24, v23
	v_add_co_u32 v23, vcc_lo, s16, v19
	v_add_co_ci_u32_e32 v24, vcc_lo, s17, v20, vcc_lo
	v_lshlrev_b64 v[21:22], 1, v[21:22]
	s_delay_alu instid0(VALU_DEP_1) | instskip(NEXT) | instid1(VALU_DEP_2)
	v_add_co_u32 v21, vcc_lo, s16, v21
	v_add_co_ci_u32_e32 v22, vcc_lo, s17, v22, vcc_lo
	s_clause 0x1
	global_load_u16 v25, v[23:24], off
	global_load_u16 v26, v[21:22], off
	s_waitcnt vmcnt(0)
	v_cmpx_eq_u16_e64 v25, v26
	s_cbranch_execz .LBB1447_36
; %bb.21:
	v_add_co_u32 v21, vcc_lo, v21, 2
	v_add_co_ci_u32_e32 v22, vcc_lo, 0, v22, vcc_lo
	v_add_co_u32 v23, vcc_lo, v23, 2
	v_add_co_ci_u32_e32 v24, vcc_lo, 0, v24, vcc_lo
	s_add_u32 s4, s14, -1
	s_addc_u32 s5, s15, -1
	s_mov_b64 s[6:7], 0
	s_mov_b32 s27, 0
                                        ; implicit-def: $sgpr29
	s_set_inst_prefetch_distance 0x1
	s_branch .LBB1447_24
	.p2align	6
.LBB1447_22:                            ;   in Loop: Header=BB1447_24 Depth=1
	global_load_u16 v25, v[23:24], off
	global_load_u16 v26, v[21:22], off
	v_add_co_u32 v21, vcc_lo, v21, 2
	v_add_co_ci_u32_e32 v22, vcc_lo, 0, v22, vcc_lo
	v_add_co_u32 v23, s0, v23, 2
	s_delay_alu instid0(VALU_DEP_1)
	v_add_co_ci_u32_e64 v24, s0, 0, v24, s0
	s_add_u32 s6, s6, 1
	s_addc_u32 s7, s7, 0
	s_and_not1_b32 s0, s29, exec_lo
	s_waitcnt vmcnt(0)
	v_cmp_ne_u16_e32 vcc_lo, v25, v26
	s_and_b32 s29, vcc_lo, exec_lo
	s_delay_alu instid0(SALU_CYCLE_1)
	s_or_b32 s29, s0, s29
.LBB1447_23:                            ;   in Loop: Header=BB1447_24 Depth=1
	v_dual_mov_b32 v26, s7 :: v_dual_mov_b32 v25, s6
	s_and_b32 s0, exec_lo, s29
	s_delay_alu instid0(SALU_CYCLE_1) | instskip(NEXT) | instid1(SALU_CYCLE_1)
	s_or_b32 s27, s0, s27
	s_and_not1_b32 exec_lo, exec_lo, s27
	s_cbranch_execz .LBB1447_35
.LBB1447_24:                            ; =>This Inner Loop Header: Depth=1
	s_or_b32 s29, s29, exec_lo
	s_cmp_eq_u64 s[4:5], s[6:7]
	s_cbranch_scc0 .LBB1447_22
; %bb.25:                               ;   in Loop: Header=BB1447_24 Depth=1
	s_mov_b64 s[6:7], s[14:15]
                                        ; implicit-def: $vgpr21_vgpr22
                                        ; implicit-def: $vgpr23_vgpr24
	s_branch .LBB1447_23
.LBB1447_26:
                                        ; implicit-def: $sgpr0
                                        ; implicit-def: $vgpr20
	s_branch .LBB1447_195
.LBB1447_27:
	v_readfirstlane_b32 s4, v17
	v_readfirstlane_b32 s5, v18
	global_load_b64 v[1:2], v39, s[4:5]
	s_or_b32 exec_lo, exec_lo, s0
	s_delay_alu instid0(SALU_CYCLE_1)
	s_mov_b32 s0, exec_lo
	v_cmpx_gt_u32_e64 s12, v26
	s_cbranch_execz .LBB1447_9
.LBB1447_28:
	v_lshlrev_b32_e32 v3, 3, v26
	v_readfirstlane_b32 s4, v17
	v_readfirstlane_b32 s5, v18
	global_load_b64 v[3:4], v3, s[4:5]
	s_or_b32 exec_lo, exec_lo, s0
	s_delay_alu instid0(SALU_CYCLE_1)
	s_mov_b32 s0, exec_lo
	v_cmpx_gt_u32_e64 s12, v25
	s_cbranch_execz .LBB1447_10
.LBB1447_29:
	v_lshlrev_b32_e32 v5, 3, v25
	v_readfirstlane_b32 s4, v17
	v_readfirstlane_b32 s5, v18
	global_load_b64 v[5:6], v5, s[4:5]
	s_or_b32 exec_lo, exec_lo, s0
	s_delay_alu instid0(SALU_CYCLE_1)
	s_mov_b32 s0, exec_lo
	v_cmpx_gt_u32_e64 s12, v24
	s_cbranch_execz .LBB1447_11
.LBB1447_30:
	v_lshlrev_b32_e32 v7, 3, v24
	v_readfirstlane_b32 s4, v17
	v_readfirstlane_b32 s5, v18
	global_load_b64 v[7:8], v7, s[4:5]
	s_or_b32 exec_lo, exec_lo, s0
	s_delay_alu instid0(SALU_CYCLE_1)
	s_mov_b32 s0, exec_lo
	v_cmpx_gt_u32_e64 s12, v23
	s_cbranch_execz .LBB1447_12
.LBB1447_31:
	v_lshlrev_b32_e32 v9, 3, v23
	v_readfirstlane_b32 s4, v17
	v_readfirstlane_b32 s5, v18
	global_load_b64 v[9:10], v9, s[4:5]
	s_or_b32 exec_lo, exec_lo, s0
	s_delay_alu instid0(SALU_CYCLE_1)
	s_mov_b32 s0, exec_lo
	v_cmpx_gt_u32_e64 s12, v22
	s_cbranch_execz .LBB1447_13
.LBB1447_32:
	v_lshlrev_b32_e32 v11, 3, v22
	v_readfirstlane_b32 s4, v17
	v_readfirstlane_b32 s5, v18
	global_load_b64 v[11:12], v11, s[4:5]
	s_or_b32 exec_lo, exec_lo, s0
	s_delay_alu instid0(SALU_CYCLE_1)
	s_mov_b32 s0, exec_lo
	v_cmpx_gt_u32_e64 s12, v21
	s_cbranch_execz .LBB1447_14
.LBB1447_33:
	v_lshlrev_b32_e32 v13, 3, v21
	v_readfirstlane_b32 s4, v17
	v_readfirstlane_b32 s5, v18
	global_load_b64 v[13:14], v13, s[4:5]
	s_or_b32 exec_lo, exec_lo, s0
	s_delay_alu instid0(SALU_CYCLE_1)
	s_mov_b32 s0, exec_lo
	v_cmpx_gt_u32_e64 s12, v20
	s_cbranch_execnz .LBB1447_15
	s_branch .LBB1447_16
.LBB1447_34:
                                        ; implicit-def: $sgpr0
                                        ; implicit-def: $vgpr20
	s_cbranch_execnz .LBB1447_103
	s_branch .LBB1447_194
.LBB1447_35:
	s_set_inst_prefetch_distance 0x2
	s_or_b32 exec_lo, exec_lo, s27
	v_cmp_gt_i64_e32 vcc_lo, s[14:15], v[25:26]
	s_or_not1_b32 s27, vcc_lo, exec_lo
.LBB1447_36:
	s_or_b32 exec_lo, exec_lo, s28
.LBB1447_37:
	v_mul_lo_u32 v23, v8, s14
	v_mul_lo_u32 v24, v7, s15
	v_mad_u64_u32 v[21:22], null, v7, s14, 0
	s_and_not1_b32 vcc_lo, exec_lo, s26
	s_delay_alu instid0(VALU_DEP_1) | instskip(NEXT) | instid1(VALU_DEP_1)
	v_add3_u32 v22, v22, v24, v23
	v_lshlrev_b64 v[21:22], 1, v[21:22]
	s_cbranch_vccnz .LBB1447_46
; %bb.38:
	s_delay_alu instid0(VALU_DEP_1) | instskip(NEXT) | instid1(VALU_DEP_2)
	v_add_co_u32 v23, vcc_lo, s16, v21
	v_add_co_ci_u32_e32 v24, vcc_lo, s17, v22, vcc_lo
	v_add_co_u32 v19, vcc_lo, s16, v19
	v_add_co_ci_u32_e32 v20, vcc_lo, s17, v20, vcc_lo
	s_mov_b32 s25, -1
	s_clause 0x1
	global_load_u16 v25, v[23:24], off
	global_load_u16 v26, v[19:20], off
	s_mov_b32 s28, exec_lo
	s_waitcnt vmcnt(0)
	v_cmpx_eq_u16_e64 v25, v26
	s_cbranch_execz .LBB1447_45
; %bb.39:
	v_add_co_u32 v19, vcc_lo, v19, 2
	v_add_co_ci_u32_e32 v20, vcc_lo, 0, v20, vcc_lo
	v_add_co_u32 v23, vcc_lo, v23, 2
	v_add_co_ci_u32_e32 v24, vcc_lo, 0, v24, vcc_lo
	s_add_u32 s4, s14, -1
	s_addc_u32 s5, s15, -1
	s_mov_b64 s[6:7], 0
	s_mov_b32 s25, 0
                                        ; implicit-def: $sgpr29
	s_set_inst_prefetch_distance 0x1
	s_branch .LBB1447_42
	.p2align	6
.LBB1447_40:                            ;   in Loop: Header=BB1447_42 Depth=1
	global_load_u16 v25, v[23:24], off
	global_load_u16 v26, v[19:20], off
	v_add_co_u32 v19, vcc_lo, v19, 2
	v_add_co_ci_u32_e32 v20, vcc_lo, 0, v20, vcc_lo
	v_add_co_u32 v23, s0, v23, 2
	s_delay_alu instid0(VALU_DEP_1)
	v_add_co_ci_u32_e64 v24, s0, 0, v24, s0
	s_add_u32 s6, s6, 1
	s_addc_u32 s7, s7, 0
	s_and_not1_b32 s0, s29, exec_lo
	s_waitcnt vmcnt(0)
	v_cmp_ne_u16_e32 vcc_lo, v25, v26
	s_and_b32 s29, vcc_lo, exec_lo
	s_delay_alu instid0(SALU_CYCLE_1)
	s_or_b32 s29, s0, s29
.LBB1447_41:                            ;   in Loop: Header=BB1447_42 Depth=1
	v_dual_mov_b32 v26, s7 :: v_dual_mov_b32 v25, s6
	s_and_b32 s0, exec_lo, s29
	s_delay_alu instid0(SALU_CYCLE_1) | instskip(NEXT) | instid1(SALU_CYCLE_1)
	s_or_b32 s25, s0, s25
	s_and_not1_b32 exec_lo, exec_lo, s25
	s_cbranch_execz .LBB1447_44
.LBB1447_42:                            ; =>This Inner Loop Header: Depth=1
	s_or_b32 s29, s29, exec_lo
	s_cmp_eq_u64 s[4:5], s[6:7]
	s_cbranch_scc0 .LBB1447_40
; %bb.43:                               ;   in Loop: Header=BB1447_42 Depth=1
	s_mov_b64 s[6:7], s[14:15]
                                        ; implicit-def: $vgpr19_vgpr20
                                        ; implicit-def: $vgpr23_vgpr24
	s_branch .LBB1447_41
.LBB1447_44:
	s_set_inst_prefetch_distance 0x2
	s_or_b32 exec_lo, exec_lo, s25
	v_cmp_gt_i64_e32 vcc_lo, s[14:15], v[25:26]
	s_or_not1_b32 s25, vcc_lo, exec_lo
.LBB1447_45:
	s_or_b32 exec_lo, exec_lo, s28
.LBB1447_46:
	v_mul_lo_u32 v23, v6, s14
	v_mul_lo_u32 v24, v5, s15
	v_mad_u64_u32 v[19:20], null, v5, s14, 0
	s_mov_b32 s28, 0
	s_and_not1_b32 vcc_lo, exec_lo, s26
	s_mov_b32 s29, 0
	s_delay_alu instid0(VALU_DEP_1) | instskip(NEXT) | instid1(VALU_DEP_1)
	v_add3_u32 v20, v20, v24, v23
	v_lshlrev_b64 v[23:24], 1, v[19:20]
	s_cbranch_vccnz .LBB1447_55
; %bb.47:
	s_delay_alu instid0(VALU_DEP_1) | instskip(NEXT) | instid1(VALU_DEP_2)
	v_add_co_u32 v25, vcc_lo, s16, v23
	v_add_co_ci_u32_e32 v26, vcc_lo, s17, v24, vcc_lo
	v_add_co_u32 v19, vcc_lo, s16, v21
	v_add_co_ci_u32_e32 v20, vcc_lo, s17, v22, vcc_lo
	s_mov_b32 s29, -1
	s_clause 0x1
	global_load_u16 v21, v[25:26], off
	global_load_u16 v22, v[19:20], off
	s_mov_b32 s30, exec_lo
	s_waitcnt vmcnt(0)
	v_cmpx_eq_u16_e64 v21, v22
	s_cbranch_execz .LBB1447_54
; %bb.48:
	v_add_co_u32 v19, vcc_lo, v19, 2
	v_add_co_ci_u32_e32 v20, vcc_lo, 0, v20, vcc_lo
	v_add_co_u32 v21, vcc_lo, v25, 2
	v_add_co_ci_u32_e32 v22, vcc_lo, 0, v26, vcc_lo
	s_add_u32 s4, s14, -1
	s_addc_u32 s5, s15, -1
	s_mov_b64 s[6:7], 0
	s_mov_b32 s29, 0
                                        ; implicit-def: $sgpr31
	s_set_inst_prefetch_distance 0x1
	s_branch .LBB1447_51
	.p2align	6
.LBB1447_49:                            ;   in Loop: Header=BB1447_51 Depth=1
	global_load_u16 v25, v[21:22], off
	global_load_u16 v26, v[19:20], off
	v_add_co_u32 v19, vcc_lo, v19, 2
	v_add_co_ci_u32_e32 v20, vcc_lo, 0, v20, vcc_lo
	v_add_co_u32 v21, s0, v21, 2
	s_delay_alu instid0(VALU_DEP_1)
	v_add_co_ci_u32_e64 v22, s0, 0, v22, s0
	s_add_u32 s6, s6, 1
	s_addc_u32 s7, s7, 0
	s_and_not1_b32 s0, s31, exec_lo
	s_waitcnt vmcnt(0)
	v_cmp_ne_u16_e32 vcc_lo, v25, v26
	s_and_b32 s31, vcc_lo, exec_lo
	s_delay_alu instid0(SALU_CYCLE_1)
	s_or_b32 s31, s0, s31
.LBB1447_50:                            ;   in Loop: Header=BB1447_51 Depth=1
	v_dual_mov_b32 v26, s7 :: v_dual_mov_b32 v25, s6
	s_and_b32 s0, exec_lo, s31
	s_delay_alu instid0(SALU_CYCLE_1) | instskip(NEXT) | instid1(SALU_CYCLE_1)
	s_or_b32 s29, s0, s29
	s_and_not1_b32 exec_lo, exec_lo, s29
	s_cbranch_execz .LBB1447_53
.LBB1447_51:                            ; =>This Inner Loop Header: Depth=1
	s_or_b32 s31, s31, exec_lo
	s_cmp_eq_u64 s[4:5], s[6:7]
	s_cbranch_scc0 .LBB1447_49
; %bb.52:                               ;   in Loop: Header=BB1447_51 Depth=1
	s_mov_b64 s[6:7], s[14:15]
                                        ; implicit-def: $vgpr19_vgpr20
                                        ; implicit-def: $vgpr21_vgpr22
	s_branch .LBB1447_50
.LBB1447_53:
	s_set_inst_prefetch_distance 0x2
	s_or_b32 exec_lo, exec_lo, s29
	v_cmp_gt_i64_e32 vcc_lo, s[14:15], v[25:26]
	s_or_not1_b32 s29, vcc_lo, exec_lo
.LBB1447_54:
	s_or_b32 exec_lo, exec_lo, s30
.LBB1447_55:
	v_mul_lo_u32 v21, v12, s14
	v_mul_lo_u32 v22, v11, s15
	v_mad_u64_u32 v[19:20], null, v11, s14, 0
	s_and_not1_b32 vcc_lo, exec_lo, s26
	s_delay_alu instid0(VALU_DEP_1) | instskip(NEXT) | instid1(VALU_DEP_1)
	v_add3_u32 v20, v20, v22, v21
	v_lshlrev_b64 v[19:20], 1, v[19:20]
	s_cbranch_vccnz .LBB1447_64
; %bb.56:
	s_delay_alu instid0(VALU_DEP_1) | instskip(NEXT) | instid1(VALU_DEP_2)
	v_add_co_u32 v25, vcc_lo, s16, v19
	v_add_co_ci_u32_e32 v26, vcc_lo, s17, v20, vcc_lo
	v_add_co_u32 v21, vcc_lo, s16, v23
	v_add_co_ci_u32_e32 v22, vcc_lo, s17, v24, vcc_lo
	s_mov_b32 s28, -1
	s_clause 0x1
	global_load_u16 v23, v[25:26], off
	global_load_u16 v24, v[21:22], off
	s_mov_b32 s30, exec_lo
	s_waitcnt vmcnt(0)
	v_cmpx_eq_u16_e64 v23, v24
	s_cbranch_execz .LBB1447_63
; %bb.57:
	v_add_co_u32 v21, vcc_lo, v21, 2
	v_add_co_ci_u32_e32 v22, vcc_lo, 0, v22, vcc_lo
	v_add_co_u32 v23, vcc_lo, v25, 2
	v_add_co_ci_u32_e32 v24, vcc_lo, 0, v26, vcc_lo
	s_add_u32 s4, s14, -1
	s_addc_u32 s5, s15, -1
	s_mov_b64 s[6:7], 0
	s_mov_b32 s28, 0
                                        ; implicit-def: $sgpr31
	s_set_inst_prefetch_distance 0x1
	s_branch .LBB1447_60
	.p2align	6
.LBB1447_58:                            ;   in Loop: Header=BB1447_60 Depth=1
	global_load_u16 v25, v[23:24], off
	global_load_u16 v26, v[21:22], off
	v_add_co_u32 v21, vcc_lo, v21, 2
	v_add_co_ci_u32_e32 v22, vcc_lo, 0, v22, vcc_lo
	v_add_co_u32 v23, s0, v23, 2
	s_delay_alu instid0(VALU_DEP_1)
	v_add_co_ci_u32_e64 v24, s0, 0, v24, s0
	s_add_u32 s6, s6, 1
	s_addc_u32 s7, s7, 0
	s_and_not1_b32 s0, s31, exec_lo
	s_waitcnt vmcnt(0)
	v_cmp_ne_u16_e32 vcc_lo, v25, v26
	s_and_b32 s31, vcc_lo, exec_lo
	s_delay_alu instid0(SALU_CYCLE_1)
	s_or_b32 s31, s0, s31
.LBB1447_59:                            ;   in Loop: Header=BB1447_60 Depth=1
	v_dual_mov_b32 v26, s7 :: v_dual_mov_b32 v25, s6
	s_and_b32 s0, exec_lo, s31
	s_delay_alu instid0(SALU_CYCLE_1) | instskip(NEXT) | instid1(SALU_CYCLE_1)
	s_or_b32 s28, s0, s28
	s_and_not1_b32 exec_lo, exec_lo, s28
	s_cbranch_execz .LBB1447_62
.LBB1447_60:                            ; =>This Inner Loop Header: Depth=1
	s_or_b32 s31, s31, exec_lo
	s_cmp_eq_u64 s[4:5], s[6:7]
	s_cbranch_scc0 .LBB1447_58
; %bb.61:                               ;   in Loop: Header=BB1447_60 Depth=1
	s_mov_b64 s[6:7], s[14:15]
                                        ; implicit-def: $vgpr21_vgpr22
                                        ; implicit-def: $vgpr23_vgpr24
	s_branch .LBB1447_59
.LBB1447_62:
	s_set_inst_prefetch_distance 0x2
	s_or_b32 exec_lo, exec_lo, s28
	v_cmp_gt_i64_e32 vcc_lo, s[14:15], v[25:26]
	s_or_not1_b32 s28, vcc_lo, exec_lo
.LBB1447_63:
	s_or_b32 exec_lo, exec_lo, s30
.LBB1447_64:
	v_mul_lo_u32 v23, v10, s14
	v_mul_lo_u32 v24, v9, s15
	v_mad_u64_u32 v[21:22], null, v9, s14, 0
	s_mov_b32 s30, 0
	s_and_not1_b32 vcc_lo, exec_lo, s26
	s_mov_b32 s31, 0
	s_delay_alu instid0(VALU_DEP_1) | instskip(NEXT) | instid1(VALU_DEP_1)
	v_add3_u32 v22, v22, v24, v23
	v_lshlrev_b64 v[23:24], 1, v[21:22]
	s_cbranch_vccnz .LBB1447_73
; %bb.65:
	s_delay_alu instid0(VALU_DEP_1) | instskip(NEXT) | instid1(VALU_DEP_2)
	v_add_co_u32 v21, vcc_lo, s16, v23
	v_add_co_ci_u32_e32 v22, vcc_lo, s17, v24, vcc_lo
	v_add_co_u32 v19, vcc_lo, s16, v19
	v_add_co_ci_u32_e32 v20, vcc_lo, s17, v20, vcc_lo
	s_mov_b32 s31, -1
	s_clause 0x1
	global_load_u16 v25, v[21:22], off
	global_load_u16 v26, v[19:20], off
	s_mov_b32 s33, exec_lo
	s_waitcnt vmcnt(0)
	v_cmpx_eq_u16_e64 v25, v26
	s_cbranch_execz .LBB1447_72
; %bb.66:
	v_add_co_u32 v19, vcc_lo, v19, 2
	v_add_co_ci_u32_e32 v20, vcc_lo, 0, v20, vcc_lo
	v_add_co_u32 v21, vcc_lo, v21, 2
	v_add_co_ci_u32_e32 v22, vcc_lo, 0, v22, vcc_lo
	s_add_u32 s4, s14, -1
	s_addc_u32 s5, s15, -1
	s_mov_b64 s[6:7], 0
	s_mov_b32 s31, 0
                                        ; implicit-def: $sgpr34
	s_set_inst_prefetch_distance 0x1
	s_branch .LBB1447_69
	.p2align	6
.LBB1447_67:                            ;   in Loop: Header=BB1447_69 Depth=1
	global_load_u16 v25, v[21:22], off
	global_load_u16 v26, v[19:20], off
	v_add_co_u32 v19, vcc_lo, v19, 2
	v_add_co_ci_u32_e32 v20, vcc_lo, 0, v20, vcc_lo
	v_add_co_u32 v21, s0, v21, 2
	s_delay_alu instid0(VALU_DEP_1)
	v_add_co_ci_u32_e64 v22, s0, 0, v22, s0
	s_add_u32 s6, s6, 1
	s_addc_u32 s7, s7, 0
	s_and_not1_b32 s0, s34, exec_lo
	s_waitcnt vmcnt(0)
	v_cmp_ne_u16_e32 vcc_lo, v25, v26
	s_and_b32 s34, vcc_lo, exec_lo
	s_delay_alu instid0(SALU_CYCLE_1)
	s_or_b32 s34, s0, s34
.LBB1447_68:                            ;   in Loop: Header=BB1447_69 Depth=1
	v_dual_mov_b32 v26, s7 :: v_dual_mov_b32 v25, s6
	s_and_b32 s0, exec_lo, s34
	s_delay_alu instid0(SALU_CYCLE_1) | instskip(NEXT) | instid1(SALU_CYCLE_1)
	s_or_b32 s31, s0, s31
	s_and_not1_b32 exec_lo, exec_lo, s31
	s_cbranch_execz .LBB1447_71
.LBB1447_69:                            ; =>This Inner Loop Header: Depth=1
	s_or_b32 s34, s34, exec_lo
	s_cmp_eq_u64 s[4:5], s[6:7]
	s_cbranch_scc0 .LBB1447_67
; %bb.70:                               ;   in Loop: Header=BB1447_69 Depth=1
	s_mov_b64 s[6:7], s[14:15]
                                        ; implicit-def: $vgpr19_vgpr20
                                        ; implicit-def: $vgpr21_vgpr22
	s_branch .LBB1447_68
.LBB1447_71:
	s_set_inst_prefetch_distance 0x2
	s_or_b32 exec_lo, exec_lo, s31
	v_cmp_gt_i64_e32 vcc_lo, s[14:15], v[25:26]
	s_or_not1_b32 s31, vcc_lo, exec_lo
.LBB1447_72:
	s_or_b32 exec_lo, exec_lo, s33
.LBB1447_73:
	v_mul_lo_u32 v21, v16, s14
	v_mul_lo_u32 v22, v15, s15
	v_mad_u64_u32 v[19:20], null, v15, s14, 0
	s_and_not1_b32 vcc_lo, exec_lo, s26
	s_delay_alu instid0(VALU_DEP_1) | instskip(NEXT) | instid1(VALU_DEP_1)
	v_add3_u32 v20, v20, v22, v21
	v_lshlrev_b64 v[21:22], 1, v[19:20]
	s_cbranch_vccnz .LBB1447_82
; %bb.74:
	s_delay_alu instid0(VALU_DEP_1) | instskip(NEXT) | instid1(VALU_DEP_2)
	v_add_co_u32 v25, vcc_lo, s16, v21
	v_add_co_ci_u32_e32 v26, vcc_lo, s17, v22, vcc_lo
	v_add_co_u32 v19, vcc_lo, s16, v23
	v_add_co_ci_u32_e32 v20, vcc_lo, s17, v24, vcc_lo
	s_mov_b32 s30, -1
	s_clause 0x1
	global_load_u16 v23, v[25:26], off
	global_load_u16 v24, v[19:20], off
	s_mov_b32 s33, exec_lo
	s_waitcnt vmcnt(0)
	v_cmpx_eq_u16_e64 v23, v24
	s_cbranch_execz .LBB1447_81
; %bb.75:
	v_add_co_u32 v19, vcc_lo, v19, 2
	v_add_co_ci_u32_e32 v20, vcc_lo, 0, v20, vcc_lo
	v_add_co_u32 v23, vcc_lo, v25, 2
	v_add_co_ci_u32_e32 v24, vcc_lo, 0, v26, vcc_lo
	s_add_u32 s4, s14, -1
	s_addc_u32 s5, s15, -1
	s_mov_b64 s[6:7], 0
	s_mov_b32 s30, 0
                                        ; implicit-def: $sgpr34
	s_set_inst_prefetch_distance 0x1
	s_branch .LBB1447_78
	.p2align	6
.LBB1447_76:                            ;   in Loop: Header=BB1447_78 Depth=1
	global_load_u16 v25, v[23:24], off
	global_load_u16 v26, v[19:20], off
	v_add_co_u32 v19, vcc_lo, v19, 2
	v_add_co_ci_u32_e32 v20, vcc_lo, 0, v20, vcc_lo
	v_add_co_u32 v23, s0, v23, 2
	s_delay_alu instid0(VALU_DEP_1)
	v_add_co_ci_u32_e64 v24, s0, 0, v24, s0
	s_add_u32 s6, s6, 1
	s_addc_u32 s7, s7, 0
	s_and_not1_b32 s0, s34, exec_lo
	s_waitcnt vmcnt(0)
	v_cmp_ne_u16_e32 vcc_lo, v25, v26
	s_and_b32 s34, vcc_lo, exec_lo
	s_delay_alu instid0(SALU_CYCLE_1)
	s_or_b32 s34, s0, s34
.LBB1447_77:                            ;   in Loop: Header=BB1447_78 Depth=1
	v_dual_mov_b32 v26, s7 :: v_dual_mov_b32 v25, s6
	s_and_b32 s0, exec_lo, s34
	s_delay_alu instid0(SALU_CYCLE_1) | instskip(NEXT) | instid1(SALU_CYCLE_1)
	s_or_b32 s30, s0, s30
	s_and_not1_b32 exec_lo, exec_lo, s30
	s_cbranch_execz .LBB1447_80
.LBB1447_78:                            ; =>This Inner Loop Header: Depth=1
	s_or_b32 s34, s34, exec_lo
	s_cmp_eq_u64 s[4:5], s[6:7]
	s_cbranch_scc0 .LBB1447_76
; %bb.79:                               ;   in Loop: Header=BB1447_78 Depth=1
	s_mov_b64 s[6:7], s[14:15]
                                        ; implicit-def: $vgpr19_vgpr20
                                        ; implicit-def: $vgpr23_vgpr24
	s_branch .LBB1447_77
.LBB1447_80:
	s_set_inst_prefetch_distance 0x2
	s_or_b32 exec_lo, exec_lo, s30
	v_cmp_gt_i64_e32 vcc_lo, s[14:15], v[25:26]
	s_or_not1_b32 s30, vcc_lo, exec_lo
.LBB1447_81:
	s_or_b32 exec_lo, exec_lo, s33
.LBB1447_82:
	v_mul_lo_u32 v23, v14, s14
	v_mul_lo_u32 v24, v13, s15
	v_mad_u64_u32 v[19:20], null, v13, s14, 0
	s_and_not1_b32 vcc_lo, exec_lo, s26
	s_mov_b32 s0, 0
	s_delay_alu instid0(VALU_DEP_1) | instskip(NEXT) | instid1(VALU_DEP_1)
	v_add3_u32 v20, v20, v24, v23
	v_lshlrev_b64 v[19:20], 1, v[19:20]
	s_cbranch_vccnz .LBB1447_91
; %bb.83:
	s_delay_alu instid0(VALU_DEP_1) | instskip(NEXT) | instid1(VALU_DEP_2)
	v_add_co_u32 v23, vcc_lo, s16, v19
	v_add_co_ci_u32_e32 v24, vcc_lo, s17, v20, vcc_lo
	v_add_co_u32 v21, vcc_lo, s16, v21
	v_add_co_ci_u32_e32 v22, vcc_lo, s17, v22, vcc_lo
	s_mov_b32 s0, -1
	s_clause 0x1
	global_load_u16 v25, v[23:24], off
	global_load_u16 v26, v[21:22], off
	s_mov_b32 s33, exec_lo
	s_waitcnt vmcnt(0)
	v_cmpx_eq_u16_e64 v25, v26
	s_cbranch_execz .LBB1447_90
; %bb.84:
	v_add_co_u32 v21, vcc_lo, v21, 2
	v_add_co_ci_u32_e32 v22, vcc_lo, 0, v22, vcc_lo
	v_add_co_u32 v23, vcc_lo, v23, 2
	v_add_co_ci_u32_e32 v24, vcc_lo, 0, v24, vcc_lo
	s_add_u32 s4, s14, -1
	s_addc_u32 s5, s15, -1
	s_mov_b64 s[6:7], 0
	s_mov_b32 s34, 0
                                        ; implicit-def: $sgpr35
	s_set_inst_prefetch_distance 0x1
	s_branch .LBB1447_87
	.p2align	6
.LBB1447_85:                            ;   in Loop: Header=BB1447_87 Depth=1
	global_load_u16 v25, v[23:24], off
	global_load_u16 v26, v[21:22], off
	v_add_co_u32 v21, vcc_lo, v21, 2
	v_add_co_ci_u32_e32 v22, vcc_lo, 0, v22, vcc_lo
	v_add_co_u32 v23, s0, v23, 2
	s_delay_alu instid0(VALU_DEP_1)
	v_add_co_ci_u32_e64 v24, s0, 0, v24, s0
	s_add_u32 s6, s6, 1
	s_addc_u32 s7, s7, 0
	s_and_not1_b32 s0, s35, exec_lo
	s_waitcnt vmcnt(0)
	v_cmp_ne_u16_e32 vcc_lo, v25, v26
	s_and_b32 s35, vcc_lo, exec_lo
	s_delay_alu instid0(SALU_CYCLE_1)
	s_or_b32 s35, s0, s35
.LBB1447_86:                            ;   in Loop: Header=BB1447_87 Depth=1
	v_dual_mov_b32 v26, s7 :: v_dual_mov_b32 v25, s6
	s_and_b32 s0, exec_lo, s35
	s_delay_alu instid0(SALU_CYCLE_1) | instskip(NEXT) | instid1(SALU_CYCLE_1)
	s_or_b32 s34, s0, s34
	s_and_not1_b32 exec_lo, exec_lo, s34
	s_cbranch_execz .LBB1447_89
.LBB1447_87:                            ; =>This Inner Loop Header: Depth=1
	s_or_b32 s35, s35, exec_lo
	s_cmp_eq_u64 s[4:5], s[6:7]
	s_cbranch_scc0 .LBB1447_85
; %bb.88:                               ;   in Loop: Header=BB1447_87 Depth=1
	s_mov_b64 s[6:7], s[14:15]
                                        ; implicit-def: $vgpr21_vgpr22
                                        ; implicit-def: $vgpr23_vgpr24
	s_branch .LBB1447_86
.LBB1447_89:
	s_set_inst_prefetch_distance 0x2
	s_or_b32 exec_lo, exec_lo, s34
	v_cmp_gt_i64_e32 vcc_lo, s[14:15], v[25:26]
	s_or_not1_b32 s0, vcc_lo, exec_lo
.LBB1447_90:
	s_or_b32 exec_lo, exec_lo, s33
.LBB1447_91:
	s_waitcnt vmcnt(0)
	v_dual_mov_b32 v22, v18 :: v_dual_mov_b32 v21, v17
	s_waitcnt lgkmcnt(0)
	s_barrier
	buffer_gl0_inv
	s_and_saveexec_b32 s4, s3
	s_cbranch_execz .LBB1447_93
; %bb.92:
	v_add_nc_u32_e32 v21, -8, v39
	ds_load_b64 v[21:22], v21
.LBB1447_93:
	s_or_b32 exec_lo, exec_lo, s4
	v_cndmask_b32_e64 v24, 0, 1, s31
	v_cndmask_b32_e64 v26, 0, 1, s29
	;; [unrolled: 1-line block ×7, first 2 shown]
	v_lshlrev_b16 v24, 8, v24
	v_lshlrev_b16 v26, 8, v26
	;; [unrolled: 1-line block ×4, first 2 shown]
	s_mov_b32 s25, 0
	v_or_b32_e32 v23, v23, v24
	v_or_b32_e32 v24, v25, v26
	;; [unrolled: 1-line block ×3, first 2 shown]
	v_and_b32_e32 v25, 0xffff, v29
	s_and_not1_b32 vcc_lo, exec_lo, s26
	v_lshlrev_b32_e32 v26, 16, v23
	v_and_b32_e32 v28, 0xffff, v24
	v_lshlrev_b32_e32 v29, 16, v30
	s_mov_b32 s0, 0
	s_cbranch_vccnz .LBB1447_102
; %bb.94:
	s_waitcnt lgkmcnt(0)
	v_mul_lo_u32 v24, v22, s14
	v_mul_lo_u32 v30, v21, s15
	v_mad_u64_u32 v[22:23], null, v21, s14, 0
	s_mov_b32 s0, -1
	s_mov_b32 s27, exec_lo
	s_delay_alu instid0(VALU_DEP_1) | instskip(NEXT) | instid1(VALU_DEP_1)
	v_add3_u32 v23, v23, v30, v24
	v_lshlrev_b64 v[21:22], 1, v[22:23]
	s_delay_alu instid0(VALU_DEP_1) | instskip(NEXT) | instid1(VALU_DEP_2)
	v_add_co_u32 v21, vcc_lo, s16, v21
	v_add_co_ci_u32_e32 v22, vcc_lo, s17, v22, vcc_lo
	v_add_co_u32 v19, vcc_lo, s16, v19
	v_add_co_ci_u32_e32 v20, vcc_lo, s17, v20, vcc_lo
	s_clause 0x1
	global_load_u16 v23, v[21:22], off
	global_load_u16 v24, v[19:20], off
	s_waitcnt vmcnt(0)
	v_cmpx_eq_u16_e64 v23, v24
	s_cbranch_execz .LBB1447_101
; %bb.95:
	v_add_co_u32 v19, vcc_lo, v19, 2
	v_add_co_ci_u32_e32 v20, vcc_lo, 0, v20, vcc_lo
	v_add_co_u32 v21, vcc_lo, v21, 2
	v_add_co_ci_u32_e32 v22, vcc_lo, 0, v22, vcc_lo
	s_add_u32 s4, s14, -1
	s_addc_u32 s5, s15, -1
	s_mov_b64 s[6:7], 0
	s_mov_b32 s28, 0
                                        ; implicit-def: $sgpr29
	s_set_inst_prefetch_distance 0x1
	s_branch .LBB1447_98
	.p2align	6
.LBB1447_96:                            ;   in Loop: Header=BB1447_98 Depth=1
	global_load_u16 v23, v[21:22], off
	global_load_u16 v24, v[19:20], off
	v_add_co_u32 v19, vcc_lo, v19, 2
	v_add_co_ci_u32_e32 v20, vcc_lo, 0, v20, vcc_lo
	v_add_co_u32 v21, s0, v21, 2
	s_delay_alu instid0(VALU_DEP_1)
	v_add_co_ci_u32_e64 v22, s0, 0, v22, s0
	s_add_u32 s6, s6, 1
	s_addc_u32 s7, s7, 0
	s_and_not1_b32 s0, s29, exec_lo
	s_waitcnt vmcnt(0)
	v_cmp_ne_u16_e32 vcc_lo, v23, v24
	s_and_b32 s29, vcc_lo, exec_lo
	s_delay_alu instid0(SALU_CYCLE_1)
	s_or_b32 s29, s0, s29
.LBB1447_97:                            ;   in Loop: Header=BB1447_98 Depth=1
	v_dual_mov_b32 v24, s7 :: v_dual_mov_b32 v23, s6
	s_and_b32 s0, exec_lo, s29
	s_delay_alu instid0(SALU_CYCLE_1) | instskip(NEXT) | instid1(SALU_CYCLE_1)
	s_or_b32 s28, s0, s28
	s_and_not1_b32 exec_lo, exec_lo, s28
	s_cbranch_execz .LBB1447_100
.LBB1447_98:                            ; =>This Inner Loop Header: Depth=1
	s_or_b32 s29, s29, exec_lo
	s_cmp_eq_u64 s[4:5], s[6:7]
	s_cbranch_scc0 .LBB1447_96
; %bb.99:                               ;   in Loop: Header=BB1447_98 Depth=1
	s_mov_b64 s[6:7], s[14:15]
                                        ; implicit-def: $vgpr19_vgpr20
                                        ; implicit-def: $vgpr21_vgpr22
	s_branch .LBB1447_97
.LBB1447_100:
	s_set_inst_prefetch_distance 0x2
	s_or_b32 exec_lo, exec_lo, s28
	v_cmp_gt_i64_e32 vcc_lo, s[14:15], v[23:24]
	s_or_not1_b32 s0, vcc_lo, exec_lo
.LBB1447_101:
	s_or_b32 exec_lo, exec_lo, s27
.LBB1447_102:
	v_or_b32_e32 v19, v25, v26
	s_delay_alu instid0(VALU_DEP_2)
	v_or_b32_e32 v20, v28, v29
	s_and_b32 vcc_lo, exec_lo, s25
	s_cbranch_vccz .LBB1447_194
.LBB1447_103:
	v_or_b32_e32 v19, 7, v39
	s_mov_b32 s25, 0
	s_mov_b32 s27, 0
	s_mov_b32 s28, exec_lo
	s_delay_alu instid0(VALU_DEP_1)
	v_cmpx_gt_u32_e64 s12, v19
	s_cbranch_execz .LBB1447_114
; %bb.104:
	s_and_not1_b32 vcc_lo, exec_lo, s26
	s_mov_b32 s0, 0
	s_cbranch_vccnz .LBB1447_113
; %bb.105:
	v_mul_lo_u32 v23, v2, s14
	v_mul_lo_u32 v24, v1, s15
	v_mad_u64_u32 v[19:20], null, v1, s14, 0
	v_mul_lo_u32 v25, v4, s14
	v_mul_lo_u32 v26, v3, s15
	s_waitcnt lgkmcnt(0)
	v_mad_u64_u32 v[21:22], null, v3, s14, 0
	s_mov_b32 s0, -1
	s_mov_b32 s26, exec_lo
	s_delay_alu instid0(VALU_DEP_4) | instskip(NEXT) | instid1(VALU_DEP_2)
	v_add3_u32 v20, v20, v24, v23
	v_add3_u32 v22, v22, v26, v25
	s_delay_alu instid0(VALU_DEP_2) | instskip(NEXT) | instid1(VALU_DEP_2)
	v_lshlrev_b64 v[19:20], 1, v[19:20]
	v_lshlrev_b64 v[23:24], 1, v[21:22]
	s_delay_alu instid0(VALU_DEP_2) | instskip(NEXT) | instid1(VALU_DEP_3)
	v_add_co_u32 v21, vcc_lo, s16, v19
	v_add_co_ci_u32_e32 v22, vcc_lo, s17, v20, vcc_lo
	s_delay_alu instid0(VALU_DEP_3) | instskip(NEXT) | instid1(VALU_DEP_4)
	v_add_co_u32 v19, vcc_lo, s16, v23
	v_add_co_ci_u32_e32 v20, vcc_lo, s17, v24, vcc_lo
	s_clause 0x1
	global_load_u16 v23, v[21:22], off
	global_load_u16 v24, v[19:20], off
	s_waitcnt vmcnt(0)
	v_cmpx_eq_u16_e64 v23, v24
	s_cbranch_execz .LBB1447_112
; %bb.106:
	v_add_co_u32 v19, vcc_lo, v19, 2
	v_add_co_ci_u32_e32 v20, vcc_lo, 0, v20, vcc_lo
	v_add_co_u32 v21, vcc_lo, v21, 2
	v_add_co_ci_u32_e32 v22, vcc_lo, 0, v22, vcc_lo
	s_add_u32 s4, s14, -1
	s_addc_u32 s5, s15, -1
	s_mov_b64 s[6:7], 0
                                        ; implicit-def: $sgpr29
	s_set_inst_prefetch_distance 0x1
	s_branch .LBB1447_109
	.p2align	6
.LBB1447_107:                           ;   in Loop: Header=BB1447_109 Depth=1
	global_load_u16 v23, v[21:22], off
	global_load_u16 v24, v[19:20], off
	v_add_co_u32 v19, vcc_lo, v19, 2
	v_add_co_ci_u32_e32 v20, vcc_lo, 0, v20, vcc_lo
	v_add_co_u32 v21, s0, v21, 2
	s_delay_alu instid0(VALU_DEP_1)
	v_add_co_ci_u32_e64 v22, s0, 0, v22, s0
	s_add_u32 s6, s6, 1
	s_addc_u32 s7, s7, 0
	s_and_not1_b32 s0, s29, exec_lo
	s_waitcnt vmcnt(0)
	v_cmp_ne_u16_e32 vcc_lo, v23, v24
	s_and_b32 s29, vcc_lo, exec_lo
	s_delay_alu instid0(SALU_CYCLE_1)
	s_or_b32 s29, s0, s29
.LBB1447_108:                           ;   in Loop: Header=BB1447_109 Depth=1
	v_dual_mov_b32 v24, s7 :: v_dual_mov_b32 v23, s6
	s_and_b32 s0, exec_lo, s29
	s_delay_alu instid0(SALU_CYCLE_1) | instskip(NEXT) | instid1(SALU_CYCLE_1)
	s_or_b32 s27, s0, s27
	s_and_not1_b32 exec_lo, exec_lo, s27
	s_cbranch_execz .LBB1447_111
.LBB1447_109:                           ; =>This Inner Loop Header: Depth=1
	s_or_b32 s29, s29, exec_lo
	s_cmp_eq_u64 s[4:5], s[6:7]
	s_cbranch_scc0 .LBB1447_107
; %bb.110:                              ;   in Loop: Header=BB1447_109 Depth=1
	s_mov_b64 s[6:7], s[14:15]
                                        ; implicit-def: $vgpr19_vgpr20
                                        ; implicit-def: $vgpr21_vgpr22
	s_branch .LBB1447_108
.LBB1447_111:
	s_set_inst_prefetch_distance 0x2
	s_or_b32 exec_lo, exec_lo, s27
	v_cmp_gt_i64_e32 vcc_lo, s[14:15], v[23:24]
	s_or_not1_b32 s0, vcc_lo, exec_lo
.LBB1447_112:
	s_or_b32 exec_lo, exec_lo, s26
.LBB1447_113:
	s_delay_alu instid0(SALU_CYCLE_1)
	s_and_b32 s27, s0, exec_lo
.LBB1447_114:
	s_or_b32 exec_lo, exec_lo, s28
	v_or_b32_e32 v19, 6, v39
	s_mov_b32 s26, exec_lo
	s_delay_alu instid0(VALU_DEP_1)
	v_cmpx_gt_u32_e64 s12, v19
	s_cbranch_execz .LBB1447_125
; %bb.115:
	v_cmp_ne_u32_e32 vcc_lo, 1, v27
	s_mov_b32 s0, 0
	s_cbranch_vccnz .LBB1447_124
; %bb.116:
	v_mul_lo_u32 v23, v8, s14
	v_mul_lo_u32 v24, v7, s15
	v_mad_u64_u32 v[19:20], null, v7, s14, 0
	v_mul_lo_u32 v25, v2, s14
	v_mul_lo_u32 v26, v1, s15
	s_waitcnt lgkmcnt(0)
	v_mad_u64_u32 v[21:22], null, v1, s14, 0
	s_mov_b32 s0, -1
	s_mov_b32 s25, exec_lo
	s_delay_alu instid0(VALU_DEP_4) | instskip(NEXT) | instid1(VALU_DEP_2)
	v_add3_u32 v20, v20, v24, v23
	v_add3_u32 v22, v22, v26, v25
	s_delay_alu instid0(VALU_DEP_2) | instskip(NEXT) | instid1(VALU_DEP_2)
	v_lshlrev_b64 v[19:20], 1, v[19:20]
	v_lshlrev_b64 v[23:24], 1, v[21:22]
	s_delay_alu instid0(VALU_DEP_2) | instskip(NEXT) | instid1(VALU_DEP_3)
	v_add_co_u32 v21, vcc_lo, s16, v19
	v_add_co_ci_u32_e32 v22, vcc_lo, s17, v20, vcc_lo
	s_delay_alu instid0(VALU_DEP_3) | instskip(NEXT) | instid1(VALU_DEP_4)
	v_add_co_u32 v19, vcc_lo, s16, v23
	v_add_co_ci_u32_e32 v20, vcc_lo, s17, v24, vcc_lo
	s_clause 0x1
	global_load_u16 v23, v[21:22], off
	global_load_u16 v24, v[19:20], off
	s_waitcnt vmcnt(0)
	v_cmpx_eq_u16_e64 v23, v24
	s_cbranch_execz .LBB1447_123
; %bb.117:
	v_add_co_u32 v19, vcc_lo, v19, 2
	v_add_co_ci_u32_e32 v20, vcc_lo, 0, v20, vcc_lo
	v_add_co_u32 v21, vcc_lo, v21, 2
	v_add_co_ci_u32_e32 v22, vcc_lo, 0, v22, vcc_lo
	s_add_u32 s4, s14, -1
	s_addc_u32 s5, s15, -1
	s_mov_b64 s[6:7], 0
	s_mov_b32 s28, 0
                                        ; implicit-def: $sgpr29
	s_set_inst_prefetch_distance 0x1
	s_branch .LBB1447_120
	.p2align	6
.LBB1447_118:                           ;   in Loop: Header=BB1447_120 Depth=1
	global_load_u16 v23, v[21:22], off
	global_load_u16 v24, v[19:20], off
	v_add_co_u32 v19, vcc_lo, v19, 2
	v_add_co_ci_u32_e32 v20, vcc_lo, 0, v20, vcc_lo
	v_add_co_u32 v21, s0, v21, 2
	s_delay_alu instid0(VALU_DEP_1)
	v_add_co_ci_u32_e64 v22, s0, 0, v22, s0
	s_add_u32 s6, s6, 1
	s_addc_u32 s7, s7, 0
	s_and_not1_b32 s0, s29, exec_lo
	s_waitcnt vmcnt(0)
	v_cmp_ne_u16_e32 vcc_lo, v23, v24
	s_and_b32 s29, vcc_lo, exec_lo
	s_delay_alu instid0(SALU_CYCLE_1)
	s_or_b32 s29, s0, s29
.LBB1447_119:                           ;   in Loop: Header=BB1447_120 Depth=1
	v_dual_mov_b32 v24, s7 :: v_dual_mov_b32 v23, s6
	s_and_b32 s0, exec_lo, s29
	s_delay_alu instid0(SALU_CYCLE_1) | instskip(NEXT) | instid1(SALU_CYCLE_1)
	s_or_b32 s28, s0, s28
	s_and_not1_b32 exec_lo, exec_lo, s28
	s_cbranch_execz .LBB1447_122
.LBB1447_120:                           ; =>This Inner Loop Header: Depth=1
	s_or_b32 s29, s29, exec_lo
	s_cmp_eq_u64 s[4:5], s[6:7]
	s_cbranch_scc0 .LBB1447_118
; %bb.121:                              ;   in Loop: Header=BB1447_120 Depth=1
	s_mov_b64 s[6:7], s[14:15]
                                        ; implicit-def: $vgpr19_vgpr20
                                        ; implicit-def: $vgpr21_vgpr22
	s_branch .LBB1447_119
.LBB1447_122:
	s_set_inst_prefetch_distance 0x2
	s_or_b32 exec_lo, exec_lo, s28
	v_cmp_gt_i64_e32 vcc_lo, s[14:15], v[23:24]
	s_or_not1_b32 s0, vcc_lo, exec_lo
.LBB1447_123:
	s_or_b32 exec_lo, exec_lo, s25
.LBB1447_124:
	s_delay_alu instid0(SALU_CYCLE_1)
	s_and_b32 s25, s0, exec_lo
.LBB1447_125:
	s_or_b32 exec_lo, exec_lo, s26
	v_or_b32_e32 v19, 5, v39
	s_mov_b32 s28, 0
	s_mov_b32 s26, 0
	s_mov_b32 s29, exec_lo
	s_delay_alu instid0(VALU_DEP_1)
	v_cmpx_gt_u32_e64 s12, v19
	s_cbranch_execz .LBB1447_136
; %bb.126:
	v_cmp_ne_u32_e32 vcc_lo, 1, v27
	s_mov_b32 s0, 0
	s_cbranch_vccnz .LBB1447_135
; %bb.127:
	v_mul_lo_u32 v23, v6, s14
	v_mul_lo_u32 v24, v5, s15
	v_mad_u64_u32 v[19:20], null, v5, s14, 0
	v_mul_lo_u32 v25, v8, s14
	v_mul_lo_u32 v26, v7, s15
	s_waitcnt lgkmcnt(0)
	v_mad_u64_u32 v[21:22], null, v7, s14, 0
	s_mov_b32 s0, -1
	s_mov_b32 s26, exec_lo
	s_delay_alu instid0(VALU_DEP_4) | instskip(NEXT) | instid1(VALU_DEP_2)
	v_add3_u32 v20, v20, v24, v23
	v_add3_u32 v22, v22, v26, v25
	s_delay_alu instid0(VALU_DEP_2) | instskip(NEXT) | instid1(VALU_DEP_2)
	v_lshlrev_b64 v[19:20], 1, v[19:20]
	v_lshlrev_b64 v[23:24], 1, v[21:22]
	s_delay_alu instid0(VALU_DEP_2) | instskip(NEXT) | instid1(VALU_DEP_3)
	v_add_co_u32 v21, vcc_lo, s16, v19
	v_add_co_ci_u32_e32 v22, vcc_lo, s17, v20, vcc_lo
	s_delay_alu instid0(VALU_DEP_3) | instskip(NEXT) | instid1(VALU_DEP_4)
	v_add_co_u32 v19, vcc_lo, s16, v23
	v_add_co_ci_u32_e32 v20, vcc_lo, s17, v24, vcc_lo
	s_clause 0x1
	global_load_u16 v23, v[21:22], off
	global_load_u16 v24, v[19:20], off
	s_waitcnt vmcnt(0)
	v_cmpx_eq_u16_e64 v23, v24
	s_cbranch_execz .LBB1447_134
; %bb.128:
	v_add_co_u32 v19, vcc_lo, v19, 2
	v_add_co_ci_u32_e32 v20, vcc_lo, 0, v20, vcc_lo
	v_add_co_u32 v21, vcc_lo, v21, 2
	v_add_co_ci_u32_e32 v22, vcc_lo, 0, v22, vcc_lo
	s_add_u32 s4, s14, -1
	s_addc_u32 s5, s15, -1
	s_mov_b64 s[6:7], 0
	s_mov_b32 s30, 0
                                        ; implicit-def: $sgpr31
	s_set_inst_prefetch_distance 0x1
	s_branch .LBB1447_131
	.p2align	6
.LBB1447_129:                           ;   in Loop: Header=BB1447_131 Depth=1
	global_load_u16 v23, v[21:22], off
	global_load_u16 v24, v[19:20], off
	v_add_co_u32 v19, vcc_lo, v19, 2
	v_add_co_ci_u32_e32 v20, vcc_lo, 0, v20, vcc_lo
	v_add_co_u32 v21, s0, v21, 2
	s_delay_alu instid0(VALU_DEP_1)
	v_add_co_ci_u32_e64 v22, s0, 0, v22, s0
	s_add_u32 s6, s6, 1
	s_addc_u32 s7, s7, 0
	s_and_not1_b32 s0, s31, exec_lo
	s_waitcnt vmcnt(0)
	v_cmp_ne_u16_e32 vcc_lo, v23, v24
	s_and_b32 s31, vcc_lo, exec_lo
	s_delay_alu instid0(SALU_CYCLE_1)
	s_or_b32 s31, s0, s31
.LBB1447_130:                           ;   in Loop: Header=BB1447_131 Depth=1
	v_dual_mov_b32 v24, s7 :: v_dual_mov_b32 v23, s6
	s_and_b32 s0, exec_lo, s31
	s_delay_alu instid0(SALU_CYCLE_1) | instskip(NEXT) | instid1(SALU_CYCLE_1)
	s_or_b32 s30, s0, s30
	s_and_not1_b32 exec_lo, exec_lo, s30
	s_cbranch_execz .LBB1447_133
.LBB1447_131:                           ; =>This Inner Loop Header: Depth=1
	s_or_b32 s31, s31, exec_lo
	s_cmp_eq_u64 s[4:5], s[6:7]
	s_cbranch_scc0 .LBB1447_129
; %bb.132:                              ;   in Loop: Header=BB1447_131 Depth=1
	s_mov_b64 s[6:7], s[14:15]
                                        ; implicit-def: $vgpr19_vgpr20
                                        ; implicit-def: $vgpr21_vgpr22
	s_branch .LBB1447_130
.LBB1447_133:
	s_set_inst_prefetch_distance 0x2
	s_or_b32 exec_lo, exec_lo, s30
	v_cmp_gt_i64_e32 vcc_lo, s[14:15], v[23:24]
	s_or_not1_b32 s0, vcc_lo, exec_lo
.LBB1447_134:
	s_or_b32 exec_lo, exec_lo, s26
.LBB1447_135:
	s_delay_alu instid0(SALU_CYCLE_1)
	s_and_b32 s26, s0, exec_lo
.LBB1447_136:
	s_or_b32 exec_lo, exec_lo, s29
	v_or_b32_e32 v19, 4, v39
	s_mov_b32 s29, exec_lo
	s_delay_alu instid0(VALU_DEP_1)
	v_cmpx_gt_u32_e64 s12, v19
	s_cbranch_execz .LBB1447_147
; %bb.137:
	v_cmp_ne_u32_e32 vcc_lo, 1, v27
	s_mov_b32 s0, 0
	s_cbranch_vccnz .LBB1447_146
; %bb.138:
	v_mul_lo_u32 v23, v12, s14
	v_mul_lo_u32 v24, v11, s15
	v_mad_u64_u32 v[19:20], null, v11, s14, 0
	v_mul_lo_u32 v25, v6, s14
	v_mul_lo_u32 v26, v5, s15
	s_waitcnt lgkmcnt(0)
	v_mad_u64_u32 v[21:22], null, v5, s14, 0
	s_mov_b32 s0, -1
	s_mov_b32 s28, exec_lo
	s_delay_alu instid0(VALU_DEP_4) | instskip(NEXT) | instid1(VALU_DEP_2)
	v_add3_u32 v20, v20, v24, v23
	v_add3_u32 v22, v22, v26, v25
	s_delay_alu instid0(VALU_DEP_2) | instskip(NEXT) | instid1(VALU_DEP_2)
	v_lshlrev_b64 v[19:20], 1, v[19:20]
	v_lshlrev_b64 v[23:24], 1, v[21:22]
	s_delay_alu instid0(VALU_DEP_2) | instskip(NEXT) | instid1(VALU_DEP_3)
	v_add_co_u32 v21, vcc_lo, s16, v19
	v_add_co_ci_u32_e32 v22, vcc_lo, s17, v20, vcc_lo
	s_delay_alu instid0(VALU_DEP_3) | instskip(NEXT) | instid1(VALU_DEP_4)
	v_add_co_u32 v19, vcc_lo, s16, v23
	v_add_co_ci_u32_e32 v20, vcc_lo, s17, v24, vcc_lo
	s_clause 0x1
	global_load_u16 v23, v[21:22], off
	global_load_u16 v24, v[19:20], off
	s_waitcnt vmcnt(0)
	v_cmpx_eq_u16_e64 v23, v24
	s_cbranch_execz .LBB1447_145
; %bb.139:
	v_add_co_u32 v19, vcc_lo, v19, 2
	v_add_co_ci_u32_e32 v20, vcc_lo, 0, v20, vcc_lo
	v_add_co_u32 v21, vcc_lo, v21, 2
	v_add_co_ci_u32_e32 v22, vcc_lo, 0, v22, vcc_lo
	s_add_u32 s4, s14, -1
	s_addc_u32 s5, s15, -1
	s_mov_b64 s[6:7], 0
	s_mov_b32 s30, 0
                                        ; implicit-def: $sgpr31
	s_set_inst_prefetch_distance 0x1
	s_branch .LBB1447_142
	.p2align	6
.LBB1447_140:                           ;   in Loop: Header=BB1447_142 Depth=1
	global_load_u16 v23, v[21:22], off
	global_load_u16 v24, v[19:20], off
	v_add_co_u32 v19, vcc_lo, v19, 2
	v_add_co_ci_u32_e32 v20, vcc_lo, 0, v20, vcc_lo
	v_add_co_u32 v21, s0, v21, 2
	s_delay_alu instid0(VALU_DEP_1)
	v_add_co_ci_u32_e64 v22, s0, 0, v22, s0
	s_add_u32 s6, s6, 1
	s_addc_u32 s7, s7, 0
	s_and_not1_b32 s0, s31, exec_lo
	s_waitcnt vmcnt(0)
	v_cmp_ne_u16_e32 vcc_lo, v23, v24
	s_and_b32 s31, vcc_lo, exec_lo
	s_delay_alu instid0(SALU_CYCLE_1)
	s_or_b32 s31, s0, s31
.LBB1447_141:                           ;   in Loop: Header=BB1447_142 Depth=1
	v_dual_mov_b32 v24, s7 :: v_dual_mov_b32 v23, s6
	s_and_b32 s0, exec_lo, s31
	s_delay_alu instid0(SALU_CYCLE_1) | instskip(NEXT) | instid1(SALU_CYCLE_1)
	s_or_b32 s30, s0, s30
	s_and_not1_b32 exec_lo, exec_lo, s30
	s_cbranch_execz .LBB1447_144
.LBB1447_142:                           ; =>This Inner Loop Header: Depth=1
	s_or_b32 s31, s31, exec_lo
	s_cmp_eq_u64 s[4:5], s[6:7]
	s_cbranch_scc0 .LBB1447_140
; %bb.143:                              ;   in Loop: Header=BB1447_142 Depth=1
	s_mov_b64 s[6:7], s[14:15]
                                        ; implicit-def: $vgpr19_vgpr20
                                        ; implicit-def: $vgpr21_vgpr22
	s_branch .LBB1447_141
.LBB1447_144:
	s_set_inst_prefetch_distance 0x2
	s_or_b32 exec_lo, exec_lo, s30
	v_cmp_gt_i64_e32 vcc_lo, s[14:15], v[23:24]
	s_or_not1_b32 s0, vcc_lo, exec_lo
.LBB1447_145:
	s_or_b32 exec_lo, exec_lo, s28
.LBB1447_146:
	s_delay_alu instid0(SALU_CYCLE_1)
	s_and_b32 s28, s0, exec_lo
.LBB1447_147:
	s_or_b32 exec_lo, exec_lo, s29
	v_or_b32_e32 v19, 3, v39
	s_mov_b32 s30, 0
	s_mov_b32 s29, 0
	s_mov_b32 s31, exec_lo
	s_delay_alu instid0(VALU_DEP_1)
	v_cmpx_gt_u32_e64 s12, v19
	s_cbranch_execz .LBB1447_158
; %bb.148:
	v_cmp_ne_u32_e32 vcc_lo, 1, v27
	s_mov_b32 s0, 0
	s_cbranch_vccnz .LBB1447_157
; %bb.149:
	v_mul_lo_u32 v23, v10, s14
	v_mul_lo_u32 v24, v9, s15
	v_mad_u64_u32 v[19:20], null, v9, s14, 0
	v_mul_lo_u32 v25, v12, s14
	v_mul_lo_u32 v26, v11, s15
	s_waitcnt lgkmcnt(0)
	v_mad_u64_u32 v[21:22], null, v11, s14, 0
	s_mov_b32 s0, -1
	s_mov_b32 s29, exec_lo
	s_delay_alu instid0(VALU_DEP_4) | instskip(NEXT) | instid1(VALU_DEP_2)
	v_add3_u32 v20, v20, v24, v23
	v_add3_u32 v22, v22, v26, v25
	s_delay_alu instid0(VALU_DEP_2) | instskip(NEXT) | instid1(VALU_DEP_2)
	v_lshlrev_b64 v[19:20], 1, v[19:20]
	v_lshlrev_b64 v[23:24], 1, v[21:22]
	s_delay_alu instid0(VALU_DEP_2) | instskip(NEXT) | instid1(VALU_DEP_3)
	v_add_co_u32 v21, vcc_lo, s16, v19
	v_add_co_ci_u32_e32 v22, vcc_lo, s17, v20, vcc_lo
	s_delay_alu instid0(VALU_DEP_3) | instskip(NEXT) | instid1(VALU_DEP_4)
	v_add_co_u32 v19, vcc_lo, s16, v23
	v_add_co_ci_u32_e32 v20, vcc_lo, s17, v24, vcc_lo
	s_clause 0x1
	global_load_u16 v23, v[21:22], off
	global_load_u16 v24, v[19:20], off
	s_waitcnt vmcnt(0)
	v_cmpx_eq_u16_e64 v23, v24
	s_cbranch_execz .LBB1447_156
; %bb.150:
	v_add_co_u32 v19, vcc_lo, v19, 2
	v_add_co_ci_u32_e32 v20, vcc_lo, 0, v20, vcc_lo
	v_add_co_u32 v21, vcc_lo, v21, 2
	v_add_co_ci_u32_e32 v22, vcc_lo, 0, v22, vcc_lo
	s_add_u32 s4, s14, -1
	s_addc_u32 s5, s15, -1
	s_mov_b64 s[6:7], 0
	s_mov_b32 s33, 0
                                        ; implicit-def: $sgpr34
	s_set_inst_prefetch_distance 0x1
	s_branch .LBB1447_153
	.p2align	6
.LBB1447_151:                           ;   in Loop: Header=BB1447_153 Depth=1
	global_load_u16 v23, v[21:22], off
	global_load_u16 v24, v[19:20], off
	v_add_co_u32 v19, vcc_lo, v19, 2
	v_add_co_ci_u32_e32 v20, vcc_lo, 0, v20, vcc_lo
	v_add_co_u32 v21, s0, v21, 2
	s_delay_alu instid0(VALU_DEP_1)
	v_add_co_ci_u32_e64 v22, s0, 0, v22, s0
	s_add_u32 s6, s6, 1
	s_addc_u32 s7, s7, 0
	s_and_not1_b32 s0, s34, exec_lo
	s_waitcnt vmcnt(0)
	v_cmp_ne_u16_e32 vcc_lo, v23, v24
	s_and_b32 s34, vcc_lo, exec_lo
	s_delay_alu instid0(SALU_CYCLE_1)
	s_or_b32 s34, s0, s34
.LBB1447_152:                           ;   in Loop: Header=BB1447_153 Depth=1
	v_dual_mov_b32 v24, s7 :: v_dual_mov_b32 v23, s6
	s_and_b32 s0, exec_lo, s34
	s_delay_alu instid0(SALU_CYCLE_1) | instskip(NEXT) | instid1(SALU_CYCLE_1)
	s_or_b32 s33, s0, s33
	s_and_not1_b32 exec_lo, exec_lo, s33
	s_cbranch_execz .LBB1447_155
.LBB1447_153:                           ; =>This Inner Loop Header: Depth=1
	s_or_b32 s34, s34, exec_lo
	s_cmp_eq_u64 s[4:5], s[6:7]
	s_cbranch_scc0 .LBB1447_151
; %bb.154:                              ;   in Loop: Header=BB1447_153 Depth=1
	s_mov_b64 s[6:7], s[14:15]
                                        ; implicit-def: $vgpr19_vgpr20
                                        ; implicit-def: $vgpr21_vgpr22
	s_branch .LBB1447_152
.LBB1447_155:
	s_set_inst_prefetch_distance 0x2
	s_or_b32 exec_lo, exec_lo, s33
	v_cmp_gt_i64_e32 vcc_lo, s[14:15], v[23:24]
	s_or_not1_b32 s0, vcc_lo, exec_lo
.LBB1447_156:
	s_or_b32 exec_lo, exec_lo, s29
.LBB1447_157:
	s_delay_alu instid0(SALU_CYCLE_1)
	s_and_b32 s29, s0, exec_lo
.LBB1447_158:
	s_or_b32 exec_lo, exec_lo, s31
	v_or_b32_e32 v19, 2, v39
	s_mov_b32 s31, exec_lo
	s_delay_alu instid0(VALU_DEP_1)
	v_cmpx_gt_u32_e64 s12, v19
	s_cbranch_execz .LBB1447_169
; %bb.159:
	v_cmp_ne_u32_e32 vcc_lo, 1, v27
	s_mov_b32 s0, 0
	s_cbranch_vccnz .LBB1447_168
; %bb.160:
	v_mul_lo_u32 v23, v16, s14
	v_mul_lo_u32 v24, v15, s15
	v_mad_u64_u32 v[19:20], null, v15, s14, 0
	v_mul_lo_u32 v25, v10, s14
	v_mul_lo_u32 v26, v9, s15
	s_waitcnt lgkmcnt(0)
	v_mad_u64_u32 v[21:22], null, v9, s14, 0
	s_mov_b32 s0, -1
	s_mov_b32 s30, exec_lo
	s_delay_alu instid0(VALU_DEP_4) | instskip(NEXT) | instid1(VALU_DEP_2)
	v_add3_u32 v20, v20, v24, v23
	v_add3_u32 v22, v22, v26, v25
	s_delay_alu instid0(VALU_DEP_2) | instskip(NEXT) | instid1(VALU_DEP_2)
	v_lshlrev_b64 v[19:20], 1, v[19:20]
	v_lshlrev_b64 v[23:24], 1, v[21:22]
	s_delay_alu instid0(VALU_DEP_2) | instskip(NEXT) | instid1(VALU_DEP_3)
	v_add_co_u32 v21, vcc_lo, s16, v19
	v_add_co_ci_u32_e32 v22, vcc_lo, s17, v20, vcc_lo
	s_delay_alu instid0(VALU_DEP_3) | instskip(NEXT) | instid1(VALU_DEP_4)
	v_add_co_u32 v19, vcc_lo, s16, v23
	v_add_co_ci_u32_e32 v20, vcc_lo, s17, v24, vcc_lo
	s_clause 0x1
	global_load_u16 v23, v[21:22], off
	global_load_u16 v24, v[19:20], off
	s_waitcnt vmcnt(0)
	v_cmpx_eq_u16_e64 v23, v24
	s_cbranch_execz .LBB1447_167
; %bb.161:
	v_add_co_u32 v19, vcc_lo, v19, 2
	v_add_co_ci_u32_e32 v20, vcc_lo, 0, v20, vcc_lo
	v_add_co_u32 v21, vcc_lo, v21, 2
	v_add_co_ci_u32_e32 v22, vcc_lo, 0, v22, vcc_lo
	s_add_u32 s4, s14, -1
	s_addc_u32 s5, s15, -1
	s_mov_b64 s[6:7], 0
	s_mov_b32 s33, 0
                                        ; implicit-def: $sgpr34
	s_set_inst_prefetch_distance 0x1
	s_branch .LBB1447_164
	.p2align	6
.LBB1447_162:                           ;   in Loop: Header=BB1447_164 Depth=1
	global_load_u16 v23, v[21:22], off
	global_load_u16 v24, v[19:20], off
	v_add_co_u32 v19, vcc_lo, v19, 2
	v_add_co_ci_u32_e32 v20, vcc_lo, 0, v20, vcc_lo
	v_add_co_u32 v21, s0, v21, 2
	s_delay_alu instid0(VALU_DEP_1)
	v_add_co_ci_u32_e64 v22, s0, 0, v22, s0
	s_add_u32 s6, s6, 1
	s_addc_u32 s7, s7, 0
	s_and_not1_b32 s0, s34, exec_lo
	s_waitcnt vmcnt(0)
	v_cmp_ne_u16_e32 vcc_lo, v23, v24
	s_and_b32 s34, vcc_lo, exec_lo
	s_delay_alu instid0(SALU_CYCLE_1)
	s_or_b32 s34, s0, s34
.LBB1447_163:                           ;   in Loop: Header=BB1447_164 Depth=1
	v_dual_mov_b32 v24, s7 :: v_dual_mov_b32 v23, s6
	s_and_b32 s0, exec_lo, s34
	s_delay_alu instid0(SALU_CYCLE_1) | instskip(NEXT) | instid1(SALU_CYCLE_1)
	s_or_b32 s33, s0, s33
	s_and_not1_b32 exec_lo, exec_lo, s33
	s_cbranch_execz .LBB1447_166
.LBB1447_164:                           ; =>This Inner Loop Header: Depth=1
	s_or_b32 s34, s34, exec_lo
	s_cmp_eq_u64 s[4:5], s[6:7]
	s_cbranch_scc0 .LBB1447_162
; %bb.165:                              ;   in Loop: Header=BB1447_164 Depth=1
	s_mov_b64 s[6:7], s[14:15]
                                        ; implicit-def: $vgpr19_vgpr20
                                        ; implicit-def: $vgpr21_vgpr22
	s_branch .LBB1447_163
.LBB1447_166:
	s_set_inst_prefetch_distance 0x2
	s_or_b32 exec_lo, exec_lo, s33
	v_cmp_gt_i64_e32 vcc_lo, s[14:15], v[23:24]
	s_or_not1_b32 s0, vcc_lo, exec_lo
.LBB1447_167:
	s_or_b32 exec_lo, exec_lo, s30
.LBB1447_168:
	s_delay_alu instid0(SALU_CYCLE_1)
	s_and_b32 s30, s0, exec_lo
.LBB1447_169:
	s_or_b32 exec_lo, exec_lo, s31
	v_or_b32_e32 v19, 1, v39
	s_mov_b32 s0, 0
	s_mov_b32 s31, exec_lo
	s_delay_alu instid0(VALU_DEP_1)
	v_cmpx_gt_u32_e64 s12, v19
	s_cbranch_execz .LBB1447_180
; %bb.170:
	v_cmp_ne_u32_e32 vcc_lo, 1, v27
	s_cbranch_vccnz .LBB1447_179
; %bb.171:
	v_mul_lo_u32 v23, v14, s14
	v_mul_lo_u32 v24, v13, s15
	v_mad_u64_u32 v[19:20], null, v13, s14, 0
	v_mul_lo_u32 v25, v16, s14
	v_mul_lo_u32 v26, v15, s15
	s_waitcnt lgkmcnt(0)
	v_mad_u64_u32 v[21:22], null, v15, s14, 0
	s_mov_b32 s0, -1
	s_mov_b32 s33, exec_lo
	s_delay_alu instid0(VALU_DEP_4) | instskip(NEXT) | instid1(VALU_DEP_2)
	v_add3_u32 v20, v20, v24, v23
	v_add3_u32 v22, v22, v26, v25
	s_delay_alu instid0(VALU_DEP_2) | instskip(NEXT) | instid1(VALU_DEP_2)
	v_lshlrev_b64 v[19:20], 1, v[19:20]
	v_lshlrev_b64 v[23:24], 1, v[21:22]
	s_delay_alu instid0(VALU_DEP_2) | instskip(NEXT) | instid1(VALU_DEP_3)
	v_add_co_u32 v21, vcc_lo, s16, v19
	v_add_co_ci_u32_e32 v22, vcc_lo, s17, v20, vcc_lo
	s_delay_alu instid0(VALU_DEP_3) | instskip(NEXT) | instid1(VALU_DEP_4)
	v_add_co_u32 v19, vcc_lo, s16, v23
	v_add_co_ci_u32_e32 v20, vcc_lo, s17, v24, vcc_lo
	s_clause 0x1
	global_load_u16 v23, v[21:22], off
	global_load_u16 v24, v[19:20], off
	s_waitcnt vmcnt(0)
	v_cmpx_eq_u16_e64 v23, v24
	s_cbranch_execz .LBB1447_178
; %bb.172:
	v_add_co_u32 v19, vcc_lo, v19, 2
	v_add_co_ci_u32_e32 v20, vcc_lo, 0, v20, vcc_lo
	v_add_co_u32 v21, vcc_lo, v21, 2
	v_add_co_ci_u32_e32 v22, vcc_lo, 0, v22, vcc_lo
	s_add_u32 s4, s14, -1
	s_addc_u32 s5, s15, -1
	s_mov_b64 s[6:7], 0
	s_mov_b32 s34, 0
                                        ; implicit-def: $sgpr35
	s_set_inst_prefetch_distance 0x1
	s_branch .LBB1447_175
	.p2align	6
.LBB1447_173:                           ;   in Loop: Header=BB1447_175 Depth=1
	global_load_u16 v23, v[21:22], off
	global_load_u16 v24, v[19:20], off
	v_add_co_u32 v19, vcc_lo, v19, 2
	v_add_co_ci_u32_e32 v20, vcc_lo, 0, v20, vcc_lo
	v_add_co_u32 v21, s0, v21, 2
	s_delay_alu instid0(VALU_DEP_1)
	v_add_co_ci_u32_e64 v22, s0, 0, v22, s0
	s_add_u32 s6, s6, 1
	s_addc_u32 s7, s7, 0
	s_and_not1_b32 s0, s35, exec_lo
	s_waitcnt vmcnt(0)
	v_cmp_ne_u16_e32 vcc_lo, v23, v24
	s_and_b32 s35, vcc_lo, exec_lo
	s_delay_alu instid0(SALU_CYCLE_1)
	s_or_b32 s35, s0, s35
.LBB1447_174:                           ;   in Loop: Header=BB1447_175 Depth=1
	v_dual_mov_b32 v24, s7 :: v_dual_mov_b32 v23, s6
	s_and_b32 s0, exec_lo, s35
	s_delay_alu instid0(SALU_CYCLE_1) | instskip(NEXT) | instid1(SALU_CYCLE_1)
	s_or_b32 s34, s0, s34
	s_and_not1_b32 exec_lo, exec_lo, s34
	s_cbranch_execz .LBB1447_177
.LBB1447_175:                           ; =>This Inner Loop Header: Depth=1
	s_or_b32 s35, s35, exec_lo
	s_cmp_eq_u64 s[4:5], s[6:7]
	s_cbranch_scc0 .LBB1447_173
; %bb.176:                              ;   in Loop: Header=BB1447_175 Depth=1
	s_mov_b64 s[6:7], s[14:15]
                                        ; implicit-def: $vgpr19_vgpr20
                                        ; implicit-def: $vgpr21_vgpr22
	s_branch .LBB1447_174
.LBB1447_177:
	s_set_inst_prefetch_distance 0x2
	s_or_b32 exec_lo, exec_lo, s34
	v_cmp_gt_i64_e32 vcc_lo, s[14:15], v[23:24]
	s_or_not1_b32 s0, vcc_lo, exec_lo
.LBB1447_178:
	s_or_b32 exec_lo, exec_lo, s33
.LBB1447_179:
	s_delay_alu instid0(SALU_CYCLE_1)
	s_and_b32 s0, s0, exec_lo
.LBB1447_180:
	s_or_b32 exec_lo, exec_lo, s31
	s_waitcnt vmcnt(0) lgkmcnt(0)
	s_barrier
	buffer_gl0_inv
	s_and_saveexec_b32 s4, s3
	s_cbranch_execz .LBB1447_182
; %bb.181:
	v_add_nc_u32_e32 v17, -8, v39
	ds_load_b64 v[17:18], v17
.LBB1447_182:
	s_or_b32 exec_lo, exec_lo, s4
	v_cndmask_b32_e64 v20, 0, 1, s29
	v_cndmask_b32_e64 v22, 0, 1, s26
	;; [unrolled: 1-line block ×7, first 2 shown]
	v_lshlrev_b16 v20, 8, v20
	v_lshlrev_b16 v22, 8, v22
	;; [unrolled: 1-line block ×3, first 2 shown]
	s_mov_b32 s0, 0
	v_lshlrev_b16 v25, 8, v25
	v_or_b32_e32 v19, v19, v20
	v_or_b32_e32 v20, v21, v22
	;; [unrolled: 1-line block ×3, first 2 shown]
	s_mov_b32 s25, exec_lo
	v_and_b32_e32 v23, 0xffff, v25
	v_lshlrev_b32_e32 v24, 16, v19
	v_and_b32_e32 v25, 0xffff, v20
	v_lshlrev_b32_e32 v26, 16, v21
	v_cmpx_gt_u32_e64 s12, v39
	s_cbranch_execz .LBB1447_193
; %bb.183:
	v_cmp_ne_u32_e32 vcc_lo, 1, v27
	s_cbranch_vccnz .LBB1447_192
; %bb.184:
	s_waitcnt lgkmcnt(0)
	v_mul_lo_u32 v22, v18, s14
	v_mul_lo_u32 v27, v17, s15
	v_mad_u64_u32 v[18:19], null, v17, s14, 0
	v_mul_lo_u32 v17, v14, s14
	v_mul_lo_u32 v28, v13, s15
	v_mad_u64_u32 v[20:21], null, v13, s14, 0
	s_mov_b32 s0, -1
	s_mov_b32 s26, exec_lo
	s_delay_alu instid0(VALU_DEP_4) | instskip(NEXT) | instid1(VALU_DEP_2)
	v_add3_u32 v19, v19, v27, v22
	v_add3_u32 v21, v21, v28, v17
	s_delay_alu instid0(VALU_DEP_2) | instskip(NEXT) | instid1(VALU_DEP_2)
	v_lshlrev_b64 v[17:18], 1, v[18:19]
	v_lshlrev_b64 v[21:22], 1, v[20:21]
	s_delay_alu instid0(VALU_DEP_2) | instskip(NEXT) | instid1(VALU_DEP_3)
	v_add_co_u32 v19, vcc_lo, s16, v17
	v_add_co_ci_u32_e32 v20, vcc_lo, s17, v18, vcc_lo
	s_delay_alu instid0(VALU_DEP_3) | instskip(NEXT) | instid1(VALU_DEP_4)
	v_add_co_u32 v17, vcc_lo, s16, v21
	v_add_co_ci_u32_e32 v18, vcc_lo, s17, v22, vcc_lo
	s_clause 0x1
	global_load_u16 v21, v[19:20], off
	global_load_u16 v22, v[17:18], off
	s_waitcnt vmcnt(0)
	v_cmpx_eq_u16_e64 v21, v22
	s_cbranch_execz .LBB1447_191
; %bb.185:
	v_add_co_u32 v17, vcc_lo, v17, 2
	v_add_co_ci_u32_e32 v18, vcc_lo, 0, v18, vcc_lo
	v_add_co_u32 v19, vcc_lo, v19, 2
	v_add_co_ci_u32_e32 v20, vcc_lo, 0, v20, vcc_lo
	s_add_u32 s4, s14, -1
	s_addc_u32 s5, s15, -1
	s_mov_b64 s[6:7], 0
	s_mov_b32 s27, 0
                                        ; implicit-def: $sgpr28
	s_set_inst_prefetch_distance 0x1
	s_branch .LBB1447_188
	.p2align	6
.LBB1447_186:                           ;   in Loop: Header=BB1447_188 Depth=1
	global_load_u16 v21, v[19:20], off
	global_load_u16 v22, v[17:18], off
	v_add_co_u32 v17, vcc_lo, v17, 2
	v_add_co_ci_u32_e32 v18, vcc_lo, 0, v18, vcc_lo
	v_add_co_u32 v19, s0, v19, 2
	s_delay_alu instid0(VALU_DEP_1)
	v_add_co_ci_u32_e64 v20, s0, 0, v20, s0
	s_add_u32 s6, s6, 1
	s_addc_u32 s7, s7, 0
	s_and_not1_b32 s0, s28, exec_lo
	s_waitcnt vmcnt(0)
	v_cmp_ne_u16_e32 vcc_lo, v21, v22
	s_and_b32 s28, vcc_lo, exec_lo
	s_delay_alu instid0(SALU_CYCLE_1)
	s_or_b32 s28, s0, s28
.LBB1447_187:                           ;   in Loop: Header=BB1447_188 Depth=1
	v_dual_mov_b32 v22, s7 :: v_dual_mov_b32 v21, s6
	s_and_b32 s0, exec_lo, s28
	s_delay_alu instid0(SALU_CYCLE_1) | instskip(NEXT) | instid1(SALU_CYCLE_1)
	s_or_b32 s27, s0, s27
	s_and_not1_b32 exec_lo, exec_lo, s27
	s_cbranch_execz .LBB1447_190
.LBB1447_188:                           ; =>This Inner Loop Header: Depth=1
	s_or_b32 s28, s28, exec_lo
	s_cmp_eq_u64 s[4:5], s[6:7]
	s_cbranch_scc0 .LBB1447_186
; %bb.189:                              ;   in Loop: Header=BB1447_188 Depth=1
	s_mov_b64 s[6:7], s[14:15]
                                        ; implicit-def: $vgpr17_vgpr18
                                        ; implicit-def: $vgpr19_vgpr20
	s_branch .LBB1447_187
.LBB1447_190:
	s_set_inst_prefetch_distance 0x2
	s_or_b32 exec_lo, exec_lo, s27
	v_cmp_gt_i64_e32 vcc_lo, s[14:15], v[21:22]
	s_or_not1_b32 s0, vcc_lo, exec_lo
.LBB1447_191:
	s_or_b32 exec_lo, exec_lo, s26
.LBB1447_192:
	s_delay_alu instid0(SALU_CYCLE_1)
	s_and_b32 s0, s0, exec_lo
.LBB1447_193:
	s_or_b32 exec_lo, exec_lo, s25
	v_or_b32_e32 v19, v23, v24
	v_or_b32_e32 v20, v25, v26
.LBB1447_194:
	s_mov_b32 s25, -1
	s_cbranch_execnz .LBB1447_363
.LBB1447_195:
	v_cmp_gt_i64_e64 s26, s[14:15], 0
	s_and_b32 vcc_lo, exec_lo, s22
	ds_store_b64 v39, v[3:4]
	s_cbranch_vccz .LBB1447_203
; %bb.196:
	v_mul_lo_u32 v19, v2, s14
	v_mul_lo_u32 v20, v1, s15
	s_waitcnt vmcnt(0) lgkmcnt(1)
	v_mad_u64_u32 v[17:18], null, v1, s14, 0
	s_mov_b32 s27, 0
	s_and_not1_b32 vcc_lo, exec_lo, s26
	s_mov_b32 s28, 0
	s_delay_alu instid0(VALU_DEP_1) | instskip(NEXT) | instid1(VALU_DEP_1)
	v_add3_u32 v18, v18, v20, v19
	v_lshlrev_b64 v[17:18], 1, v[17:18]
	s_cbranch_vccnz .LBB1447_206
; %bb.197:
	v_mul_lo_u32 v21, v4, s14
	v_mul_lo_u32 v22, v3, s15
	v_mad_u64_u32 v[19:20], null, v3, s14, 0
	s_mov_b32 s28, -1
	s_mov_b32 s29, exec_lo
	s_delay_alu instid0(VALU_DEP_1) | instskip(SKIP_2) | instid1(VALU_DEP_3)
	v_add3_u32 v20, v20, v22, v21
	v_add_co_u32 v21, vcc_lo, s16, v17
	v_add_co_ci_u32_e32 v22, vcc_lo, s17, v18, vcc_lo
	v_lshlrev_b64 v[19:20], 1, v[19:20]
	s_delay_alu instid0(VALU_DEP_1) | instskip(NEXT) | instid1(VALU_DEP_2)
	v_add_co_u32 v19, vcc_lo, s16, v19
	v_add_co_ci_u32_e32 v20, vcc_lo, s17, v20, vcc_lo
	s_clause 0x1
	global_load_u16 v23, v[21:22], off
	global_load_u16 v24, v[19:20], off
	s_waitcnt vmcnt(0)
	v_cmpx_eq_u16_e64 v23, v24
	s_cbranch_execz .LBB1447_205
; %bb.198:
	v_add_co_u32 v19, vcc_lo, v19, 2
	v_add_co_ci_u32_e32 v20, vcc_lo, 0, v20, vcc_lo
	v_add_co_u32 v21, vcc_lo, v21, 2
	v_add_co_ci_u32_e32 v22, vcc_lo, 0, v22, vcc_lo
	s_add_u32 s4, s14, -1
	s_addc_u32 s5, s15, -1
	s_mov_b64 s[6:7], 0
	s_mov_b32 s28, 0
                                        ; implicit-def: $sgpr30
	s_set_inst_prefetch_distance 0x1
	s_branch .LBB1447_201
	.p2align	6
.LBB1447_199:                           ;   in Loop: Header=BB1447_201 Depth=1
	global_load_u16 v23, v[21:22], off
	global_load_u16 v24, v[19:20], off
	v_add_co_u32 v19, vcc_lo, v19, 2
	v_add_co_ci_u32_e32 v20, vcc_lo, 0, v20, vcc_lo
	v_add_co_u32 v21, s0, v21, 2
	s_delay_alu instid0(VALU_DEP_1)
	v_add_co_ci_u32_e64 v22, s0, 0, v22, s0
	s_add_u32 s6, s6, 1
	s_addc_u32 s7, s7, 0
	s_and_not1_b32 s0, s30, exec_lo
	s_waitcnt vmcnt(0)
	v_cmp_ne_u16_e32 vcc_lo, v23, v24
	s_and_b32 s30, vcc_lo, exec_lo
	s_delay_alu instid0(SALU_CYCLE_1)
	s_or_b32 s30, s0, s30
.LBB1447_200:                           ;   in Loop: Header=BB1447_201 Depth=1
	v_dual_mov_b32 v24, s7 :: v_dual_mov_b32 v23, s6
	s_and_b32 s0, exec_lo, s30
	s_delay_alu instid0(SALU_CYCLE_1) | instskip(NEXT) | instid1(SALU_CYCLE_1)
	s_or_b32 s28, s0, s28
	s_and_not1_b32 exec_lo, exec_lo, s28
	s_cbranch_execz .LBB1447_204
.LBB1447_201:                           ; =>This Inner Loop Header: Depth=1
	s_or_b32 s30, s30, exec_lo
	s_cmp_eq_u64 s[4:5], s[6:7]
	s_cbranch_scc0 .LBB1447_199
; %bb.202:                              ;   in Loop: Header=BB1447_201 Depth=1
	s_mov_b64 s[6:7], s[14:15]
                                        ; implicit-def: $vgpr19_vgpr20
                                        ; implicit-def: $vgpr21_vgpr22
	s_branch .LBB1447_200
.LBB1447_203:
                                        ; implicit-def: $sgpr0
                                        ; implicit-def: $vgpr20
	s_cbranch_execnz .LBB1447_272
	s_branch .LBB1447_363
.LBB1447_204:
	s_set_inst_prefetch_distance 0x2
	s_or_b32 exec_lo, exec_lo, s28
	v_cmp_gt_i64_e32 vcc_lo, s[14:15], v[23:24]
	s_or_not1_b32 s28, vcc_lo, exec_lo
.LBB1447_205:
	s_or_b32 exec_lo, exec_lo, s29
.LBB1447_206:
	v_mul_lo_u32 v21, v8, s14
	v_mul_lo_u32 v22, v7, s15
	v_mad_u64_u32 v[19:20], null, v7, s14, 0
	s_and_not1_b32 vcc_lo, exec_lo, s26
	s_delay_alu instid0(VALU_DEP_1) | instskip(NEXT) | instid1(VALU_DEP_1)
	v_add3_u32 v20, v20, v22, v21
	v_lshlrev_b64 v[19:20], 1, v[19:20]
	s_cbranch_vccnz .LBB1447_215
; %bb.207:
	s_delay_alu instid0(VALU_DEP_1) | instskip(NEXT) | instid1(VALU_DEP_2)
	v_add_co_u32 v21, vcc_lo, s16, v19
	v_add_co_ci_u32_e32 v22, vcc_lo, s17, v20, vcc_lo
	v_add_co_u32 v17, vcc_lo, s16, v17
	v_add_co_ci_u32_e32 v18, vcc_lo, s17, v18, vcc_lo
	s_mov_b32 s27, -1
	s_clause 0x1
	global_load_u16 v23, v[21:22], off
	global_load_u16 v24, v[17:18], off
	s_mov_b32 s29, exec_lo
	s_waitcnt vmcnt(0)
	v_cmpx_eq_u16_e64 v23, v24
	s_cbranch_execz .LBB1447_214
; %bb.208:
	v_add_co_u32 v17, vcc_lo, v17, 2
	v_add_co_ci_u32_e32 v18, vcc_lo, 0, v18, vcc_lo
	v_add_co_u32 v21, vcc_lo, v21, 2
	v_add_co_ci_u32_e32 v22, vcc_lo, 0, v22, vcc_lo
	s_add_u32 s4, s14, -1
	s_addc_u32 s5, s15, -1
	s_mov_b64 s[6:7], 0
	s_mov_b32 s27, 0
                                        ; implicit-def: $sgpr30
	s_set_inst_prefetch_distance 0x1
	s_branch .LBB1447_211
	.p2align	6
.LBB1447_209:                           ;   in Loop: Header=BB1447_211 Depth=1
	global_load_u16 v23, v[21:22], off
	global_load_u16 v24, v[17:18], off
	v_add_co_u32 v17, vcc_lo, v17, 2
	v_add_co_ci_u32_e32 v18, vcc_lo, 0, v18, vcc_lo
	v_add_co_u32 v21, s0, v21, 2
	s_delay_alu instid0(VALU_DEP_1)
	v_add_co_ci_u32_e64 v22, s0, 0, v22, s0
	s_add_u32 s6, s6, 1
	s_addc_u32 s7, s7, 0
	s_and_not1_b32 s0, s30, exec_lo
	s_waitcnt vmcnt(0)
	v_cmp_ne_u16_e32 vcc_lo, v23, v24
	s_and_b32 s30, vcc_lo, exec_lo
	s_delay_alu instid0(SALU_CYCLE_1)
	s_or_b32 s30, s0, s30
.LBB1447_210:                           ;   in Loop: Header=BB1447_211 Depth=1
	v_dual_mov_b32 v24, s7 :: v_dual_mov_b32 v23, s6
	s_and_b32 s0, exec_lo, s30
	s_delay_alu instid0(SALU_CYCLE_1) | instskip(NEXT) | instid1(SALU_CYCLE_1)
	s_or_b32 s27, s0, s27
	s_and_not1_b32 exec_lo, exec_lo, s27
	s_cbranch_execz .LBB1447_213
.LBB1447_211:                           ; =>This Inner Loop Header: Depth=1
	s_or_b32 s30, s30, exec_lo
	s_cmp_eq_u64 s[4:5], s[6:7]
	s_cbranch_scc0 .LBB1447_209
; %bb.212:                              ;   in Loop: Header=BB1447_211 Depth=1
	s_mov_b64 s[6:7], s[14:15]
                                        ; implicit-def: $vgpr17_vgpr18
                                        ; implicit-def: $vgpr21_vgpr22
	s_branch .LBB1447_210
.LBB1447_213:
	s_set_inst_prefetch_distance 0x2
	s_or_b32 exec_lo, exec_lo, s27
	v_cmp_gt_i64_e32 vcc_lo, s[14:15], v[23:24]
	s_or_not1_b32 s27, vcc_lo, exec_lo
.LBB1447_214:
	s_or_b32 exec_lo, exec_lo, s29
.LBB1447_215:
	v_mul_lo_u32 v21, v6, s14
	v_mul_lo_u32 v22, v5, s15
	v_mad_u64_u32 v[17:18], null, v5, s14, 0
	s_mov_b32 s29, 0
	s_and_not1_b32 vcc_lo, exec_lo, s26
	s_mov_b32 s30, 0
	s_delay_alu instid0(VALU_DEP_1) | instskip(NEXT) | instid1(VALU_DEP_1)
	v_add3_u32 v18, v18, v22, v21
	v_lshlrev_b64 v[21:22], 1, v[17:18]
	s_cbranch_vccnz .LBB1447_224
; %bb.216:
	s_delay_alu instid0(VALU_DEP_1) | instskip(NEXT) | instid1(VALU_DEP_2)
	v_add_co_u32 v23, vcc_lo, s16, v21
	v_add_co_ci_u32_e32 v24, vcc_lo, s17, v22, vcc_lo
	v_add_co_u32 v17, vcc_lo, s16, v19
	v_add_co_ci_u32_e32 v18, vcc_lo, s17, v20, vcc_lo
	s_mov_b32 s30, -1
	s_clause 0x1
	global_load_u16 v19, v[23:24], off
	global_load_u16 v20, v[17:18], off
	s_mov_b32 s31, exec_lo
	s_waitcnt vmcnt(0)
	v_cmpx_eq_u16_e64 v19, v20
	s_cbranch_execz .LBB1447_223
; %bb.217:
	v_add_co_u32 v17, vcc_lo, v17, 2
	v_add_co_ci_u32_e32 v18, vcc_lo, 0, v18, vcc_lo
	v_add_co_u32 v19, vcc_lo, v23, 2
	v_add_co_ci_u32_e32 v20, vcc_lo, 0, v24, vcc_lo
	s_add_u32 s4, s14, -1
	s_addc_u32 s5, s15, -1
	s_mov_b64 s[6:7], 0
	s_mov_b32 s30, 0
                                        ; implicit-def: $sgpr33
	s_set_inst_prefetch_distance 0x1
	s_branch .LBB1447_220
	.p2align	6
.LBB1447_218:                           ;   in Loop: Header=BB1447_220 Depth=1
	global_load_u16 v23, v[19:20], off
	global_load_u16 v24, v[17:18], off
	v_add_co_u32 v17, vcc_lo, v17, 2
	v_add_co_ci_u32_e32 v18, vcc_lo, 0, v18, vcc_lo
	v_add_co_u32 v19, s0, v19, 2
	s_delay_alu instid0(VALU_DEP_1)
	v_add_co_ci_u32_e64 v20, s0, 0, v20, s0
	s_add_u32 s6, s6, 1
	s_addc_u32 s7, s7, 0
	s_and_not1_b32 s0, s33, exec_lo
	s_waitcnt vmcnt(0)
	v_cmp_ne_u16_e32 vcc_lo, v23, v24
	s_and_b32 s33, vcc_lo, exec_lo
	s_delay_alu instid0(SALU_CYCLE_1)
	s_or_b32 s33, s0, s33
.LBB1447_219:                           ;   in Loop: Header=BB1447_220 Depth=1
	v_dual_mov_b32 v24, s7 :: v_dual_mov_b32 v23, s6
	s_and_b32 s0, exec_lo, s33
	s_delay_alu instid0(SALU_CYCLE_1) | instskip(NEXT) | instid1(SALU_CYCLE_1)
	s_or_b32 s30, s0, s30
	s_and_not1_b32 exec_lo, exec_lo, s30
	s_cbranch_execz .LBB1447_222
.LBB1447_220:                           ; =>This Inner Loop Header: Depth=1
	s_or_b32 s33, s33, exec_lo
	s_cmp_eq_u64 s[4:5], s[6:7]
	s_cbranch_scc0 .LBB1447_218
; %bb.221:                              ;   in Loop: Header=BB1447_220 Depth=1
	s_mov_b64 s[6:7], s[14:15]
                                        ; implicit-def: $vgpr17_vgpr18
                                        ; implicit-def: $vgpr19_vgpr20
	s_branch .LBB1447_219
.LBB1447_222:
	s_set_inst_prefetch_distance 0x2
	s_or_b32 exec_lo, exec_lo, s30
	v_cmp_gt_i64_e32 vcc_lo, s[14:15], v[23:24]
	s_or_not1_b32 s30, vcc_lo, exec_lo
.LBB1447_223:
	s_or_b32 exec_lo, exec_lo, s31
.LBB1447_224:
	v_mul_lo_u32 v19, v12, s14
	v_mul_lo_u32 v20, v11, s15
	v_mad_u64_u32 v[17:18], null, v11, s14, 0
	s_and_not1_b32 vcc_lo, exec_lo, s26
	s_delay_alu instid0(VALU_DEP_1) | instskip(NEXT) | instid1(VALU_DEP_1)
	v_add3_u32 v18, v18, v20, v19
	v_lshlrev_b64 v[17:18], 1, v[17:18]
	s_cbranch_vccnz .LBB1447_233
; %bb.225:
	s_delay_alu instid0(VALU_DEP_1) | instskip(NEXT) | instid1(VALU_DEP_2)
	v_add_co_u32 v23, vcc_lo, s16, v17
	v_add_co_ci_u32_e32 v24, vcc_lo, s17, v18, vcc_lo
	v_add_co_u32 v19, vcc_lo, s16, v21
	v_add_co_ci_u32_e32 v20, vcc_lo, s17, v22, vcc_lo
	s_mov_b32 s29, -1
	s_clause 0x1
	global_load_u16 v21, v[23:24], off
	global_load_u16 v22, v[19:20], off
	s_mov_b32 s31, exec_lo
	s_waitcnt vmcnt(0)
	v_cmpx_eq_u16_e64 v21, v22
	s_cbranch_execz .LBB1447_232
; %bb.226:
	v_add_co_u32 v19, vcc_lo, v19, 2
	v_add_co_ci_u32_e32 v20, vcc_lo, 0, v20, vcc_lo
	v_add_co_u32 v21, vcc_lo, v23, 2
	v_add_co_ci_u32_e32 v22, vcc_lo, 0, v24, vcc_lo
	s_add_u32 s4, s14, -1
	s_addc_u32 s5, s15, -1
	s_mov_b64 s[6:7], 0
	s_mov_b32 s29, 0
                                        ; implicit-def: $sgpr33
	s_set_inst_prefetch_distance 0x1
	s_branch .LBB1447_229
	.p2align	6
.LBB1447_227:                           ;   in Loop: Header=BB1447_229 Depth=1
	global_load_u16 v23, v[21:22], off
	global_load_u16 v24, v[19:20], off
	v_add_co_u32 v19, vcc_lo, v19, 2
	v_add_co_ci_u32_e32 v20, vcc_lo, 0, v20, vcc_lo
	v_add_co_u32 v21, s0, v21, 2
	s_delay_alu instid0(VALU_DEP_1)
	v_add_co_ci_u32_e64 v22, s0, 0, v22, s0
	s_add_u32 s6, s6, 1
	s_addc_u32 s7, s7, 0
	s_and_not1_b32 s0, s33, exec_lo
	s_waitcnt vmcnt(0)
	v_cmp_ne_u16_e32 vcc_lo, v23, v24
	s_and_b32 s33, vcc_lo, exec_lo
	s_delay_alu instid0(SALU_CYCLE_1)
	s_or_b32 s33, s0, s33
.LBB1447_228:                           ;   in Loop: Header=BB1447_229 Depth=1
	v_dual_mov_b32 v24, s7 :: v_dual_mov_b32 v23, s6
	s_and_b32 s0, exec_lo, s33
	s_delay_alu instid0(SALU_CYCLE_1) | instskip(NEXT) | instid1(SALU_CYCLE_1)
	s_or_b32 s29, s0, s29
	s_and_not1_b32 exec_lo, exec_lo, s29
	s_cbranch_execz .LBB1447_231
.LBB1447_229:                           ; =>This Inner Loop Header: Depth=1
	s_or_b32 s33, s33, exec_lo
	s_cmp_eq_u64 s[4:5], s[6:7]
	s_cbranch_scc0 .LBB1447_227
; %bb.230:                              ;   in Loop: Header=BB1447_229 Depth=1
	s_mov_b64 s[6:7], s[14:15]
                                        ; implicit-def: $vgpr19_vgpr20
                                        ; implicit-def: $vgpr21_vgpr22
	s_branch .LBB1447_228
.LBB1447_231:
	s_set_inst_prefetch_distance 0x2
	s_or_b32 exec_lo, exec_lo, s29
	v_cmp_gt_i64_e32 vcc_lo, s[14:15], v[23:24]
	s_or_not1_b32 s29, vcc_lo, exec_lo
.LBB1447_232:
	s_or_b32 exec_lo, exec_lo, s31
.LBB1447_233:
	v_mul_lo_u32 v21, v10, s14
	v_mul_lo_u32 v22, v9, s15
	v_mad_u64_u32 v[19:20], null, v9, s14, 0
	s_mov_b32 s31, 0
	s_and_not1_b32 vcc_lo, exec_lo, s26
	s_mov_b32 s33, 0
	s_delay_alu instid0(VALU_DEP_1) | instskip(NEXT) | instid1(VALU_DEP_1)
	v_add3_u32 v20, v20, v22, v21
	v_lshlrev_b64 v[21:22], 1, v[19:20]
	s_cbranch_vccnz .LBB1447_242
; %bb.234:
	s_delay_alu instid0(VALU_DEP_1) | instskip(NEXT) | instid1(VALU_DEP_2)
	v_add_co_u32 v19, vcc_lo, s16, v21
	v_add_co_ci_u32_e32 v20, vcc_lo, s17, v22, vcc_lo
	v_add_co_u32 v17, vcc_lo, s16, v17
	v_add_co_ci_u32_e32 v18, vcc_lo, s17, v18, vcc_lo
	s_mov_b32 s33, -1
	s_clause 0x1
	global_load_u16 v23, v[19:20], off
	global_load_u16 v24, v[17:18], off
	s_mov_b32 s34, exec_lo
	s_waitcnt vmcnt(0)
	v_cmpx_eq_u16_e64 v23, v24
	s_cbranch_execz .LBB1447_241
; %bb.235:
	v_add_co_u32 v17, vcc_lo, v17, 2
	v_add_co_ci_u32_e32 v18, vcc_lo, 0, v18, vcc_lo
	v_add_co_u32 v19, vcc_lo, v19, 2
	v_add_co_ci_u32_e32 v20, vcc_lo, 0, v20, vcc_lo
	s_add_u32 s4, s14, -1
	s_addc_u32 s5, s15, -1
	s_mov_b64 s[6:7], 0
	s_mov_b32 s33, 0
                                        ; implicit-def: $sgpr35
	s_set_inst_prefetch_distance 0x1
	s_branch .LBB1447_238
	.p2align	6
.LBB1447_236:                           ;   in Loop: Header=BB1447_238 Depth=1
	global_load_u16 v23, v[19:20], off
	global_load_u16 v24, v[17:18], off
	v_add_co_u32 v17, vcc_lo, v17, 2
	v_add_co_ci_u32_e32 v18, vcc_lo, 0, v18, vcc_lo
	v_add_co_u32 v19, s0, v19, 2
	s_delay_alu instid0(VALU_DEP_1)
	v_add_co_ci_u32_e64 v20, s0, 0, v20, s0
	s_add_u32 s6, s6, 1
	s_addc_u32 s7, s7, 0
	s_and_not1_b32 s0, s35, exec_lo
	s_waitcnt vmcnt(0)
	v_cmp_ne_u16_e32 vcc_lo, v23, v24
	s_and_b32 s35, vcc_lo, exec_lo
	s_delay_alu instid0(SALU_CYCLE_1)
	s_or_b32 s35, s0, s35
.LBB1447_237:                           ;   in Loop: Header=BB1447_238 Depth=1
	v_dual_mov_b32 v24, s7 :: v_dual_mov_b32 v23, s6
	s_and_b32 s0, exec_lo, s35
	s_delay_alu instid0(SALU_CYCLE_1) | instskip(NEXT) | instid1(SALU_CYCLE_1)
	s_or_b32 s33, s0, s33
	s_and_not1_b32 exec_lo, exec_lo, s33
	s_cbranch_execz .LBB1447_240
.LBB1447_238:                           ; =>This Inner Loop Header: Depth=1
	s_or_b32 s35, s35, exec_lo
	s_cmp_eq_u64 s[4:5], s[6:7]
	s_cbranch_scc0 .LBB1447_236
; %bb.239:                              ;   in Loop: Header=BB1447_238 Depth=1
	s_mov_b64 s[6:7], s[14:15]
                                        ; implicit-def: $vgpr17_vgpr18
                                        ; implicit-def: $vgpr19_vgpr20
	s_branch .LBB1447_237
.LBB1447_240:
	s_set_inst_prefetch_distance 0x2
	s_or_b32 exec_lo, exec_lo, s33
	v_cmp_gt_i64_e32 vcc_lo, s[14:15], v[23:24]
	s_or_not1_b32 s33, vcc_lo, exec_lo
.LBB1447_241:
	s_or_b32 exec_lo, exec_lo, s34
.LBB1447_242:
	v_mul_lo_u32 v19, v16, s14
	v_mul_lo_u32 v20, v15, s15
	v_mad_u64_u32 v[17:18], null, v15, s14, 0
	s_and_not1_b32 vcc_lo, exec_lo, s26
	s_delay_alu instid0(VALU_DEP_1) | instskip(NEXT) | instid1(VALU_DEP_1)
	v_add3_u32 v18, v18, v20, v19
	v_lshlrev_b64 v[19:20], 1, v[17:18]
	s_cbranch_vccnz .LBB1447_251
; %bb.243:
	s_delay_alu instid0(VALU_DEP_1) | instskip(NEXT) | instid1(VALU_DEP_2)
	v_add_co_u32 v23, vcc_lo, s16, v19
	v_add_co_ci_u32_e32 v24, vcc_lo, s17, v20, vcc_lo
	v_add_co_u32 v17, vcc_lo, s16, v21
	v_add_co_ci_u32_e32 v18, vcc_lo, s17, v22, vcc_lo
	s_mov_b32 s31, -1
	s_clause 0x1
	global_load_u16 v21, v[23:24], off
	global_load_u16 v22, v[17:18], off
	s_mov_b32 s34, exec_lo
	s_waitcnt vmcnt(0)
	v_cmpx_eq_u16_e64 v21, v22
	s_cbranch_execz .LBB1447_250
; %bb.244:
	v_add_co_u32 v17, vcc_lo, v17, 2
	v_add_co_ci_u32_e32 v18, vcc_lo, 0, v18, vcc_lo
	v_add_co_u32 v21, vcc_lo, v23, 2
	v_add_co_ci_u32_e32 v22, vcc_lo, 0, v24, vcc_lo
	s_add_u32 s4, s14, -1
	s_addc_u32 s5, s15, -1
	s_mov_b64 s[6:7], 0
	s_mov_b32 s31, 0
                                        ; implicit-def: $sgpr35
	s_set_inst_prefetch_distance 0x1
	s_branch .LBB1447_247
	.p2align	6
.LBB1447_245:                           ;   in Loop: Header=BB1447_247 Depth=1
	global_load_u16 v23, v[21:22], off
	global_load_u16 v24, v[17:18], off
	v_add_co_u32 v17, vcc_lo, v17, 2
	v_add_co_ci_u32_e32 v18, vcc_lo, 0, v18, vcc_lo
	v_add_co_u32 v21, s0, v21, 2
	s_delay_alu instid0(VALU_DEP_1)
	v_add_co_ci_u32_e64 v22, s0, 0, v22, s0
	s_add_u32 s6, s6, 1
	s_addc_u32 s7, s7, 0
	s_and_not1_b32 s0, s35, exec_lo
	s_waitcnt vmcnt(0)
	v_cmp_ne_u16_e32 vcc_lo, v23, v24
	s_and_b32 s35, vcc_lo, exec_lo
	s_delay_alu instid0(SALU_CYCLE_1)
	s_or_b32 s35, s0, s35
.LBB1447_246:                           ;   in Loop: Header=BB1447_247 Depth=1
	v_dual_mov_b32 v24, s7 :: v_dual_mov_b32 v23, s6
	s_and_b32 s0, exec_lo, s35
	s_delay_alu instid0(SALU_CYCLE_1) | instskip(NEXT) | instid1(SALU_CYCLE_1)
	s_or_b32 s31, s0, s31
	s_and_not1_b32 exec_lo, exec_lo, s31
	s_cbranch_execz .LBB1447_249
.LBB1447_247:                           ; =>This Inner Loop Header: Depth=1
	s_or_b32 s35, s35, exec_lo
	s_cmp_eq_u64 s[4:5], s[6:7]
	s_cbranch_scc0 .LBB1447_245
; %bb.248:                              ;   in Loop: Header=BB1447_247 Depth=1
	s_mov_b64 s[6:7], s[14:15]
                                        ; implicit-def: $vgpr17_vgpr18
                                        ; implicit-def: $vgpr21_vgpr22
	s_branch .LBB1447_246
.LBB1447_249:
	s_set_inst_prefetch_distance 0x2
	s_or_b32 exec_lo, exec_lo, s31
	v_cmp_gt_i64_e32 vcc_lo, s[14:15], v[23:24]
	s_or_not1_b32 s31, vcc_lo, exec_lo
.LBB1447_250:
	s_or_b32 exec_lo, exec_lo, s34
.LBB1447_251:
	v_mul_lo_u32 v21, v14, s14
	v_mul_lo_u32 v22, v13, s15
	v_mad_u64_u32 v[17:18], null, v13, s14, 0
	s_and_not1_b32 vcc_lo, exec_lo, s26
	s_mov_b32 s0, 0
	s_delay_alu instid0(VALU_DEP_1)
	v_add3_u32 v18, v18, v22, v21
	s_cbranch_vccnz .LBB1447_260
; %bb.252:
	s_delay_alu instid0(VALU_DEP_1) | instskip(SKIP_2) | instid1(VALU_DEP_1)
	v_lshlrev_b64 v[21:22], 1, v[17:18]
	s_mov_b32 s0, -1
	s_mov_b32 s34, exec_lo
	v_add_co_u32 v21, vcc_lo, s16, v21
	s_delay_alu instid0(VALU_DEP_2)
	v_add_co_ci_u32_e32 v22, vcc_lo, s17, v22, vcc_lo
	v_add_co_u32 v19, vcc_lo, s16, v19
	v_add_co_ci_u32_e32 v20, vcc_lo, s17, v20, vcc_lo
	s_clause 0x1
	global_load_u16 v23, v[21:22], off
	global_load_u16 v24, v[19:20], off
	s_waitcnt vmcnt(0)
	v_cmpx_eq_u16_e64 v23, v24
	s_cbranch_execz .LBB1447_259
; %bb.253:
	v_add_co_u32 v19, vcc_lo, v19, 2
	v_add_co_ci_u32_e32 v20, vcc_lo, 0, v20, vcc_lo
	v_add_co_u32 v21, vcc_lo, v21, 2
	v_add_co_ci_u32_e32 v22, vcc_lo, 0, v22, vcc_lo
	s_add_u32 s4, s14, -1
	s_addc_u32 s5, s15, -1
	s_mov_b64 s[6:7], 0
	s_mov_b32 s35, 0
                                        ; implicit-def: $sgpr36
	s_set_inst_prefetch_distance 0x1
	s_branch .LBB1447_256
	.p2align	6
.LBB1447_254:                           ;   in Loop: Header=BB1447_256 Depth=1
	global_load_u16 v23, v[21:22], off
	global_load_u16 v24, v[19:20], off
	v_add_co_u32 v19, vcc_lo, v19, 2
	v_add_co_ci_u32_e32 v20, vcc_lo, 0, v20, vcc_lo
	v_add_co_u32 v21, s0, v21, 2
	s_delay_alu instid0(VALU_DEP_1)
	v_add_co_ci_u32_e64 v22, s0, 0, v22, s0
	s_add_u32 s6, s6, 1
	s_addc_u32 s7, s7, 0
	s_and_not1_b32 s0, s36, exec_lo
	s_waitcnt vmcnt(0)
	v_cmp_ne_u16_e32 vcc_lo, v23, v24
	s_and_b32 s36, vcc_lo, exec_lo
	s_delay_alu instid0(SALU_CYCLE_1)
	s_or_b32 s36, s0, s36
.LBB1447_255:                           ;   in Loop: Header=BB1447_256 Depth=1
	v_dual_mov_b32 v24, s7 :: v_dual_mov_b32 v23, s6
	s_and_b32 s0, exec_lo, s36
	s_delay_alu instid0(SALU_CYCLE_1) | instskip(NEXT) | instid1(SALU_CYCLE_1)
	s_or_b32 s35, s0, s35
	s_and_not1_b32 exec_lo, exec_lo, s35
	s_cbranch_execz .LBB1447_258
.LBB1447_256:                           ; =>This Inner Loop Header: Depth=1
	s_or_b32 s36, s36, exec_lo
	s_cmp_eq_u64 s[4:5], s[6:7]
	s_cbranch_scc0 .LBB1447_254
; %bb.257:                              ;   in Loop: Header=BB1447_256 Depth=1
	s_mov_b64 s[6:7], s[14:15]
                                        ; implicit-def: $vgpr19_vgpr20
                                        ; implicit-def: $vgpr21_vgpr22
	s_branch .LBB1447_255
.LBB1447_258:
	s_set_inst_prefetch_distance 0x2
	s_or_b32 exec_lo, exec_lo, s35
	v_cmp_gt_i64_e32 vcc_lo, s[14:15], v[23:24]
	s_or_not1_b32 s0, vcc_lo, exec_lo
.LBB1447_259:
	s_or_b32 exec_lo, exec_lo, s34
.LBB1447_260:
	v_cndmask_b32_e64 v20, 0, 1, s33
	v_cndmask_b32_e64 v21, 0, 1, s30
	;; [unrolled: 1-line block ×7, first 2 shown]
	v_lshlrev_b16 v21, 8, v21
	v_lshlrev_b16 v22, 8, v22
	;; [unrolled: 1-line block ×4, first 2 shown]
	s_waitcnt lgkmcnt(0)
	v_or_b32_e32 v21, v24, v21
	v_or_b32_e32 v22, v25, v22
	;; [unrolled: 1-line block ×4, first 2 shown]
	s_barrier
	v_and_b32_e32 v20, 0xffff, v21
	v_lshlrev_b32_e32 v21, 16, v22
	v_and_b32_e32 v22, 0xffff, v23
	v_lshlrev_b32_e32 v19, 16, v19
	buffer_gl0_inv
                                        ; implicit-def: $sgpr0
	v_or_b32_e32 v20, v20, v21
	v_or_b32_e32 v19, v22, v19
	s_and_saveexec_b32 s4, s3
	s_delay_alu instid0(SALU_CYCLE_1)
	s_xor_b32 s27, exec_lo, s4
	s_cbranch_execz .LBB1447_271
; %bb.261:
	s_and_not1_b32 vcc_lo, exec_lo, s26
	s_mov_b32 s0, 0
	s_cbranch_vccnz .LBB1447_270
; %bb.262:
	v_add_nc_u32_e32 v21, -8, v39
	v_lshlrev_b64 v[17:18], 1, v[17:18]
	s_mov_b32 s0, -1
	s_mov_b32 s28, exec_lo
	ds_load_b64 v[21:22], v21
	s_waitcnt lgkmcnt(0)
	v_mul_lo_u32 v24, v22, s14
	v_mul_lo_u32 v25, v21, s15
	v_mad_u64_u32 v[22:23], null, v21, s14, 0
	s_delay_alu instid0(VALU_DEP_1) | instskip(NEXT) | instid1(VALU_DEP_1)
	v_add3_u32 v23, v23, v25, v24
	v_lshlrev_b64 v[21:22], 1, v[22:23]
	s_delay_alu instid0(VALU_DEP_1) | instskip(NEXT) | instid1(VALU_DEP_2)
	v_add_co_u32 v21, vcc_lo, s16, v21
	v_add_co_ci_u32_e32 v22, vcc_lo, s17, v22, vcc_lo
	v_add_co_u32 v17, vcc_lo, s16, v17
	v_add_co_ci_u32_e32 v18, vcc_lo, s17, v18, vcc_lo
	s_clause 0x1
	global_load_u16 v23, v[21:22], off
	global_load_u16 v24, v[17:18], off
	s_waitcnt vmcnt(0)
	v_cmpx_eq_u16_e64 v23, v24
	s_cbranch_execz .LBB1447_269
; %bb.263:
	v_add_co_u32 v17, vcc_lo, v17, 2
	v_add_co_ci_u32_e32 v18, vcc_lo, 0, v18, vcc_lo
	v_add_co_u32 v21, vcc_lo, v21, 2
	v_add_co_ci_u32_e32 v22, vcc_lo, 0, v22, vcc_lo
	s_add_u32 s4, s14, -1
	s_addc_u32 s5, s15, -1
	s_mov_b64 s[6:7], 0
	s_mov_b32 s29, 0
                                        ; implicit-def: $sgpr30
	s_set_inst_prefetch_distance 0x1
	s_branch .LBB1447_266
	.p2align	6
.LBB1447_264:                           ;   in Loop: Header=BB1447_266 Depth=1
	global_load_u16 v23, v[21:22], off
	global_load_u16 v24, v[17:18], off
	v_add_co_u32 v17, vcc_lo, v17, 2
	v_add_co_ci_u32_e32 v18, vcc_lo, 0, v18, vcc_lo
	v_add_co_u32 v21, s0, v21, 2
	s_delay_alu instid0(VALU_DEP_1)
	v_add_co_ci_u32_e64 v22, s0, 0, v22, s0
	s_add_u32 s6, s6, 1
	s_addc_u32 s7, s7, 0
	s_and_not1_b32 s0, s30, exec_lo
	s_waitcnt vmcnt(0)
	v_cmp_ne_u16_e32 vcc_lo, v23, v24
	s_and_b32 s30, vcc_lo, exec_lo
	s_delay_alu instid0(SALU_CYCLE_1)
	s_or_b32 s30, s0, s30
.LBB1447_265:                           ;   in Loop: Header=BB1447_266 Depth=1
	v_dual_mov_b32 v24, s7 :: v_dual_mov_b32 v23, s6
	s_and_b32 s0, exec_lo, s30
	s_delay_alu instid0(SALU_CYCLE_1) | instskip(NEXT) | instid1(SALU_CYCLE_1)
	s_or_b32 s29, s0, s29
	s_and_not1_b32 exec_lo, exec_lo, s29
	s_cbranch_execz .LBB1447_268
.LBB1447_266:                           ; =>This Inner Loop Header: Depth=1
	s_or_b32 s30, s30, exec_lo
	s_cmp_eq_u64 s[4:5], s[6:7]
	s_cbranch_scc0 .LBB1447_264
; %bb.267:                              ;   in Loop: Header=BB1447_266 Depth=1
	s_mov_b64 s[6:7], s[14:15]
                                        ; implicit-def: $vgpr17_vgpr18
                                        ; implicit-def: $vgpr21_vgpr22
	s_branch .LBB1447_265
.LBB1447_268:
	s_set_inst_prefetch_distance 0x2
	s_or_b32 exec_lo, exec_lo, s29
	v_cmp_gt_i64_e32 vcc_lo, s[14:15], v[23:24]
	s_or_not1_b32 s0, vcc_lo, exec_lo
.LBB1447_269:
	s_or_b32 exec_lo, exec_lo, s28
.LBB1447_270:
	s_delay_alu instid0(SALU_CYCLE_1)
	s_and_b32 s0, s0, exec_lo
	s_or_b32 s25, s25, exec_lo
.LBB1447_271:
	s_or_b32 exec_lo, exec_lo, s27
	s_branch .LBB1447_363
.LBB1447_272:
	s_waitcnt vmcnt(0) lgkmcnt(1)
	v_or_b32_e32 v17, 7, v39
	s_mov_b32 s27, 0
	s_mov_b32 s28, 0
	s_mov_b32 s29, exec_lo
	s_delay_alu instid0(VALU_DEP_1)
	v_cmpx_gt_u32_e64 s12, v17
	s_cbranch_execz .LBB1447_283
; %bb.273:
	s_and_not1_b32 vcc_lo, exec_lo, s26
	s_mov_b32 s0, 0
	s_cbranch_vccnz .LBB1447_282
; %bb.274:
	v_mul_lo_u32 v21, v2, s14
	v_mul_lo_u32 v22, v1, s15
	v_mad_u64_u32 v[17:18], null, v1, s14, 0
	v_mul_lo_u32 v23, v4, s14
	v_mul_lo_u32 v24, v3, s15
	v_mad_u64_u32 v[19:20], null, v3, s14, 0
	s_mov_b32 s0, -1
	s_mov_b32 s28, exec_lo
	s_delay_alu instid0(VALU_DEP_4) | instskip(NEXT) | instid1(VALU_DEP_2)
	v_add3_u32 v18, v18, v22, v21
	v_add3_u32 v20, v20, v24, v23
	s_delay_alu instid0(VALU_DEP_2) | instskip(NEXT) | instid1(VALU_DEP_2)
	v_lshlrev_b64 v[17:18], 1, v[17:18]
	v_lshlrev_b64 v[21:22], 1, v[19:20]
	s_delay_alu instid0(VALU_DEP_2) | instskip(NEXT) | instid1(VALU_DEP_3)
	v_add_co_u32 v19, vcc_lo, s16, v17
	v_add_co_ci_u32_e32 v20, vcc_lo, s17, v18, vcc_lo
	s_delay_alu instid0(VALU_DEP_3) | instskip(NEXT) | instid1(VALU_DEP_4)
	v_add_co_u32 v17, vcc_lo, s16, v21
	v_add_co_ci_u32_e32 v18, vcc_lo, s17, v22, vcc_lo
	s_clause 0x1
	global_load_u16 v21, v[19:20], off
	global_load_u16 v22, v[17:18], off
	s_waitcnt vmcnt(0)
	v_cmpx_eq_u16_e64 v21, v22
	s_cbranch_execz .LBB1447_281
; %bb.275:
	v_add_co_u32 v17, vcc_lo, v17, 2
	v_add_co_ci_u32_e32 v18, vcc_lo, 0, v18, vcc_lo
	v_add_co_u32 v19, vcc_lo, v19, 2
	v_add_co_ci_u32_e32 v20, vcc_lo, 0, v20, vcc_lo
	s_add_u32 s4, s14, -1
	s_addc_u32 s5, s15, -1
	s_mov_b64 s[6:7], 0
	s_mov_b32 s30, 0
                                        ; implicit-def: $sgpr31
	s_set_inst_prefetch_distance 0x1
	s_branch .LBB1447_278
	.p2align	6
.LBB1447_276:                           ;   in Loop: Header=BB1447_278 Depth=1
	global_load_u16 v21, v[19:20], off
	global_load_u16 v22, v[17:18], off
	v_add_co_u32 v17, vcc_lo, v17, 2
	v_add_co_ci_u32_e32 v18, vcc_lo, 0, v18, vcc_lo
	v_add_co_u32 v19, s0, v19, 2
	s_delay_alu instid0(VALU_DEP_1)
	v_add_co_ci_u32_e64 v20, s0, 0, v20, s0
	s_add_u32 s6, s6, 1
	s_addc_u32 s7, s7, 0
	s_and_not1_b32 s0, s31, exec_lo
	s_waitcnt vmcnt(0)
	v_cmp_ne_u16_e32 vcc_lo, v21, v22
	s_and_b32 s31, vcc_lo, exec_lo
	s_delay_alu instid0(SALU_CYCLE_1)
	s_or_b32 s31, s0, s31
.LBB1447_277:                           ;   in Loop: Header=BB1447_278 Depth=1
	v_dual_mov_b32 v22, s7 :: v_dual_mov_b32 v21, s6
	s_and_b32 s0, exec_lo, s31
	s_delay_alu instid0(SALU_CYCLE_1) | instskip(NEXT) | instid1(SALU_CYCLE_1)
	s_or_b32 s30, s0, s30
	s_and_not1_b32 exec_lo, exec_lo, s30
	s_cbranch_execz .LBB1447_280
.LBB1447_278:                           ; =>This Inner Loop Header: Depth=1
	s_or_b32 s31, s31, exec_lo
	s_cmp_eq_u64 s[4:5], s[6:7]
	s_cbranch_scc0 .LBB1447_276
; %bb.279:                              ;   in Loop: Header=BB1447_278 Depth=1
	s_mov_b64 s[6:7], s[14:15]
                                        ; implicit-def: $vgpr17_vgpr18
                                        ; implicit-def: $vgpr19_vgpr20
	s_branch .LBB1447_277
.LBB1447_280:
	s_set_inst_prefetch_distance 0x2
	s_or_b32 exec_lo, exec_lo, s30
	v_cmp_gt_i64_e32 vcc_lo, s[14:15], v[21:22]
	s_or_not1_b32 s0, vcc_lo, exec_lo
.LBB1447_281:
	s_or_b32 exec_lo, exec_lo, s28
.LBB1447_282:
	s_delay_alu instid0(SALU_CYCLE_1)
	s_and_b32 s28, s0, exec_lo
.LBB1447_283:
	s_or_b32 exec_lo, exec_lo, s29
	v_or_b32_e32 v17, 6, v39
	s_mov_b32 s29, exec_lo
	s_delay_alu instid0(VALU_DEP_1)
	v_cmpx_gt_u32_e64 s12, v17
	s_cbranch_execz .LBB1447_294
; %bb.284:
	s_and_not1_b32 vcc_lo, exec_lo, s26
	s_mov_b32 s0, 0
	s_cbranch_vccnz .LBB1447_293
; %bb.285:
	v_mul_lo_u32 v21, v8, s14
	v_mul_lo_u32 v22, v7, s15
	v_mad_u64_u32 v[17:18], null, v7, s14, 0
	v_mul_lo_u32 v23, v2, s14
	v_mul_lo_u32 v24, v1, s15
	v_mad_u64_u32 v[19:20], null, v1, s14, 0
	s_mov_b32 s0, -1
	s_mov_b32 s27, exec_lo
	s_delay_alu instid0(VALU_DEP_4) | instskip(NEXT) | instid1(VALU_DEP_2)
	v_add3_u32 v18, v18, v22, v21
	v_add3_u32 v20, v20, v24, v23
	s_delay_alu instid0(VALU_DEP_2) | instskip(NEXT) | instid1(VALU_DEP_2)
	v_lshlrev_b64 v[17:18], 1, v[17:18]
	v_lshlrev_b64 v[21:22], 1, v[19:20]
	s_delay_alu instid0(VALU_DEP_2) | instskip(NEXT) | instid1(VALU_DEP_3)
	v_add_co_u32 v19, vcc_lo, s16, v17
	v_add_co_ci_u32_e32 v20, vcc_lo, s17, v18, vcc_lo
	s_delay_alu instid0(VALU_DEP_3) | instskip(NEXT) | instid1(VALU_DEP_4)
	v_add_co_u32 v17, vcc_lo, s16, v21
	v_add_co_ci_u32_e32 v18, vcc_lo, s17, v22, vcc_lo
	s_clause 0x1
	global_load_u16 v21, v[19:20], off
	global_load_u16 v22, v[17:18], off
	s_waitcnt vmcnt(0)
	v_cmpx_eq_u16_e64 v21, v22
	s_cbranch_execz .LBB1447_292
; %bb.286:
	v_add_co_u32 v17, vcc_lo, v17, 2
	v_add_co_ci_u32_e32 v18, vcc_lo, 0, v18, vcc_lo
	v_add_co_u32 v19, vcc_lo, v19, 2
	v_add_co_ci_u32_e32 v20, vcc_lo, 0, v20, vcc_lo
	s_add_u32 s4, s14, -1
	s_addc_u32 s5, s15, -1
	s_mov_b64 s[6:7], 0
	s_mov_b32 s30, 0
                                        ; implicit-def: $sgpr31
	s_set_inst_prefetch_distance 0x1
	s_branch .LBB1447_289
	.p2align	6
.LBB1447_287:                           ;   in Loop: Header=BB1447_289 Depth=1
	global_load_u16 v21, v[19:20], off
	global_load_u16 v22, v[17:18], off
	v_add_co_u32 v17, vcc_lo, v17, 2
	v_add_co_ci_u32_e32 v18, vcc_lo, 0, v18, vcc_lo
	v_add_co_u32 v19, s0, v19, 2
	s_delay_alu instid0(VALU_DEP_1)
	v_add_co_ci_u32_e64 v20, s0, 0, v20, s0
	s_add_u32 s6, s6, 1
	s_addc_u32 s7, s7, 0
	s_and_not1_b32 s0, s31, exec_lo
	s_waitcnt vmcnt(0)
	v_cmp_ne_u16_e32 vcc_lo, v21, v22
	s_and_b32 s31, vcc_lo, exec_lo
	s_delay_alu instid0(SALU_CYCLE_1)
	s_or_b32 s31, s0, s31
.LBB1447_288:                           ;   in Loop: Header=BB1447_289 Depth=1
	v_dual_mov_b32 v22, s7 :: v_dual_mov_b32 v21, s6
	s_and_b32 s0, exec_lo, s31
	s_delay_alu instid0(SALU_CYCLE_1) | instskip(NEXT) | instid1(SALU_CYCLE_1)
	s_or_b32 s30, s0, s30
	s_and_not1_b32 exec_lo, exec_lo, s30
	s_cbranch_execz .LBB1447_291
.LBB1447_289:                           ; =>This Inner Loop Header: Depth=1
	s_or_b32 s31, s31, exec_lo
	s_cmp_eq_u64 s[4:5], s[6:7]
	s_cbranch_scc0 .LBB1447_287
; %bb.290:                              ;   in Loop: Header=BB1447_289 Depth=1
	s_mov_b64 s[6:7], s[14:15]
                                        ; implicit-def: $vgpr17_vgpr18
                                        ; implicit-def: $vgpr19_vgpr20
	s_branch .LBB1447_288
.LBB1447_291:
	s_set_inst_prefetch_distance 0x2
	s_or_b32 exec_lo, exec_lo, s30
	v_cmp_gt_i64_e32 vcc_lo, s[14:15], v[21:22]
	s_or_not1_b32 s0, vcc_lo, exec_lo
.LBB1447_292:
	s_or_b32 exec_lo, exec_lo, s27
.LBB1447_293:
	s_delay_alu instid0(SALU_CYCLE_1)
	s_and_b32 s27, s0, exec_lo
.LBB1447_294:
	s_or_b32 exec_lo, exec_lo, s29
	v_or_b32_e32 v17, 5, v39
	s_mov_b32 s29, 0
	s_mov_b32 s30, 0
	s_mov_b32 s31, exec_lo
	s_delay_alu instid0(VALU_DEP_1)
	v_cmpx_gt_u32_e64 s12, v17
	s_cbranch_execz .LBB1447_305
; %bb.295:
	s_and_not1_b32 vcc_lo, exec_lo, s26
	s_mov_b32 s0, 0
	s_cbranch_vccnz .LBB1447_304
; %bb.296:
	v_mul_lo_u32 v21, v6, s14
	v_mul_lo_u32 v22, v5, s15
	v_mad_u64_u32 v[17:18], null, v5, s14, 0
	v_mul_lo_u32 v23, v8, s14
	v_mul_lo_u32 v24, v7, s15
	v_mad_u64_u32 v[19:20], null, v7, s14, 0
	s_mov_b32 s0, -1
	s_mov_b32 s30, exec_lo
	s_delay_alu instid0(VALU_DEP_4) | instskip(NEXT) | instid1(VALU_DEP_2)
	v_add3_u32 v18, v18, v22, v21
	v_add3_u32 v20, v20, v24, v23
	s_delay_alu instid0(VALU_DEP_2) | instskip(NEXT) | instid1(VALU_DEP_2)
	v_lshlrev_b64 v[17:18], 1, v[17:18]
	v_lshlrev_b64 v[21:22], 1, v[19:20]
	s_delay_alu instid0(VALU_DEP_2) | instskip(NEXT) | instid1(VALU_DEP_3)
	v_add_co_u32 v19, vcc_lo, s16, v17
	v_add_co_ci_u32_e32 v20, vcc_lo, s17, v18, vcc_lo
	s_delay_alu instid0(VALU_DEP_3) | instskip(NEXT) | instid1(VALU_DEP_4)
	v_add_co_u32 v17, vcc_lo, s16, v21
	v_add_co_ci_u32_e32 v18, vcc_lo, s17, v22, vcc_lo
	s_clause 0x1
	global_load_u16 v21, v[19:20], off
	global_load_u16 v22, v[17:18], off
	s_waitcnt vmcnt(0)
	v_cmpx_eq_u16_e64 v21, v22
	s_cbranch_execz .LBB1447_303
; %bb.297:
	v_add_co_u32 v17, vcc_lo, v17, 2
	v_add_co_ci_u32_e32 v18, vcc_lo, 0, v18, vcc_lo
	v_add_co_u32 v19, vcc_lo, v19, 2
	v_add_co_ci_u32_e32 v20, vcc_lo, 0, v20, vcc_lo
	s_add_u32 s4, s14, -1
	s_addc_u32 s5, s15, -1
	s_mov_b64 s[6:7], 0
	s_mov_b32 s33, 0
                                        ; implicit-def: $sgpr34
	s_set_inst_prefetch_distance 0x1
	s_branch .LBB1447_300
	.p2align	6
.LBB1447_298:                           ;   in Loop: Header=BB1447_300 Depth=1
	global_load_u16 v21, v[19:20], off
	global_load_u16 v22, v[17:18], off
	v_add_co_u32 v17, vcc_lo, v17, 2
	v_add_co_ci_u32_e32 v18, vcc_lo, 0, v18, vcc_lo
	v_add_co_u32 v19, s0, v19, 2
	s_delay_alu instid0(VALU_DEP_1)
	v_add_co_ci_u32_e64 v20, s0, 0, v20, s0
	s_add_u32 s6, s6, 1
	s_addc_u32 s7, s7, 0
	s_and_not1_b32 s0, s34, exec_lo
	s_waitcnt vmcnt(0)
	v_cmp_ne_u16_e32 vcc_lo, v21, v22
	s_and_b32 s34, vcc_lo, exec_lo
	s_delay_alu instid0(SALU_CYCLE_1)
	s_or_b32 s34, s0, s34
.LBB1447_299:                           ;   in Loop: Header=BB1447_300 Depth=1
	v_dual_mov_b32 v22, s7 :: v_dual_mov_b32 v21, s6
	s_and_b32 s0, exec_lo, s34
	s_delay_alu instid0(SALU_CYCLE_1) | instskip(NEXT) | instid1(SALU_CYCLE_1)
	s_or_b32 s33, s0, s33
	s_and_not1_b32 exec_lo, exec_lo, s33
	s_cbranch_execz .LBB1447_302
.LBB1447_300:                           ; =>This Inner Loop Header: Depth=1
	s_or_b32 s34, s34, exec_lo
	s_cmp_eq_u64 s[4:5], s[6:7]
	s_cbranch_scc0 .LBB1447_298
; %bb.301:                              ;   in Loop: Header=BB1447_300 Depth=1
	s_mov_b64 s[6:7], s[14:15]
                                        ; implicit-def: $vgpr17_vgpr18
                                        ; implicit-def: $vgpr19_vgpr20
	s_branch .LBB1447_299
.LBB1447_302:
	s_set_inst_prefetch_distance 0x2
	s_or_b32 exec_lo, exec_lo, s33
	v_cmp_gt_i64_e32 vcc_lo, s[14:15], v[21:22]
	s_or_not1_b32 s0, vcc_lo, exec_lo
.LBB1447_303:
	s_or_b32 exec_lo, exec_lo, s30
.LBB1447_304:
	s_delay_alu instid0(SALU_CYCLE_1)
	s_and_b32 s30, s0, exec_lo
.LBB1447_305:
	s_or_b32 exec_lo, exec_lo, s31
	v_or_b32_e32 v17, 4, v39
	s_mov_b32 s31, exec_lo
	s_delay_alu instid0(VALU_DEP_1)
	v_cmpx_gt_u32_e64 s12, v17
	s_cbranch_execz .LBB1447_316
; %bb.306:
	s_and_not1_b32 vcc_lo, exec_lo, s26
	s_mov_b32 s0, 0
	s_cbranch_vccnz .LBB1447_315
; %bb.307:
	v_mul_lo_u32 v21, v12, s14
	v_mul_lo_u32 v22, v11, s15
	v_mad_u64_u32 v[17:18], null, v11, s14, 0
	v_mul_lo_u32 v23, v6, s14
	v_mul_lo_u32 v24, v5, s15
	v_mad_u64_u32 v[19:20], null, v5, s14, 0
	s_mov_b32 s0, -1
	s_mov_b32 s29, exec_lo
	s_delay_alu instid0(VALU_DEP_4) | instskip(NEXT) | instid1(VALU_DEP_2)
	v_add3_u32 v18, v18, v22, v21
	v_add3_u32 v20, v20, v24, v23
	s_delay_alu instid0(VALU_DEP_2) | instskip(NEXT) | instid1(VALU_DEP_2)
	v_lshlrev_b64 v[17:18], 1, v[17:18]
	v_lshlrev_b64 v[21:22], 1, v[19:20]
	s_delay_alu instid0(VALU_DEP_2) | instskip(NEXT) | instid1(VALU_DEP_3)
	v_add_co_u32 v19, vcc_lo, s16, v17
	v_add_co_ci_u32_e32 v20, vcc_lo, s17, v18, vcc_lo
	s_delay_alu instid0(VALU_DEP_3) | instskip(NEXT) | instid1(VALU_DEP_4)
	v_add_co_u32 v17, vcc_lo, s16, v21
	v_add_co_ci_u32_e32 v18, vcc_lo, s17, v22, vcc_lo
	s_clause 0x1
	global_load_u16 v21, v[19:20], off
	global_load_u16 v22, v[17:18], off
	s_waitcnt vmcnt(0)
	v_cmpx_eq_u16_e64 v21, v22
	s_cbranch_execz .LBB1447_314
; %bb.308:
	v_add_co_u32 v17, vcc_lo, v17, 2
	v_add_co_ci_u32_e32 v18, vcc_lo, 0, v18, vcc_lo
	v_add_co_u32 v19, vcc_lo, v19, 2
	v_add_co_ci_u32_e32 v20, vcc_lo, 0, v20, vcc_lo
	s_add_u32 s4, s14, -1
	s_addc_u32 s5, s15, -1
	s_mov_b64 s[6:7], 0
	s_mov_b32 s33, 0
                                        ; implicit-def: $sgpr34
	s_set_inst_prefetch_distance 0x1
	s_branch .LBB1447_311
	.p2align	6
.LBB1447_309:                           ;   in Loop: Header=BB1447_311 Depth=1
	global_load_u16 v21, v[19:20], off
	global_load_u16 v22, v[17:18], off
	v_add_co_u32 v17, vcc_lo, v17, 2
	v_add_co_ci_u32_e32 v18, vcc_lo, 0, v18, vcc_lo
	v_add_co_u32 v19, s0, v19, 2
	s_delay_alu instid0(VALU_DEP_1)
	v_add_co_ci_u32_e64 v20, s0, 0, v20, s0
	s_add_u32 s6, s6, 1
	s_addc_u32 s7, s7, 0
	s_and_not1_b32 s0, s34, exec_lo
	s_waitcnt vmcnt(0)
	v_cmp_ne_u16_e32 vcc_lo, v21, v22
	s_and_b32 s34, vcc_lo, exec_lo
	s_delay_alu instid0(SALU_CYCLE_1)
	s_or_b32 s34, s0, s34
.LBB1447_310:                           ;   in Loop: Header=BB1447_311 Depth=1
	v_dual_mov_b32 v22, s7 :: v_dual_mov_b32 v21, s6
	s_and_b32 s0, exec_lo, s34
	s_delay_alu instid0(SALU_CYCLE_1) | instskip(NEXT) | instid1(SALU_CYCLE_1)
	s_or_b32 s33, s0, s33
	s_and_not1_b32 exec_lo, exec_lo, s33
	s_cbranch_execz .LBB1447_313
.LBB1447_311:                           ; =>This Inner Loop Header: Depth=1
	s_or_b32 s34, s34, exec_lo
	s_cmp_eq_u64 s[4:5], s[6:7]
	s_cbranch_scc0 .LBB1447_309
; %bb.312:                              ;   in Loop: Header=BB1447_311 Depth=1
	s_mov_b64 s[6:7], s[14:15]
                                        ; implicit-def: $vgpr17_vgpr18
                                        ; implicit-def: $vgpr19_vgpr20
	s_branch .LBB1447_310
.LBB1447_313:
	s_set_inst_prefetch_distance 0x2
	s_or_b32 exec_lo, exec_lo, s33
	v_cmp_gt_i64_e32 vcc_lo, s[14:15], v[21:22]
	s_or_not1_b32 s0, vcc_lo, exec_lo
.LBB1447_314:
	s_or_b32 exec_lo, exec_lo, s29
.LBB1447_315:
	s_delay_alu instid0(SALU_CYCLE_1)
	s_and_b32 s29, s0, exec_lo
.LBB1447_316:
	s_or_b32 exec_lo, exec_lo, s31
	v_or_b32_e32 v17, 3, v39
	s_mov_b32 s33, 0
	s_mov_b32 s31, 0
	s_mov_b32 s34, exec_lo
	s_delay_alu instid0(VALU_DEP_1)
	v_cmpx_gt_u32_e64 s12, v17
	s_cbranch_execz .LBB1447_327
; %bb.317:
	s_and_not1_b32 vcc_lo, exec_lo, s26
	s_mov_b32 s0, 0
	s_cbranch_vccnz .LBB1447_326
; %bb.318:
	v_mul_lo_u32 v21, v10, s14
	v_mul_lo_u32 v22, v9, s15
	v_mad_u64_u32 v[17:18], null, v9, s14, 0
	v_mul_lo_u32 v23, v12, s14
	v_mul_lo_u32 v24, v11, s15
	v_mad_u64_u32 v[19:20], null, v11, s14, 0
	s_mov_b32 s0, -1
	s_mov_b32 s31, exec_lo
	s_delay_alu instid0(VALU_DEP_4) | instskip(NEXT) | instid1(VALU_DEP_2)
	v_add3_u32 v18, v18, v22, v21
	v_add3_u32 v20, v20, v24, v23
	s_delay_alu instid0(VALU_DEP_2) | instskip(NEXT) | instid1(VALU_DEP_2)
	v_lshlrev_b64 v[17:18], 1, v[17:18]
	v_lshlrev_b64 v[21:22], 1, v[19:20]
	s_delay_alu instid0(VALU_DEP_2) | instskip(NEXT) | instid1(VALU_DEP_3)
	v_add_co_u32 v19, vcc_lo, s16, v17
	v_add_co_ci_u32_e32 v20, vcc_lo, s17, v18, vcc_lo
	s_delay_alu instid0(VALU_DEP_3) | instskip(NEXT) | instid1(VALU_DEP_4)
	v_add_co_u32 v17, vcc_lo, s16, v21
	v_add_co_ci_u32_e32 v18, vcc_lo, s17, v22, vcc_lo
	s_clause 0x1
	global_load_u16 v21, v[19:20], off
	global_load_u16 v22, v[17:18], off
	s_waitcnt vmcnt(0)
	v_cmpx_eq_u16_e64 v21, v22
	s_cbranch_execz .LBB1447_325
; %bb.319:
	v_add_co_u32 v17, vcc_lo, v17, 2
	v_add_co_ci_u32_e32 v18, vcc_lo, 0, v18, vcc_lo
	v_add_co_u32 v19, vcc_lo, v19, 2
	v_add_co_ci_u32_e32 v20, vcc_lo, 0, v20, vcc_lo
	s_add_u32 s4, s14, -1
	s_addc_u32 s5, s15, -1
	s_mov_b64 s[6:7], 0
	s_mov_b32 s35, 0
                                        ; implicit-def: $sgpr36
	s_set_inst_prefetch_distance 0x1
	s_branch .LBB1447_322
	.p2align	6
.LBB1447_320:                           ;   in Loop: Header=BB1447_322 Depth=1
	global_load_u16 v21, v[19:20], off
	global_load_u16 v22, v[17:18], off
	v_add_co_u32 v17, vcc_lo, v17, 2
	v_add_co_ci_u32_e32 v18, vcc_lo, 0, v18, vcc_lo
	v_add_co_u32 v19, s0, v19, 2
	s_delay_alu instid0(VALU_DEP_1)
	v_add_co_ci_u32_e64 v20, s0, 0, v20, s0
	s_add_u32 s6, s6, 1
	s_addc_u32 s7, s7, 0
	s_and_not1_b32 s0, s36, exec_lo
	s_waitcnt vmcnt(0)
	v_cmp_ne_u16_e32 vcc_lo, v21, v22
	s_and_b32 s36, vcc_lo, exec_lo
	s_delay_alu instid0(SALU_CYCLE_1)
	s_or_b32 s36, s0, s36
.LBB1447_321:                           ;   in Loop: Header=BB1447_322 Depth=1
	v_dual_mov_b32 v22, s7 :: v_dual_mov_b32 v21, s6
	s_and_b32 s0, exec_lo, s36
	s_delay_alu instid0(SALU_CYCLE_1) | instskip(NEXT) | instid1(SALU_CYCLE_1)
	s_or_b32 s35, s0, s35
	s_and_not1_b32 exec_lo, exec_lo, s35
	s_cbranch_execz .LBB1447_324
.LBB1447_322:                           ; =>This Inner Loop Header: Depth=1
	s_or_b32 s36, s36, exec_lo
	s_cmp_eq_u64 s[4:5], s[6:7]
	s_cbranch_scc0 .LBB1447_320
; %bb.323:                              ;   in Loop: Header=BB1447_322 Depth=1
	s_mov_b64 s[6:7], s[14:15]
                                        ; implicit-def: $vgpr17_vgpr18
                                        ; implicit-def: $vgpr19_vgpr20
	s_branch .LBB1447_321
.LBB1447_324:
	s_set_inst_prefetch_distance 0x2
	s_or_b32 exec_lo, exec_lo, s35
	v_cmp_gt_i64_e32 vcc_lo, s[14:15], v[21:22]
	s_or_not1_b32 s0, vcc_lo, exec_lo
.LBB1447_325:
	s_or_b32 exec_lo, exec_lo, s31
.LBB1447_326:
	s_delay_alu instid0(SALU_CYCLE_1)
	s_and_b32 s31, s0, exec_lo
.LBB1447_327:
	s_or_b32 exec_lo, exec_lo, s34
	v_or_b32_e32 v17, 2, v39
	s_mov_b32 s34, exec_lo
	s_delay_alu instid0(VALU_DEP_1)
	v_cmpx_gt_u32_e64 s12, v17
	s_cbranch_execz .LBB1447_338
; %bb.328:
	s_and_not1_b32 vcc_lo, exec_lo, s26
	s_mov_b32 s0, 0
	s_cbranch_vccnz .LBB1447_337
; %bb.329:
	v_mul_lo_u32 v21, v16, s14
	v_mul_lo_u32 v22, v15, s15
	v_mad_u64_u32 v[17:18], null, v15, s14, 0
	v_mul_lo_u32 v23, v10, s14
	v_mul_lo_u32 v24, v9, s15
	v_mad_u64_u32 v[19:20], null, v9, s14, 0
	s_mov_b32 s0, -1
	s_mov_b32 s33, exec_lo
	s_delay_alu instid0(VALU_DEP_4) | instskip(NEXT) | instid1(VALU_DEP_2)
	v_add3_u32 v18, v18, v22, v21
	v_add3_u32 v20, v20, v24, v23
	s_delay_alu instid0(VALU_DEP_2) | instskip(NEXT) | instid1(VALU_DEP_2)
	v_lshlrev_b64 v[17:18], 1, v[17:18]
	v_lshlrev_b64 v[21:22], 1, v[19:20]
	s_delay_alu instid0(VALU_DEP_2) | instskip(NEXT) | instid1(VALU_DEP_3)
	v_add_co_u32 v19, vcc_lo, s16, v17
	v_add_co_ci_u32_e32 v20, vcc_lo, s17, v18, vcc_lo
	s_delay_alu instid0(VALU_DEP_3) | instskip(NEXT) | instid1(VALU_DEP_4)
	v_add_co_u32 v17, vcc_lo, s16, v21
	v_add_co_ci_u32_e32 v18, vcc_lo, s17, v22, vcc_lo
	s_clause 0x1
	global_load_u16 v21, v[19:20], off
	global_load_u16 v22, v[17:18], off
	s_waitcnt vmcnt(0)
	v_cmpx_eq_u16_e64 v21, v22
	s_cbranch_execz .LBB1447_336
; %bb.330:
	v_add_co_u32 v17, vcc_lo, v17, 2
	v_add_co_ci_u32_e32 v18, vcc_lo, 0, v18, vcc_lo
	v_add_co_u32 v19, vcc_lo, v19, 2
	v_add_co_ci_u32_e32 v20, vcc_lo, 0, v20, vcc_lo
	s_add_u32 s4, s14, -1
	s_addc_u32 s5, s15, -1
	s_mov_b64 s[6:7], 0
	s_mov_b32 s35, 0
                                        ; implicit-def: $sgpr36
	s_set_inst_prefetch_distance 0x1
	s_branch .LBB1447_333
	.p2align	6
.LBB1447_331:                           ;   in Loop: Header=BB1447_333 Depth=1
	global_load_u16 v21, v[19:20], off
	global_load_u16 v22, v[17:18], off
	v_add_co_u32 v17, vcc_lo, v17, 2
	v_add_co_ci_u32_e32 v18, vcc_lo, 0, v18, vcc_lo
	v_add_co_u32 v19, s0, v19, 2
	s_delay_alu instid0(VALU_DEP_1)
	v_add_co_ci_u32_e64 v20, s0, 0, v20, s0
	s_add_u32 s6, s6, 1
	s_addc_u32 s7, s7, 0
	s_and_not1_b32 s0, s36, exec_lo
	s_waitcnt vmcnt(0)
	v_cmp_ne_u16_e32 vcc_lo, v21, v22
	s_and_b32 s36, vcc_lo, exec_lo
	s_delay_alu instid0(SALU_CYCLE_1)
	s_or_b32 s36, s0, s36
.LBB1447_332:                           ;   in Loop: Header=BB1447_333 Depth=1
	v_dual_mov_b32 v22, s7 :: v_dual_mov_b32 v21, s6
	s_and_b32 s0, exec_lo, s36
	s_delay_alu instid0(SALU_CYCLE_1) | instskip(NEXT) | instid1(SALU_CYCLE_1)
	s_or_b32 s35, s0, s35
	s_and_not1_b32 exec_lo, exec_lo, s35
	s_cbranch_execz .LBB1447_335
.LBB1447_333:                           ; =>This Inner Loop Header: Depth=1
	s_or_b32 s36, s36, exec_lo
	s_cmp_eq_u64 s[4:5], s[6:7]
	s_cbranch_scc0 .LBB1447_331
; %bb.334:                              ;   in Loop: Header=BB1447_333 Depth=1
	s_mov_b64 s[6:7], s[14:15]
                                        ; implicit-def: $vgpr17_vgpr18
                                        ; implicit-def: $vgpr19_vgpr20
	s_branch .LBB1447_332
.LBB1447_335:
	s_set_inst_prefetch_distance 0x2
	s_or_b32 exec_lo, exec_lo, s35
	v_cmp_gt_i64_e32 vcc_lo, s[14:15], v[21:22]
	s_or_not1_b32 s0, vcc_lo, exec_lo
.LBB1447_336:
	s_or_b32 exec_lo, exec_lo, s33
.LBB1447_337:
	s_delay_alu instid0(SALU_CYCLE_1)
	s_and_b32 s33, s0, exec_lo
.LBB1447_338:
	s_or_b32 exec_lo, exec_lo, s34
	v_or_b32_e32 v17, 1, v39
	s_mov_b32 s0, 0
	s_mov_b32 s34, exec_lo
	s_delay_alu instid0(VALU_DEP_1)
	v_cmpx_gt_u32_e64 s12, v17
	s_cbranch_execz .LBB1447_349
; %bb.339:
	s_and_not1_b32 vcc_lo, exec_lo, s26
	s_cbranch_vccnz .LBB1447_348
; %bb.340:
	v_mul_lo_u32 v21, v14, s14
	v_mul_lo_u32 v22, v13, s15
	v_mad_u64_u32 v[17:18], null, v13, s14, 0
	v_mul_lo_u32 v23, v16, s14
	v_mul_lo_u32 v24, v15, s15
	v_mad_u64_u32 v[19:20], null, v15, s14, 0
	s_mov_b32 s0, -1
	s_mov_b32 s35, exec_lo
	s_delay_alu instid0(VALU_DEP_4) | instskip(NEXT) | instid1(VALU_DEP_2)
	v_add3_u32 v18, v18, v22, v21
	v_add3_u32 v20, v20, v24, v23
	s_delay_alu instid0(VALU_DEP_2) | instskip(NEXT) | instid1(VALU_DEP_2)
	v_lshlrev_b64 v[17:18], 1, v[17:18]
	v_lshlrev_b64 v[21:22], 1, v[19:20]
	s_delay_alu instid0(VALU_DEP_2) | instskip(NEXT) | instid1(VALU_DEP_3)
	v_add_co_u32 v19, vcc_lo, s16, v17
	v_add_co_ci_u32_e32 v20, vcc_lo, s17, v18, vcc_lo
	s_delay_alu instid0(VALU_DEP_3) | instskip(NEXT) | instid1(VALU_DEP_4)
	v_add_co_u32 v17, vcc_lo, s16, v21
	v_add_co_ci_u32_e32 v18, vcc_lo, s17, v22, vcc_lo
	s_clause 0x1
	global_load_u16 v21, v[19:20], off
	global_load_u16 v22, v[17:18], off
	s_waitcnt vmcnt(0)
	v_cmpx_eq_u16_e64 v21, v22
	s_cbranch_execz .LBB1447_347
; %bb.341:
	v_add_co_u32 v17, vcc_lo, v17, 2
	v_add_co_ci_u32_e32 v18, vcc_lo, 0, v18, vcc_lo
	v_add_co_u32 v19, vcc_lo, v19, 2
	v_add_co_ci_u32_e32 v20, vcc_lo, 0, v20, vcc_lo
	s_add_u32 s4, s14, -1
	s_addc_u32 s5, s15, -1
	s_mov_b64 s[6:7], 0
	s_mov_b32 s36, 0
                                        ; implicit-def: $sgpr37
	s_set_inst_prefetch_distance 0x1
	s_branch .LBB1447_344
	.p2align	6
.LBB1447_342:                           ;   in Loop: Header=BB1447_344 Depth=1
	global_load_u16 v21, v[19:20], off
	global_load_u16 v22, v[17:18], off
	v_add_co_u32 v17, vcc_lo, v17, 2
	v_add_co_ci_u32_e32 v18, vcc_lo, 0, v18, vcc_lo
	v_add_co_u32 v19, s0, v19, 2
	s_delay_alu instid0(VALU_DEP_1)
	v_add_co_ci_u32_e64 v20, s0, 0, v20, s0
	s_add_u32 s6, s6, 1
	s_addc_u32 s7, s7, 0
	s_and_not1_b32 s0, s37, exec_lo
	s_waitcnt vmcnt(0)
	v_cmp_ne_u16_e32 vcc_lo, v21, v22
	s_and_b32 s37, vcc_lo, exec_lo
	s_delay_alu instid0(SALU_CYCLE_1)
	s_or_b32 s37, s0, s37
.LBB1447_343:                           ;   in Loop: Header=BB1447_344 Depth=1
	v_dual_mov_b32 v22, s7 :: v_dual_mov_b32 v21, s6
	s_and_b32 s0, exec_lo, s37
	s_delay_alu instid0(SALU_CYCLE_1) | instskip(NEXT) | instid1(SALU_CYCLE_1)
	s_or_b32 s36, s0, s36
	s_and_not1_b32 exec_lo, exec_lo, s36
	s_cbranch_execz .LBB1447_346
.LBB1447_344:                           ; =>This Inner Loop Header: Depth=1
	s_or_b32 s37, s37, exec_lo
	s_cmp_eq_u64 s[4:5], s[6:7]
	s_cbranch_scc0 .LBB1447_342
; %bb.345:                              ;   in Loop: Header=BB1447_344 Depth=1
	s_mov_b64 s[6:7], s[14:15]
                                        ; implicit-def: $vgpr17_vgpr18
                                        ; implicit-def: $vgpr19_vgpr20
	s_branch .LBB1447_343
.LBB1447_346:
	s_set_inst_prefetch_distance 0x2
	s_or_b32 exec_lo, exec_lo, s36
	v_cmp_gt_i64_e32 vcc_lo, s[14:15], v[21:22]
	s_or_not1_b32 s0, vcc_lo, exec_lo
.LBB1447_347:
	s_or_b32 exec_lo, exec_lo, s35
.LBB1447_348:
	s_delay_alu instid0(SALU_CYCLE_1)
	s_and_b32 s0, s0, exec_lo
.LBB1447_349:
	s_or_b32 exec_lo, exec_lo, s34
	v_cndmask_b32_e64 v18, 0, 1, s31
	v_cndmask_b32_e64 v19, 0, 1, s30
	;; [unrolled: 1-line block ×7, first 2 shown]
	v_lshlrev_b16 v19, 8, v19
	v_lshlrev_b16 v20, 8, v20
	;; [unrolled: 1-line block ×4, first 2 shown]
	s_waitcnt lgkmcnt(0)
	v_or_b32_e32 v19, v22, v19
	v_or_b32_e32 v20, v23, v20
	;; [unrolled: 1-line block ×4, first 2 shown]
	s_barrier
	v_and_b32_e32 v18, 0xffff, v19
	v_lshlrev_b32_e32 v19, 16, v20
	v_and_b32_e32 v21, 0xffff, v21
	v_lshlrev_b32_e32 v17, 16, v17
	buffer_gl0_inv
                                        ; implicit-def: $sgpr0
	v_or_b32_e32 v20, v18, v19
	v_or_b32_e32 v19, v21, v17
	s_and_saveexec_b32 s27, s3
	s_cbranch_execz .LBB1447_362
; %bb.350:
	s_mov_b32 s0, 0
	s_mov_b32 s3, exec_lo
	v_cmpx_gt_u32_e64 s12, v39
	s_cbranch_execz .LBB1447_361
; %bb.351:
	s_and_not1_b32 vcc_lo, exec_lo, s26
	s_cbranch_vccnz .LBB1447_360
; %bb.352:
	v_add_nc_u32_e32 v17, -8, v39
	v_mul_lo_u32 v25, v14, s14
	v_mul_lo_u32 v26, v13, s15
	s_mov_b32 s0, -1
	ds_load_b64 v[17:18], v17
	s_waitcnt lgkmcnt(0)
	v_mul_lo_u32 v23, v18, s14
	v_mul_lo_u32 v24, v17, s15
	v_mad_u64_u32 v[21:22], null, v17, s14, 0
	v_mad_u64_u32 v[17:18], null, v13, s14, 0
	s_delay_alu instid0(VALU_DEP_2) | instskip(NEXT) | instid1(VALU_DEP_2)
	v_add3_u32 v22, v22, v24, v23
	v_add3_u32 v18, v18, v26, v25
	s_delay_alu instid0(VALU_DEP_2) | instskip(NEXT) | instid1(VALU_DEP_2)
	v_lshlrev_b64 v[21:22], 1, v[21:22]
	v_lshlrev_b64 v[17:18], 1, v[17:18]
	s_delay_alu instid0(VALU_DEP_2) | instskip(NEXT) | instid1(VALU_DEP_3)
	v_add_co_u32 v21, vcc_lo, s16, v21
	v_add_co_ci_u32_e32 v22, vcc_lo, s17, v22, vcc_lo
	s_delay_alu instid0(VALU_DEP_3) | instskip(NEXT) | instid1(VALU_DEP_4)
	v_add_co_u32 v17, vcc_lo, s16, v17
	v_add_co_ci_u32_e32 v18, vcc_lo, s17, v18, vcc_lo
	s_clause 0x1
	global_load_u16 v23, v[21:22], off
	global_load_u16 v24, v[17:18], off
	s_mov_b32 s16, exec_lo
	s_waitcnt vmcnt(0)
	v_cmpx_eq_u16_e64 v23, v24
	s_cbranch_execz .LBB1447_359
; %bb.353:
	v_add_co_u32 v17, vcc_lo, v17, 2
	v_add_co_ci_u32_e32 v18, vcc_lo, 0, v18, vcc_lo
	v_add_co_u32 v21, vcc_lo, v21, 2
	v_add_co_ci_u32_e32 v22, vcc_lo, 0, v22, vcc_lo
	s_add_u32 s4, s14, -1
	s_addc_u32 s5, s15, -1
	s_mov_b64 s[6:7], 0
	s_mov_b32 s17, 0
                                        ; implicit-def: $sgpr26
	s_set_inst_prefetch_distance 0x1
	s_branch .LBB1447_356
	.p2align	6
.LBB1447_354:                           ;   in Loop: Header=BB1447_356 Depth=1
	global_load_u16 v23, v[21:22], off
	global_load_u16 v24, v[17:18], off
	v_add_co_u32 v17, vcc_lo, v17, 2
	v_add_co_ci_u32_e32 v18, vcc_lo, 0, v18, vcc_lo
	v_add_co_u32 v21, s0, v21, 2
	s_delay_alu instid0(VALU_DEP_1)
	v_add_co_ci_u32_e64 v22, s0, 0, v22, s0
	s_add_u32 s6, s6, 1
	s_addc_u32 s7, s7, 0
	s_and_not1_b32 s0, s26, exec_lo
	s_waitcnt vmcnt(0)
	v_cmp_ne_u16_e32 vcc_lo, v23, v24
	s_and_b32 s26, vcc_lo, exec_lo
	s_delay_alu instid0(SALU_CYCLE_1)
	s_or_b32 s26, s0, s26
.LBB1447_355:                           ;   in Loop: Header=BB1447_356 Depth=1
	v_dual_mov_b32 v24, s7 :: v_dual_mov_b32 v23, s6
	s_and_b32 s0, exec_lo, s26
	s_delay_alu instid0(SALU_CYCLE_1) | instskip(NEXT) | instid1(SALU_CYCLE_1)
	s_or_b32 s17, s0, s17
	s_and_not1_b32 exec_lo, exec_lo, s17
	s_cbranch_execz .LBB1447_358
.LBB1447_356:                           ; =>This Inner Loop Header: Depth=1
	s_or_b32 s26, s26, exec_lo
	s_cmp_eq_u64 s[4:5], s[6:7]
	s_cbranch_scc0 .LBB1447_354
; %bb.357:                              ;   in Loop: Header=BB1447_356 Depth=1
	s_mov_b64 s[6:7], s[14:15]
                                        ; implicit-def: $vgpr17_vgpr18
                                        ; implicit-def: $vgpr21_vgpr22
	s_branch .LBB1447_355
.LBB1447_358:
	s_set_inst_prefetch_distance 0x2
	s_or_b32 exec_lo, exec_lo, s17
	v_cmp_gt_i64_e32 vcc_lo, s[14:15], v[23:24]
	s_or_not1_b32 s0, vcc_lo, exec_lo
.LBB1447_359:
	s_or_b32 exec_lo, exec_lo, s16
.LBB1447_360:
	s_delay_alu instid0(SALU_CYCLE_1)
	s_and_b32 s0, s0, exec_lo
.LBB1447_361:
	s_or_b32 exec_lo, exec_lo, s3
	s_delay_alu instid0(SALU_CYCLE_1)
	s_and_b32 s0, s0, exec_lo
	s_or_b32 s25, s25, exec_lo
.LBB1447_362:
	s_or_b32 exec_lo, exec_lo, s27
.LBB1447_363:
	s_and_saveexec_b32 s3, s25
	s_cbranch_execz .LBB1447_365
; %bb.364:
	s_waitcnt vmcnt(0) lgkmcnt(0)
	v_and_b32_e32 v17, 0xffffff00, v19
	v_cndmask_b32_e64 v18, 0, 1, s0
	s_delay_alu instid0(VALU_DEP_1) | instskip(NEXT) | instid1(VALU_DEP_1)
	v_or_b32_e32 v17, v18, v17
	v_and_b32_e32 v17, 0xffff, v17
	s_delay_alu instid0(VALU_DEP_1)
	v_and_or_b32 v19, 0xffff0000, v19, v17
.LBB1447_365:
	s_or_b32 exec_lo, exec_lo, s3
	s_delay_alu instid0(SALU_CYCLE_1)
	s_and_not1_b32 vcc_lo, exec_lo, s1
	s_cbranch_vccnz .LBB1447_367
; %bb.366:
	v_cmp_gt_u32_e32 vcc_lo, s12, v39
	s_waitcnt vmcnt(0) lgkmcnt(0)
	v_or_b32_e32 v18, 1, v39
	v_and_b32_e32 v21, 0xffffff00, v20
	v_or_b32_e32 v22, 2, v39
	v_cndmask_b32_e32 v17, 0, v19, vcc_lo
	s_delay_alu instid0(VALU_DEP_4) | instskip(SKIP_1) | instid1(VALU_DEP_4)
	v_cmp_gt_u32_e32 vcc_lo, s12, v18
	v_or_b32_e32 v18, 4, v39
	v_cmp_gt_u32_e64 s0, s12, v22
	v_or_b32_e32 v22, 3, v39
	v_and_b32_e32 v17, 0xff, v17
	s_delay_alu instid0(VALU_DEP_2) | instskip(NEXT) | instid1(VALU_DEP_2)
	v_cmp_gt_u32_e64 s1, s12, v22
	v_cndmask_b32_e32 v17, v17, v19, vcc_lo
	v_cmp_gt_u32_e32 vcc_lo, s12, v18
	v_cndmask_b32_e32 v18, v21, v20, vcc_lo
	v_or_b32_e32 v21, 5, v39
	s_delay_alu instid0(VALU_DEP_2) | instskip(SKIP_1) | instid1(VALU_DEP_1)
	v_and_b32_e32 v18, 0xffff00ff, v18
	v_and_b32_e32 v17, 0xffff, v17
	v_cndmask_b32_e64 v17, v17, v19, s0
	s_delay_alu instid0(VALU_DEP_4) | instskip(SKIP_1) | instid1(VALU_DEP_3)
	v_cmp_gt_u32_e64 s0, s12, v21
	v_or_b32_e32 v21, 6, v39
	v_and_b32_e32 v17, 0xffffff, v17
	s_delay_alu instid0(VALU_DEP_3) | instskip(NEXT) | instid1(VALU_DEP_2)
	v_cndmask_b32_e64 v18, v18, v20, s0
	v_cndmask_b32_e64 v17, v17, v19, s1
	s_delay_alu instid0(VALU_DEP_1) | instskip(SKIP_2) | instid1(VALU_DEP_3)
	v_dual_cndmask_b32 v17, v17, v19 :: v_dual_and_b32 v18, 0xff00ffff, v18
	v_cmp_gt_u32_e32 vcc_lo, s12, v21
	v_or_b32_e32 v21, 7, v39
	v_cndmask_b32_e64 v17, v17, v19, s0
	s_delay_alu instid0(VALU_DEP_1) | instskip(NEXT) | instid1(VALU_DEP_1)
	v_dual_cndmask_b32 v18, v18, v20 :: v_dual_cndmask_b32 v17, v17, v19
	v_and_b32_e32 v18, 0xffffff, v18
	s_delay_alu instid0(VALU_DEP_4) | instskip(NEXT) | instid1(VALU_DEP_2)
	v_cmp_gt_u32_e32 vcc_lo, s12, v21
	v_dual_cndmask_b32 v20, v18, v20 :: v_dual_cndmask_b32 v19, v17, v19
.LBB1447_367:
	s_delay_alu instid0(VALU_DEP_1) | instskip(SKIP_1) | instid1(VALU_DEP_2)
	v_and_b32_e32 v28, 0xff, v19
	s_waitcnt vmcnt(0) lgkmcnt(0)
	v_alignbit_b32 v17, v20, v19, 24
	v_bfe_u32 v30, v19, 8, 8
	v_bfe_u32 v32, v19, 16, 8
	v_and_b32_e32 v36, 0xff, v20
	v_bfe_u32 v38, v20, 8, 8
	v_and_b32_e32 v34, 0xff, v17
	v_add_nc_u32_e32 v17, v30, v28
	v_mbcnt_lo_u32_b32 v42, -1, 0
	v_bfe_u32 v41, v20, 16, 8
	v_lshrrev_b32_e32 v40, 24, v20
	v_lshrrev_b32_e32 v43, 5, v0
	v_add3_u32 v17, v17, v32, v34
	v_and_b32_e32 v18, 15, v42
	v_and_b32_e32 v21, 16, v42
	s_and_b32 vcc_lo, exec_lo, s24
	s_mov_b32 s7, -1
	v_add3_u32 v17, v17, v36, v38
	v_cmp_eq_u32_e64 s3, 0, v18
	v_cmp_lt_u32_e64 s0, 1, v18
	v_cmp_lt_u32_e64 s4, 3, v18
	;; [unrolled: 1-line block ×3, first 2 shown]
	v_add3_u32 v44, v17, v41, v40
	v_or_b32_e32 v17, 31, v0
	v_cmp_eq_u32_e64 s6, 0, v21
	s_barrier
	buffer_gl0_inv
	v_cmp_eq_u32_e64 s5, v17, v0
	s_cbranch_vccz .LBB1447_393
; %bb.368:
	v_mov_b32_dpp v17, v44 row_shr:1 row_mask:0xf bank_mask:0xf
	s_delay_alu instid0(VALU_DEP_1) | instskip(NEXT) | instid1(VALU_DEP_1)
	v_cndmask_b32_e64 v17, v17, 0, s3
	v_add_nc_u32_e32 v17, v17, v44
	s_delay_alu instid0(VALU_DEP_1) | instskip(NEXT) | instid1(VALU_DEP_1)
	v_mov_b32_dpp v18, v17 row_shr:2 row_mask:0xf bank_mask:0xf
	v_cndmask_b32_e64 v18, 0, v18, s0
	s_delay_alu instid0(VALU_DEP_1) | instskip(NEXT) | instid1(VALU_DEP_1)
	v_add_nc_u32_e32 v17, v17, v18
	v_mov_b32_dpp v18, v17 row_shr:4 row_mask:0xf bank_mask:0xf
	s_delay_alu instid0(VALU_DEP_1) | instskip(NEXT) | instid1(VALU_DEP_1)
	v_cndmask_b32_e64 v18, 0, v18, s4
	v_add_nc_u32_e32 v17, v17, v18
	s_delay_alu instid0(VALU_DEP_1) | instskip(NEXT) | instid1(VALU_DEP_1)
	v_mov_b32_dpp v18, v17 row_shr:8 row_mask:0xf bank_mask:0xf
	v_cndmask_b32_e64 v18, 0, v18, s1
	s_delay_alu instid0(VALU_DEP_1) | instskip(SKIP_3) | instid1(VALU_DEP_1)
	v_add_nc_u32_e32 v17, v17, v18
	ds_swizzle_b32 v18, v17 offset:swizzle(BROADCAST,32,15)
	s_waitcnt lgkmcnt(0)
	v_cndmask_b32_e64 v18, v18, 0, s6
	v_add_nc_u32_e32 v17, v17, v18
	s_and_saveexec_b32 s7, s5
	s_cbranch_execz .LBB1447_370
; %bb.369:
	v_lshlrev_b32_e32 v18, 2, v43
	ds_store_b32 v18, v17
.LBB1447_370:
	s_or_b32 exec_lo, exec_lo, s7
	s_delay_alu instid0(SALU_CYCLE_1)
	s_mov_b32 s7, exec_lo
	s_waitcnt lgkmcnt(0)
	s_barrier
	buffer_gl0_inv
	v_cmpx_gt_u32_e32 16, v0
	s_cbranch_execz .LBB1447_372
; %bb.371:
	v_lshlrev_b32_e32 v18, 2, v0
	ds_load_b32 v21, v18
	s_waitcnt lgkmcnt(0)
	v_mov_b32_dpp v22, v21 row_shr:1 row_mask:0xf bank_mask:0xf
	s_delay_alu instid0(VALU_DEP_1) | instskip(NEXT) | instid1(VALU_DEP_1)
	v_cndmask_b32_e64 v22, v22, 0, s3
	v_add_nc_u32_e32 v21, v22, v21
	s_delay_alu instid0(VALU_DEP_1) | instskip(NEXT) | instid1(VALU_DEP_1)
	v_mov_b32_dpp v22, v21 row_shr:2 row_mask:0xf bank_mask:0xf
	v_cndmask_b32_e64 v22, 0, v22, s0
	s_delay_alu instid0(VALU_DEP_1) | instskip(NEXT) | instid1(VALU_DEP_1)
	v_add_nc_u32_e32 v21, v21, v22
	v_mov_b32_dpp v22, v21 row_shr:4 row_mask:0xf bank_mask:0xf
	s_delay_alu instid0(VALU_DEP_1) | instskip(NEXT) | instid1(VALU_DEP_1)
	v_cndmask_b32_e64 v22, 0, v22, s4
	v_add_nc_u32_e32 v21, v21, v22
	s_delay_alu instid0(VALU_DEP_1) | instskip(NEXT) | instid1(VALU_DEP_1)
	v_mov_b32_dpp v22, v21 row_shr:8 row_mask:0xf bank_mask:0xf
	v_cndmask_b32_e64 v22, 0, v22, s1
	s_delay_alu instid0(VALU_DEP_1)
	v_add_nc_u32_e32 v21, v21, v22
	ds_store_b32 v18, v21
.LBB1447_372:
	s_or_b32 exec_lo, exec_lo, s7
	v_cmp_gt_u32_e32 vcc_lo, 32, v0
	s_mov_b32 s12, exec_lo
	s_waitcnt lgkmcnt(0)
	s_barrier
	buffer_gl0_inv
                                        ; implicit-def: $vgpr27
	v_cmpx_lt_u32_e32 31, v0
	s_cbranch_execz .LBB1447_374
; %bb.373:
	v_lshl_add_u32 v18, v43, 2, -4
	ds_load_b32 v27, v18
	s_waitcnt lgkmcnt(0)
	v_add_nc_u32_e32 v17, v27, v17
.LBB1447_374:
	s_or_b32 exec_lo, exec_lo, s12
	v_add_nc_u32_e32 v18, -1, v42
	s_delay_alu instid0(VALU_DEP_1) | instskip(NEXT) | instid1(VALU_DEP_1)
	v_cmp_gt_i32_e64 s7, 0, v18
	v_cndmask_b32_e64 v18, v18, v42, s7
	v_cmp_eq_u32_e64 s7, 0, v42
	s_delay_alu instid0(VALU_DEP_2)
	v_lshlrev_b32_e32 v18, 2, v18
	ds_bpermute_b32 v29, v18, v17
	s_and_saveexec_b32 s12, vcc_lo
	s_cbranch_execz .LBB1447_392
; %bb.375:
	v_mov_b32_e32 v23, 0
	ds_load_b32 v17, v23 offset:60
	s_and_saveexec_b32 s14, s7
	s_cbranch_execz .LBB1447_377
; %bb.376:
	s_add_i32 s16, s23, 32
	s_mov_b32 s17, 0
	v_mov_b32_e32 v18, 1
	s_lshl_b64 s[16:17], s[16:17], 3
	s_delay_alu instid0(SALU_CYCLE_1)
	s_add_u32 s16, s18, s16
	s_addc_u32 s17, s19, s17
	s_waitcnt lgkmcnt(0)
	global_store_b64 v23, v[17:18], s[16:17]
.LBB1447_377:
	s_or_b32 exec_lo, exec_lo, s14
	v_xad_u32 v21, v42, -1, s23
	s_mov_b32 s15, 0
	s_mov_b32 s14, exec_lo
	s_delay_alu instid0(VALU_DEP_1) | instskip(NEXT) | instid1(VALU_DEP_1)
	v_add_nc_u32_e32 v22, 32, v21
	v_lshlrev_b64 v[22:23], 3, v[22:23]
	s_delay_alu instid0(VALU_DEP_1) | instskip(NEXT) | instid1(VALU_DEP_2)
	v_add_co_u32 v25, vcc_lo, s18, v22
	v_add_co_ci_u32_e32 v26, vcc_lo, s19, v23, vcc_lo
	global_load_b64 v[23:24], v[25:26], off glc
	s_waitcnt vmcnt(0)
	v_and_b32_e32 v18, 0xff, v24
	s_delay_alu instid0(VALU_DEP_1)
	v_cmpx_eq_u16_e32 0, v18
	s_cbranch_execz .LBB1447_380
.LBB1447_378:                           ; =>This Inner Loop Header: Depth=1
	global_load_b64 v[23:24], v[25:26], off glc
	s_waitcnt vmcnt(0)
	v_and_b32_e32 v18, 0xff, v24
	s_delay_alu instid0(VALU_DEP_1) | instskip(SKIP_1) | instid1(SALU_CYCLE_1)
	v_cmp_ne_u16_e32 vcc_lo, 0, v18
	s_or_b32 s15, vcc_lo, s15
	s_and_not1_b32 exec_lo, exec_lo, s15
	s_cbranch_execnz .LBB1447_378
; %bb.379:
	s_or_b32 exec_lo, exec_lo, s15
.LBB1447_380:
	s_delay_alu instid0(SALU_CYCLE_1)
	s_or_b32 exec_lo, exec_lo, s14
	v_cmp_ne_u32_e32 vcc_lo, 31, v42
	v_and_b32_e32 v22, 0xff, v24
	v_lshlrev_b32_e64 v31, v42, -1
	v_add_nc_u32_e32 v35, 2, v42
	v_add_nc_u32_e32 v45, 4, v42
	v_add_co_ci_u32_e32 v18, vcc_lo, 0, v42, vcc_lo
	v_cmp_eq_u16_e32 vcc_lo, 2, v22
	v_add_nc_u32_e32 v48, 8, v42
	v_add_nc_u32_e32 v50, 16, v42
	v_and_or_b32 v22, vcc_lo, v31, 0x80000000
	v_cmp_gt_u32_e32 vcc_lo, 30, v42
	s_delay_alu instid0(VALU_DEP_2) | instskip(SKIP_1) | instid1(VALU_DEP_2)
	v_ctz_i32_b32_e32 v22, v22
	v_cndmask_b32_e64 v26, 0, 1, vcc_lo
	v_cmp_lt_u32_e32 vcc_lo, v42, v22
	v_lshlrev_b32_e32 v18, 2, v18
	s_delay_alu instid0(VALU_DEP_3)
	v_lshlrev_b32_e32 v26, 1, v26
	ds_bpermute_b32 v25, v18, v23
	v_add_lshl_u32 v33, v26, v42, 2
	s_waitcnt lgkmcnt(0)
	v_cndmask_b32_e32 v25, 0, v25, vcc_lo
	v_cmp_gt_u32_e32 vcc_lo, 28, v42
	s_delay_alu instid0(VALU_DEP_2) | instskip(SKIP_4) | instid1(VALU_DEP_1)
	v_add_nc_u32_e32 v23, v25, v23
	v_cndmask_b32_e64 v26, 0, 1, vcc_lo
	v_cmp_le_u32_e32 vcc_lo, v35, v22
	ds_bpermute_b32 v25, v33, v23
	v_lshlrev_b32_e32 v26, 2, v26
	v_add_lshl_u32 v37, v26, v42, 2
	s_waitcnt lgkmcnt(0)
	v_cndmask_b32_e32 v25, 0, v25, vcc_lo
	v_cmp_gt_u32_e32 vcc_lo, 24, v42
	s_delay_alu instid0(VALU_DEP_2) | instskip(SKIP_4) | instid1(VALU_DEP_1)
	v_add_nc_u32_e32 v23, v23, v25
	v_cndmask_b32_e64 v26, 0, 1, vcc_lo
	v_cmp_le_u32_e32 vcc_lo, v45, v22
	ds_bpermute_b32 v25, v37, v23
	v_lshlrev_b32_e32 v26, 3, v26
	;; [unrolled: 10-line block ×3, first 2 shown]
	v_add_lshl_u32 v49, v26, v42, 2
	s_waitcnt lgkmcnt(0)
	v_cndmask_b32_e32 v25, 0, v25, vcc_lo
	v_cmp_le_u32_e32 vcc_lo, v50, v22
	s_delay_alu instid0(VALU_DEP_2) | instskip(SKIP_3) | instid1(VALU_DEP_1)
	v_add_nc_u32_e32 v23, v23, v25
	ds_bpermute_b32 v25, v49, v23
	s_waitcnt lgkmcnt(0)
	v_cndmask_b32_e32 v22, 0, v25, vcc_lo
	v_dual_mov_b32 v22, 0 :: v_dual_add_nc_u32 v23, v23, v22
	s_branch .LBB1447_382
.LBB1447_381:                           ;   in Loop: Header=BB1447_382 Depth=1
	s_or_b32 exec_lo, exec_lo, s14
	ds_bpermute_b32 v26, v18, v23
	v_and_b32_e32 v25, 0xff, v24
	v_subrev_nc_u32_e32 v21, 32, v21
	s_delay_alu instid0(VALU_DEP_2) | instskip(SKIP_1) | instid1(VALU_DEP_1)
	v_cmp_eq_u16_e32 vcc_lo, 2, v25
	v_and_or_b32 v25, vcc_lo, v31, 0x80000000
	v_ctz_i32_b32_e32 v25, v25
	s_delay_alu instid0(VALU_DEP_1) | instskip(SKIP_3) | instid1(VALU_DEP_2)
	v_cmp_lt_u32_e32 vcc_lo, v42, v25
	s_waitcnt lgkmcnt(0)
	v_cndmask_b32_e32 v26, 0, v26, vcc_lo
	v_cmp_le_u32_e32 vcc_lo, v35, v25
	v_add_nc_u32_e32 v23, v26, v23
	ds_bpermute_b32 v26, v33, v23
	s_waitcnt lgkmcnt(0)
	v_cndmask_b32_e32 v26, 0, v26, vcc_lo
	v_cmp_le_u32_e32 vcc_lo, v45, v25
	s_delay_alu instid0(VALU_DEP_2) | instskip(SKIP_4) | instid1(VALU_DEP_2)
	v_add_nc_u32_e32 v23, v23, v26
	ds_bpermute_b32 v26, v37, v23
	s_waitcnt lgkmcnt(0)
	v_cndmask_b32_e32 v26, 0, v26, vcc_lo
	v_cmp_le_u32_e32 vcc_lo, v48, v25
	v_add_nc_u32_e32 v23, v23, v26
	ds_bpermute_b32 v26, v47, v23
	s_waitcnt lgkmcnt(0)
	v_cndmask_b32_e32 v26, 0, v26, vcc_lo
	v_cmp_le_u32_e32 vcc_lo, v50, v25
	s_delay_alu instid0(VALU_DEP_2) | instskip(SKIP_3) | instid1(VALU_DEP_1)
	v_add_nc_u32_e32 v23, v23, v26
	ds_bpermute_b32 v26, v49, v23
	s_waitcnt lgkmcnt(0)
	v_cndmask_b32_e32 v25, 0, v26, vcc_lo
	v_add3_u32 v23, v25, v46, v23
.LBB1447_382:                           ; =>This Loop Header: Depth=1
                                        ;     Child Loop BB1447_385 Depth 2
	v_and_b32_e32 v24, 0xff, v24
	s_delay_alu instid0(VALU_DEP_2) | instskip(NEXT) | instid1(VALU_DEP_2)
	v_mov_b32_e32 v46, v23
	v_cmp_ne_u16_e32 vcc_lo, 2, v24
	v_cndmask_b32_e64 v24, 0, 1, vcc_lo
	;;#ASMSTART
	;;#ASMEND
	s_delay_alu instid0(VALU_DEP_1)
	v_cmp_ne_u32_e32 vcc_lo, 0, v24
	s_cmp_lg_u32 vcc_lo, exec_lo
	s_cbranch_scc1 .LBB1447_387
; %bb.383:                              ;   in Loop: Header=BB1447_382 Depth=1
	v_lshlrev_b64 v[23:24], 3, v[21:22]
	s_mov_b32 s14, exec_lo
	s_delay_alu instid0(VALU_DEP_1) | instskip(NEXT) | instid1(VALU_DEP_2)
	v_add_co_u32 v25, vcc_lo, s18, v23
	v_add_co_ci_u32_e32 v26, vcc_lo, s19, v24, vcc_lo
	global_load_b64 v[23:24], v[25:26], off glc
	s_waitcnt vmcnt(0)
	v_and_b32_e32 v51, 0xff, v24
	s_delay_alu instid0(VALU_DEP_1)
	v_cmpx_eq_u16_e32 0, v51
	s_cbranch_execz .LBB1447_381
; %bb.384:                              ;   in Loop: Header=BB1447_382 Depth=1
	s_mov_b32 s15, 0
.LBB1447_385:                           ;   Parent Loop BB1447_382 Depth=1
                                        ; =>  This Inner Loop Header: Depth=2
	global_load_b64 v[23:24], v[25:26], off glc
	s_waitcnt vmcnt(0)
	v_and_b32_e32 v51, 0xff, v24
	s_delay_alu instid0(VALU_DEP_1) | instskip(SKIP_1) | instid1(SALU_CYCLE_1)
	v_cmp_ne_u16_e32 vcc_lo, 0, v51
	s_or_b32 s15, vcc_lo, s15
	s_and_not1_b32 exec_lo, exec_lo, s15
	s_cbranch_execnz .LBB1447_385
; %bb.386:                              ;   in Loop: Header=BB1447_382 Depth=1
	s_or_b32 exec_lo, exec_lo, s15
	s_branch .LBB1447_381
.LBB1447_387:                           ;   in Loop: Header=BB1447_382 Depth=1
                                        ; implicit-def: $vgpr23
                                        ; implicit-def: $vgpr24
	s_cbranch_execz .LBB1447_382
; %bb.388:
	s_and_saveexec_b32 s14, s7
	s_cbranch_execz .LBB1447_390
; %bb.389:
	s_add_i32 s16, s23, 32
	s_mov_b32 s17, 0
	v_dual_mov_b32 v22, 2 :: v_dual_add_nc_u32 v21, v46, v17
	s_lshl_b64 s[16:17], s[16:17], 3
	v_mov_b32_e32 v18, 0
	v_add_nc_u32_e64 v23, 0x8400, 0
	s_add_u32 s16, s18, s16
	s_addc_u32 s17, s19, s17
	global_store_b64 v18, v[21:22], s[16:17]
	ds_store_2addr_b32 v23, v17, v46 offset1:2
.LBB1447_390:
	s_or_b32 exec_lo, exec_lo, s14
	s_delay_alu instid0(SALU_CYCLE_1)
	s_and_b32 exec_lo, exec_lo, s2
	s_cbranch_execz .LBB1447_392
; %bb.391:
	v_mov_b32_e32 v17, 0
	ds_store_b32 v17, v46 offset:60
.LBB1447_392:
	s_or_b32 exec_lo, exec_lo, s12
	v_mov_b32_e32 v17, 0
	s_waitcnt lgkmcnt(0)
	s_waitcnt_vscnt null, 0x0
	s_barrier
	buffer_gl0_inv
	v_cndmask_b32_e64 v18, v29, v27, s7
	ds_load_b32 v17, v17 offset:60
	s_waitcnt lgkmcnt(0)
	s_barrier
	buffer_gl0_inv
	v_cndmask_b32_e64 v18, v18, 0, s2
	s_delay_alu instid0(VALU_DEP_1) | instskip(SKIP_1) | instid1(VALU_DEP_2)
	v_add_nc_u32_e32 v37, v17, v18
	v_add_nc_u32_e64 v17, 0x8400, 0
	v_add_nc_u32_e32 v35, v37, v28
	ds_load_2addr_b32 v[17:18], v17 offset1:2
	v_add_nc_u32_e32 v33, v35, v30
	s_delay_alu instid0(VALU_DEP_1) | instskip(NEXT) | instid1(VALU_DEP_1)
	v_add_nc_u32_e32 v31, v33, v32
	v_add_nc_u32_e32 v29, v31, v34
	s_delay_alu instid0(VALU_DEP_1) | instskip(NEXT) | instid1(VALU_DEP_1)
	v_add_nc_u32_e32 v27, v29, v36
	v_add_nc_u32_e32 v25, v27, v38
	s_delay_alu instid0(VALU_DEP_1)
	v_add_nc_u32_e32 v23, v25, v41
	v_lshrrev_b64 v[21:22], 24, v[19:20]
	s_branch .LBB1447_403
.LBB1447_393:
                                        ; implicit-def: $vgpr23
                                        ; implicit-def: $vgpr25
                                        ; implicit-def: $vgpr27
                                        ; implicit-def: $vgpr29
                                        ; implicit-def: $vgpr31
                                        ; implicit-def: $vgpr33
                                        ; implicit-def: $vgpr35
                                        ; implicit-def: $vgpr37
                                        ; implicit-def: $vgpr18
	v_lshrrev_b64 v[21:22], 24, v[19:20]
	s_and_b32 vcc_lo, exec_lo, s7
	s_cbranch_vccz .LBB1447_403
; %bb.394:
	s_waitcnt lgkmcnt(0)
	v_mov_b32_dpp v17, v44 row_shr:1 row_mask:0xf bank_mask:0xf
	s_delay_alu instid0(VALU_DEP_1) | instskip(NEXT) | instid1(VALU_DEP_1)
	v_cndmask_b32_e64 v17, v17, 0, s3
	v_add_nc_u32_e32 v17, v17, v44
	s_delay_alu instid0(VALU_DEP_1) | instskip(NEXT) | instid1(VALU_DEP_1)
	v_mov_b32_dpp v18, v17 row_shr:2 row_mask:0xf bank_mask:0xf
	v_cndmask_b32_e64 v18, 0, v18, s0
	s_delay_alu instid0(VALU_DEP_1) | instskip(NEXT) | instid1(VALU_DEP_1)
	v_add_nc_u32_e32 v17, v17, v18
	v_mov_b32_dpp v18, v17 row_shr:4 row_mask:0xf bank_mask:0xf
	s_delay_alu instid0(VALU_DEP_1) | instskip(NEXT) | instid1(VALU_DEP_1)
	v_cndmask_b32_e64 v18, 0, v18, s4
	v_add_nc_u32_e32 v17, v17, v18
	s_delay_alu instid0(VALU_DEP_1) | instskip(NEXT) | instid1(VALU_DEP_1)
	v_mov_b32_dpp v18, v17 row_shr:8 row_mask:0xf bank_mask:0xf
	v_cndmask_b32_e64 v18, 0, v18, s1
	s_delay_alu instid0(VALU_DEP_1) | instskip(SKIP_3) | instid1(VALU_DEP_1)
	v_add_nc_u32_e32 v17, v17, v18
	ds_swizzle_b32 v18, v17 offset:swizzle(BROADCAST,32,15)
	s_waitcnt lgkmcnt(0)
	v_cndmask_b32_e64 v18, v18, 0, s6
	v_add_nc_u32_e32 v17, v17, v18
	s_and_saveexec_b32 s6, s5
	s_cbranch_execz .LBB1447_396
; %bb.395:
	v_lshlrev_b32_e32 v18, 2, v43
	ds_store_b32 v18, v17
.LBB1447_396:
	s_or_b32 exec_lo, exec_lo, s6
	s_delay_alu instid0(SALU_CYCLE_1)
	s_mov_b32 s5, exec_lo
	s_waitcnt lgkmcnt(0)
	s_barrier
	buffer_gl0_inv
	v_cmpx_gt_u32_e32 16, v0
	s_cbranch_execz .LBB1447_398
; %bb.397:
	v_lshlrev_b32_e32 v18, 2, v0
	ds_load_b32 v22, v18
	s_waitcnt lgkmcnt(0)
	v_mov_b32_dpp v23, v22 row_shr:1 row_mask:0xf bank_mask:0xf
	s_delay_alu instid0(VALU_DEP_1) | instskip(NEXT) | instid1(VALU_DEP_1)
	v_cndmask_b32_e64 v23, v23, 0, s3
	v_add_nc_u32_e32 v22, v23, v22
	s_delay_alu instid0(VALU_DEP_1) | instskip(NEXT) | instid1(VALU_DEP_1)
	v_mov_b32_dpp v23, v22 row_shr:2 row_mask:0xf bank_mask:0xf
	v_cndmask_b32_e64 v23, 0, v23, s0
	s_delay_alu instid0(VALU_DEP_1) | instskip(NEXT) | instid1(VALU_DEP_1)
	v_add_nc_u32_e32 v22, v22, v23
	v_mov_b32_dpp v23, v22 row_shr:4 row_mask:0xf bank_mask:0xf
	s_delay_alu instid0(VALU_DEP_1) | instskip(NEXT) | instid1(VALU_DEP_1)
	v_cndmask_b32_e64 v23, 0, v23, s4
	v_add_nc_u32_e32 v22, v22, v23
	s_delay_alu instid0(VALU_DEP_1) | instskip(NEXT) | instid1(VALU_DEP_1)
	v_mov_b32_dpp v23, v22 row_shr:8 row_mask:0xf bank_mask:0xf
	v_cndmask_b32_e64 v23, 0, v23, s1
	s_delay_alu instid0(VALU_DEP_1)
	v_add_nc_u32_e32 v22, v22, v23
	ds_store_b32 v18, v22
.LBB1447_398:
	s_or_b32 exec_lo, exec_lo, s5
	v_mov_b32_e32 v18, 0
	v_mov_b32_e32 v22, 0
	s_mov_b32 s0, exec_lo
	s_waitcnt lgkmcnt(0)
	s_barrier
	buffer_gl0_inv
	v_cmpx_lt_u32_e32 31, v0
	s_cbranch_execz .LBB1447_400
; %bb.399:
	v_lshl_add_u32 v22, v43, 2, -4
	ds_load_b32 v22, v22
.LBB1447_400:
	s_or_b32 exec_lo, exec_lo, s0
	v_add_nc_u32_e32 v23, -1, v42
	s_waitcnt lgkmcnt(0)
	v_add_nc_u32_e32 v17, v22, v17
	s_delay_alu instid0(VALU_DEP_2) | instskip(SKIP_1) | instid1(VALU_DEP_1)
	v_cmp_gt_i32_e32 vcc_lo, 0, v23
	v_cndmask_b32_e32 v23, v23, v42, vcc_lo
	v_lshlrev_b32_e32 v23, 2, v23
	ds_bpermute_b32 v23, v23, v17
	ds_load_b32 v17, v18 offset:60
	s_and_saveexec_b32 s0, s2
	s_cbranch_execz .LBB1447_402
; %bb.401:
	v_mov_b32_e32 v24, 0
	v_mov_b32_e32 v18, 2
	s_waitcnt lgkmcnt(0)
	global_store_b64 v24, v[17:18], s[18:19] offset:256
.LBB1447_402:
	s_or_b32 exec_lo, exec_lo, s0
	v_cmp_eq_u32_e32 vcc_lo, 0, v42
	s_waitcnt lgkmcnt(0)
	s_waitcnt_vscnt null, 0x0
	s_barrier
	buffer_gl0_inv
	v_cndmask_b32_e32 v18, v23, v22, vcc_lo
	s_delay_alu instid0(VALU_DEP_1) | instskip(NEXT) | instid1(VALU_DEP_1)
	v_cndmask_b32_e64 v37, v18, 0, s2
	v_dual_mov_b32 v18, 0 :: v_dual_add_nc_u32 v35, v37, v28
	s_delay_alu instid0(VALU_DEP_1) | instskip(NEXT) | instid1(VALU_DEP_1)
	v_add_nc_u32_e32 v33, v35, v30
	v_add_nc_u32_e32 v31, v33, v32
	s_delay_alu instid0(VALU_DEP_1) | instskip(NEXT) | instid1(VALU_DEP_1)
	v_add_nc_u32_e32 v29, v31, v34
	v_add_nc_u32_e32 v27, v29, v36
	s_delay_alu instid0(VALU_DEP_1) | instskip(NEXT) | instid1(VALU_DEP_1)
	v_add_nc_u32_e32 v25, v27, v38
	v_add_nc_u32_e32 v23, v25, v41
.LBB1447_403:
	s_waitcnt lgkmcnt(0)
	v_cmp_gt_u32_e32 vcc_lo, 0x201, v17
	v_lshrrev_b32_e32 v43, 8, v19
	v_lshrrev_b32_e32 v42, 16, v19
	v_lshrrev_b32_e32 v41, 8, v20
	v_lshrrev_b32_e32 v22, 16, v20
	s_mov_b32 s0, -1
	s_cbranch_vccnz .LBB1447_407
; %bb.404:
	s_and_b32 vcc_lo, exec_lo, s0
	s_cbranch_vccnz .LBB1447_432
.LBB1447_405:
	s_and_b32 s0, s2, s13
	s_delay_alu instid0(SALU_CYCLE_1)
	s_and_saveexec_b32 s1, s0
	s_cbranch_execnz .LBB1447_452
.LBB1447_406:
	s_nop 0
	s_sendmsg sendmsg(MSG_DEALLOC_VGPRS)
	s_endpgm
.LBB1447_407:
	v_add_nc_u32_e32 v24, v18, v17
	s_delay_alu instid0(VALU_DEP_1) | instskip(SKIP_1) | instid1(SALU_CYCLE_1)
	v_cmp_lt_u32_e32 vcc_lo, v37, v24
	s_or_b32 s1, s22, vcc_lo
	s_and_saveexec_b32 s0, s1
	s_cbranch_execz .LBB1447_410
; %bb.408:
	v_and_b32_e32 v26, 1, v19
	s_delay_alu instid0(VALU_DEP_1)
	v_cmp_eq_u32_e32 vcc_lo, 1, v26
	s_and_b32 exec_lo, exec_lo, vcc_lo
	s_cbranch_execz .LBB1447_410
; %bb.409:
	v_mov_b32_e32 v38, 0
	s_lshl_b64 s[4:5], s[10:11], 3
	s_delay_alu instid0(SALU_CYCLE_1) | instskip(SKIP_1) | instid1(VALU_DEP_1)
	s_add_u32 s1, s20, s4
	s_addc_u32 s3, s21, s5
	v_lshlrev_b64 v[44:45], 3, v[37:38]
	s_delay_alu instid0(VALU_DEP_1) | instskip(NEXT) | instid1(VALU_DEP_2)
	v_add_co_u32 v44, vcc_lo, s1, v44
	v_add_co_ci_u32_e32 v45, vcc_lo, s3, v45, vcc_lo
	global_store_b64 v[44:45], v[13:14], off
.LBB1447_410:
	s_or_b32 exec_lo, exec_lo, s0
	v_cmp_lt_u32_e32 vcc_lo, v35, v24
	s_or_b32 s1, s22, vcc_lo
	s_delay_alu instid0(SALU_CYCLE_1)
	s_and_saveexec_b32 s0, s1
	s_cbranch_execz .LBB1447_413
; %bb.411:
	v_and_b32_e32 v26, 1, v43
	s_delay_alu instid0(VALU_DEP_1)
	v_cmp_eq_u32_e32 vcc_lo, 1, v26
	s_and_b32 exec_lo, exec_lo, vcc_lo
	s_cbranch_execz .LBB1447_413
; %bb.412:
	v_mov_b32_e32 v36, 0
	s_lshl_b64 s[4:5], s[10:11], 3
	s_delay_alu instid0(SALU_CYCLE_1) | instskip(SKIP_1) | instid1(VALU_DEP_1)
	s_add_u32 s1, s20, s4
	s_addc_u32 s3, s21, s5
	v_lshlrev_b64 v[44:45], 3, v[35:36]
	s_delay_alu instid0(VALU_DEP_1) | instskip(NEXT) | instid1(VALU_DEP_2)
	v_add_co_u32 v44, vcc_lo, s1, v44
	v_add_co_ci_u32_e32 v45, vcc_lo, s3, v45, vcc_lo
	global_store_b64 v[44:45], v[15:16], off
.LBB1447_413:
	s_or_b32 exec_lo, exec_lo, s0
	v_cmp_lt_u32_e32 vcc_lo, v33, v24
	s_or_b32 s1, s22, vcc_lo
	s_delay_alu instid0(SALU_CYCLE_1)
	;; [unrolled: 24-line block ×7, first 2 shown]
	s_and_saveexec_b32 s0, s1
	s_cbranch_execz .LBB1447_431
; %bb.429:
	v_and_b32_e32 v24, 1, v40
	s_delay_alu instid0(VALU_DEP_1)
	v_cmp_eq_u32_e32 vcc_lo, 1, v24
	s_and_b32 exec_lo, exec_lo, vcc_lo
	s_cbranch_execz .LBB1447_431
; %bb.430:
	v_mov_b32_e32 v24, 0
	s_lshl_b64 s[4:5], s[10:11], 3
	s_delay_alu instid0(SALU_CYCLE_1) | instskip(SKIP_1) | instid1(VALU_DEP_1)
	s_add_u32 s1, s20, s4
	s_addc_u32 s3, s21, s5
	v_lshlrev_b64 v[44:45], 3, v[23:24]
	s_delay_alu instid0(VALU_DEP_1) | instskip(NEXT) | instid1(VALU_DEP_2)
	v_add_co_u32 v44, vcc_lo, s1, v44
	v_add_co_ci_u32_e32 v45, vcc_lo, s3, v45, vcc_lo
	global_store_b64 v[44:45], v[3:4], off
.LBB1447_431:
	s_or_b32 exec_lo, exec_lo, s0
	s_branch .LBB1447_405
.LBB1447_432:
	v_and_b32_e32 v19, 1, v19
	s_mov_b32 s0, exec_lo
	s_delay_alu instid0(VALU_DEP_1)
	v_cmpx_eq_u32_e32 1, v19
	s_cbranch_execz .LBB1447_434
; %bb.433:
	v_sub_nc_u32_e32 v19, v37, v18
	s_delay_alu instid0(VALU_DEP_1)
	v_lshlrev_b32_e32 v19, 3, v19
	ds_store_b64 v19, v[13:14]
.LBB1447_434:
	s_or_b32 exec_lo, exec_lo, s0
	v_and_b32_e32 v13, 1, v43
	s_mov_b32 s0, exec_lo
	s_delay_alu instid0(VALU_DEP_1)
	v_cmpx_eq_u32_e32 1, v13
	s_cbranch_execz .LBB1447_436
; %bb.435:
	v_sub_nc_u32_e32 v13, v35, v18
	s_delay_alu instid0(VALU_DEP_1)
	v_lshlrev_b32_e32 v13, 3, v13
	ds_store_b64 v13, v[15:16]
.LBB1447_436:
	s_or_b32 exec_lo, exec_lo, s0
	;; [unrolled: 12-line block ×8, first 2 shown]
	s_delay_alu instid0(SALU_CYCLE_1)
	s_mov_b32 s1, exec_lo
	s_waitcnt lgkmcnt(0)
	s_waitcnt_vscnt null, 0x0
	s_barrier
	buffer_gl0_inv
	v_cmpx_lt_u32_e64 v0, v17
	s_cbranch_execz .LBB1447_451
; %bb.449:
	v_dual_mov_b32 v2, 0 :: v_dual_mov_b32 v1, v18
	s_lshl_b64 s[4:5], s[10:11], 3
	s_mov_b32 s3, 0
	s_delay_alu instid0(VALU_DEP_1) | instskip(NEXT) | instid1(VALU_DEP_1)
	v_lshlrev_b64 v[1:2], 3, v[1:2]
	v_add_co_u32 v1, vcc_lo, s4, v1
	s_delay_alu instid0(VALU_DEP_2) | instskip(NEXT) | instid1(VALU_DEP_2)
	v_add_co_ci_u32_e32 v2, vcc_lo, s5, v2, vcc_lo
	v_add_co_u32 v1, vcc_lo, s20, v1
	s_delay_alu instid0(VALU_DEP_2) | instskip(NEXT) | instid1(VALU_DEP_2)
	v_add_co_ci_u32_e32 v2, vcc_lo, s21, v2, vcc_lo
	v_add_co_u32 v1, vcc_lo, v1, v39
	s_delay_alu instid0(VALU_DEP_2)
	v_add_co_ci_u32_e32 v2, vcc_lo, 0, v2, vcc_lo
	.p2align	6
.LBB1447_450:                           ; =>This Inner Loop Header: Depth=1
	ds_load_b64 v[3:4], v39
	v_add_nc_u32_e32 v0, 0x200, v0
	v_add_nc_u32_e32 v39, 0x1000, v39
	s_delay_alu instid0(VALU_DEP_2) | instskip(SKIP_4) | instid1(VALU_DEP_1)
	v_cmp_ge_u32_e32 vcc_lo, v0, v17
	s_or_b32 s3, vcc_lo, s3
	s_waitcnt lgkmcnt(0)
	global_store_b64 v[1:2], v[3:4], off
	v_add_co_u32 v1, s0, 0x1000, v1
	v_add_co_ci_u32_e64 v2, s0, 0, v2, s0
	s_and_not1_b32 exec_lo, exec_lo, s3
	s_cbranch_execnz .LBB1447_450
.LBB1447_451:
	s_or_b32 exec_lo, exec_lo, s1
	s_and_b32 s0, s2, s13
	s_delay_alu instid0(SALU_CYCLE_1)
	s_and_saveexec_b32 s1, s0
	s_cbranch_execz .LBB1447_406
.LBB1447_452:
	v_add_co_u32 v0, s0, s10, v17
	s_delay_alu instid0(VALU_DEP_1) | instskip(SKIP_1) | instid1(VALU_DEP_3)
	v_add_co_ci_u32_e64 v1, null, s11, 0, s0
	v_mov_b32_e32 v2, 0
	v_add_co_u32 v0, vcc_lo, v0, v18
	s_delay_alu instid0(VALU_DEP_3)
	v_add_co_ci_u32_e32 v1, vcc_lo, 0, v1, vcc_lo
	global_store_b64 v2, v[0:1], s[8:9]
	s_nop 0
	s_sendmsg sendmsg(MSG_DEALLOC_VGPRS)
	s_endpgm
	.section	.rodata,"a",@progbits
	.p2align	6, 0x0
	.amdhsa_kernel _ZN7rocprim17ROCPRIM_400000_NS6detail17trampoline_kernelINS0_14default_configENS1_25partition_config_selectorILNS1_17partition_subalgoE8ElNS0_10empty_typeEbEEZZNS1_14partition_implILS5_8ELb0ES3_jPlPS6_PKS6_NS0_5tupleIJS9_S6_EEENSD_IJSA_SA_EEENS0_18inequality_wrapperIZN2at6native12_GLOBAL__N_124unique_dim_cuda_templateItEESt5tupleIJNSH_6TensorESM_SM_EERKSM_lbbbEUlllE0_EEPmJS6_EEE10hipError_tPvRmT3_T4_T5_T6_T7_T9_mT8_P12ihipStream_tbDpT10_ENKUlT_T0_E_clISt17integral_constantIbLb0EES1B_IbLb1EEEEDaS17_S18_EUlS17_E_NS1_11comp_targetILNS1_3genE9ELNS1_11target_archE1100ELNS1_3gpuE3ELNS1_3repE0EEENS1_30default_config_static_selectorELNS0_4arch9wavefront6targetE0EEEvT1_
		.amdhsa_group_segment_fixed_size 33804
		.amdhsa_private_segment_fixed_size 0
		.amdhsa_kernarg_size 136
		.amdhsa_user_sgpr_count 15
		.amdhsa_user_sgpr_dispatch_ptr 0
		.amdhsa_user_sgpr_queue_ptr 0
		.amdhsa_user_sgpr_kernarg_segment_ptr 1
		.amdhsa_user_sgpr_dispatch_id 0
		.amdhsa_user_sgpr_private_segment_size 0
		.amdhsa_wavefront_size32 1
		.amdhsa_uses_dynamic_stack 0
		.amdhsa_enable_private_segment 0
		.amdhsa_system_sgpr_workgroup_id_x 1
		.amdhsa_system_sgpr_workgroup_id_y 0
		.amdhsa_system_sgpr_workgroup_id_z 0
		.amdhsa_system_sgpr_workgroup_info 0
		.amdhsa_system_vgpr_workitem_id 0
		.amdhsa_next_free_vgpr 52
		.amdhsa_next_free_sgpr 38
		.amdhsa_reserve_vcc 1
		.amdhsa_float_round_mode_32 0
		.amdhsa_float_round_mode_16_64 0
		.amdhsa_float_denorm_mode_32 3
		.amdhsa_float_denorm_mode_16_64 3
		.amdhsa_dx10_clamp 1
		.amdhsa_ieee_mode 1
		.amdhsa_fp16_overflow 0
		.amdhsa_workgroup_processor_mode 1
		.amdhsa_memory_ordered 1
		.amdhsa_forward_progress 0
		.amdhsa_shared_vgpr_count 0
		.amdhsa_exception_fp_ieee_invalid_op 0
		.amdhsa_exception_fp_denorm_src 0
		.amdhsa_exception_fp_ieee_div_zero 0
		.amdhsa_exception_fp_ieee_overflow 0
		.amdhsa_exception_fp_ieee_underflow 0
		.amdhsa_exception_fp_ieee_inexact 0
		.amdhsa_exception_int_div_zero 0
	.end_amdhsa_kernel
	.section	.text._ZN7rocprim17ROCPRIM_400000_NS6detail17trampoline_kernelINS0_14default_configENS1_25partition_config_selectorILNS1_17partition_subalgoE8ElNS0_10empty_typeEbEEZZNS1_14partition_implILS5_8ELb0ES3_jPlPS6_PKS6_NS0_5tupleIJS9_S6_EEENSD_IJSA_SA_EEENS0_18inequality_wrapperIZN2at6native12_GLOBAL__N_124unique_dim_cuda_templateItEESt5tupleIJNSH_6TensorESM_SM_EERKSM_lbbbEUlllE0_EEPmJS6_EEE10hipError_tPvRmT3_T4_T5_T6_T7_T9_mT8_P12ihipStream_tbDpT10_ENKUlT_T0_E_clISt17integral_constantIbLb0EES1B_IbLb1EEEEDaS17_S18_EUlS17_E_NS1_11comp_targetILNS1_3genE9ELNS1_11target_archE1100ELNS1_3gpuE3ELNS1_3repE0EEENS1_30default_config_static_selectorELNS0_4arch9wavefront6targetE0EEEvT1_,"axG",@progbits,_ZN7rocprim17ROCPRIM_400000_NS6detail17trampoline_kernelINS0_14default_configENS1_25partition_config_selectorILNS1_17partition_subalgoE8ElNS0_10empty_typeEbEEZZNS1_14partition_implILS5_8ELb0ES3_jPlPS6_PKS6_NS0_5tupleIJS9_S6_EEENSD_IJSA_SA_EEENS0_18inequality_wrapperIZN2at6native12_GLOBAL__N_124unique_dim_cuda_templateItEESt5tupleIJNSH_6TensorESM_SM_EERKSM_lbbbEUlllE0_EEPmJS6_EEE10hipError_tPvRmT3_T4_T5_T6_T7_T9_mT8_P12ihipStream_tbDpT10_ENKUlT_T0_E_clISt17integral_constantIbLb0EES1B_IbLb1EEEEDaS17_S18_EUlS17_E_NS1_11comp_targetILNS1_3genE9ELNS1_11target_archE1100ELNS1_3gpuE3ELNS1_3repE0EEENS1_30default_config_static_selectorELNS0_4arch9wavefront6targetE0EEEvT1_,comdat
.Lfunc_end1447:
	.size	_ZN7rocprim17ROCPRIM_400000_NS6detail17trampoline_kernelINS0_14default_configENS1_25partition_config_selectorILNS1_17partition_subalgoE8ElNS0_10empty_typeEbEEZZNS1_14partition_implILS5_8ELb0ES3_jPlPS6_PKS6_NS0_5tupleIJS9_S6_EEENSD_IJSA_SA_EEENS0_18inequality_wrapperIZN2at6native12_GLOBAL__N_124unique_dim_cuda_templateItEESt5tupleIJNSH_6TensorESM_SM_EERKSM_lbbbEUlllE0_EEPmJS6_EEE10hipError_tPvRmT3_T4_T5_T6_T7_T9_mT8_P12ihipStream_tbDpT10_ENKUlT_T0_E_clISt17integral_constantIbLb0EES1B_IbLb1EEEEDaS17_S18_EUlS17_E_NS1_11comp_targetILNS1_3genE9ELNS1_11target_archE1100ELNS1_3gpuE3ELNS1_3repE0EEENS1_30default_config_static_selectorELNS0_4arch9wavefront6targetE0EEEvT1_, .Lfunc_end1447-_ZN7rocprim17ROCPRIM_400000_NS6detail17trampoline_kernelINS0_14default_configENS1_25partition_config_selectorILNS1_17partition_subalgoE8ElNS0_10empty_typeEbEEZZNS1_14partition_implILS5_8ELb0ES3_jPlPS6_PKS6_NS0_5tupleIJS9_S6_EEENSD_IJSA_SA_EEENS0_18inequality_wrapperIZN2at6native12_GLOBAL__N_124unique_dim_cuda_templateItEESt5tupleIJNSH_6TensorESM_SM_EERKSM_lbbbEUlllE0_EEPmJS6_EEE10hipError_tPvRmT3_T4_T5_T6_T7_T9_mT8_P12ihipStream_tbDpT10_ENKUlT_T0_E_clISt17integral_constantIbLb0EES1B_IbLb1EEEEDaS17_S18_EUlS17_E_NS1_11comp_targetILNS1_3genE9ELNS1_11target_archE1100ELNS1_3gpuE3ELNS1_3repE0EEENS1_30default_config_static_selectorELNS0_4arch9wavefront6targetE0EEEvT1_
                                        ; -- End function
	.section	.AMDGPU.csdata,"",@progbits
; Kernel info:
; codeLenInByte = 18420
; NumSgprs: 40
; NumVgprs: 52
; ScratchSize: 0
; MemoryBound: 0
; FloatMode: 240
; IeeeMode: 1
; LDSByteSize: 33804 bytes/workgroup (compile time only)
; SGPRBlocks: 4
; VGPRBlocks: 6
; NumSGPRsForWavesPerEU: 40
; NumVGPRsForWavesPerEU: 52
; Occupancy: 12
; WaveLimiterHint : 1
; COMPUTE_PGM_RSRC2:SCRATCH_EN: 0
; COMPUTE_PGM_RSRC2:USER_SGPR: 15
; COMPUTE_PGM_RSRC2:TRAP_HANDLER: 0
; COMPUTE_PGM_RSRC2:TGID_X_EN: 1
; COMPUTE_PGM_RSRC2:TGID_Y_EN: 0
; COMPUTE_PGM_RSRC2:TGID_Z_EN: 0
; COMPUTE_PGM_RSRC2:TIDIG_COMP_CNT: 0
	.section	.text._ZN7rocprim17ROCPRIM_400000_NS6detail17trampoline_kernelINS0_14default_configENS1_25partition_config_selectorILNS1_17partition_subalgoE8ElNS0_10empty_typeEbEEZZNS1_14partition_implILS5_8ELb0ES3_jPlPS6_PKS6_NS0_5tupleIJS9_S6_EEENSD_IJSA_SA_EEENS0_18inequality_wrapperIZN2at6native12_GLOBAL__N_124unique_dim_cuda_templateItEESt5tupleIJNSH_6TensorESM_SM_EERKSM_lbbbEUlllE0_EEPmJS6_EEE10hipError_tPvRmT3_T4_T5_T6_T7_T9_mT8_P12ihipStream_tbDpT10_ENKUlT_T0_E_clISt17integral_constantIbLb0EES1B_IbLb1EEEEDaS17_S18_EUlS17_E_NS1_11comp_targetILNS1_3genE8ELNS1_11target_archE1030ELNS1_3gpuE2ELNS1_3repE0EEENS1_30default_config_static_selectorELNS0_4arch9wavefront6targetE0EEEvT1_,"axG",@progbits,_ZN7rocprim17ROCPRIM_400000_NS6detail17trampoline_kernelINS0_14default_configENS1_25partition_config_selectorILNS1_17partition_subalgoE8ElNS0_10empty_typeEbEEZZNS1_14partition_implILS5_8ELb0ES3_jPlPS6_PKS6_NS0_5tupleIJS9_S6_EEENSD_IJSA_SA_EEENS0_18inequality_wrapperIZN2at6native12_GLOBAL__N_124unique_dim_cuda_templateItEESt5tupleIJNSH_6TensorESM_SM_EERKSM_lbbbEUlllE0_EEPmJS6_EEE10hipError_tPvRmT3_T4_T5_T6_T7_T9_mT8_P12ihipStream_tbDpT10_ENKUlT_T0_E_clISt17integral_constantIbLb0EES1B_IbLb1EEEEDaS17_S18_EUlS17_E_NS1_11comp_targetILNS1_3genE8ELNS1_11target_archE1030ELNS1_3gpuE2ELNS1_3repE0EEENS1_30default_config_static_selectorELNS0_4arch9wavefront6targetE0EEEvT1_,comdat
	.globl	_ZN7rocprim17ROCPRIM_400000_NS6detail17trampoline_kernelINS0_14default_configENS1_25partition_config_selectorILNS1_17partition_subalgoE8ElNS0_10empty_typeEbEEZZNS1_14partition_implILS5_8ELb0ES3_jPlPS6_PKS6_NS0_5tupleIJS9_S6_EEENSD_IJSA_SA_EEENS0_18inequality_wrapperIZN2at6native12_GLOBAL__N_124unique_dim_cuda_templateItEESt5tupleIJNSH_6TensorESM_SM_EERKSM_lbbbEUlllE0_EEPmJS6_EEE10hipError_tPvRmT3_T4_T5_T6_T7_T9_mT8_P12ihipStream_tbDpT10_ENKUlT_T0_E_clISt17integral_constantIbLb0EES1B_IbLb1EEEEDaS17_S18_EUlS17_E_NS1_11comp_targetILNS1_3genE8ELNS1_11target_archE1030ELNS1_3gpuE2ELNS1_3repE0EEENS1_30default_config_static_selectorELNS0_4arch9wavefront6targetE0EEEvT1_ ; -- Begin function _ZN7rocprim17ROCPRIM_400000_NS6detail17trampoline_kernelINS0_14default_configENS1_25partition_config_selectorILNS1_17partition_subalgoE8ElNS0_10empty_typeEbEEZZNS1_14partition_implILS5_8ELb0ES3_jPlPS6_PKS6_NS0_5tupleIJS9_S6_EEENSD_IJSA_SA_EEENS0_18inequality_wrapperIZN2at6native12_GLOBAL__N_124unique_dim_cuda_templateItEESt5tupleIJNSH_6TensorESM_SM_EERKSM_lbbbEUlllE0_EEPmJS6_EEE10hipError_tPvRmT3_T4_T5_T6_T7_T9_mT8_P12ihipStream_tbDpT10_ENKUlT_T0_E_clISt17integral_constantIbLb0EES1B_IbLb1EEEEDaS17_S18_EUlS17_E_NS1_11comp_targetILNS1_3genE8ELNS1_11target_archE1030ELNS1_3gpuE2ELNS1_3repE0EEENS1_30default_config_static_selectorELNS0_4arch9wavefront6targetE0EEEvT1_
	.p2align	8
	.type	_ZN7rocprim17ROCPRIM_400000_NS6detail17trampoline_kernelINS0_14default_configENS1_25partition_config_selectorILNS1_17partition_subalgoE8ElNS0_10empty_typeEbEEZZNS1_14partition_implILS5_8ELb0ES3_jPlPS6_PKS6_NS0_5tupleIJS9_S6_EEENSD_IJSA_SA_EEENS0_18inequality_wrapperIZN2at6native12_GLOBAL__N_124unique_dim_cuda_templateItEESt5tupleIJNSH_6TensorESM_SM_EERKSM_lbbbEUlllE0_EEPmJS6_EEE10hipError_tPvRmT3_T4_T5_T6_T7_T9_mT8_P12ihipStream_tbDpT10_ENKUlT_T0_E_clISt17integral_constantIbLb0EES1B_IbLb1EEEEDaS17_S18_EUlS17_E_NS1_11comp_targetILNS1_3genE8ELNS1_11target_archE1030ELNS1_3gpuE2ELNS1_3repE0EEENS1_30default_config_static_selectorELNS0_4arch9wavefront6targetE0EEEvT1_,@function
_ZN7rocprim17ROCPRIM_400000_NS6detail17trampoline_kernelINS0_14default_configENS1_25partition_config_selectorILNS1_17partition_subalgoE8ElNS0_10empty_typeEbEEZZNS1_14partition_implILS5_8ELb0ES3_jPlPS6_PKS6_NS0_5tupleIJS9_S6_EEENSD_IJSA_SA_EEENS0_18inequality_wrapperIZN2at6native12_GLOBAL__N_124unique_dim_cuda_templateItEESt5tupleIJNSH_6TensorESM_SM_EERKSM_lbbbEUlllE0_EEPmJS6_EEE10hipError_tPvRmT3_T4_T5_T6_T7_T9_mT8_P12ihipStream_tbDpT10_ENKUlT_T0_E_clISt17integral_constantIbLb0EES1B_IbLb1EEEEDaS17_S18_EUlS17_E_NS1_11comp_targetILNS1_3genE8ELNS1_11target_archE1030ELNS1_3gpuE2ELNS1_3repE0EEENS1_30default_config_static_selectorELNS0_4arch9wavefront6targetE0EEEvT1_: ; @_ZN7rocprim17ROCPRIM_400000_NS6detail17trampoline_kernelINS0_14default_configENS1_25partition_config_selectorILNS1_17partition_subalgoE8ElNS0_10empty_typeEbEEZZNS1_14partition_implILS5_8ELb0ES3_jPlPS6_PKS6_NS0_5tupleIJS9_S6_EEENSD_IJSA_SA_EEENS0_18inequality_wrapperIZN2at6native12_GLOBAL__N_124unique_dim_cuda_templateItEESt5tupleIJNSH_6TensorESM_SM_EERKSM_lbbbEUlllE0_EEPmJS6_EEE10hipError_tPvRmT3_T4_T5_T6_T7_T9_mT8_P12ihipStream_tbDpT10_ENKUlT_T0_E_clISt17integral_constantIbLb0EES1B_IbLb1EEEEDaS17_S18_EUlS17_E_NS1_11comp_targetILNS1_3genE8ELNS1_11target_archE1030ELNS1_3gpuE2ELNS1_3repE0EEENS1_30default_config_static_selectorELNS0_4arch9wavefront6targetE0EEEvT1_
; %bb.0:
	.section	.rodata,"a",@progbits
	.p2align	6, 0x0
	.amdhsa_kernel _ZN7rocprim17ROCPRIM_400000_NS6detail17trampoline_kernelINS0_14default_configENS1_25partition_config_selectorILNS1_17partition_subalgoE8ElNS0_10empty_typeEbEEZZNS1_14partition_implILS5_8ELb0ES3_jPlPS6_PKS6_NS0_5tupleIJS9_S6_EEENSD_IJSA_SA_EEENS0_18inequality_wrapperIZN2at6native12_GLOBAL__N_124unique_dim_cuda_templateItEESt5tupleIJNSH_6TensorESM_SM_EERKSM_lbbbEUlllE0_EEPmJS6_EEE10hipError_tPvRmT3_T4_T5_T6_T7_T9_mT8_P12ihipStream_tbDpT10_ENKUlT_T0_E_clISt17integral_constantIbLb0EES1B_IbLb1EEEEDaS17_S18_EUlS17_E_NS1_11comp_targetILNS1_3genE8ELNS1_11target_archE1030ELNS1_3gpuE2ELNS1_3repE0EEENS1_30default_config_static_selectorELNS0_4arch9wavefront6targetE0EEEvT1_
		.amdhsa_group_segment_fixed_size 0
		.amdhsa_private_segment_fixed_size 0
		.amdhsa_kernarg_size 136
		.amdhsa_user_sgpr_count 15
		.amdhsa_user_sgpr_dispatch_ptr 0
		.amdhsa_user_sgpr_queue_ptr 0
		.amdhsa_user_sgpr_kernarg_segment_ptr 1
		.amdhsa_user_sgpr_dispatch_id 0
		.amdhsa_user_sgpr_private_segment_size 0
		.amdhsa_wavefront_size32 1
		.amdhsa_uses_dynamic_stack 0
		.amdhsa_enable_private_segment 0
		.amdhsa_system_sgpr_workgroup_id_x 1
		.amdhsa_system_sgpr_workgroup_id_y 0
		.amdhsa_system_sgpr_workgroup_id_z 0
		.amdhsa_system_sgpr_workgroup_info 0
		.amdhsa_system_vgpr_workitem_id 0
		.amdhsa_next_free_vgpr 1
		.amdhsa_next_free_sgpr 1
		.amdhsa_reserve_vcc 0
		.amdhsa_float_round_mode_32 0
		.amdhsa_float_round_mode_16_64 0
		.amdhsa_float_denorm_mode_32 3
		.amdhsa_float_denorm_mode_16_64 3
		.amdhsa_dx10_clamp 1
		.amdhsa_ieee_mode 1
		.amdhsa_fp16_overflow 0
		.amdhsa_workgroup_processor_mode 1
		.amdhsa_memory_ordered 1
		.amdhsa_forward_progress 0
		.amdhsa_shared_vgpr_count 0
		.amdhsa_exception_fp_ieee_invalid_op 0
		.amdhsa_exception_fp_denorm_src 0
		.amdhsa_exception_fp_ieee_div_zero 0
		.amdhsa_exception_fp_ieee_overflow 0
		.amdhsa_exception_fp_ieee_underflow 0
		.amdhsa_exception_fp_ieee_inexact 0
		.amdhsa_exception_int_div_zero 0
	.end_amdhsa_kernel
	.section	.text._ZN7rocprim17ROCPRIM_400000_NS6detail17trampoline_kernelINS0_14default_configENS1_25partition_config_selectorILNS1_17partition_subalgoE8ElNS0_10empty_typeEbEEZZNS1_14partition_implILS5_8ELb0ES3_jPlPS6_PKS6_NS0_5tupleIJS9_S6_EEENSD_IJSA_SA_EEENS0_18inequality_wrapperIZN2at6native12_GLOBAL__N_124unique_dim_cuda_templateItEESt5tupleIJNSH_6TensorESM_SM_EERKSM_lbbbEUlllE0_EEPmJS6_EEE10hipError_tPvRmT3_T4_T5_T6_T7_T9_mT8_P12ihipStream_tbDpT10_ENKUlT_T0_E_clISt17integral_constantIbLb0EES1B_IbLb1EEEEDaS17_S18_EUlS17_E_NS1_11comp_targetILNS1_3genE8ELNS1_11target_archE1030ELNS1_3gpuE2ELNS1_3repE0EEENS1_30default_config_static_selectorELNS0_4arch9wavefront6targetE0EEEvT1_,"axG",@progbits,_ZN7rocprim17ROCPRIM_400000_NS6detail17trampoline_kernelINS0_14default_configENS1_25partition_config_selectorILNS1_17partition_subalgoE8ElNS0_10empty_typeEbEEZZNS1_14partition_implILS5_8ELb0ES3_jPlPS6_PKS6_NS0_5tupleIJS9_S6_EEENSD_IJSA_SA_EEENS0_18inequality_wrapperIZN2at6native12_GLOBAL__N_124unique_dim_cuda_templateItEESt5tupleIJNSH_6TensorESM_SM_EERKSM_lbbbEUlllE0_EEPmJS6_EEE10hipError_tPvRmT3_T4_T5_T6_T7_T9_mT8_P12ihipStream_tbDpT10_ENKUlT_T0_E_clISt17integral_constantIbLb0EES1B_IbLb1EEEEDaS17_S18_EUlS17_E_NS1_11comp_targetILNS1_3genE8ELNS1_11target_archE1030ELNS1_3gpuE2ELNS1_3repE0EEENS1_30default_config_static_selectorELNS0_4arch9wavefront6targetE0EEEvT1_,comdat
.Lfunc_end1448:
	.size	_ZN7rocprim17ROCPRIM_400000_NS6detail17trampoline_kernelINS0_14default_configENS1_25partition_config_selectorILNS1_17partition_subalgoE8ElNS0_10empty_typeEbEEZZNS1_14partition_implILS5_8ELb0ES3_jPlPS6_PKS6_NS0_5tupleIJS9_S6_EEENSD_IJSA_SA_EEENS0_18inequality_wrapperIZN2at6native12_GLOBAL__N_124unique_dim_cuda_templateItEESt5tupleIJNSH_6TensorESM_SM_EERKSM_lbbbEUlllE0_EEPmJS6_EEE10hipError_tPvRmT3_T4_T5_T6_T7_T9_mT8_P12ihipStream_tbDpT10_ENKUlT_T0_E_clISt17integral_constantIbLb0EES1B_IbLb1EEEEDaS17_S18_EUlS17_E_NS1_11comp_targetILNS1_3genE8ELNS1_11target_archE1030ELNS1_3gpuE2ELNS1_3repE0EEENS1_30default_config_static_selectorELNS0_4arch9wavefront6targetE0EEEvT1_, .Lfunc_end1448-_ZN7rocprim17ROCPRIM_400000_NS6detail17trampoline_kernelINS0_14default_configENS1_25partition_config_selectorILNS1_17partition_subalgoE8ElNS0_10empty_typeEbEEZZNS1_14partition_implILS5_8ELb0ES3_jPlPS6_PKS6_NS0_5tupleIJS9_S6_EEENSD_IJSA_SA_EEENS0_18inequality_wrapperIZN2at6native12_GLOBAL__N_124unique_dim_cuda_templateItEESt5tupleIJNSH_6TensorESM_SM_EERKSM_lbbbEUlllE0_EEPmJS6_EEE10hipError_tPvRmT3_T4_T5_T6_T7_T9_mT8_P12ihipStream_tbDpT10_ENKUlT_T0_E_clISt17integral_constantIbLb0EES1B_IbLb1EEEEDaS17_S18_EUlS17_E_NS1_11comp_targetILNS1_3genE8ELNS1_11target_archE1030ELNS1_3gpuE2ELNS1_3repE0EEENS1_30default_config_static_selectorELNS0_4arch9wavefront6targetE0EEEvT1_
                                        ; -- End function
	.section	.AMDGPU.csdata,"",@progbits
; Kernel info:
; codeLenInByte = 0
; NumSgprs: 0
; NumVgprs: 0
; ScratchSize: 0
; MemoryBound: 0
; FloatMode: 240
; IeeeMode: 1
; LDSByteSize: 0 bytes/workgroup (compile time only)
; SGPRBlocks: 0
; VGPRBlocks: 0
; NumSGPRsForWavesPerEU: 1
; NumVGPRsForWavesPerEU: 1
; Occupancy: 16
; WaveLimiterHint : 0
; COMPUTE_PGM_RSRC2:SCRATCH_EN: 0
; COMPUTE_PGM_RSRC2:USER_SGPR: 15
; COMPUTE_PGM_RSRC2:TRAP_HANDLER: 0
; COMPUTE_PGM_RSRC2:TGID_X_EN: 1
; COMPUTE_PGM_RSRC2:TGID_Y_EN: 0
; COMPUTE_PGM_RSRC2:TGID_Z_EN: 0
; COMPUTE_PGM_RSRC2:TIDIG_COMP_CNT: 0
	.section	.text._ZN7rocprim17ROCPRIM_400000_NS6detail17trampoline_kernelINS0_14default_configENS1_25partition_config_selectorILNS1_17partition_subalgoE9EllbEEZZNS1_14partition_implILS5_9ELb0ES3_jPlS8_PNS0_10empty_typeENS0_5tupleIJS8_S9_EEENSB_IJS8_SA_EEENS0_18inequality_wrapperIZN2at6native12_GLOBAL__N_124unique_dim_cuda_templateItEESt5tupleIJNSF_6TensorESK_SK_EERKSK_lbbbEUlllE0_EEPmJS9_EEE10hipError_tPvRmT3_T4_T5_T6_T7_T9_mT8_P12ihipStream_tbDpT10_ENKUlT_T0_E_clISt17integral_constantIbLb0EES1A_EEDaS15_S16_EUlS15_E_NS1_11comp_targetILNS1_3genE0ELNS1_11target_archE4294967295ELNS1_3gpuE0ELNS1_3repE0EEENS1_30default_config_static_selectorELNS0_4arch9wavefront6targetE0EEEvT1_,"axG",@progbits,_ZN7rocprim17ROCPRIM_400000_NS6detail17trampoline_kernelINS0_14default_configENS1_25partition_config_selectorILNS1_17partition_subalgoE9EllbEEZZNS1_14partition_implILS5_9ELb0ES3_jPlS8_PNS0_10empty_typeENS0_5tupleIJS8_S9_EEENSB_IJS8_SA_EEENS0_18inequality_wrapperIZN2at6native12_GLOBAL__N_124unique_dim_cuda_templateItEESt5tupleIJNSF_6TensorESK_SK_EERKSK_lbbbEUlllE0_EEPmJS9_EEE10hipError_tPvRmT3_T4_T5_T6_T7_T9_mT8_P12ihipStream_tbDpT10_ENKUlT_T0_E_clISt17integral_constantIbLb0EES1A_EEDaS15_S16_EUlS15_E_NS1_11comp_targetILNS1_3genE0ELNS1_11target_archE4294967295ELNS1_3gpuE0ELNS1_3repE0EEENS1_30default_config_static_selectorELNS0_4arch9wavefront6targetE0EEEvT1_,comdat
	.globl	_ZN7rocprim17ROCPRIM_400000_NS6detail17trampoline_kernelINS0_14default_configENS1_25partition_config_selectorILNS1_17partition_subalgoE9EllbEEZZNS1_14partition_implILS5_9ELb0ES3_jPlS8_PNS0_10empty_typeENS0_5tupleIJS8_S9_EEENSB_IJS8_SA_EEENS0_18inequality_wrapperIZN2at6native12_GLOBAL__N_124unique_dim_cuda_templateItEESt5tupleIJNSF_6TensorESK_SK_EERKSK_lbbbEUlllE0_EEPmJS9_EEE10hipError_tPvRmT3_T4_T5_T6_T7_T9_mT8_P12ihipStream_tbDpT10_ENKUlT_T0_E_clISt17integral_constantIbLb0EES1A_EEDaS15_S16_EUlS15_E_NS1_11comp_targetILNS1_3genE0ELNS1_11target_archE4294967295ELNS1_3gpuE0ELNS1_3repE0EEENS1_30default_config_static_selectorELNS0_4arch9wavefront6targetE0EEEvT1_ ; -- Begin function _ZN7rocprim17ROCPRIM_400000_NS6detail17trampoline_kernelINS0_14default_configENS1_25partition_config_selectorILNS1_17partition_subalgoE9EllbEEZZNS1_14partition_implILS5_9ELb0ES3_jPlS8_PNS0_10empty_typeENS0_5tupleIJS8_S9_EEENSB_IJS8_SA_EEENS0_18inequality_wrapperIZN2at6native12_GLOBAL__N_124unique_dim_cuda_templateItEESt5tupleIJNSF_6TensorESK_SK_EERKSK_lbbbEUlllE0_EEPmJS9_EEE10hipError_tPvRmT3_T4_T5_T6_T7_T9_mT8_P12ihipStream_tbDpT10_ENKUlT_T0_E_clISt17integral_constantIbLb0EES1A_EEDaS15_S16_EUlS15_E_NS1_11comp_targetILNS1_3genE0ELNS1_11target_archE4294967295ELNS1_3gpuE0ELNS1_3repE0EEENS1_30default_config_static_selectorELNS0_4arch9wavefront6targetE0EEEvT1_
	.p2align	8
	.type	_ZN7rocprim17ROCPRIM_400000_NS6detail17trampoline_kernelINS0_14default_configENS1_25partition_config_selectorILNS1_17partition_subalgoE9EllbEEZZNS1_14partition_implILS5_9ELb0ES3_jPlS8_PNS0_10empty_typeENS0_5tupleIJS8_S9_EEENSB_IJS8_SA_EEENS0_18inequality_wrapperIZN2at6native12_GLOBAL__N_124unique_dim_cuda_templateItEESt5tupleIJNSF_6TensorESK_SK_EERKSK_lbbbEUlllE0_EEPmJS9_EEE10hipError_tPvRmT3_T4_T5_T6_T7_T9_mT8_P12ihipStream_tbDpT10_ENKUlT_T0_E_clISt17integral_constantIbLb0EES1A_EEDaS15_S16_EUlS15_E_NS1_11comp_targetILNS1_3genE0ELNS1_11target_archE4294967295ELNS1_3gpuE0ELNS1_3repE0EEENS1_30default_config_static_selectorELNS0_4arch9wavefront6targetE0EEEvT1_,@function
_ZN7rocprim17ROCPRIM_400000_NS6detail17trampoline_kernelINS0_14default_configENS1_25partition_config_selectorILNS1_17partition_subalgoE9EllbEEZZNS1_14partition_implILS5_9ELb0ES3_jPlS8_PNS0_10empty_typeENS0_5tupleIJS8_S9_EEENSB_IJS8_SA_EEENS0_18inequality_wrapperIZN2at6native12_GLOBAL__N_124unique_dim_cuda_templateItEESt5tupleIJNSF_6TensorESK_SK_EERKSK_lbbbEUlllE0_EEPmJS9_EEE10hipError_tPvRmT3_T4_T5_T6_T7_T9_mT8_P12ihipStream_tbDpT10_ENKUlT_T0_E_clISt17integral_constantIbLb0EES1A_EEDaS15_S16_EUlS15_E_NS1_11comp_targetILNS1_3genE0ELNS1_11target_archE4294967295ELNS1_3gpuE0ELNS1_3repE0EEENS1_30default_config_static_selectorELNS0_4arch9wavefront6targetE0EEEvT1_: ; @_ZN7rocprim17ROCPRIM_400000_NS6detail17trampoline_kernelINS0_14default_configENS1_25partition_config_selectorILNS1_17partition_subalgoE9EllbEEZZNS1_14partition_implILS5_9ELb0ES3_jPlS8_PNS0_10empty_typeENS0_5tupleIJS8_S9_EEENSB_IJS8_SA_EEENS0_18inequality_wrapperIZN2at6native12_GLOBAL__N_124unique_dim_cuda_templateItEESt5tupleIJNSF_6TensorESK_SK_EERKSK_lbbbEUlllE0_EEPmJS9_EEE10hipError_tPvRmT3_T4_T5_T6_T7_T9_mT8_P12ihipStream_tbDpT10_ENKUlT_T0_E_clISt17integral_constantIbLb0EES1A_EEDaS15_S16_EUlS15_E_NS1_11comp_targetILNS1_3genE0ELNS1_11target_archE4294967295ELNS1_3gpuE0ELNS1_3repE0EEENS1_30default_config_static_selectorELNS0_4arch9wavefront6targetE0EEEvT1_
; %bb.0:
	.section	.rodata,"a",@progbits
	.p2align	6, 0x0
	.amdhsa_kernel _ZN7rocprim17ROCPRIM_400000_NS6detail17trampoline_kernelINS0_14default_configENS1_25partition_config_selectorILNS1_17partition_subalgoE9EllbEEZZNS1_14partition_implILS5_9ELb0ES3_jPlS8_PNS0_10empty_typeENS0_5tupleIJS8_S9_EEENSB_IJS8_SA_EEENS0_18inequality_wrapperIZN2at6native12_GLOBAL__N_124unique_dim_cuda_templateItEESt5tupleIJNSF_6TensorESK_SK_EERKSK_lbbbEUlllE0_EEPmJS9_EEE10hipError_tPvRmT3_T4_T5_T6_T7_T9_mT8_P12ihipStream_tbDpT10_ENKUlT_T0_E_clISt17integral_constantIbLb0EES1A_EEDaS15_S16_EUlS15_E_NS1_11comp_targetILNS1_3genE0ELNS1_11target_archE4294967295ELNS1_3gpuE0ELNS1_3repE0EEENS1_30default_config_static_selectorELNS0_4arch9wavefront6targetE0EEEvT1_
		.amdhsa_group_segment_fixed_size 0
		.amdhsa_private_segment_fixed_size 0
		.amdhsa_kernarg_size 120
		.amdhsa_user_sgpr_count 15
		.amdhsa_user_sgpr_dispatch_ptr 0
		.amdhsa_user_sgpr_queue_ptr 0
		.amdhsa_user_sgpr_kernarg_segment_ptr 1
		.amdhsa_user_sgpr_dispatch_id 0
		.amdhsa_user_sgpr_private_segment_size 0
		.amdhsa_wavefront_size32 1
		.amdhsa_uses_dynamic_stack 0
		.amdhsa_enable_private_segment 0
		.amdhsa_system_sgpr_workgroup_id_x 1
		.amdhsa_system_sgpr_workgroup_id_y 0
		.amdhsa_system_sgpr_workgroup_id_z 0
		.amdhsa_system_sgpr_workgroup_info 0
		.amdhsa_system_vgpr_workitem_id 0
		.amdhsa_next_free_vgpr 1
		.amdhsa_next_free_sgpr 1
		.amdhsa_reserve_vcc 0
		.amdhsa_float_round_mode_32 0
		.amdhsa_float_round_mode_16_64 0
		.amdhsa_float_denorm_mode_32 3
		.amdhsa_float_denorm_mode_16_64 3
		.amdhsa_dx10_clamp 1
		.amdhsa_ieee_mode 1
		.amdhsa_fp16_overflow 0
		.amdhsa_workgroup_processor_mode 1
		.amdhsa_memory_ordered 1
		.amdhsa_forward_progress 0
		.amdhsa_shared_vgpr_count 0
		.amdhsa_exception_fp_ieee_invalid_op 0
		.amdhsa_exception_fp_denorm_src 0
		.amdhsa_exception_fp_ieee_div_zero 0
		.amdhsa_exception_fp_ieee_overflow 0
		.amdhsa_exception_fp_ieee_underflow 0
		.amdhsa_exception_fp_ieee_inexact 0
		.amdhsa_exception_int_div_zero 0
	.end_amdhsa_kernel
	.section	.text._ZN7rocprim17ROCPRIM_400000_NS6detail17trampoline_kernelINS0_14default_configENS1_25partition_config_selectorILNS1_17partition_subalgoE9EllbEEZZNS1_14partition_implILS5_9ELb0ES3_jPlS8_PNS0_10empty_typeENS0_5tupleIJS8_S9_EEENSB_IJS8_SA_EEENS0_18inequality_wrapperIZN2at6native12_GLOBAL__N_124unique_dim_cuda_templateItEESt5tupleIJNSF_6TensorESK_SK_EERKSK_lbbbEUlllE0_EEPmJS9_EEE10hipError_tPvRmT3_T4_T5_T6_T7_T9_mT8_P12ihipStream_tbDpT10_ENKUlT_T0_E_clISt17integral_constantIbLb0EES1A_EEDaS15_S16_EUlS15_E_NS1_11comp_targetILNS1_3genE0ELNS1_11target_archE4294967295ELNS1_3gpuE0ELNS1_3repE0EEENS1_30default_config_static_selectorELNS0_4arch9wavefront6targetE0EEEvT1_,"axG",@progbits,_ZN7rocprim17ROCPRIM_400000_NS6detail17trampoline_kernelINS0_14default_configENS1_25partition_config_selectorILNS1_17partition_subalgoE9EllbEEZZNS1_14partition_implILS5_9ELb0ES3_jPlS8_PNS0_10empty_typeENS0_5tupleIJS8_S9_EEENSB_IJS8_SA_EEENS0_18inequality_wrapperIZN2at6native12_GLOBAL__N_124unique_dim_cuda_templateItEESt5tupleIJNSF_6TensorESK_SK_EERKSK_lbbbEUlllE0_EEPmJS9_EEE10hipError_tPvRmT3_T4_T5_T6_T7_T9_mT8_P12ihipStream_tbDpT10_ENKUlT_T0_E_clISt17integral_constantIbLb0EES1A_EEDaS15_S16_EUlS15_E_NS1_11comp_targetILNS1_3genE0ELNS1_11target_archE4294967295ELNS1_3gpuE0ELNS1_3repE0EEENS1_30default_config_static_selectorELNS0_4arch9wavefront6targetE0EEEvT1_,comdat
.Lfunc_end1449:
	.size	_ZN7rocprim17ROCPRIM_400000_NS6detail17trampoline_kernelINS0_14default_configENS1_25partition_config_selectorILNS1_17partition_subalgoE9EllbEEZZNS1_14partition_implILS5_9ELb0ES3_jPlS8_PNS0_10empty_typeENS0_5tupleIJS8_S9_EEENSB_IJS8_SA_EEENS0_18inequality_wrapperIZN2at6native12_GLOBAL__N_124unique_dim_cuda_templateItEESt5tupleIJNSF_6TensorESK_SK_EERKSK_lbbbEUlllE0_EEPmJS9_EEE10hipError_tPvRmT3_T4_T5_T6_T7_T9_mT8_P12ihipStream_tbDpT10_ENKUlT_T0_E_clISt17integral_constantIbLb0EES1A_EEDaS15_S16_EUlS15_E_NS1_11comp_targetILNS1_3genE0ELNS1_11target_archE4294967295ELNS1_3gpuE0ELNS1_3repE0EEENS1_30default_config_static_selectorELNS0_4arch9wavefront6targetE0EEEvT1_, .Lfunc_end1449-_ZN7rocprim17ROCPRIM_400000_NS6detail17trampoline_kernelINS0_14default_configENS1_25partition_config_selectorILNS1_17partition_subalgoE9EllbEEZZNS1_14partition_implILS5_9ELb0ES3_jPlS8_PNS0_10empty_typeENS0_5tupleIJS8_S9_EEENSB_IJS8_SA_EEENS0_18inequality_wrapperIZN2at6native12_GLOBAL__N_124unique_dim_cuda_templateItEESt5tupleIJNSF_6TensorESK_SK_EERKSK_lbbbEUlllE0_EEPmJS9_EEE10hipError_tPvRmT3_T4_T5_T6_T7_T9_mT8_P12ihipStream_tbDpT10_ENKUlT_T0_E_clISt17integral_constantIbLb0EES1A_EEDaS15_S16_EUlS15_E_NS1_11comp_targetILNS1_3genE0ELNS1_11target_archE4294967295ELNS1_3gpuE0ELNS1_3repE0EEENS1_30default_config_static_selectorELNS0_4arch9wavefront6targetE0EEEvT1_
                                        ; -- End function
	.section	.AMDGPU.csdata,"",@progbits
; Kernel info:
; codeLenInByte = 0
; NumSgprs: 0
; NumVgprs: 0
; ScratchSize: 0
; MemoryBound: 0
; FloatMode: 240
; IeeeMode: 1
; LDSByteSize: 0 bytes/workgroup (compile time only)
; SGPRBlocks: 0
; VGPRBlocks: 0
; NumSGPRsForWavesPerEU: 1
; NumVGPRsForWavesPerEU: 1
; Occupancy: 16
; WaveLimiterHint : 0
; COMPUTE_PGM_RSRC2:SCRATCH_EN: 0
; COMPUTE_PGM_RSRC2:USER_SGPR: 15
; COMPUTE_PGM_RSRC2:TRAP_HANDLER: 0
; COMPUTE_PGM_RSRC2:TGID_X_EN: 1
; COMPUTE_PGM_RSRC2:TGID_Y_EN: 0
; COMPUTE_PGM_RSRC2:TGID_Z_EN: 0
; COMPUTE_PGM_RSRC2:TIDIG_COMP_CNT: 0
	.section	.text._ZN7rocprim17ROCPRIM_400000_NS6detail17trampoline_kernelINS0_14default_configENS1_25partition_config_selectorILNS1_17partition_subalgoE9EllbEEZZNS1_14partition_implILS5_9ELb0ES3_jPlS8_PNS0_10empty_typeENS0_5tupleIJS8_S9_EEENSB_IJS8_SA_EEENS0_18inequality_wrapperIZN2at6native12_GLOBAL__N_124unique_dim_cuda_templateItEESt5tupleIJNSF_6TensorESK_SK_EERKSK_lbbbEUlllE0_EEPmJS9_EEE10hipError_tPvRmT3_T4_T5_T6_T7_T9_mT8_P12ihipStream_tbDpT10_ENKUlT_T0_E_clISt17integral_constantIbLb0EES1A_EEDaS15_S16_EUlS15_E_NS1_11comp_targetILNS1_3genE5ELNS1_11target_archE942ELNS1_3gpuE9ELNS1_3repE0EEENS1_30default_config_static_selectorELNS0_4arch9wavefront6targetE0EEEvT1_,"axG",@progbits,_ZN7rocprim17ROCPRIM_400000_NS6detail17trampoline_kernelINS0_14default_configENS1_25partition_config_selectorILNS1_17partition_subalgoE9EllbEEZZNS1_14partition_implILS5_9ELb0ES3_jPlS8_PNS0_10empty_typeENS0_5tupleIJS8_S9_EEENSB_IJS8_SA_EEENS0_18inequality_wrapperIZN2at6native12_GLOBAL__N_124unique_dim_cuda_templateItEESt5tupleIJNSF_6TensorESK_SK_EERKSK_lbbbEUlllE0_EEPmJS9_EEE10hipError_tPvRmT3_T4_T5_T6_T7_T9_mT8_P12ihipStream_tbDpT10_ENKUlT_T0_E_clISt17integral_constantIbLb0EES1A_EEDaS15_S16_EUlS15_E_NS1_11comp_targetILNS1_3genE5ELNS1_11target_archE942ELNS1_3gpuE9ELNS1_3repE0EEENS1_30default_config_static_selectorELNS0_4arch9wavefront6targetE0EEEvT1_,comdat
	.globl	_ZN7rocprim17ROCPRIM_400000_NS6detail17trampoline_kernelINS0_14default_configENS1_25partition_config_selectorILNS1_17partition_subalgoE9EllbEEZZNS1_14partition_implILS5_9ELb0ES3_jPlS8_PNS0_10empty_typeENS0_5tupleIJS8_S9_EEENSB_IJS8_SA_EEENS0_18inequality_wrapperIZN2at6native12_GLOBAL__N_124unique_dim_cuda_templateItEESt5tupleIJNSF_6TensorESK_SK_EERKSK_lbbbEUlllE0_EEPmJS9_EEE10hipError_tPvRmT3_T4_T5_T6_T7_T9_mT8_P12ihipStream_tbDpT10_ENKUlT_T0_E_clISt17integral_constantIbLb0EES1A_EEDaS15_S16_EUlS15_E_NS1_11comp_targetILNS1_3genE5ELNS1_11target_archE942ELNS1_3gpuE9ELNS1_3repE0EEENS1_30default_config_static_selectorELNS0_4arch9wavefront6targetE0EEEvT1_ ; -- Begin function _ZN7rocprim17ROCPRIM_400000_NS6detail17trampoline_kernelINS0_14default_configENS1_25partition_config_selectorILNS1_17partition_subalgoE9EllbEEZZNS1_14partition_implILS5_9ELb0ES3_jPlS8_PNS0_10empty_typeENS0_5tupleIJS8_S9_EEENSB_IJS8_SA_EEENS0_18inequality_wrapperIZN2at6native12_GLOBAL__N_124unique_dim_cuda_templateItEESt5tupleIJNSF_6TensorESK_SK_EERKSK_lbbbEUlllE0_EEPmJS9_EEE10hipError_tPvRmT3_T4_T5_T6_T7_T9_mT8_P12ihipStream_tbDpT10_ENKUlT_T0_E_clISt17integral_constantIbLb0EES1A_EEDaS15_S16_EUlS15_E_NS1_11comp_targetILNS1_3genE5ELNS1_11target_archE942ELNS1_3gpuE9ELNS1_3repE0EEENS1_30default_config_static_selectorELNS0_4arch9wavefront6targetE0EEEvT1_
	.p2align	8
	.type	_ZN7rocprim17ROCPRIM_400000_NS6detail17trampoline_kernelINS0_14default_configENS1_25partition_config_selectorILNS1_17partition_subalgoE9EllbEEZZNS1_14partition_implILS5_9ELb0ES3_jPlS8_PNS0_10empty_typeENS0_5tupleIJS8_S9_EEENSB_IJS8_SA_EEENS0_18inequality_wrapperIZN2at6native12_GLOBAL__N_124unique_dim_cuda_templateItEESt5tupleIJNSF_6TensorESK_SK_EERKSK_lbbbEUlllE0_EEPmJS9_EEE10hipError_tPvRmT3_T4_T5_T6_T7_T9_mT8_P12ihipStream_tbDpT10_ENKUlT_T0_E_clISt17integral_constantIbLb0EES1A_EEDaS15_S16_EUlS15_E_NS1_11comp_targetILNS1_3genE5ELNS1_11target_archE942ELNS1_3gpuE9ELNS1_3repE0EEENS1_30default_config_static_selectorELNS0_4arch9wavefront6targetE0EEEvT1_,@function
_ZN7rocprim17ROCPRIM_400000_NS6detail17trampoline_kernelINS0_14default_configENS1_25partition_config_selectorILNS1_17partition_subalgoE9EllbEEZZNS1_14partition_implILS5_9ELb0ES3_jPlS8_PNS0_10empty_typeENS0_5tupleIJS8_S9_EEENSB_IJS8_SA_EEENS0_18inequality_wrapperIZN2at6native12_GLOBAL__N_124unique_dim_cuda_templateItEESt5tupleIJNSF_6TensorESK_SK_EERKSK_lbbbEUlllE0_EEPmJS9_EEE10hipError_tPvRmT3_T4_T5_T6_T7_T9_mT8_P12ihipStream_tbDpT10_ENKUlT_T0_E_clISt17integral_constantIbLb0EES1A_EEDaS15_S16_EUlS15_E_NS1_11comp_targetILNS1_3genE5ELNS1_11target_archE942ELNS1_3gpuE9ELNS1_3repE0EEENS1_30default_config_static_selectorELNS0_4arch9wavefront6targetE0EEEvT1_: ; @_ZN7rocprim17ROCPRIM_400000_NS6detail17trampoline_kernelINS0_14default_configENS1_25partition_config_selectorILNS1_17partition_subalgoE9EllbEEZZNS1_14partition_implILS5_9ELb0ES3_jPlS8_PNS0_10empty_typeENS0_5tupleIJS8_S9_EEENSB_IJS8_SA_EEENS0_18inequality_wrapperIZN2at6native12_GLOBAL__N_124unique_dim_cuda_templateItEESt5tupleIJNSF_6TensorESK_SK_EERKSK_lbbbEUlllE0_EEPmJS9_EEE10hipError_tPvRmT3_T4_T5_T6_T7_T9_mT8_P12ihipStream_tbDpT10_ENKUlT_T0_E_clISt17integral_constantIbLb0EES1A_EEDaS15_S16_EUlS15_E_NS1_11comp_targetILNS1_3genE5ELNS1_11target_archE942ELNS1_3gpuE9ELNS1_3repE0EEENS1_30default_config_static_selectorELNS0_4arch9wavefront6targetE0EEEvT1_
; %bb.0:
	.section	.rodata,"a",@progbits
	.p2align	6, 0x0
	.amdhsa_kernel _ZN7rocprim17ROCPRIM_400000_NS6detail17trampoline_kernelINS0_14default_configENS1_25partition_config_selectorILNS1_17partition_subalgoE9EllbEEZZNS1_14partition_implILS5_9ELb0ES3_jPlS8_PNS0_10empty_typeENS0_5tupleIJS8_S9_EEENSB_IJS8_SA_EEENS0_18inequality_wrapperIZN2at6native12_GLOBAL__N_124unique_dim_cuda_templateItEESt5tupleIJNSF_6TensorESK_SK_EERKSK_lbbbEUlllE0_EEPmJS9_EEE10hipError_tPvRmT3_T4_T5_T6_T7_T9_mT8_P12ihipStream_tbDpT10_ENKUlT_T0_E_clISt17integral_constantIbLb0EES1A_EEDaS15_S16_EUlS15_E_NS1_11comp_targetILNS1_3genE5ELNS1_11target_archE942ELNS1_3gpuE9ELNS1_3repE0EEENS1_30default_config_static_selectorELNS0_4arch9wavefront6targetE0EEEvT1_
		.amdhsa_group_segment_fixed_size 0
		.amdhsa_private_segment_fixed_size 0
		.amdhsa_kernarg_size 120
		.amdhsa_user_sgpr_count 15
		.amdhsa_user_sgpr_dispatch_ptr 0
		.amdhsa_user_sgpr_queue_ptr 0
		.amdhsa_user_sgpr_kernarg_segment_ptr 1
		.amdhsa_user_sgpr_dispatch_id 0
		.amdhsa_user_sgpr_private_segment_size 0
		.amdhsa_wavefront_size32 1
		.amdhsa_uses_dynamic_stack 0
		.amdhsa_enable_private_segment 0
		.amdhsa_system_sgpr_workgroup_id_x 1
		.amdhsa_system_sgpr_workgroup_id_y 0
		.amdhsa_system_sgpr_workgroup_id_z 0
		.amdhsa_system_sgpr_workgroup_info 0
		.amdhsa_system_vgpr_workitem_id 0
		.amdhsa_next_free_vgpr 1
		.amdhsa_next_free_sgpr 1
		.amdhsa_reserve_vcc 0
		.amdhsa_float_round_mode_32 0
		.amdhsa_float_round_mode_16_64 0
		.amdhsa_float_denorm_mode_32 3
		.amdhsa_float_denorm_mode_16_64 3
		.amdhsa_dx10_clamp 1
		.amdhsa_ieee_mode 1
		.amdhsa_fp16_overflow 0
		.amdhsa_workgroup_processor_mode 1
		.amdhsa_memory_ordered 1
		.amdhsa_forward_progress 0
		.amdhsa_shared_vgpr_count 0
		.amdhsa_exception_fp_ieee_invalid_op 0
		.amdhsa_exception_fp_denorm_src 0
		.amdhsa_exception_fp_ieee_div_zero 0
		.amdhsa_exception_fp_ieee_overflow 0
		.amdhsa_exception_fp_ieee_underflow 0
		.amdhsa_exception_fp_ieee_inexact 0
		.amdhsa_exception_int_div_zero 0
	.end_amdhsa_kernel
	.section	.text._ZN7rocprim17ROCPRIM_400000_NS6detail17trampoline_kernelINS0_14default_configENS1_25partition_config_selectorILNS1_17partition_subalgoE9EllbEEZZNS1_14partition_implILS5_9ELb0ES3_jPlS8_PNS0_10empty_typeENS0_5tupleIJS8_S9_EEENSB_IJS8_SA_EEENS0_18inequality_wrapperIZN2at6native12_GLOBAL__N_124unique_dim_cuda_templateItEESt5tupleIJNSF_6TensorESK_SK_EERKSK_lbbbEUlllE0_EEPmJS9_EEE10hipError_tPvRmT3_T4_T5_T6_T7_T9_mT8_P12ihipStream_tbDpT10_ENKUlT_T0_E_clISt17integral_constantIbLb0EES1A_EEDaS15_S16_EUlS15_E_NS1_11comp_targetILNS1_3genE5ELNS1_11target_archE942ELNS1_3gpuE9ELNS1_3repE0EEENS1_30default_config_static_selectorELNS0_4arch9wavefront6targetE0EEEvT1_,"axG",@progbits,_ZN7rocprim17ROCPRIM_400000_NS6detail17trampoline_kernelINS0_14default_configENS1_25partition_config_selectorILNS1_17partition_subalgoE9EllbEEZZNS1_14partition_implILS5_9ELb0ES3_jPlS8_PNS0_10empty_typeENS0_5tupleIJS8_S9_EEENSB_IJS8_SA_EEENS0_18inequality_wrapperIZN2at6native12_GLOBAL__N_124unique_dim_cuda_templateItEESt5tupleIJNSF_6TensorESK_SK_EERKSK_lbbbEUlllE0_EEPmJS9_EEE10hipError_tPvRmT3_T4_T5_T6_T7_T9_mT8_P12ihipStream_tbDpT10_ENKUlT_T0_E_clISt17integral_constantIbLb0EES1A_EEDaS15_S16_EUlS15_E_NS1_11comp_targetILNS1_3genE5ELNS1_11target_archE942ELNS1_3gpuE9ELNS1_3repE0EEENS1_30default_config_static_selectorELNS0_4arch9wavefront6targetE0EEEvT1_,comdat
.Lfunc_end1450:
	.size	_ZN7rocprim17ROCPRIM_400000_NS6detail17trampoline_kernelINS0_14default_configENS1_25partition_config_selectorILNS1_17partition_subalgoE9EllbEEZZNS1_14partition_implILS5_9ELb0ES3_jPlS8_PNS0_10empty_typeENS0_5tupleIJS8_S9_EEENSB_IJS8_SA_EEENS0_18inequality_wrapperIZN2at6native12_GLOBAL__N_124unique_dim_cuda_templateItEESt5tupleIJNSF_6TensorESK_SK_EERKSK_lbbbEUlllE0_EEPmJS9_EEE10hipError_tPvRmT3_T4_T5_T6_T7_T9_mT8_P12ihipStream_tbDpT10_ENKUlT_T0_E_clISt17integral_constantIbLb0EES1A_EEDaS15_S16_EUlS15_E_NS1_11comp_targetILNS1_3genE5ELNS1_11target_archE942ELNS1_3gpuE9ELNS1_3repE0EEENS1_30default_config_static_selectorELNS0_4arch9wavefront6targetE0EEEvT1_, .Lfunc_end1450-_ZN7rocprim17ROCPRIM_400000_NS6detail17trampoline_kernelINS0_14default_configENS1_25partition_config_selectorILNS1_17partition_subalgoE9EllbEEZZNS1_14partition_implILS5_9ELb0ES3_jPlS8_PNS0_10empty_typeENS0_5tupleIJS8_S9_EEENSB_IJS8_SA_EEENS0_18inequality_wrapperIZN2at6native12_GLOBAL__N_124unique_dim_cuda_templateItEESt5tupleIJNSF_6TensorESK_SK_EERKSK_lbbbEUlllE0_EEPmJS9_EEE10hipError_tPvRmT3_T4_T5_T6_T7_T9_mT8_P12ihipStream_tbDpT10_ENKUlT_T0_E_clISt17integral_constantIbLb0EES1A_EEDaS15_S16_EUlS15_E_NS1_11comp_targetILNS1_3genE5ELNS1_11target_archE942ELNS1_3gpuE9ELNS1_3repE0EEENS1_30default_config_static_selectorELNS0_4arch9wavefront6targetE0EEEvT1_
                                        ; -- End function
	.section	.AMDGPU.csdata,"",@progbits
; Kernel info:
; codeLenInByte = 0
; NumSgprs: 0
; NumVgprs: 0
; ScratchSize: 0
; MemoryBound: 0
; FloatMode: 240
; IeeeMode: 1
; LDSByteSize: 0 bytes/workgroup (compile time only)
; SGPRBlocks: 0
; VGPRBlocks: 0
; NumSGPRsForWavesPerEU: 1
; NumVGPRsForWavesPerEU: 1
; Occupancy: 16
; WaveLimiterHint : 0
; COMPUTE_PGM_RSRC2:SCRATCH_EN: 0
; COMPUTE_PGM_RSRC2:USER_SGPR: 15
; COMPUTE_PGM_RSRC2:TRAP_HANDLER: 0
; COMPUTE_PGM_RSRC2:TGID_X_EN: 1
; COMPUTE_PGM_RSRC2:TGID_Y_EN: 0
; COMPUTE_PGM_RSRC2:TGID_Z_EN: 0
; COMPUTE_PGM_RSRC2:TIDIG_COMP_CNT: 0
	.section	.text._ZN7rocprim17ROCPRIM_400000_NS6detail17trampoline_kernelINS0_14default_configENS1_25partition_config_selectorILNS1_17partition_subalgoE9EllbEEZZNS1_14partition_implILS5_9ELb0ES3_jPlS8_PNS0_10empty_typeENS0_5tupleIJS8_S9_EEENSB_IJS8_SA_EEENS0_18inequality_wrapperIZN2at6native12_GLOBAL__N_124unique_dim_cuda_templateItEESt5tupleIJNSF_6TensorESK_SK_EERKSK_lbbbEUlllE0_EEPmJS9_EEE10hipError_tPvRmT3_T4_T5_T6_T7_T9_mT8_P12ihipStream_tbDpT10_ENKUlT_T0_E_clISt17integral_constantIbLb0EES1A_EEDaS15_S16_EUlS15_E_NS1_11comp_targetILNS1_3genE4ELNS1_11target_archE910ELNS1_3gpuE8ELNS1_3repE0EEENS1_30default_config_static_selectorELNS0_4arch9wavefront6targetE0EEEvT1_,"axG",@progbits,_ZN7rocprim17ROCPRIM_400000_NS6detail17trampoline_kernelINS0_14default_configENS1_25partition_config_selectorILNS1_17partition_subalgoE9EllbEEZZNS1_14partition_implILS5_9ELb0ES3_jPlS8_PNS0_10empty_typeENS0_5tupleIJS8_S9_EEENSB_IJS8_SA_EEENS0_18inequality_wrapperIZN2at6native12_GLOBAL__N_124unique_dim_cuda_templateItEESt5tupleIJNSF_6TensorESK_SK_EERKSK_lbbbEUlllE0_EEPmJS9_EEE10hipError_tPvRmT3_T4_T5_T6_T7_T9_mT8_P12ihipStream_tbDpT10_ENKUlT_T0_E_clISt17integral_constantIbLb0EES1A_EEDaS15_S16_EUlS15_E_NS1_11comp_targetILNS1_3genE4ELNS1_11target_archE910ELNS1_3gpuE8ELNS1_3repE0EEENS1_30default_config_static_selectorELNS0_4arch9wavefront6targetE0EEEvT1_,comdat
	.globl	_ZN7rocprim17ROCPRIM_400000_NS6detail17trampoline_kernelINS0_14default_configENS1_25partition_config_selectorILNS1_17partition_subalgoE9EllbEEZZNS1_14partition_implILS5_9ELb0ES3_jPlS8_PNS0_10empty_typeENS0_5tupleIJS8_S9_EEENSB_IJS8_SA_EEENS0_18inequality_wrapperIZN2at6native12_GLOBAL__N_124unique_dim_cuda_templateItEESt5tupleIJNSF_6TensorESK_SK_EERKSK_lbbbEUlllE0_EEPmJS9_EEE10hipError_tPvRmT3_T4_T5_T6_T7_T9_mT8_P12ihipStream_tbDpT10_ENKUlT_T0_E_clISt17integral_constantIbLb0EES1A_EEDaS15_S16_EUlS15_E_NS1_11comp_targetILNS1_3genE4ELNS1_11target_archE910ELNS1_3gpuE8ELNS1_3repE0EEENS1_30default_config_static_selectorELNS0_4arch9wavefront6targetE0EEEvT1_ ; -- Begin function _ZN7rocprim17ROCPRIM_400000_NS6detail17trampoline_kernelINS0_14default_configENS1_25partition_config_selectorILNS1_17partition_subalgoE9EllbEEZZNS1_14partition_implILS5_9ELb0ES3_jPlS8_PNS0_10empty_typeENS0_5tupleIJS8_S9_EEENSB_IJS8_SA_EEENS0_18inequality_wrapperIZN2at6native12_GLOBAL__N_124unique_dim_cuda_templateItEESt5tupleIJNSF_6TensorESK_SK_EERKSK_lbbbEUlllE0_EEPmJS9_EEE10hipError_tPvRmT3_T4_T5_T6_T7_T9_mT8_P12ihipStream_tbDpT10_ENKUlT_T0_E_clISt17integral_constantIbLb0EES1A_EEDaS15_S16_EUlS15_E_NS1_11comp_targetILNS1_3genE4ELNS1_11target_archE910ELNS1_3gpuE8ELNS1_3repE0EEENS1_30default_config_static_selectorELNS0_4arch9wavefront6targetE0EEEvT1_
	.p2align	8
	.type	_ZN7rocprim17ROCPRIM_400000_NS6detail17trampoline_kernelINS0_14default_configENS1_25partition_config_selectorILNS1_17partition_subalgoE9EllbEEZZNS1_14partition_implILS5_9ELb0ES3_jPlS8_PNS0_10empty_typeENS0_5tupleIJS8_S9_EEENSB_IJS8_SA_EEENS0_18inequality_wrapperIZN2at6native12_GLOBAL__N_124unique_dim_cuda_templateItEESt5tupleIJNSF_6TensorESK_SK_EERKSK_lbbbEUlllE0_EEPmJS9_EEE10hipError_tPvRmT3_T4_T5_T6_T7_T9_mT8_P12ihipStream_tbDpT10_ENKUlT_T0_E_clISt17integral_constantIbLb0EES1A_EEDaS15_S16_EUlS15_E_NS1_11comp_targetILNS1_3genE4ELNS1_11target_archE910ELNS1_3gpuE8ELNS1_3repE0EEENS1_30default_config_static_selectorELNS0_4arch9wavefront6targetE0EEEvT1_,@function
_ZN7rocprim17ROCPRIM_400000_NS6detail17trampoline_kernelINS0_14default_configENS1_25partition_config_selectorILNS1_17partition_subalgoE9EllbEEZZNS1_14partition_implILS5_9ELb0ES3_jPlS8_PNS0_10empty_typeENS0_5tupleIJS8_S9_EEENSB_IJS8_SA_EEENS0_18inequality_wrapperIZN2at6native12_GLOBAL__N_124unique_dim_cuda_templateItEESt5tupleIJNSF_6TensorESK_SK_EERKSK_lbbbEUlllE0_EEPmJS9_EEE10hipError_tPvRmT3_T4_T5_T6_T7_T9_mT8_P12ihipStream_tbDpT10_ENKUlT_T0_E_clISt17integral_constantIbLb0EES1A_EEDaS15_S16_EUlS15_E_NS1_11comp_targetILNS1_3genE4ELNS1_11target_archE910ELNS1_3gpuE8ELNS1_3repE0EEENS1_30default_config_static_selectorELNS0_4arch9wavefront6targetE0EEEvT1_: ; @_ZN7rocprim17ROCPRIM_400000_NS6detail17trampoline_kernelINS0_14default_configENS1_25partition_config_selectorILNS1_17partition_subalgoE9EllbEEZZNS1_14partition_implILS5_9ELb0ES3_jPlS8_PNS0_10empty_typeENS0_5tupleIJS8_S9_EEENSB_IJS8_SA_EEENS0_18inequality_wrapperIZN2at6native12_GLOBAL__N_124unique_dim_cuda_templateItEESt5tupleIJNSF_6TensorESK_SK_EERKSK_lbbbEUlllE0_EEPmJS9_EEE10hipError_tPvRmT3_T4_T5_T6_T7_T9_mT8_P12ihipStream_tbDpT10_ENKUlT_T0_E_clISt17integral_constantIbLb0EES1A_EEDaS15_S16_EUlS15_E_NS1_11comp_targetILNS1_3genE4ELNS1_11target_archE910ELNS1_3gpuE8ELNS1_3repE0EEENS1_30default_config_static_selectorELNS0_4arch9wavefront6targetE0EEEvT1_
; %bb.0:
	.section	.rodata,"a",@progbits
	.p2align	6, 0x0
	.amdhsa_kernel _ZN7rocprim17ROCPRIM_400000_NS6detail17trampoline_kernelINS0_14default_configENS1_25partition_config_selectorILNS1_17partition_subalgoE9EllbEEZZNS1_14partition_implILS5_9ELb0ES3_jPlS8_PNS0_10empty_typeENS0_5tupleIJS8_S9_EEENSB_IJS8_SA_EEENS0_18inequality_wrapperIZN2at6native12_GLOBAL__N_124unique_dim_cuda_templateItEESt5tupleIJNSF_6TensorESK_SK_EERKSK_lbbbEUlllE0_EEPmJS9_EEE10hipError_tPvRmT3_T4_T5_T6_T7_T9_mT8_P12ihipStream_tbDpT10_ENKUlT_T0_E_clISt17integral_constantIbLb0EES1A_EEDaS15_S16_EUlS15_E_NS1_11comp_targetILNS1_3genE4ELNS1_11target_archE910ELNS1_3gpuE8ELNS1_3repE0EEENS1_30default_config_static_selectorELNS0_4arch9wavefront6targetE0EEEvT1_
		.amdhsa_group_segment_fixed_size 0
		.amdhsa_private_segment_fixed_size 0
		.amdhsa_kernarg_size 120
		.amdhsa_user_sgpr_count 15
		.amdhsa_user_sgpr_dispatch_ptr 0
		.amdhsa_user_sgpr_queue_ptr 0
		.amdhsa_user_sgpr_kernarg_segment_ptr 1
		.amdhsa_user_sgpr_dispatch_id 0
		.amdhsa_user_sgpr_private_segment_size 0
		.amdhsa_wavefront_size32 1
		.amdhsa_uses_dynamic_stack 0
		.amdhsa_enable_private_segment 0
		.amdhsa_system_sgpr_workgroup_id_x 1
		.amdhsa_system_sgpr_workgroup_id_y 0
		.amdhsa_system_sgpr_workgroup_id_z 0
		.amdhsa_system_sgpr_workgroup_info 0
		.amdhsa_system_vgpr_workitem_id 0
		.amdhsa_next_free_vgpr 1
		.amdhsa_next_free_sgpr 1
		.amdhsa_reserve_vcc 0
		.amdhsa_float_round_mode_32 0
		.amdhsa_float_round_mode_16_64 0
		.amdhsa_float_denorm_mode_32 3
		.amdhsa_float_denorm_mode_16_64 3
		.amdhsa_dx10_clamp 1
		.amdhsa_ieee_mode 1
		.amdhsa_fp16_overflow 0
		.amdhsa_workgroup_processor_mode 1
		.amdhsa_memory_ordered 1
		.amdhsa_forward_progress 0
		.amdhsa_shared_vgpr_count 0
		.amdhsa_exception_fp_ieee_invalid_op 0
		.amdhsa_exception_fp_denorm_src 0
		.amdhsa_exception_fp_ieee_div_zero 0
		.amdhsa_exception_fp_ieee_overflow 0
		.amdhsa_exception_fp_ieee_underflow 0
		.amdhsa_exception_fp_ieee_inexact 0
		.amdhsa_exception_int_div_zero 0
	.end_amdhsa_kernel
	.section	.text._ZN7rocprim17ROCPRIM_400000_NS6detail17trampoline_kernelINS0_14default_configENS1_25partition_config_selectorILNS1_17partition_subalgoE9EllbEEZZNS1_14partition_implILS5_9ELb0ES3_jPlS8_PNS0_10empty_typeENS0_5tupleIJS8_S9_EEENSB_IJS8_SA_EEENS0_18inequality_wrapperIZN2at6native12_GLOBAL__N_124unique_dim_cuda_templateItEESt5tupleIJNSF_6TensorESK_SK_EERKSK_lbbbEUlllE0_EEPmJS9_EEE10hipError_tPvRmT3_T4_T5_T6_T7_T9_mT8_P12ihipStream_tbDpT10_ENKUlT_T0_E_clISt17integral_constantIbLb0EES1A_EEDaS15_S16_EUlS15_E_NS1_11comp_targetILNS1_3genE4ELNS1_11target_archE910ELNS1_3gpuE8ELNS1_3repE0EEENS1_30default_config_static_selectorELNS0_4arch9wavefront6targetE0EEEvT1_,"axG",@progbits,_ZN7rocprim17ROCPRIM_400000_NS6detail17trampoline_kernelINS0_14default_configENS1_25partition_config_selectorILNS1_17partition_subalgoE9EllbEEZZNS1_14partition_implILS5_9ELb0ES3_jPlS8_PNS0_10empty_typeENS0_5tupleIJS8_S9_EEENSB_IJS8_SA_EEENS0_18inequality_wrapperIZN2at6native12_GLOBAL__N_124unique_dim_cuda_templateItEESt5tupleIJNSF_6TensorESK_SK_EERKSK_lbbbEUlllE0_EEPmJS9_EEE10hipError_tPvRmT3_T4_T5_T6_T7_T9_mT8_P12ihipStream_tbDpT10_ENKUlT_T0_E_clISt17integral_constantIbLb0EES1A_EEDaS15_S16_EUlS15_E_NS1_11comp_targetILNS1_3genE4ELNS1_11target_archE910ELNS1_3gpuE8ELNS1_3repE0EEENS1_30default_config_static_selectorELNS0_4arch9wavefront6targetE0EEEvT1_,comdat
.Lfunc_end1451:
	.size	_ZN7rocprim17ROCPRIM_400000_NS6detail17trampoline_kernelINS0_14default_configENS1_25partition_config_selectorILNS1_17partition_subalgoE9EllbEEZZNS1_14partition_implILS5_9ELb0ES3_jPlS8_PNS0_10empty_typeENS0_5tupleIJS8_S9_EEENSB_IJS8_SA_EEENS0_18inequality_wrapperIZN2at6native12_GLOBAL__N_124unique_dim_cuda_templateItEESt5tupleIJNSF_6TensorESK_SK_EERKSK_lbbbEUlllE0_EEPmJS9_EEE10hipError_tPvRmT3_T4_T5_T6_T7_T9_mT8_P12ihipStream_tbDpT10_ENKUlT_T0_E_clISt17integral_constantIbLb0EES1A_EEDaS15_S16_EUlS15_E_NS1_11comp_targetILNS1_3genE4ELNS1_11target_archE910ELNS1_3gpuE8ELNS1_3repE0EEENS1_30default_config_static_selectorELNS0_4arch9wavefront6targetE0EEEvT1_, .Lfunc_end1451-_ZN7rocprim17ROCPRIM_400000_NS6detail17trampoline_kernelINS0_14default_configENS1_25partition_config_selectorILNS1_17partition_subalgoE9EllbEEZZNS1_14partition_implILS5_9ELb0ES3_jPlS8_PNS0_10empty_typeENS0_5tupleIJS8_S9_EEENSB_IJS8_SA_EEENS0_18inequality_wrapperIZN2at6native12_GLOBAL__N_124unique_dim_cuda_templateItEESt5tupleIJNSF_6TensorESK_SK_EERKSK_lbbbEUlllE0_EEPmJS9_EEE10hipError_tPvRmT3_T4_T5_T6_T7_T9_mT8_P12ihipStream_tbDpT10_ENKUlT_T0_E_clISt17integral_constantIbLb0EES1A_EEDaS15_S16_EUlS15_E_NS1_11comp_targetILNS1_3genE4ELNS1_11target_archE910ELNS1_3gpuE8ELNS1_3repE0EEENS1_30default_config_static_selectorELNS0_4arch9wavefront6targetE0EEEvT1_
                                        ; -- End function
	.section	.AMDGPU.csdata,"",@progbits
; Kernel info:
; codeLenInByte = 0
; NumSgprs: 0
; NumVgprs: 0
; ScratchSize: 0
; MemoryBound: 0
; FloatMode: 240
; IeeeMode: 1
; LDSByteSize: 0 bytes/workgroup (compile time only)
; SGPRBlocks: 0
; VGPRBlocks: 0
; NumSGPRsForWavesPerEU: 1
; NumVGPRsForWavesPerEU: 1
; Occupancy: 16
; WaveLimiterHint : 0
; COMPUTE_PGM_RSRC2:SCRATCH_EN: 0
; COMPUTE_PGM_RSRC2:USER_SGPR: 15
; COMPUTE_PGM_RSRC2:TRAP_HANDLER: 0
; COMPUTE_PGM_RSRC2:TGID_X_EN: 1
; COMPUTE_PGM_RSRC2:TGID_Y_EN: 0
; COMPUTE_PGM_RSRC2:TGID_Z_EN: 0
; COMPUTE_PGM_RSRC2:TIDIG_COMP_CNT: 0
	.section	.text._ZN7rocprim17ROCPRIM_400000_NS6detail17trampoline_kernelINS0_14default_configENS1_25partition_config_selectorILNS1_17partition_subalgoE9EllbEEZZNS1_14partition_implILS5_9ELb0ES3_jPlS8_PNS0_10empty_typeENS0_5tupleIJS8_S9_EEENSB_IJS8_SA_EEENS0_18inequality_wrapperIZN2at6native12_GLOBAL__N_124unique_dim_cuda_templateItEESt5tupleIJNSF_6TensorESK_SK_EERKSK_lbbbEUlllE0_EEPmJS9_EEE10hipError_tPvRmT3_T4_T5_T6_T7_T9_mT8_P12ihipStream_tbDpT10_ENKUlT_T0_E_clISt17integral_constantIbLb0EES1A_EEDaS15_S16_EUlS15_E_NS1_11comp_targetILNS1_3genE3ELNS1_11target_archE908ELNS1_3gpuE7ELNS1_3repE0EEENS1_30default_config_static_selectorELNS0_4arch9wavefront6targetE0EEEvT1_,"axG",@progbits,_ZN7rocprim17ROCPRIM_400000_NS6detail17trampoline_kernelINS0_14default_configENS1_25partition_config_selectorILNS1_17partition_subalgoE9EllbEEZZNS1_14partition_implILS5_9ELb0ES3_jPlS8_PNS0_10empty_typeENS0_5tupleIJS8_S9_EEENSB_IJS8_SA_EEENS0_18inequality_wrapperIZN2at6native12_GLOBAL__N_124unique_dim_cuda_templateItEESt5tupleIJNSF_6TensorESK_SK_EERKSK_lbbbEUlllE0_EEPmJS9_EEE10hipError_tPvRmT3_T4_T5_T6_T7_T9_mT8_P12ihipStream_tbDpT10_ENKUlT_T0_E_clISt17integral_constantIbLb0EES1A_EEDaS15_S16_EUlS15_E_NS1_11comp_targetILNS1_3genE3ELNS1_11target_archE908ELNS1_3gpuE7ELNS1_3repE0EEENS1_30default_config_static_selectorELNS0_4arch9wavefront6targetE0EEEvT1_,comdat
	.globl	_ZN7rocprim17ROCPRIM_400000_NS6detail17trampoline_kernelINS0_14default_configENS1_25partition_config_selectorILNS1_17partition_subalgoE9EllbEEZZNS1_14partition_implILS5_9ELb0ES3_jPlS8_PNS0_10empty_typeENS0_5tupleIJS8_S9_EEENSB_IJS8_SA_EEENS0_18inequality_wrapperIZN2at6native12_GLOBAL__N_124unique_dim_cuda_templateItEESt5tupleIJNSF_6TensorESK_SK_EERKSK_lbbbEUlllE0_EEPmJS9_EEE10hipError_tPvRmT3_T4_T5_T6_T7_T9_mT8_P12ihipStream_tbDpT10_ENKUlT_T0_E_clISt17integral_constantIbLb0EES1A_EEDaS15_S16_EUlS15_E_NS1_11comp_targetILNS1_3genE3ELNS1_11target_archE908ELNS1_3gpuE7ELNS1_3repE0EEENS1_30default_config_static_selectorELNS0_4arch9wavefront6targetE0EEEvT1_ ; -- Begin function _ZN7rocprim17ROCPRIM_400000_NS6detail17trampoline_kernelINS0_14default_configENS1_25partition_config_selectorILNS1_17partition_subalgoE9EllbEEZZNS1_14partition_implILS5_9ELb0ES3_jPlS8_PNS0_10empty_typeENS0_5tupleIJS8_S9_EEENSB_IJS8_SA_EEENS0_18inequality_wrapperIZN2at6native12_GLOBAL__N_124unique_dim_cuda_templateItEESt5tupleIJNSF_6TensorESK_SK_EERKSK_lbbbEUlllE0_EEPmJS9_EEE10hipError_tPvRmT3_T4_T5_T6_T7_T9_mT8_P12ihipStream_tbDpT10_ENKUlT_T0_E_clISt17integral_constantIbLb0EES1A_EEDaS15_S16_EUlS15_E_NS1_11comp_targetILNS1_3genE3ELNS1_11target_archE908ELNS1_3gpuE7ELNS1_3repE0EEENS1_30default_config_static_selectorELNS0_4arch9wavefront6targetE0EEEvT1_
	.p2align	8
	.type	_ZN7rocprim17ROCPRIM_400000_NS6detail17trampoline_kernelINS0_14default_configENS1_25partition_config_selectorILNS1_17partition_subalgoE9EllbEEZZNS1_14partition_implILS5_9ELb0ES3_jPlS8_PNS0_10empty_typeENS0_5tupleIJS8_S9_EEENSB_IJS8_SA_EEENS0_18inequality_wrapperIZN2at6native12_GLOBAL__N_124unique_dim_cuda_templateItEESt5tupleIJNSF_6TensorESK_SK_EERKSK_lbbbEUlllE0_EEPmJS9_EEE10hipError_tPvRmT3_T4_T5_T6_T7_T9_mT8_P12ihipStream_tbDpT10_ENKUlT_T0_E_clISt17integral_constantIbLb0EES1A_EEDaS15_S16_EUlS15_E_NS1_11comp_targetILNS1_3genE3ELNS1_11target_archE908ELNS1_3gpuE7ELNS1_3repE0EEENS1_30default_config_static_selectorELNS0_4arch9wavefront6targetE0EEEvT1_,@function
_ZN7rocprim17ROCPRIM_400000_NS6detail17trampoline_kernelINS0_14default_configENS1_25partition_config_selectorILNS1_17partition_subalgoE9EllbEEZZNS1_14partition_implILS5_9ELb0ES3_jPlS8_PNS0_10empty_typeENS0_5tupleIJS8_S9_EEENSB_IJS8_SA_EEENS0_18inequality_wrapperIZN2at6native12_GLOBAL__N_124unique_dim_cuda_templateItEESt5tupleIJNSF_6TensorESK_SK_EERKSK_lbbbEUlllE0_EEPmJS9_EEE10hipError_tPvRmT3_T4_T5_T6_T7_T9_mT8_P12ihipStream_tbDpT10_ENKUlT_T0_E_clISt17integral_constantIbLb0EES1A_EEDaS15_S16_EUlS15_E_NS1_11comp_targetILNS1_3genE3ELNS1_11target_archE908ELNS1_3gpuE7ELNS1_3repE0EEENS1_30default_config_static_selectorELNS0_4arch9wavefront6targetE0EEEvT1_: ; @_ZN7rocprim17ROCPRIM_400000_NS6detail17trampoline_kernelINS0_14default_configENS1_25partition_config_selectorILNS1_17partition_subalgoE9EllbEEZZNS1_14partition_implILS5_9ELb0ES3_jPlS8_PNS0_10empty_typeENS0_5tupleIJS8_S9_EEENSB_IJS8_SA_EEENS0_18inequality_wrapperIZN2at6native12_GLOBAL__N_124unique_dim_cuda_templateItEESt5tupleIJNSF_6TensorESK_SK_EERKSK_lbbbEUlllE0_EEPmJS9_EEE10hipError_tPvRmT3_T4_T5_T6_T7_T9_mT8_P12ihipStream_tbDpT10_ENKUlT_T0_E_clISt17integral_constantIbLb0EES1A_EEDaS15_S16_EUlS15_E_NS1_11comp_targetILNS1_3genE3ELNS1_11target_archE908ELNS1_3gpuE7ELNS1_3repE0EEENS1_30default_config_static_selectorELNS0_4arch9wavefront6targetE0EEEvT1_
; %bb.0:
	.section	.rodata,"a",@progbits
	.p2align	6, 0x0
	.amdhsa_kernel _ZN7rocprim17ROCPRIM_400000_NS6detail17trampoline_kernelINS0_14default_configENS1_25partition_config_selectorILNS1_17partition_subalgoE9EllbEEZZNS1_14partition_implILS5_9ELb0ES3_jPlS8_PNS0_10empty_typeENS0_5tupleIJS8_S9_EEENSB_IJS8_SA_EEENS0_18inequality_wrapperIZN2at6native12_GLOBAL__N_124unique_dim_cuda_templateItEESt5tupleIJNSF_6TensorESK_SK_EERKSK_lbbbEUlllE0_EEPmJS9_EEE10hipError_tPvRmT3_T4_T5_T6_T7_T9_mT8_P12ihipStream_tbDpT10_ENKUlT_T0_E_clISt17integral_constantIbLb0EES1A_EEDaS15_S16_EUlS15_E_NS1_11comp_targetILNS1_3genE3ELNS1_11target_archE908ELNS1_3gpuE7ELNS1_3repE0EEENS1_30default_config_static_selectorELNS0_4arch9wavefront6targetE0EEEvT1_
		.amdhsa_group_segment_fixed_size 0
		.amdhsa_private_segment_fixed_size 0
		.amdhsa_kernarg_size 120
		.amdhsa_user_sgpr_count 15
		.amdhsa_user_sgpr_dispatch_ptr 0
		.amdhsa_user_sgpr_queue_ptr 0
		.amdhsa_user_sgpr_kernarg_segment_ptr 1
		.amdhsa_user_sgpr_dispatch_id 0
		.amdhsa_user_sgpr_private_segment_size 0
		.amdhsa_wavefront_size32 1
		.amdhsa_uses_dynamic_stack 0
		.amdhsa_enable_private_segment 0
		.amdhsa_system_sgpr_workgroup_id_x 1
		.amdhsa_system_sgpr_workgroup_id_y 0
		.amdhsa_system_sgpr_workgroup_id_z 0
		.amdhsa_system_sgpr_workgroup_info 0
		.amdhsa_system_vgpr_workitem_id 0
		.amdhsa_next_free_vgpr 1
		.amdhsa_next_free_sgpr 1
		.amdhsa_reserve_vcc 0
		.amdhsa_float_round_mode_32 0
		.amdhsa_float_round_mode_16_64 0
		.amdhsa_float_denorm_mode_32 3
		.amdhsa_float_denorm_mode_16_64 3
		.amdhsa_dx10_clamp 1
		.amdhsa_ieee_mode 1
		.amdhsa_fp16_overflow 0
		.amdhsa_workgroup_processor_mode 1
		.amdhsa_memory_ordered 1
		.amdhsa_forward_progress 0
		.amdhsa_shared_vgpr_count 0
		.amdhsa_exception_fp_ieee_invalid_op 0
		.amdhsa_exception_fp_denorm_src 0
		.amdhsa_exception_fp_ieee_div_zero 0
		.amdhsa_exception_fp_ieee_overflow 0
		.amdhsa_exception_fp_ieee_underflow 0
		.amdhsa_exception_fp_ieee_inexact 0
		.amdhsa_exception_int_div_zero 0
	.end_amdhsa_kernel
	.section	.text._ZN7rocprim17ROCPRIM_400000_NS6detail17trampoline_kernelINS0_14default_configENS1_25partition_config_selectorILNS1_17partition_subalgoE9EllbEEZZNS1_14partition_implILS5_9ELb0ES3_jPlS8_PNS0_10empty_typeENS0_5tupleIJS8_S9_EEENSB_IJS8_SA_EEENS0_18inequality_wrapperIZN2at6native12_GLOBAL__N_124unique_dim_cuda_templateItEESt5tupleIJNSF_6TensorESK_SK_EERKSK_lbbbEUlllE0_EEPmJS9_EEE10hipError_tPvRmT3_T4_T5_T6_T7_T9_mT8_P12ihipStream_tbDpT10_ENKUlT_T0_E_clISt17integral_constantIbLb0EES1A_EEDaS15_S16_EUlS15_E_NS1_11comp_targetILNS1_3genE3ELNS1_11target_archE908ELNS1_3gpuE7ELNS1_3repE0EEENS1_30default_config_static_selectorELNS0_4arch9wavefront6targetE0EEEvT1_,"axG",@progbits,_ZN7rocprim17ROCPRIM_400000_NS6detail17trampoline_kernelINS0_14default_configENS1_25partition_config_selectorILNS1_17partition_subalgoE9EllbEEZZNS1_14partition_implILS5_9ELb0ES3_jPlS8_PNS0_10empty_typeENS0_5tupleIJS8_S9_EEENSB_IJS8_SA_EEENS0_18inequality_wrapperIZN2at6native12_GLOBAL__N_124unique_dim_cuda_templateItEESt5tupleIJNSF_6TensorESK_SK_EERKSK_lbbbEUlllE0_EEPmJS9_EEE10hipError_tPvRmT3_T4_T5_T6_T7_T9_mT8_P12ihipStream_tbDpT10_ENKUlT_T0_E_clISt17integral_constantIbLb0EES1A_EEDaS15_S16_EUlS15_E_NS1_11comp_targetILNS1_3genE3ELNS1_11target_archE908ELNS1_3gpuE7ELNS1_3repE0EEENS1_30default_config_static_selectorELNS0_4arch9wavefront6targetE0EEEvT1_,comdat
.Lfunc_end1452:
	.size	_ZN7rocprim17ROCPRIM_400000_NS6detail17trampoline_kernelINS0_14default_configENS1_25partition_config_selectorILNS1_17partition_subalgoE9EllbEEZZNS1_14partition_implILS5_9ELb0ES3_jPlS8_PNS0_10empty_typeENS0_5tupleIJS8_S9_EEENSB_IJS8_SA_EEENS0_18inequality_wrapperIZN2at6native12_GLOBAL__N_124unique_dim_cuda_templateItEESt5tupleIJNSF_6TensorESK_SK_EERKSK_lbbbEUlllE0_EEPmJS9_EEE10hipError_tPvRmT3_T4_T5_T6_T7_T9_mT8_P12ihipStream_tbDpT10_ENKUlT_T0_E_clISt17integral_constantIbLb0EES1A_EEDaS15_S16_EUlS15_E_NS1_11comp_targetILNS1_3genE3ELNS1_11target_archE908ELNS1_3gpuE7ELNS1_3repE0EEENS1_30default_config_static_selectorELNS0_4arch9wavefront6targetE0EEEvT1_, .Lfunc_end1452-_ZN7rocprim17ROCPRIM_400000_NS6detail17trampoline_kernelINS0_14default_configENS1_25partition_config_selectorILNS1_17partition_subalgoE9EllbEEZZNS1_14partition_implILS5_9ELb0ES3_jPlS8_PNS0_10empty_typeENS0_5tupleIJS8_S9_EEENSB_IJS8_SA_EEENS0_18inequality_wrapperIZN2at6native12_GLOBAL__N_124unique_dim_cuda_templateItEESt5tupleIJNSF_6TensorESK_SK_EERKSK_lbbbEUlllE0_EEPmJS9_EEE10hipError_tPvRmT3_T4_T5_T6_T7_T9_mT8_P12ihipStream_tbDpT10_ENKUlT_T0_E_clISt17integral_constantIbLb0EES1A_EEDaS15_S16_EUlS15_E_NS1_11comp_targetILNS1_3genE3ELNS1_11target_archE908ELNS1_3gpuE7ELNS1_3repE0EEENS1_30default_config_static_selectorELNS0_4arch9wavefront6targetE0EEEvT1_
                                        ; -- End function
	.section	.AMDGPU.csdata,"",@progbits
; Kernel info:
; codeLenInByte = 0
; NumSgprs: 0
; NumVgprs: 0
; ScratchSize: 0
; MemoryBound: 0
; FloatMode: 240
; IeeeMode: 1
; LDSByteSize: 0 bytes/workgroup (compile time only)
; SGPRBlocks: 0
; VGPRBlocks: 0
; NumSGPRsForWavesPerEU: 1
; NumVGPRsForWavesPerEU: 1
; Occupancy: 16
; WaveLimiterHint : 0
; COMPUTE_PGM_RSRC2:SCRATCH_EN: 0
; COMPUTE_PGM_RSRC2:USER_SGPR: 15
; COMPUTE_PGM_RSRC2:TRAP_HANDLER: 0
; COMPUTE_PGM_RSRC2:TGID_X_EN: 1
; COMPUTE_PGM_RSRC2:TGID_Y_EN: 0
; COMPUTE_PGM_RSRC2:TGID_Z_EN: 0
; COMPUTE_PGM_RSRC2:TIDIG_COMP_CNT: 0
	.section	.text._ZN7rocprim17ROCPRIM_400000_NS6detail17trampoline_kernelINS0_14default_configENS1_25partition_config_selectorILNS1_17partition_subalgoE9EllbEEZZNS1_14partition_implILS5_9ELb0ES3_jPlS8_PNS0_10empty_typeENS0_5tupleIJS8_S9_EEENSB_IJS8_SA_EEENS0_18inequality_wrapperIZN2at6native12_GLOBAL__N_124unique_dim_cuda_templateItEESt5tupleIJNSF_6TensorESK_SK_EERKSK_lbbbEUlllE0_EEPmJS9_EEE10hipError_tPvRmT3_T4_T5_T6_T7_T9_mT8_P12ihipStream_tbDpT10_ENKUlT_T0_E_clISt17integral_constantIbLb0EES1A_EEDaS15_S16_EUlS15_E_NS1_11comp_targetILNS1_3genE2ELNS1_11target_archE906ELNS1_3gpuE6ELNS1_3repE0EEENS1_30default_config_static_selectorELNS0_4arch9wavefront6targetE0EEEvT1_,"axG",@progbits,_ZN7rocprim17ROCPRIM_400000_NS6detail17trampoline_kernelINS0_14default_configENS1_25partition_config_selectorILNS1_17partition_subalgoE9EllbEEZZNS1_14partition_implILS5_9ELb0ES3_jPlS8_PNS0_10empty_typeENS0_5tupleIJS8_S9_EEENSB_IJS8_SA_EEENS0_18inequality_wrapperIZN2at6native12_GLOBAL__N_124unique_dim_cuda_templateItEESt5tupleIJNSF_6TensorESK_SK_EERKSK_lbbbEUlllE0_EEPmJS9_EEE10hipError_tPvRmT3_T4_T5_T6_T7_T9_mT8_P12ihipStream_tbDpT10_ENKUlT_T0_E_clISt17integral_constantIbLb0EES1A_EEDaS15_S16_EUlS15_E_NS1_11comp_targetILNS1_3genE2ELNS1_11target_archE906ELNS1_3gpuE6ELNS1_3repE0EEENS1_30default_config_static_selectorELNS0_4arch9wavefront6targetE0EEEvT1_,comdat
	.globl	_ZN7rocprim17ROCPRIM_400000_NS6detail17trampoline_kernelINS0_14default_configENS1_25partition_config_selectorILNS1_17partition_subalgoE9EllbEEZZNS1_14partition_implILS5_9ELb0ES3_jPlS8_PNS0_10empty_typeENS0_5tupleIJS8_S9_EEENSB_IJS8_SA_EEENS0_18inequality_wrapperIZN2at6native12_GLOBAL__N_124unique_dim_cuda_templateItEESt5tupleIJNSF_6TensorESK_SK_EERKSK_lbbbEUlllE0_EEPmJS9_EEE10hipError_tPvRmT3_T4_T5_T6_T7_T9_mT8_P12ihipStream_tbDpT10_ENKUlT_T0_E_clISt17integral_constantIbLb0EES1A_EEDaS15_S16_EUlS15_E_NS1_11comp_targetILNS1_3genE2ELNS1_11target_archE906ELNS1_3gpuE6ELNS1_3repE0EEENS1_30default_config_static_selectorELNS0_4arch9wavefront6targetE0EEEvT1_ ; -- Begin function _ZN7rocprim17ROCPRIM_400000_NS6detail17trampoline_kernelINS0_14default_configENS1_25partition_config_selectorILNS1_17partition_subalgoE9EllbEEZZNS1_14partition_implILS5_9ELb0ES3_jPlS8_PNS0_10empty_typeENS0_5tupleIJS8_S9_EEENSB_IJS8_SA_EEENS0_18inequality_wrapperIZN2at6native12_GLOBAL__N_124unique_dim_cuda_templateItEESt5tupleIJNSF_6TensorESK_SK_EERKSK_lbbbEUlllE0_EEPmJS9_EEE10hipError_tPvRmT3_T4_T5_T6_T7_T9_mT8_P12ihipStream_tbDpT10_ENKUlT_T0_E_clISt17integral_constantIbLb0EES1A_EEDaS15_S16_EUlS15_E_NS1_11comp_targetILNS1_3genE2ELNS1_11target_archE906ELNS1_3gpuE6ELNS1_3repE0EEENS1_30default_config_static_selectorELNS0_4arch9wavefront6targetE0EEEvT1_
	.p2align	8
	.type	_ZN7rocprim17ROCPRIM_400000_NS6detail17trampoline_kernelINS0_14default_configENS1_25partition_config_selectorILNS1_17partition_subalgoE9EllbEEZZNS1_14partition_implILS5_9ELb0ES3_jPlS8_PNS0_10empty_typeENS0_5tupleIJS8_S9_EEENSB_IJS8_SA_EEENS0_18inequality_wrapperIZN2at6native12_GLOBAL__N_124unique_dim_cuda_templateItEESt5tupleIJNSF_6TensorESK_SK_EERKSK_lbbbEUlllE0_EEPmJS9_EEE10hipError_tPvRmT3_T4_T5_T6_T7_T9_mT8_P12ihipStream_tbDpT10_ENKUlT_T0_E_clISt17integral_constantIbLb0EES1A_EEDaS15_S16_EUlS15_E_NS1_11comp_targetILNS1_3genE2ELNS1_11target_archE906ELNS1_3gpuE6ELNS1_3repE0EEENS1_30default_config_static_selectorELNS0_4arch9wavefront6targetE0EEEvT1_,@function
_ZN7rocprim17ROCPRIM_400000_NS6detail17trampoline_kernelINS0_14default_configENS1_25partition_config_selectorILNS1_17partition_subalgoE9EllbEEZZNS1_14partition_implILS5_9ELb0ES3_jPlS8_PNS0_10empty_typeENS0_5tupleIJS8_S9_EEENSB_IJS8_SA_EEENS0_18inequality_wrapperIZN2at6native12_GLOBAL__N_124unique_dim_cuda_templateItEESt5tupleIJNSF_6TensorESK_SK_EERKSK_lbbbEUlllE0_EEPmJS9_EEE10hipError_tPvRmT3_T4_T5_T6_T7_T9_mT8_P12ihipStream_tbDpT10_ENKUlT_T0_E_clISt17integral_constantIbLb0EES1A_EEDaS15_S16_EUlS15_E_NS1_11comp_targetILNS1_3genE2ELNS1_11target_archE906ELNS1_3gpuE6ELNS1_3repE0EEENS1_30default_config_static_selectorELNS0_4arch9wavefront6targetE0EEEvT1_: ; @_ZN7rocprim17ROCPRIM_400000_NS6detail17trampoline_kernelINS0_14default_configENS1_25partition_config_selectorILNS1_17partition_subalgoE9EllbEEZZNS1_14partition_implILS5_9ELb0ES3_jPlS8_PNS0_10empty_typeENS0_5tupleIJS8_S9_EEENSB_IJS8_SA_EEENS0_18inequality_wrapperIZN2at6native12_GLOBAL__N_124unique_dim_cuda_templateItEESt5tupleIJNSF_6TensorESK_SK_EERKSK_lbbbEUlllE0_EEPmJS9_EEE10hipError_tPvRmT3_T4_T5_T6_T7_T9_mT8_P12ihipStream_tbDpT10_ENKUlT_T0_E_clISt17integral_constantIbLb0EES1A_EEDaS15_S16_EUlS15_E_NS1_11comp_targetILNS1_3genE2ELNS1_11target_archE906ELNS1_3gpuE6ELNS1_3repE0EEENS1_30default_config_static_selectorELNS0_4arch9wavefront6targetE0EEEvT1_
; %bb.0:
	.section	.rodata,"a",@progbits
	.p2align	6, 0x0
	.amdhsa_kernel _ZN7rocprim17ROCPRIM_400000_NS6detail17trampoline_kernelINS0_14default_configENS1_25partition_config_selectorILNS1_17partition_subalgoE9EllbEEZZNS1_14partition_implILS5_9ELb0ES3_jPlS8_PNS0_10empty_typeENS0_5tupleIJS8_S9_EEENSB_IJS8_SA_EEENS0_18inequality_wrapperIZN2at6native12_GLOBAL__N_124unique_dim_cuda_templateItEESt5tupleIJNSF_6TensorESK_SK_EERKSK_lbbbEUlllE0_EEPmJS9_EEE10hipError_tPvRmT3_T4_T5_T6_T7_T9_mT8_P12ihipStream_tbDpT10_ENKUlT_T0_E_clISt17integral_constantIbLb0EES1A_EEDaS15_S16_EUlS15_E_NS1_11comp_targetILNS1_3genE2ELNS1_11target_archE906ELNS1_3gpuE6ELNS1_3repE0EEENS1_30default_config_static_selectorELNS0_4arch9wavefront6targetE0EEEvT1_
		.amdhsa_group_segment_fixed_size 0
		.amdhsa_private_segment_fixed_size 0
		.amdhsa_kernarg_size 120
		.amdhsa_user_sgpr_count 15
		.amdhsa_user_sgpr_dispatch_ptr 0
		.amdhsa_user_sgpr_queue_ptr 0
		.amdhsa_user_sgpr_kernarg_segment_ptr 1
		.amdhsa_user_sgpr_dispatch_id 0
		.amdhsa_user_sgpr_private_segment_size 0
		.amdhsa_wavefront_size32 1
		.amdhsa_uses_dynamic_stack 0
		.amdhsa_enable_private_segment 0
		.amdhsa_system_sgpr_workgroup_id_x 1
		.amdhsa_system_sgpr_workgroup_id_y 0
		.amdhsa_system_sgpr_workgroup_id_z 0
		.amdhsa_system_sgpr_workgroup_info 0
		.amdhsa_system_vgpr_workitem_id 0
		.amdhsa_next_free_vgpr 1
		.amdhsa_next_free_sgpr 1
		.amdhsa_reserve_vcc 0
		.amdhsa_float_round_mode_32 0
		.amdhsa_float_round_mode_16_64 0
		.amdhsa_float_denorm_mode_32 3
		.amdhsa_float_denorm_mode_16_64 3
		.amdhsa_dx10_clamp 1
		.amdhsa_ieee_mode 1
		.amdhsa_fp16_overflow 0
		.amdhsa_workgroup_processor_mode 1
		.amdhsa_memory_ordered 1
		.amdhsa_forward_progress 0
		.amdhsa_shared_vgpr_count 0
		.amdhsa_exception_fp_ieee_invalid_op 0
		.amdhsa_exception_fp_denorm_src 0
		.amdhsa_exception_fp_ieee_div_zero 0
		.amdhsa_exception_fp_ieee_overflow 0
		.amdhsa_exception_fp_ieee_underflow 0
		.amdhsa_exception_fp_ieee_inexact 0
		.amdhsa_exception_int_div_zero 0
	.end_amdhsa_kernel
	.section	.text._ZN7rocprim17ROCPRIM_400000_NS6detail17trampoline_kernelINS0_14default_configENS1_25partition_config_selectorILNS1_17partition_subalgoE9EllbEEZZNS1_14partition_implILS5_9ELb0ES3_jPlS8_PNS0_10empty_typeENS0_5tupleIJS8_S9_EEENSB_IJS8_SA_EEENS0_18inequality_wrapperIZN2at6native12_GLOBAL__N_124unique_dim_cuda_templateItEESt5tupleIJNSF_6TensorESK_SK_EERKSK_lbbbEUlllE0_EEPmJS9_EEE10hipError_tPvRmT3_T4_T5_T6_T7_T9_mT8_P12ihipStream_tbDpT10_ENKUlT_T0_E_clISt17integral_constantIbLb0EES1A_EEDaS15_S16_EUlS15_E_NS1_11comp_targetILNS1_3genE2ELNS1_11target_archE906ELNS1_3gpuE6ELNS1_3repE0EEENS1_30default_config_static_selectorELNS0_4arch9wavefront6targetE0EEEvT1_,"axG",@progbits,_ZN7rocprim17ROCPRIM_400000_NS6detail17trampoline_kernelINS0_14default_configENS1_25partition_config_selectorILNS1_17partition_subalgoE9EllbEEZZNS1_14partition_implILS5_9ELb0ES3_jPlS8_PNS0_10empty_typeENS0_5tupleIJS8_S9_EEENSB_IJS8_SA_EEENS0_18inequality_wrapperIZN2at6native12_GLOBAL__N_124unique_dim_cuda_templateItEESt5tupleIJNSF_6TensorESK_SK_EERKSK_lbbbEUlllE0_EEPmJS9_EEE10hipError_tPvRmT3_T4_T5_T6_T7_T9_mT8_P12ihipStream_tbDpT10_ENKUlT_T0_E_clISt17integral_constantIbLb0EES1A_EEDaS15_S16_EUlS15_E_NS1_11comp_targetILNS1_3genE2ELNS1_11target_archE906ELNS1_3gpuE6ELNS1_3repE0EEENS1_30default_config_static_selectorELNS0_4arch9wavefront6targetE0EEEvT1_,comdat
.Lfunc_end1453:
	.size	_ZN7rocprim17ROCPRIM_400000_NS6detail17trampoline_kernelINS0_14default_configENS1_25partition_config_selectorILNS1_17partition_subalgoE9EllbEEZZNS1_14partition_implILS5_9ELb0ES3_jPlS8_PNS0_10empty_typeENS0_5tupleIJS8_S9_EEENSB_IJS8_SA_EEENS0_18inequality_wrapperIZN2at6native12_GLOBAL__N_124unique_dim_cuda_templateItEESt5tupleIJNSF_6TensorESK_SK_EERKSK_lbbbEUlllE0_EEPmJS9_EEE10hipError_tPvRmT3_T4_T5_T6_T7_T9_mT8_P12ihipStream_tbDpT10_ENKUlT_T0_E_clISt17integral_constantIbLb0EES1A_EEDaS15_S16_EUlS15_E_NS1_11comp_targetILNS1_3genE2ELNS1_11target_archE906ELNS1_3gpuE6ELNS1_3repE0EEENS1_30default_config_static_selectorELNS0_4arch9wavefront6targetE0EEEvT1_, .Lfunc_end1453-_ZN7rocprim17ROCPRIM_400000_NS6detail17trampoline_kernelINS0_14default_configENS1_25partition_config_selectorILNS1_17partition_subalgoE9EllbEEZZNS1_14partition_implILS5_9ELb0ES3_jPlS8_PNS0_10empty_typeENS0_5tupleIJS8_S9_EEENSB_IJS8_SA_EEENS0_18inequality_wrapperIZN2at6native12_GLOBAL__N_124unique_dim_cuda_templateItEESt5tupleIJNSF_6TensorESK_SK_EERKSK_lbbbEUlllE0_EEPmJS9_EEE10hipError_tPvRmT3_T4_T5_T6_T7_T9_mT8_P12ihipStream_tbDpT10_ENKUlT_T0_E_clISt17integral_constantIbLb0EES1A_EEDaS15_S16_EUlS15_E_NS1_11comp_targetILNS1_3genE2ELNS1_11target_archE906ELNS1_3gpuE6ELNS1_3repE0EEENS1_30default_config_static_selectorELNS0_4arch9wavefront6targetE0EEEvT1_
                                        ; -- End function
	.section	.AMDGPU.csdata,"",@progbits
; Kernel info:
; codeLenInByte = 0
; NumSgprs: 0
; NumVgprs: 0
; ScratchSize: 0
; MemoryBound: 0
; FloatMode: 240
; IeeeMode: 1
; LDSByteSize: 0 bytes/workgroup (compile time only)
; SGPRBlocks: 0
; VGPRBlocks: 0
; NumSGPRsForWavesPerEU: 1
; NumVGPRsForWavesPerEU: 1
; Occupancy: 15
; WaveLimiterHint : 0
; COMPUTE_PGM_RSRC2:SCRATCH_EN: 0
; COMPUTE_PGM_RSRC2:USER_SGPR: 15
; COMPUTE_PGM_RSRC2:TRAP_HANDLER: 0
; COMPUTE_PGM_RSRC2:TGID_X_EN: 1
; COMPUTE_PGM_RSRC2:TGID_Y_EN: 0
; COMPUTE_PGM_RSRC2:TGID_Z_EN: 0
; COMPUTE_PGM_RSRC2:TIDIG_COMP_CNT: 0
	.section	.text._ZN7rocprim17ROCPRIM_400000_NS6detail17trampoline_kernelINS0_14default_configENS1_25partition_config_selectorILNS1_17partition_subalgoE9EllbEEZZNS1_14partition_implILS5_9ELb0ES3_jPlS8_PNS0_10empty_typeENS0_5tupleIJS8_S9_EEENSB_IJS8_SA_EEENS0_18inequality_wrapperIZN2at6native12_GLOBAL__N_124unique_dim_cuda_templateItEESt5tupleIJNSF_6TensorESK_SK_EERKSK_lbbbEUlllE0_EEPmJS9_EEE10hipError_tPvRmT3_T4_T5_T6_T7_T9_mT8_P12ihipStream_tbDpT10_ENKUlT_T0_E_clISt17integral_constantIbLb0EES1A_EEDaS15_S16_EUlS15_E_NS1_11comp_targetILNS1_3genE10ELNS1_11target_archE1200ELNS1_3gpuE4ELNS1_3repE0EEENS1_30default_config_static_selectorELNS0_4arch9wavefront6targetE0EEEvT1_,"axG",@progbits,_ZN7rocprim17ROCPRIM_400000_NS6detail17trampoline_kernelINS0_14default_configENS1_25partition_config_selectorILNS1_17partition_subalgoE9EllbEEZZNS1_14partition_implILS5_9ELb0ES3_jPlS8_PNS0_10empty_typeENS0_5tupleIJS8_S9_EEENSB_IJS8_SA_EEENS0_18inequality_wrapperIZN2at6native12_GLOBAL__N_124unique_dim_cuda_templateItEESt5tupleIJNSF_6TensorESK_SK_EERKSK_lbbbEUlllE0_EEPmJS9_EEE10hipError_tPvRmT3_T4_T5_T6_T7_T9_mT8_P12ihipStream_tbDpT10_ENKUlT_T0_E_clISt17integral_constantIbLb0EES1A_EEDaS15_S16_EUlS15_E_NS1_11comp_targetILNS1_3genE10ELNS1_11target_archE1200ELNS1_3gpuE4ELNS1_3repE0EEENS1_30default_config_static_selectorELNS0_4arch9wavefront6targetE0EEEvT1_,comdat
	.globl	_ZN7rocprim17ROCPRIM_400000_NS6detail17trampoline_kernelINS0_14default_configENS1_25partition_config_selectorILNS1_17partition_subalgoE9EllbEEZZNS1_14partition_implILS5_9ELb0ES3_jPlS8_PNS0_10empty_typeENS0_5tupleIJS8_S9_EEENSB_IJS8_SA_EEENS0_18inequality_wrapperIZN2at6native12_GLOBAL__N_124unique_dim_cuda_templateItEESt5tupleIJNSF_6TensorESK_SK_EERKSK_lbbbEUlllE0_EEPmJS9_EEE10hipError_tPvRmT3_T4_T5_T6_T7_T9_mT8_P12ihipStream_tbDpT10_ENKUlT_T0_E_clISt17integral_constantIbLb0EES1A_EEDaS15_S16_EUlS15_E_NS1_11comp_targetILNS1_3genE10ELNS1_11target_archE1200ELNS1_3gpuE4ELNS1_3repE0EEENS1_30default_config_static_selectorELNS0_4arch9wavefront6targetE0EEEvT1_ ; -- Begin function _ZN7rocprim17ROCPRIM_400000_NS6detail17trampoline_kernelINS0_14default_configENS1_25partition_config_selectorILNS1_17partition_subalgoE9EllbEEZZNS1_14partition_implILS5_9ELb0ES3_jPlS8_PNS0_10empty_typeENS0_5tupleIJS8_S9_EEENSB_IJS8_SA_EEENS0_18inequality_wrapperIZN2at6native12_GLOBAL__N_124unique_dim_cuda_templateItEESt5tupleIJNSF_6TensorESK_SK_EERKSK_lbbbEUlllE0_EEPmJS9_EEE10hipError_tPvRmT3_T4_T5_T6_T7_T9_mT8_P12ihipStream_tbDpT10_ENKUlT_T0_E_clISt17integral_constantIbLb0EES1A_EEDaS15_S16_EUlS15_E_NS1_11comp_targetILNS1_3genE10ELNS1_11target_archE1200ELNS1_3gpuE4ELNS1_3repE0EEENS1_30default_config_static_selectorELNS0_4arch9wavefront6targetE0EEEvT1_
	.p2align	8
	.type	_ZN7rocprim17ROCPRIM_400000_NS6detail17trampoline_kernelINS0_14default_configENS1_25partition_config_selectorILNS1_17partition_subalgoE9EllbEEZZNS1_14partition_implILS5_9ELb0ES3_jPlS8_PNS0_10empty_typeENS0_5tupleIJS8_S9_EEENSB_IJS8_SA_EEENS0_18inequality_wrapperIZN2at6native12_GLOBAL__N_124unique_dim_cuda_templateItEESt5tupleIJNSF_6TensorESK_SK_EERKSK_lbbbEUlllE0_EEPmJS9_EEE10hipError_tPvRmT3_T4_T5_T6_T7_T9_mT8_P12ihipStream_tbDpT10_ENKUlT_T0_E_clISt17integral_constantIbLb0EES1A_EEDaS15_S16_EUlS15_E_NS1_11comp_targetILNS1_3genE10ELNS1_11target_archE1200ELNS1_3gpuE4ELNS1_3repE0EEENS1_30default_config_static_selectorELNS0_4arch9wavefront6targetE0EEEvT1_,@function
_ZN7rocprim17ROCPRIM_400000_NS6detail17trampoline_kernelINS0_14default_configENS1_25partition_config_selectorILNS1_17partition_subalgoE9EllbEEZZNS1_14partition_implILS5_9ELb0ES3_jPlS8_PNS0_10empty_typeENS0_5tupleIJS8_S9_EEENSB_IJS8_SA_EEENS0_18inequality_wrapperIZN2at6native12_GLOBAL__N_124unique_dim_cuda_templateItEESt5tupleIJNSF_6TensorESK_SK_EERKSK_lbbbEUlllE0_EEPmJS9_EEE10hipError_tPvRmT3_T4_T5_T6_T7_T9_mT8_P12ihipStream_tbDpT10_ENKUlT_T0_E_clISt17integral_constantIbLb0EES1A_EEDaS15_S16_EUlS15_E_NS1_11comp_targetILNS1_3genE10ELNS1_11target_archE1200ELNS1_3gpuE4ELNS1_3repE0EEENS1_30default_config_static_selectorELNS0_4arch9wavefront6targetE0EEEvT1_: ; @_ZN7rocprim17ROCPRIM_400000_NS6detail17trampoline_kernelINS0_14default_configENS1_25partition_config_selectorILNS1_17partition_subalgoE9EllbEEZZNS1_14partition_implILS5_9ELb0ES3_jPlS8_PNS0_10empty_typeENS0_5tupleIJS8_S9_EEENSB_IJS8_SA_EEENS0_18inequality_wrapperIZN2at6native12_GLOBAL__N_124unique_dim_cuda_templateItEESt5tupleIJNSF_6TensorESK_SK_EERKSK_lbbbEUlllE0_EEPmJS9_EEE10hipError_tPvRmT3_T4_T5_T6_T7_T9_mT8_P12ihipStream_tbDpT10_ENKUlT_T0_E_clISt17integral_constantIbLb0EES1A_EEDaS15_S16_EUlS15_E_NS1_11comp_targetILNS1_3genE10ELNS1_11target_archE1200ELNS1_3gpuE4ELNS1_3repE0EEENS1_30default_config_static_selectorELNS0_4arch9wavefront6targetE0EEEvT1_
; %bb.0:
	.section	.rodata,"a",@progbits
	.p2align	6, 0x0
	.amdhsa_kernel _ZN7rocprim17ROCPRIM_400000_NS6detail17trampoline_kernelINS0_14default_configENS1_25partition_config_selectorILNS1_17partition_subalgoE9EllbEEZZNS1_14partition_implILS5_9ELb0ES3_jPlS8_PNS0_10empty_typeENS0_5tupleIJS8_S9_EEENSB_IJS8_SA_EEENS0_18inequality_wrapperIZN2at6native12_GLOBAL__N_124unique_dim_cuda_templateItEESt5tupleIJNSF_6TensorESK_SK_EERKSK_lbbbEUlllE0_EEPmJS9_EEE10hipError_tPvRmT3_T4_T5_T6_T7_T9_mT8_P12ihipStream_tbDpT10_ENKUlT_T0_E_clISt17integral_constantIbLb0EES1A_EEDaS15_S16_EUlS15_E_NS1_11comp_targetILNS1_3genE10ELNS1_11target_archE1200ELNS1_3gpuE4ELNS1_3repE0EEENS1_30default_config_static_selectorELNS0_4arch9wavefront6targetE0EEEvT1_
		.amdhsa_group_segment_fixed_size 0
		.amdhsa_private_segment_fixed_size 0
		.amdhsa_kernarg_size 120
		.amdhsa_user_sgpr_count 15
		.amdhsa_user_sgpr_dispatch_ptr 0
		.amdhsa_user_sgpr_queue_ptr 0
		.amdhsa_user_sgpr_kernarg_segment_ptr 1
		.amdhsa_user_sgpr_dispatch_id 0
		.amdhsa_user_sgpr_private_segment_size 0
		.amdhsa_wavefront_size32 1
		.amdhsa_uses_dynamic_stack 0
		.amdhsa_enable_private_segment 0
		.amdhsa_system_sgpr_workgroup_id_x 1
		.amdhsa_system_sgpr_workgroup_id_y 0
		.amdhsa_system_sgpr_workgroup_id_z 0
		.amdhsa_system_sgpr_workgroup_info 0
		.amdhsa_system_vgpr_workitem_id 0
		.amdhsa_next_free_vgpr 1
		.amdhsa_next_free_sgpr 1
		.amdhsa_reserve_vcc 0
		.amdhsa_float_round_mode_32 0
		.amdhsa_float_round_mode_16_64 0
		.amdhsa_float_denorm_mode_32 3
		.amdhsa_float_denorm_mode_16_64 3
		.amdhsa_dx10_clamp 1
		.amdhsa_ieee_mode 1
		.amdhsa_fp16_overflow 0
		.amdhsa_workgroup_processor_mode 1
		.amdhsa_memory_ordered 1
		.amdhsa_forward_progress 0
		.amdhsa_shared_vgpr_count 0
		.amdhsa_exception_fp_ieee_invalid_op 0
		.amdhsa_exception_fp_denorm_src 0
		.amdhsa_exception_fp_ieee_div_zero 0
		.amdhsa_exception_fp_ieee_overflow 0
		.amdhsa_exception_fp_ieee_underflow 0
		.amdhsa_exception_fp_ieee_inexact 0
		.amdhsa_exception_int_div_zero 0
	.end_amdhsa_kernel
	.section	.text._ZN7rocprim17ROCPRIM_400000_NS6detail17trampoline_kernelINS0_14default_configENS1_25partition_config_selectorILNS1_17partition_subalgoE9EllbEEZZNS1_14partition_implILS5_9ELb0ES3_jPlS8_PNS0_10empty_typeENS0_5tupleIJS8_S9_EEENSB_IJS8_SA_EEENS0_18inequality_wrapperIZN2at6native12_GLOBAL__N_124unique_dim_cuda_templateItEESt5tupleIJNSF_6TensorESK_SK_EERKSK_lbbbEUlllE0_EEPmJS9_EEE10hipError_tPvRmT3_T4_T5_T6_T7_T9_mT8_P12ihipStream_tbDpT10_ENKUlT_T0_E_clISt17integral_constantIbLb0EES1A_EEDaS15_S16_EUlS15_E_NS1_11comp_targetILNS1_3genE10ELNS1_11target_archE1200ELNS1_3gpuE4ELNS1_3repE0EEENS1_30default_config_static_selectorELNS0_4arch9wavefront6targetE0EEEvT1_,"axG",@progbits,_ZN7rocprim17ROCPRIM_400000_NS6detail17trampoline_kernelINS0_14default_configENS1_25partition_config_selectorILNS1_17partition_subalgoE9EllbEEZZNS1_14partition_implILS5_9ELb0ES3_jPlS8_PNS0_10empty_typeENS0_5tupleIJS8_S9_EEENSB_IJS8_SA_EEENS0_18inequality_wrapperIZN2at6native12_GLOBAL__N_124unique_dim_cuda_templateItEESt5tupleIJNSF_6TensorESK_SK_EERKSK_lbbbEUlllE0_EEPmJS9_EEE10hipError_tPvRmT3_T4_T5_T6_T7_T9_mT8_P12ihipStream_tbDpT10_ENKUlT_T0_E_clISt17integral_constantIbLb0EES1A_EEDaS15_S16_EUlS15_E_NS1_11comp_targetILNS1_3genE10ELNS1_11target_archE1200ELNS1_3gpuE4ELNS1_3repE0EEENS1_30default_config_static_selectorELNS0_4arch9wavefront6targetE0EEEvT1_,comdat
.Lfunc_end1454:
	.size	_ZN7rocprim17ROCPRIM_400000_NS6detail17trampoline_kernelINS0_14default_configENS1_25partition_config_selectorILNS1_17partition_subalgoE9EllbEEZZNS1_14partition_implILS5_9ELb0ES3_jPlS8_PNS0_10empty_typeENS0_5tupleIJS8_S9_EEENSB_IJS8_SA_EEENS0_18inequality_wrapperIZN2at6native12_GLOBAL__N_124unique_dim_cuda_templateItEESt5tupleIJNSF_6TensorESK_SK_EERKSK_lbbbEUlllE0_EEPmJS9_EEE10hipError_tPvRmT3_T4_T5_T6_T7_T9_mT8_P12ihipStream_tbDpT10_ENKUlT_T0_E_clISt17integral_constantIbLb0EES1A_EEDaS15_S16_EUlS15_E_NS1_11comp_targetILNS1_3genE10ELNS1_11target_archE1200ELNS1_3gpuE4ELNS1_3repE0EEENS1_30default_config_static_selectorELNS0_4arch9wavefront6targetE0EEEvT1_, .Lfunc_end1454-_ZN7rocprim17ROCPRIM_400000_NS6detail17trampoline_kernelINS0_14default_configENS1_25partition_config_selectorILNS1_17partition_subalgoE9EllbEEZZNS1_14partition_implILS5_9ELb0ES3_jPlS8_PNS0_10empty_typeENS0_5tupleIJS8_S9_EEENSB_IJS8_SA_EEENS0_18inequality_wrapperIZN2at6native12_GLOBAL__N_124unique_dim_cuda_templateItEESt5tupleIJNSF_6TensorESK_SK_EERKSK_lbbbEUlllE0_EEPmJS9_EEE10hipError_tPvRmT3_T4_T5_T6_T7_T9_mT8_P12ihipStream_tbDpT10_ENKUlT_T0_E_clISt17integral_constantIbLb0EES1A_EEDaS15_S16_EUlS15_E_NS1_11comp_targetILNS1_3genE10ELNS1_11target_archE1200ELNS1_3gpuE4ELNS1_3repE0EEENS1_30default_config_static_selectorELNS0_4arch9wavefront6targetE0EEEvT1_
                                        ; -- End function
	.section	.AMDGPU.csdata,"",@progbits
; Kernel info:
; codeLenInByte = 0
; NumSgprs: 0
; NumVgprs: 0
; ScratchSize: 0
; MemoryBound: 0
; FloatMode: 240
; IeeeMode: 1
; LDSByteSize: 0 bytes/workgroup (compile time only)
; SGPRBlocks: 0
; VGPRBlocks: 0
; NumSGPRsForWavesPerEU: 1
; NumVGPRsForWavesPerEU: 1
; Occupancy: 15
; WaveLimiterHint : 0
; COMPUTE_PGM_RSRC2:SCRATCH_EN: 0
; COMPUTE_PGM_RSRC2:USER_SGPR: 15
; COMPUTE_PGM_RSRC2:TRAP_HANDLER: 0
; COMPUTE_PGM_RSRC2:TGID_X_EN: 1
; COMPUTE_PGM_RSRC2:TGID_Y_EN: 0
; COMPUTE_PGM_RSRC2:TGID_Z_EN: 0
; COMPUTE_PGM_RSRC2:TIDIG_COMP_CNT: 0
	.section	.text._ZN7rocprim17ROCPRIM_400000_NS6detail17trampoline_kernelINS0_14default_configENS1_25partition_config_selectorILNS1_17partition_subalgoE9EllbEEZZNS1_14partition_implILS5_9ELb0ES3_jPlS8_PNS0_10empty_typeENS0_5tupleIJS8_S9_EEENSB_IJS8_SA_EEENS0_18inequality_wrapperIZN2at6native12_GLOBAL__N_124unique_dim_cuda_templateItEESt5tupleIJNSF_6TensorESK_SK_EERKSK_lbbbEUlllE0_EEPmJS9_EEE10hipError_tPvRmT3_T4_T5_T6_T7_T9_mT8_P12ihipStream_tbDpT10_ENKUlT_T0_E_clISt17integral_constantIbLb0EES1A_EEDaS15_S16_EUlS15_E_NS1_11comp_targetILNS1_3genE9ELNS1_11target_archE1100ELNS1_3gpuE3ELNS1_3repE0EEENS1_30default_config_static_selectorELNS0_4arch9wavefront6targetE0EEEvT1_,"axG",@progbits,_ZN7rocprim17ROCPRIM_400000_NS6detail17trampoline_kernelINS0_14default_configENS1_25partition_config_selectorILNS1_17partition_subalgoE9EllbEEZZNS1_14partition_implILS5_9ELb0ES3_jPlS8_PNS0_10empty_typeENS0_5tupleIJS8_S9_EEENSB_IJS8_SA_EEENS0_18inequality_wrapperIZN2at6native12_GLOBAL__N_124unique_dim_cuda_templateItEESt5tupleIJNSF_6TensorESK_SK_EERKSK_lbbbEUlllE0_EEPmJS9_EEE10hipError_tPvRmT3_T4_T5_T6_T7_T9_mT8_P12ihipStream_tbDpT10_ENKUlT_T0_E_clISt17integral_constantIbLb0EES1A_EEDaS15_S16_EUlS15_E_NS1_11comp_targetILNS1_3genE9ELNS1_11target_archE1100ELNS1_3gpuE3ELNS1_3repE0EEENS1_30default_config_static_selectorELNS0_4arch9wavefront6targetE0EEEvT1_,comdat
	.globl	_ZN7rocprim17ROCPRIM_400000_NS6detail17trampoline_kernelINS0_14default_configENS1_25partition_config_selectorILNS1_17partition_subalgoE9EllbEEZZNS1_14partition_implILS5_9ELb0ES3_jPlS8_PNS0_10empty_typeENS0_5tupleIJS8_S9_EEENSB_IJS8_SA_EEENS0_18inequality_wrapperIZN2at6native12_GLOBAL__N_124unique_dim_cuda_templateItEESt5tupleIJNSF_6TensorESK_SK_EERKSK_lbbbEUlllE0_EEPmJS9_EEE10hipError_tPvRmT3_T4_T5_T6_T7_T9_mT8_P12ihipStream_tbDpT10_ENKUlT_T0_E_clISt17integral_constantIbLb0EES1A_EEDaS15_S16_EUlS15_E_NS1_11comp_targetILNS1_3genE9ELNS1_11target_archE1100ELNS1_3gpuE3ELNS1_3repE0EEENS1_30default_config_static_selectorELNS0_4arch9wavefront6targetE0EEEvT1_ ; -- Begin function _ZN7rocprim17ROCPRIM_400000_NS6detail17trampoline_kernelINS0_14default_configENS1_25partition_config_selectorILNS1_17partition_subalgoE9EllbEEZZNS1_14partition_implILS5_9ELb0ES3_jPlS8_PNS0_10empty_typeENS0_5tupleIJS8_S9_EEENSB_IJS8_SA_EEENS0_18inequality_wrapperIZN2at6native12_GLOBAL__N_124unique_dim_cuda_templateItEESt5tupleIJNSF_6TensorESK_SK_EERKSK_lbbbEUlllE0_EEPmJS9_EEE10hipError_tPvRmT3_T4_T5_T6_T7_T9_mT8_P12ihipStream_tbDpT10_ENKUlT_T0_E_clISt17integral_constantIbLb0EES1A_EEDaS15_S16_EUlS15_E_NS1_11comp_targetILNS1_3genE9ELNS1_11target_archE1100ELNS1_3gpuE3ELNS1_3repE0EEENS1_30default_config_static_selectorELNS0_4arch9wavefront6targetE0EEEvT1_
	.p2align	8
	.type	_ZN7rocprim17ROCPRIM_400000_NS6detail17trampoline_kernelINS0_14default_configENS1_25partition_config_selectorILNS1_17partition_subalgoE9EllbEEZZNS1_14partition_implILS5_9ELb0ES3_jPlS8_PNS0_10empty_typeENS0_5tupleIJS8_S9_EEENSB_IJS8_SA_EEENS0_18inequality_wrapperIZN2at6native12_GLOBAL__N_124unique_dim_cuda_templateItEESt5tupleIJNSF_6TensorESK_SK_EERKSK_lbbbEUlllE0_EEPmJS9_EEE10hipError_tPvRmT3_T4_T5_T6_T7_T9_mT8_P12ihipStream_tbDpT10_ENKUlT_T0_E_clISt17integral_constantIbLb0EES1A_EEDaS15_S16_EUlS15_E_NS1_11comp_targetILNS1_3genE9ELNS1_11target_archE1100ELNS1_3gpuE3ELNS1_3repE0EEENS1_30default_config_static_selectorELNS0_4arch9wavefront6targetE0EEEvT1_,@function
_ZN7rocprim17ROCPRIM_400000_NS6detail17trampoline_kernelINS0_14default_configENS1_25partition_config_selectorILNS1_17partition_subalgoE9EllbEEZZNS1_14partition_implILS5_9ELb0ES3_jPlS8_PNS0_10empty_typeENS0_5tupleIJS8_S9_EEENSB_IJS8_SA_EEENS0_18inequality_wrapperIZN2at6native12_GLOBAL__N_124unique_dim_cuda_templateItEESt5tupleIJNSF_6TensorESK_SK_EERKSK_lbbbEUlllE0_EEPmJS9_EEE10hipError_tPvRmT3_T4_T5_T6_T7_T9_mT8_P12ihipStream_tbDpT10_ENKUlT_T0_E_clISt17integral_constantIbLb0EES1A_EEDaS15_S16_EUlS15_E_NS1_11comp_targetILNS1_3genE9ELNS1_11target_archE1100ELNS1_3gpuE3ELNS1_3repE0EEENS1_30default_config_static_selectorELNS0_4arch9wavefront6targetE0EEEvT1_: ; @_ZN7rocprim17ROCPRIM_400000_NS6detail17trampoline_kernelINS0_14default_configENS1_25partition_config_selectorILNS1_17partition_subalgoE9EllbEEZZNS1_14partition_implILS5_9ELb0ES3_jPlS8_PNS0_10empty_typeENS0_5tupleIJS8_S9_EEENSB_IJS8_SA_EEENS0_18inequality_wrapperIZN2at6native12_GLOBAL__N_124unique_dim_cuda_templateItEESt5tupleIJNSF_6TensorESK_SK_EERKSK_lbbbEUlllE0_EEPmJS9_EEE10hipError_tPvRmT3_T4_T5_T6_T7_T9_mT8_P12ihipStream_tbDpT10_ENKUlT_T0_E_clISt17integral_constantIbLb0EES1A_EEDaS15_S16_EUlS15_E_NS1_11comp_targetILNS1_3genE9ELNS1_11target_archE1100ELNS1_3gpuE3ELNS1_3repE0EEENS1_30default_config_static_selectorELNS0_4arch9wavefront6targetE0EEEvT1_
; %bb.0:
	s_clause 0x3
	s_load_b128 s[4:7], s[0:1], 0x8
	s_load_b32 s8, s[0:1], 0x70
	s_load_b256 s[16:23], s[0:1], 0x40
	s_load_b64 s[24:25], s[0:1], 0x18
	s_mov_b32 s3, 0
	v_lshlrev_b32_e32 v55, 3, v0
	v_lshrrev_b32_e32 v33, 2, v0
	v_or_b32_e32 v38, 0x200, v0
	v_or_b32_e32 v36, 0x400, v0
	;; [unrolled: 1-line block ×7, first 2 shown]
	s_waitcnt lgkmcnt(0)
	s_lshl_b64 s[26:27], s[6:7], 3
	s_delay_alu instid0(SALU_CYCLE_1)
	s_add_u32 s9, s4, s26
	s_addc_u32 s10, s5, s27
	s_add_i32 s11, s8, -1
	s_load_b64 s[12:13], s[18:19], 0x0
	s_lshl_b32 s4, s11, 12
	s_lshl_b32 s5, s8, 12
	s_add_i32 s4, s6, s4
	s_lshl_b32 s2, s15, 12
	s_sub_i32 s28, s20, s4
	s_add_u32 s4, s6, s5
	s_addc_u32 s5, s7, 0
	s_cmp_eq_u32 s15, s11
	v_cmp_ge_u64_e64 s4, s[4:5], s[20:21]
	s_cselect_b32 s14, -1, 0
	s_lshl_b64 s[18:19], s[2:3], 3
	s_mov_b32 s3, -1
	s_delay_alu instid0(VALU_DEP_1) | instskip(NEXT) | instid1(SALU_CYCLE_1)
	s_and_b32 s21, s14, s4
	s_xor_b32 s20, s21, -1
	s_add_u32 s4, s9, s18
	s_addc_u32 s5, s10, s19
	s_and_b32 vcc_lo, exec_lo, s20
	s_cbranch_vccz .LBB1455_2
; %bb.1:
	v_add_co_u32 v9, s2, s4, v55
	s_delay_alu instid0(VALU_DEP_1)
	v_add_co_ci_u32_e64 v10, null, s5, 0, s2
	global_load_b64 v[1:2], v55, s[4:5]
	v_add_co_u32 v3, vcc_lo, v9, 0x2000
	v_add_co_ci_u32_e32 v4, vcc_lo, 0, v10, vcc_lo
	v_add_co_u32 v5, vcc_lo, v9, 0x4000
	v_add_co_ci_u32_e32 v6, vcc_lo, 0, v10, vcc_lo
	;; [unrolled: 2-line block ×4, first 2 shown]
	s_clause 0x6
	global_load_b64 v[11:12], v[3:4], off offset:-4096
	global_load_b64 v[3:4], v[3:4], off
	global_load_b64 v[13:14], v[5:6], off offset:-4096
	global_load_b64 v[5:6], v[5:6], off
	;; [unrolled: 2-line block ×3, first 2 shown]
	global_load_b64 v[9:10], v[9:10], off
	v_lshrrev_b32_e32 v18, 2, v38
	v_lshrrev_b32_e32 v19, 2, v36
	;; [unrolled: 1-line block ×4, first 2 shown]
	v_and_b32_e32 v17, 0x78, v33
	v_lshrrev_b32_e32 v22, 2, v37
	v_lshrrev_b32_e32 v23, 2, v34
	;; [unrolled: 1-line block ×3, first 2 shown]
	v_and_b32_e32 v18, 0xf8, v18
	v_and_b32_e32 v19, 0x178, v19
	;; [unrolled: 1-line block ×4, first 2 shown]
	v_add_nc_u32_e32 v17, v17, v55
	v_and_b32_e32 v22, 0x2f8, v22
	v_and_b32_e32 v23, 0x378, v23
	;; [unrolled: 1-line block ×3, first 2 shown]
	v_add_nc_u32_e32 v18, v18, v55
	v_add_nc_u32_e32 v19, v19, v55
	;; [unrolled: 1-line block ×4, first 2 shown]
	s_mov_b32 s3, 0
	v_add_nc_u32_e32 v22, v22, v55
	v_add_nc_u32_e32 v23, v23, v55
	;; [unrolled: 1-line block ×3, first 2 shown]
	s_waitcnt vmcnt(7)
	ds_store_b64 v17, v[1:2]
	s_waitcnt vmcnt(6)
	ds_store_b64 v18, v[11:12] offset:4096
	s_waitcnt vmcnt(5)
	ds_store_b64 v19, v[3:4] offset:8192
	;; [unrolled: 2-line block ×7, first 2 shown]
	s_waitcnt lgkmcnt(0)
	s_barrier
.LBB1455_2:
	s_load_b128 s[8:11], s[0:1], 0x60
	v_cmp_gt_u32_e64 s2, s28, v0
	s_and_not1_b32 vcc_lo, exec_lo, s3
	s_cbranch_vccnz .LBB1455_20
; %bb.3:
                                        ; implicit-def: $vgpr1_vgpr2_vgpr3_vgpr4_vgpr5_vgpr6_vgpr7_vgpr8_vgpr9_vgpr10_vgpr11_vgpr12_vgpr13_vgpr14_vgpr15_vgpr16
	s_delay_alu instid0(VALU_DEP_1)
	s_and_saveexec_b32 s3, s2
	s_cbranch_execz .LBB1455_11
; %bb.4:
	global_load_b64 v[1:2], v55, s[4:5]
	s_or_b32 exec_lo, exec_lo, s3
	s_delay_alu instid0(SALU_CYCLE_1)
	s_mov_b32 s2, exec_lo
	v_cmpx_gt_u32_e64 s28, v38
	s_cbranch_execnz .LBB1455_12
.LBB1455_5:
	s_or_b32 exec_lo, exec_lo, s2
	s_delay_alu instid0(SALU_CYCLE_1)
	s_mov_b32 s2, exec_lo
	v_cmpx_gt_u32_e64 s28, v36
	s_cbranch_execz .LBB1455_13
.LBB1455_6:
	v_lshlrev_b32_e32 v5, 3, v36
	global_load_b64 v[5:6], v5, s[4:5]
	s_or_b32 exec_lo, exec_lo, s2
	s_delay_alu instid0(SALU_CYCLE_1)
	s_mov_b32 s2, exec_lo
	v_cmpx_gt_u32_e64 s28, v40
	s_cbranch_execnz .LBB1455_14
.LBB1455_7:
	s_or_b32 exec_lo, exec_lo, s2
	s_delay_alu instid0(SALU_CYCLE_1)
	s_mov_b32 s2, exec_lo
	v_cmpx_gt_u32_e64 s28, v39
	s_cbranch_execz .LBB1455_15
.LBB1455_8:
	v_lshlrev_b32_e32 v9, 3, v39
	global_load_b64 v[9:10], v9, s[4:5]
	s_or_b32 exec_lo, exec_lo, s2
	s_delay_alu instid0(SALU_CYCLE_1)
	s_mov_b32 s2, exec_lo
	v_cmpx_gt_u32_e64 s28, v37
	s_cbranch_execnz .LBB1455_16
.LBB1455_9:
	s_or_b32 exec_lo, exec_lo, s2
	s_delay_alu instid0(SALU_CYCLE_1)
	s_mov_b32 s2, exec_lo
	v_cmpx_gt_u32_e64 s28, v34
	s_cbranch_execz .LBB1455_17
.LBB1455_10:
	v_lshlrev_b32_e32 v13, 3, v34
	global_load_b64 v[13:14], v13, s[4:5]
	s_or_b32 exec_lo, exec_lo, s2
	s_delay_alu instid0(SALU_CYCLE_1)
	s_mov_b32 s2, exec_lo
	v_cmpx_gt_u32_e64 s28, v35
	s_cbranch_execnz .LBB1455_18
	s_branch .LBB1455_19
.LBB1455_11:
	s_or_b32 exec_lo, exec_lo, s3
	s_delay_alu instid0(SALU_CYCLE_1)
	s_mov_b32 s2, exec_lo
	v_cmpx_gt_u32_e64 s28, v38
	s_cbranch_execz .LBB1455_5
.LBB1455_12:
	v_lshlrev_b32_e32 v3, 3, v38
	global_load_b64 v[3:4], v3, s[4:5]
	s_or_b32 exec_lo, exec_lo, s2
	s_delay_alu instid0(SALU_CYCLE_1)
	s_mov_b32 s2, exec_lo
	v_cmpx_gt_u32_e64 s28, v36
	s_cbranch_execnz .LBB1455_6
.LBB1455_13:
	s_or_b32 exec_lo, exec_lo, s2
	s_delay_alu instid0(SALU_CYCLE_1)
	s_mov_b32 s2, exec_lo
	v_cmpx_gt_u32_e64 s28, v40
	s_cbranch_execz .LBB1455_7
.LBB1455_14:
	v_lshlrev_b32_e32 v7, 3, v40
	global_load_b64 v[7:8], v7, s[4:5]
	s_or_b32 exec_lo, exec_lo, s2
	s_delay_alu instid0(SALU_CYCLE_1)
	s_mov_b32 s2, exec_lo
	v_cmpx_gt_u32_e64 s28, v39
	s_cbranch_execnz .LBB1455_8
.LBB1455_15:
	s_or_b32 exec_lo, exec_lo, s2
	s_delay_alu instid0(SALU_CYCLE_1)
	s_mov_b32 s2, exec_lo
	v_cmpx_gt_u32_e64 s28, v37
	s_cbranch_execz .LBB1455_9
.LBB1455_16:
	v_lshlrev_b32_e32 v11, 3, v37
	global_load_b64 v[11:12], v11, s[4:5]
	s_or_b32 exec_lo, exec_lo, s2
	s_delay_alu instid0(SALU_CYCLE_1)
	s_mov_b32 s2, exec_lo
	v_cmpx_gt_u32_e64 s28, v34
	s_cbranch_execnz .LBB1455_10
.LBB1455_17:
	s_or_b32 exec_lo, exec_lo, s2
	s_delay_alu instid0(SALU_CYCLE_1)
	s_mov_b32 s2, exec_lo
	v_cmpx_gt_u32_e64 s28, v35
	s_cbranch_execz .LBB1455_19
.LBB1455_18:
	v_lshlrev_b32_e32 v15, 3, v35
	global_load_b64 v[15:16], v15, s[4:5]
.LBB1455_19:
	s_or_b32 exec_lo, exec_lo, s2
	v_lshrrev_b32_e32 v17, 2, v38
	v_lshrrev_b32_e32 v18, 2, v36
	;; [unrolled: 1-line block ×4, first 2 shown]
	v_and_b32_e32 v19, 0x78, v33
	v_lshrrev_b32_e32 v22, 2, v37
	v_lshrrev_b32_e32 v23, 2, v34
	;; [unrolled: 1-line block ×3, first 2 shown]
	v_and_b32_e32 v17, 0xf8, v17
	v_and_b32_e32 v18, 0x1f8, v18
	;; [unrolled: 1-line block ×4, first 2 shown]
	v_add_nc_u32_e32 v19, v19, v55
	v_and_b32_e32 v22, 0x3f8, v22
	v_and_b32_e32 v23, 0x3f8, v23
	;; [unrolled: 1-line block ×3, first 2 shown]
	v_add_nc_u32_e32 v17, v17, v55
	v_add_nc_u32_e32 v18, v18, v55
	;; [unrolled: 1-line block ×7, first 2 shown]
	s_waitcnt vmcnt(0)
	ds_store_b64 v19, v[1:2]
	ds_store_b64 v17, v[3:4] offset:4096
	ds_store_b64 v18, v[5:6] offset:8192
	;; [unrolled: 1-line block ×7, first 2 shown]
	s_waitcnt lgkmcnt(0)
	s_barrier
.LBB1455_20:
	v_add_lshl_u32 v41, v33, v55, 3
	s_waitcnt lgkmcnt(0)
	buffer_gl0_inv
	s_add_u32 s2, s24, s26
	s_addc_u32 s3, s25, s27
	s_add_u32 s2, s2, s18
	ds_load_2addr_b64 v[29:32], v41 offset1:1
	ds_load_2addr_b64 v[25:28], v41 offset0:2 offset1:3
	ds_load_2addr_b64 v[21:24], v41 offset0:4 offset1:5
	;; [unrolled: 1-line block ×3, first 2 shown]
	s_addc_u32 s3, s3, s19
	s_and_b32 vcc_lo, exec_lo, s20
	s_mov_b32 s18, -1
	s_waitcnt lgkmcnt(0)
	s_barrier
	buffer_gl0_inv
	s_cbranch_vccz .LBB1455_22
; %bb.21:
	v_add_co_u32 v9, s18, s2, v55
	s_delay_alu instid0(VALU_DEP_1)
	v_add_co_ci_u32_e64 v10, null, s3, 0, s18
	global_load_b64 v[1:2], v55, s[2:3]
	v_add_co_u32 v3, vcc_lo, v9, 0x2000
	v_add_co_ci_u32_e32 v4, vcc_lo, 0, v10, vcc_lo
	v_add_co_u32 v5, vcc_lo, v9, 0x4000
	v_add_co_ci_u32_e32 v6, vcc_lo, 0, v10, vcc_lo
	;; [unrolled: 2-line block ×4, first 2 shown]
	s_clause 0x6
	global_load_b64 v[11:12], v[3:4], off offset:-4096
	global_load_b64 v[3:4], v[3:4], off
	global_load_b64 v[13:14], v[5:6], off offset:-4096
	global_load_b64 v[5:6], v[5:6], off
	;; [unrolled: 2-line block ×3, first 2 shown]
	global_load_b64 v[9:10], v[9:10], off
	v_lshrrev_b32_e32 v43, 2, v38
	v_lshrrev_b32_e32 v44, 2, v36
	v_lshrrev_b32_e32 v45, 2, v40
	v_lshrrev_b32_e32 v46, 2, v39
	v_and_b32_e32 v42, 0x78, v33
	v_lshrrev_b32_e32 v47, 2, v37
	v_lshrrev_b32_e32 v48, 2, v34
	;; [unrolled: 1-line block ×3, first 2 shown]
	v_and_b32_e32 v43, 0xf8, v43
	v_and_b32_e32 v44, 0x178, v44
	v_and_b32_e32 v45, 0x1f8, v45
	v_and_b32_e32 v46, 0x278, v46
	v_add_nc_u32_e32 v42, v42, v55
	v_and_b32_e32 v47, 0x2f8, v47
	v_and_b32_e32 v48, 0x378, v48
	;; [unrolled: 1-line block ×3, first 2 shown]
	v_add_nc_u32_e32 v43, v43, v55
	v_add_nc_u32_e32 v44, v44, v55
	;; [unrolled: 1-line block ×4, first 2 shown]
	s_mov_b32 s18, 0
	v_add_nc_u32_e32 v47, v47, v55
	v_add_nc_u32_e32 v48, v48, v55
	;; [unrolled: 1-line block ×3, first 2 shown]
	s_waitcnt vmcnt(7)
	ds_store_b64 v42, v[1:2]
	s_waitcnt vmcnt(6)
	ds_store_b64 v43, v[11:12] offset:4096
	s_waitcnt vmcnt(5)
	ds_store_b64 v44, v[3:4] offset:8192
	;; [unrolled: 2-line block ×7, first 2 shown]
	s_waitcnt lgkmcnt(0)
	s_barrier
.LBB1455_22:
	s_and_not1_b32 vcc_lo, exec_lo, s18
	s_cbranch_vccnz .LBB1455_40
; %bb.23:
	s_mov_b32 s18, exec_lo
                                        ; implicit-def: $vgpr1_vgpr2
	v_cmpx_gt_u32_e64 s28, v0
	s_cbranch_execz .LBB1455_25
; %bb.24:
	global_load_b64 v[1:2], v55, s[2:3]
.LBB1455_25:
	s_or_b32 exec_lo, exec_lo, s18
	s_delay_alu instid0(SALU_CYCLE_1)
	s_mov_b32 s18, exec_lo
                                        ; implicit-def: $vgpr3_vgpr4
	v_cmpx_gt_u32_e64 s28, v38
	s_cbranch_execz .LBB1455_27
; %bb.26:
	v_lshlrev_b32_e32 v3, 3, v38
	global_load_b64 v[3:4], v3, s[2:3]
.LBB1455_27:
	s_or_b32 exec_lo, exec_lo, s18
	s_delay_alu instid0(SALU_CYCLE_1)
	s_mov_b32 s18, exec_lo
                                        ; implicit-def: $vgpr5_vgpr6
	v_cmpx_gt_u32_e64 s28, v36
	s_cbranch_execz .LBB1455_29
; %bb.28:
	v_lshlrev_b32_e32 v5, 3, v36
	global_load_b64 v[5:6], v5, s[2:3]
.LBB1455_29:
	s_or_b32 exec_lo, exec_lo, s18
	s_delay_alu instid0(SALU_CYCLE_1)
	s_mov_b32 s18, exec_lo
                                        ; implicit-def: $vgpr7_vgpr8
	v_cmpx_gt_u32_e64 s28, v40
	s_cbranch_execz .LBB1455_31
; %bb.30:
	v_lshlrev_b32_e32 v7, 3, v40
	global_load_b64 v[7:8], v7, s[2:3]
.LBB1455_31:
	s_or_b32 exec_lo, exec_lo, s18
	s_delay_alu instid0(SALU_CYCLE_1)
	s_mov_b32 s18, exec_lo
                                        ; implicit-def: $vgpr9_vgpr10
	v_cmpx_gt_u32_e64 s28, v39
	s_cbranch_execz .LBB1455_33
; %bb.32:
	v_lshlrev_b32_e32 v9, 3, v39
	global_load_b64 v[9:10], v9, s[2:3]
.LBB1455_33:
	s_or_b32 exec_lo, exec_lo, s18
	s_delay_alu instid0(SALU_CYCLE_1)
	s_mov_b32 s18, exec_lo
                                        ; implicit-def: $vgpr11_vgpr12
	v_cmpx_gt_u32_e64 s28, v37
	s_cbranch_execz .LBB1455_35
; %bb.34:
	v_lshlrev_b32_e32 v11, 3, v37
	global_load_b64 v[11:12], v11, s[2:3]
.LBB1455_35:
	s_or_b32 exec_lo, exec_lo, s18
	s_delay_alu instid0(SALU_CYCLE_1)
	s_mov_b32 s18, exec_lo
                                        ; implicit-def: $vgpr13_vgpr14
	v_cmpx_gt_u32_e64 s28, v34
	s_cbranch_execz .LBB1455_37
; %bb.36:
	v_lshlrev_b32_e32 v13, 3, v34
	global_load_b64 v[13:14], v13, s[2:3]
.LBB1455_37:
	s_or_b32 exec_lo, exec_lo, s18
	s_delay_alu instid0(SALU_CYCLE_1)
	s_mov_b32 s18, exec_lo
                                        ; implicit-def: $vgpr15_vgpr16
	v_cmpx_gt_u32_e64 s28, v35
	s_cbranch_execz .LBB1455_39
; %bb.38:
	v_lshlrev_b32_e32 v15, 3, v35
	global_load_b64 v[15:16], v15, s[2:3]
.LBB1455_39:
	s_or_b32 exec_lo, exec_lo, s18
	v_lshrrev_b32_e32 v38, 2, v38
	v_lshrrev_b32_e32 v36, 2, v36
	;; [unrolled: 1-line block ×4, first 2 shown]
	v_and_b32_e32 v33, 0x78, v33
	v_lshrrev_b32_e32 v37, 2, v37
	v_lshrrev_b32_e32 v34, 2, v34
	;; [unrolled: 1-line block ×3, first 2 shown]
	v_and_b32_e32 v38, 0xf8, v38
	v_and_b32_e32 v36, 0x1f8, v36
	;; [unrolled: 1-line block ×4, first 2 shown]
	v_add_nc_u32_e32 v33, v33, v55
	v_and_b32_e32 v37, 0x3f8, v37
	v_and_b32_e32 v34, 0x3f8, v34
	;; [unrolled: 1-line block ×3, first 2 shown]
	v_add_nc_u32_e32 v38, v38, v55
	v_add_nc_u32_e32 v36, v36, v55
	;; [unrolled: 1-line block ×7, first 2 shown]
	s_waitcnt vmcnt(0)
	ds_store_b64 v33, v[1:2]
	ds_store_b64 v38, v[3:4] offset:4096
	ds_store_b64 v36, v[5:6] offset:8192
	;; [unrolled: 1-line block ×7, first 2 shown]
	s_waitcnt lgkmcnt(0)
	s_barrier
.LBB1455_40:
	buffer_gl0_inv
	ds_load_2addr_b64 v[13:16], v41 offset1:1
	ds_load_2addr_b64 v[9:12], v41 offset0:2 offset1:3
	ds_load_2addr_b64 v[5:8], v41 offset0:4 offset1:5
	;; [unrolled: 1-line block ×3, first 2 shown]
	s_cmp_lg_u32 s15, 0
	v_cmp_gt_i64_e64 s25, s[22:23], 0
	s_cselect_b32 s24, -1, 0
	s_cmp_lg_u64 s[6:7], 0
	s_mov_b32 s3, 0
	s_cselect_b32 s2, -1, 0
	s_waitcnt lgkmcnt(0)
	s_or_b32 s2, s24, s2
	s_barrier
	s_and_b32 vcc_lo, exec_lo, s2
	buffer_gl0_inv
	s_cbranch_vccz .LBB1455_49
; %bb.41:
	s_add_u32 s2, s4, -8
	s_addc_u32 s3, s5, -1
	v_cndmask_b32_e64 v41, 0, 1, s25
	s_load_b64 s[4:5], s[2:3], 0x0
	s_and_b32 vcc_lo, exec_lo, s20
	ds_store_b64 v55, v[19:20]
	v_cmp_ne_u32_e64 s2, 1, v41
	s_cbranch_vccz .LBB1455_50
; %bb.42:
	v_mul_lo_u32 v35, v18, s22
	v_mul_lo_u32 v36, v17, s23
	v_mad_u64_u32 v[33:34], null, v17, s22, 0
	s_mov_b32 s3, 0
	s_and_b32 vcc_lo, exec_lo, s2
	s_mov_b32 s26, 0
	s_delay_alu instid0(VALU_DEP_1) | instskip(NEXT) | instid1(VALU_DEP_1)
	v_add3_u32 v34, v34, v36, v35
	v_lshlrev_b64 v[33:34], 1, v[33:34]
	s_cbranch_vccnz .LBB1455_53
; %bb.43:
	v_mul_lo_u32 v37, v20, s22
	v_mul_lo_u32 v38, v19, s23
	v_mad_u64_u32 v[35:36], null, v19, s22, 0
	s_mov_b32 s26, -1
	s_mov_b32 s27, exec_lo
	s_delay_alu instid0(VALU_DEP_1) | instskip(SKIP_2) | instid1(VALU_DEP_3)
	v_add3_u32 v36, v36, v38, v37
	v_add_co_u32 v37, vcc_lo, s8, v33
	v_add_co_ci_u32_e32 v38, vcc_lo, s9, v34, vcc_lo
	v_lshlrev_b64 v[35:36], 1, v[35:36]
	s_delay_alu instid0(VALU_DEP_1) | instskip(NEXT) | instid1(VALU_DEP_2)
	v_add_co_u32 v35, vcc_lo, s8, v35
	v_add_co_ci_u32_e32 v36, vcc_lo, s9, v36, vcc_lo
	s_clause 0x1
	global_load_u16 v39, v[37:38], off
	global_load_u16 v40, v[35:36], off
	s_waitcnt vmcnt(0)
	v_cmpx_eq_u16_e64 v39, v40
	s_cbranch_execz .LBB1455_52
; %bb.44:
	v_add_co_u32 v35, vcc_lo, v35, 2
	v_add_co_ci_u32_e32 v36, vcc_lo, 0, v36, vcc_lo
	v_add_co_u32 v37, vcc_lo, v37, 2
	v_add_co_ci_u32_e32 v38, vcc_lo, 0, v38, vcc_lo
	s_add_u32 s6, s22, -1
	s_addc_u32 s7, s23, -1
	s_mov_b64 s[18:19], 0
	s_mov_b32 s26, 0
                                        ; implicit-def: $sgpr29
	s_set_inst_prefetch_distance 0x1
	s_branch .LBB1455_47
	.p2align	6
.LBB1455_45:                            ;   in Loop: Header=BB1455_47 Depth=1
	global_load_u16 v39, v[37:38], off
	global_load_u16 v40, v[35:36], off
	v_add_co_u32 v35, vcc_lo, v35, 2
	v_add_co_ci_u32_e32 v36, vcc_lo, 0, v36, vcc_lo
	v_add_co_u32 v37, s2, v37, 2
	s_delay_alu instid0(VALU_DEP_1)
	v_add_co_ci_u32_e64 v38, s2, 0, v38, s2
	s_add_u32 s18, s18, 1
	s_addc_u32 s19, s19, 0
	s_and_not1_b32 s2, s29, exec_lo
	s_waitcnt vmcnt(0)
	v_cmp_ne_u16_e32 vcc_lo, v39, v40
	s_and_b32 s29, vcc_lo, exec_lo
	s_delay_alu instid0(SALU_CYCLE_1)
	s_or_b32 s29, s2, s29
.LBB1455_46:                            ;   in Loop: Header=BB1455_47 Depth=1
	v_dual_mov_b32 v40, s19 :: v_dual_mov_b32 v39, s18
	s_and_b32 s2, exec_lo, s29
	s_delay_alu instid0(SALU_CYCLE_1) | instskip(NEXT) | instid1(SALU_CYCLE_1)
	s_or_b32 s26, s2, s26
	s_and_not1_b32 exec_lo, exec_lo, s26
	s_cbranch_execz .LBB1455_51
.LBB1455_47:                            ; =>This Inner Loop Header: Depth=1
	s_or_b32 s29, s29, exec_lo
	s_cmp_eq_u64 s[6:7], s[18:19]
	s_cbranch_scc0 .LBB1455_45
; %bb.48:                               ;   in Loop: Header=BB1455_47 Depth=1
	s_mov_b64 s[18:19], s[22:23]
                                        ; implicit-def: $vgpr35_vgpr36
                                        ; implicit-def: $vgpr37_vgpr38
	s_branch .LBB1455_46
.LBB1455_49:
                                        ; implicit-def: $sgpr2
                                        ; implicit-def: $vgpr34
	s_branch .LBB1455_211
.LBB1455_50:
                                        ; implicit-def: $sgpr2
                                        ; implicit-def: $vgpr34
	s_cbranch_execnz .LBB1455_119
	s_branch .LBB1455_210
.LBB1455_51:
	s_set_inst_prefetch_distance 0x2
	s_or_b32 exec_lo, exec_lo, s26
	v_cmp_gt_i64_e32 vcc_lo, s[22:23], v[39:40]
	s_or_not1_b32 s26, vcc_lo, exec_lo
.LBB1455_52:
	s_or_b32 exec_lo, exec_lo, s27
.LBB1455_53:
	v_mul_lo_u32 v37, v24, s22
	v_mul_lo_u32 v38, v23, s23
	v_mad_u64_u32 v[35:36], null, v23, s22, 0
	s_and_not1_b32 vcc_lo, exec_lo, s25
	s_delay_alu instid0(VALU_DEP_1) | instskip(NEXT) | instid1(VALU_DEP_1)
	v_add3_u32 v36, v36, v38, v37
	v_lshlrev_b64 v[35:36], 1, v[35:36]
	s_cbranch_vccnz .LBB1455_62
; %bb.54:
	s_delay_alu instid0(VALU_DEP_1) | instskip(NEXT) | instid1(VALU_DEP_2)
	v_add_co_u32 v37, vcc_lo, s8, v35
	v_add_co_ci_u32_e32 v38, vcc_lo, s9, v36, vcc_lo
	v_add_co_u32 v33, vcc_lo, s8, v33
	v_add_co_ci_u32_e32 v34, vcc_lo, s9, v34, vcc_lo
	s_mov_b32 s3, -1
	s_clause 0x1
	global_load_u16 v39, v[37:38], off
	global_load_u16 v40, v[33:34], off
	s_mov_b32 s27, exec_lo
	s_waitcnt vmcnt(0)
	v_cmpx_eq_u16_e64 v39, v40
	s_cbranch_execz .LBB1455_61
; %bb.55:
	v_add_co_u32 v33, vcc_lo, v33, 2
	v_add_co_ci_u32_e32 v34, vcc_lo, 0, v34, vcc_lo
	v_add_co_u32 v37, vcc_lo, v37, 2
	v_add_co_ci_u32_e32 v38, vcc_lo, 0, v38, vcc_lo
	s_add_u32 s6, s22, -1
	s_addc_u32 s7, s23, -1
	s_mov_b64 s[18:19], 0
	s_mov_b32 s3, 0
                                        ; implicit-def: $sgpr29
	s_set_inst_prefetch_distance 0x1
	s_branch .LBB1455_58
	.p2align	6
.LBB1455_56:                            ;   in Loop: Header=BB1455_58 Depth=1
	global_load_u16 v39, v[37:38], off
	global_load_u16 v40, v[33:34], off
	v_add_co_u32 v33, vcc_lo, v33, 2
	v_add_co_ci_u32_e32 v34, vcc_lo, 0, v34, vcc_lo
	v_add_co_u32 v37, s2, v37, 2
	s_delay_alu instid0(VALU_DEP_1)
	v_add_co_ci_u32_e64 v38, s2, 0, v38, s2
	s_add_u32 s18, s18, 1
	s_addc_u32 s19, s19, 0
	s_and_not1_b32 s2, s29, exec_lo
	s_waitcnt vmcnt(0)
	v_cmp_ne_u16_e32 vcc_lo, v39, v40
	s_and_b32 s29, vcc_lo, exec_lo
	s_delay_alu instid0(SALU_CYCLE_1)
	s_or_b32 s29, s2, s29
.LBB1455_57:                            ;   in Loop: Header=BB1455_58 Depth=1
	v_dual_mov_b32 v40, s19 :: v_dual_mov_b32 v39, s18
	s_and_b32 s2, exec_lo, s29
	s_delay_alu instid0(SALU_CYCLE_1) | instskip(NEXT) | instid1(SALU_CYCLE_1)
	s_or_b32 s3, s2, s3
	s_and_not1_b32 exec_lo, exec_lo, s3
	s_cbranch_execz .LBB1455_60
.LBB1455_58:                            ; =>This Inner Loop Header: Depth=1
	s_or_b32 s29, s29, exec_lo
	s_cmp_eq_u64 s[6:7], s[18:19]
	s_cbranch_scc0 .LBB1455_56
; %bb.59:                               ;   in Loop: Header=BB1455_58 Depth=1
	s_mov_b64 s[18:19], s[22:23]
                                        ; implicit-def: $vgpr33_vgpr34
                                        ; implicit-def: $vgpr37_vgpr38
	s_branch .LBB1455_57
.LBB1455_60:
	s_set_inst_prefetch_distance 0x2
	s_or_b32 exec_lo, exec_lo, s3
	v_cmp_gt_i64_e32 vcc_lo, s[22:23], v[39:40]
	s_or_not1_b32 s3, vcc_lo, exec_lo
.LBB1455_61:
	s_or_b32 exec_lo, exec_lo, s27
.LBB1455_62:
	v_mul_lo_u32 v37, v22, s22
	v_mul_lo_u32 v38, v21, s23
	v_mad_u64_u32 v[33:34], null, v21, s22, 0
	s_mov_b32 s27, 0
	s_and_not1_b32 vcc_lo, exec_lo, s25
	s_mov_b32 s29, 0
	s_delay_alu instid0(VALU_DEP_1) | instskip(NEXT) | instid1(VALU_DEP_1)
	v_add3_u32 v34, v34, v38, v37
	v_lshlrev_b64 v[37:38], 1, v[33:34]
	s_cbranch_vccnz .LBB1455_71
; %bb.63:
	s_delay_alu instid0(VALU_DEP_1) | instskip(NEXT) | instid1(VALU_DEP_2)
	v_add_co_u32 v39, vcc_lo, s8, v37
	v_add_co_ci_u32_e32 v40, vcc_lo, s9, v38, vcc_lo
	v_add_co_u32 v33, vcc_lo, s8, v35
	v_add_co_ci_u32_e32 v34, vcc_lo, s9, v36, vcc_lo
	s_mov_b32 s29, -1
	s_clause 0x1
	global_load_u16 v35, v[39:40], off
	global_load_u16 v36, v[33:34], off
	s_mov_b32 s30, exec_lo
	s_waitcnt vmcnt(0)
	v_cmpx_eq_u16_e64 v35, v36
	s_cbranch_execz .LBB1455_70
; %bb.64:
	v_add_co_u32 v33, vcc_lo, v33, 2
	v_add_co_ci_u32_e32 v34, vcc_lo, 0, v34, vcc_lo
	v_add_co_u32 v35, vcc_lo, v39, 2
	v_add_co_ci_u32_e32 v36, vcc_lo, 0, v40, vcc_lo
	s_add_u32 s6, s22, -1
	s_addc_u32 s7, s23, -1
	s_mov_b64 s[18:19], 0
	s_mov_b32 s29, 0
                                        ; implicit-def: $sgpr31
	s_set_inst_prefetch_distance 0x1
	s_branch .LBB1455_67
	.p2align	6
.LBB1455_65:                            ;   in Loop: Header=BB1455_67 Depth=1
	global_load_u16 v39, v[35:36], off
	global_load_u16 v40, v[33:34], off
	v_add_co_u32 v33, vcc_lo, v33, 2
	v_add_co_ci_u32_e32 v34, vcc_lo, 0, v34, vcc_lo
	v_add_co_u32 v35, s2, v35, 2
	s_delay_alu instid0(VALU_DEP_1)
	v_add_co_ci_u32_e64 v36, s2, 0, v36, s2
	s_add_u32 s18, s18, 1
	s_addc_u32 s19, s19, 0
	s_and_not1_b32 s2, s31, exec_lo
	s_waitcnt vmcnt(0)
	v_cmp_ne_u16_e32 vcc_lo, v39, v40
	s_and_b32 s31, vcc_lo, exec_lo
	s_delay_alu instid0(SALU_CYCLE_1)
	s_or_b32 s31, s2, s31
.LBB1455_66:                            ;   in Loop: Header=BB1455_67 Depth=1
	v_dual_mov_b32 v40, s19 :: v_dual_mov_b32 v39, s18
	s_and_b32 s2, exec_lo, s31
	s_delay_alu instid0(SALU_CYCLE_1) | instskip(NEXT) | instid1(SALU_CYCLE_1)
	s_or_b32 s29, s2, s29
	s_and_not1_b32 exec_lo, exec_lo, s29
	s_cbranch_execz .LBB1455_69
.LBB1455_67:                            ; =>This Inner Loop Header: Depth=1
	s_or_b32 s31, s31, exec_lo
	s_cmp_eq_u64 s[6:7], s[18:19]
	s_cbranch_scc0 .LBB1455_65
; %bb.68:                               ;   in Loop: Header=BB1455_67 Depth=1
	s_mov_b64 s[18:19], s[22:23]
                                        ; implicit-def: $vgpr33_vgpr34
                                        ; implicit-def: $vgpr35_vgpr36
	s_branch .LBB1455_66
.LBB1455_69:
	s_set_inst_prefetch_distance 0x2
	s_or_b32 exec_lo, exec_lo, s29
	v_cmp_gt_i64_e32 vcc_lo, s[22:23], v[39:40]
	s_or_not1_b32 s29, vcc_lo, exec_lo
.LBB1455_70:
	s_or_b32 exec_lo, exec_lo, s30
.LBB1455_71:
	v_mul_lo_u32 v35, v28, s22
	v_mul_lo_u32 v36, v27, s23
	v_mad_u64_u32 v[33:34], null, v27, s22, 0
	s_and_not1_b32 vcc_lo, exec_lo, s25
	s_delay_alu instid0(VALU_DEP_1) | instskip(NEXT) | instid1(VALU_DEP_1)
	v_add3_u32 v34, v34, v36, v35
	v_lshlrev_b64 v[33:34], 1, v[33:34]
	s_cbranch_vccnz .LBB1455_80
; %bb.72:
	s_delay_alu instid0(VALU_DEP_1) | instskip(NEXT) | instid1(VALU_DEP_2)
	v_add_co_u32 v39, vcc_lo, s8, v33
	v_add_co_ci_u32_e32 v40, vcc_lo, s9, v34, vcc_lo
	v_add_co_u32 v35, vcc_lo, s8, v37
	v_add_co_ci_u32_e32 v36, vcc_lo, s9, v38, vcc_lo
	s_mov_b32 s27, -1
	s_clause 0x1
	global_load_u16 v37, v[39:40], off
	global_load_u16 v38, v[35:36], off
	s_mov_b32 s30, exec_lo
	s_waitcnt vmcnt(0)
	v_cmpx_eq_u16_e64 v37, v38
	s_cbranch_execz .LBB1455_79
; %bb.73:
	v_add_co_u32 v35, vcc_lo, v35, 2
	v_add_co_ci_u32_e32 v36, vcc_lo, 0, v36, vcc_lo
	v_add_co_u32 v37, vcc_lo, v39, 2
	v_add_co_ci_u32_e32 v38, vcc_lo, 0, v40, vcc_lo
	s_add_u32 s6, s22, -1
	s_addc_u32 s7, s23, -1
	s_mov_b64 s[18:19], 0
	s_mov_b32 s27, 0
                                        ; implicit-def: $sgpr31
	s_set_inst_prefetch_distance 0x1
	s_branch .LBB1455_76
	.p2align	6
.LBB1455_74:                            ;   in Loop: Header=BB1455_76 Depth=1
	global_load_u16 v39, v[37:38], off
	global_load_u16 v40, v[35:36], off
	v_add_co_u32 v35, vcc_lo, v35, 2
	v_add_co_ci_u32_e32 v36, vcc_lo, 0, v36, vcc_lo
	v_add_co_u32 v37, s2, v37, 2
	s_delay_alu instid0(VALU_DEP_1)
	v_add_co_ci_u32_e64 v38, s2, 0, v38, s2
	s_add_u32 s18, s18, 1
	s_addc_u32 s19, s19, 0
	s_and_not1_b32 s2, s31, exec_lo
	s_waitcnt vmcnt(0)
	v_cmp_ne_u16_e32 vcc_lo, v39, v40
	s_and_b32 s31, vcc_lo, exec_lo
	s_delay_alu instid0(SALU_CYCLE_1)
	s_or_b32 s31, s2, s31
.LBB1455_75:                            ;   in Loop: Header=BB1455_76 Depth=1
	v_dual_mov_b32 v40, s19 :: v_dual_mov_b32 v39, s18
	s_and_b32 s2, exec_lo, s31
	s_delay_alu instid0(SALU_CYCLE_1) | instskip(NEXT) | instid1(SALU_CYCLE_1)
	s_or_b32 s27, s2, s27
	s_and_not1_b32 exec_lo, exec_lo, s27
	s_cbranch_execz .LBB1455_78
.LBB1455_76:                            ; =>This Inner Loop Header: Depth=1
	s_or_b32 s31, s31, exec_lo
	s_cmp_eq_u64 s[6:7], s[18:19]
	s_cbranch_scc0 .LBB1455_74
; %bb.77:                               ;   in Loop: Header=BB1455_76 Depth=1
	s_mov_b64 s[18:19], s[22:23]
                                        ; implicit-def: $vgpr35_vgpr36
                                        ; implicit-def: $vgpr37_vgpr38
	s_branch .LBB1455_75
.LBB1455_78:
	s_set_inst_prefetch_distance 0x2
	s_or_b32 exec_lo, exec_lo, s27
	v_cmp_gt_i64_e32 vcc_lo, s[22:23], v[39:40]
	s_or_not1_b32 s27, vcc_lo, exec_lo
.LBB1455_79:
	s_or_b32 exec_lo, exec_lo, s30
.LBB1455_80:
	v_mul_lo_u32 v37, v26, s22
	v_mul_lo_u32 v38, v25, s23
	v_mad_u64_u32 v[35:36], null, v25, s22, 0
	s_mov_b32 s30, 0
	s_and_not1_b32 vcc_lo, exec_lo, s25
	s_mov_b32 s31, 0
	s_delay_alu instid0(VALU_DEP_1) | instskip(NEXT) | instid1(VALU_DEP_1)
	v_add3_u32 v36, v36, v38, v37
	v_lshlrev_b64 v[37:38], 1, v[35:36]
	s_cbranch_vccnz .LBB1455_89
; %bb.81:
	s_delay_alu instid0(VALU_DEP_1) | instskip(NEXT) | instid1(VALU_DEP_2)
	v_add_co_u32 v35, vcc_lo, s8, v37
	v_add_co_ci_u32_e32 v36, vcc_lo, s9, v38, vcc_lo
	v_add_co_u32 v33, vcc_lo, s8, v33
	v_add_co_ci_u32_e32 v34, vcc_lo, s9, v34, vcc_lo
	s_mov_b32 s31, -1
	s_clause 0x1
	global_load_u16 v39, v[35:36], off
	global_load_u16 v40, v[33:34], off
	s_mov_b32 s33, exec_lo
	s_waitcnt vmcnt(0)
	v_cmpx_eq_u16_e64 v39, v40
	s_cbranch_execz .LBB1455_88
; %bb.82:
	v_add_co_u32 v33, vcc_lo, v33, 2
	v_add_co_ci_u32_e32 v34, vcc_lo, 0, v34, vcc_lo
	v_add_co_u32 v35, vcc_lo, v35, 2
	v_add_co_ci_u32_e32 v36, vcc_lo, 0, v36, vcc_lo
	s_add_u32 s6, s22, -1
	s_addc_u32 s7, s23, -1
	s_mov_b64 s[18:19], 0
	s_mov_b32 s31, 0
                                        ; implicit-def: $sgpr34
	s_set_inst_prefetch_distance 0x1
	s_branch .LBB1455_85
	.p2align	6
.LBB1455_83:                            ;   in Loop: Header=BB1455_85 Depth=1
	global_load_u16 v39, v[35:36], off
	global_load_u16 v40, v[33:34], off
	v_add_co_u32 v33, vcc_lo, v33, 2
	v_add_co_ci_u32_e32 v34, vcc_lo, 0, v34, vcc_lo
	v_add_co_u32 v35, s2, v35, 2
	s_delay_alu instid0(VALU_DEP_1)
	v_add_co_ci_u32_e64 v36, s2, 0, v36, s2
	s_add_u32 s18, s18, 1
	s_addc_u32 s19, s19, 0
	s_and_not1_b32 s2, s34, exec_lo
	s_waitcnt vmcnt(0)
	v_cmp_ne_u16_e32 vcc_lo, v39, v40
	s_and_b32 s34, vcc_lo, exec_lo
	s_delay_alu instid0(SALU_CYCLE_1)
	s_or_b32 s34, s2, s34
.LBB1455_84:                            ;   in Loop: Header=BB1455_85 Depth=1
	v_dual_mov_b32 v40, s19 :: v_dual_mov_b32 v39, s18
	s_and_b32 s2, exec_lo, s34
	s_delay_alu instid0(SALU_CYCLE_1) | instskip(NEXT) | instid1(SALU_CYCLE_1)
	s_or_b32 s31, s2, s31
	s_and_not1_b32 exec_lo, exec_lo, s31
	s_cbranch_execz .LBB1455_87
.LBB1455_85:                            ; =>This Inner Loop Header: Depth=1
	s_or_b32 s34, s34, exec_lo
	s_cmp_eq_u64 s[6:7], s[18:19]
	s_cbranch_scc0 .LBB1455_83
; %bb.86:                               ;   in Loop: Header=BB1455_85 Depth=1
	s_mov_b64 s[18:19], s[22:23]
                                        ; implicit-def: $vgpr33_vgpr34
                                        ; implicit-def: $vgpr35_vgpr36
	s_branch .LBB1455_84
.LBB1455_87:
	s_set_inst_prefetch_distance 0x2
	s_or_b32 exec_lo, exec_lo, s31
	v_cmp_gt_i64_e32 vcc_lo, s[22:23], v[39:40]
	s_or_not1_b32 s31, vcc_lo, exec_lo
.LBB1455_88:
	s_or_b32 exec_lo, exec_lo, s33
.LBB1455_89:
	v_mul_lo_u32 v35, v32, s22
	v_mul_lo_u32 v36, v31, s23
	v_mad_u64_u32 v[33:34], null, v31, s22, 0
	s_and_not1_b32 vcc_lo, exec_lo, s25
	s_delay_alu instid0(VALU_DEP_1) | instskip(NEXT) | instid1(VALU_DEP_1)
	v_add3_u32 v34, v34, v36, v35
	v_lshlrev_b64 v[35:36], 1, v[33:34]
	s_cbranch_vccnz .LBB1455_98
; %bb.90:
	s_delay_alu instid0(VALU_DEP_1) | instskip(NEXT) | instid1(VALU_DEP_2)
	v_add_co_u32 v39, vcc_lo, s8, v35
	v_add_co_ci_u32_e32 v40, vcc_lo, s9, v36, vcc_lo
	v_add_co_u32 v33, vcc_lo, s8, v37
	v_add_co_ci_u32_e32 v34, vcc_lo, s9, v38, vcc_lo
	s_mov_b32 s30, -1
	s_clause 0x1
	global_load_u16 v37, v[39:40], off
	global_load_u16 v38, v[33:34], off
	s_mov_b32 s33, exec_lo
	s_waitcnt vmcnt(0)
	v_cmpx_eq_u16_e64 v37, v38
	s_cbranch_execz .LBB1455_97
; %bb.91:
	v_add_co_u32 v33, vcc_lo, v33, 2
	v_add_co_ci_u32_e32 v34, vcc_lo, 0, v34, vcc_lo
	v_add_co_u32 v37, vcc_lo, v39, 2
	v_add_co_ci_u32_e32 v38, vcc_lo, 0, v40, vcc_lo
	s_add_u32 s6, s22, -1
	s_addc_u32 s7, s23, -1
	s_mov_b64 s[18:19], 0
	s_mov_b32 s30, 0
                                        ; implicit-def: $sgpr34
	s_set_inst_prefetch_distance 0x1
	s_branch .LBB1455_94
	.p2align	6
.LBB1455_92:                            ;   in Loop: Header=BB1455_94 Depth=1
	global_load_u16 v39, v[37:38], off
	global_load_u16 v40, v[33:34], off
	v_add_co_u32 v33, vcc_lo, v33, 2
	v_add_co_ci_u32_e32 v34, vcc_lo, 0, v34, vcc_lo
	v_add_co_u32 v37, s2, v37, 2
	s_delay_alu instid0(VALU_DEP_1)
	v_add_co_ci_u32_e64 v38, s2, 0, v38, s2
	s_add_u32 s18, s18, 1
	s_addc_u32 s19, s19, 0
	s_and_not1_b32 s2, s34, exec_lo
	s_waitcnt vmcnt(0)
	v_cmp_ne_u16_e32 vcc_lo, v39, v40
	s_and_b32 s34, vcc_lo, exec_lo
	s_delay_alu instid0(SALU_CYCLE_1)
	s_or_b32 s34, s2, s34
.LBB1455_93:                            ;   in Loop: Header=BB1455_94 Depth=1
	v_dual_mov_b32 v40, s19 :: v_dual_mov_b32 v39, s18
	s_and_b32 s2, exec_lo, s34
	s_delay_alu instid0(SALU_CYCLE_1) | instskip(NEXT) | instid1(SALU_CYCLE_1)
	s_or_b32 s30, s2, s30
	s_and_not1_b32 exec_lo, exec_lo, s30
	s_cbranch_execz .LBB1455_96
.LBB1455_94:                            ; =>This Inner Loop Header: Depth=1
	s_or_b32 s34, s34, exec_lo
	s_cmp_eq_u64 s[6:7], s[18:19]
	s_cbranch_scc0 .LBB1455_92
; %bb.95:                               ;   in Loop: Header=BB1455_94 Depth=1
	s_mov_b64 s[18:19], s[22:23]
                                        ; implicit-def: $vgpr33_vgpr34
                                        ; implicit-def: $vgpr37_vgpr38
	s_branch .LBB1455_93
.LBB1455_96:
	s_set_inst_prefetch_distance 0x2
	s_or_b32 exec_lo, exec_lo, s30
	v_cmp_gt_i64_e32 vcc_lo, s[22:23], v[39:40]
	s_or_not1_b32 s30, vcc_lo, exec_lo
.LBB1455_97:
	s_or_b32 exec_lo, exec_lo, s33
.LBB1455_98:
	v_mul_lo_u32 v37, v30, s22
	v_mul_lo_u32 v38, v29, s23
	v_mad_u64_u32 v[33:34], null, v29, s22, 0
	s_and_not1_b32 vcc_lo, exec_lo, s25
	s_mov_b32 s2, 0
	s_delay_alu instid0(VALU_DEP_1) | instskip(NEXT) | instid1(VALU_DEP_1)
	v_add3_u32 v34, v34, v38, v37
	v_lshlrev_b64 v[33:34], 1, v[33:34]
	s_cbranch_vccnz .LBB1455_107
; %bb.99:
	s_delay_alu instid0(VALU_DEP_1) | instskip(NEXT) | instid1(VALU_DEP_2)
	v_add_co_u32 v37, vcc_lo, s8, v33
	v_add_co_ci_u32_e32 v38, vcc_lo, s9, v34, vcc_lo
	v_add_co_u32 v35, vcc_lo, s8, v35
	v_add_co_ci_u32_e32 v36, vcc_lo, s9, v36, vcc_lo
	s_mov_b32 s2, -1
	s_clause 0x1
	global_load_u16 v39, v[37:38], off
	global_load_u16 v40, v[35:36], off
	s_mov_b32 s33, exec_lo
	s_waitcnt vmcnt(0)
	v_cmpx_eq_u16_e64 v39, v40
	s_cbranch_execz .LBB1455_106
; %bb.100:
	v_add_co_u32 v35, vcc_lo, v35, 2
	v_add_co_ci_u32_e32 v36, vcc_lo, 0, v36, vcc_lo
	v_add_co_u32 v37, vcc_lo, v37, 2
	v_add_co_ci_u32_e32 v38, vcc_lo, 0, v38, vcc_lo
	s_add_u32 s6, s22, -1
	s_addc_u32 s7, s23, -1
	s_mov_b64 s[18:19], 0
	s_mov_b32 s34, 0
                                        ; implicit-def: $sgpr35
	s_set_inst_prefetch_distance 0x1
	s_branch .LBB1455_103
	.p2align	6
.LBB1455_101:                           ;   in Loop: Header=BB1455_103 Depth=1
	global_load_u16 v39, v[37:38], off
	global_load_u16 v40, v[35:36], off
	v_add_co_u32 v35, vcc_lo, v35, 2
	v_add_co_ci_u32_e32 v36, vcc_lo, 0, v36, vcc_lo
	v_add_co_u32 v37, s2, v37, 2
	s_delay_alu instid0(VALU_DEP_1)
	v_add_co_ci_u32_e64 v38, s2, 0, v38, s2
	s_add_u32 s18, s18, 1
	s_addc_u32 s19, s19, 0
	s_and_not1_b32 s2, s35, exec_lo
	s_waitcnt vmcnt(0)
	v_cmp_ne_u16_e32 vcc_lo, v39, v40
	s_and_b32 s35, vcc_lo, exec_lo
	s_delay_alu instid0(SALU_CYCLE_1)
	s_or_b32 s35, s2, s35
.LBB1455_102:                           ;   in Loop: Header=BB1455_103 Depth=1
	v_dual_mov_b32 v40, s19 :: v_dual_mov_b32 v39, s18
	s_and_b32 s2, exec_lo, s35
	s_delay_alu instid0(SALU_CYCLE_1) | instskip(NEXT) | instid1(SALU_CYCLE_1)
	s_or_b32 s34, s2, s34
	s_and_not1_b32 exec_lo, exec_lo, s34
	s_cbranch_execz .LBB1455_105
.LBB1455_103:                           ; =>This Inner Loop Header: Depth=1
	s_or_b32 s35, s35, exec_lo
	s_cmp_eq_u64 s[6:7], s[18:19]
	s_cbranch_scc0 .LBB1455_101
; %bb.104:                              ;   in Loop: Header=BB1455_103 Depth=1
	s_mov_b64 s[18:19], s[22:23]
                                        ; implicit-def: $vgpr35_vgpr36
                                        ; implicit-def: $vgpr37_vgpr38
	s_branch .LBB1455_102
.LBB1455_105:
	s_set_inst_prefetch_distance 0x2
	s_or_b32 exec_lo, exec_lo, s34
	v_cmp_gt_i64_e32 vcc_lo, s[22:23], v[39:40]
	s_or_not1_b32 s2, vcc_lo, exec_lo
.LBB1455_106:
	s_or_b32 exec_lo, exec_lo, s33
.LBB1455_107:
	s_waitcnt lgkmcnt(0)
	v_dual_mov_b32 v36, s5 :: v_dual_mov_b32 v35, s4
	s_mov_b32 s6, exec_lo
	s_barrier
	buffer_gl0_inv
	v_cmpx_ne_u32_e32 0, v0
	s_cbranch_execz .LBB1455_109
; %bb.108:
	v_add_nc_u32_e32 v35, -8, v55
	ds_load_b64 v[35:36], v35
.LBB1455_109:
	s_or_b32 exec_lo, exec_lo, s6
	v_cndmask_b32_e64 v38, 0, 1, s31
	v_cndmask_b32_e64 v40, 0, 1, s29
	;; [unrolled: 1-line block ×7, first 2 shown]
	v_lshlrev_b16 v38, 8, v38
	v_lshlrev_b16 v40, 8, v40
	;; [unrolled: 1-line block ×4, first 2 shown]
	s_mov_b32 s3, 0
	v_or_b32_e32 v37, v37, v38
	v_or_b32_e32 v38, v39, v40
	;; [unrolled: 1-line block ×3, first 2 shown]
	v_and_b32_e32 v39, 0xffff, v43
	s_and_not1_b32 vcc_lo, exec_lo, s25
	v_lshlrev_b32_e32 v40, 16, v37
	v_and_b32_e32 v42, 0xffff, v38
	v_lshlrev_b32_e32 v43, 16, v44
	s_mov_b32 s2, 0
	s_cbranch_vccnz .LBB1455_118
; %bb.110:
	s_waitcnt lgkmcnt(0)
	v_mul_lo_u32 v38, v36, s22
	v_mul_lo_u32 v44, v35, s23
	v_mad_u64_u32 v[36:37], null, v35, s22, 0
	s_mov_b32 s2, -1
	s_mov_b32 s26, exec_lo
	s_delay_alu instid0(VALU_DEP_1) | instskip(NEXT) | instid1(VALU_DEP_1)
	v_add3_u32 v37, v37, v44, v38
	v_lshlrev_b64 v[35:36], 1, v[36:37]
	s_delay_alu instid0(VALU_DEP_1) | instskip(NEXT) | instid1(VALU_DEP_2)
	v_add_co_u32 v35, vcc_lo, s8, v35
	v_add_co_ci_u32_e32 v36, vcc_lo, s9, v36, vcc_lo
	v_add_co_u32 v33, vcc_lo, s8, v33
	v_add_co_ci_u32_e32 v34, vcc_lo, s9, v34, vcc_lo
	s_clause 0x1
	global_load_u16 v37, v[35:36], off
	global_load_u16 v38, v[33:34], off
	s_waitcnt vmcnt(0)
	v_cmpx_eq_u16_e64 v37, v38
	s_cbranch_execz .LBB1455_117
; %bb.111:
	v_add_co_u32 v33, vcc_lo, v33, 2
	v_add_co_ci_u32_e32 v34, vcc_lo, 0, v34, vcc_lo
	v_add_co_u32 v35, vcc_lo, v35, 2
	v_add_co_ci_u32_e32 v36, vcc_lo, 0, v36, vcc_lo
	s_add_u32 s6, s22, -1
	s_addc_u32 s7, s23, -1
	s_mov_b64 s[18:19], 0
	s_mov_b32 s27, 0
                                        ; implicit-def: $sgpr29
	s_set_inst_prefetch_distance 0x1
	s_branch .LBB1455_114
	.p2align	6
.LBB1455_112:                           ;   in Loop: Header=BB1455_114 Depth=1
	global_load_u16 v37, v[35:36], off
	global_load_u16 v38, v[33:34], off
	v_add_co_u32 v33, vcc_lo, v33, 2
	v_add_co_ci_u32_e32 v34, vcc_lo, 0, v34, vcc_lo
	v_add_co_u32 v35, s2, v35, 2
	s_delay_alu instid0(VALU_DEP_1)
	v_add_co_ci_u32_e64 v36, s2, 0, v36, s2
	s_add_u32 s18, s18, 1
	s_addc_u32 s19, s19, 0
	s_and_not1_b32 s2, s29, exec_lo
	s_waitcnt vmcnt(0)
	v_cmp_ne_u16_e32 vcc_lo, v37, v38
	s_and_b32 s29, vcc_lo, exec_lo
	s_delay_alu instid0(SALU_CYCLE_1)
	s_or_b32 s29, s2, s29
.LBB1455_113:                           ;   in Loop: Header=BB1455_114 Depth=1
	v_dual_mov_b32 v38, s19 :: v_dual_mov_b32 v37, s18
	s_and_b32 s2, exec_lo, s29
	s_delay_alu instid0(SALU_CYCLE_1) | instskip(NEXT) | instid1(SALU_CYCLE_1)
	s_or_b32 s27, s2, s27
	s_and_not1_b32 exec_lo, exec_lo, s27
	s_cbranch_execz .LBB1455_116
.LBB1455_114:                           ; =>This Inner Loop Header: Depth=1
	s_or_b32 s29, s29, exec_lo
	s_cmp_eq_u64 s[6:7], s[18:19]
	s_cbranch_scc0 .LBB1455_112
; %bb.115:                              ;   in Loop: Header=BB1455_114 Depth=1
	s_mov_b64 s[18:19], s[22:23]
                                        ; implicit-def: $vgpr33_vgpr34
                                        ; implicit-def: $vgpr35_vgpr36
	s_branch .LBB1455_113
.LBB1455_116:
	s_set_inst_prefetch_distance 0x2
	s_or_b32 exec_lo, exec_lo, s27
	v_cmp_gt_i64_e32 vcc_lo, s[22:23], v[37:38]
	s_or_not1_b32 s2, vcc_lo, exec_lo
.LBB1455_117:
	s_or_b32 exec_lo, exec_lo, s26
.LBB1455_118:
	v_or_b32_e32 v33, v39, v40
	s_delay_alu instid0(VALU_DEP_2)
	v_or_b32_e32 v34, v42, v43
	s_and_b32 vcc_lo, exec_lo, s3
	s_cbranch_vccz .LBB1455_210
.LBB1455_119:
	v_or_b32_e32 v33, 7, v55
	s_mov_b32 s3, 0
	s_mov_b32 s26, 0
	s_mov_b32 s27, exec_lo
	s_delay_alu instid0(VALU_DEP_1)
	v_cmpx_gt_u32_e64 s28, v33
	s_cbranch_execz .LBB1455_130
; %bb.120:
	s_and_not1_b32 vcc_lo, exec_lo, s25
	s_mov_b32 s2, 0
	s_cbranch_vccnz .LBB1455_129
; %bb.121:
	v_mul_lo_u32 v37, v18, s22
	v_mul_lo_u32 v38, v17, s23
	v_mad_u64_u32 v[33:34], null, v17, s22, 0
	v_mul_lo_u32 v39, v20, s22
	v_mul_lo_u32 v40, v19, s23
	s_waitcnt lgkmcnt(0)
	v_mad_u64_u32 v[35:36], null, v19, s22, 0
	s_mov_b32 s2, -1
	s_mov_b32 s25, exec_lo
	s_delay_alu instid0(VALU_DEP_4) | instskip(NEXT) | instid1(VALU_DEP_2)
	v_add3_u32 v34, v34, v38, v37
	v_add3_u32 v36, v36, v40, v39
	s_delay_alu instid0(VALU_DEP_2) | instskip(NEXT) | instid1(VALU_DEP_2)
	v_lshlrev_b64 v[33:34], 1, v[33:34]
	v_lshlrev_b64 v[37:38], 1, v[35:36]
	s_delay_alu instid0(VALU_DEP_2) | instskip(NEXT) | instid1(VALU_DEP_3)
	v_add_co_u32 v35, vcc_lo, s8, v33
	v_add_co_ci_u32_e32 v36, vcc_lo, s9, v34, vcc_lo
	s_delay_alu instid0(VALU_DEP_3) | instskip(NEXT) | instid1(VALU_DEP_4)
	v_add_co_u32 v33, vcc_lo, s8, v37
	v_add_co_ci_u32_e32 v34, vcc_lo, s9, v38, vcc_lo
	s_clause 0x1
	global_load_u16 v37, v[35:36], off
	global_load_u16 v38, v[33:34], off
	s_waitcnt vmcnt(0)
	v_cmpx_eq_u16_e64 v37, v38
	s_cbranch_execz .LBB1455_128
; %bb.122:
	v_add_co_u32 v33, vcc_lo, v33, 2
	v_add_co_ci_u32_e32 v34, vcc_lo, 0, v34, vcc_lo
	v_add_co_u32 v35, vcc_lo, v35, 2
	v_add_co_ci_u32_e32 v36, vcc_lo, 0, v36, vcc_lo
	s_add_u32 s6, s22, -1
	s_addc_u32 s7, s23, -1
	s_mov_b64 s[18:19], 0
                                        ; implicit-def: $sgpr29
	s_set_inst_prefetch_distance 0x1
	s_branch .LBB1455_125
	.p2align	6
.LBB1455_123:                           ;   in Loop: Header=BB1455_125 Depth=1
	global_load_u16 v37, v[35:36], off
	global_load_u16 v38, v[33:34], off
	v_add_co_u32 v33, vcc_lo, v33, 2
	v_add_co_ci_u32_e32 v34, vcc_lo, 0, v34, vcc_lo
	v_add_co_u32 v35, s2, v35, 2
	s_delay_alu instid0(VALU_DEP_1)
	v_add_co_ci_u32_e64 v36, s2, 0, v36, s2
	s_add_u32 s18, s18, 1
	s_addc_u32 s19, s19, 0
	s_and_not1_b32 s2, s29, exec_lo
	s_waitcnt vmcnt(0)
	v_cmp_ne_u16_e32 vcc_lo, v37, v38
	s_and_b32 s29, vcc_lo, exec_lo
	s_delay_alu instid0(SALU_CYCLE_1)
	s_or_b32 s29, s2, s29
.LBB1455_124:                           ;   in Loop: Header=BB1455_125 Depth=1
	v_dual_mov_b32 v38, s19 :: v_dual_mov_b32 v37, s18
	s_and_b32 s2, exec_lo, s29
	s_delay_alu instid0(SALU_CYCLE_1) | instskip(NEXT) | instid1(SALU_CYCLE_1)
	s_or_b32 s26, s2, s26
	s_and_not1_b32 exec_lo, exec_lo, s26
	s_cbranch_execz .LBB1455_127
.LBB1455_125:                           ; =>This Inner Loop Header: Depth=1
	s_or_b32 s29, s29, exec_lo
	s_cmp_eq_u64 s[6:7], s[18:19]
	s_cbranch_scc0 .LBB1455_123
; %bb.126:                              ;   in Loop: Header=BB1455_125 Depth=1
	s_mov_b64 s[18:19], s[22:23]
                                        ; implicit-def: $vgpr33_vgpr34
                                        ; implicit-def: $vgpr35_vgpr36
	s_branch .LBB1455_124
.LBB1455_127:
	s_set_inst_prefetch_distance 0x2
	s_or_b32 exec_lo, exec_lo, s26
	v_cmp_gt_i64_e32 vcc_lo, s[22:23], v[37:38]
	s_or_not1_b32 s2, vcc_lo, exec_lo
.LBB1455_128:
	s_or_b32 exec_lo, exec_lo, s25
.LBB1455_129:
	s_delay_alu instid0(SALU_CYCLE_1)
	s_and_b32 s26, s2, exec_lo
.LBB1455_130:
	s_or_b32 exec_lo, exec_lo, s27
	v_or_b32_e32 v33, 6, v55
	s_mov_b32 s25, exec_lo
	s_delay_alu instid0(VALU_DEP_1)
	v_cmpx_gt_u32_e64 s28, v33
	s_cbranch_execz .LBB1455_141
; %bb.131:
	v_cmp_ne_u32_e32 vcc_lo, 1, v41
	s_mov_b32 s2, 0
	s_cbranch_vccnz .LBB1455_140
; %bb.132:
	v_mul_lo_u32 v37, v24, s22
	v_mul_lo_u32 v38, v23, s23
	v_mad_u64_u32 v[33:34], null, v23, s22, 0
	v_mul_lo_u32 v39, v18, s22
	v_mul_lo_u32 v40, v17, s23
	s_waitcnt lgkmcnt(0)
	v_mad_u64_u32 v[35:36], null, v17, s22, 0
	s_mov_b32 s2, -1
	s_mov_b32 s3, exec_lo
	s_delay_alu instid0(VALU_DEP_4) | instskip(NEXT) | instid1(VALU_DEP_2)
	v_add3_u32 v34, v34, v38, v37
	v_add3_u32 v36, v36, v40, v39
	s_delay_alu instid0(VALU_DEP_2) | instskip(NEXT) | instid1(VALU_DEP_2)
	v_lshlrev_b64 v[33:34], 1, v[33:34]
	v_lshlrev_b64 v[37:38], 1, v[35:36]
	s_delay_alu instid0(VALU_DEP_2) | instskip(NEXT) | instid1(VALU_DEP_3)
	v_add_co_u32 v35, vcc_lo, s8, v33
	v_add_co_ci_u32_e32 v36, vcc_lo, s9, v34, vcc_lo
	s_delay_alu instid0(VALU_DEP_3) | instskip(NEXT) | instid1(VALU_DEP_4)
	v_add_co_u32 v33, vcc_lo, s8, v37
	v_add_co_ci_u32_e32 v34, vcc_lo, s9, v38, vcc_lo
	s_clause 0x1
	global_load_u16 v37, v[35:36], off
	global_load_u16 v38, v[33:34], off
	s_waitcnt vmcnt(0)
	v_cmpx_eq_u16_e64 v37, v38
	s_cbranch_execz .LBB1455_139
; %bb.133:
	v_add_co_u32 v33, vcc_lo, v33, 2
	v_add_co_ci_u32_e32 v34, vcc_lo, 0, v34, vcc_lo
	v_add_co_u32 v35, vcc_lo, v35, 2
	v_add_co_ci_u32_e32 v36, vcc_lo, 0, v36, vcc_lo
	s_add_u32 s6, s22, -1
	s_addc_u32 s7, s23, -1
	s_mov_b64 s[18:19], 0
	s_mov_b32 s27, 0
                                        ; implicit-def: $sgpr29
	s_set_inst_prefetch_distance 0x1
	s_branch .LBB1455_136
	.p2align	6
.LBB1455_134:                           ;   in Loop: Header=BB1455_136 Depth=1
	global_load_u16 v37, v[35:36], off
	global_load_u16 v38, v[33:34], off
	v_add_co_u32 v33, vcc_lo, v33, 2
	v_add_co_ci_u32_e32 v34, vcc_lo, 0, v34, vcc_lo
	v_add_co_u32 v35, s2, v35, 2
	s_delay_alu instid0(VALU_DEP_1)
	v_add_co_ci_u32_e64 v36, s2, 0, v36, s2
	s_add_u32 s18, s18, 1
	s_addc_u32 s19, s19, 0
	s_and_not1_b32 s2, s29, exec_lo
	s_waitcnt vmcnt(0)
	v_cmp_ne_u16_e32 vcc_lo, v37, v38
	s_and_b32 s29, vcc_lo, exec_lo
	s_delay_alu instid0(SALU_CYCLE_1)
	s_or_b32 s29, s2, s29
.LBB1455_135:                           ;   in Loop: Header=BB1455_136 Depth=1
	v_dual_mov_b32 v38, s19 :: v_dual_mov_b32 v37, s18
	s_and_b32 s2, exec_lo, s29
	s_delay_alu instid0(SALU_CYCLE_1) | instskip(NEXT) | instid1(SALU_CYCLE_1)
	s_or_b32 s27, s2, s27
	s_and_not1_b32 exec_lo, exec_lo, s27
	s_cbranch_execz .LBB1455_138
.LBB1455_136:                           ; =>This Inner Loop Header: Depth=1
	s_or_b32 s29, s29, exec_lo
	s_cmp_eq_u64 s[6:7], s[18:19]
	s_cbranch_scc0 .LBB1455_134
; %bb.137:                              ;   in Loop: Header=BB1455_136 Depth=1
	s_mov_b64 s[18:19], s[22:23]
                                        ; implicit-def: $vgpr33_vgpr34
                                        ; implicit-def: $vgpr35_vgpr36
	s_branch .LBB1455_135
.LBB1455_138:
	s_set_inst_prefetch_distance 0x2
	s_or_b32 exec_lo, exec_lo, s27
	v_cmp_gt_i64_e32 vcc_lo, s[22:23], v[37:38]
	s_or_not1_b32 s2, vcc_lo, exec_lo
.LBB1455_139:
	s_or_b32 exec_lo, exec_lo, s3
.LBB1455_140:
	s_delay_alu instid0(SALU_CYCLE_1)
	s_and_b32 s3, s2, exec_lo
.LBB1455_141:
	s_or_b32 exec_lo, exec_lo, s25
	v_or_b32_e32 v33, 5, v55
	s_mov_b32 s27, 0
	s_mov_b32 s25, 0
	s_mov_b32 s29, exec_lo
	s_delay_alu instid0(VALU_DEP_1)
	v_cmpx_gt_u32_e64 s28, v33
	s_cbranch_execz .LBB1455_152
; %bb.142:
	v_cmp_ne_u32_e32 vcc_lo, 1, v41
	s_mov_b32 s2, 0
	s_cbranch_vccnz .LBB1455_151
; %bb.143:
	v_mul_lo_u32 v37, v22, s22
	v_mul_lo_u32 v38, v21, s23
	v_mad_u64_u32 v[33:34], null, v21, s22, 0
	v_mul_lo_u32 v39, v24, s22
	v_mul_lo_u32 v40, v23, s23
	s_waitcnt lgkmcnt(0)
	v_mad_u64_u32 v[35:36], null, v23, s22, 0
	s_mov_b32 s2, -1
	s_mov_b32 s25, exec_lo
	s_delay_alu instid0(VALU_DEP_4) | instskip(NEXT) | instid1(VALU_DEP_2)
	v_add3_u32 v34, v34, v38, v37
	v_add3_u32 v36, v36, v40, v39
	s_delay_alu instid0(VALU_DEP_2) | instskip(NEXT) | instid1(VALU_DEP_2)
	v_lshlrev_b64 v[33:34], 1, v[33:34]
	v_lshlrev_b64 v[37:38], 1, v[35:36]
	s_delay_alu instid0(VALU_DEP_2) | instskip(NEXT) | instid1(VALU_DEP_3)
	v_add_co_u32 v35, vcc_lo, s8, v33
	v_add_co_ci_u32_e32 v36, vcc_lo, s9, v34, vcc_lo
	s_delay_alu instid0(VALU_DEP_3) | instskip(NEXT) | instid1(VALU_DEP_4)
	v_add_co_u32 v33, vcc_lo, s8, v37
	v_add_co_ci_u32_e32 v34, vcc_lo, s9, v38, vcc_lo
	s_clause 0x1
	global_load_u16 v37, v[35:36], off
	global_load_u16 v38, v[33:34], off
	s_waitcnt vmcnt(0)
	v_cmpx_eq_u16_e64 v37, v38
	s_cbranch_execz .LBB1455_150
; %bb.144:
	v_add_co_u32 v33, vcc_lo, v33, 2
	v_add_co_ci_u32_e32 v34, vcc_lo, 0, v34, vcc_lo
	v_add_co_u32 v35, vcc_lo, v35, 2
	v_add_co_ci_u32_e32 v36, vcc_lo, 0, v36, vcc_lo
	s_add_u32 s6, s22, -1
	s_addc_u32 s7, s23, -1
	s_mov_b64 s[18:19], 0
	s_mov_b32 s30, 0
                                        ; implicit-def: $sgpr31
	s_set_inst_prefetch_distance 0x1
	s_branch .LBB1455_147
	.p2align	6
.LBB1455_145:                           ;   in Loop: Header=BB1455_147 Depth=1
	global_load_u16 v37, v[35:36], off
	global_load_u16 v38, v[33:34], off
	v_add_co_u32 v33, vcc_lo, v33, 2
	v_add_co_ci_u32_e32 v34, vcc_lo, 0, v34, vcc_lo
	v_add_co_u32 v35, s2, v35, 2
	s_delay_alu instid0(VALU_DEP_1)
	v_add_co_ci_u32_e64 v36, s2, 0, v36, s2
	s_add_u32 s18, s18, 1
	s_addc_u32 s19, s19, 0
	s_and_not1_b32 s2, s31, exec_lo
	s_waitcnt vmcnt(0)
	v_cmp_ne_u16_e32 vcc_lo, v37, v38
	s_and_b32 s31, vcc_lo, exec_lo
	s_delay_alu instid0(SALU_CYCLE_1)
	s_or_b32 s31, s2, s31
.LBB1455_146:                           ;   in Loop: Header=BB1455_147 Depth=1
	v_dual_mov_b32 v38, s19 :: v_dual_mov_b32 v37, s18
	s_and_b32 s2, exec_lo, s31
	s_delay_alu instid0(SALU_CYCLE_1) | instskip(NEXT) | instid1(SALU_CYCLE_1)
	s_or_b32 s30, s2, s30
	s_and_not1_b32 exec_lo, exec_lo, s30
	s_cbranch_execz .LBB1455_149
.LBB1455_147:                           ; =>This Inner Loop Header: Depth=1
	s_or_b32 s31, s31, exec_lo
	s_cmp_eq_u64 s[6:7], s[18:19]
	s_cbranch_scc0 .LBB1455_145
; %bb.148:                              ;   in Loop: Header=BB1455_147 Depth=1
	s_mov_b64 s[18:19], s[22:23]
                                        ; implicit-def: $vgpr33_vgpr34
                                        ; implicit-def: $vgpr35_vgpr36
	s_branch .LBB1455_146
.LBB1455_149:
	s_set_inst_prefetch_distance 0x2
	s_or_b32 exec_lo, exec_lo, s30
	v_cmp_gt_i64_e32 vcc_lo, s[22:23], v[37:38]
	s_or_not1_b32 s2, vcc_lo, exec_lo
.LBB1455_150:
	s_or_b32 exec_lo, exec_lo, s25
.LBB1455_151:
	s_delay_alu instid0(SALU_CYCLE_1)
	s_and_b32 s25, s2, exec_lo
.LBB1455_152:
	s_or_b32 exec_lo, exec_lo, s29
	v_or_b32_e32 v33, 4, v55
	s_mov_b32 s29, exec_lo
	s_delay_alu instid0(VALU_DEP_1)
	v_cmpx_gt_u32_e64 s28, v33
	s_cbranch_execz .LBB1455_163
; %bb.153:
	v_cmp_ne_u32_e32 vcc_lo, 1, v41
	s_mov_b32 s2, 0
	s_cbranch_vccnz .LBB1455_162
; %bb.154:
	v_mul_lo_u32 v37, v28, s22
	v_mul_lo_u32 v38, v27, s23
	v_mad_u64_u32 v[33:34], null, v27, s22, 0
	v_mul_lo_u32 v39, v22, s22
	v_mul_lo_u32 v40, v21, s23
	s_waitcnt lgkmcnt(0)
	v_mad_u64_u32 v[35:36], null, v21, s22, 0
	s_mov_b32 s2, -1
	s_mov_b32 s27, exec_lo
	s_delay_alu instid0(VALU_DEP_4) | instskip(NEXT) | instid1(VALU_DEP_2)
	v_add3_u32 v34, v34, v38, v37
	v_add3_u32 v36, v36, v40, v39
	s_delay_alu instid0(VALU_DEP_2) | instskip(NEXT) | instid1(VALU_DEP_2)
	v_lshlrev_b64 v[33:34], 1, v[33:34]
	v_lshlrev_b64 v[37:38], 1, v[35:36]
	s_delay_alu instid0(VALU_DEP_2) | instskip(NEXT) | instid1(VALU_DEP_3)
	v_add_co_u32 v35, vcc_lo, s8, v33
	v_add_co_ci_u32_e32 v36, vcc_lo, s9, v34, vcc_lo
	s_delay_alu instid0(VALU_DEP_3) | instskip(NEXT) | instid1(VALU_DEP_4)
	v_add_co_u32 v33, vcc_lo, s8, v37
	v_add_co_ci_u32_e32 v34, vcc_lo, s9, v38, vcc_lo
	s_clause 0x1
	global_load_u16 v37, v[35:36], off
	global_load_u16 v38, v[33:34], off
	s_waitcnt vmcnt(0)
	v_cmpx_eq_u16_e64 v37, v38
	s_cbranch_execz .LBB1455_161
; %bb.155:
	v_add_co_u32 v33, vcc_lo, v33, 2
	v_add_co_ci_u32_e32 v34, vcc_lo, 0, v34, vcc_lo
	v_add_co_u32 v35, vcc_lo, v35, 2
	v_add_co_ci_u32_e32 v36, vcc_lo, 0, v36, vcc_lo
	s_add_u32 s6, s22, -1
	s_addc_u32 s7, s23, -1
	s_mov_b64 s[18:19], 0
	s_mov_b32 s30, 0
                                        ; implicit-def: $sgpr31
	s_set_inst_prefetch_distance 0x1
	s_branch .LBB1455_158
	.p2align	6
.LBB1455_156:                           ;   in Loop: Header=BB1455_158 Depth=1
	global_load_u16 v37, v[35:36], off
	global_load_u16 v38, v[33:34], off
	v_add_co_u32 v33, vcc_lo, v33, 2
	v_add_co_ci_u32_e32 v34, vcc_lo, 0, v34, vcc_lo
	v_add_co_u32 v35, s2, v35, 2
	s_delay_alu instid0(VALU_DEP_1)
	v_add_co_ci_u32_e64 v36, s2, 0, v36, s2
	s_add_u32 s18, s18, 1
	s_addc_u32 s19, s19, 0
	s_and_not1_b32 s2, s31, exec_lo
	s_waitcnt vmcnt(0)
	v_cmp_ne_u16_e32 vcc_lo, v37, v38
	s_and_b32 s31, vcc_lo, exec_lo
	s_delay_alu instid0(SALU_CYCLE_1)
	s_or_b32 s31, s2, s31
.LBB1455_157:                           ;   in Loop: Header=BB1455_158 Depth=1
	v_dual_mov_b32 v38, s19 :: v_dual_mov_b32 v37, s18
	s_and_b32 s2, exec_lo, s31
	s_delay_alu instid0(SALU_CYCLE_1) | instskip(NEXT) | instid1(SALU_CYCLE_1)
	s_or_b32 s30, s2, s30
	s_and_not1_b32 exec_lo, exec_lo, s30
	s_cbranch_execz .LBB1455_160
.LBB1455_158:                           ; =>This Inner Loop Header: Depth=1
	s_or_b32 s31, s31, exec_lo
	s_cmp_eq_u64 s[6:7], s[18:19]
	s_cbranch_scc0 .LBB1455_156
; %bb.159:                              ;   in Loop: Header=BB1455_158 Depth=1
	s_mov_b64 s[18:19], s[22:23]
                                        ; implicit-def: $vgpr33_vgpr34
                                        ; implicit-def: $vgpr35_vgpr36
	s_branch .LBB1455_157
.LBB1455_160:
	s_set_inst_prefetch_distance 0x2
	s_or_b32 exec_lo, exec_lo, s30
	v_cmp_gt_i64_e32 vcc_lo, s[22:23], v[37:38]
	s_or_not1_b32 s2, vcc_lo, exec_lo
.LBB1455_161:
	s_or_b32 exec_lo, exec_lo, s27
.LBB1455_162:
	s_delay_alu instid0(SALU_CYCLE_1)
	s_and_b32 s27, s2, exec_lo
.LBB1455_163:
	s_or_b32 exec_lo, exec_lo, s29
	v_or_b32_e32 v33, 3, v55
	s_mov_b32 s30, 0
	s_mov_b32 s29, 0
	s_mov_b32 s31, exec_lo
	s_delay_alu instid0(VALU_DEP_1)
	v_cmpx_gt_u32_e64 s28, v33
	s_cbranch_execz .LBB1455_174
; %bb.164:
	v_cmp_ne_u32_e32 vcc_lo, 1, v41
	s_mov_b32 s2, 0
	s_cbranch_vccnz .LBB1455_173
; %bb.165:
	v_mul_lo_u32 v37, v26, s22
	v_mul_lo_u32 v38, v25, s23
	v_mad_u64_u32 v[33:34], null, v25, s22, 0
	v_mul_lo_u32 v39, v28, s22
	v_mul_lo_u32 v40, v27, s23
	s_waitcnt lgkmcnt(0)
	v_mad_u64_u32 v[35:36], null, v27, s22, 0
	s_mov_b32 s2, -1
	s_mov_b32 s29, exec_lo
	s_delay_alu instid0(VALU_DEP_4) | instskip(NEXT) | instid1(VALU_DEP_2)
	v_add3_u32 v34, v34, v38, v37
	v_add3_u32 v36, v36, v40, v39
	s_delay_alu instid0(VALU_DEP_2) | instskip(NEXT) | instid1(VALU_DEP_2)
	v_lshlrev_b64 v[33:34], 1, v[33:34]
	v_lshlrev_b64 v[37:38], 1, v[35:36]
	s_delay_alu instid0(VALU_DEP_2) | instskip(NEXT) | instid1(VALU_DEP_3)
	v_add_co_u32 v35, vcc_lo, s8, v33
	v_add_co_ci_u32_e32 v36, vcc_lo, s9, v34, vcc_lo
	s_delay_alu instid0(VALU_DEP_3) | instskip(NEXT) | instid1(VALU_DEP_4)
	v_add_co_u32 v33, vcc_lo, s8, v37
	v_add_co_ci_u32_e32 v34, vcc_lo, s9, v38, vcc_lo
	s_clause 0x1
	global_load_u16 v37, v[35:36], off
	global_load_u16 v38, v[33:34], off
	s_waitcnt vmcnt(0)
	v_cmpx_eq_u16_e64 v37, v38
	s_cbranch_execz .LBB1455_172
; %bb.166:
	v_add_co_u32 v33, vcc_lo, v33, 2
	v_add_co_ci_u32_e32 v34, vcc_lo, 0, v34, vcc_lo
	v_add_co_u32 v35, vcc_lo, v35, 2
	v_add_co_ci_u32_e32 v36, vcc_lo, 0, v36, vcc_lo
	s_add_u32 s6, s22, -1
	s_addc_u32 s7, s23, -1
	s_mov_b64 s[18:19], 0
	s_mov_b32 s33, 0
                                        ; implicit-def: $sgpr34
	s_set_inst_prefetch_distance 0x1
	s_branch .LBB1455_169
	.p2align	6
.LBB1455_167:                           ;   in Loop: Header=BB1455_169 Depth=1
	global_load_u16 v37, v[35:36], off
	global_load_u16 v38, v[33:34], off
	v_add_co_u32 v33, vcc_lo, v33, 2
	v_add_co_ci_u32_e32 v34, vcc_lo, 0, v34, vcc_lo
	v_add_co_u32 v35, s2, v35, 2
	s_delay_alu instid0(VALU_DEP_1)
	v_add_co_ci_u32_e64 v36, s2, 0, v36, s2
	s_add_u32 s18, s18, 1
	s_addc_u32 s19, s19, 0
	s_and_not1_b32 s2, s34, exec_lo
	s_waitcnt vmcnt(0)
	v_cmp_ne_u16_e32 vcc_lo, v37, v38
	s_and_b32 s34, vcc_lo, exec_lo
	s_delay_alu instid0(SALU_CYCLE_1)
	s_or_b32 s34, s2, s34
.LBB1455_168:                           ;   in Loop: Header=BB1455_169 Depth=1
	v_dual_mov_b32 v38, s19 :: v_dual_mov_b32 v37, s18
	s_and_b32 s2, exec_lo, s34
	s_delay_alu instid0(SALU_CYCLE_1) | instskip(NEXT) | instid1(SALU_CYCLE_1)
	s_or_b32 s33, s2, s33
	s_and_not1_b32 exec_lo, exec_lo, s33
	s_cbranch_execz .LBB1455_171
.LBB1455_169:                           ; =>This Inner Loop Header: Depth=1
	s_or_b32 s34, s34, exec_lo
	s_cmp_eq_u64 s[6:7], s[18:19]
	s_cbranch_scc0 .LBB1455_167
; %bb.170:                              ;   in Loop: Header=BB1455_169 Depth=1
	s_mov_b64 s[18:19], s[22:23]
                                        ; implicit-def: $vgpr33_vgpr34
                                        ; implicit-def: $vgpr35_vgpr36
	s_branch .LBB1455_168
.LBB1455_171:
	s_set_inst_prefetch_distance 0x2
	s_or_b32 exec_lo, exec_lo, s33
	v_cmp_gt_i64_e32 vcc_lo, s[22:23], v[37:38]
	s_or_not1_b32 s2, vcc_lo, exec_lo
.LBB1455_172:
	s_or_b32 exec_lo, exec_lo, s29
.LBB1455_173:
	s_delay_alu instid0(SALU_CYCLE_1)
	s_and_b32 s29, s2, exec_lo
.LBB1455_174:
	s_or_b32 exec_lo, exec_lo, s31
	v_or_b32_e32 v33, 2, v55
	s_mov_b32 s31, exec_lo
	s_delay_alu instid0(VALU_DEP_1)
	v_cmpx_gt_u32_e64 s28, v33
	s_cbranch_execz .LBB1455_185
; %bb.175:
	v_cmp_ne_u32_e32 vcc_lo, 1, v41
	s_mov_b32 s2, 0
	s_cbranch_vccnz .LBB1455_184
; %bb.176:
	v_mul_lo_u32 v37, v32, s22
	v_mul_lo_u32 v38, v31, s23
	v_mad_u64_u32 v[33:34], null, v31, s22, 0
	v_mul_lo_u32 v39, v26, s22
	v_mul_lo_u32 v40, v25, s23
	s_waitcnt lgkmcnt(0)
	v_mad_u64_u32 v[35:36], null, v25, s22, 0
	s_mov_b32 s2, -1
	s_mov_b32 s30, exec_lo
	s_delay_alu instid0(VALU_DEP_4) | instskip(NEXT) | instid1(VALU_DEP_2)
	v_add3_u32 v34, v34, v38, v37
	v_add3_u32 v36, v36, v40, v39
	s_delay_alu instid0(VALU_DEP_2) | instskip(NEXT) | instid1(VALU_DEP_2)
	v_lshlrev_b64 v[33:34], 1, v[33:34]
	v_lshlrev_b64 v[37:38], 1, v[35:36]
	s_delay_alu instid0(VALU_DEP_2) | instskip(NEXT) | instid1(VALU_DEP_3)
	v_add_co_u32 v35, vcc_lo, s8, v33
	v_add_co_ci_u32_e32 v36, vcc_lo, s9, v34, vcc_lo
	s_delay_alu instid0(VALU_DEP_3) | instskip(NEXT) | instid1(VALU_DEP_4)
	v_add_co_u32 v33, vcc_lo, s8, v37
	v_add_co_ci_u32_e32 v34, vcc_lo, s9, v38, vcc_lo
	s_clause 0x1
	global_load_u16 v37, v[35:36], off
	global_load_u16 v38, v[33:34], off
	s_waitcnt vmcnt(0)
	v_cmpx_eq_u16_e64 v37, v38
	s_cbranch_execz .LBB1455_183
; %bb.177:
	v_add_co_u32 v33, vcc_lo, v33, 2
	v_add_co_ci_u32_e32 v34, vcc_lo, 0, v34, vcc_lo
	v_add_co_u32 v35, vcc_lo, v35, 2
	v_add_co_ci_u32_e32 v36, vcc_lo, 0, v36, vcc_lo
	s_add_u32 s6, s22, -1
	s_addc_u32 s7, s23, -1
	s_mov_b64 s[18:19], 0
	s_mov_b32 s33, 0
                                        ; implicit-def: $sgpr34
	s_set_inst_prefetch_distance 0x1
	s_branch .LBB1455_180
	.p2align	6
.LBB1455_178:                           ;   in Loop: Header=BB1455_180 Depth=1
	global_load_u16 v37, v[35:36], off
	global_load_u16 v38, v[33:34], off
	v_add_co_u32 v33, vcc_lo, v33, 2
	v_add_co_ci_u32_e32 v34, vcc_lo, 0, v34, vcc_lo
	v_add_co_u32 v35, s2, v35, 2
	s_delay_alu instid0(VALU_DEP_1)
	v_add_co_ci_u32_e64 v36, s2, 0, v36, s2
	s_add_u32 s18, s18, 1
	s_addc_u32 s19, s19, 0
	s_and_not1_b32 s2, s34, exec_lo
	s_waitcnt vmcnt(0)
	v_cmp_ne_u16_e32 vcc_lo, v37, v38
	s_and_b32 s34, vcc_lo, exec_lo
	s_delay_alu instid0(SALU_CYCLE_1)
	s_or_b32 s34, s2, s34
.LBB1455_179:                           ;   in Loop: Header=BB1455_180 Depth=1
	v_dual_mov_b32 v38, s19 :: v_dual_mov_b32 v37, s18
	s_and_b32 s2, exec_lo, s34
	s_delay_alu instid0(SALU_CYCLE_1) | instskip(NEXT) | instid1(SALU_CYCLE_1)
	s_or_b32 s33, s2, s33
	s_and_not1_b32 exec_lo, exec_lo, s33
	s_cbranch_execz .LBB1455_182
.LBB1455_180:                           ; =>This Inner Loop Header: Depth=1
	s_or_b32 s34, s34, exec_lo
	s_cmp_eq_u64 s[6:7], s[18:19]
	s_cbranch_scc0 .LBB1455_178
; %bb.181:                              ;   in Loop: Header=BB1455_180 Depth=1
	s_mov_b64 s[18:19], s[22:23]
                                        ; implicit-def: $vgpr33_vgpr34
                                        ; implicit-def: $vgpr35_vgpr36
	s_branch .LBB1455_179
.LBB1455_182:
	s_set_inst_prefetch_distance 0x2
	s_or_b32 exec_lo, exec_lo, s33
	v_cmp_gt_i64_e32 vcc_lo, s[22:23], v[37:38]
	s_or_not1_b32 s2, vcc_lo, exec_lo
.LBB1455_183:
	s_or_b32 exec_lo, exec_lo, s30
.LBB1455_184:
	s_delay_alu instid0(SALU_CYCLE_1)
	s_and_b32 s30, s2, exec_lo
.LBB1455_185:
	s_or_b32 exec_lo, exec_lo, s31
	v_or_b32_e32 v33, 1, v55
	s_mov_b32 s2, 0
	s_mov_b32 s31, exec_lo
	s_delay_alu instid0(VALU_DEP_1)
	v_cmpx_gt_u32_e64 s28, v33
	s_cbranch_execz .LBB1455_196
; %bb.186:
	v_cmp_ne_u32_e32 vcc_lo, 1, v41
	s_cbranch_vccnz .LBB1455_195
; %bb.187:
	v_mul_lo_u32 v37, v30, s22
	v_mul_lo_u32 v38, v29, s23
	v_mad_u64_u32 v[33:34], null, v29, s22, 0
	v_mul_lo_u32 v39, v32, s22
	v_mul_lo_u32 v40, v31, s23
	s_waitcnt lgkmcnt(0)
	v_mad_u64_u32 v[35:36], null, v31, s22, 0
	s_mov_b32 s2, -1
	s_mov_b32 s33, exec_lo
	s_delay_alu instid0(VALU_DEP_4) | instskip(NEXT) | instid1(VALU_DEP_2)
	v_add3_u32 v34, v34, v38, v37
	v_add3_u32 v36, v36, v40, v39
	s_delay_alu instid0(VALU_DEP_2) | instskip(NEXT) | instid1(VALU_DEP_2)
	v_lshlrev_b64 v[33:34], 1, v[33:34]
	v_lshlrev_b64 v[37:38], 1, v[35:36]
	s_delay_alu instid0(VALU_DEP_2) | instskip(NEXT) | instid1(VALU_DEP_3)
	v_add_co_u32 v35, vcc_lo, s8, v33
	v_add_co_ci_u32_e32 v36, vcc_lo, s9, v34, vcc_lo
	s_delay_alu instid0(VALU_DEP_3) | instskip(NEXT) | instid1(VALU_DEP_4)
	v_add_co_u32 v33, vcc_lo, s8, v37
	v_add_co_ci_u32_e32 v34, vcc_lo, s9, v38, vcc_lo
	s_clause 0x1
	global_load_u16 v37, v[35:36], off
	global_load_u16 v38, v[33:34], off
	s_waitcnt vmcnt(0)
	v_cmpx_eq_u16_e64 v37, v38
	s_cbranch_execz .LBB1455_194
; %bb.188:
	v_add_co_u32 v33, vcc_lo, v33, 2
	v_add_co_ci_u32_e32 v34, vcc_lo, 0, v34, vcc_lo
	v_add_co_u32 v35, vcc_lo, v35, 2
	v_add_co_ci_u32_e32 v36, vcc_lo, 0, v36, vcc_lo
	s_add_u32 s6, s22, -1
	s_addc_u32 s7, s23, -1
	s_mov_b64 s[18:19], 0
	s_mov_b32 s34, 0
                                        ; implicit-def: $sgpr35
	s_set_inst_prefetch_distance 0x1
	s_branch .LBB1455_191
	.p2align	6
.LBB1455_189:                           ;   in Loop: Header=BB1455_191 Depth=1
	global_load_u16 v37, v[35:36], off
	global_load_u16 v38, v[33:34], off
	v_add_co_u32 v33, vcc_lo, v33, 2
	v_add_co_ci_u32_e32 v34, vcc_lo, 0, v34, vcc_lo
	v_add_co_u32 v35, s2, v35, 2
	s_delay_alu instid0(VALU_DEP_1)
	v_add_co_ci_u32_e64 v36, s2, 0, v36, s2
	s_add_u32 s18, s18, 1
	s_addc_u32 s19, s19, 0
	s_and_not1_b32 s2, s35, exec_lo
	s_waitcnt vmcnt(0)
	v_cmp_ne_u16_e32 vcc_lo, v37, v38
	s_and_b32 s35, vcc_lo, exec_lo
	s_delay_alu instid0(SALU_CYCLE_1)
	s_or_b32 s35, s2, s35
.LBB1455_190:                           ;   in Loop: Header=BB1455_191 Depth=1
	v_dual_mov_b32 v38, s19 :: v_dual_mov_b32 v37, s18
	s_and_b32 s2, exec_lo, s35
	s_delay_alu instid0(SALU_CYCLE_1) | instskip(NEXT) | instid1(SALU_CYCLE_1)
	s_or_b32 s34, s2, s34
	s_and_not1_b32 exec_lo, exec_lo, s34
	s_cbranch_execz .LBB1455_193
.LBB1455_191:                           ; =>This Inner Loop Header: Depth=1
	s_or_b32 s35, s35, exec_lo
	s_cmp_eq_u64 s[6:7], s[18:19]
	s_cbranch_scc0 .LBB1455_189
; %bb.192:                              ;   in Loop: Header=BB1455_191 Depth=1
	s_mov_b64 s[18:19], s[22:23]
                                        ; implicit-def: $vgpr33_vgpr34
                                        ; implicit-def: $vgpr35_vgpr36
	s_branch .LBB1455_190
.LBB1455_193:
	s_set_inst_prefetch_distance 0x2
	s_or_b32 exec_lo, exec_lo, s34
	v_cmp_gt_i64_e32 vcc_lo, s[22:23], v[37:38]
	s_or_not1_b32 s2, vcc_lo, exec_lo
.LBB1455_194:
	s_or_b32 exec_lo, exec_lo, s33
.LBB1455_195:
	s_delay_alu instid0(SALU_CYCLE_1)
	s_and_b32 s2, s2, exec_lo
.LBB1455_196:
	s_or_b32 exec_lo, exec_lo, s31
	s_waitcnt lgkmcnt(0)
	v_dual_mov_b32 v34, s5 :: v_dual_mov_b32 v33, s4
	s_mov_b32 s4, exec_lo
	s_barrier
	buffer_gl0_inv
	v_cmpx_ne_u32_e32 0, v0
	s_cbranch_execz .LBB1455_198
; %bb.197:
	v_add_nc_u32_e32 v33, -8, v55
	ds_load_b64 v[33:34], v33
.LBB1455_198:
	s_or_b32 exec_lo, exec_lo, s4
	v_cndmask_b32_e64 v36, 0, 1, s29
	v_cndmask_b32_e64 v38, 0, 1, s25
	;; [unrolled: 1-line block ×7, first 2 shown]
	v_lshlrev_b16 v36, 8, v36
	v_lshlrev_b16 v38, 8, v38
	;; [unrolled: 1-line block ×3, first 2 shown]
	s_mov_b32 s2, 0
	v_lshlrev_b16 v42, 8, v42
	v_or_b32_e32 v35, v35, v36
	v_or_b32_e32 v36, v37, v38
	;; [unrolled: 1-line block ×3, first 2 shown]
	s_mov_b32 s3, exec_lo
	v_and_b32_e32 v39, 0xffff, v42
	v_lshlrev_b32_e32 v40, 16, v35
	v_and_b32_e32 v42, 0xffff, v36
	v_lshlrev_b32_e32 v43, 16, v37
	v_cmpx_gt_u32_e64 s28, v55
	s_cbranch_execz .LBB1455_209
; %bb.199:
	v_cmp_ne_u32_e32 vcc_lo, 1, v41
	s_cbranch_vccnz .LBB1455_208
; %bb.200:
	s_waitcnt lgkmcnt(0)
	v_mul_lo_u32 v38, v34, s22
	v_mul_lo_u32 v41, v33, s23
	v_mad_u64_u32 v[34:35], null, v33, s22, 0
	v_mul_lo_u32 v33, v30, s22
	v_mul_lo_u32 v44, v29, s23
	v_mad_u64_u32 v[36:37], null, v29, s22, 0
	s_mov_b32 s2, -1
	s_mov_b32 s18, exec_lo
	s_delay_alu instid0(VALU_DEP_4) | instskip(NEXT) | instid1(VALU_DEP_2)
	v_add3_u32 v35, v35, v41, v38
	v_add3_u32 v37, v37, v44, v33
	s_delay_alu instid0(VALU_DEP_2) | instskip(NEXT) | instid1(VALU_DEP_2)
	v_lshlrev_b64 v[33:34], 1, v[34:35]
	v_lshlrev_b64 v[37:38], 1, v[36:37]
	s_delay_alu instid0(VALU_DEP_2) | instskip(NEXT) | instid1(VALU_DEP_3)
	v_add_co_u32 v35, vcc_lo, s8, v33
	v_add_co_ci_u32_e32 v36, vcc_lo, s9, v34, vcc_lo
	s_delay_alu instid0(VALU_DEP_3) | instskip(NEXT) | instid1(VALU_DEP_4)
	v_add_co_u32 v33, vcc_lo, s8, v37
	v_add_co_ci_u32_e32 v34, vcc_lo, s9, v38, vcc_lo
	s_clause 0x1
	global_load_u16 v37, v[35:36], off
	global_load_u16 v38, v[33:34], off
	s_waitcnt vmcnt(0)
	v_cmpx_eq_u16_e64 v37, v38
	s_cbranch_execz .LBB1455_207
; %bb.201:
	v_add_co_u32 v33, vcc_lo, v33, 2
	v_add_co_ci_u32_e32 v34, vcc_lo, 0, v34, vcc_lo
	v_add_co_u32 v35, vcc_lo, v35, 2
	v_add_co_ci_u32_e32 v36, vcc_lo, 0, v36, vcc_lo
	s_add_u32 s4, s22, -1
	s_addc_u32 s5, s23, -1
	s_mov_b64 s[6:7], 0
	s_mov_b32 s19, 0
                                        ; implicit-def: $sgpr25
	s_set_inst_prefetch_distance 0x1
	s_branch .LBB1455_204
	.p2align	6
.LBB1455_202:                           ;   in Loop: Header=BB1455_204 Depth=1
	global_load_u16 v37, v[35:36], off
	global_load_u16 v38, v[33:34], off
	v_add_co_u32 v33, vcc_lo, v33, 2
	v_add_co_ci_u32_e32 v34, vcc_lo, 0, v34, vcc_lo
	v_add_co_u32 v35, s2, v35, 2
	s_delay_alu instid0(VALU_DEP_1)
	v_add_co_ci_u32_e64 v36, s2, 0, v36, s2
	s_add_u32 s6, s6, 1
	s_addc_u32 s7, s7, 0
	s_and_not1_b32 s2, s25, exec_lo
	s_waitcnt vmcnt(0)
	v_cmp_ne_u16_e32 vcc_lo, v37, v38
	s_and_b32 s25, vcc_lo, exec_lo
	s_delay_alu instid0(SALU_CYCLE_1)
	s_or_b32 s25, s2, s25
.LBB1455_203:                           ;   in Loop: Header=BB1455_204 Depth=1
	v_dual_mov_b32 v38, s7 :: v_dual_mov_b32 v37, s6
	s_and_b32 s2, exec_lo, s25
	s_delay_alu instid0(SALU_CYCLE_1) | instskip(NEXT) | instid1(SALU_CYCLE_1)
	s_or_b32 s19, s2, s19
	s_and_not1_b32 exec_lo, exec_lo, s19
	s_cbranch_execz .LBB1455_206
.LBB1455_204:                           ; =>This Inner Loop Header: Depth=1
	s_or_b32 s25, s25, exec_lo
	s_cmp_eq_u64 s[4:5], s[6:7]
	s_cbranch_scc0 .LBB1455_202
; %bb.205:                              ;   in Loop: Header=BB1455_204 Depth=1
	s_mov_b64 s[6:7], s[22:23]
                                        ; implicit-def: $vgpr33_vgpr34
                                        ; implicit-def: $vgpr35_vgpr36
	s_branch .LBB1455_203
.LBB1455_206:
	s_set_inst_prefetch_distance 0x2
	s_or_b32 exec_lo, exec_lo, s19
	v_cmp_gt_i64_e32 vcc_lo, s[22:23], v[37:38]
	s_or_not1_b32 s2, vcc_lo, exec_lo
.LBB1455_207:
	s_or_b32 exec_lo, exec_lo, s18
.LBB1455_208:
	s_delay_alu instid0(SALU_CYCLE_1)
	s_and_b32 s2, s2, exec_lo
.LBB1455_209:
	s_or_b32 exec_lo, exec_lo, s3
	s_waitcnt lgkmcnt(0)
	v_or_b32_e32 v33, v39, v40
	v_or_b32_e32 v34, v42, v43
.LBB1455_210:
	s_waitcnt lgkmcnt(0)
	s_mov_b32 s3, -1
	s_cbranch_execnz .LBB1455_379
.LBB1455_211:
	v_cmp_gt_i64_e64 s18, s[22:23], 0
	s_and_b32 vcc_lo, exec_lo, s20
	ds_store_b64 v55, v[19:20]
	s_cbranch_vccz .LBB1455_219
; %bb.212:
	v_mul_lo_u32 v35, v18, s22
	v_mul_lo_u32 v36, v17, s23
	v_mad_u64_u32 v[33:34], null, v17, s22, 0
	s_mov_b32 s19, 0
	s_and_not1_b32 vcc_lo, exec_lo, s18
	s_mov_b32 s25, 0
	s_delay_alu instid0(VALU_DEP_1) | instskip(NEXT) | instid1(VALU_DEP_1)
	v_add3_u32 v34, v34, v36, v35
	v_lshlrev_b64 v[33:34], 1, v[33:34]
	s_cbranch_vccnz .LBB1455_222
; %bb.213:
	v_mul_lo_u32 v37, v20, s22
	v_mul_lo_u32 v38, v19, s23
	v_mad_u64_u32 v[35:36], null, v19, s22, 0
	s_mov_b32 s25, -1
	s_mov_b32 s26, exec_lo
	s_delay_alu instid0(VALU_DEP_1) | instskip(SKIP_2) | instid1(VALU_DEP_3)
	v_add3_u32 v36, v36, v38, v37
	v_add_co_u32 v37, vcc_lo, s8, v33
	v_add_co_ci_u32_e32 v38, vcc_lo, s9, v34, vcc_lo
	v_lshlrev_b64 v[35:36], 1, v[35:36]
	s_delay_alu instid0(VALU_DEP_1) | instskip(NEXT) | instid1(VALU_DEP_2)
	v_add_co_u32 v35, vcc_lo, s8, v35
	v_add_co_ci_u32_e32 v36, vcc_lo, s9, v36, vcc_lo
	s_clause 0x1
	global_load_u16 v39, v[37:38], off
	global_load_u16 v40, v[35:36], off
	s_waitcnt vmcnt(0)
	v_cmpx_eq_u16_e64 v39, v40
	s_cbranch_execz .LBB1455_221
; %bb.214:
	v_add_co_u32 v35, vcc_lo, v35, 2
	v_add_co_ci_u32_e32 v36, vcc_lo, 0, v36, vcc_lo
	v_add_co_u32 v37, vcc_lo, v37, 2
	v_add_co_ci_u32_e32 v38, vcc_lo, 0, v38, vcc_lo
	s_add_u32 s4, s22, -1
	s_addc_u32 s5, s23, -1
	s_mov_b64 s[6:7], 0
	s_mov_b32 s25, 0
                                        ; implicit-def: $sgpr27
	s_set_inst_prefetch_distance 0x1
	s_branch .LBB1455_217
	.p2align	6
.LBB1455_215:                           ;   in Loop: Header=BB1455_217 Depth=1
	global_load_u16 v39, v[37:38], off
	global_load_u16 v40, v[35:36], off
	v_add_co_u32 v35, vcc_lo, v35, 2
	v_add_co_ci_u32_e32 v36, vcc_lo, 0, v36, vcc_lo
	v_add_co_u32 v37, s2, v37, 2
	s_delay_alu instid0(VALU_DEP_1)
	v_add_co_ci_u32_e64 v38, s2, 0, v38, s2
	s_add_u32 s6, s6, 1
	s_addc_u32 s7, s7, 0
	s_and_not1_b32 s2, s27, exec_lo
	s_waitcnt vmcnt(0)
	v_cmp_ne_u16_e32 vcc_lo, v39, v40
	s_and_b32 s27, vcc_lo, exec_lo
	s_delay_alu instid0(SALU_CYCLE_1)
	s_or_b32 s27, s2, s27
.LBB1455_216:                           ;   in Loop: Header=BB1455_217 Depth=1
	v_dual_mov_b32 v40, s7 :: v_dual_mov_b32 v39, s6
	s_and_b32 s2, exec_lo, s27
	s_delay_alu instid0(SALU_CYCLE_1) | instskip(NEXT) | instid1(SALU_CYCLE_1)
	s_or_b32 s25, s2, s25
	s_and_not1_b32 exec_lo, exec_lo, s25
	s_cbranch_execz .LBB1455_220
.LBB1455_217:                           ; =>This Inner Loop Header: Depth=1
	s_or_b32 s27, s27, exec_lo
	s_cmp_eq_u64 s[4:5], s[6:7]
	s_cbranch_scc0 .LBB1455_215
; %bb.218:                              ;   in Loop: Header=BB1455_217 Depth=1
	s_mov_b64 s[6:7], s[22:23]
                                        ; implicit-def: $vgpr35_vgpr36
                                        ; implicit-def: $vgpr37_vgpr38
	s_branch .LBB1455_216
.LBB1455_219:
                                        ; implicit-def: $sgpr2
                                        ; implicit-def: $vgpr34
	s_cbranch_execnz .LBB1455_288
	s_branch .LBB1455_379
.LBB1455_220:
	s_set_inst_prefetch_distance 0x2
	s_or_b32 exec_lo, exec_lo, s25
	v_cmp_gt_i64_e32 vcc_lo, s[22:23], v[39:40]
	s_or_not1_b32 s25, vcc_lo, exec_lo
.LBB1455_221:
	s_or_b32 exec_lo, exec_lo, s26
.LBB1455_222:
	v_mul_lo_u32 v37, v24, s22
	v_mul_lo_u32 v38, v23, s23
	v_mad_u64_u32 v[35:36], null, v23, s22, 0
	s_and_not1_b32 vcc_lo, exec_lo, s18
	s_delay_alu instid0(VALU_DEP_1) | instskip(NEXT) | instid1(VALU_DEP_1)
	v_add3_u32 v36, v36, v38, v37
	v_lshlrev_b64 v[35:36], 1, v[35:36]
	s_cbranch_vccnz .LBB1455_231
; %bb.223:
	s_delay_alu instid0(VALU_DEP_1) | instskip(NEXT) | instid1(VALU_DEP_2)
	v_add_co_u32 v37, vcc_lo, s8, v35
	v_add_co_ci_u32_e32 v38, vcc_lo, s9, v36, vcc_lo
	v_add_co_u32 v33, vcc_lo, s8, v33
	v_add_co_ci_u32_e32 v34, vcc_lo, s9, v34, vcc_lo
	s_mov_b32 s19, -1
	s_clause 0x1
	global_load_u16 v39, v[37:38], off
	global_load_u16 v40, v[33:34], off
	s_mov_b32 s26, exec_lo
	s_waitcnt vmcnt(0)
	v_cmpx_eq_u16_e64 v39, v40
	s_cbranch_execz .LBB1455_230
; %bb.224:
	v_add_co_u32 v33, vcc_lo, v33, 2
	v_add_co_ci_u32_e32 v34, vcc_lo, 0, v34, vcc_lo
	v_add_co_u32 v37, vcc_lo, v37, 2
	v_add_co_ci_u32_e32 v38, vcc_lo, 0, v38, vcc_lo
	s_add_u32 s4, s22, -1
	s_addc_u32 s5, s23, -1
	s_mov_b64 s[6:7], 0
	s_mov_b32 s19, 0
                                        ; implicit-def: $sgpr27
	s_set_inst_prefetch_distance 0x1
	s_branch .LBB1455_227
	.p2align	6
.LBB1455_225:                           ;   in Loop: Header=BB1455_227 Depth=1
	global_load_u16 v39, v[37:38], off
	global_load_u16 v40, v[33:34], off
	v_add_co_u32 v33, vcc_lo, v33, 2
	v_add_co_ci_u32_e32 v34, vcc_lo, 0, v34, vcc_lo
	v_add_co_u32 v37, s2, v37, 2
	s_delay_alu instid0(VALU_DEP_1)
	v_add_co_ci_u32_e64 v38, s2, 0, v38, s2
	s_add_u32 s6, s6, 1
	s_addc_u32 s7, s7, 0
	s_and_not1_b32 s2, s27, exec_lo
	s_waitcnt vmcnt(0)
	v_cmp_ne_u16_e32 vcc_lo, v39, v40
	s_and_b32 s27, vcc_lo, exec_lo
	s_delay_alu instid0(SALU_CYCLE_1)
	s_or_b32 s27, s2, s27
.LBB1455_226:                           ;   in Loop: Header=BB1455_227 Depth=1
	v_dual_mov_b32 v40, s7 :: v_dual_mov_b32 v39, s6
	s_and_b32 s2, exec_lo, s27
	s_delay_alu instid0(SALU_CYCLE_1) | instskip(NEXT) | instid1(SALU_CYCLE_1)
	s_or_b32 s19, s2, s19
	s_and_not1_b32 exec_lo, exec_lo, s19
	s_cbranch_execz .LBB1455_229
.LBB1455_227:                           ; =>This Inner Loop Header: Depth=1
	s_or_b32 s27, s27, exec_lo
	s_cmp_eq_u64 s[4:5], s[6:7]
	s_cbranch_scc0 .LBB1455_225
; %bb.228:                              ;   in Loop: Header=BB1455_227 Depth=1
	s_mov_b64 s[6:7], s[22:23]
                                        ; implicit-def: $vgpr33_vgpr34
                                        ; implicit-def: $vgpr37_vgpr38
	s_branch .LBB1455_226
.LBB1455_229:
	s_set_inst_prefetch_distance 0x2
	s_or_b32 exec_lo, exec_lo, s19
	v_cmp_gt_i64_e32 vcc_lo, s[22:23], v[39:40]
	s_or_not1_b32 s19, vcc_lo, exec_lo
.LBB1455_230:
	s_or_b32 exec_lo, exec_lo, s26
.LBB1455_231:
	v_mul_lo_u32 v37, v22, s22
	v_mul_lo_u32 v38, v21, s23
	v_mad_u64_u32 v[33:34], null, v21, s22, 0
	s_mov_b32 s26, 0
	s_and_not1_b32 vcc_lo, exec_lo, s18
	s_mov_b32 s27, 0
	s_delay_alu instid0(VALU_DEP_1) | instskip(NEXT) | instid1(VALU_DEP_1)
	v_add3_u32 v34, v34, v38, v37
	v_lshlrev_b64 v[37:38], 1, v[33:34]
	s_cbranch_vccnz .LBB1455_240
; %bb.232:
	s_delay_alu instid0(VALU_DEP_1) | instskip(NEXT) | instid1(VALU_DEP_2)
	v_add_co_u32 v39, vcc_lo, s8, v37
	v_add_co_ci_u32_e32 v40, vcc_lo, s9, v38, vcc_lo
	v_add_co_u32 v33, vcc_lo, s8, v35
	v_add_co_ci_u32_e32 v34, vcc_lo, s9, v36, vcc_lo
	s_mov_b32 s27, -1
	s_clause 0x1
	global_load_u16 v35, v[39:40], off
	global_load_u16 v36, v[33:34], off
	s_mov_b32 s29, exec_lo
	s_waitcnt vmcnt(0)
	v_cmpx_eq_u16_e64 v35, v36
	s_cbranch_execz .LBB1455_239
; %bb.233:
	v_add_co_u32 v33, vcc_lo, v33, 2
	v_add_co_ci_u32_e32 v34, vcc_lo, 0, v34, vcc_lo
	v_add_co_u32 v35, vcc_lo, v39, 2
	v_add_co_ci_u32_e32 v36, vcc_lo, 0, v40, vcc_lo
	s_add_u32 s4, s22, -1
	s_addc_u32 s5, s23, -1
	s_mov_b64 s[6:7], 0
	s_mov_b32 s27, 0
                                        ; implicit-def: $sgpr30
	s_set_inst_prefetch_distance 0x1
	s_branch .LBB1455_236
	.p2align	6
.LBB1455_234:                           ;   in Loop: Header=BB1455_236 Depth=1
	global_load_u16 v39, v[35:36], off
	global_load_u16 v40, v[33:34], off
	v_add_co_u32 v33, vcc_lo, v33, 2
	v_add_co_ci_u32_e32 v34, vcc_lo, 0, v34, vcc_lo
	v_add_co_u32 v35, s2, v35, 2
	s_delay_alu instid0(VALU_DEP_1)
	v_add_co_ci_u32_e64 v36, s2, 0, v36, s2
	s_add_u32 s6, s6, 1
	s_addc_u32 s7, s7, 0
	s_and_not1_b32 s2, s30, exec_lo
	s_waitcnt vmcnt(0)
	v_cmp_ne_u16_e32 vcc_lo, v39, v40
	s_and_b32 s30, vcc_lo, exec_lo
	s_delay_alu instid0(SALU_CYCLE_1)
	s_or_b32 s30, s2, s30
.LBB1455_235:                           ;   in Loop: Header=BB1455_236 Depth=1
	v_dual_mov_b32 v40, s7 :: v_dual_mov_b32 v39, s6
	s_and_b32 s2, exec_lo, s30
	s_delay_alu instid0(SALU_CYCLE_1) | instskip(NEXT) | instid1(SALU_CYCLE_1)
	s_or_b32 s27, s2, s27
	s_and_not1_b32 exec_lo, exec_lo, s27
	s_cbranch_execz .LBB1455_238
.LBB1455_236:                           ; =>This Inner Loop Header: Depth=1
	s_or_b32 s30, s30, exec_lo
	s_cmp_eq_u64 s[4:5], s[6:7]
	s_cbranch_scc0 .LBB1455_234
; %bb.237:                              ;   in Loop: Header=BB1455_236 Depth=1
	s_mov_b64 s[6:7], s[22:23]
                                        ; implicit-def: $vgpr33_vgpr34
                                        ; implicit-def: $vgpr35_vgpr36
	s_branch .LBB1455_235
.LBB1455_238:
	s_set_inst_prefetch_distance 0x2
	s_or_b32 exec_lo, exec_lo, s27
	v_cmp_gt_i64_e32 vcc_lo, s[22:23], v[39:40]
	s_or_not1_b32 s27, vcc_lo, exec_lo
.LBB1455_239:
	s_or_b32 exec_lo, exec_lo, s29
.LBB1455_240:
	v_mul_lo_u32 v35, v28, s22
	v_mul_lo_u32 v36, v27, s23
	v_mad_u64_u32 v[33:34], null, v27, s22, 0
	s_and_not1_b32 vcc_lo, exec_lo, s18
	s_delay_alu instid0(VALU_DEP_1) | instskip(NEXT) | instid1(VALU_DEP_1)
	v_add3_u32 v34, v34, v36, v35
	v_lshlrev_b64 v[33:34], 1, v[33:34]
	s_cbranch_vccnz .LBB1455_249
; %bb.241:
	s_delay_alu instid0(VALU_DEP_1) | instskip(NEXT) | instid1(VALU_DEP_2)
	v_add_co_u32 v39, vcc_lo, s8, v33
	v_add_co_ci_u32_e32 v40, vcc_lo, s9, v34, vcc_lo
	v_add_co_u32 v35, vcc_lo, s8, v37
	v_add_co_ci_u32_e32 v36, vcc_lo, s9, v38, vcc_lo
	s_mov_b32 s26, -1
	s_clause 0x1
	global_load_u16 v37, v[39:40], off
	global_load_u16 v38, v[35:36], off
	s_mov_b32 s29, exec_lo
	s_waitcnt vmcnt(0)
	v_cmpx_eq_u16_e64 v37, v38
	s_cbranch_execz .LBB1455_248
; %bb.242:
	v_add_co_u32 v35, vcc_lo, v35, 2
	v_add_co_ci_u32_e32 v36, vcc_lo, 0, v36, vcc_lo
	v_add_co_u32 v37, vcc_lo, v39, 2
	v_add_co_ci_u32_e32 v38, vcc_lo, 0, v40, vcc_lo
	s_add_u32 s4, s22, -1
	s_addc_u32 s5, s23, -1
	s_mov_b64 s[6:7], 0
	s_mov_b32 s26, 0
                                        ; implicit-def: $sgpr30
	s_set_inst_prefetch_distance 0x1
	s_branch .LBB1455_245
	.p2align	6
.LBB1455_243:                           ;   in Loop: Header=BB1455_245 Depth=1
	global_load_u16 v39, v[37:38], off
	global_load_u16 v40, v[35:36], off
	v_add_co_u32 v35, vcc_lo, v35, 2
	v_add_co_ci_u32_e32 v36, vcc_lo, 0, v36, vcc_lo
	v_add_co_u32 v37, s2, v37, 2
	s_delay_alu instid0(VALU_DEP_1)
	v_add_co_ci_u32_e64 v38, s2, 0, v38, s2
	s_add_u32 s6, s6, 1
	s_addc_u32 s7, s7, 0
	s_and_not1_b32 s2, s30, exec_lo
	s_waitcnt vmcnt(0)
	v_cmp_ne_u16_e32 vcc_lo, v39, v40
	s_and_b32 s30, vcc_lo, exec_lo
	s_delay_alu instid0(SALU_CYCLE_1)
	s_or_b32 s30, s2, s30
.LBB1455_244:                           ;   in Loop: Header=BB1455_245 Depth=1
	v_dual_mov_b32 v40, s7 :: v_dual_mov_b32 v39, s6
	s_and_b32 s2, exec_lo, s30
	s_delay_alu instid0(SALU_CYCLE_1) | instskip(NEXT) | instid1(SALU_CYCLE_1)
	s_or_b32 s26, s2, s26
	s_and_not1_b32 exec_lo, exec_lo, s26
	s_cbranch_execz .LBB1455_247
.LBB1455_245:                           ; =>This Inner Loop Header: Depth=1
	s_or_b32 s30, s30, exec_lo
	s_cmp_eq_u64 s[4:5], s[6:7]
	s_cbranch_scc0 .LBB1455_243
; %bb.246:                              ;   in Loop: Header=BB1455_245 Depth=1
	s_mov_b64 s[6:7], s[22:23]
                                        ; implicit-def: $vgpr35_vgpr36
                                        ; implicit-def: $vgpr37_vgpr38
	s_branch .LBB1455_244
.LBB1455_247:
	s_set_inst_prefetch_distance 0x2
	s_or_b32 exec_lo, exec_lo, s26
	v_cmp_gt_i64_e32 vcc_lo, s[22:23], v[39:40]
	s_or_not1_b32 s26, vcc_lo, exec_lo
.LBB1455_248:
	s_or_b32 exec_lo, exec_lo, s29
.LBB1455_249:
	v_mul_lo_u32 v37, v26, s22
	v_mul_lo_u32 v38, v25, s23
	v_mad_u64_u32 v[35:36], null, v25, s22, 0
	s_mov_b32 s29, 0
	s_and_not1_b32 vcc_lo, exec_lo, s18
	s_mov_b32 s30, 0
	s_delay_alu instid0(VALU_DEP_1) | instskip(NEXT) | instid1(VALU_DEP_1)
	v_add3_u32 v36, v36, v38, v37
	v_lshlrev_b64 v[35:36], 1, v[35:36]
	s_cbranch_vccnz .LBB1455_258
; %bb.250:
	s_delay_alu instid0(VALU_DEP_1) | instskip(NEXT) | instid1(VALU_DEP_2)
	v_add_co_u32 v37, vcc_lo, s8, v35
	v_add_co_ci_u32_e32 v38, vcc_lo, s9, v36, vcc_lo
	v_add_co_u32 v33, vcc_lo, s8, v33
	v_add_co_ci_u32_e32 v34, vcc_lo, s9, v34, vcc_lo
	s_mov_b32 s30, -1
	s_clause 0x1
	global_load_u16 v39, v[37:38], off
	global_load_u16 v40, v[33:34], off
	s_mov_b32 s31, exec_lo
	s_waitcnt vmcnt(0)
	v_cmpx_eq_u16_e64 v39, v40
	s_cbranch_execz .LBB1455_257
; %bb.251:
	v_add_co_u32 v33, vcc_lo, v33, 2
	v_add_co_ci_u32_e32 v34, vcc_lo, 0, v34, vcc_lo
	v_add_co_u32 v37, vcc_lo, v37, 2
	v_add_co_ci_u32_e32 v38, vcc_lo, 0, v38, vcc_lo
	s_add_u32 s4, s22, -1
	s_addc_u32 s5, s23, -1
	s_mov_b64 s[6:7], 0
	s_mov_b32 s30, 0
                                        ; implicit-def: $sgpr33
	s_set_inst_prefetch_distance 0x1
	s_branch .LBB1455_254
	.p2align	6
.LBB1455_252:                           ;   in Loop: Header=BB1455_254 Depth=1
	global_load_u16 v39, v[37:38], off
	global_load_u16 v40, v[33:34], off
	v_add_co_u32 v33, vcc_lo, v33, 2
	v_add_co_ci_u32_e32 v34, vcc_lo, 0, v34, vcc_lo
	v_add_co_u32 v37, s2, v37, 2
	s_delay_alu instid0(VALU_DEP_1)
	v_add_co_ci_u32_e64 v38, s2, 0, v38, s2
	s_add_u32 s6, s6, 1
	s_addc_u32 s7, s7, 0
	s_and_not1_b32 s2, s33, exec_lo
	s_waitcnt vmcnt(0)
	v_cmp_ne_u16_e32 vcc_lo, v39, v40
	s_and_b32 s33, vcc_lo, exec_lo
	s_delay_alu instid0(SALU_CYCLE_1)
	s_or_b32 s33, s2, s33
.LBB1455_253:                           ;   in Loop: Header=BB1455_254 Depth=1
	v_dual_mov_b32 v40, s7 :: v_dual_mov_b32 v39, s6
	s_and_b32 s2, exec_lo, s33
	s_delay_alu instid0(SALU_CYCLE_1) | instskip(NEXT) | instid1(SALU_CYCLE_1)
	s_or_b32 s30, s2, s30
	s_and_not1_b32 exec_lo, exec_lo, s30
	s_cbranch_execz .LBB1455_256
.LBB1455_254:                           ; =>This Inner Loop Header: Depth=1
	s_or_b32 s33, s33, exec_lo
	s_cmp_eq_u64 s[4:5], s[6:7]
	s_cbranch_scc0 .LBB1455_252
; %bb.255:                              ;   in Loop: Header=BB1455_254 Depth=1
	s_mov_b64 s[6:7], s[22:23]
                                        ; implicit-def: $vgpr33_vgpr34
                                        ; implicit-def: $vgpr37_vgpr38
	s_branch .LBB1455_253
.LBB1455_256:
	s_set_inst_prefetch_distance 0x2
	s_or_b32 exec_lo, exec_lo, s30
	v_cmp_gt_i64_e32 vcc_lo, s[22:23], v[39:40]
	s_or_not1_b32 s30, vcc_lo, exec_lo
.LBB1455_257:
	s_or_b32 exec_lo, exec_lo, s31
.LBB1455_258:
	v_mul_lo_u32 v37, v32, s22
	v_mul_lo_u32 v38, v31, s23
	v_mad_u64_u32 v[33:34], null, v31, s22, 0
	s_and_not1_b32 vcc_lo, exec_lo, s18
	s_delay_alu instid0(VALU_DEP_1) | instskip(NEXT) | instid1(VALU_DEP_1)
	v_add3_u32 v34, v34, v38, v37
	v_lshlrev_b64 v[33:34], 1, v[33:34]
	s_cbranch_vccnz .LBB1455_267
; %bb.259:
	s_delay_alu instid0(VALU_DEP_1) | instskip(NEXT) | instid1(VALU_DEP_2)
	v_add_co_u32 v37, vcc_lo, s8, v33
	v_add_co_ci_u32_e32 v38, vcc_lo, s9, v34, vcc_lo
	v_add_co_u32 v35, vcc_lo, s8, v35
	v_add_co_ci_u32_e32 v36, vcc_lo, s9, v36, vcc_lo
	s_mov_b32 s29, -1
	s_clause 0x1
	global_load_u16 v39, v[37:38], off
	global_load_u16 v40, v[35:36], off
	s_mov_b32 s31, exec_lo
	s_waitcnt vmcnt(0)
	v_cmpx_eq_u16_e64 v39, v40
	s_cbranch_execz .LBB1455_266
; %bb.260:
	v_add_co_u32 v35, vcc_lo, v35, 2
	v_add_co_ci_u32_e32 v36, vcc_lo, 0, v36, vcc_lo
	v_add_co_u32 v37, vcc_lo, v37, 2
	v_add_co_ci_u32_e32 v38, vcc_lo, 0, v38, vcc_lo
	s_add_u32 s4, s22, -1
	s_addc_u32 s5, s23, -1
	s_mov_b64 s[6:7], 0
	s_mov_b32 s29, 0
                                        ; implicit-def: $sgpr33
	s_set_inst_prefetch_distance 0x1
	s_branch .LBB1455_263
	.p2align	6
.LBB1455_261:                           ;   in Loop: Header=BB1455_263 Depth=1
	global_load_u16 v39, v[37:38], off
	global_load_u16 v40, v[35:36], off
	v_add_co_u32 v35, vcc_lo, v35, 2
	v_add_co_ci_u32_e32 v36, vcc_lo, 0, v36, vcc_lo
	v_add_co_u32 v37, s2, v37, 2
	s_delay_alu instid0(VALU_DEP_1)
	v_add_co_ci_u32_e64 v38, s2, 0, v38, s2
	s_add_u32 s6, s6, 1
	s_addc_u32 s7, s7, 0
	s_and_not1_b32 s2, s33, exec_lo
	s_waitcnt vmcnt(0)
	v_cmp_ne_u16_e32 vcc_lo, v39, v40
	s_and_b32 s33, vcc_lo, exec_lo
	s_delay_alu instid0(SALU_CYCLE_1)
	s_or_b32 s33, s2, s33
.LBB1455_262:                           ;   in Loop: Header=BB1455_263 Depth=1
	v_dual_mov_b32 v40, s7 :: v_dual_mov_b32 v39, s6
	s_and_b32 s2, exec_lo, s33
	s_delay_alu instid0(SALU_CYCLE_1) | instskip(NEXT) | instid1(SALU_CYCLE_1)
	s_or_b32 s29, s2, s29
	s_and_not1_b32 exec_lo, exec_lo, s29
	s_cbranch_execz .LBB1455_265
.LBB1455_263:                           ; =>This Inner Loop Header: Depth=1
	s_or_b32 s33, s33, exec_lo
	s_cmp_eq_u64 s[4:5], s[6:7]
	s_cbranch_scc0 .LBB1455_261
; %bb.264:                              ;   in Loop: Header=BB1455_263 Depth=1
	s_mov_b64 s[6:7], s[22:23]
                                        ; implicit-def: $vgpr35_vgpr36
                                        ; implicit-def: $vgpr37_vgpr38
	s_branch .LBB1455_262
.LBB1455_265:
	s_set_inst_prefetch_distance 0x2
	s_or_b32 exec_lo, exec_lo, s29
	v_cmp_gt_i64_e32 vcc_lo, s[22:23], v[39:40]
	s_or_not1_b32 s29, vcc_lo, exec_lo
.LBB1455_266:
	s_or_b32 exec_lo, exec_lo, s31
.LBB1455_267:
	v_mul_lo_u32 v37, v30, s22
	v_mul_lo_u32 v38, v29, s23
	v_mad_u64_u32 v[35:36], null, v29, s22, 0
	s_and_not1_b32 vcc_lo, exec_lo, s18
	s_mov_b32 s2, 0
	s_delay_alu instid0(VALU_DEP_1)
	v_add3_u32 v36, v36, v38, v37
	s_cbranch_vccnz .LBB1455_276
; %bb.268:
	s_delay_alu instid0(VALU_DEP_1) | instskip(SKIP_2) | instid1(VALU_DEP_1)
	v_lshlrev_b64 v[37:38], 1, v[35:36]
	s_mov_b32 s2, -1
	s_mov_b32 s31, exec_lo
	v_add_co_u32 v37, vcc_lo, s8, v37
	s_delay_alu instid0(VALU_DEP_2)
	v_add_co_ci_u32_e32 v38, vcc_lo, s9, v38, vcc_lo
	v_add_co_u32 v33, vcc_lo, s8, v33
	v_add_co_ci_u32_e32 v34, vcc_lo, s9, v34, vcc_lo
	s_clause 0x1
	global_load_u16 v39, v[37:38], off
	global_load_u16 v40, v[33:34], off
	s_waitcnt vmcnt(0)
	v_cmpx_eq_u16_e64 v39, v40
	s_cbranch_execz .LBB1455_275
; %bb.269:
	v_add_co_u32 v33, vcc_lo, v33, 2
	v_add_co_ci_u32_e32 v34, vcc_lo, 0, v34, vcc_lo
	v_add_co_u32 v37, vcc_lo, v37, 2
	v_add_co_ci_u32_e32 v38, vcc_lo, 0, v38, vcc_lo
	s_add_u32 s4, s22, -1
	s_addc_u32 s5, s23, -1
	s_mov_b64 s[6:7], 0
	s_mov_b32 s33, 0
                                        ; implicit-def: $sgpr34
	s_set_inst_prefetch_distance 0x1
	s_branch .LBB1455_272
	.p2align	6
.LBB1455_270:                           ;   in Loop: Header=BB1455_272 Depth=1
	global_load_u16 v39, v[37:38], off
	global_load_u16 v40, v[33:34], off
	v_add_co_u32 v33, vcc_lo, v33, 2
	v_add_co_ci_u32_e32 v34, vcc_lo, 0, v34, vcc_lo
	v_add_co_u32 v37, s2, v37, 2
	s_delay_alu instid0(VALU_DEP_1)
	v_add_co_ci_u32_e64 v38, s2, 0, v38, s2
	s_add_u32 s6, s6, 1
	s_addc_u32 s7, s7, 0
	s_and_not1_b32 s2, s34, exec_lo
	s_waitcnt vmcnt(0)
	v_cmp_ne_u16_e32 vcc_lo, v39, v40
	s_and_b32 s34, vcc_lo, exec_lo
	s_delay_alu instid0(SALU_CYCLE_1)
	s_or_b32 s34, s2, s34
.LBB1455_271:                           ;   in Loop: Header=BB1455_272 Depth=1
	v_dual_mov_b32 v40, s7 :: v_dual_mov_b32 v39, s6
	s_and_b32 s2, exec_lo, s34
	s_delay_alu instid0(SALU_CYCLE_1) | instskip(NEXT) | instid1(SALU_CYCLE_1)
	s_or_b32 s33, s2, s33
	s_and_not1_b32 exec_lo, exec_lo, s33
	s_cbranch_execz .LBB1455_274
.LBB1455_272:                           ; =>This Inner Loop Header: Depth=1
	s_or_b32 s34, s34, exec_lo
	s_cmp_eq_u64 s[4:5], s[6:7]
	s_cbranch_scc0 .LBB1455_270
; %bb.273:                              ;   in Loop: Header=BB1455_272 Depth=1
	s_mov_b64 s[6:7], s[22:23]
                                        ; implicit-def: $vgpr33_vgpr34
                                        ; implicit-def: $vgpr37_vgpr38
	s_branch .LBB1455_271
.LBB1455_274:
	s_set_inst_prefetch_distance 0x2
	s_or_b32 exec_lo, exec_lo, s33
	v_cmp_gt_i64_e32 vcc_lo, s[22:23], v[39:40]
	s_or_not1_b32 s2, vcc_lo, exec_lo
.LBB1455_275:
	s_or_b32 exec_lo, exec_lo, s31
.LBB1455_276:
	v_cndmask_b32_e64 v34, 0, 1, s30
	v_cndmask_b32_e64 v37, 0, 1, s27
	;; [unrolled: 1-line block ×7, first 2 shown]
	v_lshlrev_b16 v37, 8, v37
	v_lshlrev_b16 v38, 8, v38
	;; [unrolled: 1-line block ×4, first 2 shown]
	s_waitcnt lgkmcnt(0)
	v_or_b32_e32 v37, v40, v37
	v_or_b32_e32 v38, v41, v38
	;; [unrolled: 1-line block ×4, first 2 shown]
	s_barrier
	v_and_b32_e32 v34, 0xffff, v37
	v_lshlrev_b32_e32 v37, 16, v38
	v_and_b32_e32 v38, 0xffff, v39
	v_lshlrev_b32_e32 v33, 16, v33
	buffer_gl0_inv
                                        ; implicit-def: $sgpr2
	s_mov_b32 s4, exec_lo
	v_or_b32_e32 v34, v34, v37
	v_or_b32_e32 v33, v38, v33
	v_cmpx_ne_u32_e32 0, v0
	s_xor_b32 s19, exec_lo, s4
	s_cbranch_execz .LBB1455_287
; %bb.277:
	s_and_not1_b32 vcc_lo, exec_lo, s18
	s_mov_b32 s2, 0
	s_cbranch_vccnz .LBB1455_286
; %bb.278:
	v_add_nc_u32_e32 v37, -8, v55
	v_lshlrev_b64 v[35:36], 1, v[35:36]
	s_mov_b32 s2, -1
	s_mov_b32 s25, exec_lo
	ds_load_b64 v[37:38], v37
	s_waitcnt lgkmcnt(0)
	v_mul_lo_u32 v40, v38, s22
	v_mul_lo_u32 v41, v37, s23
	v_mad_u64_u32 v[38:39], null, v37, s22, 0
	s_delay_alu instid0(VALU_DEP_1) | instskip(NEXT) | instid1(VALU_DEP_1)
	v_add3_u32 v39, v39, v41, v40
	v_lshlrev_b64 v[37:38], 1, v[38:39]
	s_delay_alu instid0(VALU_DEP_1) | instskip(NEXT) | instid1(VALU_DEP_2)
	v_add_co_u32 v37, vcc_lo, s8, v37
	v_add_co_ci_u32_e32 v38, vcc_lo, s9, v38, vcc_lo
	v_add_co_u32 v35, vcc_lo, s8, v35
	v_add_co_ci_u32_e32 v36, vcc_lo, s9, v36, vcc_lo
	s_clause 0x1
	global_load_u16 v39, v[37:38], off
	global_load_u16 v40, v[35:36], off
	s_waitcnt vmcnt(0)
	v_cmpx_eq_u16_e64 v39, v40
	s_cbranch_execz .LBB1455_285
; %bb.279:
	v_add_co_u32 v35, vcc_lo, v35, 2
	v_add_co_ci_u32_e32 v36, vcc_lo, 0, v36, vcc_lo
	v_add_co_u32 v37, vcc_lo, v37, 2
	v_add_co_ci_u32_e32 v38, vcc_lo, 0, v38, vcc_lo
	s_add_u32 s4, s22, -1
	s_addc_u32 s5, s23, -1
	s_mov_b64 s[6:7], 0
	s_mov_b32 s26, 0
                                        ; implicit-def: $sgpr27
	s_set_inst_prefetch_distance 0x1
	s_branch .LBB1455_282
	.p2align	6
.LBB1455_280:                           ;   in Loop: Header=BB1455_282 Depth=1
	global_load_u16 v39, v[37:38], off
	global_load_u16 v40, v[35:36], off
	v_add_co_u32 v35, vcc_lo, v35, 2
	v_add_co_ci_u32_e32 v36, vcc_lo, 0, v36, vcc_lo
	v_add_co_u32 v37, s2, v37, 2
	s_delay_alu instid0(VALU_DEP_1)
	v_add_co_ci_u32_e64 v38, s2, 0, v38, s2
	s_add_u32 s6, s6, 1
	s_addc_u32 s7, s7, 0
	s_and_not1_b32 s2, s27, exec_lo
	s_waitcnt vmcnt(0)
	v_cmp_ne_u16_e32 vcc_lo, v39, v40
	s_and_b32 s27, vcc_lo, exec_lo
	s_delay_alu instid0(SALU_CYCLE_1)
	s_or_b32 s27, s2, s27
.LBB1455_281:                           ;   in Loop: Header=BB1455_282 Depth=1
	v_dual_mov_b32 v40, s7 :: v_dual_mov_b32 v39, s6
	s_and_b32 s2, exec_lo, s27
	s_delay_alu instid0(SALU_CYCLE_1) | instskip(NEXT) | instid1(SALU_CYCLE_1)
	s_or_b32 s26, s2, s26
	s_and_not1_b32 exec_lo, exec_lo, s26
	s_cbranch_execz .LBB1455_284
.LBB1455_282:                           ; =>This Inner Loop Header: Depth=1
	s_or_b32 s27, s27, exec_lo
	s_cmp_eq_u64 s[4:5], s[6:7]
	s_cbranch_scc0 .LBB1455_280
; %bb.283:                              ;   in Loop: Header=BB1455_282 Depth=1
	s_mov_b64 s[6:7], s[22:23]
                                        ; implicit-def: $vgpr35_vgpr36
                                        ; implicit-def: $vgpr37_vgpr38
	s_branch .LBB1455_281
.LBB1455_284:
	s_set_inst_prefetch_distance 0x2
	s_or_b32 exec_lo, exec_lo, s26
	v_cmp_gt_i64_e32 vcc_lo, s[22:23], v[39:40]
	s_or_not1_b32 s2, vcc_lo, exec_lo
.LBB1455_285:
	s_or_b32 exec_lo, exec_lo, s25
.LBB1455_286:
	s_delay_alu instid0(SALU_CYCLE_1)
	s_and_b32 s2, s2, exec_lo
	s_or_b32 s3, s3, exec_lo
.LBB1455_287:
	s_or_b32 exec_lo, exec_lo, s19
	s_branch .LBB1455_379
.LBB1455_288:
	v_or_b32_e32 v33, 7, v55
	s_mov_b32 s19, 0
	s_mov_b32 s25, 0
	s_mov_b32 s26, exec_lo
	s_delay_alu instid0(VALU_DEP_1)
	v_cmpx_gt_u32_e64 s28, v33
	s_cbranch_execz .LBB1455_299
; %bb.289:
	s_and_not1_b32 vcc_lo, exec_lo, s18
	s_mov_b32 s2, 0
	s_cbranch_vccnz .LBB1455_298
; %bb.290:
	v_mul_lo_u32 v37, v18, s22
	v_mul_lo_u32 v38, v17, s23
	v_mad_u64_u32 v[33:34], null, v17, s22, 0
	v_mul_lo_u32 v39, v20, s22
	v_mul_lo_u32 v40, v19, s23
	v_mad_u64_u32 v[35:36], null, v19, s22, 0
	s_mov_b32 s2, -1
	s_mov_b32 s25, exec_lo
	s_delay_alu instid0(VALU_DEP_4) | instskip(NEXT) | instid1(VALU_DEP_2)
	v_add3_u32 v34, v34, v38, v37
	v_add3_u32 v36, v36, v40, v39
	s_delay_alu instid0(VALU_DEP_2) | instskip(NEXT) | instid1(VALU_DEP_2)
	v_lshlrev_b64 v[33:34], 1, v[33:34]
	v_lshlrev_b64 v[37:38], 1, v[35:36]
	s_delay_alu instid0(VALU_DEP_2) | instskip(NEXT) | instid1(VALU_DEP_3)
	v_add_co_u32 v35, vcc_lo, s8, v33
	v_add_co_ci_u32_e32 v36, vcc_lo, s9, v34, vcc_lo
	s_delay_alu instid0(VALU_DEP_3) | instskip(NEXT) | instid1(VALU_DEP_4)
	v_add_co_u32 v33, vcc_lo, s8, v37
	v_add_co_ci_u32_e32 v34, vcc_lo, s9, v38, vcc_lo
	s_clause 0x1
	global_load_u16 v37, v[35:36], off
	global_load_u16 v38, v[33:34], off
	s_waitcnt vmcnt(0)
	v_cmpx_eq_u16_e64 v37, v38
	s_cbranch_execz .LBB1455_297
; %bb.291:
	v_add_co_u32 v33, vcc_lo, v33, 2
	v_add_co_ci_u32_e32 v34, vcc_lo, 0, v34, vcc_lo
	v_add_co_u32 v35, vcc_lo, v35, 2
	v_add_co_ci_u32_e32 v36, vcc_lo, 0, v36, vcc_lo
	s_add_u32 s4, s22, -1
	s_addc_u32 s5, s23, -1
	s_mov_b64 s[6:7], 0
	s_mov_b32 s27, 0
                                        ; implicit-def: $sgpr29
	s_set_inst_prefetch_distance 0x1
	s_branch .LBB1455_294
	.p2align	6
.LBB1455_292:                           ;   in Loop: Header=BB1455_294 Depth=1
	global_load_u16 v37, v[35:36], off
	global_load_u16 v38, v[33:34], off
	v_add_co_u32 v33, vcc_lo, v33, 2
	v_add_co_ci_u32_e32 v34, vcc_lo, 0, v34, vcc_lo
	v_add_co_u32 v35, s2, v35, 2
	s_delay_alu instid0(VALU_DEP_1)
	v_add_co_ci_u32_e64 v36, s2, 0, v36, s2
	s_add_u32 s6, s6, 1
	s_addc_u32 s7, s7, 0
	s_and_not1_b32 s2, s29, exec_lo
	s_waitcnt vmcnt(0)
	v_cmp_ne_u16_e32 vcc_lo, v37, v38
	s_and_b32 s29, vcc_lo, exec_lo
	s_delay_alu instid0(SALU_CYCLE_1)
	s_or_b32 s29, s2, s29
.LBB1455_293:                           ;   in Loop: Header=BB1455_294 Depth=1
	v_dual_mov_b32 v38, s7 :: v_dual_mov_b32 v37, s6
	s_and_b32 s2, exec_lo, s29
	s_delay_alu instid0(SALU_CYCLE_1) | instskip(NEXT) | instid1(SALU_CYCLE_1)
	s_or_b32 s27, s2, s27
	s_and_not1_b32 exec_lo, exec_lo, s27
	s_cbranch_execz .LBB1455_296
.LBB1455_294:                           ; =>This Inner Loop Header: Depth=1
	s_or_b32 s29, s29, exec_lo
	s_cmp_eq_u64 s[4:5], s[6:7]
	s_cbranch_scc0 .LBB1455_292
; %bb.295:                              ;   in Loop: Header=BB1455_294 Depth=1
	s_mov_b64 s[6:7], s[22:23]
                                        ; implicit-def: $vgpr33_vgpr34
                                        ; implicit-def: $vgpr35_vgpr36
	s_branch .LBB1455_293
.LBB1455_296:
	s_set_inst_prefetch_distance 0x2
	s_or_b32 exec_lo, exec_lo, s27
	v_cmp_gt_i64_e32 vcc_lo, s[22:23], v[37:38]
	s_or_not1_b32 s2, vcc_lo, exec_lo
.LBB1455_297:
	s_or_b32 exec_lo, exec_lo, s25
.LBB1455_298:
	s_delay_alu instid0(SALU_CYCLE_1)
	s_and_b32 s25, s2, exec_lo
.LBB1455_299:
	s_or_b32 exec_lo, exec_lo, s26
	v_or_b32_e32 v33, 6, v55
	s_mov_b32 s26, exec_lo
	s_delay_alu instid0(VALU_DEP_1)
	v_cmpx_gt_u32_e64 s28, v33
	s_cbranch_execz .LBB1455_310
; %bb.300:
	s_and_not1_b32 vcc_lo, exec_lo, s18
	s_mov_b32 s2, 0
	s_cbranch_vccnz .LBB1455_309
; %bb.301:
	v_mul_lo_u32 v37, v24, s22
	v_mul_lo_u32 v38, v23, s23
	v_mad_u64_u32 v[33:34], null, v23, s22, 0
	v_mul_lo_u32 v39, v18, s22
	v_mul_lo_u32 v40, v17, s23
	v_mad_u64_u32 v[35:36], null, v17, s22, 0
	s_mov_b32 s2, -1
	s_mov_b32 s19, exec_lo
	s_delay_alu instid0(VALU_DEP_4) | instskip(NEXT) | instid1(VALU_DEP_2)
	v_add3_u32 v34, v34, v38, v37
	v_add3_u32 v36, v36, v40, v39
	s_delay_alu instid0(VALU_DEP_2) | instskip(NEXT) | instid1(VALU_DEP_2)
	v_lshlrev_b64 v[33:34], 1, v[33:34]
	v_lshlrev_b64 v[37:38], 1, v[35:36]
	s_delay_alu instid0(VALU_DEP_2) | instskip(NEXT) | instid1(VALU_DEP_3)
	v_add_co_u32 v35, vcc_lo, s8, v33
	v_add_co_ci_u32_e32 v36, vcc_lo, s9, v34, vcc_lo
	s_delay_alu instid0(VALU_DEP_3) | instskip(NEXT) | instid1(VALU_DEP_4)
	v_add_co_u32 v33, vcc_lo, s8, v37
	v_add_co_ci_u32_e32 v34, vcc_lo, s9, v38, vcc_lo
	s_clause 0x1
	global_load_u16 v37, v[35:36], off
	global_load_u16 v38, v[33:34], off
	s_waitcnt vmcnt(0)
	v_cmpx_eq_u16_e64 v37, v38
	s_cbranch_execz .LBB1455_308
; %bb.302:
	v_add_co_u32 v33, vcc_lo, v33, 2
	v_add_co_ci_u32_e32 v34, vcc_lo, 0, v34, vcc_lo
	v_add_co_u32 v35, vcc_lo, v35, 2
	v_add_co_ci_u32_e32 v36, vcc_lo, 0, v36, vcc_lo
	s_add_u32 s4, s22, -1
	s_addc_u32 s5, s23, -1
	s_mov_b64 s[6:7], 0
	s_mov_b32 s27, 0
                                        ; implicit-def: $sgpr29
	s_set_inst_prefetch_distance 0x1
	s_branch .LBB1455_305
	.p2align	6
.LBB1455_303:                           ;   in Loop: Header=BB1455_305 Depth=1
	global_load_u16 v37, v[35:36], off
	global_load_u16 v38, v[33:34], off
	v_add_co_u32 v33, vcc_lo, v33, 2
	v_add_co_ci_u32_e32 v34, vcc_lo, 0, v34, vcc_lo
	v_add_co_u32 v35, s2, v35, 2
	s_delay_alu instid0(VALU_DEP_1)
	v_add_co_ci_u32_e64 v36, s2, 0, v36, s2
	s_add_u32 s6, s6, 1
	s_addc_u32 s7, s7, 0
	s_and_not1_b32 s2, s29, exec_lo
	s_waitcnt vmcnt(0)
	v_cmp_ne_u16_e32 vcc_lo, v37, v38
	s_and_b32 s29, vcc_lo, exec_lo
	s_delay_alu instid0(SALU_CYCLE_1)
	s_or_b32 s29, s2, s29
.LBB1455_304:                           ;   in Loop: Header=BB1455_305 Depth=1
	v_dual_mov_b32 v38, s7 :: v_dual_mov_b32 v37, s6
	s_and_b32 s2, exec_lo, s29
	s_delay_alu instid0(SALU_CYCLE_1) | instskip(NEXT) | instid1(SALU_CYCLE_1)
	s_or_b32 s27, s2, s27
	s_and_not1_b32 exec_lo, exec_lo, s27
	s_cbranch_execz .LBB1455_307
.LBB1455_305:                           ; =>This Inner Loop Header: Depth=1
	s_or_b32 s29, s29, exec_lo
	s_cmp_eq_u64 s[4:5], s[6:7]
	s_cbranch_scc0 .LBB1455_303
; %bb.306:                              ;   in Loop: Header=BB1455_305 Depth=1
	s_mov_b64 s[6:7], s[22:23]
                                        ; implicit-def: $vgpr33_vgpr34
                                        ; implicit-def: $vgpr35_vgpr36
	s_branch .LBB1455_304
.LBB1455_307:
	s_set_inst_prefetch_distance 0x2
	s_or_b32 exec_lo, exec_lo, s27
	v_cmp_gt_i64_e32 vcc_lo, s[22:23], v[37:38]
	s_or_not1_b32 s2, vcc_lo, exec_lo
.LBB1455_308:
	s_or_b32 exec_lo, exec_lo, s19
.LBB1455_309:
	s_delay_alu instid0(SALU_CYCLE_1)
	s_and_b32 s19, s2, exec_lo
.LBB1455_310:
	s_or_b32 exec_lo, exec_lo, s26
	v_or_b32_e32 v33, 5, v55
	s_mov_b32 s26, 0
	s_mov_b32 s27, 0
	s_mov_b32 s29, exec_lo
	s_delay_alu instid0(VALU_DEP_1)
	v_cmpx_gt_u32_e64 s28, v33
	s_cbranch_execz .LBB1455_321
; %bb.311:
	s_and_not1_b32 vcc_lo, exec_lo, s18
	s_mov_b32 s2, 0
	s_cbranch_vccnz .LBB1455_320
; %bb.312:
	v_mul_lo_u32 v37, v22, s22
	v_mul_lo_u32 v38, v21, s23
	v_mad_u64_u32 v[33:34], null, v21, s22, 0
	v_mul_lo_u32 v39, v24, s22
	v_mul_lo_u32 v40, v23, s23
	v_mad_u64_u32 v[35:36], null, v23, s22, 0
	s_mov_b32 s2, -1
	s_mov_b32 s27, exec_lo
	s_delay_alu instid0(VALU_DEP_4) | instskip(NEXT) | instid1(VALU_DEP_2)
	v_add3_u32 v34, v34, v38, v37
	v_add3_u32 v36, v36, v40, v39
	s_delay_alu instid0(VALU_DEP_2) | instskip(NEXT) | instid1(VALU_DEP_2)
	v_lshlrev_b64 v[33:34], 1, v[33:34]
	v_lshlrev_b64 v[37:38], 1, v[35:36]
	s_delay_alu instid0(VALU_DEP_2) | instskip(NEXT) | instid1(VALU_DEP_3)
	v_add_co_u32 v35, vcc_lo, s8, v33
	v_add_co_ci_u32_e32 v36, vcc_lo, s9, v34, vcc_lo
	s_delay_alu instid0(VALU_DEP_3) | instskip(NEXT) | instid1(VALU_DEP_4)
	v_add_co_u32 v33, vcc_lo, s8, v37
	v_add_co_ci_u32_e32 v34, vcc_lo, s9, v38, vcc_lo
	s_clause 0x1
	global_load_u16 v37, v[35:36], off
	global_load_u16 v38, v[33:34], off
	s_waitcnt vmcnt(0)
	v_cmpx_eq_u16_e64 v37, v38
	s_cbranch_execz .LBB1455_319
; %bb.313:
	v_add_co_u32 v33, vcc_lo, v33, 2
	v_add_co_ci_u32_e32 v34, vcc_lo, 0, v34, vcc_lo
	v_add_co_u32 v35, vcc_lo, v35, 2
	v_add_co_ci_u32_e32 v36, vcc_lo, 0, v36, vcc_lo
	s_add_u32 s4, s22, -1
	s_addc_u32 s5, s23, -1
	s_mov_b64 s[6:7], 0
	s_mov_b32 s30, 0
                                        ; implicit-def: $sgpr31
	s_set_inst_prefetch_distance 0x1
	s_branch .LBB1455_316
	.p2align	6
.LBB1455_314:                           ;   in Loop: Header=BB1455_316 Depth=1
	global_load_u16 v37, v[35:36], off
	global_load_u16 v38, v[33:34], off
	v_add_co_u32 v33, vcc_lo, v33, 2
	v_add_co_ci_u32_e32 v34, vcc_lo, 0, v34, vcc_lo
	v_add_co_u32 v35, s2, v35, 2
	s_delay_alu instid0(VALU_DEP_1)
	v_add_co_ci_u32_e64 v36, s2, 0, v36, s2
	s_add_u32 s6, s6, 1
	s_addc_u32 s7, s7, 0
	s_and_not1_b32 s2, s31, exec_lo
	s_waitcnt vmcnt(0)
	v_cmp_ne_u16_e32 vcc_lo, v37, v38
	s_and_b32 s31, vcc_lo, exec_lo
	s_delay_alu instid0(SALU_CYCLE_1)
	s_or_b32 s31, s2, s31
.LBB1455_315:                           ;   in Loop: Header=BB1455_316 Depth=1
	v_dual_mov_b32 v38, s7 :: v_dual_mov_b32 v37, s6
	s_and_b32 s2, exec_lo, s31
	s_delay_alu instid0(SALU_CYCLE_1) | instskip(NEXT) | instid1(SALU_CYCLE_1)
	s_or_b32 s30, s2, s30
	s_and_not1_b32 exec_lo, exec_lo, s30
	s_cbranch_execz .LBB1455_318
.LBB1455_316:                           ; =>This Inner Loop Header: Depth=1
	s_or_b32 s31, s31, exec_lo
	s_cmp_eq_u64 s[4:5], s[6:7]
	s_cbranch_scc0 .LBB1455_314
; %bb.317:                              ;   in Loop: Header=BB1455_316 Depth=1
	s_mov_b64 s[6:7], s[22:23]
                                        ; implicit-def: $vgpr33_vgpr34
                                        ; implicit-def: $vgpr35_vgpr36
	s_branch .LBB1455_315
.LBB1455_318:
	s_set_inst_prefetch_distance 0x2
	s_or_b32 exec_lo, exec_lo, s30
	v_cmp_gt_i64_e32 vcc_lo, s[22:23], v[37:38]
	s_or_not1_b32 s2, vcc_lo, exec_lo
.LBB1455_319:
	s_or_b32 exec_lo, exec_lo, s27
.LBB1455_320:
	s_delay_alu instid0(SALU_CYCLE_1)
	s_and_b32 s27, s2, exec_lo
.LBB1455_321:
	s_or_b32 exec_lo, exec_lo, s29
	v_or_b32_e32 v33, 4, v55
	s_mov_b32 s29, exec_lo
	s_delay_alu instid0(VALU_DEP_1)
	v_cmpx_gt_u32_e64 s28, v33
	s_cbranch_execz .LBB1455_332
; %bb.322:
	s_and_not1_b32 vcc_lo, exec_lo, s18
	s_mov_b32 s2, 0
	s_cbranch_vccnz .LBB1455_331
; %bb.323:
	v_mul_lo_u32 v37, v28, s22
	v_mul_lo_u32 v38, v27, s23
	v_mad_u64_u32 v[33:34], null, v27, s22, 0
	v_mul_lo_u32 v39, v22, s22
	v_mul_lo_u32 v40, v21, s23
	v_mad_u64_u32 v[35:36], null, v21, s22, 0
	s_mov_b32 s2, -1
	s_mov_b32 s26, exec_lo
	s_delay_alu instid0(VALU_DEP_4) | instskip(NEXT) | instid1(VALU_DEP_2)
	v_add3_u32 v34, v34, v38, v37
	v_add3_u32 v36, v36, v40, v39
	s_delay_alu instid0(VALU_DEP_2) | instskip(NEXT) | instid1(VALU_DEP_2)
	v_lshlrev_b64 v[33:34], 1, v[33:34]
	v_lshlrev_b64 v[37:38], 1, v[35:36]
	s_delay_alu instid0(VALU_DEP_2) | instskip(NEXT) | instid1(VALU_DEP_3)
	v_add_co_u32 v35, vcc_lo, s8, v33
	v_add_co_ci_u32_e32 v36, vcc_lo, s9, v34, vcc_lo
	s_delay_alu instid0(VALU_DEP_3) | instskip(NEXT) | instid1(VALU_DEP_4)
	v_add_co_u32 v33, vcc_lo, s8, v37
	v_add_co_ci_u32_e32 v34, vcc_lo, s9, v38, vcc_lo
	s_clause 0x1
	global_load_u16 v37, v[35:36], off
	global_load_u16 v38, v[33:34], off
	s_waitcnt vmcnt(0)
	v_cmpx_eq_u16_e64 v37, v38
	s_cbranch_execz .LBB1455_330
; %bb.324:
	v_add_co_u32 v33, vcc_lo, v33, 2
	v_add_co_ci_u32_e32 v34, vcc_lo, 0, v34, vcc_lo
	v_add_co_u32 v35, vcc_lo, v35, 2
	v_add_co_ci_u32_e32 v36, vcc_lo, 0, v36, vcc_lo
	s_add_u32 s4, s22, -1
	s_addc_u32 s5, s23, -1
	s_mov_b64 s[6:7], 0
	s_mov_b32 s30, 0
                                        ; implicit-def: $sgpr31
	s_set_inst_prefetch_distance 0x1
	s_branch .LBB1455_327
	.p2align	6
.LBB1455_325:                           ;   in Loop: Header=BB1455_327 Depth=1
	global_load_u16 v37, v[35:36], off
	global_load_u16 v38, v[33:34], off
	v_add_co_u32 v33, vcc_lo, v33, 2
	v_add_co_ci_u32_e32 v34, vcc_lo, 0, v34, vcc_lo
	v_add_co_u32 v35, s2, v35, 2
	s_delay_alu instid0(VALU_DEP_1)
	v_add_co_ci_u32_e64 v36, s2, 0, v36, s2
	s_add_u32 s6, s6, 1
	s_addc_u32 s7, s7, 0
	s_and_not1_b32 s2, s31, exec_lo
	s_waitcnt vmcnt(0)
	v_cmp_ne_u16_e32 vcc_lo, v37, v38
	s_and_b32 s31, vcc_lo, exec_lo
	s_delay_alu instid0(SALU_CYCLE_1)
	s_or_b32 s31, s2, s31
.LBB1455_326:                           ;   in Loop: Header=BB1455_327 Depth=1
	v_dual_mov_b32 v38, s7 :: v_dual_mov_b32 v37, s6
	s_and_b32 s2, exec_lo, s31
	s_delay_alu instid0(SALU_CYCLE_1) | instskip(NEXT) | instid1(SALU_CYCLE_1)
	s_or_b32 s30, s2, s30
	s_and_not1_b32 exec_lo, exec_lo, s30
	s_cbranch_execz .LBB1455_329
.LBB1455_327:                           ; =>This Inner Loop Header: Depth=1
	s_or_b32 s31, s31, exec_lo
	s_cmp_eq_u64 s[4:5], s[6:7]
	s_cbranch_scc0 .LBB1455_325
; %bb.328:                              ;   in Loop: Header=BB1455_327 Depth=1
	s_mov_b64 s[6:7], s[22:23]
                                        ; implicit-def: $vgpr33_vgpr34
                                        ; implicit-def: $vgpr35_vgpr36
	s_branch .LBB1455_326
.LBB1455_329:
	s_set_inst_prefetch_distance 0x2
	s_or_b32 exec_lo, exec_lo, s30
	v_cmp_gt_i64_e32 vcc_lo, s[22:23], v[37:38]
	s_or_not1_b32 s2, vcc_lo, exec_lo
.LBB1455_330:
	s_or_b32 exec_lo, exec_lo, s26
.LBB1455_331:
	s_delay_alu instid0(SALU_CYCLE_1)
	s_and_b32 s26, s2, exec_lo
.LBB1455_332:
	s_or_b32 exec_lo, exec_lo, s29
	v_or_b32_e32 v33, 3, v55
	s_mov_b32 s30, 0
	s_mov_b32 s29, 0
	s_mov_b32 s31, exec_lo
	s_delay_alu instid0(VALU_DEP_1)
	v_cmpx_gt_u32_e64 s28, v33
	s_cbranch_execz .LBB1455_343
; %bb.333:
	s_and_not1_b32 vcc_lo, exec_lo, s18
	s_mov_b32 s2, 0
	s_cbranch_vccnz .LBB1455_342
; %bb.334:
	v_mul_lo_u32 v37, v26, s22
	v_mul_lo_u32 v38, v25, s23
	v_mad_u64_u32 v[33:34], null, v25, s22, 0
	v_mul_lo_u32 v39, v28, s22
	v_mul_lo_u32 v40, v27, s23
	v_mad_u64_u32 v[35:36], null, v27, s22, 0
	s_mov_b32 s2, -1
	s_mov_b32 s29, exec_lo
	s_delay_alu instid0(VALU_DEP_4) | instskip(NEXT) | instid1(VALU_DEP_2)
	v_add3_u32 v34, v34, v38, v37
	v_add3_u32 v36, v36, v40, v39
	s_delay_alu instid0(VALU_DEP_2) | instskip(NEXT) | instid1(VALU_DEP_2)
	v_lshlrev_b64 v[33:34], 1, v[33:34]
	v_lshlrev_b64 v[37:38], 1, v[35:36]
	s_delay_alu instid0(VALU_DEP_2) | instskip(NEXT) | instid1(VALU_DEP_3)
	v_add_co_u32 v35, vcc_lo, s8, v33
	v_add_co_ci_u32_e32 v36, vcc_lo, s9, v34, vcc_lo
	s_delay_alu instid0(VALU_DEP_3) | instskip(NEXT) | instid1(VALU_DEP_4)
	v_add_co_u32 v33, vcc_lo, s8, v37
	v_add_co_ci_u32_e32 v34, vcc_lo, s9, v38, vcc_lo
	s_clause 0x1
	global_load_u16 v37, v[35:36], off
	global_load_u16 v38, v[33:34], off
	s_waitcnt vmcnt(0)
	v_cmpx_eq_u16_e64 v37, v38
	s_cbranch_execz .LBB1455_341
; %bb.335:
	v_add_co_u32 v33, vcc_lo, v33, 2
	v_add_co_ci_u32_e32 v34, vcc_lo, 0, v34, vcc_lo
	v_add_co_u32 v35, vcc_lo, v35, 2
	v_add_co_ci_u32_e32 v36, vcc_lo, 0, v36, vcc_lo
	s_add_u32 s4, s22, -1
	s_addc_u32 s5, s23, -1
	s_mov_b64 s[6:7], 0
	s_mov_b32 s33, 0
                                        ; implicit-def: $sgpr34
	s_set_inst_prefetch_distance 0x1
	s_branch .LBB1455_338
	.p2align	6
.LBB1455_336:                           ;   in Loop: Header=BB1455_338 Depth=1
	global_load_u16 v37, v[35:36], off
	global_load_u16 v38, v[33:34], off
	v_add_co_u32 v33, vcc_lo, v33, 2
	v_add_co_ci_u32_e32 v34, vcc_lo, 0, v34, vcc_lo
	v_add_co_u32 v35, s2, v35, 2
	s_delay_alu instid0(VALU_DEP_1)
	v_add_co_ci_u32_e64 v36, s2, 0, v36, s2
	s_add_u32 s6, s6, 1
	s_addc_u32 s7, s7, 0
	s_and_not1_b32 s2, s34, exec_lo
	s_waitcnt vmcnt(0)
	v_cmp_ne_u16_e32 vcc_lo, v37, v38
	s_and_b32 s34, vcc_lo, exec_lo
	s_delay_alu instid0(SALU_CYCLE_1)
	s_or_b32 s34, s2, s34
.LBB1455_337:                           ;   in Loop: Header=BB1455_338 Depth=1
	v_dual_mov_b32 v38, s7 :: v_dual_mov_b32 v37, s6
	s_and_b32 s2, exec_lo, s34
	s_delay_alu instid0(SALU_CYCLE_1) | instskip(NEXT) | instid1(SALU_CYCLE_1)
	s_or_b32 s33, s2, s33
	s_and_not1_b32 exec_lo, exec_lo, s33
	s_cbranch_execz .LBB1455_340
.LBB1455_338:                           ; =>This Inner Loop Header: Depth=1
	s_or_b32 s34, s34, exec_lo
	s_cmp_eq_u64 s[4:5], s[6:7]
	s_cbranch_scc0 .LBB1455_336
; %bb.339:                              ;   in Loop: Header=BB1455_338 Depth=1
	s_mov_b64 s[6:7], s[22:23]
                                        ; implicit-def: $vgpr33_vgpr34
                                        ; implicit-def: $vgpr35_vgpr36
	s_branch .LBB1455_337
.LBB1455_340:
	s_set_inst_prefetch_distance 0x2
	s_or_b32 exec_lo, exec_lo, s33
	v_cmp_gt_i64_e32 vcc_lo, s[22:23], v[37:38]
	s_or_not1_b32 s2, vcc_lo, exec_lo
.LBB1455_341:
	s_or_b32 exec_lo, exec_lo, s29
.LBB1455_342:
	s_delay_alu instid0(SALU_CYCLE_1)
	s_and_b32 s29, s2, exec_lo
.LBB1455_343:
	s_or_b32 exec_lo, exec_lo, s31
	v_or_b32_e32 v33, 2, v55
	s_mov_b32 s31, exec_lo
	s_delay_alu instid0(VALU_DEP_1)
	v_cmpx_gt_u32_e64 s28, v33
	s_cbranch_execz .LBB1455_354
; %bb.344:
	s_and_not1_b32 vcc_lo, exec_lo, s18
	s_mov_b32 s2, 0
	s_cbranch_vccnz .LBB1455_353
; %bb.345:
	v_mul_lo_u32 v37, v32, s22
	v_mul_lo_u32 v38, v31, s23
	v_mad_u64_u32 v[33:34], null, v31, s22, 0
	v_mul_lo_u32 v39, v26, s22
	v_mul_lo_u32 v40, v25, s23
	v_mad_u64_u32 v[35:36], null, v25, s22, 0
	s_mov_b32 s2, -1
	s_mov_b32 s30, exec_lo
	s_delay_alu instid0(VALU_DEP_4) | instskip(NEXT) | instid1(VALU_DEP_2)
	v_add3_u32 v34, v34, v38, v37
	v_add3_u32 v36, v36, v40, v39
	s_delay_alu instid0(VALU_DEP_2) | instskip(NEXT) | instid1(VALU_DEP_2)
	v_lshlrev_b64 v[33:34], 1, v[33:34]
	v_lshlrev_b64 v[37:38], 1, v[35:36]
	s_delay_alu instid0(VALU_DEP_2) | instskip(NEXT) | instid1(VALU_DEP_3)
	v_add_co_u32 v35, vcc_lo, s8, v33
	v_add_co_ci_u32_e32 v36, vcc_lo, s9, v34, vcc_lo
	s_delay_alu instid0(VALU_DEP_3) | instskip(NEXT) | instid1(VALU_DEP_4)
	v_add_co_u32 v33, vcc_lo, s8, v37
	v_add_co_ci_u32_e32 v34, vcc_lo, s9, v38, vcc_lo
	s_clause 0x1
	global_load_u16 v37, v[35:36], off
	global_load_u16 v38, v[33:34], off
	s_waitcnt vmcnt(0)
	v_cmpx_eq_u16_e64 v37, v38
	s_cbranch_execz .LBB1455_352
; %bb.346:
	v_add_co_u32 v33, vcc_lo, v33, 2
	v_add_co_ci_u32_e32 v34, vcc_lo, 0, v34, vcc_lo
	v_add_co_u32 v35, vcc_lo, v35, 2
	v_add_co_ci_u32_e32 v36, vcc_lo, 0, v36, vcc_lo
	s_add_u32 s4, s22, -1
	s_addc_u32 s5, s23, -1
	s_mov_b64 s[6:7], 0
	s_mov_b32 s33, 0
                                        ; implicit-def: $sgpr34
	s_set_inst_prefetch_distance 0x1
	s_branch .LBB1455_349
	.p2align	6
.LBB1455_347:                           ;   in Loop: Header=BB1455_349 Depth=1
	global_load_u16 v37, v[35:36], off
	global_load_u16 v38, v[33:34], off
	v_add_co_u32 v33, vcc_lo, v33, 2
	v_add_co_ci_u32_e32 v34, vcc_lo, 0, v34, vcc_lo
	v_add_co_u32 v35, s2, v35, 2
	s_delay_alu instid0(VALU_DEP_1)
	v_add_co_ci_u32_e64 v36, s2, 0, v36, s2
	s_add_u32 s6, s6, 1
	s_addc_u32 s7, s7, 0
	s_and_not1_b32 s2, s34, exec_lo
	s_waitcnt vmcnt(0)
	v_cmp_ne_u16_e32 vcc_lo, v37, v38
	s_and_b32 s34, vcc_lo, exec_lo
	s_delay_alu instid0(SALU_CYCLE_1)
	s_or_b32 s34, s2, s34
.LBB1455_348:                           ;   in Loop: Header=BB1455_349 Depth=1
	v_dual_mov_b32 v38, s7 :: v_dual_mov_b32 v37, s6
	s_and_b32 s2, exec_lo, s34
	s_delay_alu instid0(SALU_CYCLE_1) | instskip(NEXT) | instid1(SALU_CYCLE_1)
	s_or_b32 s33, s2, s33
	s_and_not1_b32 exec_lo, exec_lo, s33
	s_cbranch_execz .LBB1455_351
.LBB1455_349:                           ; =>This Inner Loop Header: Depth=1
	s_or_b32 s34, s34, exec_lo
	s_cmp_eq_u64 s[4:5], s[6:7]
	s_cbranch_scc0 .LBB1455_347
; %bb.350:                              ;   in Loop: Header=BB1455_349 Depth=1
	s_mov_b64 s[6:7], s[22:23]
                                        ; implicit-def: $vgpr33_vgpr34
                                        ; implicit-def: $vgpr35_vgpr36
	s_branch .LBB1455_348
.LBB1455_351:
	s_set_inst_prefetch_distance 0x2
	s_or_b32 exec_lo, exec_lo, s33
	v_cmp_gt_i64_e32 vcc_lo, s[22:23], v[37:38]
	s_or_not1_b32 s2, vcc_lo, exec_lo
.LBB1455_352:
	s_or_b32 exec_lo, exec_lo, s30
.LBB1455_353:
	s_delay_alu instid0(SALU_CYCLE_1)
	s_and_b32 s30, s2, exec_lo
.LBB1455_354:
	s_or_b32 exec_lo, exec_lo, s31
	v_or_b32_e32 v33, 1, v55
	s_mov_b32 s2, 0
	s_mov_b32 s31, exec_lo
	s_delay_alu instid0(VALU_DEP_1)
	v_cmpx_gt_u32_e64 s28, v33
	s_cbranch_execz .LBB1455_365
; %bb.355:
	s_and_not1_b32 vcc_lo, exec_lo, s18
	s_cbranch_vccnz .LBB1455_364
; %bb.356:
	v_mul_lo_u32 v37, v30, s22
	v_mul_lo_u32 v38, v29, s23
	v_mad_u64_u32 v[33:34], null, v29, s22, 0
	v_mul_lo_u32 v39, v32, s22
	v_mul_lo_u32 v40, v31, s23
	v_mad_u64_u32 v[35:36], null, v31, s22, 0
	s_mov_b32 s2, -1
	s_mov_b32 s33, exec_lo
	s_delay_alu instid0(VALU_DEP_4) | instskip(NEXT) | instid1(VALU_DEP_2)
	v_add3_u32 v34, v34, v38, v37
	v_add3_u32 v36, v36, v40, v39
	s_delay_alu instid0(VALU_DEP_2) | instskip(NEXT) | instid1(VALU_DEP_2)
	v_lshlrev_b64 v[33:34], 1, v[33:34]
	v_lshlrev_b64 v[37:38], 1, v[35:36]
	s_delay_alu instid0(VALU_DEP_2) | instskip(NEXT) | instid1(VALU_DEP_3)
	v_add_co_u32 v35, vcc_lo, s8, v33
	v_add_co_ci_u32_e32 v36, vcc_lo, s9, v34, vcc_lo
	s_delay_alu instid0(VALU_DEP_3) | instskip(NEXT) | instid1(VALU_DEP_4)
	v_add_co_u32 v33, vcc_lo, s8, v37
	v_add_co_ci_u32_e32 v34, vcc_lo, s9, v38, vcc_lo
	s_clause 0x1
	global_load_u16 v37, v[35:36], off
	global_load_u16 v38, v[33:34], off
	s_waitcnt vmcnt(0)
	v_cmpx_eq_u16_e64 v37, v38
	s_cbranch_execz .LBB1455_363
; %bb.357:
	v_add_co_u32 v33, vcc_lo, v33, 2
	v_add_co_ci_u32_e32 v34, vcc_lo, 0, v34, vcc_lo
	v_add_co_u32 v35, vcc_lo, v35, 2
	v_add_co_ci_u32_e32 v36, vcc_lo, 0, v36, vcc_lo
	s_add_u32 s4, s22, -1
	s_addc_u32 s5, s23, -1
	s_mov_b64 s[6:7], 0
	s_mov_b32 s34, 0
                                        ; implicit-def: $sgpr35
	s_set_inst_prefetch_distance 0x1
	s_branch .LBB1455_360
	.p2align	6
.LBB1455_358:                           ;   in Loop: Header=BB1455_360 Depth=1
	global_load_u16 v37, v[35:36], off
	global_load_u16 v38, v[33:34], off
	v_add_co_u32 v33, vcc_lo, v33, 2
	v_add_co_ci_u32_e32 v34, vcc_lo, 0, v34, vcc_lo
	v_add_co_u32 v35, s2, v35, 2
	s_delay_alu instid0(VALU_DEP_1)
	v_add_co_ci_u32_e64 v36, s2, 0, v36, s2
	s_add_u32 s6, s6, 1
	s_addc_u32 s7, s7, 0
	s_and_not1_b32 s2, s35, exec_lo
	s_waitcnt vmcnt(0)
	v_cmp_ne_u16_e32 vcc_lo, v37, v38
	s_and_b32 s35, vcc_lo, exec_lo
	s_delay_alu instid0(SALU_CYCLE_1)
	s_or_b32 s35, s2, s35
.LBB1455_359:                           ;   in Loop: Header=BB1455_360 Depth=1
	v_dual_mov_b32 v38, s7 :: v_dual_mov_b32 v37, s6
	s_and_b32 s2, exec_lo, s35
	s_delay_alu instid0(SALU_CYCLE_1) | instskip(NEXT) | instid1(SALU_CYCLE_1)
	s_or_b32 s34, s2, s34
	s_and_not1_b32 exec_lo, exec_lo, s34
	s_cbranch_execz .LBB1455_362
.LBB1455_360:                           ; =>This Inner Loop Header: Depth=1
	s_or_b32 s35, s35, exec_lo
	s_cmp_eq_u64 s[4:5], s[6:7]
	s_cbranch_scc0 .LBB1455_358
; %bb.361:                              ;   in Loop: Header=BB1455_360 Depth=1
	s_mov_b64 s[6:7], s[22:23]
                                        ; implicit-def: $vgpr33_vgpr34
                                        ; implicit-def: $vgpr35_vgpr36
	s_branch .LBB1455_359
.LBB1455_362:
	s_set_inst_prefetch_distance 0x2
	s_or_b32 exec_lo, exec_lo, s34
	v_cmp_gt_i64_e32 vcc_lo, s[22:23], v[37:38]
	s_or_not1_b32 s2, vcc_lo, exec_lo
.LBB1455_363:
	s_or_b32 exec_lo, exec_lo, s33
.LBB1455_364:
	s_delay_alu instid0(SALU_CYCLE_1)
	s_and_b32 s2, s2, exec_lo
.LBB1455_365:
	s_or_b32 exec_lo, exec_lo, s31
	v_cndmask_b32_e64 v34, 0, 1, s29
	v_cndmask_b32_e64 v35, 0, 1, s27
	v_cndmask_b32_e64 v36, 0, 1, s25
	v_cndmask_b32_e64 v37, 0, 1, s2
	v_cndmask_b32_e64 v33, 0, 1, s30
	v_cndmask_b32_e64 v38, 0, 1, s26
	v_cndmask_b32_e64 v39, 0, 1, s19
	v_lshlrev_b16 v35, 8, v35
	v_lshlrev_b16 v36, 8, v36
	;; [unrolled: 1-line block ×4, first 2 shown]
	s_mov_b32 s19, exec_lo
	v_or_b32_e32 v35, v38, v35
	v_or_b32_e32 v36, v39, v36
	;; [unrolled: 1-line block ×4, first 2 shown]
	s_waitcnt lgkmcnt(0)
	v_and_b32_e32 v34, 0xffff, v35
	v_lshlrev_b32_e32 v35, 16, v36
	v_and_b32_e32 v36, 0xffff, v37
	v_lshlrev_b32_e32 v33, 16, v33
	s_barrier
	buffer_gl0_inv
	v_or_b32_e32 v34, v34, v35
                                        ; implicit-def: $sgpr2
	v_or_b32_e32 v33, v36, v33
	v_cmpx_ne_u32_e32 0, v0
	s_cbranch_execz .LBB1455_378
; %bb.366:
	s_mov_b32 s2, 0
	s_mov_b32 s25, exec_lo
	v_cmpx_gt_u32_e64 s28, v55
	s_cbranch_execz .LBB1455_377
; %bb.367:
	s_and_not1_b32 vcc_lo, exec_lo, s18
	s_cbranch_vccnz .LBB1455_376
; %bb.368:
	v_add_nc_u32_e32 v35, -8, v55
	v_mul_lo_u32 v42, v29, s23
	v_mad_u64_u32 v[38:39], null, v29, s22, 0
	s_mov_b32 s2, -1
	ds_load_b64 v[35:36], v35
	s_waitcnt lgkmcnt(0)
	v_mul_lo_u32 v40, v36, s22
	v_mul_lo_u32 v41, v35, s23
	v_mad_u64_u32 v[36:37], null, v35, s22, 0
	v_mul_lo_u32 v35, v30, s22
	s_delay_alu instid0(VALU_DEP_2) | instskip(NEXT) | instid1(VALU_DEP_2)
	v_add3_u32 v37, v37, v41, v40
	v_add3_u32 v39, v39, v42, v35
	s_delay_alu instid0(VALU_DEP_2) | instskip(NEXT) | instid1(VALU_DEP_2)
	v_lshlrev_b64 v[35:36], 1, v[36:37]
	v_lshlrev_b64 v[39:40], 1, v[38:39]
	s_delay_alu instid0(VALU_DEP_2) | instskip(NEXT) | instid1(VALU_DEP_3)
	v_add_co_u32 v37, vcc_lo, s8, v35
	v_add_co_ci_u32_e32 v38, vcc_lo, s9, v36, vcc_lo
	s_delay_alu instid0(VALU_DEP_3) | instskip(NEXT) | instid1(VALU_DEP_4)
	v_add_co_u32 v35, vcc_lo, s8, v39
	v_add_co_ci_u32_e32 v36, vcc_lo, s9, v40, vcc_lo
	s_clause 0x1
	global_load_u16 v39, v[37:38], off
	global_load_u16 v40, v[35:36], off
	s_mov_b32 s8, exec_lo
	s_waitcnt vmcnt(0)
	v_cmpx_eq_u16_e64 v39, v40
	s_cbranch_execz .LBB1455_375
; %bb.369:
	v_add_co_u32 v35, vcc_lo, v35, 2
	v_add_co_ci_u32_e32 v36, vcc_lo, 0, v36, vcc_lo
	v_add_co_u32 v37, vcc_lo, v37, 2
	v_add_co_ci_u32_e32 v38, vcc_lo, 0, v38, vcc_lo
	s_add_u32 s4, s22, -1
	s_addc_u32 s5, s23, -1
	s_mov_b64 s[6:7], 0
	s_mov_b32 s9, 0
                                        ; implicit-def: $sgpr18
	s_set_inst_prefetch_distance 0x1
	s_branch .LBB1455_372
	.p2align	6
.LBB1455_370:                           ;   in Loop: Header=BB1455_372 Depth=1
	global_load_u16 v39, v[37:38], off
	global_load_u16 v40, v[35:36], off
	v_add_co_u32 v35, vcc_lo, v35, 2
	v_add_co_ci_u32_e32 v36, vcc_lo, 0, v36, vcc_lo
	v_add_co_u32 v37, s2, v37, 2
	s_delay_alu instid0(VALU_DEP_1)
	v_add_co_ci_u32_e64 v38, s2, 0, v38, s2
	s_add_u32 s6, s6, 1
	s_addc_u32 s7, s7, 0
	s_and_not1_b32 s2, s18, exec_lo
	s_waitcnt vmcnt(0)
	v_cmp_ne_u16_e32 vcc_lo, v39, v40
	s_and_b32 s18, vcc_lo, exec_lo
	s_delay_alu instid0(SALU_CYCLE_1)
	s_or_b32 s18, s2, s18
.LBB1455_371:                           ;   in Loop: Header=BB1455_372 Depth=1
	v_dual_mov_b32 v40, s7 :: v_dual_mov_b32 v39, s6
	s_and_b32 s2, exec_lo, s18
	s_delay_alu instid0(SALU_CYCLE_1) | instskip(NEXT) | instid1(SALU_CYCLE_1)
	s_or_b32 s9, s2, s9
	s_and_not1_b32 exec_lo, exec_lo, s9
	s_cbranch_execz .LBB1455_374
.LBB1455_372:                           ; =>This Inner Loop Header: Depth=1
	s_or_b32 s18, s18, exec_lo
	s_cmp_eq_u64 s[4:5], s[6:7]
	s_cbranch_scc0 .LBB1455_370
; %bb.373:                              ;   in Loop: Header=BB1455_372 Depth=1
	s_mov_b64 s[6:7], s[22:23]
                                        ; implicit-def: $vgpr35_vgpr36
                                        ; implicit-def: $vgpr37_vgpr38
	s_branch .LBB1455_371
.LBB1455_374:
	s_set_inst_prefetch_distance 0x2
	s_or_b32 exec_lo, exec_lo, s9
	v_cmp_gt_i64_e32 vcc_lo, s[22:23], v[39:40]
	s_or_not1_b32 s2, vcc_lo, exec_lo
.LBB1455_375:
	s_or_b32 exec_lo, exec_lo, s8
.LBB1455_376:
	s_delay_alu instid0(SALU_CYCLE_1)
	s_and_b32 s2, s2, exec_lo
.LBB1455_377:
	s_or_b32 exec_lo, exec_lo, s25
	s_delay_alu instid0(SALU_CYCLE_1)
	s_and_b32 s2, s2, exec_lo
	s_or_b32 s3, s3, exec_lo
.LBB1455_378:
	s_or_b32 exec_lo, exec_lo, s19
.LBB1455_379:
	s_and_saveexec_b32 s4, s3
; %bb.380:
	v_and_b32_e32 v35, 0xffffff00, v33
	v_cndmask_b32_e64 v36, 0, 1, s2
	s_delay_alu instid0(VALU_DEP_1) | instskip(NEXT) | instid1(VALU_DEP_1)
	v_or_b32_e32 v35, v36, v35
	v_and_b32_e32 v35, 0xffff, v35
	s_delay_alu instid0(VALU_DEP_1)
	v_and_or_b32 v33, 0xffff0000, v33, v35
; %bb.381:
	s_or_b32 exec_lo, exec_lo, s4
	s_delay_alu instid0(SALU_CYCLE_1)
	s_and_not1_b32 vcc_lo, exec_lo, s21
	s_cbranch_vccnz .LBB1455_383
; %bb.382:
	v_cmp_gt_u32_e32 vcc_lo, s28, v55
	v_or_b32_e32 v36, 1, v55
	v_and_b32_e32 v37, 0xffffff00, v34
	v_or_b32_e32 v38, 2, v55
	v_cndmask_b32_e32 v35, 0, v33, vcc_lo
	s_delay_alu instid0(VALU_DEP_4) | instskip(SKIP_1) | instid1(VALU_DEP_4)
	v_cmp_gt_u32_e32 vcc_lo, s28, v36
	v_or_b32_e32 v36, 4, v55
	v_cmp_gt_u32_e64 s2, s28, v38
	v_or_b32_e32 v38, 3, v55
	v_and_b32_e32 v35, 0xff, v35
	s_delay_alu instid0(VALU_DEP_2) | instskip(NEXT) | instid1(VALU_DEP_2)
	v_cmp_gt_u32_e64 s3, s28, v38
	v_cndmask_b32_e32 v35, v35, v33, vcc_lo
	v_cmp_gt_u32_e32 vcc_lo, s28, v36
	v_cndmask_b32_e32 v36, v37, v34, vcc_lo
	v_or_b32_e32 v37, 5, v55
	s_delay_alu instid0(VALU_DEP_2) | instskip(SKIP_1) | instid1(VALU_DEP_1)
	v_and_b32_e32 v36, 0xffff00ff, v36
	v_and_b32_e32 v35, 0xffff, v35
	v_cndmask_b32_e64 v35, v35, v33, s2
	s_delay_alu instid0(VALU_DEP_4) | instskip(SKIP_1) | instid1(VALU_DEP_3)
	v_cmp_gt_u32_e64 s2, s28, v37
	v_or_b32_e32 v37, 6, v55
	v_and_b32_e32 v35, 0xffffff, v35
	s_delay_alu instid0(VALU_DEP_3) | instskip(NEXT) | instid1(VALU_DEP_2)
	v_cndmask_b32_e64 v36, v36, v34, s2
	v_cndmask_b32_e64 v35, v35, v33, s3
	s_delay_alu instid0(VALU_DEP_1) | instskip(SKIP_2) | instid1(VALU_DEP_3)
	v_dual_cndmask_b32 v35, v35, v33 :: v_dual_and_b32 v36, 0xff00ffff, v36
	v_cmp_gt_u32_e32 vcc_lo, s28, v37
	v_or_b32_e32 v37, 7, v55
	v_cndmask_b32_e64 v35, v35, v33, s2
	s_delay_alu instid0(VALU_DEP_1) | instskip(NEXT) | instid1(VALU_DEP_1)
	v_dual_cndmask_b32 v36, v36, v34 :: v_dual_cndmask_b32 v35, v35, v33
	v_and_b32_e32 v36, 0xffffff, v36
	s_delay_alu instid0(VALU_DEP_4) | instskip(NEXT) | instid1(VALU_DEP_2)
	v_cmp_gt_u32_e32 vcc_lo, s28, v37
	v_dual_cndmask_b32 v34, v36, v34 :: v_dual_cndmask_b32 v33, v35, v33
.LBB1455_383:
	s_delay_alu instid0(VALU_DEP_1) | instskip(NEXT) | instid1(VALU_DEP_2)
	v_and_b32_e32 v42, 0xff, v33
	v_alignbit_b32 v35, v34, v33, 24
	v_bfe_u32 v44, v33, 8, 8
	v_bfe_u32 v46, v33, 16, 8
	v_and_b32_e32 v50, 0xff, v34
	v_bfe_u32 v52, v34, 8, 8
	v_and_b32_e32 v48, 0xff, v35
	v_add_nc_u32_e32 v35, v44, v42
	v_mbcnt_lo_u32_b32 v57, -1, 0
	v_bfe_u32 v54, v34, 16, 8
	v_lshrrev_b32_e32 v56, 24, v34
	v_lshrrev_b32_e32 v58, 5, v0
	v_add3_u32 v35, v35, v46, v48
	v_and_b32_e32 v36, 15, v57
	v_and_b32_e32 v37, 16, v57
	s_and_b32 vcc_lo, exec_lo, s24
	s_mov_b32 s9, -1
	v_add3_u32 v35, v35, v50, v52
	v_cmp_eq_u32_e64 s4, 0, v36
	v_cmp_lt_u32_e64 s2, 1, v36
	v_cmp_lt_u32_e64 s5, 3, v36
	;; [unrolled: 1-line block ×3, first 2 shown]
	v_add3_u32 v59, v35, v54, v56
	v_or_b32_e32 v35, 31, v0
	v_cmp_eq_u32_e64 s7, 0, v37
	s_waitcnt lgkmcnt(0)
	s_barrier
	buffer_gl0_inv
	v_cmp_eq_u32_e64 s6, v35, v0
	s_cbranch_vccz .LBB1455_409
; %bb.384:
	v_mov_b32_dpp v35, v59 row_shr:1 row_mask:0xf bank_mask:0xf
	s_delay_alu instid0(VALU_DEP_1) | instskip(NEXT) | instid1(VALU_DEP_1)
	v_cndmask_b32_e64 v35, v35, 0, s4
	v_add_nc_u32_e32 v35, v35, v59
	s_delay_alu instid0(VALU_DEP_1) | instskip(NEXT) | instid1(VALU_DEP_1)
	v_mov_b32_dpp v36, v35 row_shr:2 row_mask:0xf bank_mask:0xf
	v_cndmask_b32_e64 v36, 0, v36, s2
	s_delay_alu instid0(VALU_DEP_1) | instskip(NEXT) | instid1(VALU_DEP_1)
	v_add_nc_u32_e32 v35, v35, v36
	v_mov_b32_dpp v36, v35 row_shr:4 row_mask:0xf bank_mask:0xf
	s_delay_alu instid0(VALU_DEP_1) | instskip(NEXT) | instid1(VALU_DEP_1)
	v_cndmask_b32_e64 v36, 0, v36, s5
	v_add_nc_u32_e32 v35, v35, v36
	s_delay_alu instid0(VALU_DEP_1) | instskip(NEXT) | instid1(VALU_DEP_1)
	v_mov_b32_dpp v36, v35 row_shr:8 row_mask:0xf bank_mask:0xf
	v_cndmask_b32_e64 v36, 0, v36, s3
	s_delay_alu instid0(VALU_DEP_1) | instskip(SKIP_3) | instid1(VALU_DEP_1)
	v_add_nc_u32_e32 v35, v35, v36
	ds_swizzle_b32 v36, v35 offset:swizzle(BROADCAST,32,15)
	s_waitcnt lgkmcnt(0)
	v_cndmask_b32_e64 v36, v36, 0, s7
	v_add_nc_u32_e32 v35, v35, v36
	s_and_saveexec_b32 s8, s6
	s_cbranch_execz .LBB1455_386
; %bb.385:
	v_lshlrev_b32_e32 v36, 2, v58
	ds_store_b32 v36, v35
.LBB1455_386:
	s_or_b32 exec_lo, exec_lo, s8
	s_delay_alu instid0(SALU_CYCLE_1)
	s_mov_b32 s8, exec_lo
	s_waitcnt lgkmcnt(0)
	s_barrier
	buffer_gl0_inv
	v_cmpx_gt_u32_e32 16, v0
	s_cbranch_execz .LBB1455_388
; %bb.387:
	v_lshlrev_b32_e32 v36, 2, v0
	ds_load_b32 v37, v36
	s_waitcnt lgkmcnt(0)
	v_mov_b32_dpp v38, v37 row_shr:1 row_mask:0xf bank_mask:0xf
	s_delay_alu instid0(VALU_DEP_1) | instskip(NEXT) | instid1(VALU_DEP_1)
	v_cndmask_b32_e64 v38, v38, 0, s4
	v_add_nc_u32_e32 v37, v38, v37
	s_delay_alu instid0(VALU_DEP_1) | instskip(NEXT) | instid1(VALU_DEP_1)
	v_mov_b32_dpp v38, v37 row_shr:2 row_mask:0xf bank_mask:0xf
	v_cndmask_b32_e64 v38, 0, v38, s2
	s_delay_alu instid0(VALU_DEP_1) | instskip(NEXT) | instid1(VALU_DEP_1)
	v_add_nc_u32_e32 v37, v37, v38
	v_mov_b32_dpp v38, v37 row_shr:4 row_mask:0xf bank_mask:0xf
	s_delay_alu instid0(VALU_DEP_1) | instskip(NEXT) | instid1(VALU_DEP_1)
	v_cndmask_b32_e64 v38, 0, v38, s5
	v_add_nc_u32_e32 v37, v37, v38
	s_delay_alu instid0(VALU_DEP_1) | instskip(NEXT) | instid1(VALU_DEP_1)
	v_mov_b32_dpp v38, v37 row_shr:8 row_mask:0xf bank_mask:0xf
	v_cndmask_b32_e64 v38, 0, v38, s3
	s_delay_alu instid0(VALU_DEP_1)
	v_add_nc_u32_e32 v37, v37, v38
	ds_store_b32 v36, v37
.LBB1455_388:
	s_or_b32 exec_lo, exec_lo, s8
	v_cmp_gt_u32_e32 vcc_lo, 32, v0
	s_mov_b32 s9, exec_lo
	s_waitcnt lgkmcnt(0)
	s_barrier
	buffer_gl0_inv
                                        ; implicit-def: $vgpr43
	v_cmpx_lt_u32_e32 31, v0
	s_cbranch_execz .LBB1455_390
; %bb.389:
	v_lshl_add_u32 v36, v58, 2, -4
	ds_load_b32 v43, v36
	s_waitcnt lgkmcnt(0)
	v_add_nc_u32_e32 v35, v43, v35
.LBB1455_390:
	s_or_b32 exec_lo, exec_lo, s9
	v_add_nc_u32_e32 v36, -1, v57
	s_delay_alu instid0(VALU_DEP_1) | instskip(NEXT) | instid1(VALU_DEP_1)
	v_cmp_gt_i32_e64 s8, 0, v36
	v_cndmask_b32_e64 v36, v36, v57, s8
	v_cmp_eq_u32_e64 s8, 0, v57
	s_delay_alu instid0(VALU_DEP_2)
	v_lshlrev_b32_e32 v36, 2, v36
	ds_bpermute_b32 v45, v36, v35
	s_and_saveexec_b32 s9, vcc_lo
	s_cbranch_execz .LBB1455_408
; %bb.391:
	v_mov_b32_e32 v38, 0
	ds_load_b32 v35, v38 offset:60
	s_and_saveexec_b32 s18, s8
	s_cbranch_execz .LBB1455_393
; %bb.392:
	s_add_i32 s22, s15, 32
	s_mov_b32 s23, 0
	v_mov_b32_e32 v36, 1
	s_lshl_b64 s[22:23], s[22:23], 3
	s_delay_alu instid0(SALU_CYCLE_1)
	s_add_u32 s22, s10, s22
	s_addc_u32 s23, s11, s23
	s_waitcnt lgkmcnt(0)
	global_store_b64 v38, v[35:36], s[22:23]
.LBB1455_393:
	s_or_b32 exec_lo, exec_lo, s18
	v_xad_u32 v36, v57, -1, s15
	s_mov_b32 s19, 0
	s_mov_b32 s18, exec_lo
	s_delay_alu instid0(VALU_DEP_1) | instskip(NEXT) | instid1(VALU_DEP_1)
	v_add_nc_u32_e32 v37, 32, v36
	v_lshlrev_b64 v[37:38], 3, v[37:38]
	s_delay_alu instid0(VALU_DEP_1) | instskip(NEXT) | instid1(VALU_DEP_2)
	v_add_co_u32 v40, vcc_lo, s10, v37
	v_add_co_ci_u32_e32 v41, vcc_lo, s11, v38, vcc_lo
	global_load_b64 v[38:39], v[40:41], off glc
	s_waitcnt vmcnt(0)
	v_and_b32_e32 v37, 0xff, v39
	s_delay_alu instid0(VALU_DEP_1)
	v_cmpx_eq_u16_e32 0, v37
	s_cbranch_execz .LBB1455_396
.LBB1455_394:                           ; =>This Inner Loop Header: Depth=1
	global_load_b64 v[38:39], v[40:41], off glc
	s_waitcnt vmcnt(0)
	v_and_b32_e32 v37, 0xff, v39
	s_delay_alu instid0(VALU_DEP_1) | instskip(SKIP_1) | instid1(SALU_CYCLE_1)
	v_cmp_ne_u16_e32 vcc_lo, 0, v37
	s_or_b32 s19, vcc_lo, s19
	s_and_not1_b32 exec_lo, exec_lo, s19
	s_cbranch_execnz .LBB1455_394
; %bb.395:
	s_or_b32 exec_lo, exec_lo, s19
.LBB1455_396:
	s_delay_alu instid0(SALU_CYCLE_1)
	s_or_b32 exec_lo, exec_lo, s18
	v_cmp_ne_u32_e32 vcc_lo, 31, v57
	v_lshlrev_b32_e64 v49, v57, -1
	v_add_nc_u32_e32 v53, 2, v57
	v_add_nc_u32_e32 v62, 4, v57
	v_add_nc_u32_e32 v64, 8, v57
	v_add_co_ci_u32_e32 v37, vcc_lo, 0, v57, vcc_lo
	v_add_nc_u32_e32 v66, 16, v57
	s_delay_alu instid0(VALU_DEP_2)
	v_lshlrev_b32_e32 v47, 2, v37
	v_and_b32_e32 v37, 0xff, v39
	ds_bpermute_b32 v40, v47, v38
	v_cmp_eq_u16_e32 vcc_lo, 2, v37
	v_and_or_b32 v37, vcc_lo, v49, 0x80000000
	v_cmp_gt_u32_e32 vcc_lo, 30, v57
	s_delay_alu instid0(VALU_DEP_2) | instskip(SKIP_1) | instid1(VALU_DEP_2)
	v_ctz_i32_b32_e32 v37, v37
	v_cndmask_b32_e64 v41, 0, 1, vcc_lo
	v_cmp_lt_u32_e32 vcc_lo, v57, v37
	s_waitcnt lgkmcnt(0)
	s_delay_alu instid0(VALU_DEP_2) | instskip(NEXT) | instid1(VALU_DEP_1)
	v_dual_cndmask_b32 v40, 0, v40 :: v_dual_lshlrev_b32 v41, 1, v41
	v_add_lshl_u32 v51, v41, v57, 2
	v_cmp_gt_u32_e32 vcc_lo, 28, v57
	s_delay_alu instid0(VALU_DEP_3) | instskip(SKIP_4) | instid1(VALU_DEP_1)
	v_add_nc_u32_e32 v38, v40, v38
	v_cndmask_b32_e64 v41, 0, 1, vcc_lo
	v_cmp_le_u32_e32 vcc_lo, v53, v37
	ds_bpermute_b32 v40, v51, v38
	v_lshlrev_b32_e32 v41, 2, v41
	v_add_lshl_u32 v60, v41, v57, 2
	s_waitcnt lgkmcnt(0)
	v_cndmask_b32_e32 v40, 0, v40, vcc_lo
	v_cmp_gt_u32_e32 vcc_lo, 24, v57
	s_delay_alu instid0(VALU_DEP_2) | instskip(SKIP_4) | instid1(VALU_DEP_1)
	v_add_nc_u32_e32 v38, v38, v40
	v_cndmask_b32_e64 v41, 0, 1, vcc_lo
	v_cmp_le_u32_e32 vcc_lo, v62, v37
	ds_bpermute_b32 v40, v60, v38
	v_lshlrev_b32_e32 v41, 3, v41
	v_add_lshl_u32 v63, v41, v57, 2
	s_waitcnt lgkmcnt(0)
	v_cndmask_b32_e32 v40, 0, v40, vcc_lo
	v_cmp_gt_u32_e32 vcc_lo, 16, v57
	s_delay_alu instid0(VALU_DEP_2) | instskip(SKIP_4) | instid1(VALU_DEP_1)
	v_add_nc_u32_e32 v38, v38, v40
	v_cndmask_b32_e64 v41, 0, 1, vcc_lo
	v_cmp_le_u32_e32 vcc_lo, v64, v37
	ds_bpermute_b32 v40, v63, v38
	v_lshlrev_b32_e32 v41, 4, v41
	v_add_lshl_u32 v65, v41, v57, 2
	s_waitcnt lgkmcnt(0)
	v_cndmask_b32_e32 v40, 0, v40, vcc_lo
	v_cmp_le_u32_e32 vcc_lo, v66, v37
	s_delay_alu instid0(VALU_DEP_2) | instskip(SKIP_3) | instid1(VALU_DEP_1)
	v_add_nc_u32_e32 v38, v38, v40
	ds_bpermute_b32 v40, v65, v38
	s_waitcnt lgkmcnt(0)
	v_cndmask_b32_e32 v37, 0, v40, vcc_lo
	v_dual_mov_b32 v37, 0 :: v_dual_add_nc_u32 v38, v38, v37
	s_branch .LBB1455_398
.LBB1455_397:                           ;   in Loop: Header=BB1455_398 Depth=1
	s_or_b32 exec_lo, exec_lo, s18
	ds_bpermute_b32 v41, v47, v38
	v_and_b32_e32 v40, 0xff, v39
	v_subrev_nc_u32_e32 v36, 32, v36
	s_delay_alu instid0(VALU_DEP_2) | instskip(SKIP_1) | instid1(VALU_DEP_1)
	v_cmp_eq_u16_e32 vcc_lo, 2, v40
	v_and_or_b32 v40, vcc_lo, v49, 0x80000000
	v_ctz_i32_b32_e32 v40, v40
	s_delay_alu instid0(VALU_DEP_1) | instskip(SKIP_3) | instid1(VALU_DEP_2)
	v_cmp_lt_u32_e32 vcc_lo, v57, v40
	s_waitcnt lgkmcnt(0)
	v_cndmask_b32_e32 v41, 0, v41, vcc_lo
	v_cmp_le_u32_e32 vcc_lo, v53, v40
	v_add_nc_u32_e32 v38, v41, v38
	ds_bpermute_b32 v41, v51, v38
	s_waitcnt lgkmcnt(0)
	v_cndmask_b32_e32 v41, 0, v41, vcc_lo
	v_cmp_le_u32_e32 vcc_lo, v62, v40
	s_delay_alu instid0(VALU_DEP_2) | instskip(SKIP_4) | instid1(VALU_DEP_2)
	v_add_nc_u32_e32 v38, v38, v41
	ds_bpermute_b32 v41, v60, v38
	s_waitcnt lgkmcnt(0)
	v_cndmask_b32_e32 v41, 0, v41, vcc_lo
	v_cmp_le_u32_e32 vcc_lo, v64, v40
	v_add_nc_u32_e32 v38, v38, v41
	ds_bpermute_b32 v41, v63, v38
	s_waitcnt lgkmcnt(0)
	v_cndmask_b32_e32 v41, 0, v41, vcc_lo
	v_cmp_le_u32_e32 vcc_lo, v66, v40
	s_delay_alu instid0(VALU_DEP_2) | instskip(SKIP_3) | instid1(VALU_DEP_1)
	v_add_nc_u32_e32 v38, v38, v41
	ds_bpermute_b32 v41, v65, v38
	s_waitcnt lgkmcnt(0)
	v_cndmask_b32_e32 v40, 0, v41, vcc_lo
	v_add3_u32 v38, v40, v61, v38
.LBB1455_398:                           ; =>This Loop Header: Depth=1
                                        ;     Child Loop BB1455_401 Depth 2
	v_and_b32_e32 v39, 0xff, v39
	s_delay_alu instid0(VALU_DEP_2) | instskip(NEXT) | instid1(VALU_DEP_2)
	v_mov_b32_e32 v61, v38
	v_cmp_ne_u16_e32 vcc_lo, 2, v39
	v_cndmask_b32_e64 v39, 0, 1, vcc_lo
	;;#ASMSTART
	;;#ASMEND
	s_delay_alu instid0(VALU_DEP_1)
	v_cmp_ne_u32_e32 vcc_lo, 0, v39
	s_cmp_lg_u32 vcc_lo, exec_lo
	s_cbranch_scc1 .LBB1455_403
; %bb.399:                              ;   in Loop: Header=BB1455_398 Depth=1
	v_lshlrev_b64 v[38:39], 3, v[36:37]
	s_mov_b32 s18, exec_lo
	s_delay_alu instid0(VALU_DEP_1) | instskip(NEXT) | instid1(VALU_DEP_2)
	v_add_co_u32 v40, vcc_lo, s10, v38
	v_add_co_ci_u32_e32 v41, vcc_lo, s11, v39, vcc_lo
	global_load_b64 v[38:39], v[40:41], off glc
	s_waitcnt vmcnt(0)
	v_and_b32_e32 v67, 0xff, v39
	s_delay_alu instid0(VALU_DEP_1)
	v_cmpx_eq_u16_e32 0, v67
	s_cbranch_execz .LBB1455_397
; %bb.400:                              ;   in Loop: Header=BB1455_398 Depth=1
	s_mov_b32 s19, 0
.LBB1455_401:                           ;   Parent Loop BB1455_398 Depth=1
                                        ; =>  This Inner Loop Header: Depth=2
	global_load_b64 v[38:39], v[40:41], off glc
	s_waitcnt vmcnt(0)
	v_and_b32_e32 v67, 0xff, v39
	s_delay_alu instid0(VALU_DEP_1) | instskip(SKIP_1) | instid1(SALU_CYCLE_1)
	v_cmp_ne_u16_e32 vcc_lo, 0, v67
	s_or_b32 s19, vcc_lo, s19
	s_and_not1_b32 exec_lo, exec_lo, s19
	s_cbranch_execnz .LBB1455_401
; %bb.402:                              ;   in Loop: Header=BB1455_398 Depth=1
	s_or_b32 exec_lo, exec_lo, s19
	s_branch .LBB1455_397
.LBB1455_403:                           ;   in Loop: Header=BB1455_398 Depth=1
                                        ; implicit-def: $vgpr38
                                        ; implicit-def: $vgpr39
	s_cbranch_execz .LBB1455_398
; %bb.404:
	s_and_saveexec_b32 s18, s8
	s_cbranch_execz .LBB1455_406
; %bb.405:
	s_add_i32 s22, s15, 32
	s_mov_b32 s23, 0
	v_dual_mov_b32 v37, 2 :: v_dual_add_nc_u32 v36, v61, v35
	s_lshl_b64 s[22:23], s[22:23], 3
	v_mov_b32_e32 v38, 0
	v_add_nc_u32_e64 v39, 0x8400, 0
	s_add_u32 s22, s10, s22
	s_addc_u32 s23, s11, s23
	global_store_b64 v38, v[36:37], s[22:23]
	ds_store_2addr_b32 v39, v35, v61 offset1:2
.LBB1455_406:
	s_or_b32 exec_lo, exec_lo, s18
	v_cmp_eq_u32_e32 vcc_lo, 0, v0
	s_and_b32 exec_lo, exec_lo, vcc_lo
	s_cbranch_execz .LBB1455_408
; %bb.407:
	v_mov_b32_e32 v35, 0
	ds_store_b32 v35, v61 offset:60
.LBB1455_408:
	s_or_b32 exec_lo, exec_lo, s9
	s_waitcnt lgkmcnt(0)
	v_cndmask_b32_e64 v36, v45, v43, s8
	v_cmp_ne_u32_e32 vcc_lo, 0, v0
	v_mov_b32_e32 v35, 0
	s_waitcnt_vscnt null, 0x0
	s_barrier
	buffer_gl0_inv
	v_cndmask_b32_e32 v36, 0, v36, vcc_lo
	ds_load_b32 v35, v35 offset:60
	s_waitcnt lgkmcnt(0)
	s_barrier
	buffer_gl0_inv
	v_add_nc_u32_e32 v53, v35, v36
	v_add_nc_u32_e64 v35, 0x8400, 0
	s_delay_alu instid0(VALU_DEP_2) | instskip(SKIP_2) | instid1(VALU_DEP_1)
	v_add_nc_u32_e32 v51, v53, v42
	ds_load_2addr_b32 v[35:36], v35 offset1:2
	v_add_nc_u32_e32 v49, v51, v44
	v_add_nc_u32_e32 v47, v49, v46
	s_delay_alu instid0(VALU_DEP_1) | instskip(NEXT) | instid1(VALU_DEP_1)
	v_add_nc_u32_e32 v45, v47, v48
	v_add_nc_u32_e32 v43, v45, v50
	s_waitcnt lgkmcnt(0)
	v_readfirstlane_b32 s8, v36
	s_delay_alu instid0(VALU_DEP_2) | instskip(NEXT) | instid1(VALU_DEP_1)
	v_add_nc_u32_e32 v41, v43, v52
	v_add_nc_u32_e32 v39, v41, v54
	v_lshrrev_b64 v[37:38], 24, v[33:34]
	s_branch .LBB1455_419
.LBB1455_409:
                                        ; implicit-def: $vgpr39
                                        ; implicit-def: $vgpr41
                                        ; implicit-def: $vgpr43
                                        ; implicit-def: $vgpr45
                                        ; implicit-def: $vgpr47
                                        ; implicit-def: $vgpr49
                                        ; implicit-def: $vgpr51
                                        ; implicit-def: $vgpr53
                                        ; implicit-def: $sgpr8
                                        ; implicit-def: $vgpr35
	v_lshrrev_b64 v[37:38], 24, v[33:34]
	s_and_b32 vcc_lo, exec_lo, s9
	s_cbranch_vccz .LBB1455_419
; %bb.410:
	v_mov_b32_dpp v35, v59 row_shr:1 row_mask:0xf bank_mask:0xf
	s_delay_alu instid0(VALU_DEP_1) | instskip(NEXT) | instid1(VALU_DEP_1)
	v_cndmask_b32_e64 v35, v35, 0, s4
	v_add_nc_u32_e32 v35, v35, v59
	s_delay_alu instid0(VALU_DEP_1) | instskip(NEXT) | instid1(VALU_DEP_1)
	v_mov_b32_dpp v36, v35 row_shr:2 row_mask:0xf bank_mask:0xf
	v_cndmask_b32_e64 v36, 0, v36, s2
	s_delay_alu instid0(VALU_DEP_1) | instskip(NEXT) | instid1(VALU_DEP_1)
	v_add_nc_u32_e32 v35, v35, v36
	v_mov_b32_dpp v36, v35 row_shr:4 row_mask:0xf bank_mask:0xf
	s_delay_alu instid0(VALU_DEP_1) | instskip(NEXT) | instid1(VALU_DEP_1)
	v_cndmask_b32_e64 v36, 0, v36, s5
	v_add_nc_u32_e32 v35, v35, v36
	s_delay_alu instid0(VALU_DEP_1) | instskip(NEXT) | instid1(VALU_DEP_1)
	v_mov_b32_dpp v36, v35 row_shr:8 row_mask:0xf bank_mask:0xf
	v_cndmask_b32_e64 v36, 0, v36, s3
	s_delay_alu instid0(VALU_DEP_1) | instskip(SKIP_3) | instid1(VALU_DEP_1)
	v_add_nc_u32_e32 v35, v35, v36
	ds_swizzle_b32 v36, v35 offset:swizzle(BROADCAST,32,15)
	s_waitcnt lgkmcnt(0)
	v_cndmask_b32_e64 v36, v36, 0, s7
	v_add_nc_u32_e32 v35, v35, v36
	s_and_saveexec_b32 s7, s6
	s_cbranch_execz .LBB1455_412
; %bb.411:
	v_lshlrev_b32_e32 v36, 2, v58
	ds_store_b32 v36, v35
.LBB1455_412:
	s_or_b32 exec_lo, exec_lo, s7
	s_delay_alu instid0(SALU_CYCLE_1)
	s_mov_b32 s6, exec_lo
	s_waitcnt lgkmcnt(0)
	s_barrier
	buffer_gl0_inv
	v_cmpx_gt_u32_e32 16, v0
	s_cbranch_execz .LBB1455_414
; %bb.413:
	v_lshlrev_b32_e32 v36, 2, v0
	ds_load_b32 v38, v36
	s_waitcnt lgkmcnt(0)
	v_mov_b32_dpp v39, v38 row_shr:1 row_mask:0xf bank_mask:0xf
	s_delay_alu instid0(VALU_DEP_1) | instskip(NEXT) | instid1(VALU_DEP_1)
	v_cndmask_b32_e64 v39, v39, 0, s4
	v_add_nc_u32_e32 v38, v39, v38
	s_delay_alu instid0(VALU_DEP_1) | instskip(NEXT) | instid1(VALU_DEP_1)
	v_mov_b32_dpp v39, v38 row_shr:2 row_mask:0xf bank_mask:0xf
	v_cndmask_b32_e64 v39, 0, v39, s2
	s_delay_alu instid0(VALU_DEP_1) | instskip(NEXT) | instid1(VALU_DEP_1)
	v_add_nc_u32_e32 v38, v38, v39
	v_mov_b32_dpp v39, v38 row_shr:4 row_mask:0xf bank_mask:0xf
	s_delay_alu instid0(VALU_DEP_1) | instskip(NEXT) | instid1(VALU_DEP_1)
	v_cndmask_b32_e64 v39, 0, v39, s5
	v_add_nc_u32_e32 v38, v38, v39
	s_delay_alu instid0(VALU_DEP_1) | instskip(NEXT) | instid1(VALU_DEP_1)
	v_mov_b32_dpp v39, v38 row_shr:8 row_mask:0xf bank_mask:0xf
	v_cndmask_b32_e64 v39, 0, v39, s3
	s_delay_alu instid0(VALU_DEP_1)
	v_add_nc_u32_e32 v38, v38, v39
	ds_store_b32 v36, v38
.LBB1455_414:
	s_or_b32 exec_lo, exec_lo, s6
	v_mov_b32_e32 v36, 0
	v_mov_b32_e32 v38, 0
	s_mov_b32 s2, exec_lo
	s_waitcnt lgkmcnt(0)
	s_barrier
	buffer_gl0_inv
	v_cmpx_lt_u32_e32 31, v0
	s_cbranch_execz .LBB1455_416
; %bb.415:
	v_lshl_add_u32 v38, v58, 2, -4
	ds_load_b32 v38, v38
.LBB1455_416:
	s_or_b32 exec_lo, exec_lo, s2
	v_add_nc_u32_e32 v39, -1, v57
	s_waitcnt lgkmcnt(0)
	v_add_nc_u32_e32 v35, v38, v35
	s_mov_b32 s8, 0
	s_delay_alu instid0(VALU_DEP_2) | instskip(SKIP_2) | instid1(VALU_DEP_2)
	v_cmp_gt_i32_e32 vcc_lo, 0, v39
	v_cndmask_b32_e32 v39, v39, v57, vcc_lo
	v_cmp_eq_u32_e32 vcc_lo, 0, v0
	v_lshlrev_b32_e32 v39, 2, v39
	ds_bpermute_b32 v39, v39, v35
	ds_load_b32 v35, v36 offset:60
	s_and_saveexec_b32 s2, vcc_lo
	s_cbranch_execz .LBB1455_418
; %bb.417:
	v_mov_b32_e32 v40, 0
	v_mov_b32_e32 v36, 2
	s_waitcnt lgkmcnt(0)
	global_store_b64 v40, v[35:36], s[10:11] offset:256
.LBB1455_418:
	s_or_b32 exec_lo, exec_lo, s2
	v_cmp_eq_u32_e64 s2, 0, v57
	s_waitcnt lgkmcnt(0)
	s_waitcnt_vscnt null, 0x0
	s_barrier
	buffer_gl0_inv
	v_cndmask_b32_e64 v36, v39, v38, s2
	s_delay_alu instid0(VALU_DEP_1) | instskip(NEXT) | instid1(VALU_DEP_1)
	v_cndmask_b32_e64 v53, v36, 0, vcc_lo
	v_add_nc_u32_e32 v51, v53, v42
	s_delay_alu instid0(VALU_DEP_1) | instskip(NEXT) | instid1(VALU_DEP_1)
	v_add_nc_u32_e32 v49, v51, v44
	v_add_nc_u32_e32 v47, v49, v46
	s_delay_alu instid0(VALU_DEP_1) | instskip(NEXT) | instid1(VALU_DEP_1)
	v_add_nc_u32_e32 v45, v47, v48
	;; [unrolled: 3-line block ×3, first 2 shown]
	v_add_nc_u32_e32 v39, v41, v54
.LBB1455_419:
	s_load_b128 s[4:7], s[0:1], 0x28
	v_add_nc_u32_e32 v59, s8, v35
	v_cmp_gt_u32_e64 s0, 0x201, v35
	v_lshrrev_b32_e32 v58, 8, v33
	v_lshrrev_b32_e32 v57, 16, v33
	;; [unrolled: 1-line block ×4, first 2 shown]
	v_cmp_lt_u32_e64 s1, v53, v59
	s_and_b32 vcc_lo, exec_lo, s0
	s_mov_b32 s2, -1
	s_cbranch_vccz .LBB1455_445
; %bb.420:
	s_delay_alu instid0(VALU_DEP_1) | instskip(NEXT) | instid1(SALU_CYCLE_1)
	s_or_b32 s2, s20, s1
	s_and_saveexec_b32 s1, s2
	s_cbranch_execz .LBB1455_423
; %bb.421:
	v_and_b32_e32 v40, 1, v33
	s_delay_alu instid0(VALU_DEP_1)
	v_cmp_eq_u32_e32 vcc_lo, 1, v40
	s_and_b32 exec_lo, exec_lo, vcc_lo
	s_cbranch_execz .LBB1455_423
; %bb.422:
	v_mov_b32_e32 v54, 0
	s_lshl_b64 s[2:3], s[12:13], 3
	s_waitcnt lgkmcnt(0)
	s_add_u32 s2, s4, s2
	s_addc_u32 s3, s5, s3
	v_lshlrev_b64 v[60:61], 3, v[53:54]
	s_delay_alu instid0(VALU_DEP_1) | instskip(NEXT) | instid1(VALU_DEP_2)
	v_add_co_u32 v60, vcc_lo, s2, v60
	v_add_co_ci_u32_e32 v61, vcc_lo, s3, v61, vcc_lo
	global_store_b64 v[60:61], v[29:30], off
.LBB1455_423:
	s_or_b32 exec_lo, exec_lo, s1
	v_cmp_lt_u32_e32 vcc_lo, v51, v59
	s_or_b32 s2, s20, vcc_lo
	s_delay_alu instid0(SALU_CYCLE_1)
	s_and_saveexec_b32 s1, s2
	s_cbranch_execz .LBB1455_426
; %bb.424:
	v_and_b32_e32 v40, 1, v58
	s_delay_alu instid0(VALU_DEP_1)
	v_cmp_eq_u32_e32 vcc_lo, 1, v40
	s_and_b32 exec_lo, exec_lo, vcc_lo
	s_cbranch_execz .LBB1455_426
; %bb.425:
	v_mov_b32_e32 v52, 0
	s_lshl_b64 s[2:3], s[12:13], 3
	s_waitcnt lgkmcnt(0)
	s_add_u32 s2, s4, s2
	s_addc_u32 s3, s5, s3
	v_lshlrev_b64 v[60:61], 3, v[51:52]
	s_delay_alu instid0(VALU_DEP_1) | instskip(NEXT) | instid1(VALU_DEP_2)
	v_add_co_u32 v60, vcc_lo, s2, v60
	v_add_co_ci_u32_e32 v61, vcc_lo, s3, v61, vcc_lo
	global_store_b64 v[60:61], v[31:32], off
.LBB1455_426:
	s_or_b32 exec_lo, exec_lo, s1
	v_cmp_lt_u32_e32 vcc_lo, v49, v59
	s_or_b32 s2, s20, vcc_lo
	s_delay_alu instid0(SALU_CYCLE_1)
	;; [unrolled: 24-line block ×7, first 2 shown]
	s_and_saveexec_b32 s1, s2
	s_cbranch_execz .LBB1455_444
; %bb.442:
	v_and_b32_e32 v40, 1, v56
	s_delay_alu instid0(VALU_DEP_1)
	v_cmp_eq_u32_e32 vcc_lo, 1, v40
	s_and_b32 exec_lo, exec_lo, vcc_lo
	s_cbranch_execz .LBB1455_444
; %bb.443:
	v_mov_b32_e32 v40, 0
	s_lshl_b64 s[2:3], s[12:13], 3
	s_waitcnt lgkmcnt(0)
	s_add_u32 s2, s4, s2
	s_addc_u32 s3, s5, s3
	v_lshlrev_b64 v[60:61], 3, v[39:40]
	s_delay_alu instid0(VALU_DEP_1) | instskip(NEXT) | instid1(VALU_DEP_2)
	v_add_co_u32 v60, vcc_lo, s2, v60
	v_add_co_ci_u32_e32 v61, vcc_lo, s3, v61, vcc_lo
	global_store_b64 v[60:61], v[19:20], off
.LBB1455_444:
	s_or_b32 exec_lo, exec_lo, s1
	s_mov_b32 s2, 0
.LBB1455_445:
	v_and_b32_e32 v33, 1, v33
	s_and_b32 vcc_lo, exec_lo, s2
	s_delay_alu instid0(VALU_DEP_1)
	v_cmp_eq_u32_e64 s1, 1, v33
	s_cbranch_vccz .LBB1455_466
; %bb.446:
	s_delay_alu instid0(VALU_DEP_1)
	s_and_saveexec_b32 s2, s1
	s_cbranch_execz .LBB1455_448
; %bb.447:
	v_subrev_nc_u32_e32 v40, s8, v53
	s_delay_alu instid0(VALU_DEP_1)
	v_lshlrev_b32_e32 v40, 3, v40
	ds_store_b64 v40, v[29:30]
.LBB1455_448:
	s_or_b32 exec_lo, exec_lo, s2
	v_and_b32_e32 v29, 1, v58
	s_mov_b32 s1, exec_lo
	s_delay_alu instid0(VALU_DEP_1)
	v_cmpx_eq_u32_e32 1, v29
	s_cbranch_execz .LBB1455_450
; %bb.449:
	v_subrev_nc_u32_e32 v29, s8, v51
	s_delay_alu instid0(VALU_DEP_1)
	v_lshlrev_b32_e32 v29, 3, v29
	ds_store_b64 v29, v[31:32]
.LBB1455_450:
	s_or_b32 exec_lo, exec_lo, s1
	v_and_b32_e32 v29, 1, v57
	s_mov_b32 s1, exec_lo
	s_delay_alu instid0(VALU_DEP_1)
	v_cmpx_eq_u32_e32 1, v29
	;; [unrolled: 12-line block ×7, first 2 shown]
	s_cbranch_execz .LBB1455_462
; %bb.461:
	v_subrev_nc_u32_e32 v17, s8, v39
	s_delay_alu instid0(VALU_DEP_1)
	v_lshlrev_b32_e32 v17, 3, v17
	ds_store_b64 v17, v[19:20]
.LBB1455_462:
	s_or_b32 exec_lo, exec_lo, s1
	s_delay_alu instid0(SALU_CYCLE_1)
	s_mov_b32 s2, exec_lo
	s_waitcnt lgkmcnt(0)
	s_waitcnt_vscnt null, 0x0
	s_barrier
	buffer_gl0_inv
	v_cmpx_lt_u32_e64 v0, v35
	s_cbranch_execz .LBB1455_465
; %bb.463:
	s_mov_b32 s9, 0
	s_lshl_b64 s[10:11], s[12:13], 3
	s_lshl_b64 s[18:19], s[8:9], 3
	v_dual_mov_b32 v19, v55 :: v_dual_mov_b32 v20, v0
	s_add_u32 s1, s10, s18
	s_addc_u32 s3, s11, s19
	s_add_u32 s1, s4, s1
	s_addc_u32 s3, s5, s3
	v_add_co_u32 v17, s1, s1, v55
	s_delay_alu instid0(VALU_DEP_1)
	v_add_co_ci_u32_e64 v18, null, s3, 0, s1
	.p2align	6
.LBB1455_464:                           ; =>This Inner Loop Header: Depth=1
	ds_load_b64 v[21:22], v19
	v_add_nc_u32_e32 v20, 0x200, v20
	v_add_nc_u32_e32 v19, 0x1000, v19
	s_delay_alu instid0(VALU_DEP_2) | instskip(SKIP_4) | instid1(VALU_DEP_1)
	v_cmp_ge_u32_e32 vcc_lo, v20, v35
	s_or_b32 s9, vcc_lo, s9
	s_waitcnt lgkmcnt(0)
	global_store_b64 v[17:18], v[21:22], off
	v_add_co_u32 v17, s1, 0x1000, v17
	v_add_co_ci_u32_e64 v18, s1, 0, v18, s1
	s_and_not1_b32 exec_lo, exec_lo, s9
	s_cbranch_execnz .LBB1455_464
.LBB1455_465:
	s_or_b32 exec_lo, exec_lo, s2
.LBB1455_466:
	s_delay_alu instid0(SALU_CYCLE_1)
	s_and_b32 vcc_lo, exec_lo, s0
	s_mov_b32 s0, -1
	s_waitcnt lgkmcnt(0)
	s_waitcnt_vscnt null, 0x0
	s_barrier
	buffer_gl0_inv
	s_cbranch_vccz .LBB1455_494
; %bb.467:
	v_cmp_lt_u32_e32 vcc_lo, v53, v59
	s_or_b32 s1, s20, vcc_lo
	s_delay_alu instid0(SALU_CYCLE_1)
	s_and_saveexec_b32 s0, s1
	s_cbranch_execz .LBB1455_470
; %bb.468:
	v_cmp_eq_u32_e32 vcc_lo, 1, v33
	s_and_b32 exec_lo, exec_lo, vcc_lo
	s_cbranch_execz .LBB1455_470
; %bb.469:
	v_mov_b32_e32 v54, 0
	s_lshl_b64 s[2:3], s[12:13], 3
	s_delay_alu instid0(SALU_CYCLE_1) | instskip(SKIP_1) | instid1(VALU_DEP_1)
	s_add_u32 s1, s6, s2
	s_addc_u32 s2, s7, s3
	v_lshlrev_b64 v[17:18], 3, v[53:54]
	s_delay_alu instid0(VALU_DEP_1) | instskip(NEXT) | instid1(VALU_DEP_2)
	v_add_co_u32 v17, vcc_lo, s1, v17
	v_add_co_ci_u32_e32 v18, vcc_lo, s2, v18, vcc_lo
	global_store_b64 v[17:18], v[13:14], off
.LBB1455_470:
	s_or_b32 exec_lo, exec_lo, s0
	v_cmp_lt_u32_e32 vcc_lo, v51, v59
	s_or_b32 s1, s20, vcc_lo
	s_delay_alu instid0(SALU_CYCLE_1)
	s_and_saveexec_b32 s0, s1
	s_cbranch_execz .LBB1455_473
; %bb.471:
	v_and_b32_e32 v17, 1, v58
	s_delay_alu instid0(VALU_DEP_1)
	v_cmp_eq_u32_e32 vcc_lo, 1, v17
	s_and_b32 exec_lo, exec_lo, vcc_lo
	s_cbranch_execz .LBB1455_473
; %bb.472:
	v_mov_b32_e32 v52, 0
	s_lshl_b64 s[2:3], s[12:13], 3
	s_delay_alu instid0(SALU_CYCLE_1) | instskip(SKIP_1) | instid1(VALU_DEP_1)
	s_add_u32 s1, s6, s2
	s_addc_u32 s2, s7, s3
	v_lshlrev_b64 v[17:18], 3, v[51:52]
	s_delay_alu instid0(VALU_DEP_1) | instskip(NEXT) | instid1(VALU_DEP_2)
	v_add_co_u32 v17, vcc_lo, s1, v17
	v_add_co_ci_u32_e32 v18, vcc_lo, s2, v18, vcc_lo
	global_store_b64 v[17:18], v[15:16], off
.LBB1455_473:
	s_or_b32 exec_lo, exec_lo, s0
	v_cmp_lt_u32_e32 vcc_lo, v49, v59
	s_or_b32 s1, s20, vcc_lo
	s_delay_alu instid0(SALU_CYCLE_1)
	s_and_saveexec_b32 s0, s1
	s_cbranch_execz .LBB1455_476
; %bb.474:
	v_and_b32_e32 v17, 1, v57
	s_delay_alu instid0(VALU_DEP_1)
	v_cmp_eq_u32_e32 vcc_lo, 1, v17
	s_and_b32 exec_lo, exec_lo, vcc_lo
	s_cbranch_execz .LBB1455_476
; %bb.475:
	v_mov_b32_e32 v50, 0
	s_lshl_b64 s[2:3], s[12:13], 3
	s_delay_alu instid0(SALU_CYCLE_1) | instskip(SKIP_1) | instid1(VALU_DEP_1)
	s_add_u32 s1, s6, s2
	s_addc_u32 s2, s7, s3
	v_lshlrev_b64 v[17:18], 3, v[49:50]
	s_delay_alu instid0(VALU_DEP_1) | instskip(NEXT) | instid1(VALU_DEP_2)
	v_add_co_u32 v17, vcc_lo, s1, v17
	v_add_co_ci_u32_e32 v18, vcc_lo, s2, v18, vcc_lo
	global_store_b64 v[17:18], v[9:10], off
.LBB1455_476:
	;; [unrolled: 24-line block ×7, first 2 shown]
	s_or_b32 exec_lo, exec_lo, s0
.LBB1455_492:
	v_cmp_eq_u32_e32 vcc_lo, 0, v0
	s_and_b32 s0, vcc_lo, s14
	s_delay_alu instid0(SALU_CYCLE_1)
	s_and_saveexec_b32 s1, s0
	s_cbranch_execz .LBB1455_515
.LBB1455_493:
	v_add_co_u32 v0, s0, s12, v35
	s_delay_alu instid0(VALU_DEP_1) | instskip(SKIP_1) | instid1(VALU_DEP_3)
	v_add_co_ci_u32_e64 v1, null, s13, 0, s0
	v_mov_b32_e32 v2, 0
	v_add_co_u32 v0, vcc_lo, v0, s8
	s_delay_alu instid0(VALU_DEP_3)
	v_add_co_ci_u32_e32 v1, vcc_lo, 0, v1, vcc_lo
	global_store_b64 v2, v[0:1], s[16:17]
	s_nop 0
	s_sendmsg sendmsg(MSG_DEALLOC_VGPRS)
	s_endpgm
.LBB1455_494:
	s_and_b32 vcc_lo, exec_lo, s0
	s_cbranch_vccz .LBB1455_492
; %bb.495:
	s_mov_b32 s0, exec_lo
	v_cmpx_eq_u32_e32 1, v33
	s_cbranch_execz .LBB1455_497
; %bb.496:
	v_subrev_nc_u32_e32 v17, s8, v53
	s_delay_alu instid0(VALU_DEP_1)
	v_lshlrev_b32_e32 v17, 3, v17
	ds_store_b64 v17, v[13:14]
.LBB1455_497:
	s_or_b32 exec_lo, exec_lo, s0
	v_and_b32_e32 v13, 1, v58
	s_mov_b32 s0, exec_lo
	s_delay_alu instid0(VALU_DEP_1)
	v_cmpx_eq_u32_e32 1, v13
	s_cbranch_execz .LBB1455_499
; %bb.498:
	v_subrev_nc_u32_e32 v13, s8, v51
	s_delay_alu instid0(VALU_DEP_1)
	v_lshlrev_b32_e32 v13, 3, v13
	ds_store_b64 v13, v[15:16]
.LBB1455_499:
	s_or_b32 exec_lo, exec_lo, s0
	v_and_b32_e32 v13, 1, v57
	s_mov_b32 s0, exec_lo
	s_delay_alu instid0(VALU_DEP_1)
	;; [unrolled: 12-line block ×7, first 2 shown]
	v_cmpx_eq_u32_e32 1, v1
	s_cbranch_execz .LBB1455_511
; %bb.510:
	v_subrev_nc_u32_e32 v1, s8, v39
	s_delay_alu instid0(VALU_DEP_1)
	v_lshlrev_b32_e32 v1, 3, v1
	ds_store_b64 v1, v[3:4]
.LBB1455_511:
	s_or_b32 exec_lo, exec_lo, s0
	s_delay_alu instid0(SALU_CYCLE_1)
	s_mov_b32 s1, exec_lo
	s_waitcnt lgkmcnt(0)
	s_waitcnt_vscnt null, 0x0
	s_barrier
	buffer_gl0_inv
	v_cmpx_lt_u32_e64 v0, v35
	s_cbranch_execz .LBB1455_514
; %bb.512:
	s_mov_b32 s9, 0
	s_lshl_b64 s[2:3], s[12:13], 3
	s_lshl_b64 s[4:5], s[8:9], 3
	v_mov_b32_e32 v3, v0
	s_add_u32 s0, s2, s4
	s_addc_u32 s2, s3, s5
	s_add_u32 s0, s6, s0
	s_addc_u32 s2, s7, s2
	v_add_co_u32 v1, s0, s0, v55
	s_delay_alu instid0(VALU_DEP_1)
	v_add_co_ci_u32_e64 v2, null, s2, 0, s0
	.p2align	6
.LBB1455_513:                           ; =>This Inner Loop Header: Depth=1
	ds_load_b64 v[4:5], v55
	v_add_nc_u32_e32 v3, 0x200, v3
	v_add_nc_u32_e32 v55, 0x1000, v55
	s_delay_alu instid0(VALU_DEP_2) | instskip(SKIP_4) | instid1(VALU_DEP_1)
	v_cmp_ge_u32_e32 vcc_lo, v3, v35
	s_or_b32 s9, vcc_lo, s9
	s_waitcnt lgkmcnt(0)
	global_store_b64 v[1:2], v[4:5], off
	v_add_co_u32 v1, s0, 0x1000, v1
	v_add_co_ci_u32_e64 v2, s0, 0, v2, s0
	s_and_not1_b32 exec_lo, exec_lo, s9
	s_cbranch_execnz .LBB1455_513
.LBB1455_514:
	s_or_b32 exec_lo, exec_lo, s1
	v_cmp_eq_u32_e32 vcc_lo, 0, v0
	s_and_b32 s0, vcc_lo, s14
	s_delay_alu instid0(SALU_CYCLE_1)
	s_and_saveexec_b32 s1, s0
	s_cbranch_execnz .LBB1455_493
.LBB1455_515:
	s_nop 0
	s_sendmsg sendmsg(MSG_DEALLOC_VGPRS)
	s_endpgm
	.section	.rodata,"a",@progbits
	.p2align	6, 0x0
	.amdhsa_kernel _ZN7rocprim17ROCPRIM_400000_NS6detail17trampoline_kernelINS0_14default_configENS1_25partition_config_selectorILNS1_17partition_subalgoE9EllbEEZZNS1_14partition_implILS5_9ELb0ES3_jPlS8_PNS0_10empty_typeENS0_5tupleIJS8_S9_EEENSB_IJS8_SA_EEENS0_18inequality_wrapperIZN2at6native12_GLOBAL__N_124unique_dim_cuda_templateItEESt5tupleIJNSF_6TensorESK_SK_EERKSK_lbbbEUlllE0_EEPmJS9_EEE10hipError_tPvRmT3_T4_T5_T6_T7_T9_mT8_P12ihipStream_tbDpT10_ENKUlT_T0_E_clISt17integral_constantIbLb0EES1A_EEDaS15_S16_EUlS15_E_NS1_11comp_targetILNS1_3genE9ELNS1_11target_archE1100ELNS1_3gpuE3ELNS1_3repE0EEENS1_30default_config_static_selectorELNS0_4arch9wavefront6targetE0EEEvT1_
		.amdhsa_group_segment_fixed_size 33804
		.amdhsa_private_segment_fixed_size 0
		.amdhsa_kernarg_size 120
		.amdhsa_user_sgpr_count 15
		.amdhsa_user_sgpr_dispatch_ptr 0
		.amdhsa_user_sgpr_queue_ptr 0
		.amdhsa_user_sgpr_kernarg_segment_ptr 1
		.amdhsa_user_sgpr_dispatch_id 0
		.amdhsa_user_sgpr_private_segment_size 0
		.amdhsa_wavefront_size32 1
		.amdhsa_uses_dynamic_stack 0
		.amdhsa_enable_private_segment 0
		.amdhsa_system_sgpr_workgroup_id_x 1
		.amdhsa_system_sgpr_workgroup_id_y 0
		.amdhsa_system_sgpr_workgroup_id_z 0
		.amdhsa_system_sgpr_workgroup_info 0
		.amdhsa_system_vgpr_workitem_id 0
		.amdhsa_next_free_vgpr 68
		.amdhsa_next_free_sgpr 36
		.amdhsa_reserve_vcc 1
		.amdhsa_float_round_mode_32 0
		.amdhsa_float_round_mode_16_64 0
		.amdhsa_float_denorm_mode_32 3
		.amdhsa_float_denorm_mode_16_64 3
		.amdhsa_dx10_clamp 1
		.amdhsa_ieee_mode 1
		.amdhsa_fp16_overflow 0
		.amdhsa_workgroup_processor_mode 1
		.amdhsa_memory_ordered 1
		.amdhsa_forward_progress 0
		.amdhsa_shared_vgpr_count 0
		.amdhsa_exception_fp_ieee_invalid_op 0
		.amdhsa_exception_fp_denorm_src 0
		.amdhsa_exception_fp_ieee_div_zero 0
		.amdhsa_exception_fp_ieee_overflow 0
		.amdhsa_exception_fp_ieee_underflow 0
		.amdhsa_exception_fp_ieee_inexact 0
		.amdhsa_exception_int_div_zero 0
	.end_amdhsa_kernel
	.section	.text._ZN7rocprim17ROCPRIM_400000_NS6detail17trampoline_kernelINS0_14default_configENS1_25partition_config_selectorILNS1_17partition_subalgoE9EllbEEZZNS1_14partition_implILS5_9ELb0ES3_jPlS8_PNS0_10empty_typeENS0_5tupleIJS8_S9_EEENSB_IJS8_SA_EEENS0_18inequality_wrapperIZN2at6native12_GLOBAL__N_124unique_dim_cuda_templateItEESt5tupleIJNSF_6TensorESK_SK_EERKSK_lbbbEUlllE0_EEPmJS9_EEE10hipError_tPvRmT3_T4_T5_T6_T7_T9_mT8_P12ihipStream_tbDpT10_ENKUlT_T0_E_clISt17integral_constantIbLb0EES1A_EEDaS15_S16_EUlS15_E_NS1_11comp_targetILNS1_3genE9ELNS1_11target_archE1100ELNS1_3gpuE3ELNS1_3repE0EEENS1_30default_config_static_selectorELNS0_4arch9wavefront6targetE0EEEvT1_,"axG",@progbits,_ZN7rocprim17ROCPRIM_400000_NS6detail17trampoline_kernelINS0_14default_configENS1_25partition_config_selectorILNS1_17partition_subalgoE9EllbEEZZNS1_14partition_implILS5_9ELb0ES3_jPlS8_PNS0_10empty_typeENS0_5tupleIJS8_S9_EEENSB_IJS8_SA_EEENS0_18inequality_wrapperIZN2at6native12_GLOBAL__N_124unique_dim_cuda_templateItEESt5tupleIJNSF_6TensorESK_SK_EERKSK_lbbbEUlllE0_EEPmJS9_EEE10hipError_tPvRmT3_T4_T5_T6_T7_T9_mT8_P12ihipStream_tbDpT10_ENKUlT_T0_E_clISt17integral_constantIbLb0EES1A_EEDaS15_S16_EUlS15_E_NS1_11comp_targetILNS1_3genE9ELNS1_11target_archE1100ELNS1_3gpuE3ELNS1_3repE0EEENS1_30default_config_static_selectorELNS0_4arch9wavefront6targetE0EEEvT1_,comdat
.Lfunc_end1455:
	.size	_ZN7rocprim17ROCPRIM_400000_NS6detail17trampoline_kernelINS0_14default_configENS1_25partition_config_selectorILNS1_17partition_subalgoE9EllbEEZZNS1_14partition_implILS5_9ELb0ES3_jPlS8_PNS0_10empty_typeENS0_5tupleIJS8_S9_EEENSB_IJS8_SA_EEENS0_18inequality_wrapperIZN2at6native12_GLOBAL__N_124unique_dim_cuda_templateItEESt5tupleIJNSF_6TensorESK_SK_EERKSK_lbbbEUlllE0_EEPmJS9_EEE10hipError_tPvRmT3_T4_T5_T6_T7_T9_mT8_P12ihipStream_tbDpT10_ENKUlT_T0_E_clISt17integral_constantIbLb0EES1A_EEDaS15_S16_EUlS15_E_NS1_11comp_targetILNS1_3genE9ELNS1_11target_archE1100ELNS1_3gpuE3ELNS1_3repE0EEENS1_30default_config_static_selectorELNS0_4arch9wavefront6targetE0EEEvT1_, .Lfunc_end1455-_ZN7rocprim17ROCPRIM_400000_NS6detail17trampoline_kernelINS0_14default_configENS1_25partition_config_selectorILNS1_17partition_subalgoE9EllbEEZZNS1_14partition_implILS5_9ELb0ES3_jPlS8_PNS0_10empty_typeENS0_5tupleIJS8_S9_EEENSB_IJS8_SA_EEENS0_18inequality_wrapperIZN2at6native12_GLOBAL__N_124unique_dim_cuda_templateItEESt5tupleIJNSF_6TensorESK_SK_EERKSK_lbbbEUlllE0_EEPmJS9_EEE10hipError_tPvRmT3_T4_T5_T6_T7_T9_mT8_P12ihipStream_tbDpT10_ENKUlT_T0_E_clISt17integral_constantIbLb0EES1A_EEDaS15_S16_EUlS15_E_NS1_11comp_targetILNS1_3genE9ELNS1_11target_archE1100ELNS1_3gpuE3ELNS1_3repE0EEENS1_30default_config_static_selectorELNS0_4arch9wavefront6targetE0EEEvT1_
                                        ; -- End function
	.section	.AMDGPU.csdata,"",@progbits
; Kernel info:
; codeLenInByte = 20488
; NumSgprs: 38
; NumVgprs: 68
; ScratchSize: 0
; MemoryBound: 0
; FloatMode: 240
; IeeeMode: 1
; LDSByteSize: 33804 bytes/workgroup (compile time only)
; SGPRBlocks: 4
; VGPRBlocks: 8
; NumSGPRsForWavesPerEU: 38
; NumVGPRsForWavesPerEU: 68
; Occupancy: 12
; WaveLimiterHint : 1
; COMPUTE_PGM_RSRC2:SCRATCH_EN: 0
; COMPUTE_PGM_RSRC2:USER_SGPR: 15
; COMPUTE_PGM_RSRC2:TRAP_HANDLER: 0
; COMPUTE_PGM_RSRC2:TGID_X_EN: 1
; COMPUTE_PGM_RSRC2:TGID_Y_EN: 0
; COMPUTE_PGM_RSRC2:TGID_Z_EN: 0
; COMPUTE_PGM_RSRC2:TIDIG_COMP_CNT: 0
	.section	.text._ZN7rocprim17ROCPRIM_400000_NS6detail17trampoline_kernelINS0_14default_configENS1_25partition_config_selectorILNS1_17partition_subalgoE9EllbEEZZNS1_14partition_implILS5_9ELb0ES3_jPlS8_PNS0_10empty_typeENS0_5tupleIJS8_S9_EEENSB_IJS8_SA_EEENS0_18inequality_wrapperIZN2at6native12_GLOBAL__N_124unique_dim_cuda_templateItEESt5tupleIJNSF_6TensorESK_SK_EERKSK_lbbbEUlllE0_EEPmJS9_EEE10hipError_tPvRmT3_T4_T5_T6_T7_T9_mT8_P12ihipStream_tbDpT10_ENKUlT_T0_E_clISt17integral_constantIbLb0EES1A_EEDaS15_S16_EUlS15_E_NS1_11comp_targetILNS1_3genE8ELNS1_11target_archE1030ELNS1_3gpuE2ELNS1_3repE0EEENS1_30default_config_static_selectorELNS0_4arch9wavefront6targetE0EEEvT1_,"axG",@progbits,_ZN7rocprim17ROCPRIM_400000_NS6detail17trampoline_kernelINS0_14default_configENS1_25partition_config_selectorILNS1_17partition_subalgoE9EllbEEZZNS1_14partition_implILS5_9ELb0ES3_jPlS8_PNS0_10empty_typeENS0_5tupleIJS8_S9_EEENSB_IJS8_SA_EEENS0_18inequality_wrapperIZN2at6native12_GLOBAL__N_124unique_dim_cuda_templateItEESt5tupleIJNSF_6TensorESK_SK_EERKSK_lbbbEUlllE0_EEPmJS9_EEE10hipError_tPvRmT3_T4_T5_T6_T7_T9_mT8_P12ihipStream_tbDpT10_ENKUlT_T0_E_clISt17integral_constantIbLb0EES1A_EEDaS15_S16_EUlS15_E_NS1_11comp_targetILNS1_3genE8ELNS1_11target_archE1030ELNS1_3gpuE2ELNS1_3repE0EEENS1_30default_config_static_selectorELNS0_4arch9wavefront6targetE0EEEvT1_,comdat
	.globl	_ZN7rocprim17ROCPRIM_400000_NS6detail17trampoline_kernelINS0_14default_configENS1_25partition_config_selectorILNS1_17partition_subalgoE9EllbEEZZNS1_14partition_implILS5_9ELb0ES3_jPlS8_PNS0_10empty_typeENS0_5tupleIJS8_S9_EEENSB_IJS8_SA_EEENS0_18inequality_wrapperIZN2at6native12_GLOBAL__N_124unique_dim_cuda_templateItEESt5tupleIJNSF_6TensorESK_SK_EERKSK_lbbbEUlllE0_EEPmJS9_EEE10hipError_tPvRmT3_T4_T5_T6_T7_T9_mT8_P12ihipStream_tbDpT10_ENKUlT_T0_E_clISt17integral_constantIbLb0EES1A_EEDaS15_S16_EUlS15_E_NS1_11comp_targetILNS1_3genE8ELNS1_11target_archE1030ELNS1_3gpuE2ELNS1_3repE0EEENS1_30default_config_static_selectorELNS0_4arch9wavefront6targetE0EEEvT1_ ; -- Begin function _ZN7rocprim17ROCPRIM_400000_NS6detail17trampoline_kernelINS0_14default_configENS1_25partition_config_selectorILNS1_17partition_subalgoE9EllbEEZZNS1_14partition_implILS5_9ELb0ES3_jPlS8_PNS0_10empty_typeENS0_5tupleIJS8_S9_EEENSB_IJS8_SA_EEENS0_18inequality_wrapperIZN2at6native12_GLOBAL__N_124unique_dim_cuda_templateItEESt5tupleIJNSF_6TensorESK_SK_EERKSK_lbbbEUlllE0_EEPmJS9_EEE10hipError_tPvRmT3_T4_T5_T6_T7_T9_mT8_P12ihipStream_tbDpT10_ENKUlT_T0_E_clISt17integral_constantIbLb0EES1A_EEDaS15_S16_EUlS15_E_NS1_11comp_targetILNS1_3genE8ELNS1_11target_archE1030ELNS1_3gpuE2ELNS1_3repE0EEENS1_30default_config_static_selectorELNS0_4arch9wavefront6targetE0EEEvT1_
	.p2align	8
	.type	_ZN7rocprim17ROCPRIM_400000_NS6detail17trampoline_kernelINS0_14default_configENS1_25partition_config_selectorILNS1_17partition_subalgoE9EllbEEZZNS1_14partition_implILS5_9ELb0ES3_jPlS8_PNS0_10empty_typeENS0_5tupleIJS8_S9_EEENSB_IJS8_SA_EEENS0_18inequality_wrapperIZN2at6native12_GLOBAL__N_124unique_dim_cuda_templateItEESt5tupleIJNSF_6TensorESK_SK_EERKSK_lbbbEUlllE0_EEPmJS9_EEE10hipError_tPvRmT3_T4_T5_T6_T7_T9_mT8_P12ihipStream_tbDpT10_ENKUlT_T0_E_clISt17integral_constantIbLb0EES1A_EEDaS15_S16_EUlS15_E_NS1_11comp_targetILNS1_3genE8ELNS1_11target_archE1030ELNS1_3gpuE2ELNS1_3repE0EEENS1_30default_config_static_selectorELNS0_4arch9wavefront6targetE0EEEvT1_,@function
_ZN7rocprim17ROCPRIM_400000_NS6detail17trampoline_kernelINS0_14default_configENS1_25partition_config_selectorILNS1_17partition_subalgoE9EllbEEZZNS1_14partition_implILS5_9ELb0ES3_jPlS8_PNS0_10empty_typeENS0_5tupleIJS8_S9_EEENSB_IJS8_SA_EEENS0_18inequality_wrapperIZN2at6native12_GLOBAL__N_124unique_dim_cuda_templateItEESt5tupleIJNSF_6TensorESK_SK_EERKSK_lbbbEUlllE0_EEPmJS9_EEE10hipError_tPvRmT3_T4_T5_T6_T7_T9_mT8_P12ihipStream_tbDpT10_ENKUlT_T0_E_clISt17integral_constantIbLb0EES1A_EEDaS15_S16_EUlS15_E_NS1_11comp_targetILNS1_3genE8ELNS1_11target_archE1030ELNS1_3gpuE2ELNS1_3repE0EEENS1_30default_config_static_selectorELNS0_4arch9wavefront6targetE0EEEvT1_: ; @_ZN7rocprim17ROCPRIM_400000_NS6detail17trampoline_kernelINS0_14default_configENS1_25partition_config_selectorILNS1_17partition_subalgoE9EllbEEZZNS1_14partition_implILS5_9ELb0ES3_jPlS8_PNS0_10empty_typeENS0_5tupleIJS8_S9_EEENSB_IJS8_SA_EEENS0_18inequality_wrapperIZN2at6native12_GLOBAL__N_124unique_dim_cuda_templateItEESt5tupleIJNSF_6TensorESK_SK_EERKSK_lbbbEUlllE0_EEPmJS9_EEE10hipError_tPvRmT3_T4_T5_T6_T7_T9_mT8_P12ihipStream_tbDpT10_ENKUlT_T0_E_clISt17integral_constantIbLb0EES1A_EEDaS15_S16_EUlS15_E_NS1_11comp_targetILNS1_3genE8ELNS1_11target_archE1030ELNS1_3gpuE2ELNS1_3repE0EEENS1_30default_config_static_selectorELNS0_4arch9wavefront6targetE0EEEvT1_
; %bb.0:
	.section	.rodata,"a",@progbits
	.p2align	6, 0x0
	.amdhsa_kernel _ZN7rocprim17ROCPRIM_400000_NS6detail17trampoline_kernelINS0_14default_configENS1_25partition_config_selectorILNS1_17partition_subalgoE9EllbEEZZNS1_14partition_implILS5_9ELb0ES3_jPlS8_PNS0_10empty_typeENS0_5tupleIJS8_S9_EEENSB_IJS8_SA_EEENS0_18inequality_wrapperIZN2at6native12_GLOBAL__N_124unique_dim_cuda_templateItEESt5tupleIJNSF_6TensorESK_SK_EERKSK_lbbbEUlllE0_EEPmJS9_EEE10hipError_tPvRmT3_T4_T5_T6_T7_T9_mT8_P12ihipStream_tbDpT10_ENKUlT_T0_E_clISt17integral_constantIbLb0EES1A_EEDaS15_S16_EUlS15_E_NS1_11comp_targetILNS1_3genE8ELNS1_11target_archE1030ELNS1_3gpuE2ELNS1_3repE0EEENS1_30default_config_static_selectorELNS0_4arch9wavefront6targetE0EEEvT1_
		.amdhsa_group_segment_fixed_size 0
		.amdhsa_private_segment_fixed_size 0
		.amdhsa_kernarg_size 120
		.amdhsa_user_sgpr_count 15
		.amdhsa_user_sgpr_dispatch_ptr 0
		.amdhsa_user_sgpr_queue_ptr 0
		.amdhsa_user_sgpr_kernarg_segment_ptr 1
		.amdhsa_user_sgpr_dispatch_id 0
		.amdhsa_user_sgpr_private_segment_size 0
		.amdhsa_wavefront_size32 1
		.amdhsa_uses_dynamic_stack 0
		.amdhsa_enable_private_segment 0
		.amdhsa_system_sgpr_workgroup_id_x 1
		.amdhsa_system_sgpr_workgroup_id_y 0
		.amdhsa_system_sgpr_workgroup_id_z 0
		.amdhsa_system_sgpr_workgroup_info 0
		.amdhsa_system_vgpr_workitem_id 0
		.amdhsa_next_free_vgpr 1
		.amdhsa_next_free_sgpr 1
		.amdhsa_reserve_vcc 0
		.amdhsa_float_round_mode_32 0
		.amdhsa_float_round_mode_16_64 0
		.amdhsa_float_denorm_mode_32 3
		.amdhsa_float_denorm_mode_16_64 3
		.amdhsa_dx10_clamp 1
		.amdhsa_ieee_mode 1
		.amdhsa_fp16_overflow 0
		.amdhsa_workgroup_processor_mode 1
		.amdhsa_memory_ordered 1
		.amdhsa_forward_progress 0
		.amdhsa_shared_vgpr_count 0
		.amdhsa_exception_fp_ieee_invalid_op 0
		.amdhsa_exception_fp_denorm_src 0
		.amdhsa_exception_fp_ieee_div_zero 0
		.amdhsa_exception_fp_ieee_overflow 0
		.amdhsa_exception_fp_ieee_underflow 0
		.amdhsa_exception_fp_ieee_inexact 0
		.amdhsa_exception_int_div_zero 0
	.end_amdhsa_kernel
	.section	.text._ZN7rocprim17ROCPRIM_400000_NS6detail17trampoline_kernelINS0_14default_configENS1_25partition_config_selectorILNS1_17partition_subalgoE9EllbEEZZNS1_14partition_implILS5_9ELb0ES3_jPlS8_PNS0_10empty_typeENS0_5tupleIJS8_S9_EEENSB_IJS8_SA_EEENS0_18inequality_wrapperIZN2at6native12_GLOBAL__N_124unique_dim_cuda_templateItEESt5tupleIJNSF_6TensorESK_SK_EERKSK_lbbbEUlllE0_EEPmJS9_EEE10hipError_tPvRmT3_T4_T5_T6_T7_T9_mT8_P12ihipStream_tbDpT10_ENKUlT_T0_E_clISt17integral_constantIbLb0EES1A_EEDaS15_S16_EUlS15_E_NS1_11comp_targetILNS1_3genE8ELNS1_11target_archE1030ELNS1_3gpuE2ELNS1_3repE0EEENS1_30default_config_static_selectorELNS0_4arch9wavefront6targetE0EEEvT1_,"axG",@progbits,_ZN7rocprim17ROCPRIM_400000_NS6detail17trampoline_kernelINS0_14default_configENS1_25partition_config_selectorILNS1_17partition_subalgoE9EllbEEZZNS1_14partition_implILS5_9ELb0ES3_jPlS8_PNS0_10empty_typeENS0_5tupleIJS8_S9_EEENSB_IJS8_SA_EEENS0_18inequality_wrapperIZN2at6native12_GLOBAL__N_124unique_dim_cuda_templateItEESt5tupleIJNSF_6TensorESK_SK_EERKSK_lbbbEUlllE0_EEPmJS9_EEE10hipError_tPvRmT3_T4_T5_T6_T7_T9_mT8_P12ihipStream_tbDpT10_ENKUlT_T0_E_clISt17integral_constantIbLb0EES1A_EEDaS15_S16_EUlS15_E_NS1_11comp_targetILNS1_3genE8ELNS1_11target_archE1030ELNS1_3gpuE2ELNS1_3repE0EEENS1_30default_config_static_selectorELNS0_4arch9wavefront6targetE0EEEvT1_,comdat
.Lfunc_end1456:
	.size	_ZN7rocprim17ROCPRIM_400000_NS6detail17trampoline_kernelINS0_14default_configENS1_25partition_config_selectorILNS1_17partition_subalgoE9EllbEEZZNS1_14partition_implILS5_9ELb0ES3_jPlS8_PNS0_10empty_typeENS0_5tupleIJS8_S9_EEENSB_IJS8_SA_EEENS0_18inequality_wrapperIZN2at6native12_GLOBAL__N_124unique_dim_cuda_templateItEESt5tupleIJNSF_6TensorESK_SK_EERKSK_lbbbEUlllE0_EEPmJS9_EEE10hipError_tPvRmT3_T4_T5_T6_T7_T9_mT8_P12ihipStream_tbDpT10_ENKUlT_T0_E_clISt17integral_constantIbLb0EES1A_EEDaS15_S16_EUlS15_E_NS1_11comp_targetILNS1_3genE8ELNS1_11target_archE1030ELNS1_3gpuE2ELNS1_3repE0EEENS1_30default_config_static_selectorELNS0_4arch9wavefront6targetE0EEEvT1_, .Lfunc_end1456-_ZN7rocprim17ROCPRIM_400000_NS6detail17trampoline_kernelINS0_14default_configENS1_25partition_config_selectorILNS1_17partition_subalgoE9EllbEEZZNS1_14partition_implILS5_9ELb0ES3_jPlS8_PNS0_10empty_typeENS0_5tupleIJS8_S9_EEENSB_IJS8_SA_EEENS0_18inequality_wrapperIZN2at6native12_GLOBAL__N_124unique_dim_cuda_templateItEESt5tupleIJNSF_6TensorESK_SK_EERKSK_lbbbEUlllE0_EEPmJS9_EEE10hipError_tPvRmT3_T4_T5_T6_T7_T9_mT8_P12ihipStream_tbDpT10_ENKUlT_T0_E_clISt17integral_constantIbLb0EES1A_EEDaS15_S16_EUlS15_E_NS1_11comp_targetILNS1_3genE8ELNS1_11target_archE1030ELNS1_3gpuE2ELNS1_3repE0EEENS1_30default_config_static_selectorELNS0_4arch9wavefront6targetE0EEEvT1_
                                        ; -- End function
	.section	.AMDGPU.csdata,"",@progbits
; Kernel info:
; codeLenInByte = 0
; NumSgprs: 0
; NumVgprs: 0
; ScratchSize: 0
; MemoryBound: 0
; FloatMode: 240
; IeeeMode: 1
; LDSByteSize: 0 bytes/workgroup (compile time only)
; SGPRBlocks: 0
; VGPRBlocks: 0
; NumSGPRsForWavesPerEU: 1
; NumVGPRsForWavesPerEU: 1
; Occupancy: 16
; WaveLimiterHint : 0
; COMPUTE_PGM_RSRC2:SCRATCH_EN: 0
; COMPUTE_PGM_RSRC2:USER_SGPR: 15
; COMPUTE_PGM_RSRC2:TRAP_HANDLER: 0
; COMPUTE_PGM_RSRC2:TGID_X_EN: 1
; COMPUTE_PGM_RSRC2:TGID_Y_EN: 0
; COMPUTE_PGM_RSRC2:TGID_Z_EN: 0
; COMPUTE_PGM_RSRC2:TIDIG_COMP_CNT: 0
	.section	.text._ZN7rocprim17ROCPRIM_400000_NS6detail17trampoline_kernelINS0_14default_configENS1_25partition_config_selectorILNS1_17partition_subalgoE9EllbEEZZNS1_14partition_implILS5_9ELb0ES3_jPlS8_PNS0_10empty_typeENS0_5tupleIJS8_S9_EEENSB_IJS8_SA_EEENS0_18inequality_wrapperIZN2at6native12_GLOBAL__N_124unique_dim_cuda_templateItEESt5tupleIJNSF_6TensorESK_SK_EERKSK_lbbbEUlllE0_EEPmJS9_EEE10hipError_tPvRmT3_T4_T5_T6_T7_T9_mT8_P12ihipStream_tbDpT10_ENKUlT_T0_E_clISt17integral_constantIbLb1EES1A_EEDaS15_S16_EUlS15_E_NS1_11comp_targetILNS1_3genE0ELNS1_11target_archE4294967295ELNS1_3gpuE0ELNS1_3repE0EEENS1_30default_config_static_selectorELNS0_4arch9wavefront6targetE0EEEvT1_,"axG",@progbits,_ZN7rocprim17ROCPRIM_400000_NS6detail17trampoline_kernelINS0_14default_configENS1_25partition_config_selectorILNS1_17partition_subalgoE9EllbEEZZNS1_14partition_implILS5_9ELb0ES3_jPlS8_PNS0_10empty_typeENS0_5tupleIJS8_S9_EEENSB_IJS8_SA_EEENS0_18inequality_wrapperIZN2at6native12_GLOBAL__N_124unique_dim_cuda_templateItEESt5tupleIJNSF_6TensorESK_SK_EERKSK_lbbbEUlllE0_EEPmJS9_EEE10hipError_tPvRmT3_T4_T5_T6_T7_T9_mT8_P12ihipStream_tbDpT10_ENKUlT_T0_E_clISt17integral_constantIbLb1EES1A_EEDaS15_S16_EUlS15_E_NS1_11comp_targetILNS1_3genE0ELNS1_11target_archE4294967295ELNS1_3gpuE0ELNS1_3repE0EEENS1_30default_config_static_selectorELNS0_4arch9wavefront6targetE0EEEvT1_,comdat
	.globl	_ZN7rocprim17ROCPRIM_400000_NS6detail17trampoline_kernelINS0_14default_configENS1_25partition_config_selectorILNS1_17partition_subalgoE9EllbEEZZNS1_14partition_implILS5_9ELb0ES3_jPlS8_PNS0_10empty_typeENS0_5tupleIJS8_S9_EEENSB_IJS8_SA_EEENS0_18inequality_wrapperIZN2at6native12_GLOBAL__N_124unique_dim_cuda_templateItEESt5tupleIJNSF_6TensorESK_SK_EERKSK_lbbbEUlllE0_EEPmJS9_EEE10hipError_tPvRmT3_T4_T5_T6_T7_T9_mT8_P12ihipStream_tbDpT10_ENKUlT_T0_E_clISt17integral_constantIbLb1EES1A_EEDaS15_S16_EUlS15_E_NS1_11comp_targetILNS1_3genE0ELNS1_11target_archE4294967295ELNS1_3gpuE0ELNS1_3repE0EEENS1_30default_config_static_selectorELNS0_4arch9wavefront6targetE0EEEvT1_ ; -- Begin function _ZN7rocprim17ROCPRIM_400000_NS6detail17trampoline_kernelINS0_14default_configENS1_25partition_config_selectorILNS1_17partition_subalgoE9EllbEEZZNS1_14partition_implILS5_9ELb0ES3_jPlS8_PNS0_10empty_typeENS0_5tupleIJS8_S9_EEENSB_IJS8_SA_EEENS0_18inequality_wrapperIZN2at6native12_GLOBAL__N_124unique_dim_cuda_templateItEESt5tupleIJNSF_6TensorESK_SK_EERKSK_lbbbEUlllE0_EEPmJS9_EEE10hipError_tPvRmT3_T4_T5_T6_T7_T9_mT8_P12ihipStream_tbDpT10_ENKUlT_T0_E_clISt17integral_constantIbLb1EES1A_EEDaS15_S16_EUlS15_E_NS1_11comp_targetILNS1_3genE0ELNS1_11target_archE4294967295ELNS1_3gpuE0ELNS1_3repE0EEENS1_30default_config_static_selectorELNS0_4arch9wavefront6targetE0EEEvT1_
	.p2align	8
	.type	_ZN7rocprim17ROCPRIM_400000_NS6detail17trampoline_kernelINS0_14default_configENS1_25partition_config_selectorILNS1_17partition_subalgoE9EllbEEZZNS1_14partition_implILS5_9ELb0ES3_jPlS8_PNS0_10empty_typeENS0_5tupleIJS8_S9_EEENSB_IJS8_SA_EEENS0_18inequality_wrapperIZN2at6native12_GLOBAL__N_124unique_dim_cuda_templateItEESt5tupleIJNSF_6TensorESK_SK_EERKSK_lbbbEUlllE0_EEPmJS9_EEE10hipError_tPvRmT3_T4_T5_T6_T7_T9_mT8_P12ihipStream_tbDpT10_ENKUlT_T0_E_clISt17integral_constantIbLb1EES1A_EEDaS15_S16_EUlS15_E_NS1_11comp_targetILNS1_3genE0ELNS1_11target_archE4294967295ELNS1_3gpuE0ELNS1_3repE0EEENS1_30default_config_static_selectorELNS0_4arch9wavefront6targetE0EEEvT1_,@function
_ZN7rocprim17ROCPRIM_400000_NS6detail17trampoline_kernelINS0_14default_configENS1_25partition_config_selectorILNS1_17partition_subalgoE9EllbEEZZNS1_14partition_implILS5_9ELb0ES3_jPlS8_PNS0_10empty_typeENS0_5tupleIJS8_S9_EEENSB_IJS8_SA_EEENS0_18inequality_wrapperIZN2at6native12_GLOBAL__N_124unique_dim_cuda_templateItEESt5tupleIJNSF_6TensorESK_SK_EERKSK_lbbbEUlllE0_EEPmJS9_EEE10hipError_tPvRmT3_T4_T5_T6_T7_T9_mT8_P12ihipStream_tbDpT10_ENKUlT_T0_E_clISt17integral_constantIbLb1EES1A_EEDaS15_S16_EUlS15_E_NS1_11comp_targetILNS1_3genE0ELNS1_11target_archE4294967295ELNS1_3gpuE0ELNS1_3repE0EEENS1_30default_config_static_selectorELNS0_4arch9wavefront6targetE0EEEvT1_: ; @_ZN7rocprim17ROCPRIM_400000_NS6detail17trampoline_kernelINS0_14default_configENS1_25partition_config_selectorILNS1_17partition_subalgoE9EllbEEZZNS1_14partition_implILS5_9ELb0ES3_jPlS8_PNS0_10empty_typeENS0_5tupleIJS8_S9_EEENSB_IJS8_SA_EEENS0_18inequality_wrapperIZN2at6native12_GLOBAL__N_124unique_dim_cuda_templateItEESt5tupleIJNSF_6TensorESK_SK_EERKSK_lbbbEUlllE0_EEPmJS9_EEE10hipError_tPvRmT3_T4_T5_T6_T7_T9_mT8_P12ihipStream_tbDpT10_ENKUlT_T0_E_clISt17integral_constantIbLb1EES1A_EEDaS15_S16_EUlS15_E_NS1_11comp_targetILNS1_3genE0ELNS1_11target_archE4294967295ELNS1_3gpuE0ELNS1_3repE0EEENS1_30default_config_static_selectorELNS0_4arch9wavefront6targetE0EEEvT1_
; %bb.0:
	.section	.rodata,"a",@progbits
	.p2align	6, 0x0
	.amdhsa_kernel _ZN7rocprim17ROCPRIM_400000_NS6detail17trampoline_kernelINS0_14default_configENS1_25partition_config_selectorILNS1_17partition_subalgoE9EllbEEZZNS1_14partition_implILS5_9ELb0ES3_jPlS8_PNS0_10empty_typeENS0_5tupleIJS8_S9_EEENSB_IJS8_SA_EEENS0_18inequality_wrapperIZN2at6native12_GLOBAL__N_124unique_dim_cuda_templateItEESt5tupleIJNSF_6TensorESK_SK_EERKSK_lbbbEUlllE0_EEPmJS9_EEE10hipError_tPvRmT3_T4_T5_T6_T7_T9_mT8_P12ihipStream_tbDpT10_ENKUlT_T0_E_clISt17integral_constantIbLb1EES1A_EEDaS15_S16_EUlS15_E_NS1_11comp_targetILNS1_3genE0ELNS1_11target_archE4294967295ELNS1_3gpuE0ELNS1_3repE0EEENS1_30default_config_static_selectorELNS0_4arch9wavefront6targetE0EEEvT1_
		.amdhsa_group_segment_fixed_size 0
		.amdhsa_private_segment_fixed_size 0
		.amdhsa_kernarg_size 136
		.amdhsa_user_sgpr_count 15
		.amdhsa_user_sgpr_dispatch_ptr 0
		.amdhsa_user_sgpr_queue_ptr 0
		.amdhsa_user_sgpr_kernarg_segment_ptr 1
		.amdhsa_user_sgpr_dispatch_id 0
		.amdhsa_user_sgpr_private_segment_size 0
		.amdhsa_wavefront_size32 1
		.amdhsa_uses_dynamic_stack 0
		.amdhsa_enable_private_segment 0
		.amdhsa_system_sgpr_workgroup_id_x 1
		.amdhsa_system_sgpr_workgroup_id_y 0
		.amdhsa_system_sgpr_workgroup_id_z 0
		.amdhsa_system_sgpr_workgroup_info 0
		.amdhsa_system_vgpr_workitem_id 0
		.amdhsa_next_free_vgpr 1
		.amdhsa_next_free_sgpr 1
		.amdhsa_reserve_vcc 0
		.amdhsa_float_round_mode_32 0
		.amdhsa_float_round_mode_16_64 0
		.amdhsa_float_denorm_mode_32 3
		.amdhsa_float_denorm_mode_16_64 3
		.amdhsa_dx10_clamp 1
		.amdhsa_ieee_mode 1
		.amdhsa_fp16_overflow 0
		.amdhsa_workgroup_processor_mode 1
		.amdhsa_memory_ordered 1
		.amdhsa_forward_progress 0
		.amdhsa_shared_vgpr_count 0
		.amdhsa_exception_fp_ieee_invalid_op 0
		.amdhsa_exception_fp_denorm_src 0
		.amdhsa_exception_fp_ieee_div_zero 0
		.amdhsa_exception_fp_ieee_overflow 0
		.amdhsa_exception_fp_ieee_underflow 0
		.amdhsa_exception_fp_ieee_inexact 0
		.amdhsa_exception_int_div_zero 0
	.end_amdhsa_kernel
	.section	.text._ZN7rocprim17ROCPRIM_400000_NS6detail17trampoline_kernelINS0_14default_configENS1_25partition_config_selectorILNS1_17partition_subalgoE9EllbEEZZNS1_14partition_implILS5_9ELb0ES3_jPlS8_PNS0_10empty_typeENS0_5tupleIJS8_S9_EEENSB_IJS8_SA_EEENS0_18inequality_wrapperIZN2at6native12_GLOBAL__N_124unique_dim_cuda_templateItEESt5tupleIJNSF_6TensorESK_SK_EERKSK_lbbbEUlllE0_EEPmJS9_EEE10hipError_tPvRmT3_T4_T5_T6_T7_T9_mT8_P12ihipStream_tbDpT10_ENKUlT_T0_E_clISt17integral_constantIbLb1EES1A_EEDaS15_S16_EUlS15_E_NS1_11comp_targetILNS1_3genE0ELNS1_11target_archE4294967295ELNS1_3gpuE0ELNS1_3repE0EEENS1_30default_config_static_selectorELNS0_4arch9wavefront6targetE0EEEvT1_,"axG",@progbits,_ZN7rocprim17ROCPRIM_400000_NS6detail17trampoline_kernelINS0_14default_configENS1_25partition_config_selectorILNS1_17partition_subalgoE9EllbEEZZNS1_14partition_implILS5_9ELb0ES3_jPlS8_PNS0_10empty_typeENS0_5tupleIJS8_S9_EEENSB_IJS8_SA_EEENS0_18inequality_wrapperIZN2at6native12_GLOBAL__N_124unique_dim_cuda_templateItEESt5tupleIJNSF_6TensorESK_SK_EERKSK_lbbbEUlllE0_EEPmJS9_EEE10hipError_tPvRmT3_T4_T5_T6_T7_T9_mT8_P12ihipStream_tbDpT10_ENKUlT_T0_E_clISt17integral_constantIbLb1EES1A_EEDaS15_S16_EUlS15_E_NS1_11comp_targetILNS1_3genE0ELNS1_11target_archE4294967295ELNS1_3gpuE0ELNS1_3repE0EEENS1_30default_config_static_selectorELNS0_4arch9wavefront6targetE0EEEvT1_,comdat
.Lfunc_end1457:
	.size	_ZN7rocprim17ROCPRIM_400000_NS6detail17trampoline_kernelINS0_14default_configENS1_25partition_config_selectorILNS1_17partition_subalgoE9EllbEEZZNS1_14partition_implILS5_9ELb0ES3_jPlS8_PNS0_10empty_typeENS0_5tupleIJS8_S9_EEENSB_IJS8_SA_EEENS0_18inequality_wrapperIZN2at6native12_GLOBAL__N_124unique_dim_cuda_templateItEESt5tupleIJNSF_6TensorESK_SK_EERKSK_lbbbEUlllE0_EEPmJS9_EEE10hipError_tPvRmT3_T4_T5_T6_T7_T9_mT8_P12ihipStream_tbDpT10_ENKUlT_T0_E_clISt17integral_constantIbLb1EES1A_EEDaS15_S16_EUlS15_E_NS1_11comp_targetILNS1_3genE0ELNS1_11target_archE4294967295ELNS1_3gpuE0ELNS1_3repE0EEENS1_30default_config_static_selectorELNS0_4arch9wavefront6targetE0EEEvT1_, .Lfunc_end1457-_ZN7rocprim17ROCPRIM_400000_NS6detail17trampoline_kernelINS0_14default_configENS1_25partition_config_selectorILNS1_17partition_subalgoE9EllbEEZZNS1_14partition_implILS5_9ELb0ES3_jPlS8_PNS0_10empty_typeENS0_5tupleIJS8_S9_EEENSB_IJS8_SA_EEENS0_18inequality_wrapperIZN2at6native12_GLOBAL__N_124unique_dim_cuda_templateItEESt5tupleIJNSF_6TensorESK_SK_EERKSK_lbbbEUlllE0_EEPmJS9_EEE10hipError_tPvRmT3_T4_T5_T6_T7_T9_mT8_P12ihipStream_tbDpT10_ENKUlT_T0_E_clISt17integral_constantIbLb1EES1A_EEDaS15_S16_EUlS15_E_NS1_11comp_targetILNS1_3genE0ELNS1_11target_archE4294967295ELNS1_3gpuE0ELNS1_3repE0EEENS1_30default_config_static_selectorELNS0_4arch9wavefront6targetE0EEEvT1_
                                        ; -- End function
	.section	.AMDGPU.csdata,"",@progbits
; Kernel info:
; codeLenInByte = 0
; NumSgprs: 0
; NumVgprs: 0
; ScratchSize: 0
; MemoryBound: 0
; FloatMode: 240
; IeeeMode: 1
; LDSByteSize: 0 bytes/workgroup (compile time only)
; SGPRBlocks: 0
; VGPRBlocks: 0
; NumSGPRsForWavesPerEU: 1
; NumVGPRsForWavesPerEU: 1
; Occupancy: 16
; WaveLimiterHint : 0
; COMPUTE_PGM_RSRC2:SCRATCH_EN: 0
; COMPUTE_PGM_RSRC2:USER_SGPR: 15
; COMPUTE_PGM_RSRC2:TRAP_HANDLER: 0
; COMPUTE_PGM_RSRC2:TGID_X_EN: 1
; COMPUTE_PGM_RSRC2:TGID_Y_EN: 0
; COMPUTE_PGM_RSRC2:TGID_Z_EN: 0
; COMPUTE_PGM_RSRC2:TIDIG_COMP_CNT: 0
	.section	.text._ZN7rocprim17ROCPRIM_400000_NS6detail17trampoline_kernelINS0_14default_configENS1_25partition_config_selectorILNS1_17partition_subalgoE9EllbEEZZNS1_14partition_implILS5_9ELb0ES3_jPlS8_PNS0_10empty_typeENS0_5tupleIJS8_S9_EEENSB_IJS8_SA_EEENS0_18inequality_wrapperIZN2at6native12_GLOBAL__N_124unique_dim_cuda_templateItEESt5tupleIJNSF_6TensorESK_SK_EERKSK_lbbbEUlllE0_EEPmJS9_EEE10hipError_tPvRmT3_T4_T5_T6_T7_T9_mT8_P12ihipStream_tbDpT10_ENKUlT_T0_E_clISt17integral_constantIbLb1EES1A_EEDaS15_S16_EUlS15_E_NS1_11comp_targetILNS1_3genE5ELNS1_11target_archE942ELNS1_3gpuE9ELNS1_3repE0EEENS1_30default_config_static_selectorELNS0_4arch9wavefront6targetE0EEEvT1_,"axG",@progbits,_ZN7rocprim17ROCPRIM_400000_NS6detail17trampoline_kernelINS0_14default_configENS1_25partition_config_selectorILNS1_17partition_subalgoE9EllbEEZZNS1_14partition_implILS5_9ELb0ES3_jPlS8_PNS0_10empty_typeENS0_5tupleIJS8_S9_EEENSB_IJS8_SA_EEENS0_18inequality_wrapperIZN2at6native12_GLOBAL__N_124unique_dim_cuda_templateItEESt5tupleIJNSF_6TensorESK_SK_EERKSK_lbbbEUlllE0_EEPmJS9_EEE10hipError_tPvRmT3_T4_T5_T6_T7_T9_mT8_P12ihipStream_tbDpT10_ENKUlT_T0_E_clISt17integral_constantIbLb1EES1A_EEDaS15_S16_EUlS15_E_NS1_11comp_targetILNS1_3genE5ELNS1_11target_archE942ELNS1_3gpuE9ELNS1_3repE0EEENS1_30default_config_static_selectorELNS0_4arch9wavefront6targetE0EEEvT1_,comdat
	.globl	_ZN7rocprim17ROCPRIM_400000_NS6detail17trampoline_kernelINS0_14default_configENS1_25partition_config_selectorILNS1_17partition_subalgoE9EllbEEZZNS1_14partition_implILS5_9ELb0ES3_jPlS8_PNS0_10empty_typeENS0_5tupleIJS8_S9_EEENSB_IJS8_SA_EEENS0_18inequality_wrapperIZN2at6native12_GLOBAL__N_124unique_dim_cuda_templateItEESt5tupleIJNSF_6TensorESK_SK_EERKSK_lbbbEUlllE0_EEPmJS9_EEE10hipError_tPvRmT3_T4_T5_T6_T7_T9_mT8_P12ihipStream_tbDpT10_ENKUlT_T0_E_clISt17integral_constantIbLb1EES1A_EEDaS15_S16_EUlS15_E_NS1_11comp_targetILNS1_3genE5ELNS1_11target_archE942ELNS1_3gpuE9ELNS1_3repE0EEENS1_30default_config_static_selectorELNS0_4arch9wavefront6targetE0EEEvT1_ ; -- Begin function _ZN7rocprim17ROCPRIM_400000_NS6detail17trampoline_kernelINS0_14default_configENS1_25partition_config_selectorILNS1_17partition_subalgoE9EllbEEZZNS1_14partition_implILS5_9ELb0ES3_jPlS8_PNS0_10empty_typeENS0_5tupleIJS8_S9_EEENSB_IJS8_SA_EEENS0_18inequality_wrapperIZN2at6native12_GLOBAL__N_124unique_dim_cuda_templateItEESt5tupleIJNSF_6TensorESK_SK_EERKSK_lbbbEUlllE0_EEPmJS9_EEE10hipError_tPvRmT3_T4_T5_T6_T7_T9_mT8_P12ihipStream_tbDpT10_ENKUlT_T0_E_clISt17integral_constantIbLb1EES1A_EEDaS15_S16_EUlS15_E_NS1_11comp_targetILNS1_3genE5ELNS1_11target_archE942ELNS1_3gpuE9ELNS1_3repE0EEENS1_30default_config_static_selectorELNS0_4arch9wavefront6targetE0EEEvT1_
	.p2align	8
	.type	_ZN7rocprim17ROCPRIM_400000_NS6detail17trampoline_kernelINS0_14default_configENS1_25partition_config_selectorILNS1_17partition_subalgoE9EllbEEZZNS1_14partition_implILS5_9ELb0ES3_jPlS8_PNS0_10empty_typeENS0_5tupleIJS8_S9_EEENSB_IJS8_SA_EEENS0_18inequality_wrapperIZN2at6native12_GLOBAL__N_124unique_dim_cuda_templateItEESt5tupleIJNSF_6TensorESK_SK_EERKSK_lbbbEUlllE0_EEPmJS9_EEE10hipError_tPvRmT3_T4_T5_T6_T7_T9_mT8_P12ihipStream_tbDpT10_ENKUlT_T0_E_clISt17integral_constantIbLb1EES1A_EEDaS15_S16_EUlS15_E_NS1_11comp_targetILNS1_3genE5ELNS1_11target_archE942ELNS1_3gpuE9ELNS1_3repE0EEENS1_30default_config_static_selectorELNS0_4arch9wavefront6targetE0EEEvT1_,@function
_ZN7rocprim17ROCPRIM_400000_NS6detail17trampoline_kernelINS0_14default_configENS1_25partition_config_selectorILNS1_17partition_subalgoE9EllbEEZZNS1_14partition_implILS5_9ELb0ES3_jPlS8_PNS0_10empty_typeENS0_5tupleIJS8_S9_EEENSB_IJS8_SA_EEENS0_18inequality_wrapperIZN2at6native12_GLOBAL__N_124unique_dim_cuda_templateItEESt5tupleIJNSF_6TensorESK_SK_EERKSK_lbbbEUlllE0_EEPmJS9_EEE10hipError_tPvRmT3_T4_T5_T6_T7_T9_mT8_P12ihipStream_tbDpT10_ENKUlT_T0_E_clISt17integral_constantIbLb1EES1A_EEDaS15_S16_EUlS15_E_NS1_11comp_targetILNS1_3genE5ELNS1_11target_archE942ELNS1_3gpuE9ELNS1_3repE0EEENS1_30default_config_static_selectorELNS0_4arch9wavefront6targetE0EEEvT1_: ; @_ZN7rocprim17ROCPRIM_400000_NS6detail17trampoline_kernelINS0_14default_configENS1_25partition_config_selectorILNS1_17partition_subalgoE9EllbEEZZNS1_14partition_implILS5_9ELb0ES3_jPlS8_PNS0_10empty_typeENS0_5tupleIJS8_S9_EEENSB_IJS8_SA_EEENS0_18inequality_wrapperIZN2at6native12_GLOBAL__N_124unique_dim_cuda_templateItEESt5tupleIJNSF_6TensorESK_SK_EERKSK_lbbbEUlllE0_EEPmJS9_EEE10hipError_tPvRmT3_T4_T5_T6_T7_T9_mT8_P12ihipStream_tbDpT10_ENKUlT_T0_E_clISt17integral_constantIbLb1EES1A_EEDaS15_S16_EUlS15_E_NS1_11comp_targetILNS1_3genE5ELNS1_11target_archE942ELNS1_3gpuE9ELNS1_3repE0EEENS1_30default_config_static_selectorELNS0_4arch9wavefront6targetE0EEEvT1_
; %bb.0:
	.section	.rodata,"a",@progbits
	.p2align	6, 0x0
	.amdhsa_kernel _ZN7rocprim17ROCPRIM_400000_NS6detail17trampoline_kernelINS0_14default_configENS1_25partition_config_selectorILNS1_17partition_subalgoE9EllbEEZZNS1_14partition_implILS5_9ELb0ES3_jPlS8_PNS0_10empty_typeENS0_5tupleIJS8_S9_EEENSB_IJS8_SA_EEENS0_18inequality_wrapperIZN2at6native12_GLOBAL__N_124unique_dim_cuda_templateItEESt5tupleIJNSF_6TensorESK_SK_EERKSK_lbbbEUlllE0_EEPmJS9_EEE10hipError_tPvRmT3_T4_T5_T6_T7_T9_mT8_P12ihipStream_tbDpT10_ENKUlT_T0_E_clISt17integral_constantIbLb1EES1A_EEDaS15_S16_EUlS15_E_NS1_11comp_targetILNS1_3genE5ELNS1_11target_archE942ELNS1_3gpuE9ELNS1_3repE0EEENS1_30default_config_static_selectorELNS0_4arch9wavefront6targetE0EEEvT1_
		.amdhsa_group_segment_fixed_size 0
		.amdhsa_private_segment_fixed_size 0
		.amdhsa_kernarg_size 136
		.amdhsa_user_sgpr_count 15
		.amdhsa_user_sgpr_dispatch_ptr 0
		.amdhsa_user_sgpr_queue_ptr 0
		.amdhsa_user_sgpr_kernarg_segment_ptr 1
		.amdhsa_user_sgpr_dispatch_id 0
		.amdhsa_user_sgpr_private_segment_size 0
		.amdhsa_wavefront_size32 1
		.amdhsa_uses_dynamic_stack 0
		.amdhsa_enable_private_segment 0
		.amdhsa_system_sgpr_workgroup_id_x 1
		.amdhsa_system_sgpr_workgroup_id_y 0
		.amdhsa_system_sgpr_workgroup_id_z 0
		.amdhsa_system_sgpr_workgroup_info 0
		.amdhsa_system_vgpr_workitem_id 0
		.amdhsa_next_free_vgpr 1
		.amdhsa_next_free_sgpr 1
		.amdhsa_reserve_vcc 0
		.amdhsa_float_round_mode_32 0
		.amdhsa_float_round_mode_16_64 0
		.amdhsa_float_denorm_mode_32 3
		.amdhsa_float_denorm_mode_16_64 3
		.amdhsa_dx10_clamp 1
		.amdhsa_ieee_mode 1
		.amdhsa_fp16_overflow 0
		.amdhsa_workgroup_processor_mode 1
		.amdhsa_memory_ordered 1
		.amdhsa_forward_progress 0
		.amdhsa_shared_vgpr_count 0
		.amdhsa_exception_fp_ieee_invalid_op 0
		.amdhsa_exception_fp_denorm_src 0
		.amdhsa_exception_fp_ieee_div_zero 0
		.amdhsa_exception_fp_ieee_overflow 0
		.amdhsa_exception_fp_ieee_underflow 0
		.amdhsa_exception_fp_ieee_inexact 0
		.amdhsa_exception_int_div_zero 0
	.end_amdhsa_kernel
	.section	.text._ZN7rocprim17ROCPRIM_400000_NS6detail17trampoline_kernelINS0_14default_configENS1_25partition_config_selectorILNS1_17partition_subalgoE9EllbEEZZNS1_14partition_implILS5_9ELb0ES3_jPlS8_PNS0_10empty_typeENS0_5tupleIJS8_S9_EEENSB_IJS8_SA_EEENS0_18inequality_wrapperIZN2at6native12_GLOBAL__N_124unique_dim_cuda_templateItEESt5tupleIJNSF_6TensorESK_SK_EERKSK_lbbbEUlllE0_EEPmJS9_EEE10hipError_tPvRmT3_T4_T5_T6_T7_T9_mT8_P12ihipStream_tbDpT10_ENKUlT_T0_E_clISt17integral_constantIbLb1EES1A_EEDaS15_S16_EUlS15_E_NS1_11comp_targetILNS1_3genE5ELNS1_11target_archE942ELNS1_3gpuE9ELNS1_3repE0EEENS1_30default_config_static_selectorELNS0_4arch9wavefront6targetE0EEEvT1_,"axG",@progbits,_ZN7rocprim17ROCPRIM_400000_NS6detail17trampoline_kernelINS0_14default_configENS1_25partition_config_selectorILNS1_17partition_subalgoE9EllbEEZZNS1_14partition_implILS5_9ELb0ES3_jPlS8_PNS0_10empty_typeENS0_5tupleIJS8_S9_EEENSB_IJS8_SA_EEENS0_18inequality_wrapperIZN2at6native12_GLOBAL__N_124unique_dim_cuda_templateItEESt5tupleIJNSF_6TensorESK_SK_EERKSK_lbbbEUlllE0_EEPmJS9_EEE10hipError_tPvRmT3_T4_T5_T6_T7_T9_mT8_P12ihipStream_tbDpT10_ENKUlT_T0_E_clISt17integral_constantIbLb1EES1A_EEDaS15_S16_EUlS15_E_NS1_11comp_targetILNS1_3genE5ELNS1_11target_archE942ELNS1_3gpuE9ELNS1_3repE0EEENS1_30default_config_static_selectorELNS0_4arch9wavefront6targetE0EEEvT1_,comdat
.Lfunc_end1458:
	.size	_ZN7rocprim17ROCPRIM_400000_NS6detail17trampoline_kernelINS0_14default_configENS1_25partition_config_selectorILNS1_17partition_subalgoE9EllbEEZZNS1_14partition_implILS5_9ELb0ES3_jPlS8_PNS0_10empty_typeENS0_5tupleIJS8_S9_EEENSB_IJS8_SA_EEENS0_18inequality_wrapperIZN2at6native12_GLOBAL__N_124unique_dim_cuda_templateItEESt5tupleIJNSF_6TensorESK_SK_EERKSK_lbbbEUlllE0_EEPmJS9_EEE10hipError_tPvRmT3_T4_T5_T6_T7_T9_mT8_P12ihipStream_tbDpT10_ENKUlT_T0_E_clISt17integral_constantIbLb1EES1A_EEDaS15_S16_EUlS15_E_NS1_11comp_targetILNS1_3genE5ELNS1_11target_archE942ELNS1_3gpuE9ELNS1_3repE0EEENS1_30default_config_static_selectorELNS0_4arch9wavefront6targetE0EEEvT1_, .Lfunc_end1458-_ZN7rocprim17ROCPRIM_400000_NS6detail17trampoline_kernelINS0_14default_configENS1_25partition_config_selectorILNS1_17partition_subalgoE9EllbEEZZNS1_14partition_implILS5_9ELb0ES3_jPlS8_PNS0_10empty_typeENS0_5tupleIJS8_S9_EEENSB_IJS8_SA_EEENS0_18inequality_wrapperIZN2at6native12_GLOBAL__N_124unique_dim_cuda_templateItEESt5tupleIJNSF_6TensorESK_SK_EERKSK_lbbbEUlllE0_EEPmJS9_EEE10hipError_tPvRmT3_T4_T5_T6_T7_T9_mT8_P12ihipStream_tbDpT10_ENKUlT_T0_E_clISt17integral_constantIbLb1EES1A_EEDaS15_S16_EUlS15_E_NS1_11comp_targetILNS1_3genE5ELNS1_11target_archE942ELNS1_3gpuE9ELNS1_3repE0EEENS1_30default_config_static_selectorELNS0_4arch9wavefront6targetE0EEEvT1_
                                        ; -- End function
	.section	.AMDGPU.csdata,"",@progbits
; Kernel info:
; codeLenInByte = 0
; NumSgprs: 0
; NumVgprs: 0
; ScratchSize: 0
; MemoryBound: 0
; FloatMode: 240
; IeeeMode: 1
; LDSByteSize: 0 bytes/workgroup (compile time only)
; SGPRBlocks: 0
; VGPRBlocks: 0
; NumSGPRsForWavesPerEU: 1
; NumVGPRsForWavesPerEU: 1
; Occupancy: 16
; WaveLimiterHint : 0
; COMPUTE_PGM_RSRC2:SCRATCH_EN: 0
; COMPUTE_PGM_RSRC2:USER_SGPR: 15
; COMPUTE_PGM_RSRC2:TRAP_HANDLER: 0
; COMPUTE_PGM_RSRC2:TGID_X_EN: 1
; COMPUTE_PGM_RSRC2:TGID_Y_EN: 0
; COMPUTE_PGM_RSRC2:TGID_Z_EN: 0
; COMPUTE_PGM_RSRC2:TIDIG_COMP_CNT: 0
	.section	.text._ZN7rocprim17ROCPRIM_400000_NS6detail17trampoline_kernelINS0_14default_configENS1_25partition_config_selectorILNS1_17partition_subalgoE9EllbEEZZNS1_14partition_implILS5_9ELb0ES3_jPlS8_PNS0_10empty_typeENS0_5tupleIJS8_S9_EEENSB_IJS8_SA_EEENS0_18inequality_wrapperIZN2at6native12_GLOBAL__N_124unique_dim_cuda_templateItEESt5tupleIJNSF_6TensorESK_SK_EERKSK_lbbbEUlllE0_EEPmJS9_EEE10hipError_tPvRmT3_T4_T5_T6_T7_T9_mT8_P12ihipStream_tbDpT10_ENKUlT_T0_E_clISt17integral_constantIbLb1EES1A_EEDaS15_S16_EUlS15_E_NS1_11comp_targetILNS1_3genE4ELNS1_11target_archE910ELNS1_3gpuE8ELNS1_3repE0EEENS1_30default_config_static_selectorELNS0_4arch9wavefront6targetE0EEEvT1_,"axG",@progbits,_ZN7rocprim17ROCPRIM_400000_NS6detail17trampoline_kernelINS0_14default_configENS1_25partition_config_selectorILNS1_17partition_subalgoE9EllbEEZZNS1_14partition_implILS5_9ELb0ES3_jPlS8_PNS0_10empty_typeENS0_5tupleIJS8_S9_EEENSB_IJS8_SA_EEENS0_18inequality_wrapperIZN2at6native12_GLOBAL__N_124unique_dim_cuda_templateItEESt5tupleIJNSF_6TensorESK_SK_EERKSK_lbbbEUlllE0_EEPmJS9_EEE10hipError_tPvRmT3_T4_T5_T6_T7_T9_mT8_P12ihipStream_tbDpT10_ENKUlT_T0_E_clISt17integral_constantIbLb1EES1A_EEDaS15_S16_EUlS15_E_NS1_11comp_targetILNS1_3genE4ELNS1_11target_archE910ELNS1_3gpuE8ELNS1_3repE0EEENS1_30default_config_static_selectorELNS0_4arch9wavefront6targetE0EEEvT1_,comdat
	.globl	_ZN7rocprim17ROCPRIM_400000_NS6detail17trampoline_kernelINS0_14default_configENS1_25partition_config_selectorILNS1_17partition_subalgoE9EllbEEZZNS1_14partition_implILS5_9ELb0ES3_jPlS8_PNS0_10empty_typeENS0_5tupleIJS8_S9_EEENSB_IJS8_SA_EEENS0_18inequality_wrapperIZN2at6native12_GLOBAL__N_124unique_dim_cuda_templateItEESt5tupleIJNSF_6TensorESK_SK_EERKSK_lbbbEUlllE0_EEPmJS9_EEE10hipError_tPvRmT3_T4_T5_T6_T7_T9_mT8_P12ihipStream_tbDpT10_ENKUlT_T0_E_clISt17integral_constantIbLb1EES1A_EEDaS15_S16_EUlS15_E_NS1_11comp_targetILNS1_3genE4ELNS1_11target_archE910ELNS1_3gpuE8ELNS1_3repE0EEENS1_30default_config_static_selectorELNS0_4arch9wavefront6targetE0EEEvT1_ ; -- Begin function _ZN7rocprim17ROCPRIM_400000_NS6detail17trampoline_kernelINS0_14default_configENS1_25partition_config_selectorILNS1_17partition_subalgoE9EllbEEZZNS1_14partition_implILS5_9ELb0ES3_jPlS8_PNS0_10empty_typeENS0_5tupleIJS8_S9_EEENSB_IJS8_SA_EEENS0_18inequality_wrapperIZN2at6native12_GLOBAL__N_124unique_dim_cuda_templateItEESt5tupleIJNSF_6TensorESK_SK_EERKSK_lbbbEUlllE0_EEPmJS9_EEE10hipError_tPvRmT3_T4_T5_T6_T7_T9_mT8_P12ihipStream_tbDpT10_ENKUlT_T0_E_clISt17integral_constantIbLb1EES1A_EEDaS15_S16_EUlS15_E_NS1_11comp_targetILNS1_3genE4ELNS1_11target_archE910ELNS1_3gpuE8ELNS1_3repE0EEENS1_30default_config_static_selectorELNS0_4arch9wavefront6targetE0EEEvT1_
	.p2align	8
	.type	_ZN7rocprim17ROCPRIM_400000_NS6detail17trampoline_kernelINS0_14default_configENS1_25partition_config_selectorILNS1_17partition_subalgoE9EllbEEZZNS1_14partition_implILS5_9ELb0ES3_jPlS8_PNS0_10empty_typeENS0_5tupleIJS8_S9_EEENSB_IJS8_SA_EEENS0_18inequality_wrapperIZN2at6native12_GLOBAL__N_124unique_dim_cuda_templateItEESt5tupleIJNSF_6TensorESK_SK_EERKSK_lbbbEUlllE0_EEPmJS9_EEE10hipError_tPvRmT3_T4_T5_T6_T7_T9_mT8_P12ihipStream_tbDpT10_ENKUlT_T0_E_clISt17integral_constantIbLb1EES1A_EEDaS15_S16_EUlS15_E_NS1_11comp_targetILNS1_3genE4ELNS1_11target_archE910ELNS1_3gpuE8ELNS1_3repE0EEENS1_30default_config_static_selectorELNS0_4arch9wavefront6targetE0EEEvT1_,@function
_ZN7rocprim17ROCPRIM_400000_NS6detail17trampoline_kernelINS0_14default_configENS1_25partition_config_selectorILNS1_17partition_subalgoE9EllbEEZZNS1_14partition_implILS5_9ELb0ES3_jPlS8_PNS0_10empty_typeENS0_5tupleIJS8_S9_EEENSB_IJS8_SA_EEENS0_18inequality_wrapperIZN2at6native12_GLOBAL__N_124unique_dim_cuda_templateItEESt5tupleIJNSF_6TensorESK_SK_EERKSK_lbbbEUlllE0_EEPmJS9_EEE10hipError_tPvRmT3_T4_T5_T6_T7_T9_mT8_P12ihipStream_tbDpT10_ENKUlT_T0_E_clISt17integral_constantIbLb1EES1A_EEDaS15_S16_EUlS15_E_NS1_11comp_targetILNS1_3genE4ELNS1_11target_archE910ELNS1_3gpuE8ELNS1_3repE0EEENS1_30default_config_static_selectorELNS0_4arch9wavefront6targetE0EEEvT1_: ; @_ZN7rocprim17ROCPRIM_400000_NS6detail17trampoline_kernelINS0_14default_configENS1_25partition_config_selectorILNS1_17partition_subalgoE9EllbEEZZNS1_14partition_implILS5_9ELb0ES3_jPlS8_PNS0_10empty_typeENS0_5tupleIJS8_S9_EEENSB_IJS8_SA_EEENS0_18inequality_wrapperIZN2at6native12_GLOBAL__N_124unique_dim_cuda_templateItEESt5tupleIJNSF_6TensorESK_SK_EERKSK_lbbbEUlllE0_EEPmJS9_EEE10hipError_tPvRmT3_T4_T5_T6_T7_T9_mT8_P12ihipStream_tbDpT10_ENKUlT_T0_E_clISt17integral_constantIbLb1EES1A_EEDaS15_S16_EUlS15_E_NS1_11comp_targetILNS1_3genE4ELNS1_11target_archE910ELNS1_3gpuE8ELNS1_3repE0EEENS1_30default_config_static_selectorELNS0_4arch9wavefront6targetE0EEEvT1_
; %bb.0:
	.section	.rodata,"a",@progbits
	.p2align	6, 0x0
	.amdhsa_kernel _ZN7rocprim17ROCPRIM_400000_NS6detail17trampoline_kernelINS0_14default_configENS1_25partition_config_selectorILNS1_17partition_subalgoE9EllbEEZZNS1_14partition_implILS5_9ELb0ES3_jPlS8_PNS0_10empty_typeENS0_5tupleIJS8_S9_EEENSB_IJS8_SA_EEENS0_18inequality_wrapperIZN2at6native12_GLOBAL__N_124unique_dim_cuda_templateItEESt5tupleIJNSF_6TensorESK_SK_EERKSK_lbbbEUlllE0_EEPmJS9_EEE10hipError_tPvRmT3_T4_T5_T6_T7_T9_mT8_P12ihipStream_tbDpT10_ENKUlT_T0_E_clISt17integral_constantIbLb1EES1A_EEDaS15_S16_EUlS15_E_NS1_11comp_targetILNS1_3genE4ELNS1_11target_archE910ELNS1_3gpuE8ELNS1_3repE0EEENS1_30default_config_static_selectorELNS0_4arch9wavefront6targetE0EEEvT1_
		.amdhsa_group_segment_fixed_size 0
		.amdhsa_private_segment_fixed_size 0
		.amdhsa_kernarg_size 136
		.amdhsa_user_sgpr_count 15
		.amdhsa_user_sgpr_dispatch_ptr 0
		.amdhsa_user_sgpr_queue_ptr 0
		.amdhsa_user_sgpr_kernarg_segment_ptr 1
		.amdhsa_user_sgpr_dispatch_id 0
		.amdhsa_user_sgpr_private_segment_size 0
		.amdhsa_wavefront_size32 1
		.amdhsa_uses_dynamic_stack 0
		.amdhsa_enable_private_segment 0
		.amdhsa_system_sgpr_workgroup_id_x 1
		.amdhsa_system_sgpr_workgroup_id_y 0
		.amdhsa_system_sgpr_workgroup_id_z 0
		.amdhsa_system_sgpr_workgroup_info 0
		.amdhsa_system_vgpr_workitem_id 0
		.amdhsa_next_free_vgpr 1
		.amdhsa_next_free_sgpr 1
		.amdhsa_reserve_vcc 0
		.amdhsa_float_round_mode_32 0
		.amdhsa_float_round_mode_16_64 0
		.amdhsa_float_denorm_mode_32 3
		.amdhsa_float_denorm_mode_16_64 3
		.amdhsa_dx10_clamp 1
		.amdhsa_ieee_mode 1
		.amdhsa_fp16_overflow 0
		.amdhsa_workgroup_processor_mode 1
		.amdhsa_memory_ordered 1
		.amdhsa_forward_progress 0
		.amdhsa_shared_vgpr_count 0
		.amdhsa_exception_fp_ieee_invalid_op 0
		.amdhsa_exception_fp_denorm_src 0
		.amdhsa_exception_fp_ieee_div_zero 0
		.amdhsa_exception_fp_ieee_overflow 0
		.amdhsa_exception_fp_ieee_underflow 0
		.amdhsa_exception_fp_ieee_inexact 0
		.amdhsa_exception_int_div_zero 0
	.end_amdhsa_kernel
	.section	.text._ZN7rocprim17ROCPRIM_400000_NS6detail17trampoline_kernelINS0_14default_configENS1_25partition_config_selectorILNS1_17partition_subalgoE9EllbEEZZNS1_14partition_implILS5_9ELb0ES3_jPlS8_PNS0_10empty_typeENS0_5tupleIJS8_S9_EEENSB_IJS8_SA_EEENS0_18inequality_wrapperIZN2at6native12_GLOBAL__N_124unique_dim_cuda_templateItEESt5tupleIJNSF_6TensorESK_SK_EERKSK_lbbbEUlllE0_EEPmJS9_EEE10hipError_tPvRmT3_T4_T5_T6_T7_T9_mT8_P12ihipStream_tbDpT10_ENKUlT_T0_E_clISt17integral_constantIbLb1EES1A_EEDaS15_S16_EUlS15_E_NS1_11comp_targetILNS1_3genE4ELNS1_11target_archE910ELNS1_3gpuE8ELNS1_3repE0EEENS1_30default_config_static_selectorELNS0_4arch9wavefront6targetE0EEEvT1_,"axG",@progbits,_ZN7rocprim17ROCPRIM_400000_NS6detail17trampoline_kernelINS0_14default_configENS1_25partition_config_selectorILNS1_17partition_subalgoE9EllbEEZZNS1_14partition_implILS5_9ELb0ES3_jPlS8_PNS0_10empty_typeENS0_5tupleIJS8_S9_EEENSB_IJS8_SA_EEENS0_18inequality_wrapperIZN2at6native12_GLOBAL__N_124unique_dim_cuda_templateItEESt5tupleIJNSF_6TensorESK_SK_EERKSK_lbbbEUlllE0_EEPmJS9_EEE10hipError_tPvRmT3_T4_T5_T6_T7_T9_mT8_P12ihipStream_tbDpT10_ENKUlT_T0_E_clISt17integral_constantIbLb1EES1A_EEDaS15_S16_EUlS15_E_NS1_11comp_targetILNS1_3genE4ELNS1_11target_archE910ELNS1_3gpuE8ELNS1_3repE0EEENS1_30default_config_static_selectorELNS0_4arch9wavefront6targetE0EEEvT1_,comdat
.Lfunc_end1459:
	.size	_ZN7rocprim17ROCPRIM_400000_NS6detail17trampoline_kernelINS0_14default_configENS1_25partition_config_selectorILNS1_17partition_subalgoE9EllbEEZZNS1_14partition_implILS5_9ELb0ES3_jPlS8_PNS0_10empty_typeENS0_5tupleIJS8_S9_EEENSB_IJS8_SA_EEENS0_18inequality_wrapperIZN2at6native12_GLOBAL__N_124unique_dim_cuda_templateItEESt5tupleIJNSF_6TensorESK_SK_EERKSK_lbbbEUlllE0_EEPmJS9_EEE10hipError_tPvRmT3_T4_T5_T6_T7_T9_mT8_P12ihipStream_tbDpT10_ENKUlT_T0_E_clISt17integral_constantIbLb1EES1A_EEDaS15_S16_EUlS15_E_NS1_11comp_targetILNS1_3genE4ELNS1_11target_archE910ELNS1_3gpuE8ELNS1_3repE0EEENS1_30default_config_static_selectorELNS0_4arch9wavefront6targetE0EEEvT1_, .Lfunc_end1459-_ZN7rocprim17ROCPRIM_400000_NS6detail17trampoline_kernelINS0_14default_configENS1_25partition_config_selectorILNS1_17partition_subalgoE9EllbEEZZNS1_14partition_implILS5_9ELb0ES3_jPlS8_PNS0_10empty_typeENS0_5tupleIJS8_S9_EEENSB_IJS8_SA_EEENS0_18inequality_wrapperIZN2at6native12_GLOBAL__N_124unique_dim_cuda_templateItEESt5tupleIJNSF_6TensorESK_SK_EERKSK_lbbbEUlllE0_EEPmJS9_EEE10hipError_tPvRmT3_T4_T5_T6_T7_T9_mT8_P12ihipStream_tbDpT10_ENKUlT_T0_E_clISt17integral_constantIbLb1EES1A_EEDaS15_S16_EUlS15_E_NS1_11comp_targetILNS1_3genE4ELNS1_11target_archE910ELNS1_3gpuE8ELNS1_3repE0EEENS1_30default_config_static_selectorELNS0_4arch9wavefront6targetE0EEEvT1_
                                        ; -- End function
	.section	.AMDGPU.csdata,"",@progbits
; Kernel info:
; codeLenInByte = 0
; NumSgprs: 0
; NumVgprs: 0
; ScratchSize: 0
; MemoryBound: 0
; FloatMode: 240
; IeeeMode: 1
; LDSByteSize: 0 bytes/workgroup (compile time only)
; SGPRBlocks: 0
; VGPRBlocks: 0
; NumSGPRsForWavesPerEU: 1
; NumVGPRsForWavesPerEU: 1
; Occupancy: 16
; WaveLimiterHint : 0
; COMPUTE_PGM_RSRC2:SCRATCH_EN: 0
; COMPUTE_PGM_RSRC2:USER_SGPR: 15
; COMPUTE_PGM_RSRC2:TRAP_HANDLER: 0
; COMPUTE_PGM_RSRC2:TGID_X_EN: 1
; COMPUTE_PGM_RSRC2:TGID_Y_EN: 0
; COMPUTE_PGM_RSRC2:TGID_Z_EN: 0
; COMPUTE_PGM_RSRC2:TIDIG_COMP_CNT: 0
	.section	.text._ZN7rocprim17ROCPRIM_400000_NS6detail17trampoline_kernelINS0_14default_configENS1_25partition_config_selectorILNS1_17partition_subalgoE9EllbEEZZNS1_14partition_implILS5_9ELb0ES3_jPlS8_PNS0_10empty_typeENS0_5tupleIJS8_S9_EEENSB_IJS8_SA_EEENS0_18inequality_wrapperIZN2at6native12_GLOBAL__N_124unique_dim_cuda_templateItEESt5tupleIJNSF_6TensorESK_SK_EERKSK_lbbbEUlllE0_EEPmJS9_EEE10hipError_tPvRmT3_T4_T5_T6_T7_T9_mT8_P12ihipStream_tbDpT10_ENKUlT_T0_E_clISt17integral_constantIbLb1EES1A_EEDaS15_S16_EUlS15_E_NS1_11comp_targetILNS1_3genE3ELNS1_11target_archE908ELNS1_3gpuE7ELNS1_3repE0EEENS1_30default_config_static_selectorELNS0_4arch9wavefront6targetE0EEEvT1_,"axG",@progbits,_ZN7rocprim17ROCPRIM_400000_NS6detail17trampoline_kernelINS0_14default_configENS1_25partition_config_selectorILNS1_17partition_subalgoE9EllbEEZZNS1_14partition_implILS5_9ELb0ES3_jPlS8_PNS0_10empty_typeENS0_5tupleIJS8_S9_EEENSB_IJS8_SA_EEENS0_18inequality_wrapperIZN2at6native12_GLOBAL__N_124unique_dim_cuda_templateItEESt5tupleIJNSF_6TensorESK_SK_EERKSK_lbbbEUlllE0_EEPmJS9_EEE10hipError_tPvRmT3_T4_T5_T6_T7_T9_mT8_P12ihipStream_tbDpT10_ENKUlT_T0_E_clISt17integral_constantIbLb1EES1A_EEDaS15_S16_EUlS15_E_NS1_11comp_targetILNS1_3genE3ELNS1_11target_archE908ELNS1_3gpuE7ELNS1_3repE0EEENS1_30default_config_static_selectorELNS0_4arch9wavefront6targetE0EEEvT1_,comdat
	.globl	_ZN7rocprim17ROCPRIM_400000_NS6detail17trampoline_kernelINS0_14default_configENS1_25partition_config_selectorILNS1_17partition_subalgoE9EllbEEZZNS1_14partition_implILS5_9ELb0ES3_jPlS8_PNS0_10empty_typeENS0_5tupleIJS8_S9_EEENSB_IJS8_SA_EEENS0_18inequality_wrapperIZN2at6native12_GLOBAL__N_124unique_dim_cuda_templateItEESt5tupleIJNSF_6TensorESK_SK_EERKSK_lbbbEUlllE0_EEPmJS9_EEE10hipError_tPvRmT3_T4_T5_T6_T7_T9_mT8_P12ihipStream_tbDpT10_ENKUlT_T0_E_clISt17integral_constantIbLb1EES1A_EEDaS15_S16_EUlS15_E_NS1_11comp_targetILNS1_3genE3ELNS1_11target_archE908ELNS1_3gpuE7ELNS1_3repE0EEENS1_30default_config_static_selectorELNS0_4arch9wavefront6targetE0EEEvT1_ ; -- Begin function _ZN7rocprim17ROCPRIM_400000_NS6detail17trampoline_kernelINS0_14default_configENS1_25partition_config_selectorILNS1_17partition_subalgoE9EllbEEZZNS1_14partition_implILS5_9ELb0ES3_jPlS8_PNS0_10empty_typeENS0_5tupleIJS8_S9_EEENSB_IJS8_SA_EEENS0_18inequality_wrapperIZN2at6native12_GLOBAL__N_124unique_dim_cuda_templateItEESt5tupleIJNSF_6TensorESK_SK_EERKSK_lbbbEUlllE0_EEPmJS9_EEE10hipError_tPvRmT3_T4_T5_T6_T7_T9_mT8_P12ihipStream_tbDpT10_ENKUlT_T0_E_clISt17integral_constantIbLb1EES1A_EEDaS15_S16_EUlS15_E_NS1_11comp_targetILNS1_3genE3ELNS1_11target_archE908ELNS1_3gpuE7ELNS1_3repE0EEENS1_30default_config_static_selectorELNS0_4arch9wavefront6targetE0EEEvT1_
	.p2align	8
	.type	_ZN7rocprim17ROCPRIM_400000_NS6detail17trampoline_kernelINS0_14default_configENS1_25partition_config_selectorILNS1_17partition_subalgoE9EllbEEZZNS1_14partition_implILS5_9ELb0ES3_jPlS8_PNS0_10empty_typeENS0_5tupleIJS8_S9_EEENSB_IJS8_SA_EEENS0_18inequality_wrapperIZN2at6native12_GLOBAL__N_124unique_dim_cuda_templateItEESt5tupleIJNSF_6TensorESK_SK_EERKSK_lbbbEUlllE0_EEPmJS9_EEE10hipError_tPvRmT3_T4_T5_T6_T7_T9_mT8_P12ihipStream_tbDpT10_ENKUlT_T0_E_clISt17integral_constantIbLb1EES1A_EEDaS15_S16_EUlS15_E_NS1_11comp_targetILNS1_3genE3ELNS1_11target_archE908ELNS1_3gpuE7ELNS1_3repE0EEENS1_30default_config_static_selectorELNS0_4arch9wavefront6targetE0EEEvT1_,@function
_ZN7rocprim17ROCPRIM_400000_NS6detail17trampoline_kernelINS0_14default_configENS1_25partition_config_selectorILNS1_17partition_subalgoE9EllbEEZZNS1_14partition_implILS5_9ELb0ES3_jPlS8_PNS0_10empty_typeENS0_5tupleIJS8_S9_EEENSB_IJS8_SA_EEENS0_18inequality_wrapperIZN2at6native12_GLOBAL__N_124unique_dim_cuda_templateItEESt5tupleIJNSF_6TensorESK_SK_EERKSK_lbbbEUlllE0_EEPmJS9_EEE10hipError_tPvRmT3_T4_T5_T6_T7_T9_mT8_P12ihipStream_tbDpT10_ENKUlT_T0_E_clISt17integral_constantIbLb1EES1A_EEDaS15_S16_EUlS15_E_NS1_11comp_targetILNS1_3genE3ELNS1_11target_archE908ELNS1_3gpuE7ELNS1_3repE0EEENS1_30default_config_static_selectorELNS0_4arch9wavefront6targetE0EEEvT1_: ; @_ZN7rocprim17ROCPRIM_400000_NS6detail17trampoline_kernelINS0_14default_configENS1_25partition_config_selectorILNS1_17partition_subalgoE9EllbEEZZNS1_14partition_implILS5_9ELb0ES3_jPlS8_PNS0_10empty_typeENS0_5tupleIJS8_S9_EEENSB_IJS8_SA_EEENS0_18inequality_wrapperIZN2at6native12_GLOBAL__N_124unique_dim_cuda_templateItEESt5tupleIJNSF_6TensorESK_SK_EERKSK_lbbbEUlllE0_EEPmJS9_EEE10hipError_tPvRmT3_T4_T5_T6_T7_T9_mT8_P12ihipStream_tbDpT10_ENKUlT_T0_E_clISt17integral_constantIbLb1EES1A_EEDaS15_S16_EUlS15_E_NS1_11comp_targetILNS1_3genE3ELNS1_11target_archE908ELNS1_3gpuE7ELNS1_3repE0EEENS1_30default_config_static_selectorELNS0_4arch9wavefront6targetE0EEEvT1_
; %bb.0:
	.section	.rodata,"a",@progbits
	.p2align	6, 0x0
	.amdhsa_kernel _ZN7rocprim17ROCPRIM_400000_NS6detail17trampoline_kernelINS0_14default_configENS1_25partition_config_selectorILNS1_17partition_subalgoE9EllbEEZZNS1_14partition_implILS5_9ELb0ES3_jPlS8_PNS0_10empty_typeENS0_5tupleIJS8_S9_EEENSB_IJS8_SA_EEENS0_18inequality_wrapperIZN2at6native12_GLOBAL__N_124unique_dim_cuda_templateItEESt5tupleIJNSF_6TensorESK_SK_EERKSK_lbbbEUlllE0_EEPmJS9_EEE10hipError_tPvRmT3_T4_T5_T6_T7_T9_mT8_P12ihipStream_tbDpT10_ENKUlT_T0_E_clISt17integral_constantIbLb1EES1A_EEDaS15_S16_EUlS15_E_NS1_11comp_targetILNS1_3genE3ELNS1_11target_archE908ELNS1_3gpuE7ELNS1_3repE0EEENS1_30default_config_static_selectorELNS0_4arch9wavefront6targetE0EEEvT1_
		.amdhsa_group_segment_fixed_size 0
		.amdhsa_private_segment_fixed_size 0
		.amdhsa_kernarg_size 136
		.amdhsa_user_sgpr_count 15
		.amdhsa_user_sgpr_dispatch_ptr 0
		.amdhsa_user_sgpr_queue_ptr 0
		.amdhsa_user_sgpr_kernarg_segment_ptr 1
		.amdhsa_user_sgpr_dispatch_id 0
		.amdhsa_user_sgpr_private_segment_size 0
		.amdhsa_wavefront_size32 1
		.amdhsa_uses_dynamic_stack 0
		.amdhsa_enable_private_segment 0
		.amdhsa_system_sgpr_workgroup_id_x 1
		.amdhsa_system_sgpr_workgroup_id_y 0
		.amdhsa_system_sgpr_workgroup_id_z 0
		.amdhsa_system_sgpr_workgroup_info 0
		.amdhsa_system_vgpr_workitem_id 0
		.amdhsa_next_free_vgpr 1
		.amdhsa_next_free_sgpr 1
		.amdhsa_reserve_vcc 0
		.amdhsa_float_round_mode_32 0
		.amdhsa_float_round_mode_16_64 0
		.amdhsa_float_denorm_mode_32 3
		.amdhsa_float_denorm_mode_16_64 3
		.amdhsa_dx10_clamp 1
		.amdhsa_ieee_mode 1
		.amdhsa_fp16_overflow 0
		.amdhsa_workgroup_processor_mode 1
		.amdhsa_memory_ordered 1
		.amdhsa_forward_progress 0
		.amdhsa_shared_vgpr_count 0
		.amdhsa_exception_fp_ieee_invalid_op 0
		.amdhsa_exception_fp_denorm_src 0
		.amdhsa_exception_fp_ieee_div_zero 0
		.amdhsa_exception_fp_ieee_overflow 0
		.amdhsa_exception_fp_ieee_underflow 0
		.amdhsa_exception_fp_ieee_inexact 0
		.amdhsa_exception_int_div_zero 0
	.end_amdhsa_kernel
	.section	.text._ZN7rocprim17ROCPRIM_400000_NS6detail17trampoline_kernelINS0_14default_configENS1_25partition_config_selectorILNS1_17partition_subalgoE9EllbEEZZNS1_14partition_implILS5_9ELb0ES3_jPlS8_PNS0_10empty_typeENS0_5tupleIJS8_S9_EEENSB_IJS8_SA_EEENS0_18inequality_wrapperIZN2at6native12_GLOBAL__N_124unique_dim_cuda_templateItEESt5tupleIJNSF_6TensorESK_SK_EERKSK_lbbbEUlllE0_EEPmJS9_EEE10hipError_tPvRmT3_T4_T5_T6_T7_T9_mT8_P12ihipStream_tbDpT10_ENKUlT_T0_E_clISt17integral_constantIbLb1EES1A_EEDaS15_S16_EUlS15_E_NS1_11comp_targetILNS1_3genE3ELNS1_11target_archE908ELNS1_3gpuE7ELNS1_3repE0EEENS1_30default_config_static_selectorELNS0_4arch9wavefront6targetE0EEEvT1_,"axG",@progbits,_ZN7rocprim17ROCPRIM_400000_NS6detail17trampoline_kernelINS0_14default_configENS1_25partition_config_selectorILNS1_17partition_subalgoE9EllbEEZZNS1_14partition_implILS5_9ELb0ES3_jPlS8_PNS0_10empty_typeENS0_5tupleIJS8_S9_EEENSB_IJS8_SA_EEENS0_18inequality_wrapperIZN2at6native12_GLOBAL__N_124unique_dim_cuda_templateItEESt5tupleIJNSF_6TensorESK_SK_EERKSK_lbbbEUlllE0_EEPmJS9_EEE10hipError_tPvRmT3_T4_T5_T6_T7_T9_mT8_P12ihipStream_tbDpT10_ENKUlT_T0_E_clISt17integral_constantIbLb1EES1A_EEDaS15_S16_EUlS15_E_NS1_11comp_targetILNS1_3genE3ELNS1_11target_archE908ELNS1_3gpuE7ELNS1_3repE0EEENS1_30default_config_static_selectorELNS0_4arch9wavefront6targetE0EEEvT1_,comdat
.Lfunc_end1460:
	.size	_ZN7rocprim17ROCPRIM_400000_NS6detail17trampoline_kernelINS0_14default_configENS1_25partition_config_selectorILNS1_17partition_subalgoE9EllbEEZZNS1_14partition_implILS5_9ELb0ES3_jPlS8_PNS0_10empty_typeENS0_5tupleIJS8_S9_EEENSB_IJS8_SA_EEENS0_18inequality_wrapperIZN2at6native12_GLOBAL__N_124unique_dim_cuda_templateItEESt5tupleIJNSF_6TensorESK_SK_EERKSK_lbbbEUlllE0_EEPmJS9_EEE10hipError_tPvRmT3_T4_T5_T6_T7_T9_mT8_P12ihipStream_tbDpT10_ENKUlT_T0_E_clISt17integral_constantIbLb1EES1A_EEDaS15_S16_EUlS15_E_NS1_11comp_targetILNS1_3genE3ELNS1_11target_archE908ELNS1_3gpuE7ELNS1_3repE0EEENS1_30default_config_static_selectorELNS0_4arch9wavefront6targetE0EEEvT1_, .Lfunc_end1460-_ZN7rocprim17ROCPRIM_400000_NS6detail17trampoline_kernelINS0_14default_configENS1_25partition_config_selectorILNS1_17partition_subalgoE9EllbEEZZNS1_14partition_implILS5_9ELb0ES3_jPlS8_PNS0_10empty_typeENS0_5tupleIJS8_S9_EEENSB_IJS8_SA_EEENS0_18inequality_wrapperIZN2at6native12_GLOBAL__N_124unique_dim_cuda_templateItEESt5tupleIJNSF_6TensorESK_SK_EERKSK_lbbbEUlllE0_EEPmJS9_EEE10hipError_tPvRmT3_T4_T5_T6_T7_T9_mT8_P12ihipStream_tbDpT10_ENKUlT_T0_E_clISt17integral_constantIbLb1EES1A_EEDaS15_S16_EUlS15_E_NS1_11comp_targetILNS1_3genE3ELNS1_11target_archE908ELNS1_3gpuE7ELNS1_3repE0EEENS1_30default_config_static_selectorELNS0_4arch9wavefront6targetE0EEEvT1_
                                        ; -- End function
	.section	.AMDGPU.csdata,"",@progbits
; Kernel info:
; codeLenInByte = 0
; NumSgprs: 0
; NumVgprs: 0
; ScratchSize: 0
; MemoryBound: 0
; FloatMode: 240
; IeeeMode: 1
; LDSByteSize: 0 bytes/workgroup (compile time only)
; SGPRBlocks: 0
; VGPRBlocks: 0
; NumSGPRsForWavesPerEU: 1
; NumVGPRsForWavesPerEU: 1
; Occupancy: 16
; WaveLimiterHint : 0
; COMPUTE_PGM_RSRC2:SCRATCH_EN: 0
; COMPUTE_PGM_RSRC2:USER_SGPR: 15
; COMPUTE_PGM_RSRC2:TRAP_HANDLER: 0
; COMPUTE_PGM_RSRC2:TGID_X_EN: 1
; COMPUTE_PGM_RSRC2:TGID_Y_EN: 0
; COMPUTE_PGM_RSRC2:TGID_Z_EN: 0
; COMPUTE_PGM_RSRC2:TIDIG_COMP_CNT: 0
	.section	.text._ZN7rocprim17ROCPRIM_400000_NS6detail17trampoline_kernelINS0_14default_configENS1_25partition_config_selectorILNS1_17partition_subalgoE9EllbEEZZNS1_14partition_implILS5_9ELb0ES3_jPlS8_PNS0_10empty_typeENS0_5tupleIJS8_S9_EEENSB_IJS8_SA_EEENS0_18inequality_wrapperIZN2at6native12_GLOBAL__N_124unique_dim_cuda_templateItEESt5tupleIJNSF_6TensorESK_SK_EERKSK_lbbbEUlllE0_EEPmJS9_EEE10hipError_tPvRmT3_T4_T5_T6_T7_T9_mT8_P12ihipStream_tbDpT10_ENKUlT_T0_E_clISt17integral_constantIbLb1EES1A_EEDaS15_S16_EUlS15_E_NS1_11comp_targetILNS1_3genE2ELNS1_11target_archE906ELNS1_3gpuE6ELNS1_3repE0EEENS1_30default_config_static_selectorELNS0_4arch9wavefront6targetE0EEEvT1_,"axG",@progbits,_ZN7rocprim17ROCPRIM_400000_NS6detail17trampoline_kernelINS0_14default_configENS1_25partition_config_selectorILNS1_17partition_subalgoE9EllbEEZZNS1_14partition_implILS5_9ELb0ES3_jPlS8_PNS0_10empty_typeENS0_5tupleIJS8_S9_EEENSB_IJS8_SA_EEENS0_18inequality_wrapperIZN2at6native12_GLOBAL__N_124unique_dim_cuda_templateItEESt5tupleIJNSF_6TensorESK_SK_EERKSK_lbbbEUlllE0_EEPmJS9_EEE10hipError_tPvRmT3_T4_T5_T6_T7_T9_mT8_P12ihipStream_tbDpT10_ENKUlT_T0_E_clISt17integral_constantIbLb1EES1A_EEDaS15_S16_EUlS15_E_NS1_11comp_targetILNS1_3genE2ELNS1_11target_archE906ELNS1_3gpuE6ELNS1_3repE0EEENS1_30default_config_static_selectorELNS0_4arch9wavefront6targetE0EEEvT1_,comdat
	.globl	_ZN7rocprim17ROCPRIM_400000_NS6detail17trampoline_kernelINS0_14default_configENS1_25partition_config_selectorILNS1_17partition_subalgoE9EllbEEZZNS1_14partition_implILS5_9ELb0ES3_jPlS8_PNS0_10empty_typeENS0_5tupleIJS8_S9_EEENSB_IJS8_SA_EEENS0_18inequality_wrapperIZN2at6native12_GLOBAL__N_124unique_dim_cuda_templateItEESt5tupleIJNSF_6TensorESK_SK_EERKSK_lbbbEUlllE0_EEPmJS9_EEE10hipError_tPvRmT3_T4_T5_T6_T7_T9_mT8_P12ihipStream_tbDpT10_ENKUlT_T0_E_clISt17integral_constantIbLb1EES1A_EEDaS15_S16_EUlS15_E_NS1_11comp_targetILNS1_3genE2ELNS1_11target_archE906ELNS1_3gpuE6ELNS1_3repE0EEENS1_30default_config_static_selectorELNS0_4arch9wavefront6targetE0EEEvT1_ ; -- Begin function _ZN7rocprim17ROCPRIM_400000_NS6detail17trampoline_kernelINS0_14default_configENS1_25partition_config_selectorILNS1_17partition_subalgoE9EllbEEZZNS1_14partition_implILS5_9ELb0ES3_jPlS8_PNS0_10empty_typeENS0_5tupleIJS8_S9_EEENSB_IJS8_SA_EEENS0_18inequality_wrapperIZN2at6native12_GLOBAL__N_124unique_dim_cuda_templateItEESt5tupleIJNSF_6TensorESK_SK_EERKSK_lbbbEUlllE0_EEPmJS9_EEE10hipError_tPvRmT3_T4_T5_T6_T7_T9_mT8_P12ihipStream_tbDpT10_ENKUlT_T0_E_clISt17integral_constantIbLb1EES1A_EEDaS15_S16_EUlS15_E_NS1_11comp_targetILNS1_3genE2ELNS1_11target_archE906ELNS1_3gpuE6ELNS1_3repE0EEENS1_30default_config_static_selectorELNS0_4arch9wavefront6targetE0EEEvT1_
	.p2align	8
	.type	_ZN7rocprim17ROCPRIM_400000_NS6detail17trampoline_kernelINS0_14default_configENS1_25partition_config_selectorILNS1_17partition_subalgoE9EllbEEZZNS1_14partition_implILS5_9ELb0ES3_jPlS8_PNS0_10empty_typeENS0_5tupleIJS8_S9_EEENSB_IJS8_SA_EEENS0_18inequality_wrapperIZN2at6native12_GLOBAL__N_124unique_dim_cuda_templateItEESt5tupleIJNSF_6TensorESK_SK_EERKSK_lbbbEUlllE0_EEPmJS9_EEE10hipError_tPvRmT3_T4_T5_T6_T7_T9_mT8_P12ihipStream_tbDpT10_ENKUlT_T0_E_clISt17integral_constantIbLb1EES1A_EEDaS15_S16_EUlS15_E_NS1_11comp_targetILNS1_3genE2ELNS1_11target_archE906ELNS1_3gpuE6ELNS1_3repE0EEENS1_30default_config_static_selectorELNS0_4arch9wavefront6targetE0EEEvT1_,@function
_ZN7rocprim17ROCPRIM_400000_NS6detail17trampoline_kernelINS0_14default_configENS1_25partition_config_selectorILNS1_17partition_subalgoE9EllbEEZZNS1_14partition_implILS5_9ELb0ES3_jPlS8_PNS0_10empty_typeENS0_5tupleIJS8_S9_EEENSB_IJS8_SA_EEENS0_18inequality_wrapperIZN2at6native12_GLOBAL__N_124unique_dim_cuda_templateItEESt5tupleIJNSF_6TensorESK_SK_EERKSK_lbbbEUlllE0_EEPmJS9_EEE10hipError_tPvRmT3_T4_T5_T6_T7_T9_mT8_P12ihipStream_tbDpT10_ENKUlT_T0_E_clISt17integral_constantIbLb1EES1A_EEDaS15_S16_EUlS15_E_NS1_11comp_targetILNS1_3genE2ELNS1_11target_archE906ELNS1_3gpuE6ELNS1_3repE0EEENS1_30default_config_static_selectorELNS0_4arch9wavefront6targetE0EEEvT1_: ; @_ZN7rocprim17ROCPRIM_400000_NS6detail17trampoline_kernelINS0_14default_configENS1_25partition_config_selectorILNS1_17partition_subalgoE9EllbEEZZNS1_14partition_implILS5_9ELb0ES3_jPlS8_PNS0_10empty_typeENS0_5tupleIJS8_S9_EEENSB_IJS8_SA_EEENS0_18inequality_wrapperIZN2at6native12_GLOBAL__N_124unique_dim_cuda_templateItEESt5tupleIJNSF_6TensorESK_SK_EERKSK_lbbbEUlllE0_EEPmJS9_EEE10hipError_tPvRmT3_T4_T5_T6_T7_T9_mT8_P12ihipStream_tbDpT10_ENKUlT_T0_E_clISt17integral_constantIbLb1EES1A_EEDaS15_S16_EUlS15_E_NS1_11comp_targetILNS1_3genE2ELNS1_11target_archE906ELNS1_3gpuE6ELNS1_3repE0EEENS1_30default_config_static_selectorELNS0_4arch9wavefront6targetE0EEEvT1_
; %bb.0:
	.section	.rodata,"a",@progbits
	.p2align	6, 0x0
	.amdhsa_kernel _ZN7rocprim17ROCPRIM_400000_NS6detail17trampoline_kernelINS0_14default_configENS1_25partition_config_selectorILNS1_17partition_subalgoE9EllbEEZZNS1_14partition_implILS5_9ELb0ES3_jPlS8_PNS0_10empty_typeENS0_5tupleIJS8_S9_EEENSB_IJS8_SA_EEENS0_18inequality_wrapperIZN2at6native12_GLOBAL__N_124unique_dim_cuda_templateItEESt5tupleIJNSF_6TensorESK_SK_EERKSK_lbbbEUlllE0_EEPmJS9_EEE10hipError_tPvRmT3_T4_T5_T6_T7_T9_mT8_P12ihipStream_tbDpT10_ENKUlT_T0_E_clISt17integral_constantIbLb1EES1A_EEDaS15_S16_EUlS15_E_NS1_11comp_targetILNS1_3genE2ELNS1_11target_archE906ELNS1_3gpuE6ELNS1_3repE0EEENS1_30default_config_static_selectorELNS0_4arch9wavefront6targetE0EEEvT1_
		.amdhsa_group_segment_fixed_size 0
		.amdhsa_private_segment_fixed_size 0
		.amdhsa_kernarg_size 136
		.amdhsa_user_sgpr_count 15
		.amdhsa_user_sgpr_dispatch_ptr 0
		.amdhsa_user_sgpr_queue_ptr 0
		.amdhsa_user_sgpr_kernarg_segment_ptr 1
		.amdhsa_user_sgpr_dispatch_id 0
		.amdhsa_user_sgpr_private_segment_size 0
		.amdhsa_wavefront_size32 1
		.amdhsa_uses_dynamic_stack 0
		.amdhsa_enable_private_segment 0
		.amdhsa_system_sgpr_workgroup_id_x 1
		.amdhsa_system_sgpr_workgroup_id_y 0
		.amdhsa_system_sgpr_workgroup_id_z 0
		.amdhsa_system_sgpr_workgroup_info 0
		.amdhsa_system_vgpr_workitem_id 0
		.amdhsa_next_free_vgpr 1
		.amdhsa_next_free_sgpr 1
		.amdhsa_reserve_vcc 0
		.amdhsa_float_round_mode_32 0
		.amdhsa_float_round_mode_16_64 0
		.amdhsa_float_denorm_mode_32 3
		.amdhsa_float_denorm_mode_16_64 3
		.amdhsa_dx10_clamp 1
		.amdhsa_ieee_mode 1
		.amdhsa_fp16_overflow 0
		.amdhsa_workgroup_processor_mode 1
		.amdhsa_memory_ordered 1
		.amdhsa_forward_progress 0
		.amdhsa_shared_vgpr_count 0
		.amdhsa_exception_fp_ieee_invalid_op 0
		.amdhsa_exception_fp_denorm_src 0
		.amdhsa_exception_fp_ieee_div_zero 0
		.amdhsa_exception_fp_ieee_overflow 0
		.amdhsa_exception_fp_ieee_underflow 0
		.amdhsa_exception_fp_ieee_inexact 0
		.amdhsa_exception_int_div_zero 0
	.end_amdhsa_kernel
	.section	.text._ZN7rocprim17ROCPRIM_400000_NS6detail17trampoline_kernelINS0_14default_configENS1_25partition_config_selectorILNS1_17partition_subalgoE9EllbEEZZNS1_14partition_implILS5_9ELb0ES3_jPlS8_PNS0_10empty_typeENS0_5tupleIJS8_S9_EEENSB_IJS8_SA_EEENS0_18inequality_wrapperIZN2at6native12_GLOBAL__N_124unique_dim_cuda_templateItEESt5tupleIJNSF_6TensorESK_SK_EERKSK_lbbbEUlllE0_EEPmJS9_EEE10hipError_tPvRmT3_T4_T5_T6_T7_T9_mT8_P12ihipStream_tbDpT10_ENKUlT_T0_E_clISt17integral_constantIbLb1EES1A_EEDaS15_S16_EUlS15_E_NS1_11comp_targetILNS1_3genE2ELNS1_11target_archE906ELNS1_3gpuE6ELNS1_3repE0EEENS1_30default_config_static_selectorELNS0_4arch9wavefront6targetE0EEEvT1_,"axG",@progbits,_ZN7rocprim17ROCPRIM_400000_NS6detail17trampoline_kernelINS0_14default_configENS1_25partition_config_selectorILNS1_17partition_subalgoE9EllbEEZZNS1_14partition_implILS5_9ELb0ES3_jPlS8_PNS0_10empty_typeENS0_5tupleIJS8_S9_EEENSB_IJS8_SA_EEENS0_18inequality_wrapperIZN2at6native12_GLOBAL__N_124unique_dim_cuda_templateItEESt5tupleIJNSF_6TensorESK_SK_EERKSK_lbbbEUlllE0_EEPmJS9_EEE10hipError_tPvRmT3_T4_T5_T6_T7_T9_mT8_P12ihipStream_tbDpT10_ENKUlT_T0_E_clISt17integral_constantIbLb1EES1A_EEDaS15_S16_EUlS15_E_NS1_11comp_targetILNS1_3genE2ELNS1_11target_archE906ELNS1_3gpuE6ELNS1_3repE0EEENS1_30default_config_static_selectorELNS0_4arch9wavefront6targetE0EEEvT1_,comdat
.Lfunc_end1461:
	.size	_ZN7rocprim17ROCPRIM_400000_NS6detail17trampoline_kernelINS0_14default_configENS1_25partition_config_selectorILNS1_17partition_subalgoE9EllbEEZZNS1_14partition_implILS5_9ELb0ES3_jPlS8_PNS0_10empty_typeENS0_5tupleIJS8_S9_EEENSB_IJS8_SA_EEENS0_18inequality_wrapperIZN2at6native12_GLOBAL__N_124unique_dim_cuda_templateItEESt5tupleIJNSF_6TensorESK_SK_EERKSK_lbbbEUlllE0_EEPmJS9_EEE10hipError_tPvRmT3_T4_T5_T6_T7_T9_mT8_P12ihipStream_tbDpT10_ENKUlT_T0_E_clISt17integral_constantIbLb1EES1A_EEDaS15_S16_EUlS15_E_NS1_11comp_targetILNS1_3genE2ELNS1_11target_archE906ELNS1_3gpuE6ELNS1_3repE0EEENS1_30default_config_static_selectorELNS0_4arch9wavefront6targetE0EEEvT1_, .Lfunc_end1461-_ZN7rocprim17ROCPRIM_400000_NS6detail17trampoline_kernelINS0_14default_configENS1_25partition_config_selectorILNS1_17partition_subalgoE9EllbEEZZNS1_14partition_implILS5_9ELb0ES3_jPlS8_PNS0_10empty_typeENS0_5tupleIJS8_S9_EEENSB_IJS8_SA_EEENS0_18inequality_wrapperIZN2at6native12_GLOBAL__N_124unique_dim_cuda_templateItEESt5tupleIJNSF_6TensorESK_SK_EERKSK_lbbbEUlllE0_EEPmJS9_EEE10hipError_tPvRmT3_T4_T5_T6_T7_T9_mT8_P12ihipStream_tbDpT10_ENKUlT_T0_E_clISt17integral_constantIbLb1EES1A_EEDaS15_S16_EUlS15_E_NS1_11comp_targetILNS1_3genE2ELNS1_11target_archE906ELNS1_3gpuE6ELNS1_3repE0EEENS1_30default_config_static_selectorELNS0_4arch9wavefront6targetE0EEEvT1_
                                        ; -- End function
	.section	.AMDGPU.csdata,"",@progbits
; Kernel info:
; codeLenInByte = 0
; NumSgprs: 0
; NumVgprs: 0
; ScratchSize: 0
; MemoryBound: 0
; FloatMode: 240
; IeeeMode: 1
; LDSByteSize: 0 bytes/workgroup (compile time only)
; SGPRBlocks: 0
; VGPRBlocks: 0
; NumSGPRsForWavesPerEU: 1
; NumVGPRsForWavesPerEU: 1
; Occupancy: 15
; WaveLimiterHint : 0
; COMPUTE_PGM_RSRC2:SCRATCH_EN: 0
; COMPUTE_PGM_RSRC2:USER_SGPR: 15
; COMPUTE_PGM_RSRC2:TRAP_HANDLER: 0
; COMPUTE_PGM_RSRC2:TGID_X_EN: 1
; COMPUTE_PGM_RSRC2:TGID_Y_EN: 0
; COMPUTE_PGM_RSRC2:TGID_Z_EN: 0
; COMPUTE_PGM_RSRC2:TIDIG_COMP_CNT: 0
	.section	.text._ZN7rocprim17ROCPRIM_400000_NS6detail17trampoline_kernelINS0_14default_configENS1_25partition_config_selectorILNS1_17partition_subalgoE9EllbEEZZNS1_14partition_implILS5_9ELb0ES3_jPlS8_PNS0_10empty_typeENS0_5tupleIJS8_S9_EEENSB_IJS8_SA_EEENS0_18inequality_wrapperIZN2at6native12_GLOBAL__N_124unique_dim_cuda_templateItEESt5tupleIJNSF_6TensorESK_SK_EERKSK_lbbbEUlllE0_EEPmJS9_EEE10hipError_tPvRmT3_T4_T5_T6_T7_T9_mT8_P12ihipStream_tbDpT10_ENKUlT_T0_E_clISt17integral_constantIbLb1EES1A_EEDaS15_S16_EUlS15_E_NS1_11comp_targetILNS1_3genE10ELNS1_11target_archE1200ELNS1_3gpuE4ELNS1_3repE0EEENS1_30default_config_static_selectorELNS0_4arch9wavefront6targetE0EEEvT1_,"axG",@progbits,_ZN7rocprim17ROCPRIM_400000_NS6detail17trampoline_kernelINS0_14default_configENS1_25partition_config_selectorILNS1_17partition_subalgoE9EllbEEZZNS1_14partition_implILS5_9ELb0ES3_jPlS8_PNS0_10empty_typeENS0_5tupleIJS8_S9_EEENSB_IJS8_SA_EEENS0_18inequality_wrapperIZN2at6native12_GLOBAL__N_124unique_dim_cuda_templateItEESt5tupleIJNSF_6TensorESK_SK_EERKSK_lbbbEUlllE0_EEPmJS9_EEE10hipError_tPvRmT3_T4_T5_T6_T7_T9_mT8_P12ihipStream_tbDpT10_ENKUlT_T0_E_clISt17integral_constantIbLb1EES1A_EEDaS15_S16_EUlS15_E_NS1_11comp_targetILNS1_3genE10ELNS1_11target_archE1200ELNS1_3gpuE4ELNS1_3repE0EEENS1_30default_config_static_selectorELNS0_4arch9wavefront6targetE0EEEvT1_,comdat
	.globl	_ZN7rocprim17ROCPRIM_400000_NS6detail17trampoline_kernelINS0_14default_configENS1_25partition_config_selectorILNS1_17partition_subalgoE9EllbEEZZNS1_14partition_implILS5_9ELb0ES3_jPlS8_PNS0_10empty_typeENS0_5tupleIJS8_S9_EEENSB_IJS8_SA_EEENS0_18inequality_wrapperIZN2at6native12_GLOBAL__N_124unique_dim_cuda_templateItEESt5tupleIJNSF_6TensorESK_SK_EERKSK_lbbbEUlllE0_EEPmJS9_EEE10hipError_tPvRmT3_T4_T5_T6_T7_T9_mT8_P12ihipStream_tbDpT10_ENKUlT_T0_E_clISt17integral_constantIbLb1EES1A_EEDaS15_S16_EUlS15_E_NS1_11comp_targetILNS1_3genE10ELNS1_11target_archE1200ELNS1_3gpuE4ELNS1_3repE0EEENS1_30default_config_static_selectorELNS0_4arch9wavefront6targetE0EEEvT1_ ; -- Begin function _ZN7rocprim17ROCPRIM_400000_NS6detail17trampoline_kernelINS0_14default_configENS1_25partition_config_selectorILNS1_17partition_subalgoE9EllbEEZZNS1_14partition_implILS5_9ELb0ES3_jPlS8_PNS0_10empty_typeENS0_5tupleIJS8_S9_EEENSB_IJS8_SA_EEENS0_18inequality_wrapperIZN2at6native12_GLOBAL__N_124unique_dim_cuda_templateItEESt5tupleIJNSF_6TensorESK_SK_EERKSK_lbbbEUlllE0_EEPmJS9_EEE10hipError_tPvRmT3_T4_T5_T6_T7_T9_mT8_P12ihipStream_tbDpT10_ENKUlT_T0_E_clISt17integral_constantIbLb1EES1A_EEDaS15_S16_EUlS15_E_NS1_11comp_targetILNS1_3genE10ELNS1_11target_archE1200ELNS1_3gpuE4ELNS1_3repE0EEENS1_30default_config_static_selectorELNS0_4arch9wavefront6targetE0EEEvT1_
	.p2align	8
	.type	_ZN7rocprim17ROCPRIM_400000_NS6detail17trampoline_kernelINS0_14default_configENS1_25partition_config_selectorILNS1_17partition_subalgoE9EllbEEZZNS1_14partition_implILS5_9ELb0ES3_jPlS8_PNS0_10empty_typeENS0_5tupleIJS8_S9_EEENSB_IJS8_SA_EEENS0_18inequality_wrapperIZN2at6native12_GLOBAL__N_124unique_dim_cuda_templateItEESt5tupleIJNSF_6TensorESK_SK_EERKSK_lbbbEUlllE0_EEPmJS9_EEE10hipError_tPvRmT3_T4_T5_T6_T7_T9_mT8_P12ihipStream_tbDpT10_ENKUlT_T0_E_clISt17integral_constantIbLb1EES1A_EEDaS15_S16_EUlS15_E_NS1_11comp_targetILNS1_3genE10ELNS1_11target_archE1200ELNS1_3gpuE4ELNS1_3repE0EEENS1_30default_config_static_selectorELNS0_4arch9wavefront6targetE0EEEvT1_,@function
_ZN7rocprim17ROCPRIM_400000_NS6detail17trampoline_kernelINS0_14default_configENS1_25partition_config_selectorILNS1_17partition_subalgoE9EllbEEZZNS1_14partition_implILS5_9ELb0ES3_jPlS8_PNS0_10empty_typeENS0_5tupleIJS8_S9_EEENSB_IJS8_SA_EEENS0_18inequality_wrapperIZN2at6native12_GLOBAL__N_124unique_dim_cuda_templateItEESt5tupleIJNSF_6TensorESK_SK_EERKSK_lbbbEUlllE0_EEPmJS9_EEE10hipError_tPvRmT3_T4_T5_T6_T7_T9_mT8_P12ihipStream_tbDpT10_ENKUlT_T0_E_clISt17integral_constantIbLb1EES1A_EEDaS15_S16_EUlS15_E_NS1_11comp_targetILNS1_3genE10ELNS1_11target_archE1200ELNS1_3gpuE4ELNS1_3repE0EEENS1_30default_config_static_selectorELNS0_4arch9wavefront6targetE0EEEvT1_: ; @_ZN7rocprim17ROCPRIM_400000_NS6detail17trampoline_kernelINS0_14default_configENS1_25partition_config_selectorILNS1_17partition_subalgoE9EllbEEZZNS1_14partition_implILS5_9ELb0ES3_jPlS8_PNS0_10empty_typeENS0_5tupleIJS8_S9_EEENSB_IJS8_SA_EEENS0_18inequality_wrapperIZN2at6native12_GLOBAL__N_124unique_dim_cuda_templateItEESt5tupleIJNSF_6TensorESK_SK_EERKSK_lbbbEUlllE0_EEPmJS9_EEE10hipError_tPvRmT3_T4_T5_T6_T7_T9_mT8_P12ihipStream_tbDpT10_ENKUlT_T0_E_clISt17integral_constantIbLb1EES1A_EEDaS15_S16_EUlS15_E_NS1_11comp_targetILNS1_3genE10ELNS1_11target_archE1200ELNS1_3gpuE4ELNS1_3repE0EEENS1_30default_config_static_selectorELNS0_4arch9wavefront6targetE0EEEvT1_
; %bb.0:
	.section	.rodata,"a",@progbits
	.p2align	6, 0x0
	.amdhsa_kernel _ZN7rocprim17ROCPRIM_400000_NS6detail17trampoline_kernelINS0_14default_configENS1_25partition_config_selectorILNS1_17partition_subalgoE9EllbEEZZNS1_14partition_implILS5_9ELb0ES3_jPlS8_PNS0_10empty_typeENS0_5tupleIJS8_S9_EEENSB_IJS8_SA_EEENS0_18inequality_wrapperIZN2at6native12_GLOBAL__N_124unique_dim_cuda_templateItEESt5tupleIJNSF_6TensorESK_SK_EERKSK_lbbbEUlllE0_EEPmJS9_EEE10hipError_tPvRmT3_T4_T5_T6_T7_T9_mT8_P12ihipStream_tbDpT10_ENKUlT_T0_E_clISt17integral_constantIbLb1EES1A_EEDaS15_S16_EUlS15_E_NS1_11comp_targetILNS1_3genE10ELNS1_11target_archE1200ELNS1_3gpuE4ELNS1_3repE0EEENS1_30default_config_static_selectorELNS0_4arch9wavefront6targetE0EEEvT1_
		.amdhsa_group_segment_fixed_size 0
		.amdhsa_private_segment_fixed_size 0
		.amdhsa_kernarg_size 136
		.amdhsa_user_sgpr_count 15
		.amdhsa_user_sgpr_dispatch_ptr 0
		.amdhsa_user_sgpr_queue_ptr 0
		.amdhsa_user_sgpr_kernarg_segment_ptr 1
		.amdhsa_user_sgpr_dispatch_id 0
		.amdhsa_user_sgpr_private_segment_size 0
		.amdhsa_wavefront_size32 1
		.amdhsa_uses_dynamic_stack 0
		.amdhsa_enable_private_segment 0
		.amdhsa_system_sgpr_workgroup_id_x 1
		.amdhsa_system_sgpr_workgroup_id_y 0
		.amdhsa_system_sgpr_workgroup_id_z 0
		.amdhsa_system_sgpr_workgroup_info 0
		.amdhsa_system_vgpr_workitem_id 0
		.amdhsa_next_free_vgpr 1
		.amdhsa_next_free_sgpr 1
		.amdhsa_reserve_vcc 0
		.amdhsa_float_round_mode_32 0
		.amdhsa_float_round_mode_16_64 0
		.amdhsa_float_denorm_mode_32 3
		.amdhsa_float_denorm_mode_16_64 3
		.amdhsa_dx10_clamp 1
		.amdhsa_ieee_mode 1
		.amdhsa_fp16_overflow 0
		.amdhsa_workgroup_processor_mode 1
		.amdhsa_memory_ordered 1
		.amdhsa_forward_progress 0
		.amdhsa_shared_vgpr_count 0
		.amdhsa_exception_fp_ieee_invalid_op 0
		.amdhsa_exception_fp_denorm_src 0
		.amdhsa_exception_fp_ieee_div_zero 0
		.amdhsa_exception_fp_ieee_overflow 0
		.amdhsa_exception_fp_ieee_underflow 0
		.amdhsa_exception_fp_ieee_inexact 0
		.amdhsa_exception_int_div_zero 0
	.end_amdhsa_kernel
	.section	.text._ZN7rocprim17ROCPRIM_400000_NS6detail17trampoline_kernelINS0_14default_configENS1_25partition_config_selectorILNS1_17partition_subalgoE9EllbEEZZNS1_14partition_implILS5_9ELb0ES3_jPlS8_PNS0_10empty_typeENS0_5tupleIJS8_S9_EEENSB_IJS8_SA_EEENS0_18inequality_wrapperIZN2at6native12_GLOBAL__N_124unique_dim_cuda_templateItEESt5tupleIJNSF_6TensorESK_SK_EERKSK_lbbbEUlllE0_EEPmJS9_EEE10hipError_tPvRmT3_T4_T5_T6_T7_T9_mT8_P12ihipStream_tbDpT10_ENKUlT_T0_E_clISt17integral_constantIbLb1EES1A_EEDaS15_S16_EUlS15_E_NS1_11comp_targetILNS1_3genE10ELNS1_11target_archE1200ELNS1_3gpuE4ELNS1_3repE0EEENS1_30default_config_static_selectorELNS0_4arch9wavefront6targetE0EEEvT1_,"axG",@progbits,_ZN7rocprim17ROCPRIM_400000_NS6detail17trampoline_kernelINS0_14default_configENS1_25partition_config_selectorILNS1_17partition_subalgoE9EllbEEZZNS1_14partition_implILS5_9ELb0ES3_jPlS8_PNS0_10empty_typeENS0_5tupleIJS8_S9_EEENSB_IJS8_SA_EEENS0_18inequality_wrapperIZN2at6native12_GLOBAL__N_124unique_dim_cuda_templateItEESt5tupleIJNSF_6TensorESK_SK_EERKSK_lbbbEUlllE0_EEPmJS9_EEE10hipError_tPvRmT3_T4_T5_T6_T7_T9_mT8_P12ihipStream_tbDpT10_ENKUlT_T0_E_clISt17integral_constantIbLb1EES1A_EEDaS15_S16_EUlS15_E_NS1_11comp_targetILNS1_3genE10ELNS1_11target_archE1200ELNS1_3gpuE4ELNS1_3repE0EEENS1_30default_config_static_selectorELNS0_4arch9wavefront6targetE0EEEvT1_,comdat
.Lfunc_end1462:
	.size	_ZN7rocprim17ROCPRIM_400000_NS6detail17trampoline_kernelINS0_14default_configENS1_25partition_config_selectorILNS1_17partition_subalgoE9EllbEEZZNS1_14partition_implILS5_9ELb0ES3_jPlS8_PNS0_10empty_typeENS0_5tupleIJS8_S9_EEENSB_IJS8_SA_EEENS0_18inequality_wrapperIZN2at6native12_GLOBAL__N_124unique_dim_cuda_templateItEESt5tupleIJNSF_6TensorESK_SK_EERKSK_lbbbEUlllE0_EEPmJS9_EEE10hipError_tPvRmT3_T4_T5_T6_T7_T9_mT8_P12ihipStream_tbDpT10_ENKUlT_T0_E_clISt17integral_constantIbLb1EES1A_EEDaS15_S16_EUlS15_E_NS1_11comp_targetILNS1_3genE10ELNS1_11target_archE1200ELNS1_3gpuE4ELNS1_3repE0EEENS1_30default_config_static_selectorELNS0_4arch9wavefront6targetE0EEEvT1_, .Lfunc_end1462-_ZN7rocprim17ROCPRIM_400000_NS6detail17trampoline_kernelINS0_14default_configENS1_25partition_config_selectorILNS1_17partition_subalgoE9EllbEEZZNS1_14partition_implILS5_9ELb0ES3_jPlS8_PNS0_10empty_typeENS0_5tupleIJS8_S9_EEENSB_IJS8_SA_EEENS0_18inequality_wrapperIZN2at6native12_GLOBAL__N_124unique_dim_cuda_templateItEESt5tupleIJNSF_6TensorESK_SK_EERKSK_lbbbEUlllE0_EEPmJS9_EEE10hipError_tPvRmT3_T4_T5_T6_T7_T9_mT8_P12ihipStream_tbDpT10_ENKUlT_T0_E_clISt17integral_constantIbLb1EES1A_EEDaS15_S16_EUlS15_E_NS1_11comp_targetILNS1_3genE10ELNS1_11target_archE1200ELNS1_3gpuE4ELNS1_3repE0EEENS1_30default_config_static_selectorELNS0_4arch9wavefront6targetE0EEEvT1_
                                        ; -- End function
	.section	.AMDGPU.csdata,"",@progbits
; Kernel info:
; codeLenInByte = 0
; NumSgprs: 0
; NumVgprs: 0
; ScratchSize: 0
; MemoryBound: 0
; FloatMode: 240
; IeeeMode: 1
; LDSByteSize: 0 bytes/workgroup (compile time only)
; SGPRBlocks: 0
; VGPRBlocks: 0
; NumSGPRsForWavesPerEU: 1
; NumVGPRsForWavesPerEU: 1
; Occupancy: 15
; WaveLimiterHint : 0
; COMPUTE_PGM_RSRC2:SCRATCH_EN: 0
; COMPUTE_PGM_RSRC2:USER_SGPR: 15
; COMPUTE_PGM_RSRC2:TRAP_HANDLER: 0
; COMPUTE_PGM_RSRC2:TGID_X_EN: 1
; COMPUTE_PGM_RSRC2:TGID_Y_EN: 0
; COMPUTE_PGM_RSRC2:TGID_Z_EN: 0
; COMPUTE_PGM_RSRC2:TIDIG_COMP_CNT: 0
	.section	.text._ZN7rocprim17ROCPRIM_400000_NS6detail17trampoline_kernelINS0_14default_configENS1_25partition_config_selectorILNS1_17partition_subalgoE9EllbEEZZNS1_14partition_implILS5_9ELb0ES3_jPlS8_PNS0_10empty_typeENS0_5tupleIJS8_S9_EEENSB_IJS8_SA_EEENS0_18inequality_wrapperIZN2at6native12_GLOBAL__N_124unique_dim_cuda_templateItEESt5tupleIJNSF_6TensorESK_SK_EERKSK_lbbbEUlllE0_EEPmJS9_EEE10hipError_tPvRmT3_T4_T5_T6_T7_T9_mT8_P12ihipStream_tbDpT10_ENKUlT_T0_E_clISt17integral_constantIbLb1EES1A_EEDaS15_S16_EUlS15_E_NS1_11comp_targetILNS1_3genE9ELNS1_11target_archE1100ELNS1_3gpuE3ELNS1_3repE0EEENS1_30default_config_static_selectorELNS0_4arch9wavefront6targetE0EEEvT1_,"axG",@progbits,_ZN7rocprim17ROCPRIM_400000_NS6detail17trampoline_kernelINS0_14default_configENS1_25partition_config_selectorILNS1_17partition_subalgoE9EllbEEZZNS1_14partition_implILS5_9ELb0ES3_jPlS8_PNS0_10empty_typeENS0_5tupleIJS8_S9_EEENSB_IJS8_SA_EEENS0_18inequality_wrapperIZN2at6native12_GLOBAL__N_124unique_dim_cuda_templateItEESt5tupleIJNSF_6TensorESK_SK_EERKSK_lbbbEUlllE0_EEPmJS9_EEE10hipError_tPvRmT3_T4_T5_T6_T7_T9_mT8_P12ihipStream_tbDpT10_ENKUlT_T0_E_clISt17integral_constantIbLb1EES1A_EEDaS15_S16_EUlS15_E_NS1_11comp_targetILNS1_3genE9ELNS1_11target_archE1100ELNS1_3gpuE3ELNS1_3repE0EEENS1_30default_config_static_selectorELNS0_4arch9wavefront6targetE0EEEvT1_,comdat
	.globl	_ZN7rocprim17ROCPRIM_400000_NS6detail17trampoline_kernelINS0_14default_configENS1_25partition_config_selectorILNS1_17partition_subalgoE9EllbEEZZNS1_14partition_implILS5_9ELb0ES3_jPlS8_PNS0_10empty_typeENS0_5tupleIJS8_S9_EEENSB_IJS8_SA_EEENS0_18inequality_wrapperIZN2at6native12_GLOBAL__N_124unique_dim_cuda_templateItEESt5tupleIJNSF_6TensorESK_SK_EERKSK_lbbbEUlllE0_EEPmJS9_EEE10hipError_tPvRmT3_T4_T5_T6_T7_T9_mT8_P12ihipStream_tbDpT10_ENKUlT_T0_E_clISt17integral_constantIbLb1EES1A_EEDaS15_S16_EUlS15_E_NS1_11comp_targetILNS1_3genE9ELNS1_11target_archE1100ELNS1_3gpuE3ELNS1_3repE0EEENS1_30default_config_static_selectorELNS0_4arch9wavefront6targetE0EEEvT1_ ; -- Begin function _ZN7rocprim17ROCPRIM_400000_NS6detail17trampoline_kernelINS0_14default_configENS1_25partition_config_selectorILNS1_17partition_subalgoE9EllbEEZZNS1_14partition_implILS5_9ELb0ES3_jPlS8_PNS0_10empty_typeENS0_5tupleIJS8_S9_EEENSB_IJS8_SA_EEENS0_18inequality_wrapperIZN2at6native12_GLOBAL__N_124unique_dim_cuda_templateItEESt5tupleIJNSF_6TensorESK_SK_EERKSK_lbbbEUlllE0_EEPmJS9_EEE10hipError_tPvRmT3_T4_T5_T6_T7_T9_mT8_P12ihipStream_tbDpT10_ENKUlT_T0_E_clISt17integral_constantIbLb1EES1A_EEDaS15_S16_EUlS15_E_NS1_11comp_targetILNS1_3genE9ELNS1_11target_archE1100ELNS1_3gpuE3ELNS1_3repE0EEENS1_30default_config_static_selectorELNS0_4arch9wavefront6targetE0EEEvT1_
	.p2align	8
	.type	_ZN7rocprim17ROCPRIM_400000_NS6detail17trampoline_kernelINS0_14default_configENS1_25partition_config_selectorILNS1_17partition_subalgoE9EllbEEZZNS1_14partition_implILS5_9ELb0ES3_jPlS8_PNS0_10empty_typeENS0_5tupleIJS8_S9_EEENSB_IJS8_SA_EEENS0_18inequality_wrapperIZN2at6native12_GLOBAL__N_124unique_dim_cuda_templateItEESt5tupleIJNSF_6TensorESK_SK_EERKSK_lbbbEUlllE0_EEPmJS9_EEE10hipError_tPvRmT3_T4_T5_T6_T7_T9_mT8_P12ihipStream_tbDpT10_ENKUlT_T0_E_clISt17integral_constantIbLb1EES1A_EEDaS15_S16_EUlS15_E_NS1_11comp_targetILNS1_3genE9ELNS1_11target_archE1100ELNS1_3gpuE3ELNS1_3repE0EEENS1_30default_config_static_selectorELNS0_4arch9wavefront6targetE0EEEvT1_,@function
_ZN7rocprim17ROCPRIM_400000_NS6detail17trampoline_kernelINS0_14default_configENS1_25partition_config_selectorILNS1_17partition_subalgoE9EllbEEZZNS1_14partition_implILS5_9ELb0ES3_jPlS8_PNS0_10empty_typeENS0_5tupleIJS8_S9_EEENSB_IJS8_SA_EEENS0_18inequality_wrapperIZN2at6native12_GLOBAL__N_124unique_dim_cuda_templateItEESt5tupleIJNSF_6TensorESK_SK_EERKSK_lbbbEUlllE0_EEPmJS9_EEE10hipError_tPvRmT3_T4_T5_T6_T7_T9_mT8_P12ihipStream_tbDpT10_ENKUlT_T0_E_clISt17integral_constantIbLb1EES1A_EEDaS15_S16_EUlS15_E_NS1_11comp_targetILNS1_3genE9ELNS1_11target_archE1100ELNS1_3gpuE3ELNS1_3repE0EEENS1_30default_config_static_selectorELNS0_4arch9wavefront6targetE0EEEvT1_: ; @_ZN7rocprim17ROCPRIM_400000_NS6detail17trampoline_kernelINS0_14default_configENS1_25partition_config_selectorILNS1_17partition_subalgoE9EllbEEZZNS1_14partition_implILS5_9ELb0ES3_jPlS8_PNS0_10empty_typeENS0_5tupleIJS8_S9_EEENSB_IJS8_SA_EEENS0_18inequality_wrapperIZN2at6native12_GLOBAL__N_124unique_dim_cuda_templateItEESt5tupleIJNSF_6TensorESK_SK_EERKSK_lbbbEUlllE0_EEPmJS9_EEE10hipError_tPvRmT3_T4_T5_T6_T7_T9_mT8_P12ihipStream_tbDpT10_ENKUlT_T0_E_clISt17integral_constantIbLb1EES1A_EEDaS15_S16_EUlS15_E_NS1_11comp_targetILNS1_3genE9ELNS1_11target_archE1100ELNS1_3gpuE3ELNS1_3repE0EEENS1_30default_config_static_selectorELNS0_4arch9wavefront6targetE0EEEvT1_
; %bb.0:
	s_clause 0x3
	s_load_b128 s[4:7], s[0:1], 0x8
	s_load_b64 s[24:25], s[0:1], 0x18
	s_load_b256 s[8:15], s[0:1], 0x40
	s_load_b128 s[20:23], s[0:1], 0x60
	v_cmp_ne_u32_e64 s3, 0, v0
	v_cmp_eq_u32_e64 s2, 0, v0
	s_delay_alu instid0(VALU_DEP_1)
	s_and_saveexec_b32 s16, s2
	s_cbranch_execz .LBB1463_4
; %bb.1:
	s_mov_b32 s18, exec_lo
	s_mov_b32 s17, exec_lo
	v_mbcnt_lo_u32_b32 v1, s18, 0
                                        ; implicit-def: $vgpr2
	s_delay_alu instid0(VALU_DEP_1)
	v_cmpx_eq_u32_e32 0, v1
	s_cbranch_execz .LBB1463_3
; %bb.2:
	s_load_b64 s[26:27], s[0:1], 0x78
	s_bcnt1_i32_b32 s18, s18
	s_delay_alu instid0(SALU_CYCLE_1)
	v_dual_mov_b32 v2, 0 :: v_dual_mov_b32 v3, s18
	s_waitcnt lgkmcnt(0)
	global_atomic_add_u32 v2, v2, v3, s[26:27] glc
.LBB1463_3:
	s_or_b32 exec_lo, exec_lo, s17
	s_waitcnt vmcnt(0)
	v_readfirstlane_b32 s17, v2
	s_delay_alu instid0(VALU_DEP_1)
	v_dual_mov_b32 v2, 0 :: v_dual_add_nc_u32 v1, s17, v1
	ds_store_b32 v2, v1
.LBB1463_4:
	s_or_b32 exec_lo, exec_lo, s16
	v_mov_b32_e32 v1, 0
	s_clause 0x1
	s_load_b128 s[16:19], s[0:1], 0x28
	s_load_b32 s0, s[0:1], 0x70
	s_waitcnt lgkmcnt(0)
	s_barrier
	buffer_gl0_inv
	ds_load_b32 v3, v1
	s_waitcnt lgkmcnt(0)
	s_barrier
	buffer_gl0_inv
	global_load_b64 v[1:2], v1, s[10:11]
	s_lshl_b64 s[26:27], s[6:7], 3
	s_mov_b32 s1, 0
	s_add_u32 s10, s4, s26
	s_addc_u32 s11, s5, s27
	v_lshlrev_b32_e32 v55, 3, v0
	v_lshrrev_b32_e32 v34, 2, v0
	v_or_b32_e32 v39, 0x200, v0
	v_or_b32_e32 v38, 0x400, v0
	;; [unrolled: 1-line block ×5, first 2 shown]
	s_add_i32 s28, s0, -1
	s_lshl_b32 s5, s0, 12
	s_lshl_b32 s4, s28, 12
	v_or_b32_e32 v33, 0xc00, v0
	v_readfirstlane_b32 s30, v3
	s_add_i32 s4, s6, s4
	v_or_b32_e32 v36, 0xe00, v0
	s_sub_i32 s31, s12, s4
	s_delay_alu instid0(VALU_DEP_2)
	s_lshl_b32 s0, s30, 12
	s_add_u32 s4, s6, s5
	s_addc_u32 s5, s7, 0
	s_cmp_eq_u32 s30, s28
	v_cmp_ge_u64_e64 s4, s[4:5], s[12:13]
	s_cselect_b32 s28, -1, 0
	s_lshl_b64 s[12:13], s[0:1], 3
	s_mov_b32 s1, -1
	s_delay_alu instid0(VALU_DEP_1) | instskip(NEXT) | instid1(SALU_CYCLE_1)
	s_and_b32 s33, s4, s28
	s_xor_b32 s29, s33, -1
	s_add_u32 s4, s10, s12
	s_addc_u32 s5, s11, s13
	s_and_b32 vcc_lo, exec_lo, s29
	s_waitcnt vmcnt(0)
	v_readfirstlane_b32 s10, v1
	v_readfirstlane_b32 s11, v2
	s_cbranch_vccz .LBB1463_6
; %bb.5:
	v_add_co_u32 v9, s0, s4, v55
	s_delay_alu instid0(VALU_DEP_1)
	v_add_co_ci_u32_e64 v10, null, s5, 0, s0
	global_load_b64 v[1:2], v55, s[4:5]
	v_add_co_u32 v3, vcc_lo, v9, 0x2000
	v_add_co_ci_u32_e32 v4, vcc_lo, 0, v10, vcc_lo
	v_add_co_u32 v5, vcc_lo, v9, 0x4000
	v_add_co_ci_u32_e32 v6, vcc_lo, 0, v10, vcc_lo
	;; [unrolled: 2-line block ×4, first 2 shown]
	s_clause 0x6
	global_load_b64 v[11:12], v[3:4], off offset:-4096
	global_load_b64 v[3:4], v[3:4], off
	global_load_b64 v[13:14], v[5:6], off offset:-4096
	global_load_b64 v[5:6], v[5:6], off
	;; [unrolled: 2-line block ×3, first 2 shown]
	global_load_b64 v[9:10], v[9:10], off
	v_lshrrev_b32_e32 v18, 2, v39
	v_lshrrev_b32_e32 v19, 2, v38
	v_lshrrev_b32_e32 v20, 2, v40
	v_lshrrev_b32_e32 v21, 2, v37
	v_and_b32_e32 v17, 0x78, v34
	v_lshrrev_b32_e32 v22, 2, v35
	v_lshrrev_b32_e32 v23, 2, v33
	;; [unrolled: 1-line block ×3, first 2 shown]
	v_and_b32_e32 v18, 0xf8, v18
	v_and_b32_e32 v19, 0x178, v19
	;; [unrolled: 1-line block ×4, first 2 shown]
	v_add_nc_u32_e32 v17, v17, v55
	v_and_b32_e32 v22, 0x2f8, v22
	v_and_b32_e32 v23, 0x378, v23
	;; [unrolled: 1-line block ×3, first 2 shown]
	v_add_nc_u32_e32 v18, v18, v55
	v_add_nc_u32_e32 v19, v19, v55
	;; [unrolled: 1-line block ×4, first 2 shown]
	s_mov_b32 s1, 0
	v_add_nc_u32_e32 v22, v22, v55
	v_add_nc_u32_e32 v23, v23, v55
	;; [unrolled: 1-line block ×3, first 2 shown]
	s_waitcnt vmcnt(7)
	ds_store_b64 v17, v[1:2]
	s_waitcnt vmcnt(6)
	ds_store_b64 v18, v[11:12] offset:4096
	s_waitcnt vmcnt(5)
	ds_store_b64 v19, v[3:4] offset:8192
	s_waitcnt vmcnt(4)
	ds_store_b64 v20, v[13:14] offset:12288
	s_waitcnt vmcnt(3)
	ds_store_b64 v21, v[5:6] offset:16384
	s_waitcnt vmcnt(2)
	ds_store_b64 v22, v[15:16] offset:20480
	s_waitcnt vmcnt(1)
	ds_store_b64 v23, v[7:8] offset:24576
	s_waitcnt vmcnt(0)
	ds_store_b64 v24, v[9:10] offset:28672
	s_waitcnt lgkmcnt(0)
	s_barrier
.LBB1463_6:
	v_cmp_gt_u32_e64 s0, s31, v0
	s_and_not1_b32 vcc_lo, exec_lo, s1
	s_cbranch_vccnz .LBB1463_24
; %bb.7:
                                        ; implicit-def: $vgpr1_vgpr2_vgpr3_vgpr4_vgpr5_vgpr6_vgpr7_vgpr8_vgpr9_vgpr10_vgpr11_vgpr12_vgpr13_vgpr14_vgpr15_vgpr16
	s_delay_alu instid0(VALU_DEP_1)
	s_and_saveexec_b32 s1, s0
	s_cbranch_execz .LBB1463_15
; %bb.8:
	global_load_b64 v[1:2], v55, s[4:5]
	s_or_b32 exec_lo, exec_lo, s1
	s_delay_alu instid0(SALU_CYCLE_1)
	s_mov_b32 s0, exec_lo
	v_cmpx_gt_u32_e64 s31, v39
	s_cbranch_execnz .LBB1463_16
.LBB1463_9:
	s_or_b32 exec_lo, exec_lo, s0
	s_delay_alu instid0(SALU_CYCLE_1)
	s_mov_b32 s0, exec_lo
	v_cmpx_gt_u32_e64 s31, v38
	s_cbranch_execz .LBB1463_17
.LBB1463_10:
	v_lshlrev_b32_e32 v5, 3, v38
	global_load_b64 v[5:6], v5, s[4:5]
	s_or_b32 exec_lo, exec_lo, s0
	s_delay_alu instid0(SALU_CYCLE_1)
	s_mov_b32 s0, exec_lo
	v_cmpx_gt_u32_e64 s31, v40
	s_cbranch_execnz .LBB1463_18
.LBB1463_11:
	s_or_b32 exec_lo, exec_lo, s0
	s_delay_alu instid0(SALU_CYCLE_1)
	s_mov_b32 s0, exec_lo
	v_cmpx_gt_u32_e64 s31, v37
	s_cbranch_execz .LBB1463_19
.LBB1463_12:
	v_lshlrev_b32_e32 v9, 3, v37
	global_load_b64 v[9:10], v9, s[4:5]
	s_or_b32 exec_lo, exec_lo, s0
	s_delay_alu instid0(SALU_CYCLE_1)
	s_mov_b32 s0, exec_lo
	v_cmpx_gt_u32_e64 s31, v35
	s_cbranch_execnz .LBB1463_20
.LBB1463_13:
	s_or_b32 exec_lo, exec_lo, s0
	s_delay_alu instid0(SALU_CYCLE_1)
	s_mov_b32 s0, exec_lo
	v_cmpx_gt_u32_e64 s31, v33
	s_cbranch_execz .LBB1463_21
.LBB1463_14:
	v_lshlrev_b32_e32 v13, 3, v33
	global_load_b64 v[13:14], v13, s[4:5]
	s_or_b32 exec_lo, exec_lo, s0
	s_delay_alu instid0(SALU_CYCLE_1)
	s_mov_b32 s0, exec_lo
	v_cmpx_gt_u32_e64 s31, v36
	s_cbranch_execnz .LBB1463_22
	s_branch .LBB1463_23
.LBB1463_15:
	s_or_b32 exec_lo, exec_lo, s1
	s_delay_alu instid0(SALU_CYCLE_1)
	s_mov_b32 s0, exec_lo
	v_cmpx_gt_u32_e64 s31, v39
	s_cbranch_execz .LBB1463_9
.LBB1463_16:
	v_lshlrev_b32_e32 v3, 3, v39
	global_load_b64 v[3:4], v3, s[4:5]
	s_or_b32 exec_lo, exec_lo, s0
	s_delay_alu instid0(SALU_CYCLE_1)
	s_mov_b32 s0, exec_lo
	v_cmpx_gt_u32_e64 s31, v38
	s_cbranch_execnz .LBB1463_10
.LBB1463_17:
	s_or_b32 exec_lo, exec_lo, s0
	s_delay_alu instid0(SALU_CYCLE_1)
	s_mov_b32 s0, exec_lo
	v_cmpx_gt_u32_e64 s31, v40
	s_cbranch_execz .LBB1463_11
.LBB1463_18:
	v_lshlrev_b32_e32 v7, 3, v40
	global_load_b64 v[7:8], v7, s[4:5]
	s_or_b32 exec_lo, exec_lo, s0
	s_delay_alu instid0(SALU_CYCLE_1)
	s_mov_b32 s0, exec_lo
	v_cmpx_gt_u32_e64 s31, v37
	s_cbranch_execnz .LBB1463_12
.LBB1463_19:
	s_or_b32 exec_lo, exec_lo, s0
	s_delay_alu instid0(SALU_CYCLE_1)
	s_mov_b32 s0, exec_lo
	v_cmpx_gt_u32_e64 s31, v35
	s_cbranch_execz .LBB1463_13
.LBB1463_20:
	v_lshlrev_b32_e32 v11, 3, v35
	global_load_b64 v[11:12], v11, s[4:5]
	s_or_b32 exec_lo, exec_lo, s0
	s_delay_alu instid0(SALU_CYCLE_1)
	s_mov_b32 s0, exec_lo
	v_cmpx_gt_u32_e64 s31, v33
	s_cbranch_execnz .LBB1463_14
.LBB1463_21:
	s_or_b32 exec_lo, exec_lo, s0
	s_delay_alu instid0(SALU_CYCLE_1)
	s_mov_b32 s0, exec_lo
	v_cmpx_gt_u32_e64 s31, v36
	s_cbranch_execz .LBB1463_23
.LBB1463_22:
	v_lshlrev_b32_e32 v15, 3, v36
	global_load_b64 v[15:16], v15, s[4:5]
.LBB1463_23:
	s_or_b32 exec_lo, exec_lo, s0
	v_lshrrev_b32_e32 v17, 2, v39
	v_lshrrev_b32_e32 v18, 2, v38
	;; [unrolled: 1-line block ×4, first 2 shown]
	v_and_b32_e32 v19, 0x78, v34
	v_lshrrev_b32_e32 v22, 2, v35
	v_lshrrev_b32_e32 v23, 2, v33
	;; [unrolled: 1-line block ×3, first 2 shown]
	v_and_b32_e32 v17, 0xf8, v17
	v_and_b32_e32 v18, 0x1f8, v18
	;; [unrolled: 1-line block ×4, first 2 shown]
	v_add_nc_u32_e32 v19, v19, v55
	v_and_b32_e32 v22, 0x3f8, v22
	v_and_b32_e32 v23, 0x3f8, v23
	;; [unrolled: 1-line block ×3, first 2 shown]
	v_add_nc_u32_e32 v17, v17, v55
	v_add_nc_u32_e32 v18, v18, v55
	;; [unrolled: 1-line block ×7, first 2 shown]
	s_waitcnt vmcnt(0)
	ds_store_b64 v19, v[1:2]
	ds_store_b64 v17, v[3:4] offset:4096
	ds_store_b64 v18, v[5:6] offset:8192
	;; [unrolled: 1-line block ×7, first 2 shown]
	s_waitcnt lgkmcnt(0)
	s_barrier
.LBB1463_24:
	v_add_lshl_u32 v41, v34, v55, 3
	buffer_gl0_inv
	s_add_u32 s0, s24, s26
	s_addc_u32 s1, s25, s27
	s_add_u32 s0, s0, s12
	ds_load_2addr_b64 v[29:32], v41 offset1:1
	ds_load_2addr_b64 v[25:28], v41 offset0:2 offset1:3
	ds_load_2addr_b64 v[21:24], v41 offset0:4 offset1:5
	;; [unrolled: 1-line block ×3, first 2 shown]
	s_addc_u32 s1, s1, s13
	s_and_b32 vcc_lo, exec_lo, s29
	s_mov_b32 s12, -1
	s_waitcnt lgkmcnt(0)
	s_barrier
	buffer_gl0_inv
	s_cbranch_vccz .LBB1463_26
; %bb.25:
	v_add_co_u32 v9, s12, s0, v55
	s_delay_alu instid0(VALU_DEP_1)
	v_add_co_ci_u32_e64 v10, null, s1, 0, s12
	global_load_b64 v[1:2], v55, s[0:1]
	v_add_co_u32 v3, vcc_lo, v9, 0x2000
	v_add_co_ci_u32_e32 v4, vcc_lo, 0, v10, vcc_lo
	v_add_co_u32 v5, vcc_lo, v9, 0x4000
	v_add_co_ci_u32_e32 v6, vcc_lo, 0, v10, vcc_lo
	;; [unrolled: 2-line block ×4, first 2 shown]
	s_clause 0x6
	global_load_b64 v[11:12], v[3:4], off offset:-4096
	global_load_b64 v[3:4], v[3:4], off
	global_load_b64 v[13:14], v[5:6], off offset:-4096
	global_load_b64 v[5:6], v[5:6], off
	;; [unrolled: 2-line block ×3, first 2 shown]
	global_load_b64 v[9:10], v[9:10], off
	v_lshrrev_b32_e32 v43, 2, v39
	v_lshrrev_b32_e32 v44, 2, v38
	;; [unrolled: 1-line block ×4, first 2 shown]
	v_and_b32_e32 v42, 0x78, v34
	v_lshrrev_b32_e32 v47, 2, v35
	v_lshrrev_b32_e32 v48, 2, v33
	;; [unrolled: 1-line block ×3, first 2 shown]
	v_and_b32_e32 v43, 0xf8, v43
	v_and_b32_e32 v44, 0x178, v44
	;; [unrolled: 1-line block ×4, first 2 shown]
	v_add_nc_u32_e32 v42, v42, v55
	v_and_b32_e32 v47, 0x2f8, v47
	v_and_b32_e32 v48, 0x378, v48
	;; [unrolled: 1-line block ×3, first 2 shown]
	v_add_nc_u32_e32 v43, v43, v55
	v_add_nc_u32_e32 v44, v44, v55
	;; [unrolled: 1-line block ×4, first 2 shown]
	s_mov_b32 s12, 0
	v_add_nc_u32_e32 v47, v47, v55
	v_add_nc_u32_e32 v48, v48, v55
	;; [unrolled: 1-line block ×3, first 2 shown]
	s_waitcnt vmcnt(7)
	ds_store_b64 v42, v[1:2]
	s_waitcnt vmcnt(6)
	ds_store_b64 v43, v[11:12] offset:4096
	s_waitcnt vmcnt(5)
	ds_store_b64 v44, v[3:4] offset:8192
	;; [unrolled: 2-line block ×7, first 2 shown]
	s_waitcnt lgkmcnt(0)
	s_barrier
.LBB1463_26:
	s_and_not1_b32 vcc_lo, exec_lo, s12
	s_cbranch_vccnz .LBB1463_44
; %bb.27:
	s_mov_b32 s12, exec_lo
                                        ; implicit-def: $vgpr1_vgpr2
	v_cmpx_gt_u32_e64 s31, v0
	s_cbranch_execz .LBB1463_29
; %bb.28:
	global_load_b64 v[1:2], v55, s[0:1]
.LBB1463_29:
	s_or_b32 exec_lo, exec_lo, s12
	s_delay_alu instid0(SALU_CYCLE_1)
	s_mov_b32 s12, exec_lo
                                        ; implicit-def: $vgpr3_vgpr4
	v_cmpx_gt_u32_e64 s31, v39
	s_cbranch_execz .LBB1463_31
; %bb.30:
	v_lshlrev_b32_e32 v3, 3, v39
	global_load_b64 v[3:4], v3, s[0:1]
.LBB1463_31:
	s_or_b32 exec_lo, exec_lo, s12
	s_delay_alu instid0(SALU_CYCLE_1)
	s_mov_b32 s12, exec_lo
                                        ; implicit-def: $vgpr5_vgpr6
	v_cmpx_gt_u32_e64 s31, v38
	s_cbranch_execz .LBB1463_33
; %bb.32:
	v_lshlrev_b32_e32 v5, 3, v38
	global_load_b64 v[5:6], v5, s[0:1]
.LBB1463_33:
	s_or_b32 exec_lo, exec_lo, s12
	s_delay_alu instid0(SALU_CYCLE_1)
	s_mov_b32 s12, exec_lo
                                        ; implicit-def: $vgpr7_vgpr8
	v_cmpx_gt_u32_e64 s31, v40
	s_cbranch_execz .LBB1463_35
; %bb.34:
	v_lshlrev_b32_e32 v7, 3, v40
	global_load_b64 v[7:8], v7, s[0:1]
.LBB1463_35:
	s_or_b32 exec_lo, exec_lo, s12
	s_delay_alu instid0(SALU_CYCLE_1)
	s_mov_b32 s12, exec_lo
                                        ; implicit-def: $vgpr9_vgpr10
	v_cmpx_gt_u32_e64 s31, v37
	s_cbranch_execz .LBB1463_37
; %bb.36:
	v_lshlrev_b32_e32 v9, 3, v37
	global_load_b64 v[9:10], v9, s[0:1]
.LBB1463_37:
	s_or_b32 exec_lo, exec_lo, s12
	s_delay_alu instid0(SALU_CYCLE_1)
	s_mov_b32 s12, exec_lo
                                        ; implicit-def: $vgpr11_vgpr12
	v_cmpx_gt_u32_e64 s31, v35
	s_cbranch_execz .LBB1463_39
; %bb.38:
	v_lshlrev_b32_e32 v11, 3, v35
	global_load_b64 v[11:12], v11, s[0:1]
.LBB1463_39:
	s_or_b32 exec_lo, exec_lo, s12
	s_delay_alu instid0(SALU_CYCLE_1)
	s_mov_b32 s12, exec_lo
                                        ; implicit-def: $vgpr13_vgpr14
	v_cmpx_gt_u32_e64 s31, v33
	s_cbranch_execz .LBB1463_41
; %bb.40:
	v_lshlrev_b32_e32 v13, 3, v33
	global_load_b64 v[13:14], v13, s[0:1]
.LBB1463_41:
	s_or_b32 exec_lo, exec_lo, s12
	s_delay_alu instid0(SALU_CYCLE_1)
	s_mov_b32 s12, exec_lo
                                        ; implicit-def: $vgpr15_vgpr16
	v_cmpx_gt_u32_e64 s31, v36
	s_cbranch_execz .LBB1463_43
; %bb.42:
	v_lshlrev_b32_e32 v15, 3, v36
	global_load_b64 v[15:16], v15, s[0:1]
.LBB1463_43:
	s_or_b32 exec_lo, exec_lo, s12
	v_lshrrev_b32_e32 v39, 2, v39
	v_lshrrev_b32_e32 v38, 2, v38
	;; [unrolled: 1-line block ×4, first 2 shown]
	v_and_b32_e32 v34, 0x78, v34
	v_lshrrev_b32_e32 v35, 2, v35
	v_lshrrev_b32_e32 v33, 2, v33
	;; [unrolled: 1-line block ×3, first 2 shown]
	v_and_b32_e32 v39, 0xf8, v39
	v_and_b32_e32 v38, 0x1f8, v38
	;; [unrolled: 1-line block ×4, first 2 shown]
	v_add_nc_u32_e32 v34, v34, v55
	v_and_b32_e32 v35, 0x3f8, v35
	v_and_b32_e32 v33, 0x3f8, v33
	;; [unrolled: 1-line block ×3, first 2 shown]
	v_add_nc_u32_e32 v39, v39, v55
	v_add_nc_u32_e32 v38, v38, v55
	;; [unrolled: 1-line block ×7, first 2 shown]
	s_waitcnt vmcnt(0)
	ds_store_b64 v34, v[1:2]
	ds_store_b64 v39, v[3:4] offset:4096
	ds_store_b64 v38, v[5:6] offset:8192
	;; [unrolled: 1-line block ×7, first 2 shown]
	s_waitcnt lgkmcnt(0)
	s_barrier
.LBB1463_44:
	buffer_gl0_inv
	ds_load_2addr_b64 v[13:16], v41 offset1:1
	ds_load_2addr_b64 v[9:12], v41 offset0:2 offset1:3
	ds_load_2addr_b64 v[5:8], v41 offset0:4 offset1:5
	;; [unrolled: 1-line block ×3, first 2 shown]
	s_cmp_lg_u32 s30, 0
	v_cmp_gt_i64_e64 s13, s[14:15], 0
	s_cselect_b32 s12, -1, 0
	s_cmp_lg_u64 s[6:7], 0
	s_mov_b32 s1, 0
	s_cselect_b32 s0, -1, 0
	s_waitcnt lgkmcnt(0)
	s_or_b32 s0, s0, s12
	s_barrier
	s_and_b32 vcc_lo, exec_lo, s0
	buffer_gl0_inv
	s_cbranch_vccz .LBB1463_53
; %bb.45:
	v_mov_b32_e32 v33, 0
	v_cndmask_b32_e64 v43, 0, 1, s13
	s_and_b32 vcc_lo, exec_lo, s29
	ds_store_b64 v55, v[19:20]
	global_load_b64 v[33:34], v33, s[4:5] offset:-8
	v_cmp_ne_u32_e64 s0, 1, v43
	s_cbranch_vccz .LBB1463_54
; %bb.46:
	v_mul_lo_u32 v37, v18, s14
	v_mul_lo_u32 v38, v17, s15
	v_mad_u64_u32 v[35:36], null, v17, s14, 0
	s_and_b32 vcc_lo, exec_lo, s0
	s_mov_b32 s24, 0
	s_delay_alu instid0(VALU_DEP_1) | instskip(NEXT) | instid1(VALU_DEP_1)
	v_add3_u32 v36, v36, v38, v37
	v_lshlrev_b64 v[35:36], 1, v[35:36]
	s_cbranch_vccnz .LBB1463_57
; %bb.47:
	v_mul_lo_u32 v39, v20, s14
	v_mul_lo_u32 v40, v19, s15
	v_mad_u64_u32 v[37:38], null, v19, s14, 0
	s_mov_b32 s24, -1
	s_mov_b32 s25, exec_lo
	s_delay_alu instid0(VALU_DEP_1) | instskip(SKIP_2) | instid1(VALU_DEP_3)
	v_add3_u32 v38, v38, v40, v39
	v_add_co_u32 v39, vcc_lo, s20, v35
	v_add_co_ci_u32_e32 v40, vcc_lo, s21, v36, vcc_lo
	v_lshlrev_b64 v[37:38], 1, v[37:38]
	s_delay_alu instid0(VALU_DEP_1) | instskip(NEXT) | instid1(VALU_DEP_2)
	v_add_co_u32 v37, vcc_lo, s20, v37
	v_add_co_ci_u32_e32 v38, vcc_lo, s21, v38, vcc_lo
	s_clause 0x1
	global_load_u16 v41, v[39:40], off
	global_load_u16 v42, v[37:38], off
	s_waitcnt vmcnt(0)
	v_cmpx_eq_u16_e64 v41, v42
	s_cbranch_execz .LBB1463_56
; %bb.48:
	v_add_co_u32 v37, vcc_lo, v37, 2
	v_add_co_ci_u32_e32 v38, vcc_lo, 0, v38, vcc_lo
	v_add_co_u32 v39, vcc_lo, v39, 2
	v_add_co_ci_u32_e32 v40, vcc_lo, 0, v40, vcc_lo
	s_add_u32 s4, s14, -1
	s_addc_u32 s5, s15, -1
	s_mov_b64 s[6:7], 0
	s_mov_b32 s24, 0
                                        ; implicit-def: $sgpr26
	s_set_inst_prefetch_distance 0x1
	s_branch .LBB1463_51
	.p2align	6
.LBB1463_49:                            ;   in Loop: Header=BB1463_51 Depth=1
	global_load_u16 v41, v[39:40], off
	global_load_u16 v42, v[37:38], off
	v_add_co_u32 v37, vcc_lo, v37, 2
	v_add_co_ci_u32_e32 v38, vcc_lo, 0, v38, vcc_lo
	v_add_co_u32 v39, s0, v39, 2
	s_delay_alu instid0(VALU_DEP_1)
	v_add_co_ci_u32_e64 v40, s0, 0, v40, s0
	s_add_u32 s6, s6, 1
	s_addc_u32 s7, s7, 0
	s_and_not1_b32 s0, s26, exec_lo
	s_waitcnt vmcnt(0)
	v_cmp_ne_u16_e32 vcc_lo, v41, v42
	s_and_b32 s26, vcc_lo, exec_lo
	s_delay_alu instid0(SALU_CYCLE_1)
	s_or_b32 s26, s0, s26
.LBB1463_50:                            ;   in Loop: Header=BB1463_51 Depth=1
	v_dual_mov_b32 v42, s7 :: v_dual_mov_b32 v41, s6
	s_and_b32 s0, exec_lo, s26
	s_delay_alu instid0(SALU_CYCLE_1) | instskip(NEXT) | instid1(SALU_CYCLE_1)
	s_or_b32 s24, s0, s24
	s_and_not1_b32 exec_lo, exec_lo, s24
	s_cbranch_execz .LBB1463_55
.LBB1463_51:                            ; =>This Inner Loop Header: Depth=1
	s_or_b32 s26, s26, exec_lo
	s_cmp_eq_u64 s[4:5], s[6:7]
	s_cbranch_scc0 .LBB1463_49
; %bb.52:                               ;   in Loop: Header=BB1463_51 Depth=1
	s_mov_b64 s[6:7], s[14:15]
                                        ; implicit-def: $vgpr37_vgpr38
                                        ; implicit-def: $vgpr39_vgpr40
	s_branch .LBB1463_50
.LBB1463_53:
                                        ; implicit-def: $sgpr0
                                        ; implicit-def: $vgpr36
	s_branch .LBB1463_215
.LBB1463_54:
                                        ; implicit-def: $sgpr0
                                        ; implicit-def: $vgpr36
	s_cbranch_execnz .LBB1463_123
	s_branch .LBB1463_214
.LBB1463_55:
	s_set_inst_prefetch_distance 0x2
	s_or_b32 exec_lo, exec_lo, s24
	v_cmp_gt_i64_e32 vcc_lo, s[14:15], v[41:42]
	s_or_not1_b32 s24, vcc_lo, exec_lo
.LBB1463_56:
	s_or_b32 exec_lo, exec_lo, s25
.LBB1463_57:
	v_mul_lo_u32 v39, v24, s14
	v_mul_lo_u32 v40, v23, s15
	v_mad_u64_u32 v[37:38], null, v23, s14, 0
	s_and_not1_b32 vcc_lo, exec_lo, s13
	s_delay_alu instid0(VALU_DEP_1) | instskip(NEXT) | instid1(VALU_DEP_1)
	v_add3_u32 v38, v38, v40, v39
	v_lshlrev_b64 v[37:38], 1, v[37:38]
	s_cbranch_vccnz .LBB1463_66
; %bb.58:
	s_delay_alu instid0(VALU_DEP_1) | instskip(NEXT) | instid1(VALU_DEP_2)
	v_add_co_u32 v39, vcc_lo, s20, v37
	v_add_co_ci_u32_e32 v40, vcc_lo, s21, v38, vcc_lo
	v_add_co_u32 v35, vcc_lo, s20, v35
	v_add_co_ci_u32_e32 v36, vcc_lo, s21, v36, vcc_lo
	s_mov_b32 s1, -1
	s_clause 0x1
	global_load_u16 v41, v[39:40], off
	global_load_u16 v42, v[35:36], off
	s_mov_b32 s25, exec_lo
	s_waitcnt vmcnt(0)
	v_cmpx_eq_u16_e64 v41, v42
	s_cbranch_execz .LBB1463_65
; %bb.59:
	v_add_co_u32 v35, vcc_lo, v35, 2
	v_add_co_ci_u32_e32 v36, vcc_lo, 0, v36, vcc_lo
	v_add_co_u32 v39, vcc_lo, v39, 2
	v_add_co_ci_u32_e32 v40, vcc_lo, 0, v40, vcc_lo
	s_add_u32 s4, s14, -1
	s_addc_u32 s5, s15, -1
	s_mov_b64 s[6:7], 0
	s_mov_b32 s1, 0
                                        ; implicit-def: $sgpr26
	s_set_inst_prefetch_distance 0x1
	s_branch .LBB1463_62
	.p2align	6
.LBB1463_60:                            ;   in Loop: Header=BB1463_62 Depth=1
	global_load_u16 v41, v[39:40], off
	global_load_u16 v42, v[35:36], off
	v_add_co_u32 v35, vcc_lo, v35, 2
	v_add_co_ci_u32_e32 v36, vcc_lo, 0, v36, vcc_lo
	v_add_co_u32 v39, s0, v39, 2
	s_delay_alu instid0(VALU_DEP_1)
	v_add_co_ci_u32_e64 v40, s0, 0, v40, s0
	s_add_u32 s6, s6, 1
	s_addc_u32 s7, s7, 0
	s_and_not1_b32 s0, s26, exec_lo
	s_waitcnt vmcnt(0)
	v_cmp_ne_u16_e32 vcc_lo, v41, v42
	s_and_b32 s26, vcc_lo, exec_lo
	s_delay_alu instid0(SALU_CYCLE_1)
	s_or_b32 s26, s0, s26
.LBB1463_61:                            ;   in Loop: Header=BB1463_62 Depth=1
	v_dual_mov_b32 v42, s7 :: v_dual_mov_b32 v41, s6
	s_and_b32 s0, exec_lo, s26
	s_delay_alu instid0(SALU_CYCLE_1) | instskip(NEXT) | instid1(SALU_CYCLE_1)
	s_or_b32 s1, s0, s1
	s_and_not1_b32 exec_lo, exec_lo, s1
	s_cbranch_execz .LBB1463_64
.LBB1463_62:                            ; =>This Inner Loop Header: Depth=1
	s_or_b32 s26, s26, exec_lo
	s_cmp_eq_u64 s[4:5], s[6:7]
	s_cbranch_scc0 .LBB1463_60
; %bb.63:                               ;   in Loop: Header=BB1463_62 Depth=1
	s_mov_b64 s[6:7], s[14:15]
                                        ; implicit-def: $vgpr35_vgpr36
                                        ; implicit-def: $vgpr39_vgpr40
	s_branch .LBB1463_61
.LBB1463_64:
	s_set_inst_prefetch_distance 0x2
	s_or_b32 exec_lo, exec_lo, s1
	v_cmp_gt_i64_e32 vcc_lo, s[14:15], v[41:42]
	s_or_not1_b32 s1, vcc_lo, exec_lo
.LBB1463_65:
	s_or_b32 exec_lo, exec_lo, s25
.LBB1463_66:
	v_mul_lo_u32 v39, v22, s14
	v_mul_lo_u32 v40, v21, s15
	v_mad_u64_u32 v[35:36], null, v21, s14, 0
	s_mov_b32 s25, 0
	s_and_not1_b32 vcc_lo, exec_lo, s13
	s_mov_b32 s26, 0
	s_delay_alu instid0(VALU_DEP_1) | instskip(NEXT) | instid1(VALU_DEP_1)
	v_add3_u32 v36, v36, v40, v39
	v_lshlrev_b64 v[39:40], 1, v[35:36]
	s_cbranch_vccnz .LBB1463_75
; %bb.67:
	s_delay_alu instid0(VALU_DEP_1) | instskip(NEXT) | instid1(VALU_DEP_2)
	v_add_co_u32 v41, vcc_lo, s20, v39
	v_add_co_ci_u32_e32 v42, vcc_lo, s21, v40, vcc_lo
	v_add_co_u32 v35, vcc_lo, s20, v37
	v_add_co_ci_u32_e32 v36, vcc_lo, s21, v38, vcc_lo
	s_mov_b32 s26, -1
	s_clause 0x1
	global_load_u16 v37, v[41:42], off
	global_load_u16 v38, v[35:36], off
	s_mov_b32 s27, exec_lo
	s_waitcnt vmcnt(0)
	v_cmpx_eq_u16_e64 v37, v38
	s_cbranch_execz .LBB1463_74
; %bb.68:
	v_add_co_u32 v35, vcc_lo, v35, 2
	v_add_co_ci_u32_e32 v36, vcc_lo, 0, v36, vcc_lo
	v_add_co_u32 v37, vcc_lo, v41, 2
	v_add_co_ci_u32_e32 v38, vcc_lo, 0, v42, vcc_lo
	s_add_u32 s4, s14, -1
	s_addc_u32 s5, s15, -1
	s_mov_b64 s[6:7], 0
	s_mov_b32 s26, 0
                                        ; implicit-def: $sgpr34
	s_set_inst_prefetch_distance 0x1
	s_branch .LBB1463_71
	.p2align	6
.LBB1463_69:                            ;   in Loop: Header=BB1463_71 Depth=1
	global_load_u16 v41, v[37:38], off
	global_load_u16 v42, v[35:36], off
	v_add_co_u32 v35, vcc_lo, v35, 2
	v_add_co_ci_u32_e32 v36, vcc_lo, 0, v36, vcc_lo
	v_add_co_u32 v37, s0, v37, 2
	s_delay_alu instid0(VALU_DEP_1)
	v_add_co_ci_u32_e64 v38, s0, 0, v38, s0
	s_add_u32 s6, s6, 1
	s_addc_u32 s7, s7, 0
	s_and_not1_b32 s0, s34, exec_lo
	s_waitcnt vmcnt(0)
	v_cmp_ne_u16_e32 vcc_lo, v41, v42
	s_and_b32 s34, vcc_lo, exec_lo
	s_delay_alu instid0(SALU_CYCLE_1)
	s_or_b32 s34, s0, s34
.LBB1463_70:                            ;   in Loop: Header=BB1463_71 Depth=1
	v_dual_mov_b32 v42, s7 :: v_dual_mov_b32 v41, s6
	s_and_b32 s0, exec_lo, s34
	s_delay_alu instid0(SALU_CYCLE_1) | instskip(NEXT) | instid1(SALU_CYCLE_1)
	s_or_b32 s26, s0, s26
	s_and_not1_b32 exec_lo, exec_lo, s26
	s_cbranch_execz .LBB1463_73
.LBB1463_71:                            ; =>This Inner Loop Header: Depth=1
	s_or_b32 s34, s34, exec_lo
	s_cmp_eq_u64 s[4:5], s[6:7]
	s_cbranch_scc0 .LBB1463_69
; %bb.72:                               ;   in Loop: Header=BB1463_71 Depth=1
	s_mov_b64 s[6:7], s[14:15]
                                        ; implicit-def: $vgpr35_vgpr36
                                        ; implicit-def: $vgpr37_vgpr38
	s_branch .LBB1463_70
.LBB1463_73:
	s_set_inst_prefetch_distance 0x2
	s_or_b32 exec_lo, exec_lo, s26
	v_cmp_gt_i64_e32 vcc_lo, s[14:15], v[41:42]
	s_or_not1_b32 s26, vcc_lo, exec_lo
.LBB1463_74:
	s_or_b32 exec_lo, exec_lo, s27
.LBB1463_75:
	v_mul_lo_u32 v37, v28, s14
	v_mul_lo_u32 v38, v27, s15
	v_mad_u64_u32 v[35:36], null, v27, s14, 0
	s_and_not1_b32 vcc_lo, exec_lo, s13
	s_delay_alu instid0(VALU_DEP_1) | instskip(NEXT) | instid1(VALU_DEP_1)
	v_add3_u32 v36, v36, v38, v37
	v_lshlrev_b64 v[35:36], 1, v[35:36]
	s_cbranch_vccnz .LBB1463_84
; %bb.76:
	s_delay_alu instid0(VALU_DEP_1) | instskip(NEXT) | instid1(VALU_DEP_2)
	v_add_co_u32 v41, vcc_lo, s20, v35
	v_add_co_ci_u32_e32 v42, vcc_lo, s21, v36, vcc_lo
	v_add_co_u32 v37, vcc_lo, s20, v39
	v_add_co_ci_u32_e32 v38, vcc_lo, s21, v40, vcc_lo
	s_mov_b32 s25, -1
	s_clause 0x1
	global_load_u16 v39, v[41:42], off
	global_load_u16 v40, v[37:38], off
	s_mov_b32 s27, exec_lo
	s_waitcnt vmcnt(0)
	v_cmpx_eq_u16_e64 v39, v40
	s_cbranch_execz .LBB1463_83
; %bb.77:
	v_add_co_u32 v37, vcc_lo, v37, 2
	v_add_co_ci_u32_e32 v38, vcc_lo, 0, v38, vcc_lo
	v_add_co_u32 v39, vcc_lo, v41, 2
	v_add_co_ci_u32_e32 v40, vcc_lo, 0, v42, vcc_lo
	s_add_u32 s4, s14, -1
	s_addc_u32 s5, s15, -1
	s_mov_b64 s[6:7], 0
	s_mov_b32 s25, 0
                                        ; implicit-def: $sgpr34
	s_set_inst_prefetch_distance 0x1
	s_branch .LBB1463_80
	.p2align	6
.LBB1463_78:                            ;   in Loop: Header=BB1463_80 Depth=1
	global_load_u16 v41, v[39:40], off
	global_load_u16 v42, v[37:38], off
	v_add_co_u32 v37, vcc_lo, v37, 2
	v_add_co_ci_u32_e32 v38, vcc_lo, 0, v38, vcc_lo
	v_add_co_u32 v39, s0, v39, 2
	s_delay_alu instid0(VALU_DEP_1)
	v_add_co_ci_u32_e64 v40, s0, 0, v40, s0
	s_add_u32 s6, s6, 1
	s_addc_u32 s7, s7, 0
	s_and_not1_b32 s0, s34, exec_lo
	s_waitcnt vmcnt(0)
	v_cmp_ne_u16_e32 vcc_lo, v41, v42
	s_and_b32 s34, vcc_lo, exec_lo
	s_delay_alu instid0(SALU_CYCLE_1)
	s_or_b32 s34, s0, s34
.LBB1463_79:                            ;   in Loop: Header=BB1463_80 Depth=1
	v_dual_mov_b32 v42, s7 :: v_dual_mov_b32 v41, s6
	s_and_b32 s0, exec_lo, s34
	s_delay_alu instid0(SALU_CYCLE_1) | instskip(NEXT) | instid1(SALU_CYCLE_1)
	s_or_b32 s25, s0, s25
	s_and_not1_b32 exec_lo, exec_lo, s25
	s_cbranch_execz .LBB1463_82
.LBB1463_80:                            ; =>This Inner Loop Header: Depth=1
	s_or_b32 s34, s34, exec_lo
	s_cmp_eq_u64 s[4:5], s[6:7]
	s_cbranch_scc0 .LBB1463_78
; %bb.81:                               ;   in Loop: Header=BB1463_80 Depth=1
	s_mov_b64 s[6:7], s[14:15]
                                        ; implicit-def: $vgpr37_vgpr38
                                        ; implicit-def: $vgpr39_vgpr40
	s_branch .LBB1463_79
.LBB1463_82:
	s_set_inst_prefetch_distance 0x2
	s_or_b32 exec_lo, exec_lo, s25
	v_cmp_gt_i64_e32 vcc_lo, s[14:15], v[41:42]
	s_or_not1_b32 s25, vcc_lo, exec_lo
.LBB1463_83:
	s_or_b32 exec_lo, exec_lo, s27
.LBB1463_84:
	v_mul_lo_u32 v39, v26, s14
	v_mul_lo_u32 v40, v25, s15
	v_mad_u64_u32 v[37:38], null, v25, s14, 0
	s_mov_b32 s27, 0
	s_and_not1_b32 vcc_lo, exec_lo, s13
	s_mov_b32 s34, 0
	s_delay_alu instid0(VALU_DEP_1) | instskip(NEXT) | instid1(VALU_DEP_1)
	v_add3_u32 v38, v38, v40, v39
	v_lshlrev_b64 v[39:40], 1, v[37:38]
	s_cbranch_vccnz .LBB1463_93
; %bb.85:
	s_delay_alu instid0(VALU_DEP_1) | instskip(NEXT) | instid1(VALU_DEP_2)
	v_add_co_u32 v37, vcc_lo, s20, v39
	v_add_co_ci_u32_e32 v38, vcc_lo, s21, v40, vcc_lo
	v_add_co_u32 v35, vcc_lo, s20, v35
	v_add_co_ci_u32_e32 v36, vcc_lo, s21, v36, vcc_lo
	s_mov_b32 s34, -1
	s_clause 0x1
	global_load_u16 v41, v[37:38], off
	global_load_u16 v42, v[35:36], off
	s_mov_b32 s35, exec_lo
	s_waitcnt vmcnt(0)
	v_cmpx_eq_u16_e64 v41, v42
	s_cbranch_execz .LBB1463_92
; %bb.86:
	v_add_co_u32 v35, vcc_lo, v35, 2
	v_add_co_ci_u32_e32 v36, vcc_lo, 0, v36, vcc_lo
	v_add_co_u32 v37, vcc_lo, v37, 2
	v_add_co_ci_u32_e32 v38, vcc_lo, 0, v38, vcc_lo
	s_add_u32 s4, s14, -1
	s_addc_u32 s5, s15, -1
	s_mov_b64 s[6:7], 0
	s_mov_b32 s34, 0
                                        ; implicit-def: $sgpr36
	s_set_inst_prefetch_distance 0x1
	s_branch .LBB1463_89
	.p2align	6
.LBB1463_87:                            ;   in Loop: Header=BB1463_89 Depth=1
	global_load_u16 v41, v[37:38], off
	global_load_u16 v42, v[35:36], off
	v_add_co_u32 v35, vcc_lo, v35, 2
	v_add_co_ci_u32_e32 v36, vcc_lo, 0, v36, vcc_lo
	v_add_co_u32 v37, s0, v37, 2
	s_delay_alu instid0(VALU_DEP_1)
	v_add_co_ci_u32_e64 v38, s0, 0, v38, s0
	s_add_u32 s6, s6, 1
	s_addc_u32 s7, s7, 0
	s_and_not1_b32 s0, s36, exec_lo
	s_waitcnt vmcnt(0)
	v_cmp_ne_u16_e32 vcc_lo, v41, v42
	s_and_b32 s36, vcc_lo, exec_lo
	s_delay_alu instid0(SALU_CYCLE_1)
	s_or_b32 s36, s0, s36
.LBB1463_88:                            ;   in Loop: Header=BB1463_89 Depth=1
	v_dual_mov_b32 v42, s7 :: v_dual_mov_b32 v41, s6
	s_and_b32 s0, exec_lo, s36
	s_delay_alu instid0(SALU_CYCLE_1) | instskip(NEXT) | instid1(SALU_CYCLE_1)
	s_or_b32 s34, s0, s34
	s_and_not1_b32 exec_lo, exec_lo, s34
	s_cbranch_execz .LBB1463_91
.LBB1463_89:                            ; =>This Inner Loop Header: Depth=1
	s_or_b32 s36, s36, exec_lo
	s_cmp_eq_u64 s[4:5], s[6:7]
	s_cbranch_scc0 .LBB1463_87
; %bb.90:                               ;   in Loop: Header=BB1463_89 Depth=1
	s_mov_b64 s[6:7], s[14:15]
                                        ; implicit-def: $vgpr35_vgpr36
                                        ; implicit-def: $vgpr37_vgpr38
	s_branch .LBB1463_88
.LBB1463_91:
	s_set_inst_prefetch_distance 0x2
	s_or_b32 exec_lo, exec_lo, s34
	v_cmp_gt_i64_e32 vcc_lo, s[14:15], v[41:42]
	s_or_not1_b32 s34, vcc_lo, exec_lo
.LBB1463_92:
	s_or_b32 exec_lo, exec_lo, s35
.LBB1463_93:
	v_mul_lo_u32 v37, v32, s14
	v_mul_lo_u32 v38, v31, s15
	v_mad_u64_u32 v[35:36], null, v31, s14, 0
	s_and_not1_b32 vcc_lo, exec_lo, s13
	s_delay_alu instid0(VALU_DEP_1) | instskip(NEXT) | instid1(VALU_DEP_1)
	v_add3_u32 v36, v36, v38, v37
	v_lshlrev_b64 v[37:38], 1, v[35:36]
	s_cbranch_vccnz .LBB1463_102
; %bb.94:
	s_delay_alu instid0(VALU_DEP_1) | instskip(NEXT) | instid1(VALU_DEP_2)
	v_add_co_u32 v41, vcc_lo, s20, v37
	v_add_co_ci_u32_e32 v42, vcc_lo, s21, v38, vcc_lo
	v_add_co_u32 v35, vcc_lo, s20, v39
	v_add_co_ci_u32_e32 v36, vcc_lo, s21, v40, vcc_lo
	s_mov_b32 s27, -1
	s_clause 0x1
	global_load_u16 v39, v[41:42], off
	global_load_u16 v40, v[35:36], off
	s_mov_b32 s35, exec_lo
	s_waitcnt vmcnt(0)
	v_cmpx_eq_u16_e64 v39, v40
	s_cbranch_execz .LBB1463_101
; %bb.95:
	v_add_co_u32 v35, vcc_lo, v35, 2
	v_add_co_ci_u32_e32 v36, vcc_lo, 0, v36, vcc_lo
	v_add_co_u32 v39, vcc_lo, v41, 2
	v_add_co_ci_u32_e32 v40, vcc_lo, 0, v42, vcc_lo
	s_add_u32 s4, s14, -1
	s_addc_u32 s5, s15, -1
	s_mov_b64 s[6:7], 0
	s_mov_b32 s27, 0
                                        ; implicit-def: $sgpr36
	s_set_inst_prefetch_distance 0x1
	s_branch .LBB1463_98
	.p2align	6
.LBB1463_96:                            ;   in Loop: Header=BB1463_98 Depth=1
	global_load_u16 v41, v[39:40], off
	global_load_u16 v42, v[35:36], off
	v_add_co_u32 v35, vcc_lo, v35, 2
	v_add_co_ci_u32_e32 v36, vcc_lo, 0, v36, vcc_lo
	v_add_co_u32 v39, s0, v39, 2
	s_delay_alu instid0(VALU_DEP_1)
	v_add_co_ci_u32_e64 v40, s0, 0, v40, s0
	s_add_u32 s6, s6, 1
	s_addc_u32 s7, s7, 0
	s_and_not1_b32 s0, s36, exec_lo
	s_waitcnt vmcnt(0)
	v_cmp_ne_u16_e32 vcc_lo, v41, v42
	s_and_b32 s36, vcc_lo, exec_lo
	s_delay_alu instid0(SALU_CYCLE_1)
	s_or_b32 s36, s0, s36
.LBB1463_97:                            ;   in Loop: Header=BB1463_98 Depth=1
	v_dual_mov_b32 v42, s7 :: v_dual_mov_b32 v41, s6
	s_and_b32 s0, exec_lo, s36
	s_delay_alu instid0(SALU_CYCLE_1) | instskip(NEXT) | instid1(SALU_CYCLE_1)
	s_or_b32 s27, s0, s27
	s_and_not1_b32 exec_lo, exec_lo, s27
	s_cbranch_execz .LBB1463_100
.LBB1463_98:                            ; =>This Inner Loop Header: Depth=1
	s_or_b32 s36, s36, exec_lo
	s_cmp_eq_u64 s[4:5], s[6:7]
	s_cbranch_scc0 .LBB1463_96
; %bb.99:                               ;   in Loop: Header=BB1463_98 Depth=1
	s_mov_b64 s[6:7], s[14:15]
                                        ; implicit-def: $vgpr35_vgpr36
                                        ; implicit-def: $vgpr39_vgpr40
	s_branch .LBB1463_97
.LBB1463_100:
	s_set_inst_prefetch_distance 0x2
	s_or_b32 exec_lo, exec_lo, s27
	v_cmp_gt_i64_e32 vcc_lo, s[14:15], v[41:42]
	s_or_not1_b32 s27, vcc_lo, exec_lo
.LBB1463_101:
	s_or_b32 exec_lo, exec_lo, s35
.LBB1463_102:
	v_mul_lo_u32 v39, v30, s14
	v_mul_lo_u32 v40, v29, s15
	v_mad_u64_u32 v[35:36], null, v29, s14, 0
	s_and_not1_b32 vcc_lo, exec_lo, s13
	s_mov_b32 s0, 0
	s_delay_alu instid0(VALU_DEP_1) | instskip(NEXT) | instid1(VALU_DEP_1)
	v_add3_u32 v36, v36, v40, v39
	v_lshlrev_b64 v[35:36], 1, v[35:36]
	s_cbranch_vccnz .LBB1463_111
; %bb.103:
	s_delay_alu instid0(VALU_DEP_1) | instskip(NEXT) | instid1(VALU_DEP_2)
	v_add_co_u32 v39, vcc_lo, s20, v35
	v_add_co_ci_u32_e32 v40, vcc_lo, s21, v36, vcc_lo
	v_add_co_u32 v37, vcc_lo, s20, v37
	v_add_co_ci_u32_e32 v38, vcc_lo, s21, v38, vcc_lo
	s_mov_b32 s0, -1
	s_clause 0x1
	global_load_u16 v41, v[39:40], off
	global_load_u16 v42, v[37:38], off
	s_mov_b32 s35, exec_lo
	s_waitcnt vmcnt(0)
	v_cmpx_eq_u16_e64 v41, v42
	s_cbranch_execz .LBB1463_110
; %bb.104:
	v_add_co_u32 v37, vcc_lo, v37, 2
	v_add_co_ci_u32_e32 v38, vcc_lo, 0, v38, vcc_lo
	v_add_co_u32 v39, vcc_lo, v39, 2
	v_add_co_ci_u32_e32 v40, vcc_lo, 0, v40, vcc_lo
	s_add_u32 s4, s14, -1
	s_addc_u32 s5, s15, -1
	s_mov_b64 s[6:7], 0
	s_mov_b32 s36, 0
                                        ; implicit-def: $sgpr37
	s_set_inst_prefetch_distance 0x1
	s_branch .LBB1463_107
	.p2align	6
.LBB1463_105:                           ;   in Loop: Header=BB1463_107 Depth=1
	global_load_u16 v41, v[39:40], off
	global_load_u16 v42, v[37:38], off
	v_add_co_u32 v37, vcc_lo, v37, 2
	v_add_co_ci_u32_e32 v38, vcc_lo, 0, v38, vcc_lo
	v_add_co_u32 v39, s0, v39, 2
	s_delay_alu instid0(VALU_DEP_1)
	v_add_co_ci_u32_e64 v40, s0, 0, v40, s0
	s_add_u32 s6, s6, 1
	s_addc_u32 s7, s7, 0
	s_and_not1_b32 s0, s37, exec_lo
	s_waitcnt vmcnt(0)
	v_cmp_ne_u16_e32 vcc_lo, v41, v42
	s_and_b32 s37, vcc_lo, exec_lo
	s_delay_alu instid0(SALU_CYCLE_1)
	s_or_b32 s37, s0, s37
.LBB1463_106:                           ;   in Loop: Header=BB1463_107 Depth=1
	v_dual_mov_b32 v42, s7 :: v_dual_mov_b32 v41, s6
	s_and_b32 s0, exec_lo, s37
	s_delay_alu instid0(SALU_CYCLE_1) | instskip(NEXT) | instid1(SALU_CYCLE_1)
	s_or_b32 s36, s0, s36
	s_and_not1_b32 exec_lo, exec_lo, s36
	s_cbranch_execz .LBB1463_109
.LBB1463_107:                           ; =>This Inner Loop Header: Depth=1
	s_or_b32 s37, s37, exec_lo
	s_cmp_eq_u64 s[4:5], s[6:7]
	s_cbranch_scc0 .LBB1463_105
; %bb.108:                              ;   in Loop: Header=BB1463_107 Depth=1
	s_mov_b64 s[6:7], s[14:15]
                                        ; implicit-def: $vgpr37_vgpr38
                                        ; implicit-def: $vgpr39_vgpr40
	s_branch .LBB1463_106
.LBB1463_109:
	s_set_inst_prefetch_distance 0x2
	s_or_b32 exec_lo, exec_lo, s36
	v_cmp_gt_i64_e32 vcc_lo, s[14:15], v[41:42]
	s_or_not1_b32 s0, vcc_lo, exec_lo
.LBB1463_110:
	s_or_b32 exec_lo, exec_lo, s35
.LBB1463_111:
	s_waitcnt vmcnt(0)
	v_dual_mov_b32 v38, v34 :: v_dual_mov_b32 v37, v33
	s_waitcnt lgkmcnt(0)
	s_barrier
	buffer_gl0_inv
	s_and_saveexec_b32 s4, s3
	s_cbranch_execz .LBB1463_113
; %bb.112:
	v_add_nc_u32_e32 v37, -8, v55
	ds_load_b64 v[37:38], v37
.LBB1463_113:
	s_or_b32 exec_lo, exec_lo, s4
	v_cndmask_b32_e64 v40, 0, 1, s34
	v_cndmask_b32_e64 v42, 0, 1, s26
	;; [unrolled: 1-line block ×7, first 2 shown]
	v_lshlrev_b16 v40, 8, v40
	v_lshlrev_b16 v42, 8, v42
	v_lshlrev_b16 v44, 8, v44
	v_lshlrev_b16 v45, 8, v45
	s_mov_b32 s1, 0
	v_or_b32_e32 v39, v39, v40
	v_or_b32_e32 v40, v41, v42
	;; [unrolled: 1-line block ×3, first 2 shown]
	v_and_b32_e32 v41, 0xffff, v45
	s_and_not1_b32 vcc_lo, exec_lo, s13
	v_lshlrev_b32_e32 v42, 16, v39
	v_and_b32_e32 v44, 0xffff, v40
	v_lshlrev_b32_e32 v45, 16, v46
	s_mov_b32 s0, 0
	s_cbranch_vccnz .LBB1463_122
; %bb.114:
	s_waitcnt lgkmcnt(0)
	v_mul_lo_u32 v40, v38, s14
	v_mul_lo_u32 v46, v37, s15
	v_mad_u64_u32 v[38:39], null, v37, s14, 0
	s_mov_b32 s0, -1
	s_mov_b32 s24, exec_lo
	s_delay_alu instid0(VALU_DEP_1) | instskip(NEXT) | instid1(VALU_DEP_1)
	v_add3_u32 v39, v39, v46, v40
	v_lshlrev_b64 v[37:38], 1, v[38:39]
	s_delay_alu instid0(VALU_DEP_1) | instskip(NEXT) | instid1(VALU_DEP_2)
	v_add_co_u32 v37, vcc_lo, s20, v37
	v_add_co_ci_u32_e32 v38, vcc_lo, s21, v38, vcc_lo
	v_add_co_u32 v35, vcc_lo, s20, v35
	v_add_co_ci_u32_e32 v36, vcc_lo, s21, v36, vcc_lo
	s_clause 0x1
	global_load_u16 v39, v[37:38], off
	global_load_u16 v40, v[35:36], off
	s_waitcnt vmcnt(0)
	v_cmpx_eq_u16_e64 v39, v40
	s_cbranch_execz .LBB1463_121
; %bb.115:
	v_add_co_u32 v35, vcc_lo, v35, 2
	v_add_co_ci_u32_e32 v36, vcc_lo, 0, v36, vcc_lo
	v_add_co_u32 v37, vcc_lo, v37, 2
	v_add_co_ci_u32_e32 v38, vcc_lo, 0, v38, vcc_lo
	s_add_u32 s4, s14, -1
	s_addc_u32 s5, s15, -1
	s_mov_b64 s[6:7], 0
	s_mov_b32 s25, 0
                                        ; implicit-def: $sgpr26
	s_set_inst_prefetch_distance 0x1
	s_branch .LBB1463_118
	.p2align	6
.LBB1463_116:                           ;   in Loop: Header=BB1463_118 Depth=1
	global_load_u16 v39, v[37:38], off
	global_load_u16 v40, v[35:36], off
	v_add_co_u32 v35, vcc_lo, v35, 2
	v_add_co_ci_u32_e32 v36, vcc_lo, 0, v36, vcc_lo
	v_add_co_u32 v37, s0, v37, 2
	s_delay_alu instid0(VALU_DEP_1)
	v_add_co_ci_u32_e64 v38, s0, 0, v38, s0
	s_add_u32 s6, s6, 1
	s_addc_u32 s7, s7, 0
	s_and_not1_b32 s0, s26, exec_lo
	s_waitcnt vmcnt(0)
	v_cmp_ne_u16_e32 vcc_lo, v39, v40
	s_and_b32 s26, vcc_lo, exec_lo
	s_delay_alu instid0(SALU_CYCLE_1)
	s_or_b32 s26, s0, s26
.LBB1463_117:                           ;   in Loop: Header=BB1463_118 Depth=1
	v_dual_mov_b32 v40, s7 :: v_dual_mov_b32 v39, s6
	s_and_b32 s0, exec_lo, s26
	s_delay_alu instid0(SALU_CYCLE_1) | instskip(NEXT) | instid1(SALU_CYCLE_1)
	s_or_b32 s25, s0, s25
	s_and_not1_b32 exec_lo, exec_lo, s25
	s_cbranch_execz .LBB1463_120
.LBB1463_118:                           ; =>This Inner Loop Header: Depth=1
	s_or_b32 s26, s26, exec_lo
	s_cmp_eq_u64 s[4:5], s[6:7]
	s_cbranch_scc0 .LBB1463_116
; %bb.119:                              ;   in Loop: Header=BB1463_118 Depth=1
	s_mov_b64 s[6:7], s[14:15]
                                        ; implicit-def: $vgpr35_vgpr36
                                        ; implicit-def: $vgpr37_vgpr38
	s_branch .LBB1463_117
.LBB1463_120:
	s_set_inst_prefetch_distance 0x2
	s_or_b32 exec_lo, exec_lo, s25
	v_cmp_gt_i64_e32 vcc_lo, s[14:15], v[39:40]
	s_or_not1_b32 s0, vcc_lo, exec_lo
.LBB1463_121:
	s_or_b32 exec_lo, exec_lo, s24
.LBB1463_122:
	v_or_b32_e32 v35, v41, v42
	s_delay_alu instid0(VALU_DEP_2)
	v_or_b32_e32 v36, v44, v45
	s_and_b32 vcc_lo, exec_lo, s1
	s_cbranch_vccz .LBB1463_214
.LBB1463_123:
	v_or_b32_e32 v35, 7, v55
	s_mov_b32 s1, 0
	s_mov_b32 s24, 0
	s_mov_b32 s25, exec_lo
	s_delay_alu instid0(VALU_DEP_1)
	v_cmpx_gt_u32_e64 s31, v35
	s_cbranch_execz .LBB1463_134
; %bb.124:
	s_and_not1_b32 vcc_lo, exec_lo, s13
	s_mov_b32 s0, 0
	s_cbranch_vccnz .LBB1463_133
; %bb.125:
	v_mul_lo_u32 v39, v18, s14
	v_mul_lo_u32 v40, v17, s15
	v_mad_u64_u32 v[35:36], null, v17, s14, 0
	v_mul_lo_u32 v41, v20, s14
	v_mul_lo_u32 v42, v19, s15
	s_waitcnt lgkmcnt(0)
	v_mad_u64_u32 v[37:38], null, v19, s14, 0
	s_mov_b32 s0, -1
	s_mov_b32 s13, exec_lo
	s_delay_alu instid0(VALU_DEP_4) | instskip(NEXT) | instid1(VALU_DEP_2)
	v_add3_u32 v36, v36, v40, v39
	v_add3_u32 v38, v38, v42, v41
	s_delay_alu instid0(VALU_DEP_2) | instskip(NEXT) | instid1(VALU_DEP_2)
	v_lshlrev_b64 v[35:36], 1, v[35:36]
	v_lshlrev_b64 v[39:40], 1, v[37:38]
	s_delay_alu instid0(VALU_DEP_2) | instskip(NEXT) | instid1(VALU_DEP_3)
	v_add_co_u32 v37, vcc_lo, s20, v35
	v_add_co_ci_u32_e32 v38, vcc_lo, s21, v36, vcc_lo
	s_delay_alu instid0(VALU_DEP_3) | instskip(NEXT) | instid1(VALU_DEP_4)
	v_add_co_u32 v35, vcc_lo, s20, v39
	v_add_co_ci_u32_e32 v36, vcc_lo, s21, v40, vcc_lo
	s_clause 0x1
	global_load_u16 v39, v[37:38], off
	global_load_u16 v40, v[35:36], off
	s_waitcnt vmcnt(0)
	v_cmpx_eq_u16_e64 v39, v40
	s_cbranch_execz .LBB1463_132
; %bb.126:
	v_add_co_u32 v35, vcc_lo, v35, 2
	v_add_co_ci_u32_e32 v36, vcc_lo, 0, v36, vcc_lo
	v_add_co_u32 v37, vcc_lo, v37, 2
	v_add_co_ci_u32_e32 v38, vcc_lo, 0, v38, vcc_lo
	s_add_u32 s4, s14, -1
	s_addc_u32 s5, s15, -1
	s_mov_b64 s[6:7], 0
                                        ; implicit-def: $sgpr26
	s_set_inst_prefetch_distance 0x1
	s_branch .LBB1463_129
	.p2align	6
.LBB1463_127:                           ;   in Loop: Header=BB1463_129 Depth=1
	global_load_u16 v39, v[37:38], off
	global_load_u16 v40, v[35:36], off
	v_add_co_u32 v35, vcc_lo, v35, 2
	v_add_co_ci_u32_e32 v36, vcc_lo, 0, v36, vcc_lo
	v_add_co_u32 v37, s0, v37, 2
	s_delay_alu instid0(VALU_DEP_1)
	v_add_co_ci_u32_e64 v38, s0, 0, v38, s0
	s_add_u32 s6, s6, 1
	s_addc_u32 s7, s7, 0
	s_and_not1_b32 s0, s26, exec_lo
	s_waitcnt vmcnt(0)
	v_cmp_ne_u16_e32 vcc_lo, v39, v40
	s_and_b32 s26, vcc_lo, exec_lo
	s_delay_alu instid0(SALU_CYCLE_1)
	s_or_b32 s26, s0, s26
.LBB1463_128:                           ;   in Loop: Header=BB1463_129 Depth=1
	v_dual_mov_b32 v40, s7 :: v_dual_mov_b32 v39, s6
	s_and_b32 s0, exec_lo, s26
	s_delay_alu instid0(SALU_CYCLE_1) | instskip(NEXT) | instid1(SALU_CYCLE_1)
	s_or_b32 s24, s0, s24
	s_and_not1_b32 exec_lo, exec_lo, s24
	s_cbranch_execz .LBB1463_131
.LBB1463_129:                           ; =>This Inner Loop Header: Depth=1
	s_or_b32 s26, s26, exec_lo
	s_cmp_eq_u64 s[4:5], s[6:7]
	s_cbranch_scc0 .LBB1463_127
; %bb.130:                              ;   in Loop: Header=BB1463_129 Depth=1
	s_mov_b64 s[6:7], s[14:15]
                                        ; implicit-def: $vgpr35_vgpr36
                                        ; implicit-def: $vgpr37_vgpr38
	s_branch .LBB1463_128
.LBB1463_131:
	s_set_inst_prefetch_distance 0x2
	s_or_b32 exec_lo, exec_lo, s24
	v_cmp_gt_i64_e32 vcc_lo, s[14:15], v[39:40]
	s_or_not1_b32 s0, vcc_lo, exec_lo
.LBB1463_132:
	s_or_b32 exec_lo, exec_lo, s13
.LBB1463_133:
	s_delay_alu instid0(SALU_CYCLE_1)
	s_and_b32 s24, s0, exec_lo
.LBB1463_134:
	s_or_b32 exec_lo, exec_lo, s25
	v_or_b32_e32 v35, 6, v55
	s_mov_b32 s13, exec_lo
	s_delay_alu instid0(VALU_DEP_1)
	v_cmpx_gt_u32_e64 s31, v35
	s_cbranch_execz .LBB1463_145
; %bb.135:
	v_cmp_ne_u32_e32 vcc_lo, 1, v43
	s_mov_b32 s0, 0
	s_cbranch_vccnz .LBB1463_144
; %bb.136:
	v_mul_lo_u32 v39, v24, s14
	v_mul_lo_u32 v40, v23, s15
	v_mad_u64_u32 v[35:36], null, v23, s14, 0
	v_mul_lo_u32 v41, v18, s14
	v_mul_lo_u32 v42, v17, s15
	s_waitcnt lgkmcnt(0)
	v_mad_u64_u32 v[37:38], null, v17, s14, 0
	s_mov_b32 s0, -1
	s_mov_b32 s1, exec_lo
	s_delay_alu instid0(VALU_DEP_4) | instskip(NEXT) | instid1(VALU_DEP_2)
	v_add3_u32 v36, v36, v40, v39
	v_add3_u32 v38, v38, v42, v41
	s_delay_alu instid0(VALU_DEP_2) | instskip(NEXT) | instid1(VALU_DEP_2)
	v_lshlrev_b64 v[35:36], 1, v[35:36]
	v_lshlrev_b64 v[39:40], 1, v[37:38]
	s_delay_alu instid0(VALU_DEP_2) | instskip(NEXT) | instid1(VALU_DEP_3)
	v_add_co_u32 v37, vcc_lo, s20, v35
	v_add_co_ci_u32_e32 v38, vcc_lo, s21, v36, vcc_lo
	s_delay_alu instid0(VALU_DEP_3) | instskip(NEXT) | instid1(VALU_DEP_4)
	v_add_co_u32 v35, vcc_lo, s20, v39
	v_add_co_ci_u32_e32 v36, vcc_lo, s21, v40, vcc_lo
	s_clause 0x1
	global_load_u16 v39, v[37:38], off
	global_load_u16 v40, v[35:36], off
	s_waitcnt vmcnt(0)
	v_cmpx_eq_u16_e64 v39, v40
	s_cbranch_execz .LBB1463_143
; %bb.137:
	v_add_co_u32 v35, vcc_lo, v35, 2
	v_add_co_ci_u32_e32 v36, vcc_lo, 0, v36, vcc_lo
	v_add_co_u32 v37, vcc_lo, v37, 2
	v_add_co_ci_u32_e32 v38, vcc_lo, 0, v38, vcc_lo
	s_add_u32 s4, s14, -1
	s_addc_u32 s5, s15, -1
	s_mov_b64 s[6:7], 0
	s_mov_b32 s25, 0
                                        ; implicit-def: $sgpr26
	s_set_inst_prefetch_distance 0x1
	s_branch .LBB1463_140
	.p2align	6
.LBB1463_138:                           ;   in Loop: Header=BB1463_140 Depth=1
	global_load_u16 v39, v[37:38], off
	global_load_u16 v40, v[35:36], off
	v_add_co_u32 v35, vcc_lo, v35, 2
	v_add_co_ci_u32_e32 v36, vcc_lo, 0, v36, vcc_lo
	v_add_co_u32 v37, s0, v37, 2
	s_delay_alu instid0(VALU_DEP_1)
	v_add_co_ci_u32_e64 v38, s0, 0, v38, s0
	s_add_u32 s6, s6, 1
	s_addc_u32 s7, s7, 0
	s_and_not1_b32 s0, s26, exec_lo
	s_waitcnt vmcnt(0)
	v_cmp_ne_u16_e32 vcc_lo, v39, v40
	s_and_b32 s26, vcc_lo, exec_lo
	s_delay_alu instid0(SALU_CYCLE_1)
	s_or_b32 s26, s0, s26
.LBB1463_139:                           ;   in Loop: Header=BB1463_140 Depth=1
	v_dual_mov_b32 v40, s7 :: v_dual_mov_b32 v39, s6
	s_and_b32 s0, exec_lo, s26
	s_delay_alu instid0(SALU_CYCLE_1) | instskip(NEXT) | instid1(SALU_CYCLE_1)
	s_or_b32 s25, s0, s25
	s_and_not1_b32 exec_lo, exec_lo, s25
	s_cbranch_execz .LBB1463_142
.LBB1463_140:                           ; =>This Inner Loop Header: Depth=1
	s_or_b32 s26, s26, exec_lo
	s_cmp_eq_u64 s[4:5], s[6:7]
	s_cbranch_scc0 .LBB1463_138
; %bb.141:                              ;   in Loop: Header=BB1463_140 Depth=1
	s_mov_b64 s[6:7], s[14:15]
                                        ; implicit-def: $vgpr35_vgpr36
                                        ; implicit-def: $vgpr37_vgpr38
	s_branch .LBB1463_139
.LBB1463_142:
	s_set_inst_prefetch_distance 0x2
	s_or_b32 exec_lo, exec_lo, s25
	v_cmp_gt_i64_e32 vcc_lo, s[14:15], v[39:40]
	s_or_not1_b32 s0, vcc_lo, exec_lo
.LBB1463_143:
	s_or_b32 exec_lo, exec_lo, s1
.LBB1463_144:
	s_delay_alu instid0(SALU_CYCLE_1)
	s_and_b32 s1, s0, exec_lo
.LBB1463_145:
	s_or_b32 exec_lo, exec_lo, s13
	v_or_b32_e32 v35, 5, v55
	s_mov_b32 s25, 0
	s_mov_b32 s13, 0
	s_mov_b32 s26, exec_lo
	s_delay_alu instid0(VALU_DEP_1)
	v_cmpx_gt_u32_e64 s31, v35
	s_cbranch_execz .LBB1463_156
; %bb.146:
	v_cmp_ne_u32_e32 vcc_lo, 1, v43
	s_mov_b32 s0, 0
	s_cbranch_vccnz .LBB1463_155
; %bb.147:
	v_mul_lo_u32 v39, v22, s14
	v_mul_lo_u32 v40, v21, s15
	v_mad_u64_u32 v[35:36], null, v21, s14, 0
	v_mul_lo_u32 v41, v24, s14
	v_mul_lo_u32 v42, v23, s15
	s_waitcnt lgkmcnt(0)
	v_mad_u64_u32 v[37:38], null, v23, s14, 0
	s_mov_b32 s0, -1
	s_mov_b32 s13, exec_lo
	s_delay_alu instid0(VALU_DEP_4) | instskip(NEXT) | instid1(VALU_DEP_2)
	v_add3_u32 v36, v36, v40, v39
	v_add3_u32 v38, v38, v42, v41
	s_delay_alu instid0(VALU_DEP_2) | instskip(NEXT) | instid1(VALU_DEP_2)
	v_lshlrev_b64 v[35:36], 1, v[35:36]
	v_lshlrev_b64 v[39:40], 1, v[37:38]
	s_delay_alu instid0(VALU_DEP_2) | instskip(NEXT) | instid1(VALU_DEP_3)
	v_add_co_u32 v37, vcc_lo, s20, v35
	v_add_co_ci_u32_e32 v38, vcc_lo, s21, v36, vcc_lo
	s_delay_alu instid0(VALU_DEP_3) | instskip(NEXT) | instid1(VALU_DEP_4)
	v_add_co_u32 v35, vcc_lo, s20, v39
	v_add_co_ci_u32_e32 v36, vcc_lo, s21, v40, vcc_lo
	s_clause 0x1
	global_load_u16 v39, v[37:38], off
	global_load_u16 v40, v[35:36], off
	s_waitcnt vmcnt(0)
	v_cmpx_eq_u16_e64 v39, v40
	s_cbranch_execz .LBB1463_154
; %bb.148:
	v_add_co_u32 v35, vcc_lo, v35, 2
	v_add_co_ci_u32_e32 v36, vcc_lo, 0, v36, vcc_lo
	v_add_co_u32 v37, vcc_lo, v37, 2
	v_add_co_ci_u32_e32 v38, vcc_lo, 0, v38, vcc_lo
	s_add_u32 s4, s14, -1
	s_addc_u32 s5, s15, -1
	s_mov_b64 s[6:7], 0
	s_mov_b32 s27, 0
                                        ; implicit-def: $sgpr34
	s_set_inst_prefetch_distance 0x1
	s_branch .LBB1463_151
	.p2align	6
.LBB1463_149:                           ;   in Loop: Header=BB1463_151 Depth=1
	global_load_u16 v39, v[37:38], off
	global_load_u16 v40, v[35:36], off
	v_add_co_u32 v35, vcc_lo, v35, 2
	v_add_co_ci_u32_e32 v36, vcc_lo, 0, v36, vcc_lo
	v_add_co_u32 v37, s0, v37, 2
	s_delay_alu instid0(VALU_DEP_1)
	v_add_co_ci_u32_e64 v38, s0, 0, v38, s0
	s_add_u32 s6, s6, 1
	s_addc_u32 s7, s7, 0
	s_and_not1_b32 s0, s34, exec_lo
	s_waitcnt vmcnt(0)
	v_cmp_ne_u16_e32 vcc_lo, v39, v40
	s_and_b32 s34, vcc_lo, exec_lo
	s_delay_alu instid0(SALU_CYCLE_1)
	s_or_b32 s34, s0, s34
.LBB1463_150:                           ;   in Loop: Header=BB1463_151 Depth=1
	v_dual_mov_b32 v40, s7 :: v_dual_mov_b32 v39, s6
	s_and_b32 s0, exec_lo, s34
	s_delay_alu instid0(SALU_CYCLE_1) | instskip(NEXT) | instid1(SALU_CYCLE_1)
	s_or_b32 s27, s0, s27
	s_and_not1_b32 exec_lo, exec_lo, s27
	s_cbranch_execz .LBB1463_153
.LBB1463_151:                           ; =>This Inner Loop Header: Depth=1
	s_or_b32 s34, s34, exec_lo
	s_cmp_eq_u64 s[4:5], s[6:7]
	s_cbranch_scc0 .LBB1463_149
; %bb.152:                              ;   in Loop: Header=BB1463_151 Depth=1
	s_mov_b64 s[6:7], s[14:15]
                                        ; implicit-def: $vgpr35_vgpr36
                                        ; implicit-def: $vgpr37_vgpr38
	s_branch .LBB1463_150
.LBB1463_153:
	s_set_inst_prefetch_distance 0x2
	s_or_b32 exec_lo, exec_lo, s27
	v_cmp_gt_i64_e32 vcc_lo, s[14:15], v[39:40]
	s_or_not1_b32 s0, vcc_lo, exec_lo
.LBB1463_154:
	s_or_b32 exec_lo, exec_lo, s13
.LBB1463_155:
	s_delay_alu instid0(SALU_CYCLE_1)
	s_and_b32 s13, s0, exec_lo
.LBB1463_156:
	s_or_b32 exec_lo, exec_lo, s26
	v_or_b32_e32 v35, 4, v55
	s_mov_b32 s26, exec_lo
	s_delay_alu instid0(VALU_DEP_1)
	v_cmpx_gt_u32_e64 s31, v35
	s_cbranch_execz .LBB1463_167
; %bb.157:
	v_cmp_ne_u32_e32 vcc_lo, 1, v43
	s_mov_b32 s0, 0
	s_cbranch_vccnz .LBB1463_166
; %bb.158:
	v_mul_lo_u32 v39, v28, s14
	v_mul_lo_u32 v40, v27, s15
	v_mad_u64_u32 v[35:36], null, v27, s14, 0
	v_mul_lo_u32 v41, v22, s14
	v_mul_lo_u32 v42, v21, s15
	s_waitcnt lgkmcnt(0)
	v_mad_u64_u32 v[37:38], null, v21, s14, 0
	s_mov_b32 s0, -1
	s_mov_b32 s25, exec_lo
	s_delay_alu instid0(VALU_DEP_4) | instskip(NEXT) | instid1(VALU_DEP_2)
	v_add3_u32 v36, v36, v40, v39
	v_add3_u32 v38, v38, v42, v41
	s_delay_alu instid0(VALU_DEP_2) | instskip(NEXT) | instid1(VALU_DEP_2)
	v_lshlrev_b64 v[35:36], 1, v[35:36]
	v_lshlrev_b64 v[39:40], 1, v[37:38]
	s_delay_alu instid0(VALU_DEP_2) | instskip(NEXT) | instid1(VALU_DEP_3)
	v_add_co_u32 v37, vcc_lo, s20, v35
	v_add_co_ci_u32_e32 v38, vcc_lo, s21, v36, vcc_lo
	s_delay_alu instid0(VALU_DEP_3) | instskip(NEXT) | instid1(VALU_DEP_4)
	v_add_co_u32 v35, vcc_lo, s20, v39
	v_add_co_ci_u32_e32 v36, vcc_lo, s21, v40, vcc_lo
	s_clause 0x1
	global_load_u16 v39, v[37:38], off
	global_load_u16 v40, v[35:36], off
	s_waitcnt vmcnt(0)
	v_cmpx_eq_u16_e64 v39, v40
	s_cbranch_execz .LBB1463_165
; %bb.159:
	v_add_co_u32 v35, vcc_lo, v35, 2
	v_add_co_ci_u32_e32 v36, vcc_lo, 0, v36, vcc_lo
	v_add_co_u32 v37, vcc_lo, v37, 2
	v_add_co_ci_u32_e32 v38, vcc_lo, 0, v38, vcc_lo
	s_add_u32 s4, s14, -1
	s_addc_u32 s5, s15, -1
	s_mov_b64 s[6:7], 0
	s_mov_b32 s27, 0
                                        ; implicit-def: $sgpr34
	s_set_inst_prefetch_distance 0x1
	s_branch .LBB1463_162
	.p2align	6
.LBB1463_160:                           ;   in Loop: Header=BB1463_162 Depth=1
	global_load_u16 v39, v[37:38], off
	global_load_u16 v40, v[35:36], off
	v_add_co_u32 v35, vcc_lo, v35, 2
	v_add_co_ci_u32_e32 v36, vcc_lo, 0, v36, vcc_lo
	v_add_co_u32 v37, s0, v37, 2
	s_delay_alu instid0(VALU_DEP_1)
	v_add_co_ci_u32_e64 v38, s0, 0, v38, s0
	s_add_u32 s6, s6, 1
	s_addc_u32 s7, s7, 0
	s_and_not1_b32 s0, s34, exec_lo
	s_waitcnt vmcnt(0)
	v_cmp_ne_u16_e32 vcc_lo, v39, v40
	s_and_b32 s34, vcc_lo, exec_lo
	s_delay_alu instid0(SALU_CYCLE_1)
	s_or_b32 s34, s0, s34
.LBB1463_161:                           ;   in Loop: Header=BB1463_162 Depth=1
	v_dual_mov_b32 v40, s7 :: v_dual_mov_b32 v39, s6
	s_and_b32 s0, exec_lo, s34
	s_delay_alu instid0(SALU_CYCLE_1) | instskip(NEXT) | instid1(SALU_CYCLE_1)
	s_or_b32 s27, s0, s27
	s_and_not1_b32 exec_lo, exec_lo, s27
	s_cbranch_execz .LBB1463_164
.LBB1463_162:                           ; =>This Inner Loop Header: Depth=1
	s_or_b32 s34, s34, exec_lo
	s_cmp_eq_u64 s[4:5], s[6:7]
	s_cbranch_scc0 .LBB1463_160
; %bb.163:                              ;   in Loop: Header=BB1463_162 Depth=1
	s_mov_b64 s[6:7], s[14:15]
                                        ; implicit-def: $vgpr35_vgpr36
                                        ; implicit-def: $vgpr37_vgpr38
	s_branch .LBB1463_161
.LBB1463_164:
	s_set_inst_prefetch_distance 0x2
	s_or_b32 exec_lo, exec_lo, s27
	v_cmp_gt_i64_e32 vcc_lo, s[14:15], v[39:40]
	s_or_not1_b32 s0, vcc_lo, exec_lo
.LBB1463_165:
	s_or_b32 exec_lo, exec_lo, s25
.LBB1463_166:
	s_delay_alu instid0(SALU_CYCLE_1)
	s_and_b32 s25, s0, exec_lo
.LBB1463_167:
	s_or_b32 exec_lo, exec_lo, s26
	v_or_b32_e32 v35, 3, v55
	s_mov_b32 s27, 0
	s_mov_b32 s26, 0
	s_mov_b32 s34, exec_lo
	s_delay_alu instid0(VALU_DEP_1)
	v_cmpx_gt_u32_e64 s31, v35
	s_cbranch_execz .LBB1463_178
; %bb.168:
	v_cmp_ne_u32_e32 vcc_lo, 1, v43
	s_mov_b32 s0, 0
	s_cbranch_vccnz .LBB1463_177
; %bb.169:
	v_mul_lo_u32 v39, v26, s14
	v_mul_lo_u32 v40, v25, s15
	v_mad_u64_u32 v[35:36], null, v25, s14, 0
	v_mul_lo_u32 v41, v28, s14
	v_mul_lo_u32 v42, v27, s15
	s_waitcnt lgkmcnt(0)
	v_mad_u64_u32 v[37:38], null, v27, s14, 0
	s_mov_b32 s0, -1
	s_mov_b32 s26, exec_lo
	s_delay_alu instid0(VALU_DEP_4) | instskip(NEXT) | instid1(VALU_DEP_2)
	v_add3_u32 v36, v36, v40, v39
	v_add3_u32 v38, v38, v42, v41
	s_delay_alu instid0(VALU_DEP_2) | instskip(NEXT) | instid1(VALU_DEP_2)
	v_lshlrev_b64 v[35:36], 1, v[35:36]
	v_lshlrev_b64 v[39:40], 1, v[37:38]
	s_delay_alu instid0(VALU_DEP_2) | instskip(NEXT) | instid1(VALU_DEP_3)
	v_add_co_u32 v37, vcc_lo, s20, v35
	v_add_co_ci_u32_e32 v38, vcc_lo, s21, v36, vcc_lo
	s_delay_alu instid0(VALU_DEP_3) | instskip(NEXT) | instid1(VALU_DEP_4)
	v_add_co_u32 v35, vcc_lo, s20, v39
	v_add_co_ci_u32_e32 v36, vcc_lo, s21, v40, vcc_lo
	s_clause 0x1
	global_load_u16 v39, v[37:38], off
	global_load_u16 v40, v[35:36], off
	s_waitcnt vmcnt(0)
	v_cmpx_eq_u16_e64 v39, v40
	s_cbranch_execz .LBB1463_176
; %bb.170:
	v_add_co_u32 v35, vcc_lo, v35, 2
	v_add_co_ci_u32_e32 v36, vcc_lo, 0, v36, vcc_lo
	v_add_co_u32 v37, vcc_lo, v37, 2
	v_add_co_ci_u32_e32 v38, vcc_lo, 0, v38, vcc_lo
	s_add_u32 s4, s14, -1
	s_addc_u32 s5, s15, -1
	s_mov_b64 s[6:7], 0
	s_mov_b32 s35, 0
                                        ; implicit-def: $sgpr36
	s_set_inst_prefetch_distance 0x1
	s_branch .LBB1463_173
	.p2align	6
.LBB1463_171:                           ;   in Loop: Header=BB1463_173 Depth=1
	global_load_u16 v39, v[37:38], off
	global_load_u16 v40, v[35:36], off
	v_add_co_u32 v35, vcc_lo, v35, 2
	v_add_co_ci_u32_e32 v36, vcc_lo, 0, v36, vcc_lo
	v_add_co_u32 v37, s0, v37, 2
	s_delay_alu instid0(VALU_DEP_1)
	v_add_co_ci_u32_e64 v38, s0, 0, v38, s0
	s_add_u32 s6, s6, 1
	s_addc_u32 s7, s7, 0
	s_and_not1_b32 s0, s36, exec_lo
	s_waitcnt vmcnt(0)
	v_cmp_ne_u16_e32 vcc_lo, v39, v40
	s_and_b32 s36, vcc_lo, exec_lo
	s_delay_alu instid0(SALU_CYCLE_1)
	s_or_b32 s36, s0, s36
.LBB1463_172:                           ;   in Loop: Header=BB1463_173 Depth=1
	v_dual_mov_b32 v40, s7 :: v_dual_mov_b32 v39, s6
	s_and_b32 s0, exec_lo, s36
	s_delay_alu instid0(SALU_CYCLE_1) | instskip(NEXT) | instid1(SALU_CYCLE_1)
	s_or_b32 s35, s0, s35
	s_and_not1_b32 exec_lo, exec_lo, s35
	s_cbranch_execz .LBB1463_175
.LBB1463_173:                           ; =>This Inner Loop Header: Depth=1
	s_or_b32 s36, s36, exec_lo
	s_cmp_eq_u64 s[4:5], s[6:7]
	s_cbranch_scc0 .LBB1463_171
; %bb.174:                              ;   in Loop: Header=BB1463_173 Depth=1
	s_mov_b64 s[6:7], s[14:15]
                                        ; implicit-def: $vgpr35_vgpr36
                                        ; implicit-def: $vgpr37_vgpr38
	s_branch .LBB1463_172
.LBB1463_175:
	s_set_inst_prefetch_distance 0x2
	s_or_b32 exec_lo, exec_lo, s35
	v_cmp_gt_i64_e32 vcc_lo, s[14:15], v[39:40]
	s_or_not1_b32 s0, vcc_lo, exec_lo
.LBB1463_176:
	s_or_b32 exec_lo, exec_lo, s26
.LBB1463_177:
	s_delay_alu instid0(SALU_CYCLE_1)
	s_and_b32 s26, s0, exec_lo
.LBB1463_178:
	s_or_b32 exec_lo, exec_lo, s34
	v_or_b32_e32 v35, 2, v55
	s_mov_b32 s34, exec_lo
	s_delay_alu instid0(VALU_DEP_1)
	v_cmpx_gt_u32_e64 s31, v35
	s_cbranch_execz .LBB1463_189
; %bb.179:
	v_cmp_ne_u32_e32 vcc_lo, 1, v43
	s_mov_b32 s0, 0
	s_cbranch_vccnz .LBB1463_188
; %bb.180:
	v_mul_lo_u32 v39, v32, s14
	v_mul_lo_u32 v40, v31, s15
	v_mad_u64_u32 v[35:36], null, v31, s14, 0
	v_mul_lo_u32 v41, v26, s14
	v_mul_lo_u32 v42, v25, s15
	s_waitcnt lgkmcnt(0)
	v_mad_u64_u32 v[37:38], null, v25, s14, 0
	s_mov_b32 s0, -1
	s_mov_b32 s27, exec_lo
	s_delay_alu instid0(VALU_DEP_4) | instskip(NEXT) | instid1(VALU_DEP_2)
	v_add3_u32 v36, v36, v40, v39
	v_add3_u32 v38, v38, v42, v41
	s_delay_alu instid0(VALU_DEP_2) | instskip(NEXT) | instid1(VALU_DEP_2)
	v_lshlrev_b64 v[35:36], 1, v[35:36]
	v_lshlrev_b64 v[39:40], 1, v[37:38]
	s_delay_alu instid0(VALU_DEP_2) | instskip(NEXT) | instid1(VALU_DEP_3)
	v_add_co_u32 v37, vcc_lo, s20, v35
	v_add_co_ci_u32_e32 v38, vcc_lo, s21, v36, vcc_lo
	s_delay_alu instid0(VALU_DEP_3) | instskip(NEXT) | instid1(VALU_DEP_4)
	v_add_co_u32 v35, vcc_lo, s20, v39
	v_add_co_ci_u32_e32 v36, vcc_lo, s21, v40, vcc_lo
	s_clause 0x1
	global_load_u16 v39, v[37:38], off
	global_load_u16 v40, v[35:36], off
	s_waitcnt vmcnt(0)
	v_cmpx_eq_u16_e64 v39, v40
	s_cbranch_execz .LBB1463_187
; %bb.181:
	v_add_co_u32 v35, vcc_lo, v35, 2
	v_add_co_ci_u32_e32 v36, vcc_lo, 0, v36, vcc_lo
	v_add_co_u32 v37, vcc_lo, v37, 2
	v_add_co_ci_u32_e32 v38, vcc_lo, 0, v38, vcc_lo
	s_add_u32 s4, s14, -1
	s_addc_u32 s5, s15, -1
	s_mov_b64 s[6:7], 0
	s_mov_b32 s35, 0
                                        ; implicit-def: $sgpr36
	s_set_inst_prefetch_distance 0x1
	s_branch .LBB1463_184
	.p2align	6
.LBB1463_182:                           ;   in Loop: Header=BB1463_184 Depth=1
	global_load_u16 v39, v[37:38], off
	global_load_u16 v40, v[35:36], off
	v_add_co_u32 v35, vcc_lo, v35, 2
	v_add_co_ci_u32_e32 v36, vcc_lo, 0, v36, vcc_lo
	v_add_co_u32 v37, s0, v37, 2
	s_delay_alu instid0(VALU_DEP_1)
	v_add_co_ci_u32_e64 v38, s0, 0, v38, s0
	s_add_u32 s6, s6, 1
	s_addc_u32 s7, s7, 0
	s_and_not1_b32 s0, s36, exec_lo
	s_waitcnt vmcnt(0)
	v_cmp_ne_u16_e32 vcc_lo, v39, v40
	s_and_b32 s36, vcc_lo, exec_lo
	s_delay_alu instid0(SALU_CYCLE_1)
	s_or_b32 s36, s0, s36
.LBB1463_183:                           ;   in Loop: Header=BB1463_184 Depth=1
	v_dual_mov_b32 v40, s7 :: v_dual_mov_b32 v39, s6
	s_and_b32 s0, exec_lo, s36
	s_delay_alu instid0(SALU_CYCLE_1) | instskip(NEXT) | instid1(SALU_CYCLE_1)
	s_or_b32 s35, s0, s35
	s_and_not1_b32 exec_lo, exec_lo, s35
	s_cbranch_execz .LBB1463_186
.LBB1463_184:                           ; =>This Inner Loop Header: Depth=1
	s_or_b32 s36, s36, exec_lo
	s_cmp_eq_u64 s[4:5], s[6:7]
	s_cbranch_scc0 .LBB1463_182
; %bb.185:                              ;   in Loop: Header=BB1463_184 Depth=1
	s_mov_b64 s[6:7], s[14:15]
                                        ; implicit-def: $vgpr35_vgpr36
                                        ; implicit-def: $vgpr37_vgpr38
	s_branch .LBB1463_183
.LBB1463_186:
	s_set_inst_prefetch_distance 0x2
	s_or_b32 exec_lo, exec_lo, s35
	v_cmp_gt_i64_e32 vcc_lo, s[14:15], v[39:40]
	s_or_not1_b32 s0, vcc_lo, exec_lo
.LBB1463_187:
	s_or_b32 exec_lo, exec_lo, s27
.LBB1463_188:
	s_delay_alu instid0(SALU_CYCLE_1)
	s_and_b32 s27, s0, exec_lo
.LBB1463_189:
	s_or_b32 exec_lo, exec_lo, s34
	v_or_b32_e32 v35, 1, v55
	s_mov_b32 s0, 0
	s_mov_b32 s34, exec_lo
	s_delay_alu instid0(VALU_DEP_1)
	v_cmpx_gt_u32_e64 s31, v35
	s_cbranch_execz .LBB1463_200
; %bb.190:
	v_cmp_ne_u32_e32 vcc_lo, 1, v43
	s_cbranch_vccnz .LBB1463_199
; %bb.191:
	v_mul_lo_u32 v39, v30, s14
	v_mul_lo_u32 v40, v29, s15
	v_mad_u64_u32 v[35:36], null, v29, s14, 0
	v_mul_lo_u32 v41, v32, s14
	v_mul_lo_u32 v42, v31, s15
	s_waitcnt lgkmcnt(0)
	v_mad_u64_u32 v[37:38], null, v31, s14, 0
	s_mov_b32 s0, -1
	s_mov_b32 s35, exec_lo
	s_delay_alu instid0(VALU_DEP_4) | instskip(NEXT) | instid1(VALU_DEP_2)
	v_add3_u32 v36, v36, v40, v39
	v_add3_u32 v38, v38, v42, v41
	s_delay_alu instid0(VALU_DEP_2) | instskip(NEXT) | instid1(VALU_DEP_2)
	v_lshlrev_b64 v[35:36], 1, v[35:36]
	v_lshlrev_b64 v[39:40], 1, v[37:38]
	s_delay_alu instid0(VALU_DEP_2) | instskip(NEXT) | instid1(VALU_DEP_3)
	v_add_co_u32 v37, vcc_lo, s20, v35
	v_add_co_ci_u32_e32 v38, vcc_lo, s21, v36, vcc_lo
	s_delay_alu instid0(VALU_DEP_3) | instskip(NEXT) | instid1(VALU_DEP_4)
	v_add_co_u32 v35, vcc_lo, s20, v39
	v_add_co_ci_u32_e32 v36, vcc_lo, s21, v40, vcc_lo
	s_clause 0x1
	global_load_u16 v39, v[37:38], off
	global_load_u16 v40, v[35:36], off
	s_waitcnt vmcnt(0)
	v_cmpx_eq_u16_e64 v39, v40
	s_cbranch_execz .LBB1463_198
; %bb.192:
	v_add_co_u32 v35, vcc_lo, v35, 2
	v_add_co_ci_u32_e32 v36, vcc_lo, 0, v36, vcc_lo
	v_add_co_u32 v37, vcc_lo, v37, 2
	v_add_co_ci_u32_e32 v38, vcc_lo, 0, v38, vcc_lo
	s_add_u32 s4, s14, -1
	s_addc_u32 s5, s15, -1
	s_mov_b64 s[6:7], 0
	s_mov_b32 s36, 0
                                        ; implicit-def: $sgpr37
	s_set_inst_prefetch_distance 0x1
	s_branch .LBB1463_195
	.p2align	6
.LBB1463_193:                           ;   in Loop: Header=BB1463_195 Depth=1
	global_load_u16 v39, v[37:38], off
	global_load_u16 v40, v[35:36], off
	v_add_co_u32 v35, vcc_lo, v35, 2
	v_add_co_ci_u32_e32 v36, vcc_lo, 0, v36, vcc_lo
	v_add_co_u32 v37, s0, v37, 2
	s_delay_alu instid0(VALU_DEP_1)
	v_add_co_ci_u32_e64 v38, s0, 0, v38, s0
	s_add_u32 s6, s6, 1
	s_addc_u32 s7, s7, 0
	s_and_not1_b32 s0, s37, exec_lo
	s_waitcnt vmcnt(0)
	v_cmp_ne_u16_e32 vcc_lo, v39, v40
	s_and_b32 s37, vcc_lo, exec_lo
	s_delay_alu instid0(SALU_CYCLE_1)
	s_or_b32 s37, s0, s37
.LBB1463_194:                           ;   in Loop: Header=BB1463_195 Depth=1
	v_dual_mov_b32 v40, s7 :: v_dual_mov_b32 v39, s6
	s_and_b32 s0, exec_lo, s37
	s_delay_alu instid0(SALU_CYCLE_1) | instskip(NEXT) | instid1(SALU_CYCLE_1)
	s_or_b32 s36, s0, s36
	s_and_not1_b32 exec_lo, exec_lo, s36
	s_cbranch_execz .LBB1463_197
.LBB1463_195:                           ; =>This Inner Loop Header: Depth=1
	s_or_b32 s37, s37, exec_lo
	s_cmp_eq_u64 s[4:5], s[6:7]
	s_cbranch_scc0 .LBB1463_193
; %bb.196:                              ;   in Loop: Header=BB1463_195 Depth=1
	s_mov_b64 s[6:7], s[14:15]
                                        ; implicit-def: $vgpr35_vgpr36
                                        ; implicit-def: $vgpr37_vgpr38
	s_branch .LBB1463_194
.LBB1463_197:
	s_set_inst_prefetch_distance 0x2
	s_or_b32 exec_lo, exec_lo, s36
	v_cmp_gt_i64_e32 vcc_lo, s[14:15], v[39:40]
	s_or_not1_b32 s0, vcc_lo, exec_lo
.LBB1463_198:
	s_or_b32 exec_lo, exec_lo, s35
.LBB1463_199:
	s_delay_alu instid0(SALU_CYCLE_1)
	s_and_b32 s0, s0, exec_lo
.LBB1463_200:
	s_or_b32 exec_lo, exec_lo, s34
	s_waitcnt vmcnt(0) lgkmcnt(0)
	s_barrier
	buffer_gl0_inv
	s_and_saveexec_b32 s4, s3
	s_cbranch_execz .LBB1463_202
; %bb.201:
	v_add_nc_u32_e32 v33, -8, v55
	ds_load_b64 v[33:34], v33
.LBB1463_202:
	s_or_b32 exec_lo, exec_lo, s4
	v_cndmask_b32_e64 v36, 0, 1, s26
	v_cndmask_b32_e64 v38, 0, 1, s13
	;; [unrolled: 1-line block ×7, first 2 shown]
	v_lshlrev_b16 v36, 8, v36
	v_lshlrev_b16 v38, 8, v38
	;; [unrolled: 1-line block ×3, first 2 shown]
	s_mov_b32 s0, 0
	v_lshlrev_b16 v41, 8, v41
	v_or_b32_e32 v35, v35, v36
	v_or_b32_e32 v36, v37, v38
	;; [unrolled: 1-line block ×3, first 2 shown]
	s_mov_b32 s1, exec_lo
	v_and_b32_e32 v39, 0xffff, v41
	v_lshlrev_b32_e32 v40, 16, v35
	v_and_b32_e32 v41, 0xffff, v36
	v_lshlrev_b32_e32 v42, 16, v37
	v_cmpx_gt_u32_e64 s31, v55
	s_cbranch_execz .LBB1463_213
; %bb.203:
	v_cmp_ne_u32_e32 vcc_lo, 1, v43
	s_cbranch_vccnz .LBB1463_212
; %bb.204:
	s_waitcnt lgkmcnt(0)
	v_mul_lo_u32 v38, v34, s14
	v_mul_lo_u32 v43, v33, s15
	v_mad_u64_u32 v[34:35], null, v33, s14, 0
	v_mul_lo_u32 v33, v30, s14
	v_mul_lo_u32 v44, v29, s15
	v_mad_u64_u32 v[36:37], null, v29, s14, 0
	s_mov_b32 s0, -1
	s_mov_b32 s13, exec_lo
	s_delay_alu instid0(VALU_DEP_4) | instskip(NEXT) | instid1(VALU_DEP_2)
	v_add3_u32 v35, v35, v43, v38
	v_add3_u32 v37, v37, v44, v33
	s_delay_alu instid0(VALU_DEP_2) | instskip(NEXT) | instid1(VALU_DEP_2)
	v_lshlrev_b64 v[33:34], 1, v[34:35]
	v_lshlrev_b64 v[37:38], 1, v[36:37]
	s_delay_alu instid0(VALU_DEP_2) | instskip(NEXT) | instid1(VALU_DEP_3)
	v_add_co_u32 v35, vcc_lo, s20, v33
	v_add_co_ci_u32_e32 v36, vcc_lo, s21, v34, vcc_lo
	s_delay_alu instid0(VALU_DEP_3) | instskip(NEXT) | instid1(VALU_DEP_4)
	v_add_co_u32 v33, vcc_lo, s20, v37
	v_add_co_ci_u32_e32 v34, vcc_lo, s21, v38, vcc_lo
	s_clause 0x1
	global_load_u16 v37, v[35:36], off
	global_load_u16 v38, v[33:34], off
	s_waitcnt vmcnt(0)
	v_cmpx_eq_u16_e64 v37, v38
	s_cbranch_execz .LBB1463_211
; %bb.205:
	v_add_co_u32 v33, vcc_lo, v33, 2
	v_add_co_ci_u32_e32 v34, vcc_lo, 0, v34, vcc_lo
	v_add_co_u32 v35, vcc_lo, v35, 2
	v_add_co_ci_u32_e32 v36, vcc_lo, 0, v36, vcc_lo
	s_add_u32 s4, s14, -1
	s_addc_u32 s5, s15, -1
	s_mov_b64 s[6:7], 0
	s_mov_b32 s24, 0
                                        ; implicit-def: $sgpr25
	s_set_inst_prefetch_distance 0x1
	s_branch .LBB1463_208
	.p2align	6
.LBB1463_206:                           ;   in Loop: Header=BB1463_208 Depth=1
	global_load_u16 v37, v[35:36], off
	global_load_u16 v38, v[33:34], off
	v_add_co_u32 v33, vcc_lo, v33, 2
	v_add_co_ci_u32_e32 v34, vcc_lo, 0, v34, vcc_lo
	v_add_co_u32 v35, s0, v35, 2
	s_delay_alu instid0(VALU_DEP_1)
	v_add_co_ci_u32_e64 v36, s0, 0, v36, s0
	s_add_u32 s6, s6, 1
	s_addc_u32 s7, s7, 0
	s_and_not1_b32 s0, s25, exec_lo
	s_waitcnt vmcnt(0)
	v_cmp_ne_u16_e32 vcc_lo, v37, v38
	s_and_b32 s25, vcc_lo, exec_lo
	s_delay_alu instid0(SALU_CYCLE_1)
	s_or_b32 s25, s0, s25
.LBB1463_207:                           ;   in Loop: Header=BB1463_208 Depth=1
	v_dual_mov_b32 v38, s7 :: v_dual_mov_b32 v37, s6
	s_and_b32 s0, exec_lo, s25
	s_delay_alu instid0(SALU_CYCLE_1) | instskip(NEXT) | instid1(SALU_CYCLE_1)
	s_or_b32 s24, s0, s24
	s_and_not1_b32 exec_lo, exec_lo, s24
	s_cbranch_execz .LBB1463_210
.LBB1463_208:                           ; =>This Inner Loop Header: Depth=1
	s_or_b32 s25, s25, exec_lo
	s_cmp_eq_u64 s[4:5], s[6:7]
	s_cbranch_scc0 .LBB1463_206
; %bb.209:                              ;   in Loop: Header=BB1463_208 Depth=1
	s_mov_b64 s[6:7], s[14:15]
                                        ; implicit-def: $vgpr33_vgpr34
                                        ; implicit-def: $vgpr35_vgpr36
	s_branch .LBB1463_207
.LBB1463_210:
	s_set_inst_prefetch_distance 0x2
	s_or_b32 exec_lo, exec_lo, s24
	v_cmp_gt_i64_e32 vcc_lo, s[14:15], v[37:38]
	s_or_not1_b32 s0, vcc_lo, exec_lo
.LBB1463_211:
	s_or_b32 exec_lo, exec_lo, s13
.LBB1463_212:
	s_delay_alu instid0(SALU_CYCLE_1)
	s_and_b32 s0, s0, exec_lo
.LBB1463_213:
	s_or_b32 exec_lo, exec_lo, s1
	v_or_b32_e32 v35, v39, v40
	v_or_b32_e32 v36, v41, v42
.LBB1463_214:
	s_mov_b32 s1, -1
	s_cbranch_execnz .LBB1463_383
.LBB1463_215:
	v_cmp_gt_i64_e64 s13, s[14:15], 0
	s_and_b32 vcc_lo, exec_lo, s29
	ds_store_b64 v55, v[19:20]
	s_cbranch_vccz .LBB1463_223
; %bb.216:
	v_mul_lo_u32 v35, v18, s14
	v_mul_lo_u32 v36, v17, s15
	s_waitcnt vmcnt(0) lgkmcnt(1)
	v_mad_u64_u32 v[33:34], null, v17, s14, 0
	s_mov_b32 s24, 0
	s_and_not1_b32 vcc_lo, exec_lo, s13
	s_mov_b32 s25, 0
	s_delay_alu instid0(VALU_DEP_1) | instskip(NEXT) | instid1(VALU_DEP_1)
	v_add3_u32 v34, v34, v36, v35
	v_lshlrev_b64 v[33:34], 1, v[33:34]
	s_cbranch_vccnz .LBB1463_226
; %bb.217:
	v_mul_lo_u32 v37, v20, s14
	v_mul_lo_u32 v38, v19, s15
	v_mad_u64_u32 v[35:36], null, v19, s14, 0
	s_mov_b32 s25, -1
	s_mov_b32 s26, exec_lo
	s_delay_alu instid0(VALU_DEP_1) | instskip(SKIP_2) | instid1(VALU_DEP_3)
	v_add3_u32 v36, v36, v38, v37
	v_add_co_u32 v37, vcc_lo, s20, v33
	v_add_co_ci_u32_e32 v38, vcc_lo, s21, v34, vcc_lo
	v_lshlrev_b64 v[35:36], 1, v[35:36]
	s_delay_alu instid0(VALU_DEP_1) | instskip(NEXT) | instid1(VALU_DEP_2)
	v_add_co_u32 v35, vcc_lo, s20, v35
	v_add_co_ci_u32_e32 v36, vcc_lo, s21, v36, vcc_lo
	s_clause 0x1
	global_load_u16 v39, v[37:38], off
	global_load_u16 v40, v[35:36], off
	s_waitcnt vmcnt(0)
	v_cmpx_eq_u16_e64 v39, v40
	s_cbranch_execz .LBB1463_225
; %bb.218:
	v_add_co_u32 v35, vcc_lo, v35, 2
	v_add_co_ci_u32_e32 v36, vcc_lo, 0, v36, vcc_lo
	v_add_co_u32 v37, vcc_lo, v37, 2
	v_add_co_ci_u32_e32 v38, vcc_lo, 0, v38, vcc_lo
	s_add_u32 s4, s14, -1
	s_addc_u32 s5, s15, -1
	s_mov_b64 s[6:7], 0
	s_mov_b32 s25, 0
                                        ; implicit-def: $sgpr27
	s_set_inst_prefetch_distance 0x1
	s_branch .LBB1463_221
	.p2align	6
.LBB1463_219:                           ;   in Loop: Header=BB1463_221 Depth=1
	global_load_u16 v39, v[37:38], off
	global_load_u16 v40, v[35:36], off
	v_add_co_u32 v35, vcc_lo, v35, 2
	v_add_co_ci_u32_e32 v36, vcc_lo, 0, v36, vcc_lo
	v_add_co_u32 v37, s0, v37, 2
	s_delay_alu instid0(VALU_DEP_1)
	v_add_co_ci_u32_e64 v38, s0, 0, v38, s0
	s_add_u32 s6, s6, 1
	s_addc_u32 s7, s7, 0
	s_and_not1_b32 s0, s27, exec_lo
	s_waitcnt vmcnt(0)
	v_cmp_ne_u16_e32 vcc_lo, v39, v40
	s_and_b32 s27, vcc_lo, exec_lo
	s_delay_alu instid0(SALU_CYCLE_1)
	s_or_b32 s27, s0, s27
.LBB1463_220:                           ;   in Loop: Header=BB1463_221 Depth=1
	v_dual_mov_b32 v40, s7 :: v_dual_mov_b32 v39, s6
	s_and_b32 s0, exec_lo, s27
	s_delay_alu instid0(SALU_CYCLE_1) | instskip(NEXT) | instid1(SALU_CYCLE_1)
	s_or_b32 s25, s0, s25
	s_and_not1_b32 exec_lo, exec_lo, s25
	s_cbranch_execz .LBB1463_224
.LBB1463_221:                           ; =>This Inner Loop Header: Depth=1
	s_or_b32 s27, s27, exec_lo
	s_cmp_eq_u64 s[4:5], s[6:7]
	s_cbranch_scc0 .LBB1463_219
; %bb.222:                              ;   in Loop: Header=BB1463_221 Depth=1
	s_mov_b64 s[6:7], s[14:15]
                                        ; implicit-def: $vgpr35_vgpr36
                                        ; implicit-def: $vgpr37_vgpr38
	s_branch .LBB1463_220
.LBB1463_223:
                                        ; implicit-def: $sgpr0
                                        ; implicit-def: $vgpr36
	s_cbranch_execnz .LBB1463_292
	s_branch .LBB1463_383
.LBB1463_224:
	s_set_inst_prefetch_distance 0x2
	s_or_b32 exec_lo, exec_lo, s25
	v_cmp_gt_i64_e32 vcc_lo, s[14:15], v[39:40]
	s_or_not1_b32 s25, vcc_lo, exec_lo
.LBB1463_225:
	s_or_b32 exec_lo, exec_lo, s26
.LBB1463_226:
	v_mul_lo_u32 v37, v24, s14
	v_mul_lo_u32 v38, v23, s15
	v_mad_u64_u32 v[35:36], null, v23, s14, 0
	s_and_not1_b32 vcc_lo, exec_lo, s13
	s_delay_alu instid0(VALU_DEP_1) | instskip(NEXT) | instid1(VALU_DEP_1)
	v_add3_u32 v36, v36, v38, v37
	v_lshlrev_b64 v[35:36], 1, v[35:36]
	s_cbranch_vccnz .LBB1463_235
; %bb.227:
	s_delay_alu instid0(VALU_DEP_1) | instskip(NEXT) | instid1(VALU_DEP_2)
	v_add_co_u32 v37, vcc_lo, s20, v35
	v_add_co_ci_u32_e32 v38, vcc_lo, s21, v36, vcc_lo
	v_add_co_u32 v33, vcc_lo, s20, v33
	v_add_co_ci_u32_e32 v34, vcc_lo, s21, v34, vcc_lo
	s_mov_b32 s24, -1
	s_clause 0x1
	global_load_u16 v39, v[37:38], off
	global_load_u16 v40, v[33:34], off
	s_mov_b32 s26, exec_lo
	s_waitcnt vmcnt(0)
	v_cmpx_eq_u16_e64 v39, v40
	s_cbranch_execz .LBB1463_234
; %bb.228:
	v_add_co_u32 v33, vcc_lo, v33, 2
	v_add_co_ci_u32_e32 v34, vcc_lo, 0, v34, vcc_lo
	v_add_co_u32 v37, vcc_lo, v37, 2
	v_add_co_ci_u32_e32 v38, vcc_lo, 0, v38, vcc_lo
	s_add_u32 s4, s14, -1
	s_addc_u32 s5, s15, -1
	s_mov_b64 s[6:7], 0
	s_mov_b32 s24, 0
                                        ; implicit-def: $sgpr27
	s_set_inst_prefetch_distance 0x1
	s_branch .LBB1463_231
	.p2align	6
.LBB1463_229:                           ;   in Loop: Header=BB1463_231 Depth=1
	global_load_u16 v39, v[37:38], off
	global_load_u16 v40, v[33:34], off
	v_add_co_u32 v33, vcc_lo, v33, 2
	v_add_co_ci_u32_e32 v34, vcc_lo, 0, v34, vcc_lo
	v_add_co_u32 v37, s0, v37, 2
	s_delay_alu instid0(VALU_DEP_1)
	v_add_co_ci_u32_e64 v38, s0, 0, v38, s0
	s_add_u32 s6, s6, 1
	s_addc_u32 s7, s7, 0
	s_and_not1_b32 s0, s27, exec_lo
	s_waitcnt vmcnt(0)
	v_cmp_ne_u16_e32 vcc_lo, v39, v40
	s_and_b32 s27, vcc_lo, exec_lo
	s_delay_alu instid0(SALU_CYCLE_1)
	s_or_b32 s27, s0, s27
.LBB1463_230:                           ;   in Loop: Header=BB1463_231 Depth=1
	v_dual_mov_b32 v40, s7 :: v_dual_mov_b32 v39, s6
	s_and_b32 s0, exec_lo, s27
	s_delay_alu instid0(SALU_CYCLE_1) | instskip(NEXT) | instid1(SALU_CYCLE_1)
	s_or_b32 s24, s0, s24
	s_and_not1_b32 exec_lo, exec_lo, s24
	s_cbranch_execz .LBB1463_233
.LBB1463_231:                           ; =>This Inner Loop Header: Depth=1
	s_or_b32 s27, s27, exec_lo
	s_cmp_eq_u64 s[4:5], s[6:7]
	s_cbranch_scc0 .LBB1463_229
; %bb.232:                              ;   in Loop: Header=BB1463_231 Depth=1
	s_mov_b64 s[6:7], s[14:15]
                                        ; implicit-def: $vgpr33_vgpr34
                                        ; implicit-def: $vgpr37_vgpr38
	s_branch .LBB1463_230
.LBB1463_233:
	s_set_inst_prefetch_distance 0x2
	s_or_b32 exec_lo, exec_lo, s24
	v_cmp_gt_i64_e32 vcc_lo, s[14:15], v[39:40]
	s_or_not1_b32 s24, vcc_lo, exec_lo
.LBB1463_234:
	s_or_b32 exec_lo, exec_lo, s26
.LBB1463_235:
	v_mul_lo_u32 v37, v22, s14
	v_mul_lo_u32 v38, v21, s15
	v_mad_u64_u32 v[33:34], null, v21, s14, 0
	s_mov_b32 s26, 0
	s_and_not1_b32 vcc_lo, exec_lo, s13
	s_mov_b32 s27, 0
	s_delay_alu instid0(VALU_DEP_1) | instskip(NEXT) | instid1(VALU_DEP_1)
	v_add3_u32 v34, v34, v38, v37
	v_lshlrev_b64 v[37:38], 1, v[33:34]
	s_cbranch_vccnz .LBB1463_244
; %bb.236:
	s_delay_alu instid0(VALU_DEP_1) | instskip(NEXT) | instid1(VALU_DEP_2)
	v_add_co_u32 v39, vcc_lo, s20, v37
	v_add_co_ci_u32_e32 v40, vcc_lo, s21, v38, vcc_lo
	v_add_co_u32 v33, vcc_lo, s20, v35
	v_add_co_ci_u32_e32 v34, vcc_lo, s21, v36, vcc_lo
	s_mov_b32 s27, -1
	s_clause 0x1
	global_load_u16 v35, v[39:40], off
	global_load_u16 v36, v[33:34], off
	s_mov_b32 s34, exec_lo
	s_waitcnt vmcnt(0)
	v_cmpx_eq_u16_e64 v35, v36
	s_cbranch_execz .LBB1463_243
; %bb.237:
	v_add_co_u32 v33, vcc_lo, v33, 2
	v_add_co_ci_u32_e32 v34, vcc_lo, 0, v34, vcc_lo
	v_add_co_u32 v35, vcc_lo, v39, 2
	v_add_co_ci_u32_e32 v36, vcc_lo, 0, v40, vcc_lo
	s_add_u32 s4, s14, -1
	s_addc_u32 s5, s15, -1
	s_mov_b64 s[6:7], 0
	s_mov_b32 s27, 0
                                        ; implicit-def: $sgpr35
	s_set_inst_prefetch_distance 0x1
	s_branch .LBB1463_240
	.p2align	6
.LBB1463_238:                           ;   in Loop: Header=BB1463_240 Depth=1
	global_load_u16 v39, v[35:36], off
	global_load_u16 v40, v[33:34], off
	v_add_co_u32 v33, vcc_lo, v33, 2
	v_add_co_ci_u32_e32 v34, vcc_lo, 0, v34, vcc_lo
	v_add_co_u32 v35, s0, v35, 2
	s_delay_alu instid0(VALU_DEP_1)
	v_add_co_ci_u32_e64 v36, s0, 0, v36, s0
	s_add_u32 s6, s6, 1
	s_addc_u32 s7, s7, 0
	s_and_not1_b32 s0, s35, exec_lo
	s_waitcnt vmcnt(0)
	v_cmp_ne_u16_e32 vcc_lo, v39, v40
	s_and_b32 s35, vcc_lo, exec_lo
	s_delay_alu instid0(SALU_CYCLE_1)
	s_or_b32 s35, s0, s35
.LBB1463_239:                           ;   in Loop: Header=BB1463_240 Depth=1
	v_dual_mov_b32 v40, s7 :: v_dual_mov_b32 v39, s6
	s_and_b32 s0, exec_lo, s35
	s_delay_alu instid0(SALU_CYCLE_1) | instskip(NEXT) | instid1(SALU_CYCLE_1)
	s_or_b32 s27, s0, s27
	s_and_not1_b32 exec_lo, exec_lo, s27
	s_cbranch_execz .LBB1463_242
.LBB1463_240:                           ; =>This Inner Loop Header: Depth=1
	s_or_b32 s35, s35, exec_lo
	s_cmp_eq_u64 s[4:5], s[6:7]
	s_cbranch_scc0 .LBB1463_238
; %bb.241:                              ;   in Loop: Header=BB1463_240 Depth=1
	s_mov_b64 s[6:7], s[14:15]
                                        ; implicit-def: $vgpr33_vgpr34
                                        ; implicit-def: $vgpr35_vgpr36
	s_branch .LBB1463_239
.LBB1463_242:
	s_set_inst_prefetch_distance 0x2
	s_or_b32 exec_lo, exec_lo, s27
	v_cmp_gt_i64_e32 vcc_lo, s[14:15], v[39:40]
	s_or_not1_b32 s27, vcc_lo, exec_lo
.LBB1463_243:
	s_or_b32 exec_lo, exec_lo, s34
.LBB1463_244:
	v_mul_lo_u32 v35, v28, s14
	v_mul_lo_u32 v36, v27, s15
	v_mad_u64_u32 v[33:34], null, v27, s14, 0
	s_and_not1_b32 vcc_lo, exec_lo, s13
	s_delay_alu instid0(VALU_DEP_1) | instskip(NEXT) | instid1(VALU_DEP_1)
	v_add3_u32 v34, v34, v36, v35
	v_lshlrev_b64 v[33:34], 1, v[33:34]
	s_cbranch_vccnz .LBB1463_253
; %bb.245:
	s_delay_alu instid0(VALU_DEP_1) | instskip(NEXT) | instid1(VALU_DEP_2)
	v_add_co_u32 v39, vcc_lo, s20, v33
	v_add_co_ci_u32_e32 v40, vcc_lo, s21, v34, vcc_lo
	v_add_co_u32 v35, vcc_lo, s20, v37
	v_add_co_ci_u32_e32 v36, vcc_lo, s21, v38, vcc_lo
	s_mov_b32 s26, -1
	s_clause 0x1
	global_load_u16 v37, v[39:40], off
	global_load_u16 v38, v[35:36], off
	s_mov_b32 s34, exec_lo
	s_waitcnt vmcnt(0)
	v_cmpx_eq_u16_e64 v37, v38
	s_cbranch_execz .LBB1463_252
; %bb.246:
	v_add_co_u32 v35, vcc_lo, v35, 2
	v_add_co_ci_u32_e32 v36, vcc_lo, 0, v36, vcc_lo
	v_add_co_u32 v37, vcc_lo, v39, 2
	v_add_co_ci_u32_e32 v38, vcc_lo, 0, v40, vcc_lo
	s_add_u32 s4, s14, -1
	s_addc_u32 s5, s15, -1
	s_mov_b64 s[6:7], 0
	s_mov_b32 s26, 0
                                        ; implicit-def: $sgpr35
	s_set_inst_prefetch_distance 0x1
	s_branch .LBB1463_249
	.p2align	6
.LBB1463_247:                           ;   in Loop: Header=BB1463_249 Depth=1
	global_load_u16 v39, v[37:38], off
	global_load_u16 v40, v[35:36], off
	v_add_co_u32 v35, vcc_lo, v35, 2
	v_add_co_ci_u32_e32 v36, vcc_lo, 0, v36, vcc_lo
	v_add_co_u32 v37, s0, v37, 2
	s_delay_alu instid0(VALU_DEP_1)
	v_add_co_ci_u32_e64 v38, s0, 0, v38, s0
	s_add_u32 s6, s6, 1
	s_addc_u32 s7, s7, 0
	s_and_not1_b32 s0, s35, exec_lo
	s_waitcnt vmcnt(0)
	v_cmp_ne_u16_e32 vcc_lo, v39, v40
	s_and_b32 s35, vcc_lo, exec_lo
	s_delay_alu instid0(SALU_CYCLE_1)
	s_or_b32 s35, s0, s35
.LBB1463_248:                           ;   in Loop: Header=BB1463_249 Depth=1
	v_dual_mov_b32 v40, s7 :: v_dual_mov_b32 v39, s6
	s_and_b32 s0, exec_lo, s35
	s_delay_alu instid0(SALU_CYCLE_1) | instskip(NEXT) | instid1(SALU_CYCLE_1)
	s_or_b32 s26, s0, s26
	s_and_not1_b32 exec_lo, exec_lo, s26
	s_cbranch_execz .LBB1463_251
.LBB1463_249:                           ; =>This Inner Loop Header: Depth=1
	s_or_b32 s35, s35, exec_lo
	s_cmp_eq_u64 s[4:5], s[6:7]
	s_cbranch_scc0 .LBB1463_247
; %bb.250:                              ;   in Loop: Header=BB1463_249 Depth=1
	s_mov_b64 s[6:7], s[14:15]
                                        ; implicit-def: $vgpr35_vgpr36
                                        ; implicit-def: $vgpr37_vgpr38
	s_branch .LBB1463_248
.LBB1463_251:
	s_set_inst_prefetch_distance 0x2
	s_or_b32 exec_lo, exec_lo, s26
	v_cmp_gt_i64_e32 vcc_lo, s[14:15], v[39:40]
	s_or_not1_b32 s26, vcc_lo, exec_lo
.LBB1463_252:
	s_or_b32 exec_lo, exec_lo, s34
.LBB1463_253:
	v_mul_lo_u32 v37, v26, s14
	v_mul_lo_u32 v38, v25, s15
	v_mad_u64_u32 v[35:36], null, v25, s14, 0
	s_mov_b32 s34, 0
	s_and_not1_b32 vcc_lo, exec_lo, s13
	s_mov_b32 s35, 0
	s_delay_alu instid0(VALU_DEP_1) | instskip(NEXT) | instid1(VALU_DEP_1)
	v_add3_u32 v36, v36, v38, v37
	v_lshlrev_b64 v[37:38], 1, v[35:36]
	s_cbranch_vccnz .LBB1463_262
; %bb.254:
	s_delay_alu instid0(VALU_DEP_1) | instskip(NEXT) | instid1(VALU_DEP_2)
	v_add_co_u32 v35, vcc_lo, s20, v37
	v_add_co_ci_u32_e32 v36, vcc_lo, s21, v38, vcc_lo
	v_add_co_u32 v33, vcc_lo, s20, v33
	v_add_co_ci_u32_e32 v34, vcc_lo, s21, v34, vcc_lo
	s_mov_b32 s35, -1
	s_clause 0x1
	global_load_u16 v39, v[35:36], off
	global_load_u16 v40, v[33:34], off
	s_mov_b32 s36, exec_lo
	s_waitcnt vmcnt(0)
	v_cmpx_eq_u16_e64 v39, v40
	s_cbranch_execz .LBB1463_261
; %bb.255:
	v_add_co_u32 v33, vcc_lo, v33, 2
	v_add_co_ci_u32_e32 v34, vcc_lo, 0, v34, vcc_lo
	v_add_co_u32 v35, vcc_lo, v35, 2
	v_add_co_ci_u32_e32 v36, vcc_lo, 0, v36, vcc_lo
	s_add_u32 s4, s14, -1
	s_addc_u32 s5, s15, -1
	s_mov_b64 s[6:7], 0
	s_mov_b32 s35, 0
                                        ; implicit-def: $sgpr37
	s_set_inst_prefetch_distance 0x1
	s_branch .LBB1463_258
	.p2align	6
.LBB1463_256:                           ;   in Loop: Header=BB1463_258 Depth=1
	global_load_u16 v39, v[35:36], off
	global_load_u16 v40, v[33:34], off
	v_add_co_u32 v33, vcc_lo, v33, 2
	v_add_co_ci_u32_e32 v34, vcc_lo, 0, v34, vcc_lo
	v_add_co_u32 v35, s0, v35, 2
	s_delay_alu instid0(VALU_DEP_1)
	v_add_co_ci_u32_e64 v36, s0, 0, v36, s0
	s_add_u32 s6, s6, 1
	s_addc_u32 s7, s7, 0
	s_and_not1_b32 s0, s37, exec_lo
	s_waitcnt vmcnt(0)
	v_cmp_ne_u16_e32 vcc_lo, v39, v40
	s_and_b32 s37, vcc_lo, exec_lo
	s_delay_alu instid0(SALU_CYCLE_1)
	s_or_b32 s37, s0, s37
.LBB1463_257:                           ;   in Loop: Header=BB1463_258 Depth=1
	v_dual_mov_b32 v40, s7 :: v_dual_mov_b32 v39, s6
	s_and_b32 s0, exec_lo, s37
	s_delay_alu instid0(SALU_CYCLE_1) | instskip(NEXT) | instid1(SALU_CYCLE_1)
	s_or_b32 s35, s0, s35
	s_and_not1_b32 exec_lo, exec_lo, s35
	s_cbranch_execz .LBB1463_260
.LBB1463_258:                           ; =>This Inner Loop Header: Depth=1
	s_or_b32 s37, s37, exec_lo
	s_cmp_eq_u64 s[4:5], s[6:7]
	s_cbranch_scc0 .LBB1463_256
; %bb.259:                              ;   in Loop: Header=BB1463_258 Depth=1
	s_mov_b64 s[6:7], s[14:15]
                                        ; implicit-def: $vgpr33_vgpr34
                                        ; implicit-def: $vgpr35_vgpr36
	s_branch .LBB1463_257
.LBB1463_260:
	s_set_inst_prefetch_distance 0x2
	s_or_b32 exec_lo, exec_lo, s35
	v_cmp_gt_i64_e32 vcc_lo, s[14:15], v[39:40]
	s_or_not1_b32 s35, vcc_lo, exec_lo
.LBB1463_261:
	s_or_b32 exec_lo, exec_lo, s36
.LBB1463_262:
	v_mul_lo_u32 v35, v32, s14
	v_mul_lo_u32 v36, v31, s15
	v_mad_u64_u32 v[33:34], null, v31, s14, 0
	s_and_not1_b32 vcc_lo, exec_lo, s13
	s_delay_alu instid0(VALU_DEP_1) | instskip(NEXT) | instid1(VALU_DEP_1)
	v_add3_u32 v34, v34, v36, v35
	v_lshlrev_b64 v[35:36], 1, v[33:34]
	s_cbranch_vccnz .LBB1463_271
; %bb.263:
	s_delay_alu instid0(VALU_DEP_1) | instskip(NEXT) | instid1(VALU_DEP_2)
	v_add_co_u32 v39, vcc_lo, s20, v35
	v_add_co_ci_u32_e32 v40, vcc_lo, s21, v36, vcc_lo
	v_add_co_u32 v33, vcc_lo, s20, v37
	v_add_co_ci_u32_e32 v34, vcc_lo, s21, v38, vcc_lo
	s_mov_b32 s34, -1
	s_clause 0x1
	global_load_u16 v37, v[39:40], off
	global_load_u16 v38, v[33:34], off
	s_mov_b32 s36, exec_lo
	s_waitcnt vmcnt(0)
	v_cmpx_eq_u16_e64 v37, v38
	s_cbranch_execz .LBB1463_270
; %bb.264:
	v_add_co_u32 v33, vcc_lo, v33, 2
	v_add_co_ci_u32_e32 v34, vcc_lo, 0, v34, vcc_lo
	v_add_co_u32 v37, vcc_lo, v39, 2
	v_add_co_ci_u32_e32 v38, vcc_lo, 0, v40, vcc_lo
	s_add_u32 s4, s14, -1
	s_addc_u32 s5, s15, -1
	s_mov_b64 s[6:7], 0
	s_mov_b32 s34, 0
                                        ; implicit-def: $sgpr37
	s_set_inst_prefetch_distance 0x1
	s_branch .LBB1463_267
	.p2align	6
.LBB1463_265:                           ;   in Loop: Header=BB1463_267 Depth=1
	global_load_u16 v39, v[37:38], off
	global_load_u16 v40, v[33:34], off
	v_add_co_u32 v33, vcc_lo, v33, 2
	v_add_co_ci_u32_e32 v34, vcc_lo, 0, v34, vcc_lo
	v_add_co_u32 v37, s0, v37, 2
	s_delay_alu instid0(VALU_DEP_1)
	v_add_co_ci_u32_e64 v38, s0, 0, v38, s0
	s_add_u32 s6, s6, 1
	s_addc_u32 s7, s7, 0
	s_and_not1_b32 s0, s37, exec_lo
	s_waitcnt vmcnt(0)
	v_cmp_ne_u16_e32 vcc_lo, v39, v40
	s_and_b32 s37, vcc_lo, exec_lo
	s_delay_alu instid0(SALU_CYCLE_1)
	s_or_b32 s37, s0, s37
.LBB1463_266:                           ;   in Loop: Header=BB1463_267 Depth=1
	v_dual_mov_b32 v40, s7 :: v_dual_mov_b32 v39, s6
	s_and_b32 s0, exec_lo, s37
	s_delay_alu instid0(SALU_CYCLE_1) | instskip(NEXT) | instid1(SALU_CYCLE_1)
	s_or_b32 s34, s0, s34
	s_and_not1_b32 exec_lo, exec_lo, s34
	s_cbranch_execz .LBB1463_269
.LBB1463_267:                           ; =>This Inner Loop Header: Depth=1
	s_or_b32 s37, s37, exec_lo
	s_cmp_eq_u64 s[4:5], s[6:7]
	s_cbranch_scc0 .LBB1463_265
; %bb.268:                              ;   in Loop: Header=BB1463_267 Depth=1
	s_mov_b64 s[6:7], s[14:15]
                                        ; implicit-def: $vgpr33_vgpr34
                                        ; implicit-def: $vgpr37_vgpr38
	s_branch .LBB1463_266
.LBB1463_269:
	s_set_inst_prefetch_distance 0x2
	s_or_b32 exec_lo, exec_lo, s34
	v_cmp_gt_i64_e32 vcc_lo, s[14:15], v[39:40]
	s_or_not1_b32 s34, vcc_lo, exec_lo
.LBB1463_270:
	s_or_b32 exec_lo, exec_lo, s36
.LBB1463_271:
	v_mul_lo_u32 v37, v30, s14
	v_mul_lo_u32 v38, v29, s15
	v_mad_u64_u32 v[33:34], null, v29, s14, 0
	s_and_not1_b32 vcc_lo, exec_lo, s13
	s_mov_b32 s0, 0
	s_delay_alu instid0(VALU_DEP_1)
	v_add3_u32 v34, v34, v38, v37
	s_cbranch_vccnz .LBB1463_280
; %bb.272:
	s_delay_alu instid0(VALU_DEP_1) | instskip(SKIP_2) | instid1(VALU_DEP_1)
	v_lshlrev_b64 v[37:38], 1, v[33:34]
	s_mov_b32 s0, -1
	s_mov_b32 s36, exec_lo
	v_add_co_u32 v37, vcc_lo, s20, v37
	s_delay_alu instid0(VALU_DEP_2)
	v_add_co_ci_u32_e32 v38, vcc_lo, s21, v38, vcc_lo
	v_add_co_u32 v35, vcc_lo, s20, v35
	v_add_co_ci_u32_e32 v36, vcc_lo, s21, v36, vcc_lo
	s_clause 0x1
	global_load_u16 v39, v[37:38], off
	global_load_u16 v40, v[35:36], off
	s_waitcnt vmcnt(0)
	v_cmpx_eq_u16_e64 v39, v40
	s_cbranch_execz .LBB1463_279
; %bb.273:
	v_add_co_u32 v35, vcc_lo, v35, 2
	v_add_co_ci_u32_e32 v36, vcc_lo, 0, v36, vcc_lo
	v_add_co_u32 v37, vcc_lo, v37, 2
	v_add_co_ci_u32_e32 v38, vcc_lo, 0, v38, vcc_lo
	s_add_u32 s4, s14, -1
	s_addc_u32 s5, s15, -1
	s_mov_b64 s[6:7], 0
	s_mov_b32 s37, 0
                                        ; implicit-def: $sgpr38
	s_set_inst_prefetch_distance 0x1
	s_branch .LBB1463_276
	.p2align	6
.LBB1463_274:                           ;   in Loop: Header=BB1463_276 Depth=1
	global_load_u16 v39, v[37:38], off
	global_load_u16 v40, v[35:36], off
	v_add_co_u32 v35, vcc_lo, v35, 2
	v_add_co_ci_u32_e32 v36, vcc_lo, 0, v36, vcc_lo
	v_add_co_u32 v37, s0, v37, 2
	s_delay_alu instid0(VALU_DEP_1)
	v_add_co_ci_u32_e64 v38, s0, 0, v38, s0
	s_add_u32 s6, s6, 1
	s_addc_u32 s7, s7, 0
	s_and_not1_b32 s0, s38, exec_lo
	s_waitcnt vmcnt(0)
	v_cmp_ne_u16_e32 vcc_lo, v39, v40
	s_and_b32 s38, vcc_lo, exec_lo
	s_delay_alu instid0(SALU_CYCLE_1)
	s_or_b32 s38, s0, s38
.LBB1463_275:                           ;   in Loop: Header=BB1463_276 Depth=1
	v_dual_mov_b32 v40, s7 :: v_dual_mov_b32 v39, s6
	s_and_b32 s0, exec_lo, s38
	s_delay_alu instid0(SALU_CYCLE_1) | instskip(NEXT) | instid1(SALU_CYCLE_1)
	s_or_b32 s37, s0, s37
	s_and_not1_b32 exec_lo, exec_lo, s37
	s_cbranch_execz .LBB1463_278
.LBB1463_276:                           ; =>This Inner Loop Header: Depth=1
	s_or_b32 s38, s38, exec_lo
	s_cmp_eq_u64 s[4:5], s[6:7]
	s_cbranch_scc0 .LBB1463_274
; %bb.277:                              ;   in Loop: Header=BB1463_276 Depth=1
	s_mov_b64 s[6:7], s[14:15]
                                        ; implicit-def: $vgpr35_vgpr36
                                        ; implicit-def: $vgpr37_vgpr38
	s_branch .LBB1463_275
.LBB1463_278:
	s_set_inst_prefetch_distance 0x2
	s_or_b32 exec_lo, exec_lo, s37
	v_cmp_gt_i64_e32 vcc_lo, s[14:15], v[39:40]
	s_or_not1_b32 s0, vcc_lo, exec_lo
.LBB1463_279:
	s_or_b32 exec_lo, exec_lo, s36
.LBB1463_280:
	v_cndmask_b32_e64 v36, 0, 1, s35
	v_cndmask_b32_e64 v37, 0, 1, s27
	;; [unrolled: 1-line block ×7, first 2 shown]
	v_lshlrev_b16 v37, 8, v37
	v_lshlrev_b16 v38, 8, v38
	;; [unrolled: 1-line block ×4, first 2 shown]
	s_waitcnt lgkmcnt(0)
	v_or_b32_e32 v37, v40, v37
	v_or_b32_e32 v38, v41, v38
	;; [unrolled: 1-line block ×4, first 2 shown]
	s_barrier
	v_and_b32_e32 v36, 0xffff, v37
	v_lshlrev_b32_e32 v37, 16, v38
	v_and_b32_e32 v38, 0xffff, v39
	v_lshlrev_b32_e32 v35, 16, v35
	buffer_gl0_inv
                                        ; implicit-def: $sgpr0
	v_or_b32_e32 v36, v36, v37
	v_or_b32_e32 v35, v38, v35
	s_and_saveexec_b32 s4, s3
	s_delay_alu instid0(SALU_CYCLE_1)
	s_xor_b32 s24, exec_lo, s4
	s_cbranch_execz .LBB1463_291
; %bb.281:
	s_and_not1_b32 vcc_lo, exec_lo, s13
	s_mov_b32 s0, 0
	s_cbranch_vccnz .LBB1463_290
; %bb.282:
	v_add_nc_u32_e32 v37, -8, v55
	v_lshlrev_b64 v[33:34], 1, v[33:34]
	s_mov_b32 s0, -1
	s_mov_b32 s25, exec_lo
	ds_load_b64 v[37:38], v37
	s_waitcnt lgkmcnt(0)
	v_mul_lo_u32 v40, v38, s14
	v_mul_lo_u32 v41, v37, s15
	v_mad_u64_u32 v[38:39], null, v37, s14, 0
	s_delay_alu instid0(VALU_DEP_1) | instskip(NEXT) | instid1(VALU_DEP_1)
	v_add3_u32 v39, v39, v41, v40
	v_lshlrev_b64 v[37:38], 1, v[38:39]
	s_delay_alu instid0(VALU_DEP_1) | instskip(NEXT) | instid1(VALU_DEP_2)
	v_add_co_u32 v37, vcc_lo, s20, v37
	v_add_co_ci_u32_e32 v38, vcc_lo, s21, v38, vcc_lo
	v_add_co_u32 v33, vcc_lo, s20, v33
	v_add_co_ci_u32_e32 v34, vcc_lo, s21, v34, vcc_lo
	s_clause 0x1
	global_load_u16 v39, v[37:38], off
	global_load_u16 v40, v[33:34], off
	s_waitcnt vmcnt(0)
	v_cmpx_eq_u16_e64 v39, v40
	s_cbranch_execz .LBB1463_289
; %bb.283:
	v_add_co_u32 v33, vcc_lo, v33, 2
	v_add_co_ci_u32_e32 v34, vcc_lo, 0, v34, vcc_lo
	v_add_co_u32 v37, vcc_lo, v37, 2
	v_add_co_ci_u32_e32 v38, vcc_lo, 0, v38, vcc_lo
	s_add_u32 s4, s14, -1
	s_addc_u32 s5, s15, -1
	s_mov_b64 s[6:7], 0
	s_mov_b32 s26, 0
                                        ; implicit-def: $sgpr27
	s_set_inst_prefetch_distance 0x1
	s_branch .LBB1463_286
	.p2align	6
.LBB1463_284:                           ;   in Loop: Header=BB1463_286 Depth=1
	global_load_u16 v39, v[37:38], off
	global_load_u16 v40, v[33:34], off
	v_add_co_u32 v33, vcc_lo, v33, 2
	v_add_co_ci_u32_e32 v34, vcc_lo, 0, v34, vcc_lo
	v_add_co_u32 v37, s0, v37, 2
	s_delay_alu instid0(VALU_DEP_1)
	v_add_co_ci_u32_e64 v38, s0, 0, v38, s0
	s_add_u32 s6, s6, 1
	s_addc_u32 s7, s7, 0
	s_and_not1_b32 s0, s27, exec_lo
	s_waitcnt vmcnt(0)
	v_cmp_ne_u16_e32 vcc_lo, v39, v40
	s_and_b32 s27, vcc_lo, exec_lo
	s_delay_alu instid0(SALU_CYCLE_1)
	s_or_b32 s27, s0, s27
.LBB1463_285:                           ;   in Loop: Header=BB1463_286 Depth=1
	v_dual_mov_b32 v40, s7 :: v_dual_mov_b32 v39, s6
	s_and_b32 s0, exec_lo, s27
	s_delay_alu instid0(SALU_CYCLE_1) | instskip(NEXT) | instid1(SALU_CYCLE_1)
	s_or_b32 s26, s0, s26
	s_and_not1_b32 exec_lo, exec_lo, s26
	s_cbranch_execz .LBB1463_288
.LBB1463_286:                           ; =>This Inner Loop Header: Depth=1
	s_or_b32 s27, s27, exec_lo
	s_cmp_eq_u64 s[4:5], s[6:7]
	s_cbranch_scc0 .LBB1463_284
; %bb.287:                              ;   in Loop: Header=BB1463_286 Depth=1
	s_mov_b64 s[6:7], s[14:15]
                                        ; implicit-def: $vgpr33_vgpr34
                                        ; implicit-def: $vgpr37_vgpr38
	s_branch .LBB1463_285
.LBB1463_288:
	s_set_inst_prefetch_distance 0x2
	s_or_b32 exec_lo, exec_lo, s26
	v_cmp_gt_i64_e32 vcc_lo, s[14:15], v[39:40]
	s_or_not1_b32 s0, vcc_lo, exec_lo
.LBB1463_289:
	s_or_b32 exec_lo, exec_lo, s25
.LBB1463_290:
	s_delay_alu instid0(SALU_CYCLE_1)
	s_and_b32 s0, s0, exec_lo
	s_or_b32 s1, s1, exec_lo
.LBB1463_291:
	s_or_b32 exec_lo, exec_lo, s24
	s_branch .LBB1463_383
.LBB1463_292:
	s_waitcnt vmcnt(0) lgkmcnt(1)
	v_or_b32_e32 v33, 7, v55
	s_mov_b32 s24, 0
	s_mov_b32 s25, 0
	s_mov_b32 s26, exec_lo
	s_delay_alu instid0(VALU_DEP_1)
	v_cmpx_gt_u32_e64 s31, v33
	s_cbranch_execz .LBB1463_303
; %bb.293:
	s_and_not1_b32 vcc_lo, exec_lo, s13
	s_mov_b32 s0, 0
	s_cbranch_vccnz .LBB1463_302
; %bb.294:
	v_mul_lo_u32 v37, v18, s14
	v_mul_lo_u32 v38, v17, s15
	v_mad_u64_u32 v[33:34], null, v17, s14, 0
	v_mul_lo_u32 v39, v20, s14
	v_mul_lo_u32 v40, v19, s15
	v_mad_u64_u32 v[35:36], null, v19, s14, 0
	s_mov_b32 s0, -1
	s_mov_b32 s25, exec_lo
	s_delay_alu instid0(VALU_DEP_4) | instskip(NEXT) | instid1(VALU_DEP_2)
	v_add3_u32 v34, v34, v38, v37
	v_add3_u32 v36, v36, v40, v39
	s_delay_alu instid0(VALU_DEP_2) | instskip(NEXT) | instid1(VALU_DEP_2)
	v_lshlrev_b64 v[33:34], 1, v[33:34]
	v_lshlrev_b64 v[37:38], 1, v[35:36]
	s_delay_alu instid0(VALU_DEP_2) | instskip(NEXT) | instid1(VALU_DEP_3)
	v_add_co_u32 v35, vcc_lo, s20, v33
	v_add_co_ci_u32_e32 v36, vcc_lo, s21, v34, vcc_lo
	s_delay_alu instid0(VALU_DEP_3) | instskip(NEXT) | instid1(VALU_DEP_4)
	v_add_co_u32 v33, vcc_lo, s20, v37
	v_add_co_ci_u32_e32 v34, vcc_lo, s21, v38, vcc_lo
	s_clause 0x1
	global_load_u16 v37, v[35:36], off
	global_load_u16 v38, v[33:34], off
	s_waitcnt vmcnt(0)
	v_cmpx_eq_u16_e64 v37, v38
	s_cbranch_execz .LBB1463_301
; %bb.295:
	v_add_co_u32 v33, vcc_lo, v33, 2
	v_add_co_ci_u32_e32 v34, vcc_lo, 0, v34, vcc_lo
	v_add_co_u32 v35, vcc_lo, v35, 2
	v_add_co_ci_u32_e32 v36, vcc_lo, 0, v36, vcc_lo
	s_add_u32 s4, s14, -1
	s_addc_u32 s5, s15, -1
	s_mov_b64 s[6:7], 0
	s_mov_b32 s27, 0
                                        ; implicit-def: $sgpr34
	s_set_inst_prefetch_distance 0x1
	s_branch .LBB1463_298
	.p2align	6
.LBB1463_296:                           ;   in Loop: Header=BB1463_298 Depth=1
	global_load_u16 v37, v[35:36], off
	global_load_u16 v38, v[33:34], off
	v_add_co_u32 v33, vcc_lo, v33, 2
	v_add_co_ci_u32_e32 v34, vcc_lo, 0, v34, vcc_lo
	v_add_co_u32 v35, s0, v35, 2
	s_delay_alu instid0(VALU_DEP_1)
	v_add_co_ci_u32_e64 v36, s0, 0, v36, s0
	s_add_u32 s6, s6, 1
	s_addc_u32 s7, s7, 0
	s_and_not1_b32 s0, s34, exec_lo
	s_waitcnt vmcnt(0)
	v_cmp_ne_u16_e32 vcc_lo, v37, v38
	s_and_b32 s34, vcc_lo, exec_lo
	s_delay_alu instid0(SALU_CYCLE_1)
	s_or_b32 s34, s0, s34
.LBB1463_297:                           ;   in Loop: Header=BB1463_298 Depth=1
	v_dual_mov_b32 v38, s7 :: v_dual_mov_b32 v37, s6
	s_and_b32 s0, exec_lo, s34
	s_delay_alu instid0(SALU_CYCLE_1) | instskip(NEXT) | instid1(SALU_CYCLE_1)
	s_or_b32 s27, s0, s27
	s_and_not1_b32 exec_lo, exec_lo, s27
	s_cbranch_execz .LBB1463_300
.LBB1463_298:                           ; =>This Inner Loop Header: Depth=1
	s_or_b32 s34, s34, exec_lo
	s_cmp_eq_u64 s[4:5], s[6:7]
	s_cbranch_scc0 .LBB1463_296
; %bb.299:                              ;   in Loop: Header=BB1463_298 Depth=1
	s_mov_b64 s[6:7], s[14:15]
                                        ; implicit-def: $vgpr33_vgpr34
                                        ; implicit-def: $vgpr35_vgpr36
	s_branch .LBB1463_297
.LBB1463_300:
	s_set_inst_prefetch_distance 0x2
	s_or_b32 exec_lo, exec_lo, s27
	v_cmp_gt_i64_e32 vcc_lo, s[14:15], v[37:38]
	s_or_not1_b32 s0, vcc_lo, exec_lo
.LBB1463_301:
	s_or_b32 exec_lo, exec_lo, s25
.LBB1463_302:
	s_delay_alu instid0(SALU_CYCLE_1)
	s_and_b32 s25, s0, exec_lo
.LBB1463_303:
	s_or_b32 exec_lo, exec_lo, s26
	v_or_b32_e32 v33, 6, v55
	s_mov_b32 s26, exec_lo
	s_delay_alu instid0(VALU_DEP_1)
	v_cmpx_gt_u32_e64 s31, v33
	s_cbranch_execz .LBB1463_314
; %bb.304:
	s_and_not1_b32 vcc_lo, exec_lo, s13
	s_mov_b32 s0, 0
	s_cbranch_vccnz .LBB1463_313
; %bb.305:
	v_mul_lo_u32 v37, v24, s14
	v_mul_lo_u32 v38, v23, s15
	v_mad_u64_u32 v[33:34], null, v23, s14, 0
	v_mul_lo_u32 v39, v18, s14
	v_mul_lo_u32 v40, v17, s15
	v_mad_u64_u32 v[35:36], null, v17, s14, 0
	s_mov_b32 s0, -1
	s_mov_b32 s24, exec_lo
	s_delay_alu instid0(VALU_DEP_4) | instskip(NEXT) | instid1(VALU_DEP_2)
	v_add3_u32 v34, v34, v38, v37
	v_add3_u32 v36, v36, v40, v39
	s_delay_alu instid0(VALU_DEP_2) | instskip(NEXT) | instid1(VALU_DEP_2)
	v_lshlrev_b64 v[33:34], 1, v[33:34]
	v_lshlrev_b64 v[37:38], 1, v[35:36]
	s_delay_alu instid0(VALU_DEP_2) | instskip(NEXT) | instid1(VALU_DEP_3)
	v_add_co_u32 v35, vcc_lo, s20, v33
	v_add_co_ci_u32_e32 v36, vcc_lo, s21, v34, vcc_lo
	s_delay_alu instid0(VALU_DEP_3) | instskip(NEXT) | instid1(VALU_DEP_4)
	v_add_co_u32 v33, vcc_lo, s20, v37
	v_add_co_ci_u32_e32 v34, vcc_lo, s21, v38, vcc_lo
	s_clause 0x1
	global_load_u16 v37, v[35:36], off
	global_load_u16 v38, v[33:34], off
	s_waitcnt vmcnt(0)
	v_cmpx_eq_u16_e64 v37, v38
	s_cbranch_execz .LBB1463_312
; %bb.306:
	v_add_co_u32 v33, vcc_lo, v33, 2
	v_add_co_ci_u32_e32 v34, vcc_lo, 0, v34, vcc_lo
	v_add_co_u32 v35, vcc_lo, v35, 2
	v_add_co_ci_u32_e32 v36, vcc_lo, 0, v36, vcc_lo
	s_add_u32 s4, s14, -1
	s_addc_u32 s5, s15, -1
	s_mov_b64 s[6:7], 0
	s_mov_b32 s27, 0
                                        ; implicit-def: $sgpr34
	s_set_inst_prefetch_distance 0x1
	s_branch .LBB1463_309
	.p2align	6
.LBB1463_307:                           ;   in Loop: Header=BB1463_309 Depth=1
	global_load_u16 v37, v[35:36], off
	global_load_u16 v38, v[33:34], off
	v_add_co_u32 v33, vcc_lo, v33, 2
	v_add_co_ci_u32_e32 v34, vcc_lo, 0, v34, vcc_lo
	v_add_co_u32 v35, s0, v35, 2
	s_delay_alu instid0(VALU_DEP_1)
	v_add_co_ci_u32_e64 v36, s0, 0, v36, s0
	s_add_u32 s6, s6, 1
	s_addc_u32 s7, s7, 0
	s_and_not1_b32 s0, s34, exec_lo
	s_waitcnt vmcnt(0)
	v_cmp_ne_u16_e32 vcc_lo, v37, v38
	s_and_b32 s34, vcc_lo, exec_lo
	s_delay_alu instid0(SALU_CYCLE_1)
	s_or_b32 s34, s0, s34
.LBB1463_308:                           ;   in Loop: Header=BB1463_309 Depth=1
	v_dual_mov_b32 v38, s7 :: v_dual_mov_b32 v37, s6
	s_and_b32 s0, exec_lo, s34
	s_delay_alu instid0(SALU_CYCLE_1) | instskip(NEXT) | instid1(SALU_CYCLE_1)
	s_or_b32 s27, s0, s27
	s_and_not1_b32 exec_lo, exec_lo, s27
	s_cbranch_execz .LBB1463_311
.LBB1463_309:                           ; =>This Inner Loop Header: Depth=1
	s_or_b32 s34, s34, exec_lo
	s_cmp_eq_u64 s[4:5], s[6:7]
	s_cbranch_scc0 .LBB1463_307
; %bb.310:                              ;   in Loop: Header=BB1463_309 Depth=1
	s_mov_b64 s[6:7], s[14:15]
                                        ; implicit-def: $vgpr33_vgpr34
                                        ; implicit-def: $vgpr35_vgpr36
	s_branch .LBB1463_308
.LBB1463_311:
	s_set_inst_prefetch_distance 0x2
	s_or_b32 exec_lo, exec_lo, s27
	v_cmp_gt_i64_e32 vcc_lo, s[14:15], v[37:38]
	s_or_not1_b32 s0, vcc_lo, exec_lo
.LBB1463_312:
	s_or_b32 exec_lo, exec_lo, s24
.LBB1463_313:
	s_delay_alu instid0(SALU_CYCLE_1)
	s_and_b32 s24, s0, exec_lo
.LBB1463_314:
	s_or_b32 exec_lo, exec_lo, s26
	v_or_b32_e32 v33, 5, v55
	s_mov_b32 s26, 0
	s_mov_b32 s27, 0
	s_mov_b32 s34, exec_lo
	s_delay_alu instid0(VALU_DEP_1)
	v_cmpx_gt_u32_e64 s31, v33
	s_cbranch_execz .LBB1463_325
; %bb.315:
	s_and_not1_b32 vcc_lo, exec_lo, s13
	s_mov_b32 s0, 0
	s_cbranch_vccnz .LBB1463_324
; %bb.316:
	v_mul_lo_u32 v37, v22, s14
	v_mul_lo_u32 v38, v21, s15
	v_mad_u64_u32 v[33:34], null, v21, s14, 0
	v_mul_lo_u32 v39, v24, s14
	v_mul_lo_u32 v40, v23, s15
	v_mad_u64_u32 v[35:36], null, v23, s14, 0
	s_mov_b32 s0, -1
	s_mov_b32 s27, exec_lo
	s_delay_alu instid0(VALU_DEP_4) | instskip(NEXT) | instid1(VALU_DEP_2)
	v_add3_u32 v34, v34, v38, v37
	v_add3_u32 v36, v36, v40, v39
	s_delay_alu instid0(VALU_DEP_2) | instskip(NEXT) | instid1(VALU_DEP_2)
	v_lshlrev_b64 v[33:34], 1, v[33:34]
	v_lshlrev_b64 v[37:38], 1, v[35:36]
	s_delay_alu instid0(VALU_DEP_2) | instskip(NEXT) | instid1(VALU_DEP_3)
	v_add_co_u32 v35, vcc_lo, s20, v33
	v_add_co_ci_u32_e32 v36, vcc_lo, s21, v34, vcc_lo
	s_delay_alu instid0(VALU_DEP_3) | instskip(NEXT) | instid1(VALU_DEP_4)
	v_add_co_u32 v33, vcc_lo, s20, v37
	v_add_co_ci_u32_e32 v34, vcc_lo, s21, v38, vcc_lo
	s_clause 0x1
	global_load_u16 v37, v[35:36], off
	global_load_u16 v38, v[33:34], off
	s_waitcnt vmcnt(0)
	v_cmpx_eq_u16_e64 v37, v38
	s_cbranch_execz .LBB1463_323
; %bb.317:
	v_add_co_u32 v33, vcc_lo, v33, 2
	v_add_co_ci_u32_e32 v34, vcc_lo, 0, v34, vcc_lo
	v_add_co_u32 v35, vcc_lo, v35, 2
	v_add_co_ci_u32_e32 v36, vcc_lo, 0, v36, vcc_lo
	s_add_u32 s4, s14, -1
	s_addc_u32 s5, s15, -1
	s_mov_b64 s[6:7], 0
	s_mov_b32 s35, 0
                                        ; implicit-def: $sgpr36
	s_set_inst_prefetch_distance 0x1
	s_branch .LBB1463_320
	.p2align	6
.LBB1463_318:                           ;   in Loop: Header=BB1463_320 Depth=1
	global_load_u16 v37, v[35:36], off
	global_load_u16 v38, v[33:34], off
	v_add_co_u32 v33, vcc_lo, v33, 2
	v_add_co_ci_u32_e32 v34, vcc_lo, 0, v34, vcc_lo
	v_add_co_u32 v35, s0, v35, 2
	s_delay_alu instid0(VALU_DEP_1)
	v_add_co_ci_u32_e64 v36, s0, 0, v36, s0
	s_add_u32 s6, s6, 1
	s_addc_u32 s7, s7, 0
	s_and_not1_b32 s0, s36, exec_lo
	s_waitcnt vmcnt(0)
	v_cmp_ne_u16_e32 vcc_lo, v37, v38
	s_and_b32 s36, vcc_lo, exec_lo
	s_delay_alu instid0(SALU_CYCLE_1)
	s_or_b32 s36, s0, s36
.LBB1463_319:                           ;   in Loop: Header=BB1463_320 Depth=1
	v_dual_mov_b32 v38, s7 :: v_dual_mov_b32 v37, s6
	s_and_b32 s0, exec_lo, s36
	s_delay_alu instid0(SALU_CYCLE_1) | instskip(NEXT) | instid1(SALU_CYCLE_1)
	s_or_b32 s35, s0, s35
	s_and_not1_b32 exec_lo, exec_lo, s35
	s_cbranch_execz .LBB1463_322
.LBB1463_320:                           ; =>This Inner Loop Header: Depth=1
	s_or_b32 s36, s36, exec_lo
	s_cmp_eq_u64 s[4:5], s[6:7]
	s_cbranch_scc0 .LBB1463_318
; %bb.321:                              ;   in Loop: Header=BB1463_320 Depth=1
	s_mov_b64 s[6:7], s[14:15]
                                        ; implicit-def: $vgpr33_vgpr34
                                        ; implicit-def: $vgpr35_vgpr36
	s_branch .LBB1463_319
.LBB1463_322:
	s_set_inst_prefetch_distance 0x2
	s_or_b32 exec_lo, exec_lo, s35
	v_cmp_gt_i64_e32 vcc_lo, s[14:15], v[37:38]
	s_or_not1_b32 s0, vcc_lo, exec_lo
.LBB1463_323:
	s_or_b32 exec_lo, exec_lo, s27
.LBB1463_324:
	s_delay_alu instid0(SALU_CYCLE_1)
	s_and_b32 s27, s0, exec_lo
.LBB1463_325:
	s_or_b32 exec_lo, exec_lo, s34
	v_or_b32_e32 v33, 4, v55
	s_mov_b32 s34, exec_lo
	s_delay_alu instid0(VALU_DEP_1)
	v_cmpx_gt_u32_e64 s31, v33
	s_cbranch_execz .LBB1463_336
; %bb.326:
	s_and_not1_b32 vcc_lo, exec_lo, s13
	s_mov_b32 s0, 0
	s_cbranch_vccnz .LBB1463_335
; %bb.327:
	v_mul_lo_u32 v37, v28, s14
	v_mul_lo_u32 v38, v27, s15
	v_mad_u64_u32 v[33:34], null, v27, s14, 0
	v_mul_lo_u32 v39, v22, s14
	v_mul_lo_u32 v40, v21, s15
	v_mad_u64_u32 v[35:36], null, v21, s14, 0
	s_mov_b32 s0, -1
	s_mov_b32 s26, exec_lo
	s_delay_alu instid0(VALU_DEP_4) | instskip(NEXT) | instid1(VALU_DEP_2)
	v_add3_u32 v34, v34, v38, v37
	v_add3_u32 v36, v36, v40, v39
	s_delay_alu instid0(VALU_DEP_2) | instskip(NEXT) | instid1(VALU_DEP_2)
	v_lshlrev_b64 v[33:34], 1, v[33:34]
	v_lshlrev_b64 v[37:38], 1, v[35:36]
	s_delay_alu instid0(VALU_DEP_2) | instskip(NEXT) | instid1(VALU_DEP_3)
	v_add_co_u32 v35, vcc_lo, s20, v33
	v_add_co_ci_u32_e32 v36, vcc_lo, s21, v34, vcc_lo
	s_delay_alu instid0(VALU_DEP_3) | instskip(NEXT) | instid1(VALU_DEP_4)
	v_add_co_u32 v33, vcc_lo, s20, v37
	v_add_co_ci_u32_e32 v34, vcc_lo, s21, v38, vcc_lo
	s_clause 0x1
	global_load_u16 v37, v[35:36], off
	global_load_u16 v38, v[33:34], off
	s_waitcnt vmcnt(0)
	v_cmpx_eq_u16_e64 v37, v38
	s_cbranch_execz .LBB1463_334
; %bb.328:
	v_add_co_u32 v33, vcc_lo, v33, 2
	v_add_co_ci_u32_e32 v34, vcc_lo, 0, v34, vcc_lo
	v_add_co_u32 v35, vcc_lo, v35, 2
	v_add_co_ci_u32_e32 v36, vcc_lo, 0, v36, vcc_lo
	s_add_u32 s4, s14, -1
	s_addc_u32 s5, s15, -1
	s_mov_b64 s[6:7], 0
	s_mov_b32 s35, 0
                                        ; implicit-def: $sgpr36
	s_set_inst_prefetch_distance 0x1
	s_branch .LBB1463_331
	.p2align	6
.LBB1463_329:                           ;   in Loop: Header=BB1463_331 Depth=1
	global_load_u16 v37, v[35:36], off
	global_load_u16 v38, v[33:34], off
	v_add_co_u32 v33, vcc_lo, v33, 2
	v_add_co_ci_u32_e32 v34, vcc_lo, 0, v34, vcc_lo
	v_add_co_u32 v35, s0, v35, 2
	s_delay_alu instid0(VALU_DEP_1)
	v_add_co_ci_u32_e64 v36, s0, 0, v36, s0
	s_add_u32 s6, s6, 1
	s_addc_u32 s7, s7, 0
	s_and_not1_b32 s0, s36, exec_lo
	s_waitcnt vmcnt(0)
	v_cmp_ne_u16_e32 vcc_lo, v37, v38
	s_and_b32 s36, vcc_lo, exec_lo
	s_delay_alu instid0(SALU_CYCLE_1)
	s_or_b32 s36, s0, s36
.LBB1463_330:                           ;   in Loop: Header=BB1463_331 Depth=1
	v_dual_mov_b32 v38, s7 :: v_dual_mov_b32 v37, s6
	s_and_b32 s0, exec_lo, s36
	s_delay_alu instid0(SALU_CYCLE_1) | instskip(NEXT) | instid1(SALU_CYCLE_1)
	s_or_b32 s35, s0, s35
	s_and_not1_b32 exec_lo, exec_lo, s35
	s_cbranch_execz .LBB1463_333
.LBB1463_331:                           ; =>This Inner Loop Header: Depth=1
	s_or_b32 s36, s36, exec_lo
	s_cmp_eq_u64 s[4:5], s[6:7]
	s_cbranch_scc0 .LBB1463_329
; %bb.332:                              ;   in Loop: Header=BB1463_331 Depth=1
	s_mov_b64 s[6:7], s[14:15]
                                        ; implicit-def: $vgpr33_vgpr34
                                        ; implicit-def: $vgpr35_vgpr36
	s_branch .LBB1463_330
.LBB1463_333:
	s_set_inst_prefetch_distance 0x2
	s_or_b32 exec_lo, exec_lo, s35
	v_cmp_gt_i64_e32 vcc_lo, s[14:15], v[37:38]
	s_or_not1_b32 s0, vcc_lo, exec_lo
.LBB1463_334:
	s_or_b32 exec_lo, exec_lo, s26
.LBB1463_335:
	s_delay_alu instid0(SALU_CYCLE_1)
	s_and_b32 s26, s0, exec_lo
.LBB1463_336:
	s_or_b32 exec_lo, exec_lo, s34
	v_or_b32_e32 v33, 3, v55
	s_mov_b32 s35, 0
	s_mov_b32 s34, 0
	s_mov_b32 s36, exec_lo
	s_delay_alu instid0(VALU_DEP_1)
	v_cmpx_gt_u32_e64 s31, v33
	s_cbranch_execz .LBB1463_347
; %bb.337:
	s_and_not1_b32 vcc_lo, exec_lo, s13
	s_mov_b32 s0, 0
	s_cbranch_vccnz .LBB1463_346
; %bb.338:
	v_mul_lo_u32 v37, v26, s14
	v_mul_lo_u32 v38, v25, s15
	v_mad_u64_u32 v[33:34], null, v25, s14, 0
	v_mul_lo_u32 v39, v28, s14
	v_mul_lo_u32 v40, v27, s15
	v_mad_u64_u32 v[35:36], null, v27, s14, 0
	s_mov_b32 s0, -1
	s_mov_b32 s34, exec_lo
	s_delay_alu instid0(VALU_DEP_4) | instskip(NEXT) | instid1(VALU_DEP_2)
	v_add3_u32 v34, v34, v38, v37
	v_add3_u32 v36, v36, v40, v39
	s_delay_alu instid0(VALU_DEP_2) | instskip(NEXT) | instid1(VALU_DEP_2)
	v_lshlrev_b64 v[33:34], 1, v[33:34]
	v_lshlrev_b64 v[37:38], 1, v[35:36]
	s_delay_alu instid0(VALU_DEP_2) | instskip(NEXT) | instid1(VALU_DEP_3)
	v_add_co_u32 v35, vcc_lo, s20, v33
	v_add_co_ci_u32_e32 v36, vcc_lo, s21, v34, vcc_lo
	s_delay_alu instid0(VALU_DEP_3) | instskip(NEXT) | instid1(VALU_DEP_4)
	v_add_co_u32 v33, vcc_lo, s20, v37
	v_add_co_ci_u32_e32 v34, vcc_lo, s21, v38, vcc_lo
	s_clause 0x1
	global_load_u16 v37, v[35:36], off
	global_load_u16 v38, v[33:34], off
	s_waitcnt vmcnt(0)
	v_cmpx_eq_u16_e64 v37, v38
	s_cbranch_execz .LBB1463_345
; %bb.339:
	v_add_co_u32 v33, vcc_lo, v33, 2
	v_add_co_ci_u32_e32 v34, vcc_lo, 0, v34, vcc_lo
	v_add_co_u32 v35, vcc_lo, v35, 2
	v_add_co_ci_u32_e32 v36, vcc_lo, 0, v36, vcc_lo
	s_add_u32 s4, s14, -1
	s_addc_u32 s5, s15, -1
	s_mov_b64 s[6:7], 0
	s_mov_b32 s37, 0
                                        ; implicit-def: $sgpr38
	s_set_inst_prefetch_distance 0x1
	s_branch .LBB1463_342
	.p2align	6
.LBB1463_340:                           ;   in Loop: Header=BB1463_342 Depth=1
	global_load_u16 v37, v[35:36], off
	global_load_u16 v38, v[33:34], off
	v_add_co_u32 v33, vcc_lo, v33, 2
	v_add_co_ci_u32_e32 v34, vcc_lo, 0, v34, vcc_lo
	v_add_co_u32 v35, s0, v35, 2
	s_delay_alu instid0(VALU_DEP_1)
	v_add_co_ci_u32_e64 v36, s0, 0, v36, s0
	s_add_u32 s6, s6, 1
	s_addc_u32 s7, s7, 0
	s_and_not1_b32 s0, s38, exec_lo
	s_waitcnt vmcnt(0)
	v_cmp_ne_u16_e32 vcc_lo, v37, v38
	s_and_b32 s38, vcc_lo, exec_lo
	s_delay_alu instid0(SALU_CYCLE_1)
	s_or_b32 s38, s0, s38
.LBB1463_341:                           ;   in Loop: Header=BB1463_342 Depth=1
	v_dual_mov_b32 v38, s7 :: v_dual_mov_b32 v37, s6
	s_and_b32 s0, exec_lo, s38
	s_delay_alu instid0(SALU_CYCLE_1) | instskip(NEXT) | instid1(SALU_CYCLE_1)
	s_or_b32 s37, s0, s37
	s_and_not1_b32 exec_lo, exec_lo, s37
	s_cbranch_execz .LBB1463_344
.LBB1463_342:                           ; =>This Inner Loop Header: Depth=1
	s_or_b32 s38, s38, exec_lo
	s_cmp_eq_u64 s[4:5], s[6:7]
	s_cbranch_scc0 .LBB1463_340
; %bb.343:                              ;   in Loop: Header=BB1463_342 Depth=1
	s_mov_b64 s[6:7], s[14:15]
                                        ; implicit-def: $vgpr33_vgpr34
                                        ; implicit-def: $vgpr35_vgpr36
	s_branch .LBB1463_341
.LBB1463_344:
	s_set_inst_prefetch_distance 0x2
	s_or_b32 exec_lo, exec_lo, s37
	v_cmp_gt_i64_e32 vcc_lo, s[14:15], v[37:38]
	s_or_not1_b32 s0, vcc_lo, exec_lo
.LBB1463_345:
	s_or_b32 exec_lo, exec_lo, s34
.LBB1463_346:
	s_delay_alu instid0(SALU_CYCLE_1)
	s_and_b32 s34, s0, exec_lo
.LBB1463_347:
	s_or_b32 exec_lo, exec_lo, s36
	v_or_b32_e32 v33, 2, v55
	s_mov_b32 s36, exec_lo
	s_delay_alu instid0(VALU_DEP_1)
	v_cmpx_gt_u32_e64 s31, v33
	s_cbranch_execz .LBB1463_358
; %bb.348:
	s_and_not1_b32 vcc_lo, exec_lo, s13
	s_mov_b32 s0, 0
	s_cbranch_vccnz .LBB1463_357
; %bb.349:
	v_mul_lo_u32 v37, v32, s14
	v_mul_lo_u32 v38, v31, s15
	v_mad_u64_u32 v[33:34], null, v31, s14, 0
	v_mul_lo_u32 v39, v26, s14
	v_mul_lo_u32 v40, v25, s15
	v_mad_u64_u32 v[35:36], null, v25, s14, 0
	s_mov_b32 s0, -1
	s_mov_b32 s35, exec_lo
	s_delay_alu instid0(VALU_DEP_4) | instskip(NEXT) | instid1(VALU_DEP_2)
	v_add3_u32 v34, v34, v38, v37
	v_add3_u32 v36, v36, v40, v39
	s_delay_alu instid0(VALU_DEP_2) | instskip(NEXT) | instid1(VALU_DEP_2)
	v_lshlrev_b64 v[33:34], 1, v[33:34]
	v_lshlrev_b64 v[37:38], 1, v[35:36]
	s_delay_alu instid0(VALU_DEP_2) | instskip(NEXT) | instid1(VALU_DEP_3)
	v_add_co_u32 v35, vcc_lo, s20, v33
	v_add_co_ci_u32_e32 v36, vcc_lo, s21, v34, vcc_lo
	s_delay_alu instid0(VALU_DEP_3) | instskip(NEXT) | instid1(VALU_DEP_4)
	v_add_co_u32 v33, vcc_lo, s20, v37
	v_add_co_ci_u32_e32 v34, vcc_lo, s21, v38, vcc_lo
	s_clause 0x1
	global_load_u16 v37, v[35:36], off
	global_load_u16 v38, v[33:34], off
	s_waitcnt vmcnt(0)
	v_cmpx_eq_u16_e64 v37, v38
	s_cbranch_execz .LBB1463_356
; %bb.350:
	v_add_co_u32 v33, vcc_lo, v33, 2
	v_add_co_ci_u32_e32 v34, vcc_lo, 0, v34, vcc_lo
	v_add_co_u32 v35, vcc_lo, v35, 2
	v_add_co_ci_u32_e32 v36, vcc_lo, 0, v36, vcc_lo
	s_add_u32 s4, s14, -1
	s_addc_u32 s5, s15, -1
	s_mov_b64 s[6:7], 0
	s_mov_b32 s37, 0
                                        ; implicit-def: $sgpr38
	s_set_inst_prefetch_distance 0x1
	s_branch .LBB1463_353
	.p2align	6
.LBB1463_351:                           ;   in Loop: Header=BB1463_353 Depth=1
	global_load_u16 v37, v[35:36], off
	global_load_u16 v38, v[33:34], off
	v_add_co_u32 v33, vcc_lo, v33, 2
	v_add_co_ci_u32_e32 v34, vcc_lo, 0, v34, vcc_lo
	v_add_co_u32 v35, s0, v35, 2
	s_delay_alu instid0(VALU_DEP_1)
	v_add_co_ci_u32_e64 v36, s0, 0, v36, s0
	s_add_u32 s6, s6, 1
	s_addc_u32 s7, s7, 0
	s_and_not1_b32 s0, s38, exec_lo
	s_waitcnt vmcnt(0)
	v_cmp_ne_u16_e32 vcc_lo, v37, v38
	s_and_b32 s38, vcc_lo, exec_lo
	s_delay_alu instid0(SALU_CYCLE_1)
	s_or_b32 s38, s0, s38
.LBB1463_352:                           ;   in Loop: Header=BB1463_353 Depth=1
	v_dual_mov_b32 v38, s7 :: v_dual_mov_b32 v37, s6
	s_and_b32 s0, exec_lo, s38
	s_delay_alu instid0(SALU_CYCLE_1) | instskip(NEXT) | instid1(SALU_CYCLE_1)
	s_or_b32 s37, s0, s37
	s_and_not1_b32 exec_lo, exec_lo, s37
	s_cbranch_execz .LBB1463_355
.LBB1463_353:                           ; =>This Inner Loop Header: Depth=1
	s_or_b32 s38, s38, exec_lo
	s_cmp_eq_u64 s[4:5], s[6:7]
	s_cbranch_scc0 .LBB1463_351
; %bb.354:                              ;   in Loop: Header=BB1463_353 Depth=1
	s_mov_b64 s[6:7], s[14:15]
                                        ; implicit-def: $vgpr33_vgpr34
                                        ; implicit-def: $vgpr35_vgpr36
	s_branch .LBB1463_352
.LBB1463_355:
	s_set_inst_prefetch_distance 0x2
	s_or_b32 exec_lo, exec_lo, s37
	v_cmp_gt_i64_e32 vcc_lo, s[14:15], v[37:38]
	s_or_not1_b32 s0, vcc_lo, exec_lo
.LBB1463_356:
	s_or_b32 exec_lo, exec_lo, s35
.LBB1463_357:
	s_delay_alu instid0(SALU_CYCLE_1)
	s_and_b32 s35, s0, exec_lo
.LBB1463_358:
	s_or_b32 exec_lo, exec_lo, s36
	v_or_b32_e32 v33, 1, v55
	s_mov_b32 s0, 0
	s_mov_b32 s36, exec_lo
	s_delay_alu instid0(VALU_DEP_1)
	v_cmpx_gt_u32_e64 s31, v33
	s_cbranch_execz .LBB1463_369
; %bb.359:
	s_and_not1_b32 vcc_lo, exec_lo, s13
	s_cbranch_vccnz .LBB1463_368
; %bb.360:
	v_mul_lo_u32 v37, v30, s14
	v_mul_lo_u32 v38, v29, s15
	v_mad_u64_u32 v[33:34], null, v29, s14, 0
	v_mul_lo_u32 v39, v32, s14
	v_mul_lo_u32 v40, v31, s15
	v_mad_u64_u32 v[35:36], null, v31, s14, 0
	s_mov_b32 s0, -1
	s_mov_b32 s37, exec_lo
	s_delay_alu instid0(VALU_DEP_4) | instskip(NEXT) | instid1(VALU_DEP_2)
	v_add3_u32 v34, v34, v38, v37
	v_add3_u32 v36, v36, v40, v39
	s_delay_alu instid0(VALU_DEP_2) | instskip(NEXT) | instid1(VALU_DEP_2)
	v_lshlrev_b64 v[33:34], 1, v[33:34]
	v_lshlrev_b64 v[37:38], 1, v[35:36]
	s_delay_alu instid0(VALU_DEP_2) | instskip(NEXT) | instid1(VALU_DEP_3)
	v_add_co_u32 v35, vcc_lo, s20, v33
	v_add_co_ci_u32_e32 v36, vcc_lo, s21, v34, vcc_lo
	s_delay_alu instid0(VALU_DEP_3) | instskip(NEXT) | instid1(VALU_DEP_4)
	v_add_co_u32 v33, vcc_lo, s20, v37
	v_add_co_ci_u32_e32 v34, vcc_lo, s21, v38, vcc_lo
	s_clause 0x1
	global_load_u16 v37, v[35:36], off
	global_load_u16 v38, v[33:34], off
	s_waitcnt vmcnt(0)
	v_cmpx_eq_u16_e64 v37, v38
	s_cbranch_execz .LBB1463_367
; %bb.361:
	v_add_co_u32 v33, vcc_lo, v33, 2
	v_add_co_ci_u32_e32 v34, vcc_lo, 0, v34, vcc_lo
	v_add_co_u32 v35, vcc_lo, v35, 2
	v_add_co_ci_u32_e32 v36, vcc_lo, 0, v36, vcc_lo
	s_add_u32 s4, s14, -1
	s_addc_u32 s5, s15, -1
	s_mov_b64 s[6:7], 0
	s_mov_b32 s38, 0
                                        ; implicit-def: $sgpr39
	s_set_inst_prefetch_distance 0x1
	s_branch .LBB1463_364
	.p2align	6
.LBB1463_362:                           ;   in Loop: Header=BB1463_364 Depth=1
	global_load_u16 v37, v[35:36], off
	global_load_u16 v38, v[33:34], off
	v_add_co_u32 v33, vcc_lo, v33, 2
	v_add_co_ci_u32_e32 v34, vcc_lo, 0, v34, vcc_lo
	v_add_co_u32 v35, s0, v35, 2
	s_delay_alu instid0(VALU_DEP_1)
	v_add_co_ci_u32_e64 v36, s0, 0, v36, s0
	s_add_u32 s6, s6, 1
	s_addc_u32 s7, s7, 0
	s_and_not1_b32 s0, s39, exec_lo
	s_waitcnt vmcnt(0)
	v_cmp_ne_u16_e32 vcc_lo, v37, v38
	s_and_b32 s39, vcc_lo, exec_lo
	s_delay_alu instid0(SALU_CYCLE_1)
	s_or_b32 s39, s0, s39
.LBB1463_363:                           ;   in Loop: Header=BB1463_364 Depth=1
	v_dual_mov_b32 v38, s7 :: v_dual_mov_b32 v37, s6
	s_and_b32 s0, exec_lo, s39
	s_delay_alu instid0(SALU_CYCLE_1) | instskip(NEXT) | instid1(SALU_CYCLE_1)
	s_or_b32 s38, s0, s38
	s_and_not1_b32 exec_lo, exec_lo, s38
	s_cbranch_execz .LBB1463_366
.LBB1463_364:                           ; =>This Inner Loop Header: Depth=1
	s_or_b32 s39, s39, exec_lo
	s_cmp_eq_u64 s[4:5], s[6:7]
	s_cbranch_scc0 .LBB1463_362
; %bb.365:                              ;   in Loop: Header=BB1463_364 Depth=1
	s_mov_b64 s[6:7], s[14:15]
                                        ; implicit-def: $vgpr33_vgpr34
                                        ; implicit-def: $vgpr35_vgpr36
	s_branch .LBB1463_363
.LBB1463_366:
	s_set_inst_prefetch_distance 0x2
	s_or_b32 exec_lo, exec_lo, s38
	v_cmp_gt_i64_e32 vcc_lo, s[14:15], v[37:38]
	s_or_not1_b32 s0, vcc_lo, exec_lo
.LBB1463_367:
	s_or_b32 exec_lo, exec_lo, s37
.LBB1463_368:
	s_delay_alu instid0(SALU_CYCLE_1)
	s_and_b32 s0, s0, exec_lo
.LBB1463_369:
	s_or_b32 exec_lo, exec_lo, s36
	v_cndmask_b32_e64 v34, 0, 1, s34
	v_cndmask_b32_e64 v35, 0, 1, s27
	;; [unrolled: 1-line block ×7, first 2 shown]
	v_lshlrev_b16 v35, 8, v35
	v_lshlrev_b16 v36, 8, v36
	v_lshlrev_b16 v37, 8, v37
	v_lshlrev_b16 v34, 8, v34
	s_waitcnt lgkmcnt(0)
	v_or_b32_e32 v35, v38, v35
	v_or_b32_e32 v36, v39, v36
	;; [unrolled: 1-line block ×4, first 2 shown]
	s_barrier
	v_and_b32_e32 v34, 0xffff, v35
	v_lshlrev_b32_e32 v35, 16, v36
	v_and_b32_e32 v37, 0xffff, v37
	v_lshlrev_b32_e32 v33, 16, v33
	buffer_gl0_inv
                                        ; implicit-def: $sgpr0
	v_or_b32_e32 v36, v34, v35
	v_or_b32_e32 v35, v37, v33
	s_and_saveexec_b32 s24, s3
	s_cbranch_execz .LBB1463_382
; %bb.370:
	s_mov_b32 s0, 0
	s_mov_b32 s3, exec_lo
	v_cmpx_gt_u32_e64 s31, v55
	s_cbranch_execz .LBB1463_381
; %bb.371:
	s_and_not1_b32 vcc_lo, exec_lo, s13
	s_cbranch_vccnz .LBB1463_380
; %bb.372:
	v_add_nc_u32_e32 v33, -8, v55
	v_mul_lo_u32 v41, v30, s14
	v_mul_lo_u32 v42, v29, s15
	s_mov_b32 s0, -1
	s_mov_b32 s13, exec_lo
	ds_load_b64 v[33:34], v33
	s_waitcnt lgkmcnt(0)
	v_mul_lo_u32 v39, v34, s14
	v_mul_lo_u32 v40, v33, s15
	v_mad_u64_u32 v[37:38], null, v33, s14, 0
	v_mad_u64_u32 v[33:34], null, v29, s14, 0
	s_delay_alu instid0(VALU_DEP_2) | instskip(NEXT) | instid1(VALU_DEP_2)
	v_add3_u32 v38, v38, v40, v39
	v_add3_u32 v34, v34, v42, v41
	s_delay_alu instid0(VALU_DEP_2) | instskip(NEXT) | instid1(VALU_DEP_2)
	v_lshlrev_b64 v[37:38], 1, v[37:38]
	v_lshlrev_b64 v[33:34], 1, v[33:34]
	s_delay_alu instid0(VALU_DEP_2) | instskip(NEXT) | instid1(VALU_DEP_3)
	v_add_co_u32 v37, vcc_lo, s20, v37
	v_add_co_ci_u32_e32 v38, vcc_lo, s21, v38, vcc_lo
	s_delay_alu instid0(VALU_DEP_3) | instskip(NEXT) | instid1(VALU_DEP_4)
	v_add_co_u32 v33, vcc_lo, s20, v33
	v_add_co_ci_u32_e32 v34, vcc_lo, s21, v34, vcc_lo
	s_clause 0x1
	global_load_u16 v39, v[37:38], off
	global_load_u16 v40, v[33:34], off
	s_waitcnt vmcnt(0)
	v_cmpx_eq_u16_e64 v39, v40
	s_cbranch_execz .LBB1463_379
; %bb.373:
	v_add_co_u32 v33, vcc_lo, v33, 2
	v_add_co_ci_u32_e32 v34, vcc_lo, 0, v34, vcc_lo
	v_add_co_u32 v37, vcc_lo, v37, 2
	v_add_co_ci_u32_e32 v38, vcc_lo, 0, v38, vcc_lo
	s_add_u32 s4, s14, -1
	s_addc_u32 s5, s15, -1
	s_mov_b64 s[6:7], 0
	s_mov_b32 s20, 0
                                        ; implicit-def: $sgpr21
	s_set_inst_prefetch_distance 0x1
	s_branch .LBB1463_376
	.p2align	6
.LBB1463_374:                           ;   in Loop: Header=BB1463_376 Depth=1
	global_load_u16 v39, v[37:38], off
	global_load_u16 v40, v[33:34], off
	v_add_co_u32 v33, vcc_lo, v33, 2
	v_add_co_ci_u32_e32 v34, vcc_lo, 0, v34, vcc_lo
	v_add_co_u32 v37, s0, v37, 2
	s_delay_alu instid0(VALU_DEP_1)
	v_add_co_ci_u32_e64 v38, s0, 0, v38, s0
	s_add_u32 s6, s6, 1
	s_addc_u32 s7, s7, 0
	s_and_not1_b32 s0, s21, exec_lo
	s_waitcnt vmcnt(0)
	v_cmp_ne_u16_e32 vcc_lo, v39, v40
	s_and_b32 s21, vcc_lo, exec_lo
	s_delay_alu instid0(SALU_CYCLE_1)
	s_or_b32 s21, s0, s21
.LBB1463_375:                           ;   in Loop: Header=BB1463_376 Depth=1
	v_dual_mov_b32 v40, s7 :: v_dual_mov_b32 v39, s6
	s_and_b32 s0, exec_lo, s21
	s_delay_alu instid0(SALU_CYCLE_1) | instskip(NEXT) | instid1(SALU_CYCLE_1)
	s_or_b32 s20, s0, s20
	s_and_not1_b32 exec_lo, exec_lo, s20
	s_cbranch_execz .LBB1463_378
.LBB1463_376:                           ; =>This Inner Loop Header: Depth=1
	s_or_b32 s21, s21, exec_lo
	s_cmp_eq_u64 s[4:5], s[6:7]
	s_cbranch_scc0 .LBB1463_374
; %bb.377:                              ;   in Loop: Header=BB1463_376 Depth=1
	s_mov_b64 s[6:7], s[14:15]
                                        ; implicit-def: $vgpr33_vgpr34
                                        ; implicit-def: $vgpr37_vgpr38
	s_branch .LBB1463_375
.LBB1463_378:
	s_set_inst_prefetch_distance 0x2
	s_or_b32 exec_lo, exec_lo, s20
	v_cmp_gt_i64_e32 vcc_lo, s[14:15], v[39:40]
	s_or_not1_b32 s0, vcc_lo, exec_lo
.LBB1463_379:
	s_or_b32 exec_lo, exec_lo, s13
.LBB1463_380:
	s_delay_alu instid0(SALU_CYCLE_1)
	s_and_b32 s0, s0, exec_lo
.LBB1463_381:
	s_or_b32 exec_lo, exec_lo, s3
	s_delay_alu instid0(SALU_CYCLE_1)
	s_and_b32 s0, s0, exec_lo
	s_or_b32 s1, s1, exec_lo
.LBB1463_382:
	s_or_b32 exec_lo, exec_lo, s24
.LBB1463_383:
	s_and_saveexec_b32 s3, s1
	s_cbranch_execz .LBB1463_385
; %bb.384:
	s_waitcnt vmcnt(0) lgkmcnt(0)
	v_and_b32_e32 v33, 0xffffff00, v35
	v_cndmask_b32_e64 v34, 0, 1, s0
	s_delay_alu instid0(VALU_DEP_1) | instskip(NEXT) | instid1(VALU_DEP_1)
	v_or_b32_e32 v33, v34, v33
	v_and_b32_e32 v33, 0xffff, v33
	s_delay_alu instid0(VALU_DEP_1)
	v_and_or_b32 v35, 0xffff0000, v35, v33
.LBB1463_385:
	s_or_b32 exec_lo, exec_lo, s3
	s_delay_alu instid0(SALU_CYCLE_1)
	s_and_not1_b32 vcc_lo, exec_lo, s33
	s_cbranch_vccnz .LBB1463_387
; %bb.386:
	v_cmp_gt_u32_e32 vcc_lo, s31, v55
	s_waitcnt vmcnt(0) lgkmcnt(0)
	v_or_b32_e32 v34, 1, v55
	v_and_b32_e32 v37, 0xffffff00, v36
	v_or_b32_e32 v38, 2, v55
	v_cndmask_b32_e32 v33, 0, v35, vcc_lo
	s_delay_alu instid0(VALU_DEP_4) | instskip(SKIP_1) | instid1(VALU_DEP_4)
	v_cmp_gt_u32_e32 vcc_lo, s31, v34
	v_or_b32_e32 v34, 4, v55
	v_cmp_gt_u32_e64 s0, s31, v38
	v_or_b32_e32 v38, 3, v55
	v_and_b32_e32 v33, 0xff, v33
	s_delay_alu instid0(VALU_DEP_2) | instskip(NEXT) | instid1(VALU_DEP_2)
	v_cmp_gt_u32_e64 s1, s31, v38
	v_cndmask_b32_e32 v33, v33, v35, vcc_lo
	v_cmp_gt_u32_e32 vcc_lo, s31, v34
	v_cndmask_b32_e32 v34, v37, v36, vcc_lo
	v_or_b32_e32 v37, 5, v55
	s_delay_alu instid0(VALU_DEP_2) | instskip(SKIP_1) | instid1(VALU_DEP_1)
	v_and_b32_e32 v34, 0xffff00ff, v34
	v_and_b32_e32 v33, 0xffff, v33
	v_cndmask_b32_e64 v33, v33, v35, s0
	s_delay_alu instid0(VALU_DEP_4) | instskip(SKIP_1) | instid1(VALU_DEP_3)
	v_cmp_gt_u32_e64 s0, s31, v37
	v_or_b32_e32 v37, 6, v55
	v_and_b32_e32 v33, 0xffffff, v33
	s_delay_alu instid0(VALU_DEP_3) | instskip(NEXT) | instid1(VALU_DEP_2)
	v_cndmask_b32_e64 v34, v34, v36, s0
	v_cndmask_b32_e64 v33, v33, v35, s1
	s_delay_alu instid0(VALU_DEP_1) | instskip(SKIP_2) | instid1(VALU_DEP_3)
	v_dual_cndmask_b32 v33, v33, v35 :: v_dual_and_b32 v34, 0xff00ffff, v34
	v_cmp_gt_u32_e32 vcc_lo, s31, v37
	v_or_b32_e32 v37, 7, v55
	v_cndmask_b32_e64 v33, v33, v35, s0
	s_delay_alu instid0(VALU_DEP_1) | instskip(NEXT) | instid1(VALU_DEP_1)
	v_dual_cndmask_b32 v34, v34, v36 :: v_dual_cndmask_b32 v33, v33, v35
	v_and_b32_e32 v34, 0xffffff, v34
	s_delay_alu instid0(VALU_DEP_4) | instskip(NEXT) | instid1(VALU_DEP_2)
	v_cmp_gt_u32_e32 vcc_lo, s31, v37
	v_dual_cndmask_b32 v36, v34, v36 :: v_dual_cndmask_b32 v35, v33, v35
.LBB1463_387:
	s_delay_alu instid0(VALU_DEP_1) | instskip(SKIP_1) | instid1(VALU_DEP_2)
	v_and_b32_e32 v44, 0xff, v35
	s_waitcnt vmcnt(0) lgkmcnt(0)
	v_alignbit_b32 v33, v36, v35, 24
	v_bfe_u32 v46, v35, 8, 8
	v_bfe_u32 v48, v35, 16, 8
	v_and_b32_e32 v52, 0xff, v36
	v_bfe_u32 v54, v36, 8, 8
	v_and_b32_e32 v50, 0xff, v33
	v_add_nc_u32_e32 v33, v46, v44
	v_mbcnt_lo_u32_b32 v58, -1, 0
	v_bfe_u32 v57, v36, 16, 8
	v_lshrrev_b32_e32 v56, 24, v36
	v_lshrrev_b32_e32 v59, 5, v0
	v_add3_u32 v33, v33, v48, v50
	v_and_b32_e32 v34, 15, v58
	v_and_b32_e32 v37, 16, v58
	s_and_b32 vcc_lo, exec_lo, s12
	s_mov_b32 s7, -1
	v_add3_u32 v33, v33, v52, v54
	v_cmp_eq_u32_e64 s3, 0, v34
	v_cmp_lt_u32_e64 s0, 1, v34
	v_cmp_lt_u32_e64 s4, 3, v34
	;; [unrolled: 1-line block ×3, first 2 shown]
	v_add3_u32 v60, v33, v57, v56
	v_or_b32_e32 v33, 31, v0
	v_cmp_eq_u32_e64 s6, 0, v37
	s_barrier
	buffer_gl0_inv
	v_cmp_eq_u32_e64 s5, v33, v0
	s_cbranch_vccz .LBB1463_418
; %bb.388:
	v_mov_b32_dpp v33, v60 row_shr:1 row_mask:0xf bank_mask:0xf
	s_delay_alu instid0(VALU_DEP_1) | instskip(NEXT) | instid1(VALU_DEP_1)
	v_cndmask_b32_e64 v33, v33, 0, s3
	v_add_nc_u32_e32 v33, v33, v60
	s_delay_alu instid0(VALU_DEP_1) | instskip(NEXT) | instid1(VALU_DEP_1)
	v_mov_b32_dpp v34, v33 row_shr:2 row_mask:0xf bank_mask:0xf
	v_cndmask_b32_e64 v34, 0, v34, s0
	s_delay_alu instid0(VALU_DEP_1) | instskip(NEXT) | instid1(VALU_DEP_1)
	v_add_nc_u32_e32 v33, v33, v34
	v_mov_b32_dpp v34, v33 row_shr:4 row_mask:0xf bank_mask:0xf
	s_delay_alu instid0(VALU_DEP_1) | instskip(NEXT) | instid1(VALU_DEP_1)
	v_cndmask_b32_e64 v34, 0, v34, s4
	v_add_nc_u32_e32 v33, v33, v34
	s_delay_alu instid0(VALU_DEP_1) | instskip(NEXT) | instid1(VALU_DEP_1)
	v_mov_b32_dpp v34, v33 row_shr:8 row_mask:0xf bank_mask:0xf
	v_cndmask_b32_e64 v34, 0, v34, s1
	s_delay_alu instid0(VALU_DEP_1) | instskip(SKIP_3) | instid1(VALU_DEP_1)
	v_add_nc_u32_e32 v33, v33, v34
	ds_swizzle_b32 v34, v33 offset:swizzle(BROADCAST,32,15)
	s_waitcnt lgkmcnt(0)
	v_cndmask_b32_e64 v34, v34, 0, s6
	v_add_nc_u32_e32 v33, v33, v34
	s_and_saveexec_b32 s7, s5
	s_cbranch_execz .LBB1463_390
; %bb.389:
	v_lshlrev_b32_e32 v34, 2, v59
	ds_store_b32 v34, v33
.LBB1463_390:
	s_or_b32 exec_lo, exec_lo, s7
	s_delay_alu instid0(SALU_CYCLE_1)
	s_mov_b32 s7, exec_lo
	s_waitcnt lgkmcnt(0)
	s_barrier
	buffer_gl0_inv
	v_cmpx_gt_u32_e32 16, v0
	s_cbranch_execz .LBB1463_392
; %bb.391:
	v_lshlrev_b32_e32 v34, 2, v0
	ds_load_b32 v37, v34
	s_waitcnt lgkmcnt(0)
	v_mov_b32_dpp v38, v37 row_shr:1 row_mask:0xf bank_mask:0xf
	s_delay_alu instid0(VALU_DEP_1) | instskip(NEXT) | instid1(VALU_DEP_1)
	v_cndmask_b32_e64 v38, v38, 0, s3
	v_add_nc_u32_e32 v37, v38, v37
	s_delay_alu instid0(VALU_DEP_1) | instskip(NEXT) | instid1(VALU_DEP_1)
	v_mov_b32_dpp v38, v37 row_shr:2 row_mask:0xf bank_mask:0xf
	v_cndmask_b32_e64 v38, 0, v38, s0
	s_delay_alu instid0(VALU_DEP_1) | instskip(NEXT) | instid1(VALU_DEP_1)
	v_add_nc_u32_e32 v37, v37, v38
	v_mov_b32_dpp v38, v37 row_shr:4 row_mask:0xf bank_mask:0xf
	s_delay_alu instid0(VALU_DEP_1) | instskip(NEXT) | instid1(VALU_DEP_1)
	v_cndmask_b32_e64 v38, 0, v38, s4
	v_add_nc_u32_e32 v37, v37, v38
	s_delay_alu instid0(VALU_DEP_1) | instskip(NEXT) | instid1(VALU_DEP_1)
	v_mov_b32_dpp v38, v37 row_shr:8 row_mask:0xf bank_mask:0xf
	v_cndmask_b32_e64 v38, 0, v38, s1
	s_delay_alu instid0(VALU_DEP_1)
	v_add_nc_u32_e32 v37, v37, v38
	ds_store_b32 v34, v37
.LBB1463_392:
	s_or_b32 exec_lo, exec_lo, s7
	v_cmp_gt_u32_e32 vcc_lo, 32, v0
	s_mov_b32 s12, exec_lo
	s_waitcnt lgkmcnt(0)
	s_barrier
	buffer_gl0_inv
                                        ; implicit-def: $vgpr43
	v_cmpx_lt_u32_e32 31, v0
	s_cbranch_execz .LBB1463_394
; %bb.393:
	v_lshl_add_u32 v34, v59, 2, -4
	ds_load_b32 v43, v34
	s_waitcnt lgkmcnt(0)
	v_add_nc_u32_e32 v33, v43, v33
.LBB1463_394:
	s_or_b32 exec_lo, exec_lo, s12
	v_add_nc_u32_e32 v34, -1, v58
	s_delay_alu instid0(VALU_DEP_1) | instskip(NEXT) | instid1(VALU_DEP_1)
	v_cmp_gt_i32_e64 s7, 0, v34
	v_cndmask_b32_e64 v34, v34, v58, s7
	v_cmp_eq_u32_e64 s7, 0, v58
	s_delay_alu instid0(VALU_DEP_2)
	v_lshlrev_b32_e32 v34, 2, v34
	ds_bpermute_b32 v45, v34, v33
	s_and_saveexec_b32 s12, vcc_lo
	s_cbranch_execz .LBB1463_417
; %bb.395:
	v_mov_b32_e32 v39, 0
	ds_load_b32 v33, v39 offset:60
	s_and_saveexec_b32 s13, s7
	s_cbranch_execz .LBB1463_397
; %bb.396:
	s_add_i32 s14, s30, 32
	s_mov_b32 s15, 0
	v_mov_b32_e32 v34, 1
	s_lshl_b64 s[14:15], s[14:15], 3
	s_delay_alu instid0(SALU_CYCLE_1)
	s_add_u32 s14, s22, s14
	s_addc_u32 s15, s23, s15
	s_waitcnt lgkmcnt(0)
	global_store_b64 v39, v[33:34], s[14:15]
.LBB1463_397:
	s_or_b32 exec_lo, exec_lo, s13
	v_xad_u32 v37, v58, -1, s30
	s_mov_b32 s14, 0
	s_mov_b32 s13, exec_lo
	s_delay_alu instid0(VALU_DEP_1) | instskip(NEXT) | instid1(VALU_DEP_1)
	v_add_nc_u32_e32 v38, 32, v37
	v_lshlrev_b64 v[38:39], 3, v[38:39]
	s_delay_alu instid0(VALU_DEP_1) | instskip(NEXT) | instid1(VALU_DEP_2)
	v_add_co_u32 v41, vcc_lo, s22, v38
	v_add_co_ci_u32_e32 v42, vcc_lo, s23, v39, vcc_lo
	global_load_b64 v[39:40], v[41:42], off glc
	s_waitcnt vmcnt(0)
	v_and_b32_e32 v34, 0xff, v40
	s_delay_alu instid0(VALU_DEP_1)
	v_cmpx_eq_u16_e32 0, v34
	s_cbranch_execz .LBB1463_403
; %bb.398:
	s_mov_b32 s15, 1
	.p2align	6
.LBB1463_399:                           ; =>This Loop Header: Depth=1
                                        ;     Child Loop BB1463_400 Depth 2
	s_delay_alu instid0(SALU_CYCLE_1)
	s_max_u32 s20, s15, 1
.LBB1463_400:                           ;   Parent Loop BB1463_399 Depth=1
                                        ; =>  This Inner Loop Header: Depth=2
	s_delay_alu instid0(SALU_CYCLE_1)
	s_add_i32 s20, s20, -1
	s_sleep 1
	s_cmp_eq_u32 s20, 0
	s_cbranch_scc0 .LBB1463_400
; %bb.401:                              ;   in Loop: Header=BB1463_399 Depth=1
	global_load_b64 v[39:40], v[41:42], off glc
	s_cmp_lt_u32 s15, 32
	s_cselect_b32 s20, -1, 0
	s_delay_alu instid0(SALU_CYCLE_1) | instskip(SKIP_3) | instid1(VALU_DEP_1)
	s_cmp_lg_u32 s20, 0
	s_addc_u32 s15, s15, 0
	s_waitcnt vmcnt(0)
	v_and_b32_e32 v34, 0xff, v40
	v_cmp_ne_u16_e32 vcc_lo, 0, v34
	s_or_b32 s14, vcc_lo, s14
	s_delay_alu instid0(SALU_CYCLE_1)
	s_and_not1_b32 exec_lo, exec_lo, s14
	s_cbranch_execnz .LBB1463_399
; %bb.402:
	s_or_b32 exec_lo, exec_lo, s14
.LBB1463_403:
	s_delay_alu instid0(SALU_CYCLE_1)
	s_or_b32 exec_lo, exec_lo, s13
	v_cmp_ne_u32_e32 vcc_lo, 31, v58
	v_and_b32_e32 v38, 0xff, v40
	v_lshlrev_b32_e64 v47, v58, -1
	v_add_nc_u32_e32 v51, 2, v58
	v_add_nc_u32_e32 v61, 4, v58
	v_add_co_ci_u32_e32 v34, vcc_lo, 0, v58, vcc_lo
	v_cmp_eq_u16_e32 vcc_lo, 2, v38
	v_add_nc_u32_e32 v64, 8, v58
	v_add_nc_u32_e32 v66, 16, v58
	v_and_or_b32 v38, vcc_lo, v47, 0x80000000
	v_cmp_gt_u32_e32 vcc_lo, 30, v58
	s_delay_alu instid0(VALU_DEP_2) | instskip(SKIP_1) | instid1(VALU_DEP_2)
	v_ctz_i32_b32_e32 v38, v38
	v_cndmask_b32_e64 v42, 0, 1, vcc_lo
	v_cmp_lt_u32_e32 vcc_lo, v58, v38
	v_lshlrev_b32_e32 v34, 2, v34
	s_delay_alu instid0(VALU_DEP_3)
	v_lshlrev_b32_e32 v42, 1, v42
	ds_bpermute_b32 v41, v34, v39
	v_add_lshl_u32 v49, v42, v58, 2
	s_waitcnt lgkmcnt(0)
	v_cndmask_b32_e32 v41, 0, v41, vcc_lo
	v_cmp_gt_u32_e32 vcc_lo, 28, v58
	s_delay_alu instid0(VALU_DEP_2) | instskip(SKIP_4) | instid1(VALU_DEP_1)
	v_add_nc_u32_e32 v39, v41, v39
	v_cndmask_b32_e64 v42, 0, 1, vcc_lo
	v_cmp_le_u32_e32 vcc_lo, v51, v38
	ds_bpermute_b32 v41, v49, v39
	v_lshlrev_b32_e32 v42, 2, v42
	v_add_lshl_u32 v53, v42, v58, 2
	s_waitcnt lgkmcnt(0)
	v_cndmask_b32_e32 v41, 0, v41, vcc_lo
	v_cmp_gt_u32_e32 vcc_lo, 24, v58
	s_delay_alu instid0(VALU_DEP_2) | instskip(SKIP_4) | instid1(VALU_DEP_1)
	v_add_nc_u32_e32 v39, v39, v41
	v_cndmask_b32_e64 v42, 0, 1, vcc_lo
	v_cmp_le_u32_e32 vcc_lo, v61, v38
	ds_bpermute_b32 v41, v53, v39
	v_lshlrev_b32_e32 v42, 3, v42
	;; [unrolled: 10-line block ×3, first 2 shown]
	v_add_lshl_u32 v65, v42, v58, 2
	s_waitcnt lgkmcnt(0)
	v_cndmask_b32_e32 v41, 0, v41, vcc_lo
	v_cmp_le_u32_e32 vcc_lo, v66, v38
	s_delay_alu instid0(VALU_DEP_2) | instskip(SKIP_3) | instid1(VALU_DEP_1)
	v_add_nc_u32_e32 v39, v39, v41
	ds_bpermute_b32 v41, v65, v39
	s_waitcnt lgkmcnt(0)
	v_cndmask_b32_e32 v38, 0, v41, vcc_lo
	v_dual_mov_b32 v38, 0 :: v_dual_add_nc_u32 v39, v39, v38
	s_branch .LBB1463_405
.LBB1463_404:                           ;   in Loop: Header=BB1463_405 Depth=1
	s_or_b32 exec_lo, exec_lo, s13
	ds_bpermute_b32 v42, v34, v39
	v_and_b32_e32 v41, 0xff, v40
	v_subrev_nc_u32_e32 v37, 32, v37
	s_delay_alu instid0(VALU_DEP_2) | instskip(SKIP_1) | instid1(VALU_DEP_1)
	v_cmp_eq_u16_e32 vcc_lo, 2, v41
	v_and_or_b32 v41, vcc_lo, v47, 0x80000000
	v_ctz_i32_b32_e32 v41, v41
	s_delay_alu instid0(VALU_DEP_1) | instskip(SKIP_3) | instid1(VALU_DEP_2)
	v_cmp_lt_u32_e32 vcc_lo, v58, v41
	s_waitcnt lgkmcnt(0)
	v_cndmask_b32_e32 v42, 0, v42, vcc_lo
	v_cmp_le_u32_e32 vcc_lo, v51, v41
	v_add_nc_u32_e32 v39, v42, v39
	ds_bpermute_b32 v42, v49, v39
	s_waitcnt lgkmcnt(0)
	v_cndmask_b32_e32 v42, 0, v42, vcc_lo
	v_cmp_le_u32_e32 vcc_lo, v61, v41
	s_delay_alu instid0(VALU_DEP_2) | instskip(SKIP_4) | instid1(VALU_DEP_2)
	v_add_nc_u32_e32 v39, v39, v42
	ds_bpermute_b32 v42, v53, v39
	s_waitcnt lgkmcnt(0)
	v_cndmask_b32_e32 v42, 0, v42, vcc_lo
	v_cmp_le_u32_e32 vcc_lo, v64, v41
	v_add_nc_u32_e32 v39, v39, v42
	ds_bpermute_b32 v42, v63, v39
	s_waitcnt lgkmcnt(0)
	v_cndmask_b32_e32 v42, 0, v42, vcc_lo
	v_cmp_le_u32_e32 vcc_lo, v66, v41
	s_delay_alu instid0(VALU_DEP_2) | instskip(SKIP_3) | instid1(VALU_DEP_1)
	v_add_nc_u32_e32 v39, v39, v42
	ds_bpermute_b32 v42, v65, v39
	s_waitcnt lgkmcnt(0)
	v_cndmask_b32_e32 v41, 0, v42, vcc_lo
	v_add3_u32 v39, v41, v62, v39
.LBB1463_405:                           ; =>This Loop Header: Depth=1
                                        ;     Child Loop BB1463_408 Depth 2
                                        ;       Child Loop BB1463_409 Depth 3
	v_and_b32_e32 v40, 0xff, v40
	s_delay_alu instid0(VALU_DEP_2) | instskip(NEXT) | instid1(VALU_DEP_2)
	v_mov_b32_e32 v62, v39
	v_cmp_ne_u16_e32 vcc_lo, 2, v40
	v_cndmask_b32_e64 v40, 0, 1, vcc_lo
	;;#ASMSTART
	;;#ASMEND
	s_delay_alu instid0(VALU_DEP_1)
	v_cmp_ne_u32_e32 vcc_lo, 0, v40
	s_cmp_lg_u32 vcc_lo, exec_lo
	s_cbranch_scc1 .LBB1463_412
; %bb.406:                              ;   in Loop: Header=BB1463_405 Depth=1
	v_lshlrev_b64 v[39:40], 3, v[37:38]
	s_mov_b32 s13, exec_lo
	s_delay_alu instid0(VALU_DEP_1) | instskip(NEXT) | instid1(VALU_DEP_2)
	v_add_co_u32 v41, vcc_lo, s22, v39
	v_add_co_ci_u32_e32 v42, vcc_lo, s23, v40, vcc_lo
	global_load_b64 v[39:40], v[41:42], off glc
	s_waitcnt vmcnt(0)
	v_and_b32_e32 v67, 0xff, v40
	s_delay_alu instid0(VALU_DEP_1)
	v_cmpx_eq_u16_e32 0, v67
	s_cbranch_execz .LBB1463_404
; %bb.407:                              ;   in Loop: Header=BB1463_405 Depth=1
	s_mov_b32 s15, 1
	s_mov_b32 s14, 0
	.p2align	6
.LBB1463_408:                           ;   Parent Loop BB1463_405 Depth=1
                                        ; =>  This Loop Header: Depth=2
                                        ;       Child Loop BB1463_409 Depth 3
	s_max_u32 s20, s15, 1
.LBB1463_409:                           ;   Parent Loop BB1463_405 Depth=1
                                        ;     Parent Loop BB1463_408 Depth=2
                                        ; =>    This Inner Loop Header: Depth=3
	s_delay_alu instid0(SALU_CYCLE_1)
	s_add_i32 s20, s20, -1
	s_sleep 1
	s_cmp_eq_u32 s20, 0
	s_cbranch_scc0 .LBB1463_409
; %bb.410:                              ;   in Loop: Header=BB1463_408 Depth=2
	global_load_b64 v[39:40], v[41:42], off glc
	s_cmp_lt_u32 s15, 32
	s_cselect_b32 s20, -1, 0
	s_delay_alu instid0(SALU_CYCLE_1) | instskip(SKIP_3) | instid1(VALU_DEP_1)
	s_cmp_lg_u32 s20, 0
	s_addc_u32 s15, s15, 0
	s_waitcnt vmcnt(0)
	v_and_b32_e32 v67, 0xff, v40
	v_cmp_ne_u16_e32 vcc_lo, 0, v67
	s_or_b32 s14, vcc_lo, s14
	s_delay_alu instid0(SALU_CYCLE_1)
	s_and_not1_b32 exec_lo, exec_lo, s14
	s_cbranch_execnz .LBB1463_408
; %bb.411:                              ;   in Loop: Header=BB1463_405 Depth=1
	s_or_b32 exec_lo, exec_lo, s14
	s_branch .LBB1463_404
.LBB1463_412:                           ;   in Loop: Header=BB1463_405 Depth=1
                                        ; implicit-def: $vgpr39
                                        ; implicit-def: $vgpr40
	s_cbranch_execz .LBB1463_405
; %bb.413:
	s_and_saveexec_b32 s13, s7
	s_cbranch_execz .LBB1463_415
; %bb.414:
	s_add_i32 s14, s30, 32
	s_mov_b32 s15, 0
	v_dual_mov_b32 v38, 2 :: v_dual_add_nc_u32 v37, v62, v33
	s_lshl_b64 s[14:15], s[14:15], 3
	v_mov_b32_e32 v34, 0
	v_add_nc_u32_e64 v39, 0x8400, 0
	s_add_u32 s14, s22, s14
	s_addc_u32 s15, s23, s15
	global_store_b64 v34, v[37:38], s[14:15]
	ds_store_2addr_b32 v39, v33, v62 offset1:2
.LBB1463_415:
	s_or_b32 exec_lo, exec_lo, s13
	s_delay_alu instid0(SALU_CYCLE_1)
	s_and_b32 exec_lo, exec_lo, s2
	s_cbranch_execz .LBB1463_417
; %bb.416:
	v_mov_b32_e32 v33, 0
	ds_store_b32 v33, v62 offset:60
.LBB1463_417:
	s_or_b32 exec_lo, exec_lo, s12
	v_mov_b32_e32 v33, 0
	s_waitcnt lgkmcnt(0)
	s_waitcnt_vscnt null, 0x0
	s_barrier
	buffer_gl0_inv
	v_cndmask_b32_e64 v34, v45, v43, s7
	ds_load_b32 v33, v33 offset:60
	s_waitcnt lgkmcnt(0)
	s_barrier
	buffer_gl0_inv
	v_cndmask_b32_e64 v34, v34, 0, s2
	s_delay_alu instid0(VALU_DEP_1) | instskip(SKIP_1) | instid1(VALU_DEP_2)
	v_add_nc_u32_e32 v53, v33, v34
	v_add_nc_u32_e64 v33, 0x8400, 0
	v_add_nc_u32_e32 v51, v53, v44
	ds_load_2addr_b32 v[33:34], v33 offset1:2
	v_add_nc_u32_e32 v49, v51, v46
	s_delay_alu instid0(VALU_DEP_1) | instskip(NEXT) | instid1(VALU_DEP_1)
	v_add_nc_u32_e32 v47, v49, v48
	v_add_nc_u32_e32 v45, v47, v50
	s_delay_alu instid0(VALU_DEP_1) | instskip(SKIP_2) | instid1(VALU_DEP_2)
	v_add_nc_u32_e32 v43, v45, v52
	s_waitcnt lgkmcnt(0)
	v_readfirstlane_b32 s12, v34
	v_add_nc_u32_e32 v41, v43, v54
	s_delay_alu instid0(VALU_DEP_1)
	v_add_nc_u32_e32 v39, v41, v57
	v_lshrrev_b64 v[37:38], 24, v[35:36]
	s_branch .LBB1463_428
.LBB1463_418:
                                        ; implicit-def: $vgpr39
                                        ; implicit-def: $vgpr41
                                        ; implicit-def: $vgpr43
                                        ; implicit-def: $vgpr45
                                        ; implicit-def: $vgpr47
                                        ; implicit-def: $vgpr49
                                        ; implicit-def: $vgpr51
                                        ; implicit-def: $vgpr53
                                        ; implicit-def: $sgpr12
                                        ; implicit-def: $vgpr33
	v_lshrrev_b64 v[37:38], 24, v[35:36]
	s_and_b32 vcc_lo, exec_lo, s7
	s_cbranch_vccz .LBB1463_428
; %bb.419:
	v_mov_b32_dpp v33, v60 row_shr:1 row_mask:0xf bank_mask:0xf
	s_delay_alu instid0(VALU_DEP_1) | instskip(NEXT) | instid1(VALU_DEP_1)
	v_cndmask_b32_e64 v33, v33, 0, s3
	v_add_nc_u32_e32 v33, v33, v60
	s_delay_alu instid0(VALU_DEP_1) | instskip(NEXT) | instid1(VALU_DEP_1)
	v_mov_b32_dpp v34, v33 row_shr:2 row_mask:0xf bank_mask:0xf
	v_cndmask_b32_e64 v34, 0, v34, s0
	s_delay_alu instid0(VALU_DEP_1) | instskip(NEXT) | instid1(VALU_DEP_1)
	v_add_nc_u32_e32 v33, v33, v34
	v_mov_b32_dpp v34, v33 row_shr:4 row_mask:0xf bank_mask:0xf
	s_delay_alu instid0(VALU_DEP_1) | instskip(NEXT) | instid1(VALU_DEP_1)
	v_cndmask_b32_e64 v34, 0, v34, s4
	v_add_nc_u32_e32 v33, v33, v34
	s_delay_alu instid0(VALU_DEP_1) | instskip(NEXT) | instid1(VALU_DEP_1)
	v_mov_b32_dpp v34, v33 row_shr:8 row_mask:0xf bank_mask:0xf
	v_cndmask_b32_e64 v34, 0, v34, s1
	s_delay_alu instid0(VALU_DEP_1) | instskip(SKIP_3) | instid1(VALU_DEP_1)
	v_add_nc_u32_e32 v33, v33, v34
	ds_swizzle_b32 v34, v33 offset:swizzle(BROADCAST,32,15)
	s_waitcnt lgkmcnt(0)
	v_cndmask_b32_e64 v34, v34, 0, s6
	v_add_nc_u32_e32 v33, v33, v34
	s_and_saveexec_b32 s6, s5
	s_cbranch_execz .LBB1463_421
; %bb.420:
	v_lshlrev_b32_e32 v34, 2, v59
	ds_store_b32 v34, v33
.LBB1463_421:
	s_or_b32 exec_lo, exec_lo, s6
	s_delay_alu instid0(SALU_CYCLE_1)
	s_mov_b32 s5, exec_lo
	s_waitcnt lgkmcnt(0)
	s_barrier
	buffer_gl0_inv
	v_cmpx_gt_u32_e32 16, v0
	s_cbranch_execz .LBB1463_423
; %bb.422:
	v_lshlrev_b32_e32 v34, 2, v0
	ds_load_b32 v38, v34
	s_waitcnt lgkmcnt(0)
	v_mov_b32_dpp v39, v38 row_shr:1 row_mask:0xf bank_mask:0xf
	s_delay_alu instid0(VALU_DEP_1) | instskip(NEXT) | instid1(VALU_DEP_1)
	v_cndmask_b32_e64 v39, v39, 0, s3
	v_add_nc_u32_e32 v38, v39, v38
	s_delay_alu instid0(VALU_DEP_1) | instskip(NEXT) | instid1(VALU_DEP_1)
	v_mov_b32_dpp v39, v38 row_shr:2 row_mask:0xf bank_mask:0xf
	v_cndmask_b32_e64 v39, 0, v39, s0
	s_delay_alu instid0(VALU_DEP_1) | instskip(NEXT) | instid1(VALU_DEP_1)
	v_add_nc_u32_e32 v38, v38, v39
	v_mov_b32_dpp v39, v38 row_shr:4 row_mask:0xf bank_mask:0xf
	s_delay_alu instid0(VALU_DEP_1) | instskip(NEXT) | instid1(VALU_DEP_1)
	v_cndmask_b32_e64 v39, 0, v39, s4
	v_add_nc_u32_e32 v38, v38, v39
	s_delay_alu instid0(VALU_DEP_1) | instskip(NEXT) | instid1(VALU_DEP_1)
	v_mov_b32_dpp v39, v38 row_shr:8 row_mask:0xf bank_mask:0xf
	v_cndmask_b32_e64 v39, 0, v39, s1
	s_delay_alu instid0(VALU_DEP_1)
	v_add_nc_u32_e32 v38, v38, v39
	ds_store_b32 v34, v38
.LBB1463_423:
	s_or_b32 exec_lo, exec_lo, s5
	v_mov_b32_e32 v34, 0
	v_mov_b32_e32 v38, 0
	s_mov_b32 s0, exec_lo
	s_waitcnt lgkmcnt(0)
	s_barrier
	buffer_gl0_inv
	v_cmpx_lt_u32_e32 31, v0
	s_cbranch_execz .LBB1463_425
; %bb.424:
	v_lshl_add_u32 v38, v59, 2, -4
	ds_load_b32 v38, v38
.LBB1463_425:
	s_or_b32 exec_lo, exec_lo, s0
	v_add_nc_u32_e32 v39, -1, v58
	s_waitcnt lgkmcnt(0)
	v_add_nc_u32_e32 v33, v38, v33
	s_mov_b32 s12, 0
	s_delay_alu instid0(VALU_DEP_2) | instskip(SKIP_1) | instid1(VALU_DEP_1)
	v_cmp_gt_i32_e32 vcc_lo, 0, v39
	v_cndmask_b32_e32 v39, v39, v58, vcc_lo
	v_lshlrev_b32_e32 v39, 2, v39
	ds_bpermute_b32 v39, v39, v33
	ds_load_b32 v33, v34 offset:60
	s_and_saveexec_b32 s0, s2
	s_cbranch_execz .LBB1463_427
; %bb.426:
	v_mov_b32_e32 v40, 0
	v_mov_b32_e32 v34, 2
	s_waitcnt lgkmcnt(0)
	global_store_b64 v40, v[33:34], s[22:23] offset:256
.LBB1463_427:
	s_or_b32 exec_lo, exec_lo, s0
	v_cmp_eq_u32_e32 vcc_lo, 0, v58
	s_waitcnt lgkmcnt(0)
	s_waitcnt_vscnt null, 0x0
	s_barrier
	buffer_gl0_inv
	v_cndmask_b32_e32 v34, v39, v38, vcc_lo
	s_delay_alu instid0(VALU_DEP_1) | instskip(NEXT) | instid1(VALU_DEP_1)
	v_cndmask_b32_e64 v53, v34, 0, s2
	v_add_nc_u32_e32 v51, v53, v44
	s_delay_alu instid0(VALU_DEP_1) | instskip(NEXT) | instid1(VALU_DEP_1)
	v_add_nc_u32_e32 v49, v51, v46
	v_add_nc_u32_e32 v47, v49, v48
	s_delay_alu instid0(VALU_DEP_1) | instskip(NEXT) | instid1(VALU_DEP_1)
	v_add_nc_u32_e32 v45, v47, v50
	v_add_nc_u32_e32 v43, v45, v52
	s_delay_alu instid0(VALU_DEP_1) | instskip(NEXT) | instid1(VALU_DEP_1)
	v_add_nc_u32_e32 v41, v43, v54
	v_add_nc_u32_e32 v39, v41, v57
.LBB1463_428:
	v_add_nc_u32_e32 v59, s12, v33
	v_cmp_gt_u32_e64 s0, 0x201, v33
	v_lshrrev_b32_e32 v58, 8, v35
	v_lshrrev_b32_e32 v57, 16, v35
	;; [unrolled: 1-line block ×4, first 2 shown]
	v_cmp_lt_u32_e64 s1, v53, v59
	s_and_b32 vcc_lo, exec_lo, s0
	s_mov_b32 s3, -1
	s_cbranch_vccz .LBB1463_454
; %bb.429:
	s_delay_alu instid0(VALU_DEP_1) | instskip(NEXT) | instid1(SALU_CYCLE_1)
	s_or_b32 s3, s29, s1
	s_and_saveexec_b32 s1, s3
	s_cbranch_execz .LBB1463_432
; %bb.430:
	v_and_b32_e32 v40, 1, v35
	s_delay_alu instid0(VALU_DEP_1)
	v_cmp_eq_u32_e32 vcc_lo, 1, v40
	s_and_b32 exec_lo, exec_lo, vcc_lo
	s_cbranch_execz .LBB1463_432
; %bb.431:
	v_mov_b32_e32 v54, 0
	s_lshl_b64 s[4:5], s[10:11], 3
	s_delay_alu instid0(SALU_CYCLE_1) | instskip(SKIP_1) | instid1(VALU_DEP_1)
	s_add_u32 s3, s16, s4
	s_addc_u32 s4, s17, s5
	v_lshlrev_b64 v[60:61], 3, v[53:54]
	s_delay_alu instid0(VALU_DEP_1) | instskip(NEXT) | instid1(VALU_DEP_2)
	v_add_co_u32 v60, vcc_lo, s3, v60
	v_add_co_ci_u32_e32 v61, vcc_lo, s4, v61, vcc_lo
	global_store_b64 v[60:61], v[29:30], off
.LBB1463_432:
	s_or_b32 exec_lo, exec_lo, s1
	v_cmp_lt_u32_e32 vcc_lo, v51, v59
	s_or_b32 s3, s29, vcc_lo
	s_delay_alu instid0(SALU_CYCLE_1)
	s_and_saveexec_b32 s1, s3
	s_cbranch_execz .LBB1463_435
; %bb.433:
	v_and_b32_e32 v40, 1, v58
	s_delay_alu instid0(VALU_DEP_1)
	v_cmp_eq_u32_e32 vcc_lo, 1, v40
	s_and_b32 exec_lo, exec_lo, vcc_lo
	s_cbranch_execz .LBB1463_435
; %bb.434:
	v_mov_b32_e32 v52, 0
	s_lshl_b64 s[4:5], s[10:11], 3
	s_delay_alu instid0(SALU_CYCLE_1) | instskip(SKIP_1) | instid1(VALU_DEP_1)
	s_add_u32 s3, s16, s4
	s_addc_u32 s4, s17, s5
	v_lshlrev_b64 v[60:61], 3, v[51:52]
	s_delay_alu instid0(VALU_DEP_1) | instskip(NEXT) | instid1(VALU_DEP_2)
	v_add_co_u32 v60, vcc_lo, s3, v60
	v_add_co_ci_u32_e32 v61, vcc_lo, s4, v61, vcc_lo
	global_store_b64 v[60:61], v[31:32], off
.LBB1463_435:
	s_or_b32 exec_lo, exec_lo, s1
	v_cmp_lt_u32_e32 vcc_lo, v49, v59
	s_or_b32 s3, s29, vcc_lo
	s_delay_alu instid0(SALU_CYCLE_1)
	s_and_saveexec_b32 s1, s3
	s_cbranch_execz .LBB1463_438
; %bb.436:
	v_and_b32_e32 v40, 1, v57
	s_delay_alu instid0(VALU_DEP_1)
	v_cmp_eq_u32_e32 vcc_lo, 1, v40
	s_and_b32 exec_lo, exec_lo, vcc_lo
	s_cbranch_execz .LBB1463_438
; %bb.437:
	v_mov_b32_e32 v50, 0
	s_lshl_b64 s[4:5], s[10:11], 3
	s_delay_alu instid0(SALU_CYCLE_1) | instskip(SKIP_1) | instid1(VALU_DEP_1)
	s_add_u32 s3, s16, s4
	s_addc_u32 s4, s17, s5
	v_lshlrev_b64 v[60:61], 3, v[49:50]
	s_delay_alu instid0(VALU_DEP_1) | instskip(NEXT) | instid1(VALU_DEP_2)
	v_add_co_u32 v60, vcc_lo, s3, v60
	v_add_co_ci_u32_e32 v61, vcc_lo, s4, v61, vcc_lo
	global_store_b64 v[60:61], v[25:26], off
.LBB1463_438:
	s_or_b32 exec_lo, exec_lo, s1
	v_cmp_lt_u32_e32 vcc_lo, v47, v59
	s_or_b32 s3, s29, vcc_lo
	s_delay_alu instid0(SALU_CYCLE_1)
	s_and_saveexec_b32 s1, s3
	s_cbranch_execz .LBB1463_441
; %bb.439:
	v_and_b32_e32 v40, 1, v37
	s_delay_alu instid0(VALU_DEP_1)
	v_cmp_eq_u32_e32 vcc_lo, 1, v40
	s_and_b32 exec_lo, exec_lo, vcc_lo
	s_cbranch_execz .LBB1463_441
; %bb.440:
	v_mov_b32_e32 v48, 0
	s_lshl_b64 s[4:5], s[10:11], 3
	s_delay_alu instid0(SALU_CYCLE_1) | instskip(SKIP_1) | instid1(VALU_DEP_1)
	s_add_u32 s3, s16, s4
	s_addc_u32 s4, s17, s5
	v_lshlrev_b64 v[60:61], 3, v[47:48]
	s_delay_alu instid0(VALU_DEP_1) | instskip(NEXT) | instid1(VALU_DEP_2)
	v_add_co_u32 v60, vcc_lo, s3, v60
	v_add_co_ci_u32_e32 v61, vcc_lo, s4, v61, vcc_lo
	global_store_b64 v[60:61], v[27:28], off
.LBB1463_441:
	s_or_b32 exec_lo, exec_lo, s1
	v_cmp_lt_u32_e32 vcc_lo, v45, v59
	s_or_b32 s3, s29, vcc_lo
	s_delay_alu instid0(SALU_CYCLE_1)
	s_and_saveexec_b32 s1, s3
	s_cbranch_execz .LBB1463_444
; %bb.442:
	v_and_b32_e32 v40, 1, v36
	s_delay_alu instid0(VALU_DEP_1)
	v_cmp_eq_u32_e32 vcc_lo, 1, v40
	s_and_b32 exec_lo, exec_lo, vcc_lo
	s_cbranch_execz .LBB1463_444
; %bb.443:
	v_mov_b32_e32 v46, 0
	s_lshl_b64 s[4:5], s[10:11], 3
	s_delay_alu instid0(SALU_CYCLE_1) | instskip(SKIP_1) | instid1(VALU_DEP_1)
	s_add_u32 s3, s16, s4
	s_addc_u32 s4, s17, s5
	v_lshlrev_b64 v[60:61], 3, v[45:46]
	s_delay_alu instid0(VALU_DEP_1) | instskip(NEXT) | instid1(VALU_DEP_2)
	v_add_co_u32 v60, vcc_lo, s3, v60
	v_add_co_ci_u32_e32 v61, vcc_lo, s4, v61, vcc_lo
	global_store_b64 v[60:61], v[21:22], off
.LBB1463_444:
	s_or_b32 exec_lo, exec_lo, s1
	v_cmp_lt_u32_e32 vcc_lo, v43, v59
	s_or_b32 s3, s29, vcc_lo
	s_delay_alu instid0(SALU_CYCLE_1)
	s_and_saveexec_b32 s1, s3
	s_cbranch_execz .LBB1463_447
; %bb.445:
	v_and_b32_e32 v40, 1, v38
	s_delay_alu instid0(VALU_DEP_1)
	v_cmp_eq_u32_e32 vcc_lo, 1, v40
	s_and_b32 exec_lo, exec_lo, vcc_lo
	s_cbranch_execz .LBB1463_447
; %bb.446:
	v_mov_b32_e32 v44, 0
	s_lshl_b64 s[4:5], s[10:11], 3
	s_delay_alu instid0(SALU_CYCLE_1) | instskip(SKIP_1) | instid1(VALU_DEP_1)
	s_add_u32 s3, s16, s4
	s_addc_u32 s4, s17, s5
	v_lshlrev_b64 v[60:61], 3, v[43:44]
	s_delay_alu instid0(VALU_DEP_1) | instskip(NEXT) | instid1(VALU_DEP_2)
	v_add_co_u32 v60, vcc_lo, s3, v60
	v_add_co_ci_u32_e32 v61, vcc_lo, s4, v61, vcc_lo
	global_store_b64 v[60:61], v[23:24], off
.LBB1463_447:
	s_or_b32 exec_lo, exec_lo, s1
	v_cmp_lt_u32_e32 vcc_lo, v41, v59
	s_or_b32 s3, s29, vcc_lo
	s_delay_alu instid0(SALU_CYCLE_1)
	s_and_saveexec_b32 s1, s3
	s_cbranch_execz .LBB1463_450
; %bb.448:
	v_and_b32_e32 v40, 1, v34
	s_delay_alu instid0(VALU_DEP_1)
	v_cmp_eq_u32_e32 vcc_lo, 1, v40
	s_and_b32 exec_lo, exec_lo, vcc_lo
	s_cbranch_execz .LBB1463_450
; %bb.449:
	v_mov_b32_e32 v42, 0
	s_lshl_b64 s[4:5], s[10:11], 3
	s_delay_alu instid0(SALU_CYCLE_1) | instskip(SKIP_1) | instid1(VALU_DEP_1)
	s_add_u32 s3, s16, s4
	s_addc_u32 s4, s17, s5
	v_lshlrev_b64 v[60:61], 3, v[41:42]
	s_delay_alu instid0(VALU_DEP_1) | instskip(NEXT) | instid1(VALU_DEP_2)
	v_add_co_u32 v60, vcc_lo, s3, v60
	v_add_co_ci_u32_e32 v61, vcc_lo, s4, v61, vcc_lo
	global_store_b64 v[60:61], v[17:18], off
.LBB1463_450:
	s_or_b32 exec_lo, exec_lo, s1
	v_cmp_lt_u32_e32 vcc_lo, v39, v59
	s_or_b32 s3, s29, vcc_lo
	s_delay_alu instid0(SALU_CYCLE_1)
	s_and_saveexec_b32 s1, s3
	s_cbranch_execz .LBB1463_453
; %bb.451:
	v_and_b32_e32 v40, 1, v56
	s_delay_alu instid0(VALU_DEP_1)
	v_cmp_eq_u32_e32 vcc_lo, 1, v40
	s_and_b32 exec_lo, exec_lo, vcc_lo
	s_cbranch_execz .LBB1463_453
; %bb.452:
	v_mov_b32_e32 v40, 0
	s_lshl_b64 s[4:5], s[10:11], 3
	s_delay_alu instid0(SALU_CYCLE_1) | instskip(SKIP_1) | instid1(VALU_DEP_1)
	s_add_u32 s3, s16, s4
	s_addc_u32 s4, s17, s5
	v_lshlrev_b64 v[60:61], 3, v[39:40]
	s_delay_alu instid0(VALU_DEP_1) | instskip(NEXT) | instid1(VALU_DEP_2)
	v_add_co_u32 v60, vcc_lo, s3, v60
	v_add_co_ci_u32_e32 v61, vcc_lo, s4, v61, vcc_lo
	global_store_b64 v[60:61], v[19:20], off
.LBB1463_453:
	s_or_b32 exec_lo, exec_lo, s1
	s_mov_b32 s3, 0
.LBB1463_454:
	v_and_b32_e32 v35, 1, v35
	s_and_b32 vcc_lo, exec_lo, s3
	s_delay_alu instid0(VALU_DEP_1)
	v_cmp_eq_u32_e64 s1, 1, v35
	s_cbranch_vccz .LBB1463_475
; %bb.455:
	s_delay_alu instid0(VALU_DEP_1)
	s_and_saveexec_b32 s3, s1
	s_cbranch_execz .LBB1463_457
; %bb.456:
	v_subrev_nc_u32_e32 v40, s12, v53
	s_delay_alu instid0(VALU_DEP_1)
	v_lshlrev_b32_e32 v40, 3, v40
	ds_store_b64 v40, v[29:30]
.LBB1463_457:
	s_or_b32 exec_lo, exec_lo, s3
	v_and_b32_e32 v29, 1, v58
	s_mov_b32 s1, exec_lo
	s_delay_alu instid0(VALU_DEP_1)
	v_cmpx_eq_u32_e32 1, v29
	s_cbranch_execz .LBB1463_459
; %bb.458:
	v_subrev_nc_u32_e32 v29, s12, v51
	s_delay_alu instid0(VALU_DEP_1)
	v_lshlrev_b32_e32 v29, 3, v29
	ds_store_b64 v29, v[31:32]
.LBB1463_459:
	s_or_b32 exec_lo, exec_lo, s1
	v_and_b32_e32 v29, 1, v57
	s_mov_b32 s1, exec_lo
	s_delay_alu instid0(VALU_DEP_1)
	v_cmpx_eq_u32_e32 1, v29
	;; [unrolled: 12-line block ×7, first 2 shown]
	s_cbranch_execz .LBB1463_471
; %bb.470:
	v_subrev_nc_u32_e32 v17, s12, v39
	s_delay_alu instid0(VALU_DEP_1)
	v_lshlrev_b32_e32 v17, 3, v17
	ds_store_b64 v17, v[19:20]
.LBB1463_471:
	s_or_b32 exec_lo, exec_lo, s1
	s_delay_alu instid0(SALU_CYCLE_1)
	s_mov_b32 s3, exec_lo
	s_waitcnt lgkmcnt(0)
	s_waitcnt_vscnt null, 0x0
	s_barrier
	buffer_gl0_inv
	v_cmpx_lt_u32_e64 v0, v33
	s_cbranch_execz .LBB1463_474
; %bb.472:
	s_mov_b32 s13, 0
	s_lshl_b64 s[4:5], s[10:11], 3
	s_lshl_b64 s[6:7], s[12:13], 3
	v_dual_mov_b32 v19, v55 :: v_dual_mov_b32 v20, v0
	s_add_u32 s1, s4, s6
	s_addc_u32 s4, s5, s7
	s_add_u32 s1, s16, s1
	s_addc_u32 s4, s17, s4
	v_add_co_u32 v17, s1, s1, v55
	s_delay_alu instid0(VALU_DEP_1)
	v_add_co_ci_u32_e64 v18, null, s4, 0, s1
	.p2align	6
.LBB1463_473:                           ; =>This Inner Loop Header: Depth=1
	ds_load_b64 v[21:22], v19
	v_add_nc_u32_e32 v20, 0x200, v20
	v_add_nc_u32_e32 v19, 0x1000, v19
	s_delay_alu instid0(VALU_DEP_2) | instskip(SKIP_4) | instid1(VALU_DEP_1)
	v_cmp_ge_u32_e32 vcc_lo, v20, v33
	s_or_b32 s13, vcc_lo, s13
	s_waitcnt lgkmcnt(0)
	global_store_b64 v[17:18], v[21:22], off
	v_add_co_u32 v17, s1, 0x1000, v17
	v_add_co_ci_u32_e64 v18, s1, 0, v18, s1
	s_and_not1_b32 exec_lo, exec_lo, s13
	s_cbranch_execnz .LBB1463_473
.LBB1463_474:
	s_or_b32 exec_lo, exec_lo, s3
.LBB1463_475:
	s_delay_alu instid0(SALU_CYCLE_1)
	s_and_b32 vcc_lo, exec_lo, s0
	s_mov_b32 s0, -1
	s_waitcnt_vscnt null, 0x0
	s_barrier
	buffer_gl0_inv
	s_cbranch_vccz .LBB1463_503
; %bb.476:
	v_cmp_lt_u32_e32 vcc_lo, v53, v59
	s_or_b32 s1, s29, vcc_lo
	s_delay_alu instid0(SALU_CYCLE_1)
	s_and_saveexec_b32 s0, s1
	s_cbranch_execz .LBB1463_479
; %bb.477:
	v_cmp_eq_u32_e32 vcc_lo, 1, v35
	s_and_b32 exec_lo, exec_lo, vcc_lo
	s_cbranch_execz .LBB1463_479
; %bb.478:
	v_mov_b32_e32 v54, 0
	s_lshl_b64 s[4:5], s[10:11], 3
	s_delay_alu instid0(SALU_CYCLE_1) | instskip(SKIP_1) | instid1(VALU_DEP_1)
	s_add_u32 s1, s18, s4
	s_addc_u32 s3, s19, s5
	v_lshlrev_b64 v[17:18], 3, v[53:54]
	s_delay_alu instid0(VALU_DEP_1) | instskip(NEXT) | instid1(VALU_DEP_2)
	v_add_co_u32 v17, vcc_lo, s1, v17
	v_add_co_ci_u32_e32 v18, vcc_lo, s3, v18, vcc_lo
	global_store_b64 v[17:18], v[13:14], off
.LBB1463_479:
	s_or_b32 exec_lo, exec_lo, s0
	v_cmp_lt_u32_e32 vcc_lo, v51, v59
	s_or_b32 s1, s29, vcc_lo
	s_delay_alu instid0(SALU_CYCLE_1)
	s_and_saveexec_b32 s0, s1
	s_cbranch_execz .LBB1463_482
; %bb.480:
	v_and_b32_e32 v17, 1, v58
	s_delay_alu instid0(VALU_DEP_1)
	v_cmp_eq_u32_e32 vcc_lo, 1, v17
	s_and_b32 exec_lo, exec_lo, vcc_lo
	s_cbranch_execz .LBB1463_482
; %bb.481:
	v_mov_b32_e32 v52, 0
	s_lshl_b64 s[4:5], s[10:11], 3
	s_delay_alu instid0(SALU_CYCLE_1) | instskip(SKIP_1) | instid1(VALU_DEP_1)
	s_add_u32 s1, s18, s4
	s_addc_u32 s3, s19, s5
	v_lshlrev_b64 v[17:18], 3, v[51:52]
	s_delay_alu instid0(VALU_DEP_1) | instskip(NEXT) | instid1(VALU_DEP_2)
	v_add_co_u32 v17, vcc_lo, s1, v17
	v_add_co_ci_u32_e32 v18, vcc_lo, s3, v18, vcc_lo
	global_store_b64 v[17:18], v[15:16], off
.LBB1463_482:
	s_or_b32 exec_lo, exec_lo, s0
	v_cmp_lt_u32_e32 vcc_lo, v49, v59
	s_or_b32 s1, s29, vcc_lo
	s_delay_alu instid0(SALU_CYCLE_1)
	s_and_saveexec_b32 s0, s1
	s_cbranch_execz .LBB1463_485
; %bb.483:
	v_and_b32_e32 v17, 1, v57
	s_delay_alu instid0(VALU_DEP_1)
	v_cmp_eq_u32_e32 vcc_lo, 1, v17
	s_and_b32 exec_lo, exec_lo, vcc_lo
	s_cbranch_execz .LBB1463_485
; %bb.484:
	v_mov_b32_e32 v50, 0
	s_lshl_b64 s[4:5], s[10:11], 3
	s_delay_alu instid0(SALU_CYCLE_1) | instskip(SKIP_1) | instid1(VALU_DEP_1)
	s_add_u32 s1, s18, s4
	s_addc_u32 s3, s19, s5
	v_lshlrev_b64 v[17:18], 3, v[49:50]
	s_delay_alu instid0(VALU_DEP_1) | instskip(NEXT) | instid1(VALU_DEP_2)
	v_add_co_u32 v17, vcc_lo, s1, v17
	v_add_co_ci_u32_e32 v18, vcc_lo, s3, v18, vcc_lo
	global_store_b64 v[17:18], v[9:10], off
.LBB1463_485:
	;; [unrolled: 24-line block ×7, first 2 shown]
	s_or_b32 exec_lo, exec_lo, s0
.LBB1463_501:
	s_and_b32 s0, s2, s28
	s_delay_alu instid0(SALU_CYCLE_1)
	s_and_saveexec_b32 s1, s0
	s_cbranch_execz .LBB1463_524
.LBB1463_502:
	v_add_co_u32 v0, s0, s10, v33
	s_delay_alu instid0(VALU_DEP_1) | instskip(SKIP_1) | instid1(VALU_DEP_3)
	v_add_co_ci_u32_e64 v1, null, s11, 0, s0
	v_mov_b32_e32 v2, 0
	v_add_co_u32 v0, vcc_lo, v0, s12
	s_delay_alu instid0(VALU_DEP_3)
	v_add_co_ci_u32_e32 v1, vcc_lo, 0, v1, vcc_lo
	global_store_b64 v2, v[0:1], s[8:9]
	s_nop 0
	s_sendmsg sendmsg(MSG_DEALLOC_VGPRS)
	s_endpgm
.LBB1463_503:
	s_and_b32 vcc_lo, exec_lo, s0
	s_cbranch_vccz .LBB1463_501
; %bb.504:
	s_mov_b32 s0, exec_lo
	v_cmpx_eq_u32_e32 1, v35
	s_cbranch_execz .LBB1463_506
; %bb.505:
	v_subrev_nc_u32_e32 v17, s12, v53
	s_delay_alu instid0(VALU_DEP_1)
	v_lshlrev_b32_e32 v17, 3, v17
	ds_store_b64 v17, v[13:14]
.LBB1463_506:
	s_or_b32 exec_lo, exec_lo, s0
	v_and_b32_e32 v13, 1, v58
	s_mov_b32 s0, exec_lo
	s_delay_alu instid0(VALU_DEP_1)
	v_cmpx_eq_u32_e32 1, v13
	s_cbranch_execz .LBB1463_508
; %bb.507:
	v_subrev_nc_u32_e32 v13, s12, v51
	s_delay_alu instid0(VALU_DEP_1)
	v_lshlrev_b32_e32 v13, 3, v13
	ds_store_b64 v13, v[15:16]
.LBB1463_508:
	s_or_b32 exec_lo, exec_lo, s0
	v_and_b32_e32 v13, 1, v57
	s_mov_b32 s0, exec_lo
	s_delay_alu instid0(VALU_DEP_1)
	;; [unrolled: 12-line block ×7, first 2 shown]
	v_cmpx_eq_u32_e32 1, v1
	s_cbranch_execz .LBB1463_520
; %bb.519:
	v_subrev_nc_u32_e32 v1, s12, v39
	s_delay_alu instid0(VALU_DEP_1)
	v_lshlrev_b32_e32 v1, 3, v1
	ds_store_b64 v1, v[3:4]
.LBB1463_520:
	s_or_b32 exec_lo, exec_lo, s0
	s_delay_alu instid0(SALU_CYCLE_1)
	s_mov_b32 s1, exec_lo
	s_waitcnt lgkmcnt(0)
	s_waitcnt_vscnt null, 0x0
	s_barrier
	buffer_gl0_inv
	v_cmpx_lt_u32_e64 v0, v33
	s_cbranch_execz .LBB1463_523
; %bb.521:
	s_mov_b32 s13, 0
	s_lshl_b64 s[4:5], s[10:11], 3
	s_lshl_b64 s[6:7], s[12:13], 3
	s_delay_alu instid0(SALU_CYCLE_1) | instskip(SKIP_4) | instid1(VALU_DEP_1)
	s_add_u32 s0, s4, s6
	s_addc_u32 s3, s5, s7
	s_add_u32 s0, s18, s0
	s_addc_u32 s3, s19, s3
	v_add_co_u32 v1, s0, s0, v55
	v_add_co_ci_u32_e64 v2, null, s3, 0, s0
	.p2align	6
.LBB1463_522:                           ; =>This Inner Loop Header: Depth=1
	ds_load_b64 v[3:4], v55
	v_add_nc_u32_e32 v0, 0x200, v0
	v_add_nc_u32_e32 v55, 0x1000, v55
	s_delay_alu instid0(VALU_DEP_2) | instskip(SKIP_4) | instid1(VALU_DEP_1)
	v_cmp_ge_u32_e32 vcc_lo, v0, v33
	s_or_b32 s13, vcc_lo, s13
	s_waitcnt lgkmcnt(0)
	global_store_b64 v[1:2], v[3:4], off
	v_add_co_u32 v1, s0, 0x1000, v1
	v_add_co_ci_u32_e64 v2, s0, 0, v2, s0
	s_and_not1_b32 exec_lo, exec_lo, s13
	s_cbranch_execnz .LBB1463_522
.LBB1463_523:
	s_or_b32 exec_lo, exec_lo, s1
	s_and_b32 s0, s2, s28
	s_delay_alu instid0(SALU_CYCLE_1)
	s_and_saveexec_b32 s1, s0
	s_cbranch_execnz .LBB1463_502
.LBB1463_524:
	s_nop 0
	s_sendmsg sendmsg(MSG_DEALLOC_VGPRS)
	s_endpgm
	.section	.rodata,"a",@progbits
	.p2align	6, 0x0
	.amdhsa_kernel _ZN7rocprim17ROCPRIM_400000_NS6detail17trampoline_kernelINS0_14default_configENS1_25partition_config_selectorILNS1_17partition_subalgoE9EllbEEZZNS1_14partition_implILS5_9ELb0ES3_jPlS8_PNS0_10empty_typeENS0_5tupleIJS8_S9_EEENSB_IJS8_SA_EEENS0_18inequality_wrapperIZN2at6native12_GLOBAL__N_124unique_dim_cuda_templateItEESt5tupleIJNSF_6TensorESK_SK_EERKSK_lbbbEUlllE0_EEPmJS9_EEE10hipError_tPvRmT3_T4_T5_T6_T7_T9_mT8_P12ihipStream_tbDpT10_ENKUlT_T0_E_clISt17integral_constantIbLb1EES1A_EEDaS15_S16_EUlS15_E_NS1_11comp_targetILNS1_3genE9ELNS1_11target_archE1100ELNS1_3gpuE3ELNS1_3repE0EEENS1_30default_config_static_selectorELNS0_4arch9wavefront6targetE0EEEvT1_
		.amdhsa_group_segment_fixed_size 33804
		.amdhsa_private_segment_fixed_size 0
		.amdhsa_kernarg_size 136
		.amdhsa_user_sgpr_count 15
		.amdhsa_user_sgpr_dispatch_ptr 0
		.amdhsa_user_sgpr_queue_ptr 0
		.amdhsa_user_sgpr_kernarg_segment_ptr 1
		.amdhsa_user_sgpr_dispatch_id 0
		.amdhsa_user_sgpr_private_segment_size 0
		.amdhsa_wavefront_size32 1
		.amdhsa_uses_dynamic_stack 0
		.amdhsa_enable_private_segment 0
		.amdhsa_system_sgpr_workgroup_id_x 1
		.amdhsa_system_sgpr_workgroup_id_y 0
		.amdhsa_system_sgpr_workgroup_id_z 0
		.amdhsa_system_sgpr_workgroup_info 0
		.amdhsa_system_vgpr_workitem_id 0
		.amdhsa_next_free_vgpr 68
		.amdhsa_next_free_sgpr 40
		.amdhsa_reserve_vcc 1
		.amdhsa_float_round_mode_32 0
		.amdhsa_float_round_mode_16_64 0
		.amdhsa_float_denorm_mode_32 3
		.amdhsa_float_denorm_mode_16_64 3
		.amdhsa_dx10_clamp 1
		.amdhsa_ieee_mode 1
		.amdhsa_fp16_overflow 0
		.amdhsa_workgroup_processor_mode 1
		.amdhsa_memory_ordered 1
		.amdhsa_forward_progress 0
		.amdhsa_shared_vgpr_count 0
		.amdhsa_exception_fp_ieee_invalid_op 0
		.amdhsa_exception_fp_denorm_src 0
		.amdhsa_exception_fp_ieee_div_zero 0
		.amdhsa_exception_fp_ieee_overflow 0
		.amdhsa_exception_fp_ieee_underflow 0
		.amdhsa_exception_fp_ieee_inexact 0
		.amdhsa_exception_int_div_zero 0
	.end_amdhsa_kernel
	.section	.text._ZN7rocprim17ROCPRIM_400000_NS6detail17trampoline_kernelINS0_14default_configENS1_25partition_config_selectorILNS1_17partition_subalgoE9EllbEEZZNS1_14partition_implILS5_9ELb0ES3_jPlS8_PNS0_10empty_typeENS0_5tupleIJS8_S9_EEENSB_IJS8_SA_EEENS0_18inequality_wrapperIZN2at6native12_GLOBAL__N_124unique_dim_cuda_templateItEESt5tupleIJNSF_6TensorESK_SK_EERKSK_lbbbEUlllE0_EEPmJS9_EEE10hipError_tPvRmT3_T4_T5_T6_T7_T9_mT8_P12ihipStream_tbDpT10_ENKUlT_T0_E_clISt17integral_constantIbLb1EES1A_EEDaS15_S16_EUlS15_E_NS1_11comp_targetILNS1_3genE9ELNS1_11target_archE1100ELNS1_3gpuE3ELNS1_3repE0EEENS1_30default_config_static_selectorELNS0_4arch9wavefront6targetE0EEEvT1_,"axG",@progbits,_ZN7rocprim17ROCPRIM_400000_NS6detail17trampoline_kernelINS0_14default_configENS1_25partition_config_selectorILNS1_17partition_subalgoE9EllbEEZZNS1_14partition_implILS5_9ELb0ES3_jPlS8_PNS0_10empty_typeENS0_5tupleIJS8_S9_EEENSB_IJS8_SA_EEENS0_18inequality_wrapperIZN2at6native12_GLOBAL__N_124unique_dim_cuda_templateItEESt5tupleIJNSF_6TensorESK_SK_EERKSK_lbbbEUlllE0_EEPmJS9_EEE10hipError_tPvRmT3_T4_T5_T6_T7_T9_mT8_P12ihipStream_tbDpT10_ENKUlT_T0_E_clISt17integral_constantIbLb1EES1A_EEDaS15_S16_EUlS15_E_NS1_11comp_targetILNS1_3genE9ELNS1_11target_archE1100ELNS1_3gpuE3ELNS1_3repE0EEENS1_30default_config_static_selectorELNS0_4arch9wavefront6targetE0EEEvT1_,comdat
.Lfunc_end1463:
	.size	_ZN7rocprim17ROCPRIM_400000_NS6detail17trampoline_kernelINS0_14default_configENS1_25partition_config_selectorILNS1_17partition_subalgoE9EllbEEZZNS1_14partition_implILS5_9ELb0ES3_jPlS8_PNS0_10empty_typeENS0_5tupleIJS8_S9_EEENSB_IJS8_SA_EEENS0_18inequality_wrapperIZN2at6native12_GLOBAL__N_124unique_dim_cuda_templateItEESt5tupleIJNSF_6TensorESK_SK_EERKSK_lbbbEUlllE0_EEPmJS9_EEE10hipError_tPvRmT3_T4_T5_T6_T7_T9_mT8_P12ihipStream_tbDpT10_ENKUlT_T0_E_clISt17integral_constantIbLb1EES1A_EEDaS15_S16_EUlS15_E_NS1_11comp_targetILNS1_3genE9ELNS1_11target_archE1100ELNS1_3gpuE3ELNS1_3repE0EEENS1_30default_config_static_selectorELNS0_4arch9wavefront6targetE0EEEvT1_, .Lfunc_end1463-_ZN7rocprim17ROCPRIM_400000_NS6detail17trampoline_kernelINS0_14default_configENS1_25partition_config_selectorILNS1_17partition_subalgoE9EllbEEZZNS1_14partition_implILS5_9ELb0ES3_jPlS8_PNS0_10empty_typeENS0_5tupleIJS8_S9_EEENSB_IJS8_SA_EEENS0_18inequality_wrapperIZN2at6native12_GLOBAL__N_124unique_dim_cuda_templateItEESt5tupleIJNSF_6TensorESK_SK_EERKSK_lbbbEUlllE0_EEPmJS9_EEE10hipError_tPvRmT3_T4_T5_T6_T7_T9_mT8_P12ihipStream_tbDpT10_ENKUlT_T0_E_clISt17integral_constantIbLb1EES1A_EEDaS15_S16_EUlS15_E_NS1_11comp_targetILNS1_3genE9ELNS1_11target_archE1100ELNS1_3gpuE3ELNS1_3repE0EEENS1_30default_config_static_selectorELNS0_4arch9wavefront6targetE0EEEvT1_
                                        ; -- End function
	.section	.AMDGPU.csdata,"",@progbits
; Kernel info:
; codeLenInByte = 20732
; NumSgprs: 42
; NumVgprs: 68
; ScratchSize: 0
; MemoryBound: 0
; FloatMode: 240
; IeeeMode: 1
; LDSByteSize: 33804 bytes/workgroup (compile time only)
; SGPRBlocks: 5
; VGPRBlocks: 8
; NumSGPRsForWavesPerEU: 42
; NumVGPRsForWavesPerEU: 68
; Occupancy: 12
; WaveLimiterHint : 1
; COMPUTE_PGM_RSRC2:SCRATCH_EN: 0
; COMPUTE_PGM_RSRC2:USER_SGPR: 15
; COMPUTE_PGM_RSRC2:TRAP_HANDLER: 0
; COMPUTE_PGM_RSRC2:TGID_X_EN: 1
; COMPUTE_PGM_RSRC2:TGID_Y_EN: 0
; COMPUTE_PGM_RSRC2:TGID_Z_EN: 0
; COMPUTE_PGM_RSRC2:TIDIG_COMP_CNT: 0
	.section	.text._ZN7rocprim17ROCPRIM_400000_NS6detail17trampoline_kernelINS0_14default_configENS1_25partition_config_selectorILNS1_17partition_subalgoE9EllbEEZZNS1_14partition_implILS5_9ELb0ES3_jPlS8_PNS0_10empty_typeENS0_5tupleIJS8_S9_EEENSB_IJS8_SA_EEENS0_18inequality_wrapperIZN2at6native12_GLOBAL__N_124unique_dim_cuda_templateItEESt5tupleIJNSF_6TensorESK_SK_EERKSK_lbbbEUlllE0_EEPmJS9_EEE10hipError_tPvRmT3_T4_T5_T6_T7_T9_mT8_P12ihipStream_tbDpT10_ENKUlT_T0_E_clISt17integral_constantIbLb1EES1A_EEDaS15_S16_EUlS15_E_NS1_11comp_targetILNS1_3genE8ELNS1_11target_archE1030ELNS1_3gpuE2ELNS1_3repE0EEENS1_30default_config_static_selectorELNS0_4arch9wavefront6targetE0EEEvT1_,"axG",@progbits,_ZN7rocprim17ROCPRIM_400000_NS6detail17trampoline_kernelINS0_14default_configENS1_25partition_config_selectorILNS1_17partition_subalgoE9EllbEEZZNS1_14partition_implILS5_9ELb0ES3_jPlS8_PNS0_10empty_typeENS0_5tupleIJS8_S9_EEENSB_IJS8_SA_EEENS0_18inequality_wrapperIZN2at6native12_GLOBAL__N_124unique_dim_cuda_templateItEESt5tupleIJNSF_6TensorESK_SK_EERKSK_lbbbEUlllE0_EEPmJS9_EEE10hipError_tPvRmT3_T4_T5_T6_T7_T9_mT8_P12ihipStream_tbDpT10_ENKUlT_T0_E_clISt17integral_constantIbLb1EES1A_EEDaS15_S16_EUlS15_E_NS1_11comp_targetILNS1_3genE8ELNS1_11target_archE1030ELNS1_3gpuE2ELNS1_3repE0EEENS1_30default_config_static_selectorELNS0_4arch9wavefront6targetE0EEEvT1_,comdat
	.globl	_ZN7rocprim17ROCPRIM_400000_NS6detail17trampoline_kernelINS0_14default_configENS1_25partition_config_selectorILNS1_17partition_subalgoE9EllbEEZZNS1_14partition_implILS5_9ELb0ES3_jPlS8_PNS0_10empty_typeENS0_5tupleIJS8_S9_EEENSB_IJS8_SA_EEENS0_18inequality_wrapperIZN2at6native12_GLOBAL__N_124unique_dim_cuda_templateItEESt5tupleIJNSF_6TensorESK_SK_EERKSK_lbbbEUlllE0_EEPmJS9_EEE10hipError_tPvRmT3_T4_T5_T6_T7_T9_mT8_P12ihipStream_tbDpT10_ENKUlT_T0_E_clISt17integral_constantIbLb1EES1A_EEDaS15_S16_EUlS15_E_NS1_11comp_targetILNS1_3genE8ELNS1_11target_archE1030ELNS1_3gpuE2ELNS1_3repE0EEENS1_30default_config_static_selectorELNS0_4arch9wavefront6targetE0EEEvT1_ ; -- Begin function _ZN7rocprim17ROCPRIM_400000_NS6detail17trampoline_kernelINS0_14default_configENS1_25partition_config_selectorILNS1_17partition_subalgoE9EllbEEZZNS1_14partition_implILS5_9ELb0ES3_jPlS8_PNS0_10empty_typeENS0_5tupleIJS8_S9_EEENSB_IJS8_SA_EEENS0_18inequality_wrapperIZN2at6native12_GLOBAL__N_124unique_dim_cuda_templateItEESt5tupleIJNSF_6TensorESK_SK_EERKSK_lbbbEUlllE0_EEPmJS9_EEE10hipError_tPvRmT3_T4_T5_T6_T7_T9_mT8_P12ihipStream_tbDpT10_ENKUlT_T0_E_clISt17integral_constantIbLb1EES1A_EEDaS15_S16_EUlS15_E_NS1_11comp_targetILNS1_3genE8ELNS1_11target_archE1030ELNS1_3gpuE2ELNS1_3repE0EEENS1_30default_config_static_selectorELNS0_4arch9wavefront6targetE0EEEvT1_
	.p2align	8
	.type	_ZN7rocprim17ROCPRIM_400000_NS6detail17trampoline_kernelINS0_14default_configENS1_25partition_config_selectorILNS1_17partition_subalgoE9EllbEEZZNS1_14partition_implILS5_9ELb0ES3_jPlS8_PNS0_10empty_typeENS0_5tupleIJS8_S9_EEENSB_IJS8_SA_EEENS0_18inequality_wrapperIZN2at6native12_GLOBAL__N_124unique_dim_cuda_templateItEESt5tupleIJNSF_6TensorESK_SK_EERKSK_lbbbEUlllE0_EEPmJS9_EEE10hipError_tPvRmT3_T4_T5_T6_T7_T9_mT8_P12ihipStream_tbDpT10_ENKUlT_T0_E_clISt17integral_constantIbLb1EES1A_EEDaS15_S16_EUlS15_E_NS1_11comp_targetILNS1_3genE8ELNS1_11target_archE1030ELNS1_3gpuE2ELNS1_3repE0EEENS1_30default_config_static_selectorELNS0_4arch9wavefront6targetE0EEEvT1_,@function
_ZN7rocprim17ROCPRIM_400000_NS6detail17trampoline_kernelINS0_14default_configENS1_25partition_config_selectorILNS1_17partition_subalgoE9EllbEEZZNS1_14partition_implILS5_9ELb0ES3_jPlS8_PNS0_10empty_typeENS0_5tupleIJS8_S9_EEENSB_IJS8_SA_EEENS0_18inequality_wrapperIZN2at6native12_GLOBAL__N_124unique_dim_cuda_templateItEESt5tupleIJNSF_6TensorESK_SK_EERKSK_lbbbEUlllE0_EEPmJS9_EEE10hipError_tPvRmT3_T4_T5_T6_T7_T9_mT8_P12ihipStream_tbDpT10_ENKUlT_T0_E_clISt17integral_constantIbLb1EES1A_EEDaS15_S16_EUlS15_E_NS1_11comp_targetILNS1_3genE8ELNS1_11target_archE1030ELNS1_3gpuE2ELNS1_3repE0EEENS1_30default_config_static_selectorELNS0_4arch9wavefront6targetE0EEEvT1_: ; @_ZN7rocprim17ROCPRIM_400000_NS6detail17trampoline_kernelINS0_14default_configENS1_25partition_config_selectorILNS1_17partition_subalgoE9EllbEEZZNS1_14partition_implILS5_9ELb0ES3_jPlS8_PNS0_10empty_typeENS0_5tupleIJS8_S9_EEENSB_IJS8_SA_EEENS0_18inequality_wrapperIZN2at6native12_GLOBAL__N_124unique_dim_cuda_templateItEESt5tupleIJNSF_6TensorESK_SK_EERKSK_lbbbEUlllE0_EEPmJS9_EEE10hipError_tPvRmT3_T4_T5_T6_T7_T9_mT8_P12ihipStream_tbDpT10_ENKUlT_T0_E_clISt17integral_constantIbLb1EES1A_EEDaS15_S16_EUlS15_E_NS1_11comp_targetILNS1_3genE8ELNS1_11target_archE1030ELNS1_3gpuE2ELNS1_3repE0EEENS1_30default_config_static_selectorELNS0_4arch9wavefront6targetE0EEEvT1_
; %bb.0:
	.section	.rodata,"a",@progbits
	.p2align	6, 0x0
	.amdhsa_kernel _ZN7rocprim17ROCPRIM_400000_NS6detail17trampoline_kernelINS0_14default_configENS1_25partition_config_selectorILNS1_17partition_subalgoE9EllbEEZZNS1_14partition_implILS5_9ELb0ES3_jPlS8_PNS0_10empty_typeENS0_5tupleIJS8_S9_EEENSB_IJS8_SA_EEENS0_18inequality_wrapperIZN2at6native12_GLOBAL__N_124unique_dim_cuda_templateItEESt5tupleIJNSF_6TensorESK_SK_EERKSK_lbbbEUlllE0_EEPmJS9_EEE10hipError_tPvRmT3_T4_T5_T6_T7_T9_mT8_P12ihipStream_tbDpT10_ENKUlT_T0_E_clISt17integral_constantIbLb1EES1A_EEDaS15_S16_EUlS15_E_NS1_11comp_targetILNS1_3genE8ELNS1_11target_archE1030ELNS1_3gpuE2ELNS1_3repE0EEENS1_30default_config_static_selectorELNS0_4arch9wavefront6targetE0EEEvT1_
		.amdhsa_group_segment_fixed_size 0
		.amdhsa_private_segment_fixed_size 0
		.amdhsa_kernarg_size 136
		.amdhsa_user_sgpr_count 15
		.amdhsa_user_sgpr_dispatch_ptr 0
		.amdhsa_user_sgpr_queue_ptr 0
		.amdhsa_user_sgpr_kernarg_segment_ptr 1
		.amdhsa_user_sgpr_dispatch_id 0
		.amdhsa_user_sgpr_private_segment_size 0
		.amdhsa_wavefront_size32 1
		.amdhsa_uses_dynamic_stack 0
		.amdhsa_enable_private_segment 0
		.amdhsa_system_sgpr_workgroup_id_x 1
		.amdhsa_system_sgpr_workgroup_id_y 0
		.amdhsa_system_sgpr_workgroup_id_z 0
		.amdhsa_system_sgpr_workgroup_info 0
		.amdhsa_system_vgpr_workitem_id 0
		.amdhsa_next_free_vgpr 1
		.amdhsa_next_free_sgpr 1
		.amdhsa_reserve_vcc 0
		.amdhsa_float_round_mode_32 0
		.amdhsa_float_round_mode_16_64 0
		.amdhsa_float_denorm_mode_32 3
		.amdhsa_float_denorm_mode_16_64 3
		.amdhsa_dx10_clamp 1
		.amdhsa_ieee_mode 1
		.amdhsa_fp16_overflow 0
		.amdhsa_workgroup_processor_mode 1
		.amdhsa_memory_ordered 1
		.amdhsa_forward_progress 0
		.amdhsa_shared_vgpr_count 0
		.amdhsa_exception_fp_ieee_invalid_op 0
		.amdhsa_exception_fp_denorm_src 0
		.amdhsa_exception_fp_ieee_div_zero 0
		.amdhsa_exception_fp_ieee_overflow 0
		.amdhsa_exception_fp_ieee_underflow 0
		.amdhsa_exception_fp_ieee_inexact 0
		.amdhsa_exception_int_div_zero 0
	.end_amdhsa_kernel
	.section	.text._ZN7rocprim17ROCPRIM_400000_NS6detail17trampoline_kernelINS0_14default_configENS1_25partition_config_selectorILNS1_17partition_subalgoE9EllbEEZZNS1_14partition_implILS5_9ELb0ES3_jPlS8_PNS0_10empty_typeENS0_5tupleIJS8_S9_EEENSB_IJS8_SA_EEENS0_18inequality_wrapperIZN2at6native12_GLOBAL__N_124unique_dim_cuda_templateItEESt5tupleIJNSF_6TensorESK_SK_EERKSK_lbbbEUlllE0_EEPmJS9_EEE10hipError_tPvRmT3_T4_T5_T6_T7_T9_mT8_P12ihipStream_tbDpT10_ENKUlT_T0_E_clISt17integral_constantIbLb1EES1A_EEDaS15_S16_EUlS15_E_NS1_11comp_targetILNS1_3genE8ELNS1_11target_archE1030ELNS1_3gpuE2ELNS1_3repE0EEENS1_30default_config_static_selectorELNS0_4arch9wavefront6targetE0EEEvT1_,"axG",@progbits,_ZN7rocprim17ROCPRIM_400000_NS6detail17trampoline_kernelINS0_14default_configENS1_25partition_config_selectorILNS1_17partition_subalgoE9EllbEEZZNS1_14partition_implILS5_9ELb0ES3_jPlS8_PNS0_10empty_typeENS0_5tupleIJS8_S9_EEENSB_IJS8_SA_EEENS0_18inequality_wrapperIZN2at6native12_GLOBAL__N_124unique_dim_cuda_templateItEESt5tupleIJNSF_6TensorESK_SK_EERKSK_lbbbEUlllE0_EEPmJS9_EEE10hipError_tPvRmT3_T4_T5_T6_T7_T9_mT8_P12ihipStream_tbDpT10_ENKUlT_T0_E_clISt17integral_constantIbLb1EES1A_EEDaS15_S16_EUlS15_E_NS1_11comp_targetILNS1_3genE8ELNS1_11target_archE1030ELNS1_3gpuE2ELNS1_3repE0EEENS1_30default_config_static_selectorELNS0_4arch9wavefront6targetE0EEEvT1_,comdat
.Lfunc_end1464:
	.size	_ZN7rocprim17ROCPRIM_400000_NS6detail17trampoline_kernelINS0_14default_configENS1_25partition_config_selectorILNS1_17partition_subalgoE9EllbEEZZNS1_14partition_implILS5_9ELb0ES3_jPlS8_PNS0_10empty_typeENS0_5tupleIJS8_S9_EEENSB_IJS8_SA_EEENS0_18inequality_wrapperIZN2at6native12_GLOBAL__N_124unique_dim_cuda_templateItEESt5tupleIJNSF_6TensorESK_SK_EERKSK_lbbbEUlllE0_EEPmJS9_EEE10hipError_tPvRmT3_T4_T5_T6_T7_T9_mT8_P12ihipStream_tbDpT10_ENKUlT_T0_E_clISt17integral_constantIbLb1EES1A_EEDaS15_S16_EUlS15_E_NS1_11comp_targetILNS1_3genE8ELNS1_11target_archE1030ELNS1_3gpuE2ELNS1_3repE0EEENS1_30default_config_static_selectorELNS0_4arch9wavefront6targetE0EEEvT1_, .Lfunc_end1464-_ZN7rocprim17ROCPRIM_400000_NS6detail17trampoline_kernelINS0_14default_configENS1_25partition_config_selectorILNS1_17partition_subalgoE9EllbEEZZNS1_14partition_implILS5_9ELb0ES3_jPlS8_PNS0_10empty_typeENS0_5tupleIJS8_S9_EEENSB_IJS8_SA_EEENS0_18inequality_wrapperIZN2at6native12_GLOBAL__N_124unique_dim_cuda_templateItEESt5tupleIJNSF_6TensorESK_SK_EERKSK_lbbbEUlllE0_EEPmJS9_EEE10hipError_tPvRmT3_T4_T5_T6_T7_T9_mT8_P12ihipStream_tbDpT10_ENKUlT_T0_E_clISt17integral_constantIbLb1EES1A_EEDaS15_S16_EUlS15_E_NS1_11comp_targetILNS1_3genE8ELNS1_11target_archE1030ELNS1_3gpuE2ELNS1_3repE0EEENS1_30default_config_static_selectorELNS0_4arch9wavefront6targetE0EEEvT1_
                                        ; -- End function
	.section	.AMDGPU.csdata,"",@progbits
; Kernel info:
; codeLenInByte = 0
; NumSgprs: 0
; NumVgprs: 0
; ScratchSize: 0
; MemoryBound: 0
; FloatMode: 240
; IeeeMode: 1
; LDSByteSize: 0 bytes/workgroup (compile time only)
; SGPRBlocks: 0
; VGPRBlocks: 0
; NumSGPRsForWavesPerEU: 1
; NumVGPRsForWavesPerEU: 1
; Occupancy: 16
; WaveLimiterHint : 0
; COMPUTE_PGM_RSRC2:SCRATCH_EN: 0
; COMPUTE_PGM_RSRC2:USER_SGPR: 15
; COMPUTE_PGM_RSRC2:TRAP_HANDLER: 0
; COMPUTE_PGM_RSRC2:TGID_X_EN: 1
; COMPUTE_PGM_RSRC2:TGID_Y_EN: 0
; COMPUTE_PGM_RSRC2:TGID_Z_EN: 0
; COMPUTE_PGM_RSRC2:TIDIG_COMP_CNT: 0
	.section	.text._ZN7rocprim17ROCPRIM_400000_NS6detail17trampoline_kernelINS0_14default_configENS1_25partition_config_selectorILNS1_17partition_subalgoE9EllbEEZZNS1_14partition_implILS5_9ELb0ES3_jPlS8_PNS0_10empty_typeENS0_5tupleIJS8_S9_EEENSB_IJS8_SA_EEENS0_18inequality_wrapperIZN2at6native12_GLOBAL__N_124unique_dim_cuda_templateItEESt5tupleIJNSF_6TensorESK_SK_EERKSK_lbbbEUlllE0_EEPmJS9_EEE10hipError_tPvRmT3_T4_T5_T6_T7_T9_mT8_P12ihipStream_tbDpT10_ENKUlT_T0_E_clISt17integral_constantIbLb1EES19_IbLb0EEEEDaS15_S16_EUlS15_E_NS1_11comp_targetILNS1_3genE0ELNS1_11target_archE4294967295ELNS1_3gpuE0ELNS1_3repE0EEENS1_30default_config_static_selectorELNS0_4arch9wavefront6targetE0EEEvT1_,"axG",@progbits,_ZN7rocprim17ROCPRIM_400000_NS6detail17trampoline_kernelINS0_14default_configENS1_25partition_config_selectorILNS1_17partition_subalgoE9EllbEEZZNS1_14partition_implILS5_9ELb0ES3_jPlS8_PNS0_10empty_typeENS0_5tupleIJS8_S9_EEENSB_IJS8_SA_EEENS0_18inequality_wrapperIZN2at6native12_GLOBAL__N_124unique_dim_cuda_templateItEESt5tupleIJNSF_6TensorESK_SK_EERKSK_lbbbEUlllE0_EEPmJS9_EEE10hipError_tPvRmT3_T4_T5_T6_T7_T9_mT8_P12ihipStream_tbDpT10_ENKUlT_T0_E_clISt17integral_constantIbLb1EES19_IbLb0EEEEDaS15_S16_EUlS15_E_NS1_11comp_targetILNS1_3genE0ELNS1_11target_archE4294967295ELNS1_3gpuE0ELNS1_3repE0EEENS1_30default_config_static_selectorELNS0_4arch9wavefront6targetE0EEEvT1_,comdat
	.globl	_ZN7rocprim17ROCPRIM_400000_NS6detail17trampoline_kernelINS0_14default_configENS1_25partition_config_selectorILNS1_17partition_subalgoE9EllbEEZZNS1_14partition_implILS5_9ELb0ES3_jPlS8_PNS0_10empty_typeENS0_5tupleIJS8_S9_EEENSB_IJS8_SA_EEENS0_18inequality_wrapperIZN2at6native12_GLOBAL__N_124unique_dim_cuda_templateItEESt5tupleIJNSF_6TensorESK_SK_EERKSK_lbbbEUlllE0_EEPmJS9_EEE10hipError_tPvRmT3_T4_T5_T6_T7_T9_mT8_P12ihipStream_tbDpT10_ENKUlT_T0_E_clISt17integral_constantIbLb1EES19_IbLb0EEEEDaS15_S16_EUlS15_E_NS1_11comp_targetILNS1_3genE0ELNS1_11target_archE4294967295ELNS1_3gpuE0ELNS1_3repE0EEENS1_30default_config_static_selectorELNS0_4arch9wavefront6targetE0EEEvT1_ ; -- Begin function _ZN7rocprim17ROCPRIM_400000_NS6detail17trampoline_kernelINS0_14default_configENS1_25partition_config_selectorILNS1_17partition_subalgoE9EllbEEZZNS1_14partition_implILS5_9ELb0ES3_jPlS8_PNS0_10empty_typeENS0_5tupleIJS8_S9_EEENSB_IJS8_SA_EEENS0_18inequality_wrapperIZN2at6native12_GLOBAL__N_124unique_dim_cuda_templateItEESt5tupleIJNSF_6TensorESK_SK_EERKSK_lbbbEUlllE0_EEPmJS9_EEE10hipError_tPvRmT3_T4_T5_T6_T7_T9_mT8_P12ihipStream_tbDpT10_ENKUlT_T0_E_clISt17integral_constantIbLb1EES19_IbLb0EEEEDaS15_S16_EUlS15_E_NS1_11comp_targetILNS1_3genE0ELNS1_11target_archE4294967295ELNS1_3gpuE0ELNS1_3repE0EEENS1_30default_config_static_selectorELNS0_4arch9wavefront6targetE0EEEvT1_
	.p2align	8
	.type	_ZN7rocprim17ROCPRIM_400000_NS6detail17trampoline_kernelINS0_14default_configENS1_25partition_config_selectorILNS1_17partition_subalgoE9EllbEEZZNS1_14partition_implILS5_9ELb0ES3_jPlS8_PNS0_10empty_typeENS0_5tupleIJS8_S9_EEENSB_IJS8_SA_EEENS0_18inequality_wrapperIZN2at6native12_GLOBAL__N_124unique_dim_cuda_templateItEESt5tupleIJNSF_6TensorESK_SK_EERKSK_lbbbEUlllE0_EEPmJS9_EEE10hipError_tPvRmT3_T4_T5_T6_T7_T9_mT8_P12ihipStream_tbDpT10_ENKUlT_T0_E_clISt17integral_constantIbLb1EES19_IbLb0EEEEDaS15_S16_EUlS15_E_NS1_11comp_targetILNS1_3genE0ELNS1_11target_archE4294967295ELNS1_3gpuE0ELNS1_3repE0EEENS1_30default_config_static_selectorELNS0_4arch9wavefront6targetE0EEEvT1_,@function
_ZN7rocprim17ROCPRIM_400000_NS6detail17trampoline_kernelINS0_14default_configENS1_25partition_config_selectorILNS1_17partition_subalgoE9EllbEEZZNS1_14partition_implILS5_9ELb0ES3_jPlS8_PNS0_10empty_typeENS0_5tupleIJS8_S9_EEENSB_IJS8_SA_EEENS0_18inequality_wrapperIZN2at6native12_GLOBAL__N_124unique_dim_cuda_templateItEESt5tupleIJNSF_6TensorESK_SK_EERKSK_lbbbEUlllE0_EEPmJS9_EEE10hipError_tPvRmT3_T4_T5_T6_T7_T9_mT8_P12ihipStream_tbDpT10_ENKUlT_T0_E_clISt17integral_constantIbLb1EES19_IbLb0EEEEDaS15_S16_EUlS15_E_NS1_11comp_targetILNS1_3genE0ELNS1_11target_archE4294967295ELNS1_3gpuE0ELNS1_3repE0EEENS1_30default_config_static_selectorELNS0_4arch9wavefront6targetE0EEEvT1_: ; @_ZN7rocprim17ROCPRIM_400000_NS6detail17trampoline_kernelINS0_14default_configENS1_25partition_config_selectorILNS1_17partition_subalgoE9EllbEEZZNS1_14partition_implILS5_9ELb0ES3_jPlS8_PNS0_10empty_typeENS0_5tupleIJS8_S9_EEENSB_IJS8_SA_EEENS0_18inequality_wrapperIZN2at6native12_GLOBAL__N_124unique_dim_cuda_templateItEESt5tupleIJNSF_6TensorESK_SK_EERKSK_lbbbEUlllE0_EEPmJS9_EEE10hipError_tPvRmT3_T4_T5_T6_T7_T9_mT8_P12ihipStream_tbDpT10_ENKUlT_T0_E_clISt17integral_constantIbLb1EES19_IbLb0EEEEDaS15_S16_EUlS15_E_NS1_11comp_targetILNS1_3genE0ELNS1_11target_archE4294967295ELNS1_3gpuE0ELNS1_3repE0EEENS1_30default_config_static_selectorELNS0_4arch9wavefront6targetE0EEEvT1_
; %bb.0:
	.section	.rodata,"a",@progbits
	.p2align	6, 0x0
	.amdhsa_kernel _ZN7rocprim17ROCPRIM_400000_NS6detail17trampoline_kernelINS0_14default_configENS1_25partition_config_selectorILNS1_17partition_subalgoE9EllbEEZZNS1_14partition_implILS5_9ELb0ES3_jPlS8_PNS0_10empty_typeENS0_5tupleIJS8_S9_EEENSB_IJS8_SA_EEENS0_18inequality_wrapperIZN2at6native12_GLOBAL__N_124unique_dim_cuda_templateItEESt5tupleIJNSF_6TensorESK_SK_EERKSK_lbbbEUlllE0_EEPmJS9_EEE10hipError_tPvRmT3_T4_T5_T6_T7_T9_mT8_P12ihipStream_tbDpT10_ENKUlT_T0_E_clISt17integral_constantIbLb1EES19_IbLb0EEEEDaS15_S16_EUlS15_E_NS1_11comp_targetILNS1_3genE0ELNS1_11target_archE4294967295ELNS1_3gpuE0ELNS1_3repE0EEENS1_30default_config_static_selectorELNS0_4arch9wavefront6targetE0EEEvT1_
		.amdhsa_group_segment_fixed_size 0
		.amdhsa_private_segment_fixed_size 0
		.amdhsa_kernarg_size 120
		.amdhsa_user_sgpr_count 15
		.amdhsa_user_sgpr_dispatch_ptr 0
		.amdhsa_user_sgpr_queue_ptr 0
		.amdhsa_user_sgpr_kernarg_segment_ptr 1
		.amdhsa_user_sgpr_dispatch_id 0
		.amdhsa_user_sgpr_private_segment_size 0
		.amdhsa_wavefront_size32 1
		.amdhsa_uses_dynamic_stack 0
		.amdhsa_enable_private_segment 0
		.amdhsa_system_sgpr_workgroup_id_x 1
		.amdhsa_system_sgpr_workgroup_id_y 0
		.amdhsa_system_sgpr_workgroup_id_z 0
		.amdhsa_system_sgpr_workgroup_info 0
		.amdhsa_system_vgpr_workitem_id 0
		.amdhsa_next_free_vgpr 1
		.amdhsa_next_free_sgpr 1
		.amdhsa_reserve_vcc 0
		.amdhsa_float_round_mode_32 0
		.amdhsa_float_round_mode_16_64 0
		.amdhsa_float_denorm_mode_32 3
		.amdhsa_float_denorm_mode_16_64 3
		.amdhsa_dx10_clamp 1
		.amdhsa_ieee_mode 1
		.amdhsa_fp16_overflow 0
		.amdhsa_workgroup_processor_mode 1
		.amdhsa_memory_ordered 1
		.amdhsa_forward_progress 0
		.amdhsa_shared_vgpr_count 0
		.amdhsa_exception_fp_ieee_invalid_op 0
		.amdhsa_exception_fp_denorm_src 0
		.amdhsa_exception_fp_ieee_div_zero 0
		.amdhsa_exception_fp_ieee_overflow 0
		.amdhsa_exception_fp_ieee_underflow 0
		.amdhsa_exception_fp_ieee_inexact 0
		.amdhsa_exception_int_div_zero 0
	.end_amdhsa_kernel
	.section	.text._ZN7rocprim17ROCPRIM_400000_NS6detail17trampoline_kernelINS0_14default_configENS1_25partition_config_selectorILNS1_17partition_subalgoE9EllbEEZZNS1_14partition_implILS5_9ELb0ES3_jPlS8_PNS0_10empty_typeENS0_5tupleIJS8_S9_EEENSB_IJS8_SA_EEENS0_18inequality_wrapperIZN2at6native12_GLOBAL__N_124unique_dim_cuda_templateItEESt5tupleIJNSF_6TensorESK_SK_EERKSK_lbbbEUlllE0_EEPmJS9_EEE10hipError_tPvRmT3_T4_T5_T6_T7_T9_mT8_P12ihipStream_tbDpT10_ENKUlT_T0_E_clISt17integral_constantIbLb1EES19_IbLb0EEEEDaS15_S16_EUlS15_E_NS1_11comp_targetILNS1_3genE0ELNS1_11target_archE4294967295ELNS1_3gpuE0ELNS1_3repE0EEENS1_30default_config_static_selectorELNS0_4arch9wavefront6targetE0EEEvT1_,"axG",@progbits,_ZN7rocprim17ROCPRIM_400000_NS6detail17trampoline_kernelINS0_14default_configENS1_25partition_config_selectorILNS1_17partition_subalgoE9EllbEEZZNS1_14partition_implILS5_9ELb0ES3_jPlS8_PNS0_10empty_typeENS0_5tupleIJS8_S9_EEENSB_IJS8_SA_EEENS0_18inequality_wrapperIZN2at6native12_GLOBAL__N_124unique_dim_cuda_templateItEESt5tupleIJNSF_6TensorESK_SK_EERKSK_lbbbEUlllE0_EEPmJS9_EEE10hipError_tPvRmT3_T4_T5_T6_T7_T9_mT8_P12ihipStream_tbDpT10_ENKUlT_T0_E_clISt17integral_constantIbLb1EES19_IbLb0EEEEDaS15_S16_EUlS15_E_NS1_11comp_targetILNS1_3genE0ELNS1_11target_archE4294967295ELNS1_3gpuE0ELNS1_3repE0EEENS1_30default_config_static_selectorELNS0_4arch9wavefront6targetE0EEEvT1_,comdat
.Lfunc_end1465:
	.size	_ZN7rocprim17ROCPRIM_400000_NS6detail17trampoline_kernelINS0_14default_configENS1_25partition_config_selectorILNS1_17partition_subalgoE9EllbEEZZNS1_14partition_implILS5_9ELb0ES3_jPlS8_PNS0_10empty_typeENS0_5tupleIJS8_S9_EEENSB_IJS8_SA_EEENS0_18inequality_wrapperIZN2at6native12_GLOBAL__N_124unique_dim_cuda_templateItEESt5tupleIJNSF_6TensorESK_SK_EERKSK_lbbbEUlllE0_EEPmJS9_EEE10hipError_tPvRmT3_T4_T5_T6_T7_T9_mT8_P12ihipStream_tbDpT10_ENKUlT_T0_E_clISt17integral_constantIbLb1EES19_IbLb0EEEEDaS15_S16_EUlS15_E_NS1_11comp_targetILNS1_3genE0ELNS1_11target_archE4294967295ELNS1_3gpuE0ELNS1_3repE0EEENS1_30default_config_static_selectorELNS0_4arch9wavefront6targetE0EEEvT1_, .Lfunc_end1465-_ZN7rocprim17ROCPRIM_400000_NS6detail17trampoline_kernelINS0_14default_configENS1_25partition_config_selectorILNS1_17partition_subalgoE9EllbEEZZNS1_14partition_implILS5_9ELb0ES3_jPlS8_PNS0_10empty_typeENS0_5tupleIJS8_S9_EEENSB_IJS8_SA_EEENS0_18inequality_wrapperIZN2at6native12_GLOBAL__N_124unique_dim_cuda_templateItEESt5tupleIJNSF_6TensorESK_SK_EERKSK_lbbbEUlllE0_EEPmJS9_EEE10hipError_tPvRmT3_T4_T5_T6_T7_T9_mT8_P12ihipStream_tbDpT10_ENKUlT_T0_E_clISt17integral_constantIbLb1EES19_IbLb0EEEEDaS15_S16_EUlS15_E_NS1_11comp_targetILNS1_3genE0ELNS1_11target_archE4294967295ELNS1_3gpuE0ELNS1_3repE0EEENS1_30default_config_static_selectorELNS0_4arch9wavefront6targetE0EEEvT1_
                                        ; -- End function
	.section	.AMDGPU.csdata,"",@progbits
; Kernel info:
; codeLenInByte = 0
; NumSgprs: 0
; NumVgprs: 0
; ScratchSize: 0
; MemoryBound: 0
; FloatMode: 240
; IeeeMode: 1
; LDSByteSize: 0 bytes/workgroup (compile time only)
; SGPRBlocks: 0
; VGPRBlocks: 0
; NumSGPRsForWavesPerEU: 1
; NumVGPRsForWavesPerEU: 1
; Occupancy: 16
; WaveLimiterHint : 0
; COMPUTE_PGM_RSRC2:SCRATCH_EN: 0
; COMPUTE_PGM_RSRC2:USER_SGPR: 15
; COMPUTE_PGM_RSRC2:TRAP_HANDLER: 0
; COMPUTE_PGM_RSRC2:TGID_X_EN: 1
; COMPUTE_PGM_RSRC2:TGID_Y_EN: 0
; COMPUTE_PGM_RSRC2:TGID_Z_EN: 0
; COMPUTE_PGM_RSRC2:TIDIG_COMP_CNT: 0
	.section	.text._ZN7rocprim17ROCPRIM_400000_NS6detail17trampoline_kernelINS0_14default_configENS1_25partition_config_selectorILNS1_17partition_subalgoE9EllbEEZZNS1_14partition_implILS5_9ELb0ES3_jPlS8_PNS0_10empty_typeENS0_5tupleIJS8_S9_EEENSB_IJS8_SA_EEENS0_18inequality_wrapperIZN2at6native12_GLOBAL__N_124unique_dim_cuda_templateItEESt5tupleIJNSF_6TensorESK_SK_EERKSK_lbbbEUlllE0_EEPmJS9_EEE10hipError_tPvRmT3_T4_T5_T6_T7_T9_mT8_P12ihipStream_tbDpT10_ENKUlT_T0_E_clISt17integral_constantIbLb1EES19_IbLb0EEEEDaS15_S16_EUlS15_E_NS1_11comp_targetILNS1_3genE5ELNS1_11target_archE942ELNS1_3gpuE9ELNS1_3repE0EEENS1_30default_config_static_selectorELNS0_4arch9wavefront6targetE0EEEvT1_,"axG",@progbits,_ZN7rocprim17ROCPRIM_400000_NS6detail17trampoline_kernelINS0_14default_configENS1_25partition_config_selectorILNS1_17partition_subalgoE9EllbEEZZNS1_14partition_implILS5_9ELb0ES3_jPlS8_PNS0_10empty_typeENS0_5tupleIJS8_S9_EEENSB_IJS8_SA_EEENS0_18inequality_wrapperIZN2at6native12_GLOBAL__N_124unique_dim_cuda_templateItEESt5tupleIJNSF_6TensorESK_SK_EERKSK_lbbbEUlllE0_EEPmJS9_EEE10hipError_tPvRmT3_T4_T5_T6_T7_T9_mT8_P12ihipStream_tbDpT10_ENKUlT_T0_E_clISt17integral_constantIbLb1EES19_IbLb0EEEEDaS15_S16_EUlS15_E_NS1_11comp_targetILNS1_3genE5ELNS1_11target_archE942ELNS1_3gpuE9ELNS1_3repE0EEENS1_30default_config_static_selectorELNS0_4arch9wavefront6targetE0EEEvT1_,comdat
	.globl	_ZN7rocprim17ROCPRIM_400000_NS6detail17trampoline_kernelINS0_14default_configENS1_25partition_config_selectorILNS1_17partition_subalgoE9EllbEEZZNS1_14partition_implILS5_9ELb0ES3_jPlS8_PNS0_10empty_typeENS0_5tupleIJS8_S9_EEENSB_IJS8_SA_EEENS0_18inequality_wrapperIZN2at6native12_GLOBAL__N_124unique_dim_cuda_templateItEESt5tupleIJNSF_6TensorESK_SK_EERKSK_lbbbEUlllE0_EEPmJS9_EEE10hipError_tPvRmT3_T4_T5_T6_T7_T9_mT8_P12ihipStream_tbDpT10_ENKUlT_T0_E_clISt17integral_constantIbLb1EES19_IbLb0EEEEDaS15_S16_EUlS15_E_NS1_11comp_targetILNS1_3genE5ELNS1_11target_archE942ELNS1_3gpuE9ELNS1_3repE0EEENS1_30default_config_static_selectorELNS0_4arch9wavefront6targetE0EEEvT1_ ; -- Begin function _ZN7rocprim17ROCPRIM_400000_NS6detail17trampoline_kernelINS0_14default_configENS1_25partition_config_selectorILNS1_17partition_subalgoE9EllbEEZZNS1_14partition_implILS5_9ELb0ES3_jPlS8_PNS0_10empty_typeENS0_5tupleIJS8_S9_EEENSB_IJS8_SA_EEENS0_18inequality_wrapperIZN2at6native12_GLOBAL__N_124unique_dim_cuda_templateItEESt5tupleIJNSF_6TensorESK_SK_EERKSK_lbbbEUlllE0_EEPmJS9_EEE10hipError_tPvRmT3_T4_T5_T6_T7_T9_mT8_P12ihipStream_tbDpT10_ENKUlT_T0_E_clISt17integral_constantIbLb1EES19_IbLb0EEEEDaS15_S16_EUlS15_E_NS1_11comp_targetILNS1_3genE5ELNS1_11target_archE942ELNS1_3gpuE9ELNS1_3repE0EEENS1_30default_config_static_selectorELNS0_4arch9wavefront6targetE0EEEvT1_
	.p2align	8
	.type	_ZN7rocprim17ROCPRIM_400000_NS6detail17trampoline_kernelINS0_14default_configENS1_25partition_config_selectorILNS1_17partition_subalgoE9EllbEEZZNS1_14partition_implILS5_9ELb0ES3_jPlS8_PNS0_10empty_typeENS0_5tupleIJS8_S9_EEENSB_IJS8_SA_EEENS0_18inequality_wrapperIZN2at6native12_GLOBAL__N_124unique_dim_cuda_templateItEESt5tupleIJNSF_6TensorESK_SK_EERKSK_lbbbEUlllE0_EEPmJS9_EEE10hipError_tPvRmT3_T4_T5_T6_T7_T9_mT8_P12ihipStream_tbDpT10_ENKUlT_T0_E_clISt17integral_constantIbLb1EES19_IbLb0EEEEDaS15_S16_EUlS15_E_NS1_11comp_targetILNS1_3genE5ELNS1_11target_archE942ELNS1_3gpuE9ELNS1_3repE0EEENS1_30default_config_static_selectorELNS0_4arch9wavefront6targetE0EEEvT1_,@function
_ZN7rocprim17ROCPRIM_400000_NS6detail17trampoline_kernelINS0_14default_configENS1_25partition_config_selectorILNS1_17partition_subalgoE9EllbEEZZNS1_14partition_implILS5_9ELb0ES3_jPlS8_PNS0_10empty_typeENS0_5tupleIJS8_S9_EEENSB_IJS8_SA_EEENS0_18inequality_wrapperIZN2at6native12_GLOBAL__N_124unique_dim_cuda_templateItEESt5tupleIJNSF_6TensorESK_SK_EERKSK_lbbbEUlllE0_EEPmJS9_EEE10hipError_tPvRmT3_T4_T5_T6_T7_T9_mT8_P12ihipStream_tbDpT10_ENKUlT_T0_E_clISt17integral_constantIbLb1EES19_IbLb0EEEEDaS15_S16_EUlS15_E_NS1_11comp_targetILNS1_3genE5ELNS1_11target_archE942ELNS1_3gpuE9ELNS1_3repE0EEENS1_30default_config_static_selectorELNS0_4arch9wavefront6targetE0EEEvT1_: ; @_ZN7rocprim17ROCPRIM_400000_NS6detail17trampoline_kernelINS0_14default_configENS1_25partition_config_selectorILNS1_17partition_subalgoE9EllbEEZZNS1_14partition_implILS5_9ELb0ES3_jPlS8_PNS0_10empty_typeENS0_5tupleIJS8_S9_EEENSB_IJS8_SA_EEENS0_18inequality_wrapperIZN2at6native12_GLOBAL__N_124unique_dim_cuda_templateItEESt5tupleIJNSF_6TensorESK_SK_EERKSK_lbbbEUlllE0_EEPmJS9_EEE10hipError_tPvRmT3_T4_T5_T6_T7_T9_mT8_P12ihipStream_tbDpT10_ENKUlT_T0_E_clISt17integral_constantIbLb1EES19_IbLb0EEEEDaS15_S16_EUlS15_E_NS1_11comp_targetILNS1_3genE5ELNS1_11target_archE942ELNS1_3gpuE9ELNS1_3repE0EEENS1_30default_config_static_selectorELNS0_4arch9wavefront6targetE0EEEvT1_
; %bb.0:
	.section	.rodata,"a",@progbits
	.p2align	6, 0x0
	.amdhsa_kernel _ZN7rocprim17ROCPRIM_400000_NS6detail17trampoline_kernelINS0_14default_configENS1_25partition_config_selectorILNS1_17partition_subalgoE9EllbEEZZNS1_14partition_implILS5_9ELb0ES3_jPlS8_PNS0_10empty_typeENS0_5tupleIJS8_S9_EEENSB_IJS8_SA_EEENS0_18inequality_wrapperIZN2at6native12_GLOBAL__N_124unique_dim_cuda_templateItEESt5tupleIJNSF_6TensorESK_SK_EERKSK_lbbbEUlllE0_EEPmJS9_EEE10hipError_tPvRmT3_T4_T5_T6_T7_T9_mT8_P12ihipStream_tbDpT10_ENKUlT_T0_E_clISt17integral_constantIbLb1EES19_IbLb0EEEEDaS15_S16_EUlS15_E_NS1_11comp_targetILNS1_3genE5ELNS1_11target_archE942ELNS1_3gpuE9ELNS1_3repE0EEENS1_30default_config_static_selectorELNS0_4arch9wavefront6targetE0EEEvT1_
		.amdhsa_group_segment_fixed_size 0
		.amdhsa_private_segment_fixed_size 0
		.amdhsa_kernarg_size 120
		.amdhsa_user_sgpr_count 15
		.amdhsa_user_sgpr_dispatch_ptr 0
		.amdhsa_user_sgpr_queue_ptr 0
		.amdhsa_user_sgpr_kernarg_segment_ptr 1
		.amdhsa_user_sgpr_dispatch_id 0
		.amdhsa_user_sgpr_private_segment_size 0
		.amdhsa_wavefront_size32 1
		.amdhsa_uses_dynamic_stack 0
		.amdhsa_enable_private_segment 0
		.amdhsa_system_sgpr_workgroup_id_x 1
		.amdhsa_system_sgpr_workgroup_id_y 0
		.amdhsa_system_sgpr_workgroup_id_z 0
		.amdhsa_system_sgpr_workgroup_info 0
		.amdhsa_system_vgpr_workitem_id 0
		.amdhsa_next_free_vgpr 1
		.amdhsa_next_free_sgpr 1
		.amdhsa_reserve_vcc 0
		.amdhsa_float_round_mode_32 0
		.amdhsa_float_round_mode_16_64 0
		.amdhsa_float_denorm_mode_32 3
		.amdhsa_float_denorm_mode_16_64 3
		.amdhsa_dx10_clamp 1
		.amdhsa_ieee_mode 1
		.amdhsa_fp16_overflow 0
		.amdhsa_workgroup_processor_mode 1
		.amdhsa_memory_ordered 1
		.amdhsa_forward_progress 0
		.amdhsa_shared_vgpr_count 0
		.amdhsa_exception_fp_ieee_invalid_op 0
		.amdhsa_exception_fp_denorm_src 0
		.amdhsa_exception_fp_ieee_div_zero 0
		.amdhsa_exception_fp_ieee_overflow 0
		.amdhsa_exception_fp_ieee_underflow 0
		.amdhsa_exception_fp_ieee_inexact 0
		.amdhsa_exception_int_div_zero 0
	.end_amdhsa_kernel
	.section	.text._ZN7rocprim17ROCPRIM_400000_NS6detail17trampoline_kernelINS0_14default_configENS1_25partition_config_selectorILNS1_17partition_subalgoE9EllbEEZZNS1_14partition_implILS5_9ELb0ES3_jPlS8_PNS0_10empty_typeENS0_5tupleIJS8_S9_EEENSB_IJS8_SA_EEENS0_18inequality_wrapperIZN2at6native12_GLOBAL__N_124unique_dim_cuda_templateItEESt5tupleIJNSF_6TensorESK_SK_EERKSK_lbbbEUlllE0_EEPmJS9_EEE10hipError_tPvRmT3_T4_T5_T6_T7_T9_mT8_P12ihipStream_tbDpT10_ENKUlT_T0_E_clISt17integral_constantIbLb1EES19_IbLb0EEEEDaS15_S16_EUlS15_E_NS1_11comp_targetILNS1_3genE5ELNS1_11target_archE942ELNS1_3gpuE9ELNS1_3repE0EEENS1_30default_config_static_selectorELNS0_4arch9wavefront6targetE0EEEvT1_,"axG",@progbits,_ZN7rocprim17ROCPRIM_400000_NS6detail17trampoline_kernelINS0_14default_configENS1_25partition_config_selectorILNS1_17partition_subalgoE9EllbEEZZNS1_14partition_implILS5_9ELb0ES3_jPlS8_PNS0_10empty_typeENS0_5tupleIJS8_S9_EEENSB_IJS8_SA_EEENS0_18inequality_wrapperIZN2at6native12_GLOBAL__N_124unique_dim_cuda_templateItEESt5tupleIJNSF_6TensorESK_SK_EERKSK_lbbbEUlllE0_EEPmJS9_EEE10hipError_tPvRmT3_T4_T5_T6_T7_T9_mT8_P12ihipStream_tbDpT10_ENKUlT_T0_E_clISt17integral_constantIbLb1EES19_IbLb0EEEEDaS15_S16_EUlS15_E_NS1_11comp_targetILNS1_3genE5ELNS1_11target_archE942ELNS1_3gpuE9ELNS1_3repE0EEENS1_30default_config_static_selectorELNS0_4arch9wavefront6targetE0EEEvT1_,comdat
.Lfunc_end1466:
	.size	_ZN7rocprim17ROCPRIM_400000_NS6detail17trampoline_kernelINS0_14default_configENS1_25partition_config_selectorILNS1_17partition_subalgoE9EllbEEZZNS1_14partition_implILS5_9ELb0ES3_jPlS8_PNS0_10empty_typeENS0_5tupleIJS8_S9_EEENSB_IJS8_SA_EEENS0_18inequality_wrapperIZN2at6native12_GLOBAL__N_124unique_dim_cuda_templateItEESt5tupleIJNSF_6TensorESK_SK_EERKSK_lbbbEUlllE0_EEPmJS9_EEE10hipError_tPvRmT3_T4_T5_T6_T7_T9_mT8_P12ihipStream_tbDpT10_ENKUlT_T0_E_clISt17integral_constantIbLb1EES19_IbLb0EEEEDaS15_S16_EUlS15_E_NS1_11comp_targetILNS1_3genE5ELNS1_11target_archE942ELNS1_3gpuE9ELNS1_3repE0EEENS1_30default_config_static_selectorELNS0_4arch9wavefront6targetE0EEEvT1_, .Lfunc_end1466-_ZN7rocprim17ROCPRIM_400000_NS6detail17trampoline_kernelINS0_14default_configENS1_25partition_config_selectorILNS1_17partition_subalgoE9EllbEEZZNS1_14partition_implILS5_9ELb0ES3_jPlS8_PNS0_10empty_typeENS0_5tupleIJS8_S9_EEENSB_IJS8_SA_EEENS0_18inequality_wrapperIZN2at6native12_GLOBAL__N_124unique_dim_cuda_templateItEESt5tupleIJNSF_6TensorESK_SK_EERKSK_lbbbEUlllE0_EEPmJS9_EEE10hipError_tPvRmT3_T4_T5_T6_T7_T9_mT8_P12ihipStream_tbDpT10_ENKUlT_T0_E_clISt17integral_constantIbLb1EES19_IbLb0EEEEDaS15_S16_EUlS15_E_NS1_11comp_targetILNS1_3genE5ELNS1_11target_archE942ELNS1_3gpuE9ELNS1_3repE0EEENS1_30default_config_static_selectorELNS0_4arch9wavefront6targetE0EEEvT1_
                                        ; -- End function
	.section	.AMDGPU.csdata,"",@progbits
; Kernel info:
; codeLenInByte = 0
; NumSgprs: 0
; NumVgprs: 0
; ScratchSize: 0
; MemoryBound: 0
; FloatMode: 240
; IeeeMode: 1
; LDSByteSize: 0 bytes/workgroup (compile time only)
; SGPRBlocks: 0
; VGPRBlocks: 0
; NumSGPRsForWavesPerEU: 1
; NumVGPRsForWavesPerEU: 1
; Occupancy: 16
; WaveLimiterHint : 0
; COMPUTE_PGM_RSRC2:SCRATCH_EN: 0
; COMPUTE_PGM_RSRC2:USER_SGPR: 15
; COMPUTE_PGM_RSRC2:TRAP_HANDLER: 0
; COMPUTE_PGM_RSRC2:TGID_X_EN: 1
; COMPUTE_PGM_RSRC2:TGID_Y_EN: 0
; COMPUTE_PGM_RSRC2:TGID_Z_EN: 0
; COMPUTE_PGM_RSRC2:TIDIG_COMP_CNT: 0
	.section	.text._ZN7rocprim17ROCPRIM_400000_NS6detail17trampoline_kernelINS0_14default_configENS1_25partition_config_selectorILNS1_17partition_subalgoE9EllbEEZZNS1_14partition_implILS5_9ELb0ES3_jPlS8_PNS0_10empty_typeENS0_5tupleIJS8_S9_EEENSB_IJS8_SA_EEENS0_18inequality_wrapperIZN2at6native12_GLOBAL__N_124unique_dim_cuda_templateItEESt5tupleIJNSF_6TensorESK_SK_EERKSK_lbbbEUlllE0_EEPmJS9_EEE10hipError_tPvRmT3_T4_T5_T6_T7_T9_mT8_P12ihipStream_tbDpT10_ENKUlT_T0_E_clISt17integral_constantIbLb1EES19_IbLb0EEEEDaS15_S16_EUlS15_E_NS1_11comp_targetILNS1_3genE4ELNS1_11target_archE910ELNS1_3gpuE8ELNS1_3repE0EEENS1_30default_config_static_selectorELNS0_4arch9wavefront6targetE0EEEvT1_,"axG",@progbits,_ZN7rocprim17ROCPRIM_400000_NS6detail17trampoline_kernelINS0_14default_configENS1_25partition_config_selectorILNS1_17partition_subalgoE9EllbEEZZNS1_14partition_implILS5_9ELb0ES3_jPlS8_PNS0_10empty_typeENS0_5tupleIJS8_S9_EEENSB_IJS8_SA_EEENS0_18inequality_wrapperIZN2at6native12_GLOBAL__N_124unique_dim_cuda_templateItEESt5tupleIJNSF_6TensorESK_SK_EERKSK_lbbbEUlllE0_EEPmJS9_EEE10hipError_tPvRmT3_T4_T5_T6_T7_T9_mT8_P12ihipStream_tbDpT10_ENKUlT_T0_E_clISt17integral_constantIbLb1EES19_IbLb0EEEEDaS15_S16_EUlS15_E_NS1_11comp_targetILNS1_3genE4ELNS1_11target_archE910ELNS1_3gpuE8ELNS1_3repE0EEENS1_30default_config_static_selectorELNS0_4arch9wavefront6targetE0EEEvT1_,comdat
	.globl	_ZN7rocprim17ROCPRIM_400000_NS6detail17trampoline_kernelINS0_14default_configENS1_25partition_config_selectorILNS1_17partition_subalgoE9EllbEEZZNS1_14partition_implILS5_9ELb0ES3_jPlS8_PNS0_10empty_typeENS0_5tupleIJS8_S9_EEENSB_IJS8_SA_EEENS0_18inequality_wrapperIZN2at6native12_GLOBAL__N_124unique_dim_cuda_templateItEESt5tupleIJNSF_6TensorESK_SK_EERKSK_lbbbEUlllE0_EEPmJS9_EEE10hipError_tPvRmT3_T4_T5_T6_T7_T9_mT8_P12ihipStream_tbDpT10_ENKUlT_T0_E_clISt17integral_constantIbLb1EES19_IbLb0EEEEDaS15_S16_EUlS15_E_NS1_11comp_targetILNS1_3genE4ELNS1_11target_archE910ELNS1_3gpuE8ELNS1_3repE0EEENS1_30default_config_static_selectorELNS0_4arch9wavefront6targetE0EEEvT1_ ; -- Begin function _ZN7rocprim17ROCPRIM_400000_NS6detail17trampoline_kernelINS0_14default_configENS1_25partition_config_selectorILNS1_17partition_subalgoE9EllbEEZZNS1_14partition_implILS5_9ELb0ES3_jPlS8_PNS0_10empty_typeENS0_5tupleIJS8_S9_EEENSB_IJS8_SA_EEENS0_18inequality_wrapperIZN2at6native12_GLOBAL__N_124unique_dim_cuda_templateItEESt5tupleIJNSF_6TensorESK_SK_EERKSK_lbbbEUlllE0_EEPmJS9_EEE10hipError_tPvRmT3_T4_T5_T6_T7_T9_mT8_P12ihipStream_tbDpT10_ENKUlT_T0_E_clISt17integral_constantIbLb1EES19_IbLb0EEEEDaS15_S16_EUlS15_E_NS1_11comp_targetILNS1_3genE4ELNS1_11target_archE910ELNS1_3gpuE8ELNS1_3repE0EEENS1_30default_config_static_selectorELNS0_4arch9wavefront6targetE0EEEvT1_
	.p2align	8
	.type	_ZN7rocprim17ROCPRIM_400000_NS6detail17trampoline_kernelINS0_14default_configENS1_25partition_config_selectorILNS1_17partition_subalgoE9EllbEEZZNS1_14partition_implILS5_9ELb0ES3_jPlS8_PNS0_10empty_typeENS0_5tupleIJS8_S9_EEENSB_IJS8_SA_EEENS0_18inequality_wrapperIZN2at6native12_GLOBAL__N_124unique_dim_cuda_templateItEESt5tupleIJNSF_6TensorESK_SK_EERKSK_lbbbEUlllE0_EEPmJS9_EEE10hipError_tPvRmT3_T4_T5_T6_T7_T9_mT8_P12ihipStream_tbDpT10_ENKUlT_T0_E_clISt17integral_constantIbLb1EES19_IbLb0EEEEDaS15_S16_EUlS15_E_NS1_11comp_targetILNS1_3genE4ELNS1_11target_archE910ELNS1_3gpuE8ELNS1_3repE0EEENS1_30default_config_static_selectorELNS0_4arch9wavefront6targetE0EEEvT1_,@function
_ZN7rocprim17ROCPRIM_400000_NS6detail17trampoline_kernelINS0_14default_configENS1_25partition_config_selectorILNS1_17partition_subalgoE9EllbEEZZNS1_14partition_implILS5_9ELb0ES3_jPlS8_PNS0_10empty_typeENS0_5tupleIJS8_S9_EEENSB_IJS8_SA_EEENS0_18inequality_wrapperIZN2at6native12_GLOBAL__N_124unique_dim_cuda_templateItEESt5tupleIJNSF_6TensorESK_SK_EERKSK_lbbbEUlllE0_EEPmJS9_EEE10hipError_tPvRmT3_T4_T5_T6_T7_T9_mT8_P12ihipStream_tbDpT10_ENKUlT_T0_E_clISt17integral_constantIbLb1EES19_IbLb0EEEEDaS15_S16_EUlS15_E_NS1_11comp_targetILNS1_3genE4ELNS1_11target_archE910ELNS1_3gpuE8ELNS1_3repE0EEENS1_30default_config_static_selectorELNS0_4arch9wavefront6targetE0EEEvT1_: ; @_ZN7rocprim17ROCPRIM_400000_NS6detail17trampoline_kernelINS0_14default_configENS1_25partition_config_selectorILNS1_17partition_subalgoE9EllbEEZZNS1_14partition_implILS5_9ELb0ES3_jPlS8_PNS0_10empty_typeENS0_5tupleIJS8_S9_EEENSB_IJS8_SA_EEENS0_18inequality_wrapperIZN2at6native12_GLOBAL__N_124unique_dim_cuda_templateItEESt5tupleIJNSF_6TensorESK_SK_EERKSK_lbbbEUlllE0_EEPmJS9_EEE10hipError_tPvRmT3_T4_T5_T6_T7_T9_mT8_P12ihipStream_tbDpT10_ENKUlT_T0_E_clISt17integral_constantIbLb1EES19_IbLb0EEEEDaS15_S16_EUlS15_E_NS1_11comp_targetILNS1_3genE4ELNS1_11target_archE910ELNS1_3gpuE8ELNS1_3repE0EEENS1_30default_config_static_selectorELNS0_4arch9wavefront6targetE0EEEvT1_
; %bb.0:
	.section	.rodata,"a",@progbits
	.p2align	6, 0x0
	.amdhsa_kernel _ZN7rocprim17ROCPRIM_400000_NS6detail17trampoline_kernelINS0_14default_configENS1_25partition_config_selectorILNS1_17partition_subalgoE9EllbEEZZNS1_14partition_implILS5_9ELb0ES3_jPlS8_PNS0_10empty_typeENS0_5tupleIJS8_S9_EEENSB_IJS8_SA_EEENS0_18inequality_wrapperIZN2at6native12_GLOBAL__N_124unique_dim_cuda_templateItEESt5tupleIJNSF_6TensorESK_SK_EERKSK_lbbbEUlllE0_EEPmJS9_EEE10hipError_tPvRmT3_T4_T5_T6_T7_T9_mT8_P12ihipStream_tbDpT10_ENKUlT_T0_E_clISt17integral_constantIbLb1EES19_IbLb0EEEEDaS15_S16_EUlS15_E_NS1_11comp_targetILNS1_3genE4ELNS1_11target_archE910ELNS1_3gpuE8ELNS1_3repE0EEENS1_30default_config_static_selectorELNS0_4arch9wavefront6targetE0EEEvT1_
		.amdhsa_group_segment_fixed_size 0
		.amdhsa_private_segment_fixed_size 0
		.amdhsa_kernarg_size 120
		.amdhsa_user_sgpr_count 15
		.amdhsa_user_sgpr_dispatch_ptr 0
		.amdhsa_user_sgpr_queue_ptr 0
		.amdhsa_user_sgpr_kernarg_segment_ptr 1
		.amdhsa_user_sgpr_dispatch_id 0
		.amdhsa_user_sgpr_private_segment_size 0
		.amdhsa_wavefront_size32 1
		.amdhsa_uses_dynamic_stack 0
		.amdhsa_enable_private_segment 0
		.amdhsa_system_sgpr_workgroup_id_x 1
		.amdhsa_system_sgpr_workgroup_id_y 0
		.amdhsa_system_sgpr_workgroup_id_z 0
		.amdhsa_system_sgpr_workgroup_info 0
		.amdhsa_system_vgpr_workitem_id 0
		.amdhsa_next_free_vgpr 1
		.amdhsa_next_free_sgpr 1
		.amdhsa_reserve_vcc 0
		.amdhsa_float_round_mode_32 0
		.amdhsa_float_round_mode_16_64 0
		.amdhsa_float_denorm_mode_32 3
		.amdhsa_float_denorm_mode_16_64 3
		.amdhsa_dx10_clamp 1
		.amdhsa_ieee_mode 1
		.amdhsa_fp16_overflow 0
		.amdhsa_workgroup_processor_mode 1
		.amdhsa_memory_ordered 1
		.amdhsa_forward_progress 0
		.amdhsa_shared_vgpr_count 0
		.amdhsa_exception_fp_ieee_invalid_op 0
		.amdhsa_exception_fp_denorm_src 0
		.amdhsa_exception_fp_ieee_div_zero 0
		.amdhsa_exception_fp_ieee_overflow 0
		.amdhsa_exception_fp_ieee_underflow 0
		.amdhsa_exception_fp_ieee_inexact 0
		.amdhsa_exception_int_div_zero 0
	.end_amdhsa_kernel
	.section	.text._ZN7rocprim17ROCPRIM_400000_NS6detail17trampoline_kernelINS0_14default_configENS1_25partition_config_selectorILNS1_17partition_subalgoE9EllbEEZZNS1_14partition_implILS5_9ELb0ES3_jPlS8_PNS0_10empty_typeENS0_5tupleIJS8_S9_EEENSB_IJS8_SA_EEENS0_18inequality_wrapperIZN2at6native12_GLOBAL__N_124unique_dim_cuda_templateItEESt5tupleIJNSF_6TensorESK_SK_EERKSK_lbbbEUlllE0_EEPmJS9_EEE10hipError_tPvRmT3_T4_T5_T6_T7_T9_mT8_P12ihipStream_tbDpT10_ENKUlT_T0_E_clISt17integral_constantIbLb1EES19_IbLb0EEEEDaS15_S16_EUlS15_E_NS1_11comp_targetILNS1_3genE4ELNS1_11target_archE910ELNS1_3gpuE8ELNS1_3repE0EEENS1_30default_config_static_selectorELNS0_4arch9wavefront6targetE0EEEvT1_,"axG",@progbits,_ZN7rocprim17ROCPRIM_400000_NS6detail17trampoline_kernelINS0_14default_configENS1_25partition_config_selectorILNS1_17partition_subalgoE9EllbEEZZNS1_14partition_implILS5_9ELb0ES3_jPlS8_PNS0_10empty_typeENS0_5tupleIJS8_S9_EEENSB_IJS8_SA_EEENS0_18inequality_wrapperIZN2at6native12_GLOBAL__N_124unique_dim_cuda_templateItEESt5tupleIJNSF_6TensorESK_SK_EERKSK_lbbbEUlllE0_EEPmJS9_EEE10hipError_tPvRmT3_T4_T5_T6_T7_T9_mT8_P12ihipStream_tbDpT10_ENKUlT_T0_E_clISt17integral_constantIbLb1EES19_IbLb0EEEEDaS15_S16_EUlS15_E_NS1_11comp_targetILNS1_3genE4ELNS1_11target_archE910ELNS1_3gpuE8ELNS1_3repE0EEENS1_30default_config_static_selectorELNS0_4arch9wavefront6targetE0EEEvT1_,comdat
.Lfunc_end1467:
	.size	_ZN7rocprim17ROCPRIM_400000_NS6detail17trampoline_kernelINS0_14default_configENS1_25partition_config_selectorILNS1_17partition_subalgoE9EllbEEZZNS1_14partition_implILS5_9ELb0ES3_jPlS8_PNS0_10empty_typeENS0_5tupleIJS8_S9_EEENSB_IJS8_SA_EEENS0_18inequality_wrapperIZN2at6native12_GLOBAL__N_124unique_dim_cuda_templateItEESt5tupleIJNSF_6TensorESK_SK_EERKSK_lbbbEUlllE0_EEPmJS9_EEE10hipError_tPvRmT3_T4_T5_T6_T7_T9_mT8_P12ihipStream_tbDpT10_ENKUlT_T0_E_clISt17integral_constantIbLb1EES19_IbLb0EEEEDaS15_S16_EUlS15_E_NS1_11comp_targetILNS1_3genE4ELNS1_11target_archE910ELNS1_3gpuE8ELNS1_3repE0EEENS1_30default_config_static_selectorELNS0_4arch9wavefront6targetE0EEEvT1_, .Lfunc_end1467-_ZN7rocprim17ROCPRIM_400000_NS6detail17trampoline_kernelINS0_14default_configENS1_25partition_config_selectorILNS1_17partition_subalgoE9EllbEEZZNS1_14partition_implILS5_9ELb0ES3_jPlS8_PNS0_10empty_typeENS0_5tupleIJS8_S9_EEENSB_IJS8_SA_EEENS0_18inequality_wrapperIZN2at6native12_GLOBAL__N_124unique_dim_cuda_templateItEESt5tupleIJNSF_6TensorESK_SK_EERKSK_lbbbEUlllE0_EEPmJS9_EEE10hipError_tPvRmT3_T4_T5_T6_T7_T9_mT8_P12ihipStream_tbDpT10_ENKUlT_T0_E_clISt17integral_constantIbLb1EES19_IbLb0EEEEDaS15_S16_EUlS15_E_NS1_11comp_targetILNS1_3genE4ELNS1_11target_archE910ELNS1_3gpuE8ELNS1_3repE0EEENS1_30default_config_static_selectorELNS0_4arch9wavefront6targetE0EEEvT1_
                                        ; -- End function
	.section	.AMDGPU.csdata,"",@progbits
; Kernel info:
; codeLenInByte = 0
; NumSgprs: 0
; NumVgprs: 0
; ScratchSize: 0
; MemoryBound: 0
; FloatMode: 240
; IeeeMode: 1
; LDSByteSize: 0 bytes/workgroup (compile time only)
; SGPRBlocks: 0
; VGPRBlocks: 0
; NumSGPRsForWavesPerEU: 1
; NumVGPRsForWavesPerEU: 1
; Occupancy: 16
; WaveLimiterHint : 0
; COMPUTE_PGM_RSRC2:SCRATCH_EN: 0
; COMPUTE_PGM_RSRC2:USER_SGPR: 15
; COMPUTE_PGM_RSRC2:TRAP_HANDLER: 0
; COMPUTE_PGM_RSRC2:TGID_X_EN: 1
; COMPUTE_PGM_RSRC2:TGID_Y_EN: 0
; COMPUTE_PGM_RSRC2:TGID_Z_EN: 0
; COMPUTE_PGM_RSRC2:TIDIG_COMP_CNT: 0
	.section	.text._ZN7rocprim17ROCPRIM_400000_NS6detail17trampoline_kernelINS0_14default_configENS1_25partition_config_selectorILNS1_17partition_subalgoE9EllbEEZZNS1_14partition_implILS5_9ELb0ES3_jPlS8_PNS0_10empty_typeENS0_5tupleIJS8_S9_EEENSB_IJS8_SA_EEENS0_18inequality_wrapperIZN2at6native12_GLOBAL__N_124unique_dim_cuda_templateItEESt5tupleIJNSF_6TensorESK_SK_EERKSK_lbbbEUlllE0_EEPmJS9_EEE10hipError_tPvRmT3_T4_T5_T6_T7_T9_mT8_P12ihipStream_tbDpT10_ENKUlT_T0_E_clISt17integral_constantIbLb1EES19_IbLb0EEEEDaS15_S16_EUlS15_E_NS1_11comp_targetILNS1_3genE3ELNS1_11target_archE908ELNS1_3gpuE7ELNS1_3repE0EEENS1_30default_config_static_selectorELNS0_4arch9wavefront6targetE0EEEvT1_,"axG",@progbits,_ZN7rocprim17ROCPRIM_400000_NS6detail17trampoline_kernelINS0_14default_configENS1_25partition_config_selectorILNS1_17partition_subalgoE9EllbEEZZNS1_14partition_implILS5_9ELb0ES3_jPlS8_PNS0_10empty_typeENS0_5tupleIJS8_S9_EEENSB_IJS8_SA_EEENS0_18inequality_wrapperIZN2at6native12_GLOBAL__N_124unique_dim_cuda_templateItEESt5tupleIJNSF_6TensorESK_SK_EERKSK_lbbbEUlllE0_EEPmJS9_EEE10hipError_tPvRmT3_T4_T5_T6_T7_T9_mT8_P12ihipStream_tbDpT10_ENKUlT_T0_E_clISt17integral_constantIbLb1EES19_IbLb0EEEEDaS15_S16_EUlS15_E_NS1_11comp_targetILNS1_3genE3ELNS1_11target_archE908ELNS1_3gpuE7ELNS1_3repE0EEENS1_30default_config_static_selectorELNS0_4arch9wavefront6targetE0EEEvT1_,comdat
	.globl	_ZN7rocprim17ROCPRIM_400000_NS6detail17trampoline_kernelINS0_14default_configENS1_25partition_config_selectorILNS1_17partition_subalgoE9EllbEEZZNS1_14partition_implILS5_9ELb0ES3_jPlS8_PNS0_10empty_typeENS0_5tupleIJS8_S9_EEENSB_IJS8_SA_EEENS0_18inequality_wrapperIZN2at6native12_GLOBAL__N_124unique_dim_cuda_templateItEESt5tupleIJNSF_6TensorESK_SK_EERKSK_lbbbEUlllE0_EEPmJS9_EEE10hipError_tPvRmT3_T4_T5_T6_T7_T9_mT8_P12ihipStream_tbDpT10_ENKUlT_T0_E_clISt17integral_constantIbLb1EES19_IbLb0EEEEDaS15_S16_EUlS15_E_NS1_11comp_targetILNS1_3genE3ELNS1_11target_archE908ELNS1_3gpuE7ELNS1_3repE0EEENS1_30default_config_static_selectorELNS0_4arch9wavefront6targetE0EEEvT1_ ; -- Begin function _ZN7rocprim17ROCPRIM_400000_NS6detail17trampoline_kernelINS0_14default_configENS1_25partition_config_selectorILNS1_17partition_subalgoE9EllbEEZZNS1_14partition_implILS5_9ELb0ES3_jPlS8_PNS0_10empty_typeENS0_5tupleIJS8_S9_EEENSB_IJS8_SA_EEENS0_18inequality_wrapperIZN2at6native12_GLOBAL__N_124unique_dim_cuda_templateItEESt5tupleIJNSF_6TensorESK_SK_EERKSK_lbbbEUlllE0_EEPmJS9_EEE10hipError_tPvRmT3_T4_T5_T6_T7_T9_mT8_P12ihipStream_tbDpT10_ENKUlT_T0_E_clISt17integral_constantIbLb1EES19_IbLb0EEEEDaS15_S16_EUlS15_E_NS1_11comp_targetILNS1_3genE3ELNS1_11target_archE908ELNS1_3gpuE7ELNS1_3repE0EEENS1_30default_config_static_selectorELNS0_4arch9wavefront6targetE0EEEvT1_
	.p2align	8
	.type	_ZN7rocprim17ROCPRIM_400000_NS6detail17trampoline_kernelINS0_14default_configENS1_25partition_config_selectorILNS1_17partition_subalgoE9EllbEEZZNS1_14partition_implILS5_9ELb0ES3_jPlS8_PNS0_10empty_typeENS0_5tupleIJS8_S9_EEENSB_IJS8_SA_EEENS0_18inequality_wrapperIZN2at6native12_GLOBAL__N_124unique_dim_cuda_templateItEESt5tupleIJNSF_6TensorESK_SK_EERKSK_lbbbEUlllE0_EEPmJS9_EEE10hipError_tPvRmT3_T4_T5_T6_T7_T9_mT8_P12ihipStream_tbDpT10_ENKUlT_T0_E_clISt17integral_constantIbLb1EES19_IbLb0EEEEDaS15_S16_EUlS15_E_NS1_11comp_targetILNS1_3genE3ELNS1_11target_archE908ELNS1_3gpuE7ELNS1_3repE0EEENS1_30default_config_static_selectorELNS0_4arch9wavefront6targetE0EEEvT1_,@function
_ZN7rocprim17ROCPRIM_400000_NS6detail17trampoline_kernelINS0_14default_configENS1_25partition_config_selectorILNS1_17partition_subalgoE9EllbEEZZNS1_14partition_implILS5_9ELb0ES3_jPlS8_PNS0_10empty_typeENS0_5tupleIJS8_S9_EEENSB_IJS8_SA_EEENS0_18inequality_wrapperIZN2at6native12_GLOBAL__N_124unique_dim_cuda_templateItEESt5tupleIJNSF_6TensorESK_SK_EERKSK_lbbbEUlllE0_EEPmJS9_EEE10hipError_tPvRmT3_T4_T5_T6_T7_T9_mT8_P12ihipStream_tbDpT10_ENKUlT_T0_E_clISt17integral_constantIbLb1EES19_IbLb0EEEEDaS15_S16_EUlS15_E_NS1_11comp_targetILNS1_3genE3ELNS1_11target_archE908ELNS1_3gpuE7ELNS1_3repE0EEENS1_30default_config_static_selectorELNS0_4arch9wavefront6targetE0EEEvT1_: ; @_ZN7rocprim17ROCPRIM_400000_NS6detail17trampoline_kernelINS0_14default_configENS1_25partition_config_selectorILNS1_17partition_subalgoE9EllbEEZZNS1_14partition_implILS5_9ELb0ES3_jPlS8_PNS0_10empty_typeENS0_5tupleIJS8_S9_EEENSB_IJS8_SA_EEENS0_18inequality_wrapperIZN2at6native12_GLOBAL__N_124unique_dim_cuda_templateItEESt5tupleIJNSF_6TensorESK_SK_EERKSK_lbbbEUlllE0_EEPmJS9_EEE10hipError_tPvRmT3_T4_T5_T6_T7_T9_mT8_P12ihipStream_tbDpT10_ENKUlT_T0_E_clISt17integral_constantIbLb1EES19_IbLb0EEEEDaS15_S16_EUlS15_E_NS1_11comp_targetILNS1_3genE3ELNS1_11target_archE908ELNS1_3gpuE7ELNS1_3repE0EEENS1_30default_config_static_selectorELNS0_4arch9wavefront6targetE0EEEvT1_
; %bb.0:
	.section	.rodata,"a",@progbits
	.p2align	6, 0x0
	.amdhsa_kernel _ZN7rocprim17ROCPRIM_400000_NS6detail17trampoline_kernelINS0_14default_configENS1_25partition_config_selectorILNS1_17partition_subalgoE9EllbEEZZNS1_14partition_implILS5_9ELb0ES3_jPlS8_PNS0_10empty_typeENS0_5tupleIJS8_S9_EEENSB_IJS8_SA_EEENS0_18inequality_wrapperIZN2at6native12_GLOBAL__N_124unique_dim_cuda_templateItEESt5tupleIJNSF_6TensorESK_SK_EERKSK_lbbbEUlllE0_EEPmJS9_EEE10hipError_tPvRmT3_T4_T5_T6_T7_T9_mT8_P12ihipStream_tbDpT10_ENKUlT_T0_E_clISt17integral_constantIbLb1EES19_IbLb0EEEEDaS15_S16_EUlS15_E_NS1_11comp_targetILNS1_3genE3ELNS1_11target_archE908ELNS1_3gpuE7ELNS1_3repE0EEENS1_30default_config_static_selectorELNS0_4arch9wavefront6targetE0EEEvT1_
		.amdhsa_group_segment_fixed_size 0
		.amdhsa_private_segment_fixed_size 0
		.amdhsa_kernarg_size 120
		.amdhsa_user_sgpr_count 15
		.amdhsa_user_sgpr_dispatch_ptr 0
		.amdhsa_user_sgpr_queue_ptr 0
		.amdhsa_user_sgpr_kernarg_segment_ptr 1
		.amdhsa_user_sgpr_dispatch_id 0
		.amdhsa_user_sgpr_private_segment_size 0
		.amdhsa_wavefront_size32 1
		.amdhsa_uses_dynamic_stack 0
		.amdhsa_enable_private_segment 0
		.amdhsa_system_sgpr_workgroup_id_x 1
		.amdhsa_system_sgpr_workgroup_id_y 0
		.amdhsa_system_sgpr_workgroup_id_z 0
		.amdhsa_system_sgpr_workgroup_info 0
		.amdhsa_system_vgpr_workitem_id 0
		.amdhsa_next_free_vgpr 1
		.amdhsa_next_free_sgpr 1
		.amdhsa_reserve_vcc 0
		.amdhsa_float_round_mode_32 0
		.amdhsa_float_round_mode_16_64 0
		.amdhsa_float_denorm_mode_32 3
		.amdhsa_float_denorm_mode_16_64 3
		.amdhsa_dx10_clamp 1
		.amdhsa_ieee_mode 1
		.amdhsa_fp16_overflow 0
		.amdhsa_workgroup_processor_mode 1
		.amdhsa_memory_ordered 1
		.amdhsa_forward_progress 0
		.amdhsa_shared_vgpr_count 0
		.amdhsa_exception_fp_ieee_invalid_op 0
		.amdhsa_exception_fp_denorm_src 0
		.amdhsa_exception_fp_ieee_div_zero 0
		.amdhsa_exception_fp_ieee_overflow 0
		.amdhsa_exception_fp_ieee_underflow 0
		.amdhsa_exception_fp_ieee_inexact 0
		.amdhsa_exception_int_div_zero 0
	.end_amdhsa_kernel
	.section	.text._ZN7rocprim17ROCPRIM_400000_NS6detail17trampoline_kernelINS0_14default_configENS1_25partition_config_selectorILNS1_17partition_subalgoE9EllbEEZZNS1_14partition_implILS5_9ELb0ES3_jPlS8_PNS0_10empty_typeENS0_5tupleIJS8_S9_EEENSB_IJS8_SA_EEENS0_18inequality_wrapperIZN2at6native12_GLOBAL__N_124unique_dim_cuda_templateItEESt5tupleIJNSF_6TensorESK_SK_EERKSK_lbbbEUlllE0_EEPmJS9_EEE10hipError_tPvRmT3_T4_T5_T6_T7_T9_mT8_P12ihipStream_tbDpT10_ENKUlT_T0_E_clISt17integral_constantIbLb1EES19_IbLb0EEEEDaS15_S16_EUlS15_E_NS1_11comp_targetILNS1_3genE3ELNS1_11target_archE908ELNS1_3gpuE7ELNS1_3repE0EEENS1_30default_config_static_selectorELNS0_4arch9wavefront6targetE0EEEvT1_,"axG",@progbits,_ZN7rocprim17ROCPRIM_400000_NS6detail17trampoline_kernelINS0_14default_configENS1_25partition_config_selectorILNS1_17partition_subalgoE9EllbEEZZNS1_14partition_implILS5_9ELb0ES3_jPlS8_PNS0_10empty_typeENS0_5tupleIJS8_S9_EEENSB_IJS8_SA_EEENS0_18inequality_wrapperIZN2at6native12_GLOBAL__N_124unique_dim_cuda_templateItEESt5tupleIJNSF_6TensorESK_SK_EERKSK_lbbbEUlllE0_EEPmJS9_EEE10hipError_tPvRmT3_T4_T5_T6_T7_T9_mT8_P12ihipStream_tbDpT10_ENKUlT_T0_E_clISt17integral_constantIbLb1EES19_IbLb0EEEEDaS15_S16_EUlS15_E_NS1_11comp_targetILNS1_3genE3ELNS1_11target_archE908ELNS1_3gpuE7ELNS1_3repE0EEENS1_30default_config_static_selectorELNS0_4arch9wavefront6targetE0EEEvT1_,comdat
.Lfunc_end1468:
	.size	_ZN7rocprim17ROCPRIM_400000_NS6detail17trampoline_kernelINS0_14default_configENS1_25partition_config_selectorILNS1_17partition_subalgoE9EllbEEZZNS1_14partition_implILS5_9ELb0ES3_jPlS8_PNS0_10empty_typeENS0_5tupleIJS8_S9_EEENSB_IJS8_SA_EEENS0_18inequality_wrapperIZN2at6native12_GLOBAL__N_124unique_dim_cuda_templateItEESt5tupleIJNSF_6TensorESK_SK_EERKSK_lbbbEUlllE0_EEPmJS9_EEE10hipError_tPvRmT3_T4_T5_T6_T7_T9_mT8_P12ihipStream_tbDpT10_ENKUlT_T0_E_clISt17integral_constantIbLb1EES19_IbLb0EEEEDaS15_S16_EUlS15_E_NS1_11comp_targetILNS1_3genE3ELNS1_11target_archE908ELNS1_3gpuE7ELNS1_3repE0EEENS1_30default_config_static_selectorELNS0_4arch9wavefront6targetE0EEEvT1_, .Lfunc_end1468-_ZN7rocprim17ROCPRIM_400000_NS6detail17trampoline_kernelINS0_14default_configENS1_25partition_config_selectorILNS1_17partition_subalgoE9EllbEEZZNS1_14partition_implILS5_9ELb0ES3_jPlS8_PNS0_10empty_typeENS0_5tupleIJS8_S9_EEENSB_IJS8_SA_EEENS0_18inequality_wrapperIZN2at6native12_GLOBAL__N_124unique_dim_cuda_templateItEESt5tupleIJNSF_6TensorESK_SK_EERKSK_lbbbEUlllE0_EEPmJS9_EEE10hipError_tPvRmT3_T4_T5_T6_T7_T9_mT8_P12ihipStream_tbDpT10_ENKUlT_T0_E_clISt17integral_constantIbLb1EES19_IbLb0EEEEDaS15_S16_EUlS15_E_NS1_11comp_targetILNS1_3genE3ELNS1_11target_archE908ELNS1_3gpuE7ELNS1_3repE0EEENS1_30default_config_static_selectorELNS0_4arch9wavefront6targetE0EEEvT1_
                                        ; -- End function
	.section	.AMDGPU.csdata,"",@progbits
; Kernel info:
; codeLenInByte = 0
; NumSgprs: 0
; NumVgprs: 0
; ScratchSize: 0
; MemoryBound: 0
; FloatMode: 240
; IeeeMode: 1
; LDSByteSize: 0 bytes/workgroup (compile time only)
; SGPRBlocks: 0
; VGPRBlocks: 0
; NumSGPRsForWavesPerEU: 1
; NumVGPRsForWavesPerEU: 1
; Occupancy: 16
; WaveLimiterHint : 0
; COMPUTE_PGM_RSRC2:SCRATCH_EN: 0
; COMPUTE_PGM_RSRC2:USER_SGPR: 15
; COMPUTE_PGM_RSRC2:TRAP_HANDLER: 0
; COMPUTE_PGM_RSRC2:TGID_X_EN: 1
; COMPUTE_PGM_RSRC2:TGID_Y_EN: 0
; COMPUTE_PGM_RSRC2:TGID_Z_EN: 0
; COMPUTE_PGM_RSRC2:TIDIG_COMP_CNT: 0
	.section	.text._ZN7rocprim17ROCPRIM_400000_NS6detail17trampoline_kernelINS0_14default_configENS1_25partition_config_selectorILNS1_17partition_subalgoE9EllbEEZZNS1_14partition_implILS5_9ELb0ES3_jPlS8_PNS0_10empty_typeENS0_5tupleIJS8_S9_EEENSB_IJS8_SA_EEENS0_18inequality_wrapperIZN2at6native12_GLOBAL__N_124unique_dim_cuda_templateItEESt5tupleIJNSF_6TensorESK_SK_EERKSK_lbbbEUlllE0_EEPmJS9_EEE10hipError_tPvRmT3_T4_T5_T6_T7_T9_mT8_P12ihipStream_tbDpT10_ENKUlT_T0_E_clISt17integral_constantIbLb1EES19_IbLb0EEEEDaS15_S16_EUlS15_E_NS1_11comp_targetILNS1_3genE2ELNS1_11target_archE906ELNS1_3gpuE6ELNS1_3repE0EEENS1_30default_config_static_selectorELNS0_4arch9wavefront6targetE0EEEvT1_,"axG",@progbits,_ZN7rocprim17ROCPRIM_400000_NS6detail17trampoline_kernelINS0_14default_configENS1_25partition_config_selectorILNS1_17partition_subalgoE9EllbEEZZNS1_14partition_implILS5_9ELb0ES3_jPlS8_PNS0_10empty_typeENS0_5tupleIJS8_S9_EEENSB_IJS8_SA_EEENS0_18inequality_wrapperIZN2at6native12_GLOBAL__N_124unique_dim_cuda_templateItEESt5tupleIJNSF_6TensorESK_SK_EERKSK_lbbbEUlllE0_EEPmJS9_EEE10hipError_tPvRmT3_T4_T5_T6_T7_T9_mT8_P12ihipStream_tbDpT10_ENKUlT_T0_E_clISt17integral_constantIbLb1EES19_IbLb0EEEEDaS15_S16_EUlS15_E_NS1_11comp_targetILNS1_3genE2ELNS1_11target_archE906ELNS1_3gpuE6ELNS1_3repE0EEENS1_30default_config_static_selectorELNS0_4arch9wavefront6targetE0EEEvT1_,comdat
	.globl	_ZN7rocprim17ROCPRIM_400000_NS6detail17trampoline_kernelINS0_14default_configENS1_25partition_config_selectorILNS1_17partition_subalgoE9EllbEEZZNS1_14partition_implILS5_9ELb0ES3_jPlS8_PNS0_10empty_typeENS0_5tupleIJS8_S9_EEENSB_IJS8_SA_EEENS0_18inequality_wrapperIZN2at6native12_GLOBAL__N_124unique_dim_cuda_templateItEESt5tupleIJNSF_6TensorESK_SK_EERKSK_lbbbEUlllE0_EEPmJS9_EEE10hipError_tPvRmT3_T4_T5_T6_T7_T9_mT8_P12ihipStream_tbDpT10_ENKUlT_T0_E_clISt17integral_constantIbLb1EES19_IbLb0EEEEDaS15_S16_EUlS15_E_NS1_11comp_targetILNS1_3genE2ELNS1_11target_archE906ELNS1_3gpuE6ELNS1_3repE0EEENS1_30default_config_static_selectorELNS0_4arch9wavefront6targetE0EEEvT1_ ; -- Begin function _ZN7rocprim17ROCPRIM_400000_NS6detail17trampoline_kernelINS0_14default_configENS1_25partition_config_selectorILNS1_17partition_subalgoE9EllbEEZZNS1_14partition_implILS5_9ELb0ES3_jPlS8_PNS0_10empty_typeENS0_5tupleIJS8_S9_EEENSB_IJS8_SA_EEENS0_18inequality_wrapperIZN2at6native12_GLOBAL__N_124unique_dim_cuda_templateItEESt5tupleIJNSF_6TensorESK_SK_EERKSK_lbbbEUlllE0_EEPmJS9_EEE10hipError_tPvRmT3_T4_T5_T6_T7_T9_mT8_P12ihipStream_tbDpT10_ENKUlT_T0_E_clISt17integral_constantIbLb1EES19_IbLb0EEEEDaS15_S16_EUlS15_E_NS1_11comp_targetILNS1_3genE2ELNS1_11target_archE906ELNS1_3gpuE6ELNS1_3repE0EEENS1_30default_config_static_selectorELNS0_4arch9wavefront6targetE0EEEvT1_
	.p2align	8
	.type	_ZN7rocprim17ROCPRIM_400000_NS6detail17trampoline_kernelINS0_14default_configENS1_25partition_config_selectorILNS1_17partition_subalgoE9EllbEEZZNS1_14partition_implILS5_9ELb0ES3_jPlS8_PNS0_10empty_typeENS0_5tupleIJS8_S9_EEENSB_IJS8_SA_EEENS0_18inequality_wrapperIZN2at6native12_GLOBAL__N_124unique_dim_cuda_templateItEESt5tupleIJNSF_6TensorESK_SK_EERKSK_lbbbEUlllE0_EEPmJS9_EEE10hipError_tPvRmT3_T4_T5_T6_T7_T9_mT8_P12ihipStream_tbDpT10_ENKUlT_T0_E_clISt17integral_constantIbLb1EES19_IbLb0EEEEDaS15_S16_EUlS15_E_NS1_11comp_targetILNS1_3genE2ELNS1_11target_archE906ELNS1_3gpuE6ELNS1_3repE0EEENS1_30default_config_static_selectorELNS0_4arch9wavefront6targetE0EEEvT1_,@function
_ZN7rocprim17ROCPRIM_400000_NS6detail17trampoline_kernelINS0_14default_configENS1_25partition_config_selectorILNS1_17partition_subalgoE9EllbEEZZNS1_14partition_implILS5_9ELb0ES3_jPlS8_PNS0_10empty_typeENS0_5tupleIJS8_S9_EEENSB_IJS8_SA_EEENS0_18inequality_wrapperIZN2at6native12_GLOBAL__N_124unique_dim_cuda_templateItEESt5tupleIJNSF_6TensorESK_SK_EERKSK_lbbbEUlllE0_EEPmJS9_EEE10hipError_tPvRmT3_T4_T5_T6_T7_T9_mT8_P12ihipStream_tbDpT10_ENKUlT_T0_E_clISt17integral_constantIbLb1EES19_IbLb0EEEEDaS15_S16_EUlS15_E_NS1_11comp_targetILNS1_3genE2ELNS1_11target_archE906ELNS1_3gpuE6ELNS1_3repE0EEENS1_30default_config_static_selectorELNS0_4arch9wavefront6targetE0EEEvT1_: ; @_ZN7rocprim17ROCPRIM_400000_NS6detail17trampoline_kernelINS0_14default_configENS1_25partition_config_selectorILNS1_17partition_subalgoE9EllbEEZZNS1_14partition_implILS5_9ELb0ES3_jPlS8_PNS0_10empty_typeENS0_5tupleIJS8_S9_EEENSB_IJS8_SA_EEENS0_18inequality_wrapperIZN2at6native12_GLOBAL__N_124unique_dim_cuda_templateItEESt5tupleIJNSF_6TensorESK_SK_EERKSK_lbbbEUlllE0_EEPmJS9_EEE10hipError_tPvRmT3_T4_T5_T6_T7_T9_mT8_P12ihipStream_tbDpT10_ENKUlT_T0_E_clISt17integral_constantIbLb1EES19_IbLb0EEEEDaS15_S16_EUlS15_E_NS1_11comp_targetILNS1_3genE2ELNS1_11target_archE906ELNS1_3gpuE6ELNS1_3repE0EEENS1_30default_config_static_selectorELNS0_4arch9wavefront6targetE0EEEvT1_
; %bb.0:
	.section	.rodata,"a",@progbits
	.p2align	6, 0x0
	.amdhsa_kernel _ZN7rocprim17ROCPRIM_400000_NS6detail17trampoline_kernelINS0_14default_configENS1_25partition_config_selectorILNS1_17partition_subalgoE9EllbEEZZNS1_14partition_implILS5_9ELb0ES3_jPlS8_PNS0_10empty_typeENS0_5tupleIJS8_S9_EEENSB_IJS8_SA_EEENS0_18inequality_wrapperIZN2at6native12_GLOBAL__N_124unique_dim_cuda_templateItEESt5tupleIJNSF_6TensorESK_SK_EERKSK_lbbbEUlllE0_EEPmJS9_EEE10hipError_tPvRmT3_T4_T5_T6_T7_T9_mT8_P12ihipStream_tbDpT10_ENKUlT_T0_E_clISt17integral_constantIbLb1EES19_IbLb0EEEEDaS15_S16_EUlS15_E_NS1_11comp_targetILNS1_3genE2ELNS1_11target_archE906ELNS1_3gpuE6ELNS1_3repE0EEENS1_30default_config_static_selectorELNS0_4arch9wavefront6targetE0EEEvT1_
		.amdhsa_group_segment_fixed_size 0
		.amdhsa_private_segment_fixed_size 0
		.amdhsa_kernarg_size 120
		.amdhsa_user_sgpr_count 15
		.amdhsa_user_sgpr_dispatch_ptr 0
		.amdhsa_user_sgpr_queue_ptr 0
		.amdhsa_user_sgpr_kernarg_segment_ptr 1
		.amdhsa_user_sgpr_dispatch_id 0
		.amdhsa_user_sgpr_private_segment_size 0
		.amdhsa_wavefront_size32 1
		.amdhsa_uses_dynamic_stack 0
		.amdhsa_enable_private_segment 0
		.amdhsa_system_sgpr_workgroup_id_x 1
		.amdhsa_system_sgpr_workgroup_id_y 0
		.amdhsa_system_sgpr_workgroup_id_z 0
		.amdhsa_system_sgpr_workgroup_info 0
		.amdhsa_system_vgpr_workitem_id 0
		.amdhsa_next_free_vgpr 1
		.amdhsa_next_free_sgpr 1
		.amdhsa_reserve_vcc 0
		.amdhsa_float_round_mode_32 0
		.amdhsa_float_round_mode_16_64 0
		.amdhsa_float_denorm_mode_32 3
		.amdhsa_float_denorm_mode_16_64 3
		.amdhsa_dx10_clamp 1
		.amdhsa_ieee_mode 1
		.amdhsa_fp16_overflow 0
		.amdhsa_workgroup_processor_mode 1
		.amdhsa_memory_ordered 1
		.amdhsa_forward_progress 0
		.amdhsa_shared_vgpr_count 0
		.amdhsa_exception_fp_ieee_invalid_op 0
		.amdhsa_exception_fp_denorm_src 0
		.amdhsa_exception_fp_ieee_div_zero 0
		.amdhsa_exception_fp_ieee_overflow 0
		.amdhsa_exception_fp_ieee_underflow 0
		.amdhsa_exception_fp_ieee_inexact 0
		.amdhsa_exception_int_div_zero 0
	.end_amdhsa_kernel
	.section	.text._ZN7rocprim17ROCPRIM_400000_NS6detail17trampoline_kernelINS0_14default_configENS1_25partition_config_selectorILNS1_17partition_subalgoE9EllbEEZZNS1_14partition_implILS5_9ELb0ES3_jPlS8_PNS0_10empty_typeENS0_5tupleIJS8_S9_EEENSB_IJS8_SA_EEENS0_18inequality_wrapperIZN2at6native12_GLOBAL__N_124unique_dim_cuda_templateItEESt5tupleIJNSF_6TensorESK_SK_EERKSK_lbbbEUlllE0_EEPmJS9_EEE10hipError_tPvRmT3_T4_T5_T6_T7_T9_mT8_P12ihipStream_tbDpT10_ENKUlT_T0_E_clISt17integral_constantIbLb1EES19_IbLb0EEEEDaS15_S16_EUlS15_E_NS1_11comp_targetILNS1_3genE2ELNS1_11target_archE906ELNS1_3gpuE6ELNS1_3repE0EEENS1_30default_config_static_selectorELNS0_4arch9wavefront6targetE0EEEvT1_,"axG",@progbits,_ZN7rocprim17ROCPRIM_400000_NS6detail17trampoline_kernelINS0_14default_configENS1_25partition_config_selectorILNS1_17partition_subalgoE9EllbEEZZNS1_14partition_implILS5_9ELb0ES3_jPlS8_PNS0_10empty_typeENS0_5tupleIJS8_S9_EEENSB_IJS8_SA_EEENS0_18inequality_wrapperIZN2at6native12_GLOBAL__N_124unique_dim_cuda_templateItEESt5tupleIJNSF_6TensorESK_SK_EERKSK_lbbbEUlllE0_EEPmJS9_EEE10hipError_tPvRmT3_T4_T5_T6_T7_T9_mT8_P12ihipStream_tbDpT10_ENKUlT_T0_E_clISt17integral_constantIbLb1EES19_IbLb0EEEEDaS15_S16_EUlS15_E_NS1_11comp_targetILNS1_3genE2ELNS1_11target_archE906ELNS1_3gpuE6ELNS1_3repE0EEENS1_30default_config_static_selectorELNS0_4arch9wavefront6targetE0EEEvT1_,comdat
.Lfunc_end1469:
	.size	_ZN7rocprim17ROCPRIM_400000_NS6detail17trampoline_kernelINS0_14default_configENS1_25partition_config_selectorILNS1_17partition_subalgoE9EllbEEZZNS1_14partition_implILS5_9ELb0ES3_jPlS8_PNS0_10empty_typeENS0_5tupleIJS8_S9_EEENSB_IJS8_SA_EEENS0_18inequality_wrapperIZN2at6native12_GLOBAL__N_124unique_dim_cuda_templateItEESt5tupleIJNSF_6TensorESK_SK_EERKSK_lbbbEUlllE0_EEPmJS9_EEE10hipError_tPvRmT3_T4_T5_T6_T7_T9_mT8_P12ihipStream_tbDpT10_ENKUlT_T0_E_clISt17integral_constantIbLb1EES19_IbLb0EEEEDaS15_S16_EUlS15_E_NS1_11comp_targetILNS1_3genE2ELNS1_11target_archE906ELNS1_3gpuE6ELNS1_3repE0EEENS1_30default_config_static_selectorELNS0_4arch9wavefront6targetE0EEEvT1_, .Lfunc_end1469-_ZN7rocprim17ROCPRIM_400000_NS6detail17trampoline_kernelINS0_14default_configENS1_25partition_config_selectorILNS1_17partition_subalgoE9EllbEEZZNS1_14partition_implILS5_9ELb0ES3_jPlS8_PNS0_10empty_typeENS0_5tupleIJS8_S9_EEENSB_IJS8_SA_EEENS0_18inequality_wrapperIZN2at6native12_GLOBAL__N_124unique_dim_cuda_templateItEESt5tupleIJNSF_6TensorESK_SK_EERKSK_lbbbEUlllE0_EEPmJS9_EEE10hipError_tPvRmT3_T4_T5_T6_T7_T9_mT8_P12ihipStream_tbDpT10_ENKUlT_T0_E_clISt17integral_constantIbLb1EES19_IbLb0EEEEDaS15_S16_EUlS15_E_NS1_11comp_targetILNS1_3genE2ELNS1_11target_archE906ELNS1_3gpuE6ELNS1_3repE0EEENS1_30default_config_static_selectorELNS0_4arch9wavefront6targetE0EEEvT1_
                                        ; -- End function
	.section	.AMDGPU.csdata,"",@progbits
; Kernel info:
; codeLenInByte = 0
; NumSgprs: 0
; NumVgprs: 0
; ScratchSize: 0
; MemoryBound: 0
; FloatMode: 240
; IeeeMode: 1
; LDSByteSize: 0 bytes/workgroup (compile time only)
; SGPRBlocks: 0
; VGPRBlocks: 0
; NumSGPRsForWavesPerEU: 1
; NumVGPRsForWavesPerEU: 1
; Occupancy: 15
; WaveLimiterHint : 0
; COMPUTE_PGM_RSRC2:SCRATCH_EN: 0
; COMPUTE_PGM_RSRC2:USER_SGPR: 15
; COMPUTE_PGM_RSRC2:TRAP_HANDLER: 0
; COMPUTE_PGM_RSRC2:TGID_X_EN: 1
; COMPUTE_PGM_RSRC2:TGID_Y_EN: 0
; COMPUTE_PGM_RSRC2:TGID_Z_EN: 0
; COMPUTE_PGM_RSRC2:TIDIG_COMP_CNT: 0
	.section	.text._ZN7rocprim17ROCPRIM_400000_NS6detail17trampoline_kernelINS0_14default_configENS1_25partition_config_selectorILNS1_17partition_subalgoE9EllbEEZZNS1_14partition_implILS5_9ELb0ES3_jPlS8_PNS0_10empty_typeENS0_5tupleIJS8_S9_EEENSB_IJS8_SA_EEENS0_18inequality_wrapperIZN2at6native12_GLOBAL__N_124unique_dim_cuda_templateItEESt5tupleIJNSF_6TensorESK_SK_EERKSK_lbbbEUlllE0_EEPmJS9_EEE10hipError_tPvRmT3_T4_T5_T6_T7_T9_mT8_P12ihipStream_tbDpT10_ENKUlT_T0_E_clISt17integral_constantIbLb1EES19_IbLb0EEEEDaS15_S16_EUlS15_E_NS1_11comp_targetILNS1_3genE10ELNS1_11target_archE1200ELNS1_3gpuE4ELNS1_3repE0EEENS1_30default_config_static_selectorELNS0_4arch9wavefront6targetE0EEEvT1_,"axG",@progbits,_ZN7rocprim17ROCPRIM_400000_NS6detail17trampoline_kernelINS0_14default_configENS1_25partition_config_selectorILNS1_17partition_subalgoE9EllbEEZZNS1_14partition_implILS5_9ELb0ES3_jPlS8_PNS0_10empty_typeENS0_5tupleIJS8_S9_EEENSB_IJS8_SA_EEENS0_18inequality_wrapperIZN2at6native12_GLOBAL__N_124unique_dim_cuda_templateItEESt5tupleIJNSF_6TensorESK_SK_EERKSK_lbbbEUlllE0_EEPmJS9_EEE10hipError_tPvRmT3_T4_T5_T6_T7_T9_mT8_P12ihipStream_tbDpT10_ENKUlT_T0_E_clISt17integral_constantIbLb1EES19_IbLb0EEEEDaS15_S16_EUlS15_E_NS1_11comp_targetILNS1_3genE10ELNS1_11target_archE1200ELNS1_3gpuE4ELNS1_3repE0EEENS1_30default_config_static_selectorELNS0_4arch9wavefront6targetE0EEEvT1_,comdat
	.globl	_ZN7rocprim17ROCPRIM_400000_NS6detail17trampoline_kernelINS0_14default_configENS1_25partition_config_selectorILNS1_17partition_subalgoE9EllbEEZZNS1_14partition_implILS5_9ELb0ES3_jPlS8_PNS0_10empty_typeENS0_5tupleIJS8_S9_EEENSB_IJS8_SA_EEENS0_18inequality_wrapperIZN2at6native12_GLOBAL__N_124unique_dim_cuda_templateItEESt5tupleIJNSF_6TensorESK_SK_EERKSK_lbbbEUlllE0_EEPmJS9_EEE10hipError_tPvRmT3_T4_T5_T6_T7_T9_mT8_P12ihipStream_tbDpT10_ENKUlT_T0_E_clISt17integral_constantIbLb1EES19_IbLb0EEEEDaS15_S16_EUlS15_E_NS1_11comp_targetILNS1_3genE10ELNS1_11target_archE1200ELNS1_3gpuE4ELNS1_3repE0EEENS1_30default_config_static_selectorELNS0_4arch9wavefront6targetE0EEEvT1_ ; -- Begin function _ZN7rocprim17ROCPRIM_400000_NS6detail17trampoline_kernelINS0_14default_configENS1_25partition_config_selectorILNS1_17partition_subalgoE9EllbEEZZNS1_14partition_implILS5_9ELb0ES3_jPlS8_PNS0_10empty_typeENS0_5tupleIJS8_S9_EEENSB_IJS8_SA_EEENS0_18inequality_wrapperIZN2at6native12_GLOBAL__N_124unique_dim_cuda_templateItEESt5tupleIJNSF_6TensorESK_SK_EERKSK_lbbbEUlllE0_EEPmJS9_EEE10hipError_tPvRmT3_T4_T5_T6_T7_T9_mT8_P12ihipStream_tbDpT10_ENKUlT_T0_E_clISt17integral_constantIbLb1EES19_IbLb0EEEEDaS15_S16_EUlS15_E_NS1_11comp_targetILNS1_3genE10ELNS1_11target_archE1200ELNS1_3gpuE4ELNS1_3repE0EEENS1_30default_config_static_selectorELNS0_4arch9wavefront6targetE0EEEvT1_
	.p2align	8
	.type	_ZN7rocprim17ROCPRIM_400000_NS6detail17trampoline_kernelINS0_14default_configENS1_25partition_config_selectorILNS1_17partition_subalgoE9EllbEEZZNS1_14partition_implILS5_9ELb0ES3_jPlS8_PNS0_10empty_typeENS0_5tupleIJS8_S9_EEENSB_IJS8_SA_EEENS0_18inequality_wrapperIZN2at6native12_GLOBAL__N_124unique_dim_cuda_templateItEESt5tupleIJNSF_6TensorESK_SK_EERKSK_lbbbEUlllE0_EEPmJS9_EEE10hipError_tPvRmT3_T4_T5_T6_T7_T9_mT8_P12ihipStream_tbDpT10_ENKUlT_T0_E_clISt17integral_constantIbLb1EES19_IbLb0EEEEDaS15_S16_EUlS15_E_NS1_11comp_targetILNS1_3genE10ELNS1_11target_archE1200ELNS1_3gpuE4ELNS1_3repE0EEENS1_30default_config_static_selectorELNS0_4arch9wavefront6targetE0EEEvT1_,@function
_ZN7rocprim17ROCPRIM_400000_NS6detail17trampoline_kernelINS0_14default_configENS1_25partition_config_selectorILNS1_17partition_subalgoE9EllbEEZZNS1_14partition_implILS5_9ELb0ES3_jPlS8_PNS0_10empty_typeENS0_5tupleIJS8_S9_EEENSB_IJS8_SA_EEENS0_18inequality_wrapperIZN2at6native12_GLOBAL__N_124unique_dim_cuda_templateItEESt5tupleIJNSF_6TensorESK_SK_EERKSK_lbbbEUlllE0_EEPmJS9_EEE10hipError_tPvRmT3_T4_T5_T6_T7_T9_mT8_P12ihipStream_tbDpT10_ENKUlT_T0_E_clISt17integral_constantIbLb1EES19_IbLb0EEEEDaS15_S16_EUlS15_E_NS1_11comp_targetILNS1_3genE10ELNS1_11target_archE1200ELNS1_3gpuE4ELNS1_3repE0EEENS1_30default_config_static_selectorELNS0_4arch9wavefront6targetE0EEEvT1_: ; @_ZN7rocprim17ROCPRIM_400000_NS6detail17trampoline_kernelINS0_14default_configENS1_25partition_config_selectorILNS1_17partition_subalgoE9EllbEEZZNS1_14partition_implILS5_9ELb0ES3_jPlS8_PNS0_10empty_typeENS0_5tupleIJS8_S9_EEENSB_IJS8_SA_EEENS0_18inequality_wrapperIZN2at6native12_GLOBAL__N_124unique_dim_cuda_templateItEESt5tupleIJNSF_6TensorESK_SK_EERKSK_lbbbEUlllE0_EEPmJS9_EEE10hipError_tPvRmT3_T4_T5_T6_T7_T9_mT8_P12ihipStream_tbDpT10_ENKUlT_T0_E_clISt17integral_constantIbLb1EES19_IbLb0EEEEDaS15_S16_EUlS15_E_NS1_11comp_targetILNS1_3genE10ELNS1_11target_archE1200ELNS1_3gpuE4ELNS1_3repE0EEENS1_30default_config_static_selectorELNS0_4arch9wavefront6targetE0EEEvT1_
; %bb.0:
	.section	.rodata,"a",@progbits
	.p2align	6, 0x0
	.amdhsa_kernel _ZN7rocprim17ROCPRIM_400000_NS6detail17trampoline_kernelINS0_14default_configENS1_25partition_config_selectorILNS1_17partition_subalgoE9EllbEEZZNS1_14partition_implILS5_9ELb0ES3_jPlS8_PNS0_10empty_typeENS0_5tupleIJS8_S9_EEENSB_IJS8_SA_EEENS0_18inequality_wrapperIZN2at6native12_GLOBAL__N_124unique_dim_cuda_templateItEESt5tupleIJNSF_6TensorESK_SK_EERKSK_lbbbEUlllE0_EEPmJS9_EEE10hipError_tPvRmT3_T4_T5_T6_T7_T9_mT8_P12ihipStream_tbDpT10_ENKUlT_T0_E_clISt17integral_constantIbLb1EES19_IbLb0EEEEDaS15_S16_EUlS15_E_NS1_11comp_targetILNS1_3genE10ELNS1_11target_archE1200ELNS1_3gpuE4ELNS1_3repE0EEENS1_30default_config_static_selectorELNS0_4arch9wavefront6targetE0EEEvT1_
		.amdhsa_group_segment_fixed_size 0
		.amdhsa_private_segment_fixed_size 0
		.amdhsa_kernarg_size 120
		.amdhsa_user_sgpr_count 15
		.amdhsa_user_sgpr_dispatch_ptr 0
		.amdhsa_user_sgpr_queue_ptr 0
		.amdhsa_user_sgpr_kernarg_segment_ptr 1
		.amdhsa_user_sgpr_dispatch_id 0
		.amdhsa_user_sgpr_private_segment_size 0
		.amdhsa_wavefront_size32 1
		.amdhsa_uses_dynamic_stack 0
		.amdhsa_enable_private_segment 0
		.amdhsa_system_sgpr_workgroup_id_x 1
		.amdhsa_system_sgpr_workgroup_id_y 0
		.amdhsa_system_sgpr_workgroup_id_z 0
		.amdhsa_system_sgpr_workgroup_info 0
		.amdhsa_system_vgpr_workitem_id 0
		.amdhsa_next_free_vgpr 1
		.amdhsa_next_free_sgpr 1
		.amdhsa_reserve_vcc 0
		.amdhsa_float_round_mode_32 0
		.amdhsa_float_round_mode_16_64 0
		.amdhsa_float_denorm_mode_32 3
		.amdhsa_float_denorm_mode_16_64 3
		.amdhsa_dx10_clamp 1
		.amdhsa_ieee_mode 1
		.amdhsa_fp16_overflow 0
		.amdhsa_workgroup_processor_mode 1
		.amdhsa_memory_ordered 1
		.amdhsa_forward_progress 0
		.amdhsa_shared_vgpr_count 0
		.amdhsa_exception_fp_ieee_invalid_op 0
		.amdhsa_exception_fp_denorm_src 0
		.amdhsa_exception_fp_ieee_div_zero 0
		.amdhsa_exception_fp_ieee_overflow 0
		.amdhsa_exception_fp_ieee_underflow 0
		.amdhsa_exception_fp_ieee_inexact 0
		.amdhsa_exception_int_div_zero 0
	.end_amdhsa_kernel
	.section	.text._ZN7rocprim17ROCPRIM_400000_NS6detail17trampoline_kernelINS0_14default_configENS1_25partition_config_selectorILNS1_17partition_subalgoE9EllbEEZZNS1_14partition_implILS5_9ELb0ES3_jPlS8_PNS0_10empty_typeENS0_5tupleIJS8_S9_EEENSB_IJS8_SA_EEENS0_18inequality_wrapperIZN2at6native12_GLOBAL__N_124unique_dim_cuda_templateItEESt5tupleIJNSF_6TensorESK_SK_EERKSK_lbbbEUlllE0_EEPmJS9_EEE10hipError_tPvRmT3_T4_T5_T6_T7_T9_mT8_P12ihipStream_tbDpT10_ENKUlT_T0_E_clISt17integral_constantIbLb1EES19_IbLb0EEEEDaS15_S16_EUlS15_E_NS1_11comp_targetILNS1_3genE10ELNS1_11target_archE1200ELNS1_3gpuE4ELNS1_3repE0EEENS1_30default_config_static_selectorELNS0_4arch9wavefront6targetE0EEEvT1_,"axG",@progbits,_ZN7rocprim17ROCPRIM_400000_NS6detail17trampoline_kernelINS0_14default_configENS1_25partition_config_selectorILNS1_17partition_subalgoE9EllbEEZZNS1_14partition_implILS5_9ELb0ES3_jPlS8_PNS0_10empty_typeENS0_5tupleIJS8_S9_EEENSB_IJS8_SA_EEENS0_18inequality_wrapperIZN2at6native12_GLOBAL__N_124unique_dim_cuda_templateItEESt5tupleIJNSF_6TensorESK_SK_EERKSK_lbbbEUlllE0_EEPmJS9_EEE10hipError_tPvRmT3_T4_T5_T6_T7_T9_mT8_P12ihipStream_tbDpT10_ENKUlT_T0_E_clISt17integral_constantIbLb1EES19_IbLb0EEEEDaS15_S16_EUlS15_E_NS1_11comp_targetILNS1_3genE10ELNS1_11target_archE1200ELNS1_3gpuE4ELNS1_3repE0EEENS1_30default_config_static_selectorELNS0_4arch9wavefront6targetE0EEEvT1_,comdat
.Lfunc_end1470:
	.size	_ZN7rocprim17ROCPRIM_400000_NS6detail17trampoline_kernelINS0_14default_configENS1_25partition_config_selectorILNS1_17partition_subalgoE9EllbEEZZNS1_14partition_implILS5_9ELb0ES3_jPlS8_PNS0_10empty_typeENS0_5tupleIJS8_S9_EEENSB_IJS8_SA_EEENS0_18inequality_wrapperIZN2at6native12_GLOBAL__N_124unique_dim_cuda_templateItEESt5tupleIJNSF_6TensorESK_SK_EERKSK_lbbbEUlllE0_EEPmJS9_EEE10hipError_tPvRmT3_T4_T5_T6_T7_T9_mT8_P12ihipStream_tbDpT10_ENKUlT_T0_E_clISt17integral_constantIbLb1EES19_IbLb0EEEEDaS15_S16_EUlS15_E_NS1_11comp_targetILNS1_3genE10ELNS1_11target_archE1200ELNS1_3gpuE4ELNS1_3repE0EEENS1_30default_config_static_selectorELNS0_4arch9wavefront6targetE0EEEvT1_, .Lfunc_end1470-_ZN7rocprim17ROCPRIM_400000_NS6detail17trampoline_kernelINS0_14default_configENS1_25partition_config_selectorILNS1_17partition_subalgoE9EllbEEZZNS1_14partition_implILS5_9ELb0ES3_jPlS8_PNS0_10empty_typeENS0_5tupleIJS8_S9_EEENSB_IJS8_SA_EEENS0_18inequality_wrapperIZN2at6native12_GLOBAL__N_124unique_dim_cuda_templateItEESt5tupleIJNSF_6TensorESK_SK_EERKSK_lbbbEUlllE0_EEPmJS9_EEE10hipError_tPvRmT3_T4_T5_T6_T7_T9_mT8_P12ihipStream_tbDpT10_ENKUlT_T0_E_clISt17integral_constantIbLb1EES19_IbLb0EEEEDaS15_S16_EUlS15_E_NS1_11comp_targetILNS1_3genE10ELNS1_11target_archE1200ELNS1_3gpuE4ELNS1_3repE0EEENS1_30default_config_static_selectorELNS0_4arch9wavefront6targetE0EEEvT1_
                                        ; -- End function
	.section	.AMDGPU.csdata,"",@progbits
; Kernel info:
; codeLenInByte = 0
; NumSgprs: 0
; NumVgprs: 0
; ScratchSize: 0
; MemoryBound: 0
; FloatMode: 240
; IeeeMode: 1
; LDSByteSize: 0 bytes/workgroup (compile time only)
; SGPRBlocks: 0
; VGPRBlocks: 0
; NumSGPRsForWavesPerEU: 1
; NumVGPRsForWavesPerEU: 1
; Occupancy: 15
; WaveLimiterHint : 0
; COMPUTE_PGM_RSRC2:SCRATCH_EN: 0
; COMPUTE_PGM_RSRC2:USER_SGPR: 15
; COMPUTE_PGM_RSRC2:TRAP_HANDLER: 0
; COMPUTE_PGM_RSRC2:TGID_X_EN: 1
; COMPUTE_PGM_RSRC2:TGID_Y_EN: 0
; COMPUTE_PGM_RSRC2:TGID_Z_EN: 0
; COMPUTE_PGM_RSRC2:TIDIG_COMP_CNT: 0
	.section	.text._ZN7rocprim17ROCPRIM_400000_NS6detail17trampoline_kernelINS0_14default_configENS1_25partition_config_selectorILNS1_17partition_subalgoE9EllbEEZZNS1_14partition_implILS5_9ELb0ES3_jPlS8_PNS0_10empty_typeENS0_5tupleIJS8_S9_EEENSB_IJS8_SA_EEENS0_18inequality_wrapperIZN2at6native12_GLOBAL__N_124unique_dim_cuda_templateItEESt5tupleIJNSF_6TensorESK_SK_EERKSK_lbbbEUlllE0_EEPmJS9_EEE10hipError_tPvRmT3_T4_T5_T6_T7_T9_mT8_P12ihipStream_tbDpT10_ENKUlT_T0_E_clISt17integral_constantIbLb1EES19_IbLb0EEEEDaS15_S16_EUlS15_E_NS1_11comp_targetILNS1_3genE9ELNS1_11target_archE1100ELNS1_3gpuE3ELNS1_3repE0EEENS1_30default_config_static_selectorELNS0_4arch9wavefront6targetE0EEEvT1_,"axG",@progbits,_ZN7rocprim17ROCPRIM_400000_NS6detail17trampoline_kernelINS0_14default_configENS1_25partition_config_selectorILNS1_17partition_subalgoE9EllbEEZZNS1_14partition_implILS5_9ELb0ES3_jPlS8_PNS0_10empty_typeENS0_5tupleIJS8_S9_EEENSB_IJS8_SA_EEENS0_18inequality_wrapperIZN2at6native12_GLOBAL__N_124unique_dim_cuda_templateItEESt5tupleIJNSF_6TensorESK_SK_EERKSK_lbbbEUlllE0_EEPmJS9_EEE10hipError_tPvRmT3_T4_T5_T6_T7_T9_mT8_P12ihipStream_tbDpT10_ENKUlT_T0_E_clISt17integral_constantIbLb1EES19_IbLb0EEEEDaS15_S16_EUlS15_E_NS1_11comp_targetILNS1_3genE9ELNS1_11target_archE1100ELNS1_3gpuE3ELNS1_3repE0EEENS1_30default_config_static_selectorELNS0_4arch9wavefront6targetE0EEEvT1_,comdat
	.globl	_ZN7rocprim17ROCPRIM_400000_NS6detail17trampoline_kernelINS0_14default_configENS1_25partition_config_selectorILNS1_17partition_subalgoE9EllbEEZZNS1_14partition_implILS5_9ELb0ES3_jPlS8_PNS0_10empty_typeENS0_5tupleIJS8_S9_EEENSB_IJS8_SA_EEENS0_18inequality_wrapperIZN2at6native12_GLOBAL__N_124unique_dim_cuda_templateItEESt5tupleIJNSF_6TensorESK_SK_EERKSK_lbbbEUlllE0_EEPmJS9_EEE10hipError_tPvRmT3_T4_T5_T6_T7_T9_mT8_P12ihipStream_tbDpT10_ENKUlT_T0_E_clISt17integral_constantIbLb1EES19_IbLb0EEEEDaS15_S16_EUlS15_E_NS1_11comp_targetILNS1_3genE9ELNS1_11target_archE1100ELNS1_3gpuE3ELNS1_3repE0EEENS1_30default_config_static_selectorELNS0_4arch9wavefront6targetE0EEEvT1_ ; -- Begin function _ZN7rocprim17ROCPRIM_400000_NS6detail17trampoline_kernelINS0_14default_configENS1_25partition_config_selectorILNS1_17partition_subalgoE9EllbEEZZNS1_14partition_implILS5_9ELb0ES3_jPlS8_PNS0_10empty_typeENS0_5tupleIJS8_S9_EEENSB_IJS8_SA_EEENS0_18inequality_wrapperIZN2at6native12_GLOBAL__N_124unique_dim_cuda_templateItEESt5tupleIJNSF_6TensorESK_SK_EERKSK_lbbbEUlllE0_EEPmJS9_EEE10hipError_tPvRmT3_T4_T5_T6_T7_T9_mT8_P12ihipStream_tbDpT10_ENKUlT_T0_E_clISt17integral_constantIbLb1EES19_IbLb0EEEEDaS15_S16_EUlS15_E_NS1_11comp_targetILNS1_3genE9ELNS1_11target_archE1100ELNS1_3gpuE3ELNS1_3repE0EEENS1_30default_config_static_selectorELNS0_4arch9wavefront6targetE0EEEvT1_
	.p2align	8
	.type	_ZN7rocprim17ROCPRIM_400000_NS6detail17trampoline_kernelINS0_14default_configENS1_25partition_config_selectorILNS1_17partition_subalgoE9EllbEEZZNS1_14partition_implILS5_9ELb0ES3_jPlS8_PNS0_10empty_typeENS0_5tupleIJS8_S9_EEENSB_IJS8_SA_EEENS0_18inequality_wrapperIZN2at6native12_GLOBAL__N_124unique_dim_cuda_templateItEESt5tupleIJNSF_6TensorESK_SK_EERKSK_lbbbEUlllE0_EEPmJS9_EEE10hipError_tPvRmT3_T4_T5_T6_T7_T9_mT8_P12ihipStream_tbDpT10_ENKUlT_T0_E_clISt17integral_constantIbLb1EES19_IbLb0EEEEDaS15_S16_EUlS15_E_NS1_11comp_targetILNS1_3genE9ELNS1_11target_archE1100ELNS1_3gpuE3ELNS1_3repE0EEENS1_30default_config_static_selectorELNS0_4arch9wavefront6targetE0EEEvT1_,@function
_ZN7rocprim17ROCPRIM_400000_NS6detail17trampoline_kernelINS0_14default_configENS1_25partition_config_selectorILNS1_17partition_subalgoE9EllbEEZZNS1_14partition_implILS5_9ELb0ES3_jPlS8_PNS0_10empty_typeENS0_5tupleIJS8_S9_EEENSB_IJS8_SA_EEENS0_18inequality_wrapperIZN2at6native12_GLOBAL__N_124unique_dim_cuda_templateItEESt5tupleIJNSF_6TensorESK_SK_EERKSK_lbbbEUlllE0_EEPmJS9_EEE10hipError_tPvRmT3_T4_T5_T6_T7_T9_mT8_P12ihipStream_tbDpT10_ENKUlT_T0_E_clISt17integral_constantIbLb1EES19_IbLb0EEEEDaS15_S16_EUlS15_E_NS1_11comp_targetILNS1_3genE9ELNS1_11target_archE1100ELNS1_3gpuE3ELNS1_3repE0EEENS1_30default_config_static_selectorELNS0_4arch9wavefront6targetE0EEEvT1_: ; @_ZN7rocprim17ROCPRIM_400000_NS6detail17trampoline_kernelINS0_14default_configENS1_25partition_config_selectorILNS1_17partition_subalgoE9EllbEEZZNS1_14partition_implILS5_9ELb0ES3_jPlS8_PNS0_10empty_typeENS0_5tupleIJS8_S9_EEENSB_IJS8_SA_EEENS0_18inequality_wrapperIZN2at6native12_GLOBAL__N_124unique_dim_cuda_templateItEESt5tupleIJNSF_6TensorESK_SK_EERKSK_lbbbEUlllE0_EEPmJS9_EEE10hipError_tPvRmT3_T4_T5_T6_T7_T9_mT8_P12ihipStream_tbDpT10_ENKUlT_T0_E_clISt17integral_constantIbLb1EES19_IbLb0EEEEDaS15_S16_EUlS15_E_NS1_11comp_targetILNS1_3genE9ELNS1_11target_archE1100ELNS1_3gpuE3ELNS1_3repE0EEENS1_30default_config_static_selectorELNS0_4arch9wavefront6targetE0EEEvT1_
; %bb.0:
	s_clause 0x3
	s_load_b128 s[4:7], s[0:1], 0x8
	s_load_b32 s8, s[0:1], 0x70
	s_load_b256 s[16:23], s[0:1], 0x40
	s_load_b64 s[24:25], s[0:1], 0x18
	s_mov_b32 s3, 0
	v_lshlrev_b32_e32 v55, 3, v0
	v_lshrrev_b32_e32 v33, 2, v0
	v_or_b32_e32 v38, 0x200, v0
	v_or_b32_e32 v36, 0x400, v0
	;; [unrolled: 1-line block ×7, first 2 shown]
	s_waitcnt lgkmcnt(0)
	s_lshl_b64 s[26:27], s[6:7], 3
	s_delay_alu instid0(SALU_CYCLE_1)
	s_add_u32 s9, s4, s26
	s_addc_u32 s10, s5, s27
	s_add_i32 s11, s8, -1
	s_load_b64 s[12:13], s[18:19], 0x0
	s_lshl_b32 s4, s11, 12
	s_lshl_b32 s5, s8, 12
	s_add_i32 s4, s6, s4
	s_lshl_b32 s2, s15, 12
	s_sub_i32 s28, s20, s4
	s_add_u32 s4, s6, s5
	s_addc_u32 s5, s7, 0
	s_cmp_eq_u32 s15, s11
	v_cmp_ge_u64_e64 s4, s[4:5], s[20:21]
	s_cselect_b32 s14, -1, 0
	s_lshl_b64 s[18:19], s[2:3], 3
	s_mov_b32 s3, -1
	s_delay_alu instid0(VALU_DEP_1) | instskip(NEXT) | instid1(SALU_CYCLE_1)
	s_and_b32 s21, s14, s4
	s_xor_b32 s20, s21, -1
	s_add_u32 s4, s9, s18
	s_addc_u32 s5, s10, s19
	s_and_b32 vcc_lo, exec_lo, s20
	s_cbranch_vccz .LBB1471_2
; %bb.1:
	v_add_co_u32 v9, s2, s4, v55
	s_delay_alu instid0(VALU_DEP_1)
	v_add_co_ci_u32_e64 v10, null, s5, 0, s2
	global_load_b64 v[1:2], v55, s[4:5]
	v_add_co_u32 v3, vcc_lo, v9, 0x2000
	v_add_co_ci_u32_e32 v4, vcc_lo, 0, v10, vcc_lo
	v_add_co_u32 v5, vcc_lo, v9, 0x4000
	v_add_co_ci_u32_e32 v6, vcc_lo, 0, v10, vcc_lo
	;; [unrolled: 2-line block ×4, first 2 shown]
	s_clause 0x6
	global_load_b64 v[11:12], v[3:4], off offset:-4096
	global_load_b64 v[3:4], v[3:4], off
	global_load_b64 v[13:14], v[5:6], off offset:-4096
	global_load_b64 v[5:6], v[5:6], off
	;; [unrolled: 2-line block ×3, first 2 shown]
	global_load_b64 v[9:10], v[9:10], off
	v_lshrrev_b32_e32 v18, 2, v38
	v_lshrrev_b32_e32 v19, 2, v36
	;; [unrolled: 1-line block ×4, first 2 shown]
	v_and_b32_e32 v17, 0x78, v33
	v_lshrrev_b32_e32 v22, 2, v37
	v_lshrrev_b32_e32 v23, 2, v34
	;; [unrolled: 1-line block ×3, first 2 shown]
	v_and_b32_e32 v18, 0xf8, v18
	v_and_b32_e32 v19, 0x178, v19
	;; [unrolled: 1-line block ×4, first 2 shown]
	v_add_nc_u32_e32 v17, v17, v55
	v_and_b32_e32 v22, 0x2f8, v22
	v_and_b32_e32 v23, 0x378, v23
	;; [unrolled: 1-line block ×3, first 2 shown]
	v_add_nc_u32_e32 v18, v18, v55
	v_add_nc_u32_e32 v19, v19, v55
	;; [unrolled: 1-line block ×4, first 2 shown]
	s_mov_b32 s3, 0
	v_add_nc_u32_e32 v22, v22, v55
	v_add_nc_u32_e32 v23, v23, v55
	;; [unrolled: 1-line block ×3, first 2 shown]
	s_waitcnt vmcnt(7)
	ds_store_b64 v17, v[1:2]
	s_waitcnt vmcnt(6)
	ds_store_b64 v18, v[11:12] offset:4096
	s_waitcnt vmcnt(5)
	ds_store_b64 v19, v[3:4] offset:8192
	;; [unrolled: 2-line block ×7, first 2 shown]
	s_waitcnt lgkmcnt(0)
	s_barrier
.LBB1471_2:
	s_load_b128 s[8:11], s[0:1], 0x60
	v_cmp_gt_u32_e64 s2, s28, v0
	s_and_not1_b32 vcc_lo, exec_lo, s3
	s_cbranch_vccnz .LBB1471_20
; %bb.3:
                                        ; implicit-def: $vgpr1_vgpr2_vgpr3_vgpr4_vgpr5_vgpr6_vgpr7_vgpr8_vgpr9_vgpr10_vgpr11_vgpr12_vgpr13_vgpr14_vgpr15_vgpr16
	s_delay_alu instid0(VALU_DEP_1)
	s_and_saveexec_b32 s3, s2
	s_cbranch_execz .LBB1471_11
; %bb.4:
	global_load_b64 v[1:2], v55, s[4:5]
	s_or_b32 exec_lo, exec_lo, s3
	s_delay_alu instid0(SALU_CYCLE_1)
	s_mov_b32 s2, exec_lo
	v_cmpx_gt_u32_e64 s28, v38
	s_cbranch_execnz .LBB1471_12
.LBB1471_5:
	s_or_b32 exec_lo, exec_lo, s2
	s_delay_alu instid0(SALU_CYCLE_1)
	s_mov_b32 s2, exec_lo
	v_cmpx_gt_u32_e64 s28, v36
	s_cbranch_execz .LBB1471_13
.LBB1471_6:
	v_lshlrev_b32_e32 v5, 3, v36
	global_load_b64 v[5:6], v5, s[4:5]
	s_or_b32 exec_lo, exec_lo, s2
	s_delay_alu instid0(SALU_CYCLE_1)
	s_mov_b32 s2, exec_lo
	v_cmpx_gt_u32_e64 s28, v40
	s_cbranch_execnz .LBB1471_14
.LBB1471_7:
	s_or_b32 exec_lo, exec_lo, s2
	s_delay_alu instid0(SALU_CYCLE_1)
	s_mov_b32 s2, exec_lo
	v_cmpx_gt_u32_e64 s28, v39
	s_cbranch_execz .LBB1471_15
.LBB1471_8:
	v_lshlrev_b32_e32 v9, 3, v39
	global_load_b64 v[9:10], v9, s[4:5]
	s_or_b32 exec_lo, exec_lo, s2
	s_delay_alu instid0(SALU_CYCLE_1)
	s_mov_b32 s2, exec_lo
	v_cmpx_gt_u32_e64 s28, v37
	s_cbranch_execnz .LBB1471_16
.LBB1471_9:
	s_or_b32 exec_lo, exec_lo, s2
	s_delay_alu instid0(SALU_CYCLE_1)
	s_mov_b32 s2, exec_lo
	v_cmpx_gt_u32_e64 s28, v34
	s_cbranch_execz .LBB1471_17
.LBB1471_10:
	v_lshlrev_b32_e32 v13, 3, v34
	global_load_b64 v[13:14], v13, s[4:5]
	s_or_b32 exec_lo, exec_lo, s2
	s_delay_alu instid0(SALU_CYCLE_1)
	s_mov_b32 s2, exec_lo
	v_cmpx_gt_u32_e64 s28, v35
	s_cbranch_execnz .LBB1471_18
	s_branch .LBB1471_19
.LBB1471_11:
	s_or_b32 exec_lo, exec_lo, s3
	s_delay_alu instid0(SALU_CYCLE_1)
	s_mov_b32 s2, exec_lo
	v_cmpx_gt_u32_e64 s28, v38
	s_cbranch_execz .LBB1471_5
.LBB1471_12:
	v_lshlrev_b32_e32 v3, 3, v38
	global_load_b64 v[3:4], v3, s[4:5]
	s_or_b32 exec_lo, exec_lo, s2
	s_delay_alu instid0(SALU_CYCLE_1)
	s_mov_b32 s2, exec_lo
	v_cmpx_gt_u32_e64 s28, v36
	s_cbranch_execnz .LBB1471_6
.LBB1471_13:
	s_or_b32 exec_lo, exec_lo, s2
	s_delay_alu instid0(SALU_CYCLE_1)
	s_mov_b32 s2, exec_lo
	v_cmpx_gt_u32_e64 s28, v40
	s_cbranch_execz .LBB1471_7
.LBB1471_14:
	v_lshlrev_b32_e32 v7, 3, v40
	global_load_b64 v[7:8], v7, s[4:5]
	s_or_b32 exec_lo, exec_lo, s2
	s_delay_alu instid0(SALU_CYCLE_1)
	s_mov_b32 s2, exec_lo
	v_cmpx_gt_u32_e64 s28, v39
	s_cbranch_execnz .LBB1471_8
.LBB1471_15:
	s_or_b32 exec_lo, exec_lo, s2
	s_delay_alu instid0(SALU_CYCLE_1)
	s_mov_b32 s2, exec_lo
	v_cmpx_gt_u32_e64 s28, v37
	s_cbranch_execz .LBB1471_9
.LBB1471_16:
	v_lshlrev_b32_e32 v11, 3, v37
	global_load_b64 v[11:12], v11, s[4:5]
	s_or_b32 exec_lo, exec_lo, s2
	s_delay_alu instid0(SALU_CYCLE_1)
	s_mov_b32 s2, exec_lo
	v_cmpx_gt_u32_e64 s28, v34
	s_cbranch_execnz .LBB1471_10
.LBB1471_17:
	s_or_b32 exec_lo, exec_lo, s2
	s_delay_alu instid0(SALU_CYCLE_1)
	s_mov_b32 s2, exec_lo
	v_cmpx_gt_u32_e64 s28, v35
	s_cbranch_execz .LBB1471_19
.LBB1471_18:
	v_lshlrev_b32_e32 v15, 3, v35
	global_load_b64 v[15:16], v15, s[4:5]
.LBB1471_19:
	s_or_b32 exec_lo, exec_lo, s2
	v_lshrrev_b32_e32 v17, 2, v38
	v_lshrrev_b32_e32 v18, 2, v36
	;; [unrolled: 1-line block ×4, first 2 shown]
	v_and_b32_e32 v19, 0x78, v33
	v_lshrrev_b32_e32 v22, 2, v37
	v_lshrrev_b32_e32 v23, 2, v34
	;; [unrolled: 1-line block ×3, first 2 shown]
	v_and_b32_e32 v17, 0xf8, v17
	v_and_b32_e32 v18, 0x1f8, v18
	;; [unrolled: 1-line block ×4, first 2 shown]
	v_add_nc_u32_e32 v19, v19, v55
	v_and_b32_e32 v22, 0x3f8, v22
	v_and_b32_e32 v23, 0x3f8, v23
	;; [unrolled: 1-line block ×3, first 2 shown]
	v_add_nc_u32_e32 v17, v17, v55
	v_add_nc_u32_e32 v18, v18, v55
	;; [unrolled: 1-line block ×7, first 2 shown]
	s_waitcnt vmcnt(0)
	ds_store_b64 v19, v[1:2]
	ds_store_b64 v17, v[3:4] offset:4096
	ds_store_b64 v18, v[5:6] offset:8192
	;; [unrolled: 1-line block ×7, first 2 shown]
	s_waitcnt lgkmcnt(0)
	s_barrier
.LBB1471_20:
	v_add_lshl_u32 v41, v33, v55, 3
	s_waitcnt lgkmcnt(0)
	buffer_gl0_inv
	s_add_u32 s2, s24, s26
	s_addc_u32 s3, s25, s27
	s_add_u32 s2, s2, s18
	ds_load_2addr_b64 v[29:32], v41 offset1:1
	ds_load_2addr_b64 v[25:28], v41 offset0:2 offset1:3
	ds_load_2addr_b64 v[21:24], v41 offset0:4 offset1:5
	;; [unrolled: 1-line block ×3, first 2 shown]
	s_addc_u32 s3, s3, s19
	s_and_b32 vcc_lo, exec_lo, s20
	s_mov_b32 s18, -1
	s_waitcnt lgkmcnt(0)
	s_barrier
	buffer_gl0_inv
	s_cbranch_vccz .LBB1471_22
; %bb.21:
	v_add_co_u32 v9, s18, s2, v55
	s_delay_alu instid0(VALU_DEP_1)
	v_add_co_ci_u32_e64 v10, null, s3, 0, s18
	global_load_b64 v[1:2], v55, s[2:3]
	v_add_co_u32 v3, vcc_lo, v9, 0x2000
	v_add_co_ci_u32_e32 v4, vcc_lo, 0, v10, vcc_lo
	v_add_co_u32 v5, vcc_lo, v9, 0x4000
	v_add_co_ci_u32_e32 v6, vcc_lo, 0, v10, vcc_lo
	;; [unrolled: 2-line block ×4, first 2 shown]
	s_clause 0x6
	global_load_b64 v[11:12], v[3:4], off offset:-4096
	global_load_b64 v[3:4], v[3:4], off
	global_load_b64 v[13:14], v[5:6], off offset:-4096
	global_load_b64 v[5:6], v[5:6], off
	;; [unrolled: 2-line block ×3, first 2 shown]
	global_load_b64 v[9:10], v[9:10], off
	v_lshrrev_b32_e32 v43, 2, v38
	v_lshrrev_b32_e32 v44, 2, v36
	;; [unrolled: 1-line block ×4, first 2 shown]
	v_and_b32_e32 v42, 0x78, v33
	v_lshrrev_b32_e32 v47, 2, v37
	v_lshrrev_b32_e32 v48, 2, v34
	;; [unrolled: 1-line block ×3, first 2 shown]
	v_and_b32_e32 v43, 0xf8, v43
	v_and_b32_e32 v44, 0x178, v44
	v_and_b32_e32 v45, 0x1f8, v45
	v_and_b32_e32 v46, 0x278, v46
	v_add_nc_u32_e32 v42, v42, v55
	v_and_b32_e32 v47, 0x2f8, v47
	v_and_b32_e32 v48, 0x378, v48
	;; [unrolled: 1-line block ×3, first 2 shown]
	v_add_nc_u32_e32 v43, v43, v55
	v_add_nc_u32_e32 v44, v44, v55
	;; [unrolled: 1-line block ×4, first 2 shown]
	s_mov_b32 s18, 0
	v_add_nc_u32_e32 v47, v47, v55
	v_add_nc_u32_e32 v48, v48, v55
	v_add_nc_u32_e32 v49, v49, v55
	s_waitcnt vmcnt(7)
	ds_store_b64 v42, v[1:2]
	s_waitcnt vmcnt(6)
	ds_store_b64 v43, v[11:12] offset:4096
	s_waitcnt vmcnt(5)
	ds_store_b64 v44, v[3:4] offset:8192
	;; [unrolled: 2-line block ×7, first 2 shown]
	s_waitcnt lgkmcnt(0)
	s_barrier
.LBB1471_22:
	s_and_not1_b32 vcc_lo, exec_lo, s18
	s_cbranch_vccnz .LBB1471_40
; %bb.23:
	s_mov_b32 s18, exec_lo
                                        ; implicit-def: $vgpr1_vgpr2
	v_cmpx_gt_u32_e64 s28, v0
	s_cbranch_execz .LBB1471_25
; %bb.24:
	global_load_b64 v[1:2], v55, s[2:3]
.LBB1471_25:
	s_or_b32 exec_lo, exec_lo, s18
	s_delay_alu instid0(SALU_CYCLE_1)
	s_mov_b32 s18, exec_lo
                                        ; implicit-def: $vgpr3_vgpr4
	v_cmpx_gt_u32_e64 s28, v38
	s_cbranch_execz .LBB1471_27
; %bb.26:
	v_lshlrev_b32_e32 v3, 3, v38
	global_load_b64 v[3:4], v3, s[2:3]
.LBB1471_27:
	s_or_b32 exec_lo, exec_lo, s18
	s_delay_alu instid0(SALU_CYCLE_1)
	s_mov_b32 s18, exec_lo
                                        ; implicit-def: $vgpr5_vgpr6
	v_cmpx_gt_u32_e64 s28, v36
	s_cbranch_execz .LBB1471_29
; %bb.28:
	v_lshlrev_b32_e32 v5, 3, v36
	global_load_b64 v[5:6], v5, s[2:3]
.LBB1471_29:
	s_or_b32 exec_lo, exec_lo, s18
	s_delay_alu instid0(SALU_CYCLE_1)
	s_mov_b32 s18, exec_lo
                                        ; implicit-def: $vgpr7_vgpr8
	v_cmpx_gt_u32_e64 s28, v40
	s_cbranch_execz .LBB1471_31
; %bb.30:
	v_lshlrev_b32_e32 v7, 3, v40
	global_load_b64 v[7:8], v7, s[2:3]
.LBB1471_31:
	s_or_b32 exec_lo, exec_lo, s18
	s_delay_alu instid0(SALU_CYCLE_1)
	s_mov_b32 s18, exec_lo
                                        ; implicit-def: $vgpr9_vgpr10
	v_cmpx_gt_u32_e64 s28, v39
	s_cbranch_execz .LBB1471_33
; %bb.32:
	v_lshlrev_b32_e32 v9, 3, v39
	global_load_b64 v[9:10], v9, s[2:3]
.LBB1471_33:
	s_or_b32 exec_lo, exec_lo, s18
	s_delay_alu instid0(SALU_CYCLE_1)
	s_mov_b32 s18, exec_lo
                                        ; implicit-def: $vgpr11_vgpr12
	v_cmpx_gt_u32_e64 s28, v37
	s_cbranch_execz .LBB1471_35
; %bb.34:
	v_lshlrev_b32_e32 v11, 3, v37
	global_load_b64 v[11:12], v11, s[2:3]
.LBB1471_35:
	s_or_b32 exec_lo, exec_lo, s18
	s_delay_alu instid0(SALU_CYCLE_1)
	s_mov_b32 s18, exec_lo
                                        ; implicit-def: $vgpr13_vgpr14
	v_cmpx_gt_u32_e64 s28, v34
	s_cbranch_execz .LBB1471_37
; %bb.36:
	v_lshlrev_b32_e32 v13, 3, v34
	global_load_b64 v[13:14], v13, s[2:3]
.LBB1471_37:
	s_or_b32 exec_lo, exec_lo, s18
	s_delay_alu instid0(SALU_CYCLE_1)
	s_mov_b32 s18, exec_lo
                                        ; implicit-def: $vgpr15_vgpr16
	v_cmpx_gt_u32_e64 s28, v35
	s_cbranch_execz .LBB1471_39
; %bb.38:
	v_lshlrev_b32_e32 v15, 3, v35
	global_load_b64 v[15:16], v15, s[2:3]
.LBB1471_39:
	s_or_b32 exec_lo, exec_lo, s18
	v_lshrrev_b32_e32 v38, 2, v38
	v_lshrrev_b32_e32 v36, 2, v36
	;; [unrolled: 1-line block ×4, first 2 shown]
	v_and_b32_e32 v33, 0x78, v33
	v_lshrrev_b32_e32 v37, 2, v37
	v_lshrrev_b32_e32 v34, 2, v34
	;; [unrolled: 1-line block ×3, first 2 shown]
	v_and_b32_e32 v38, 0xf8, v38
	v_and_b32_e32 v36, 0x1f8, v36
	;; [unrolled: 1-line block ×4, first 2 shown]
	v_add_nc_u32_e32 v33, v33, v55
	v_and_b32_e32 v37, 0x3f8, v37
	v_and_b32_e32 v34, 0x3f8, v34
	;; [unrolled: 1-line block ×3, first 2 shown]
	v_add_nc_u32_e32 v38, v38, v55
	v_add_nc_u32_e32 v36, v36, v55
	;; [unrolled: 1-line block ×7, first 2 shown]
	s_waitcnt vmcnt(0)
	ds_store_b64 v33, v[1:2]
	ds_store_b64 v38, v[3:4] offset:4096
	ds_store_b64 v36, v[5:6] offset:8192
	;; [unrolled: 1-line block ×7, first 2 shown]
	s_waitcnt lgkmcnt(0)
	s_barrier
.LBB1471_40:
	buffer_gl0_inv
	ds_load_2addr_b64 v[13:16], v41 offset1:1
	ds_load_2addr_b64 v[9:12], v41 offset0:2 offset1:3
	ds_load_2addr_b64 v[5:8], v41 offset0:4 offset1:5
	;; [unrolled: 1-line block ×3, first 2 shown]
	s_cmp_lg_u32 s15, 0
	v_cmp_gt_i64_e64 s25, s[22:23], 0
	s_cselect_b32 s24, -1, 0
	s_cmp_lg_u64 s[6:7], 0
	s_mov_b32 s3, 0
	s_cselect_b32 s2, -1, 0
	s_waitcnt lgkmcnt(0)
	s_or_b32 s2, s24, s2
	s_barrier
	s_and_b32 vcc_lo, exec_lo, s2
	buffer_gl0_inv
	s_cbranch_vccz .LBB1471_49
; %bb.41:
	s_add_u32 s2, s4, -8
	s_addc_u32 s3, s5, -1
	v_cndmask_b32_e64 v41, 0, 1, s25
	s_load_b64 s[4:5], s[2:3], 0x0
	s_and_b32 vcc_lo, exec_lo, s20
	ds_store_b64 v55, v[19:20]
	v_cmp_ne_u32_e64 s2, 1, v41
	s_cbranch_vccz .LBB1471_50
; %bb.42:
	v_mul_lo_u32 v35, v18, s22
	v_mul_lo_u32 v36, v17, s23
	v_mad_u64_u32 v[33:34], null, v17, s22, 0
	s_mov_b32 s3, 0
	s_and_b32 vcc_lo, exec_lo, s2
	s_mov_b32 s26, 0
	s_delay_alu instid0(VALU_DEP_1) | instskip(NEXT) | instid1(VALU_DEP_1)
	v_add3_u32 v34, v34, v36, v35
	v_lshlrev_b64 v[33:34], 1, v[33:34]
	s_cbranch_vccnz .LBB1471_53
; %bb.43:
	v_mul_lo_u32 v37, v20, s22
	v_mul_lo_u32 v38, v19, s23
	v_mad_u64_u32 v[35:36], null, v19, s22, 0
	s_mov_b32 s26, -1
	s_mov_b32 s27, exec_lo
	s_delay_alu instid0(VALU_DEP_1) | instskip(SKIP_2) | instid1(VALU_DEP_3)
	v_add3_u32 v36, v36, v38, v37
	v_add_co_u32 v37, vcc_lo, s8, v33
	v_add_co_ci_u32_e32 v38, vcc_lo, s9, v34, vcc_lo
	v_lshlrev_b64 v[35:36], 1, v[35:36]
	s_delay_alu instid0(VALU_DEP_1) | instskip(NEXT) | instid1(VALU_DEP_2)
	v_add_co_u32 v35, vcc_lo, s8, v35
	v_add_co_ci_u32_e32 v36, vcc_lo, s9, v36, vcc_lo
	s_clause 0x1
	global_load_u16 v39, v[37:38], off
	global_load_u16 v40, v[35:36], off
	s_waitcnt vmcnt(0)
	v_cmpx_eq_u16_e64 v39, v40
	s_cbranch_execz .LBB1471_52
; %bb.44:
	v_add_co_u32 v35, vcc_lo, v35, 2
	v_add_co_ci_u32_e32 v36, vcc_lo, 0, v36, vcc_lo
	v_add_co_u32 v37, vcc_lo, v37, 2
	v_add_co_ci_u32_e32 v38, vcc_lo, 0, v38, vcc_lo
	s_add_u32 s6, s22, -1
	s_addc_u32 s7, s23, -1
	s_mov_b64 s[18:19], 0
	s_mov_b32 s26, 0
                                        ; implicit-def: $sgpr29
	s_set_inst_prefetch_distance 0x1
	s_branch .LBB1471_47
	.p2align	6
.LBB1471_45:                            ;   in Loop: Header=BB1471_47 Depth=1
	global_load_u16 v39, v[37:38], off
	global_load_u16 v40, v[35:36], off
	v_add_co_u32 v35, vcc_lo, v35, 2
	v_add_co_ci_u32_e32 v36, vcc_lo, 0, v36, vcc_lo
	v_add_co_u32 v37, s2, v37, 2
	s_delay_alu instid0(VALU_DEP_1)
	v_add_co_ci_u32_e64 v38, s2, 0, v38, s2
	s_add_u32 s18, s18, 1
	s_addc_u32 s19, s19, 0
	s_and_not1_b32 s2, s29, exec_lo
	s_waitcnt vmcnt(0)
	v_cmp_ne_u16_e32 vcc_lo, v39, v40
	s_and_b32 s29, vcc_lo, exec_lo
	s_delay_alu instid0(SALU_CYCLE_1)
	s_or_b32 s29, s2, s29
.LBB1471_46:                            ;   in Loop: Header=BB1471_47 Depth=1
	v_dual_mov_b32 v40, s19 :: v_dual_mov_b32 v39, s18
	s_and_b32 s2, exec_lo, s29
	s_delay_alu instid0(SALU_CYCLE_1) | instskip(NEXT) | instid1(SALU_CYCLE_1)
	s_or_b32 s26, s2, s26
	s_and_not1_b32 exec_lo, exec_lo, s26
	s_cbranch_execz .LBB1471_51
.LBB1471_47:                            ; =>This Inner Loop Header: Depth=1
	s_or_b32 s29, s29, exec_lo
	s_cmp_eq_u64 s[6:7], s[18:19]
	s_cbranch_scc0 .LBB1471_45
; %bb.48:                               ;   in Loop: Header=BB1471_47 Depth=1
	s_mov_b64 s[18:19], s[22:23]
                                        ; implicit-def: $vgpr35_vgpr36
                                        ; implicit-def: $vgpr37_vgpr38
	s_branch .LBB1471_46
.LBB1471_49:
                                        ; implicit-def: $sgpr2
                                        ; implicit-def: $vgpr34
	s_branch .LBB1471_211
.LBB1471_50:
                                        ; implicit-def: $sgpr2
                                        ; implicit-def: $vgpr34
	s_cbranch_execnz .LBB1471_119
	s_branch .LBB1471_210
.LBB1471_51:
	s_set_inst_prefetch_distance 0x2
	s_or_b32 exec_lo, exec_lo, s26
	v_cmp_gt_i64_e32 vcc_lo, s[22:23], v[39:40]
	s_or_not1_b32 s26, vcc_lo, exec_lo
.LBB1471_52:
	s_or_b32 exec_lo, exec_lo, s27
.LBB1471_53:
	v_mul_lo_u32 v37, v24, s22
	v_mul_lo_u32 v38, v23, s23
	v_mad_u64_u32 v[35:36], null, v23, s22, 0
	s_and_not1_b32 vcc_lo, exec_lo, s25
	s_delay_alu instid0(VALU_DEP_1) | instskip(NEXT) | instid1(VALU_DEP_1)
	v_add3_u32 v36, v36, v38, v37
	v_lshlrev_b64 v[35:36], 1, v[35:36]
	s_cbranch_vccnz .LBB1471_62
; %bb.54:
	s_delay_alu instid0(VALU_DEP_1) | instskip(NEXT) | instid1(VALU_DEP_2)
	v_add_co_u32 v37, vcc_lo, s8, v35
	v_add_co_ci_u32_e32 v38, vcc_lo, s9, v36, vcc_lo
	v_add_co_u32 v33, vcc_lo, s8, v33
	v_add_co_ci_u32_e32 v34, vcc_lo, s9, v34, vcc_lo
	s_mov_b32 s3, -1
	s_clause 0x1
	global_load_u16 v39, v[37:38], off
	global_load_u16 v40, v[33:34], off
	s_mov_b32 s27, exec_lo
	s_waitcnt vmcnt(0)
	v_cmpx_eq_u16_e64 v39, v40
	s_cbranch_execz .LBB1471_61
; %bb.55:
	v_add_co_u32 v33, vcc_lo, v33, 2
	v_add_co_ci_u32_e32 v34, vcc_lo, 0, v34, vcc_lo
	v_add_co_u32 v37, vcc_lo, v37, 2
	v_add_co_ci_u32_e32 v38, vcc_lo, 0, v38, vcc_lo
	s_add_u32 s6, s22, -1
	s_addc_u32 s7, s23, -1
	s_mov_b64 s[18:19], 0
	s_mov_b32 s3, 0
                                        ; implicit-def: $sgpr29
	s_set_inst_prefetch_distance 0x1
	s_branch .LBB1471_58
	.p2align	6
.LBB1471_56:                            ;   in Loop: Header=BB1471_58 Depth=1
	global_load_u16 v39, v[37:38], off
	global_load_u16 v40, v[33:34], off
	v_add_co_u32 v33, vcc_lo, v33, 2
	v_add_co_ci_u32_e32 v34, vcc_lo, 0, v34, vcc_lo
	v_add_co_u32 v37, s2, v37, 2
	s_delay_alu instid0(VALU_DEP_1)
	v_add_co_ci_u32_e64 v38, s2, 0, v38, s2
	s_add_u32 s18, s18, 1
	s_addc_u32 s19, s19, 0
	s_and_not1_b32 s2, s29, exec_lo
	s_waitcnt vmcnt(0)
	v_cmp_ne_u16_e32 vcc_lo, v39, v40
	s_and_b32 s29, vcc_lo, exec_lo
	s_delay_alu instid0(SALU_CYCLE_1)
	s_or_b32 s29, s2, s29
.LBB1471_57:                            ;   in Loop: Header=BB1471_58 Depth=1
	v_dual_mov_b32 v40, s19 :: v_dual_mov_b32 v39, s18
	s_and_b32 s2, exec_lo, s29
	s_delay_alu instid0(SALU_CYCLE_1) | instskip(NEXT) | instid1(SALU_CYCLE_1)
	s_or_b32 s3, s2, s3
	s_and_not1_b32 exec_lo, exec_lo, s3
	s_cbranch_execz .LBB1471_60
.LBB1471_58:                            ; =>This Inner Loop Header: Depth=1
	s_or_b32 s29, s29, exec_lo
	s_cmp_eq_u64 s[6:7], s[18:19]
	s_cbranch_scc0 .LBB1471_56
; %bb.59:                               ;   in Loop: Header=BB1471_58 Depth=1
	s_mov_b64 s[18:19], s[22:23]
                                        ; implicit-def: $vgpr33_vgpr34
                                        ; implicit-def: $vgpr37_vgpr38
	s_branch .LBB1471_57
.LBB1471_60:
	s_set_inst_prefetch_distance 0x2
	s_or_b32 exec_lo, exec_lo, s3
	v_cmp_gt_i64_e32 vcc_lo, s[22:23], v[39:40]
	s_or_not1_b32 s3, vcc_lo, exec_lo
.LBB1471_61:
	s_or_b32 exec_lo, exec_lo, s27
.LBB1471_62:
	v_mul_lo_u32 v37, v22, s22
	v_mul_lo_u32 v38, v21, s23
	v_mad_u64_u32 v[33:34], null, v21, s22, 0
	s_mov_b32 s27, 0
	s_and_not1_b32 vcc_lo, exec_lo, s25
	s_mov_b32 s29, 0
	s_delay_alu instid0(VALU_DEP_1) | instskip(NEXT) | instid1(VALU_DEP_1)
	v_add3_u32 v34, v34, v38, v37
	v_lshlrev_b64 v[37:38], 1, v[33:34]
	s_cbranch_vccnz .LBB1471_71
; %bb.63:
	s_delay_alu instid0(VALU_DEP_1) | instskip(NEXT) | instid1(VALU_DEP_2)
	v_add_co_u32 v39, vcc_lo, s8, v37
	v_add_co_ci_u32_e32 v40, vcc_lo, s9, v38, vcc_lo
	v_add_co_u32 v33, vcc_lo, s8, v35
	v_add_co_ci_u32_e32 v34, vcc_lo, s9, v36, vcc_lo
	s_mov_b32 s29, -1
	s_clause 0x1
	global_load_u16 v35, v[39:40], off
	global_load_u16 v36, v[33:34], off
	s_mov_b32 s30, exec_lo
	s_waitcnt vmcnt(0)
	v_cmpx_eq_u16_e64 v35, v36
	s_cbranch_execz .LBB1471_70
; %bb.64:
	v_add_co_u32 v33, vcc_lo, v33, 2
	v_add_co_ci_u32_e32 v34, vcc_lo, 0, v34, vcc_lo
	v_add_co_u32 v35, vcc_lo, v39, 2
	v_add_co_ci_u32_e32 v36, vcc_lo, 0, v40, vcc_lo
	s_add_u32 s6, s22, -1
	s_addc_u32 s7, s23, -1
	s_mov_b64 s[18:19], 0
	s_mov_b32 s29, 0
                                        ; implicit-def: $sgpr31
	s_set_inst_prefetch_distance 0x1
	s_branch .LBB1471_67
	.p2align	6
.LBB1471_65:                            ;   in Loop: Header=BB1471_67 Depth=1
	global_load_u16 v39, v[35:36], off
	global_load_u16 v40, v[33:34], off
	v_add_co_u32 v33, vcc_lo, v33, 2
	v_add_co_ci_u32_e32 v34, vcc_lo, 0, v34, vcc_lo
	v_add_co_u32 v35, s2, v35, 2
	s_delay_alu instid0(VALU_DEP_1)
	v_add_co_ci_u32_e64 v36, s2, 0, v36, s2
	s_add_u32 s18, s18, 1
	s_addc_u32 s19, s19, 0
	s_and_not1_b32 s2, s31, exec_lo
	s_waitcnt vmcnt(0)
	v_cmp_ne_u16_e32 vcc_lo, v39, v40
	s_and_b32 s31, vcc_lo, exec_lo
	s_delay_alu instid0(SALU_CYCLE_1)
	s_or_b32 s31, s2, s31
.LBB1471_66:                            ;   in Loop: Header=BB1471_67 Depth=1
	v_dual_mov_b32 v40, s19 :: v_dual_mov_b32 v39, s18
	s_and_b32 s2, exec_lo, s31
	s_delay_alu instid0(SALU_CYCLE_1) | instskip(NEXT) | instid1(SALU_CYCLE_1)
	s_or_b32 s29, s2, s29
	s_and_not1_b32 exec_lo, exec_lo, s29
	s_cbranch_execz .LBB1471_69
.LBB1471_67:                            ; =>This Inner Loop Header: Depth=1
	s_or_b32 s31, s31, exec_lo
	s_cmp_eq_u64 s[6:7], s[18:19]
	s_cbranch_scc0 .LBB1471_65
; %bb.68:                               ;   in Loop: Header=BB1471_67 Depth=1
	s_mov_b64 s[18:19], s[22:23]
                                        ; implicit-def: $vgpr33_vgpr34
                                        ; implicit-def: $vgpr35_vgpr36
	s_branch .LBB1471_66
.LBB1471_69:
	s_set_inst_prefetch_distance 0x2
	s_or_b32 exec_lo, exec_lo, s29
	v_cmp_gt_i64_e32 vcc_lo, s[22:23], v[39:40]
	s_or_not1_b32 s29, vcc_lo, exec_lo
.LBB1471_70:
	s_or_b32 exec_lo, exec_lo, s30
.LBB1471_71:
	v_mul_lo_u32 v35, v28, s22
	v_mul_lo_u32 v36, v27, s23
	v_mad_u64_u32 v[33:34], null, v27, s22, 0
	s_and_not1_b32 vcc_lo, exec_lo, s25
	s_delay_alu instid0(VALU_DEP_1) | instskip(NEXT) | instid1(VALU_DEP_1)
	v_add3_u32 v34, v34, v36, v35
	v_lshlrev_b64 v[33:34], 1, v[33:34]
	s_cbranch_vccnz .LBB1471_80
; %bb.72:
	s_delay_alu instid0(VALU_DEP_1) | instskip(NEXT) | instid1(VALU_DEP_2)
	v_add_co_u32 v39, vcc_lo, s8, v33
	v_add_co_ci_u32_e32 v40, vcc_lo, s9, v34, vcc_lo
	v_add_co_u32 v35, vcc_lo, s8, v37
	v_add_co_ci_u32_e32 v36, vcc_lo, s9, v38, vcc_lo
	s_mov_b32 s27, -1
	s_clause 0x1
	global_load_u16 v37, v[39:40], off
	global_load_u16 v38, v[35:36], off
	s_mov_b32 s30, exec_lo
	s_waitcnt vmcnt(0)
	v_cmpx_eq_u16_e64 v37, v38
	s_cbranch_execz .LBB1471_79
; %bb.73:
	v_add_co_u32 v35, vcc_lo, v35, 2
	v_add_co_ci_u32_e32 v36, vcc_lo, 0, v36, vcc_lo
	v_add_co_u32 v37, vcc_lo, v39, 2
	v_add_co_ci_u32_e32 v38, vcc_lo, 0, v40, vcc_lo
	s_add_u32 s6, s22, -1
	s_addc_u32 s7, s23, -1
	s_mov_b64 s[18:19], 0
	s_mov_b32 s27, 0
                                        ; implicit-def: $sgpr31
	s_set_inst_prefetch_distance 0x1
	s_branch .LBB1471_76
	.p2align	6
.LBB1471_74:                            ;   in Loop: Header=BB1471_76 Depth=1
	global_load_u16 v39, v[37:38], off
	global_load_u16 v40, v[35:36], off
	v_add_co_u32 v35, vcc_lo, v35, 2
	v_add_co_ci_u32_e32 v36, vcc_lo, 0, v36, vcc_lo
	v_add_co_u32 v37, s2, v37, 2
	s_delay_alu instid0(VALU_DEP_1)
	v_add_co_ci_u32_e64 v38, s2, 0, v38, s2
	s_add_u32 s18, s18, 1
	s_addc_u32 s19, s19, 0
	s_and_not1_b32 s2, s31, exec_lo
	s_waitcnt vmcnt(0)
	v_cmp_ne_u16_e32 vcc_lo, v39, v40
	s_and_b32 s31, vcc_lo, exec_lo
	s_delay_alu instid0(SALU_CYCLE_1)
	s_or_b32 s31, s2, s31
.LBB1471_75:                            ;   in Loop: Header=BB1471_76 Depth=1
	v_dual_mov_b32 v40, s19 :: v_dual_mov_b32 v39, s18
	s_and_b32 s2, exec_lo, s31
	s_delay_alu instid0(SALU_CYCLE_1) | instskip(NEXT) | instid1(SALU_CYCLE_1)
	s_or_b32 s27, s2, s27
	s_and_not1_b32 exec_lo, exec_lo, s27
	s_cbranch_execz .LBB1471_78
.LBB1471_76:                            ; =>This Inner Loop Header: Depth=1
	s_or_b32 s31, s31, exec_lo
	s_cmp_eq_u64 s[6:7], s[18:19]
	s_cbranch_scc0 .LBB1471_74
; %bb.77:                               ;   in Loop: Header=BB1471_76 Depth=1
	s_mov_b64 s[18:19], s[22:23]
                                        ; implicit-def: $vgpr35_vgpr36
                                        ; implicit-def: $vgpr37_vgpr38
	s_branch .LBB1471_75
.LBB1471_78:
	s_set_inst_prefetch_distance 0x2
	s_or_b32 exec_lo, exec_lo, s27
	v_cmp_gt_i64_e32 vcc_lo, s[22:23], v[39:40]
	s_or_not1_b32 s27, vcc_lo, exec_lo
.LBB1471_79:
	s_or_b32 exec_lo, exec_lo, s30
.LBB1471_80:
	v_mul_lo_u32 v37, v26, s22
	v_mul_lo_u32 v38, v25, s23
	v_mad_u64_u32 v[35:36], null, v25, s22, 0
	s_mov_b32 s30, 0
	s_and_not1_b32 vcc_lo, exec_lo, s25
	s_mov_b32 s31, 0
	s_delay_alu instid0(VALU_DEP_1) | instskip(NEXT) | instid1(VALU_DEP_1)
	v_add3_u32 v36, v36, v38, v37
	v_lshlrev_b64 v[37:38], 1, v[35:36]
	s_cbranch_vccnz .LBB1471_89
; %bb.81:
	s_delay_alu instid0(VALU_DEP_1) | instskip(NEXT) | instid1(VALU_DEP_2)
	v_add_co_u32 v35, vcc_lo, s8, v37
	v_add_co_ci_u32_e32 v36, vcc_lo, s9, v38, vcc_lo
	v_add_co_u32 v33, vcc_lo, s8, v33
	v_add_co_ci_u32_e32 v34, vcc_lo, s9, v34, vcc_lo
	s_mov_b32 s31, -1
	s_clause 0x1
	global_load_u16 v39, v[35:36], off
	global_load_u16 v40, v[33:34], off
	s_mov_b32 s33, exec_lo
	s_waitcnt vmcnt(0)
	v_cmpx_eq_u16_e64 v39, v40
	s_cbranch_execz .LBB1471_88
; %bb.82:
	v_add_co_u32 v33, vcc_lo, v33, 2
	v_add_co_ci_u32_e32 v34, vcc_lo, 0, v34, vcc_lo
	v_add_co_u32 v35, vcc_lo, v35, 2
	v_add_co_ci_u32_e32 v36, vcc_lo, 0, v36, vcc_lo
	s_add_u32 s6, s22, -1
	s_addc_u32 s7, s23, -1
	s_mov_b64 s[18:19], 0
	s_mov_b32 s31, 0
                                        ; implicit-def: $sgpr34
	s_set_inst_prefetch_distance 0x1
	s_branch .LBB1471_85
	.p2align	6
.LBB1471_83:                            ;   in Loop: Header=BB1471_85 Depth=1
	global_load_u16 v39, v[35:36], off
	global_load_u16 v40, v[33:34], off
	v_add_co_u32 v33, vcc_lo, v33, 2
	v_add_co_ci_u32_e32 v34, vcc_lo, 0, v34, vcc_lo
	v_add_co_u32 v35, s2, v35, 2
	s_delay_alu instid0(VALU_DEP_1)
	v_add_co_ci_u32_e64 v36, s2, 0, v36, s2
	s_add_u32 s18, s18, 1
	s_addc_u32 s19, s19, 0
	s_and_not1_b32 s2, s34, exec_lo
	s_waitcnt vmcnt(0)
	v_cmp_ne_u16_e32 vcc_lo, v39, v40
	s_and_b32 s34, vcc_lo, exec_lo
	s_delay_alu instid0(SALU_CYCLE_1)
	s_or_b32 s34, s2, s34
.LBB1471_84:                            ;   in Loop: Header=BB1471_85 Depth=1
	v_dual_mov_b32 v40, s19 :: v_dual_mov_b32 v39, s18
	s_and_b32 s2, exec_lo, s34
	s_delay_alu instid0(SALU_CYCLE_1) | instskip(NEXT) | instid1(SALU_CYCLE_1)
	s_or_b32 s31, s2, s31
	s_and_not1_b32 exec_lo, exec_lo, s31
	s_cbranch_execz .LBB1471_87
.LBB1471_85:                            ; =>This Inner Loop Header: Depth=1
	s_or_b32 s34, s34, exec_lo
	s_cmp_eq_u64 s[6:7], s[18:19]
	s_cbranch_scc0 .LBB1471_83
; %bb.86:                               ;   in Loop: Header=BB1471_85 Depth=1
	s_mov_b64 s[18:19], s[22:23]
                                        ; implicit-def: $vgpr33_vgpr34
                                        ; implicit-def: $vgpr35_vgpr36
	s_branch .LBB1471_84
.LBB1471_87:
	s_set_inst_prefetch_distance 0x2
	s_or_b32 exec_lo, exec_lo, s31
	v_cmp_gt_i64_e32 vcc_lo, s[22:23], v[39:40]
	s_or_not1_b32 s31, vcc_lo, exec_lo
.LBB1471_88:
	s_or_b32 exec_lo, exec_lo, s33
.LBB1471_89:
	v_mul_lo_u32 v35, v32, s22
	v_mul_lo_u32 v36, v31, s23
	v_mad_u64_u32 v[33:34], null, v31, s22, 0
	s_and_not1_b32 vcc_lo, exec_lo, s25
	s_delay_alu instid0(VALU_DEP_1) | instskip(NEXT) | instid1(VALU_DEP_1)
	v_add3_u32 v34, v34, v36, v35
	v_lshlrev_b64 v[35:36], 1, v[33:34]
	s_cbranch_vccnz .LBB1471_98
; %bb.90:
	s_delay_alu instid0(VALU_DEP_1) | instskip(NEXT) | instid1(VALU_DEP_2)
	v_add_co_u32 v39, vcc_lo, s8, v35
	v_add_co_ci_u32_e32 v40, vcc_lo, s9, v36, vcc_lo
	v_add_co_u32 v33, vcc_lo, s8, v37
	v_add_co_ci_u32_e32 v34, vcc_lo, s9, v38, vcc_lo
	s_mov_b32 s30, -1
	s_clause 0x1
	global_load_u16 v37, v[39:40], off
	global_load_u16 v38, v[33:34], off
	s_mov_b32 s33, exec_lo
	s_waitcnt vmcnt(0)
	v_cmpx_eq_u16_e64 v37, v38
	s_cbranch_execz .LBB1471_97
; %bb.91:
	v_add_co_u32 v33, vcc_lo, v33, 2
	v_add_co_ci_u32_e32 v34, vcc_lo, 0, v34, vcc_lo
	v_add_co_u32 v37, vcc_lo, v39, 2
	v_add_co_ci_u32_e32 v38, vcc_lo, 0, v40, vcc_lo
	s_add_u32 s6, s22, -1
	s_addc_u32 s7, s23, -1
	s_mov_b64 s[18:19], 0
	s_mov_b32 s30, 0
                                        ; implicit-def: $sgpr34
	s_set_inst_prefetch_distance 0x1
	s_branch .LBB1471_94
	.p2align	6
.LBB1471_92:                            ;   in Loop: Header=BB1471_94 Depth=1
	global_load_u16 v39, v[37:38], off
	global_load_u16 v40, v[33:34], off
	v_add_co_u32 v33, vcc_lo, v33, 2
	v_add_co_ci_u32_e32 v34, vcc_lo, 0, v34, vcc_lo
	v_add_co_u32 v37, s2, v37, 2
	s_delay_alu instid0(VALU_DEP_1)
	v_add_co_ci_u32_e64 v38, s2, 0, v38, s2
	s_add_u32 s18, s18, 1
	s_addc_u32 s19, s19, 0
	s_and_not1_b32 s2, s34, exec_lo
	s_waitcnt vmcnt(0)
	v_cmp_ne_u16_e32 vcc_lo, v39, v40
	s_and_b32 s34, vcc_lo, exec_lo
	s_delay_alu instid0(SALU_CYCLE_1)
	s_or_b32 s34, s2, s34
.LBB1471_93:                            ;   in Loop: Header=BB1471_94 Depth=1
	v_dual_mov_b32 v40, s19 :: v_dual_mov_b32 v39, s18
	s_and_b32 s2, exec_lo, s34
	s_delay_alu instid0(SALU_CYCLE_1) | instskip(NEXT) | instid1(SALU_CYCLE_1)
	s_or_b32 s30, s2, s30
	s_and_not1_b32 exec_lo, exec_lo, s30
	s_cbranch_execz .LBB1471_96
.LBB1471_94:                            ; =>This Inner Loop Header: Depth=1
	s_or_b32 s34, s34, exec_lo
	s_cmp_eq_u64 s[6:7], s[18:19]
	s_cbranch_scc0 .LBB1471_92
; %bb.95:                               ;   in Loop: Header=BB1471_94 Depth=1
	s_mov_b64 s[18:19], s[22:23]
                                        ; implicit-def: $vgpr33_vgpr34
                                        ; implicit-def: $vgpr37_vgpr38
	s_branch .LBB1471_93
.LBB1471_96:
	s_set_inst_prefetch_distance 0x2
	s_or_b32 exec_lo, exec_lo, s30
	v_cmp_gt_i64_e32 vcc_lo, s[22:23], v[39:40]
	s_or_not1_b32 s30, vcc_lo, exec_lo
.LBB1471_97:
	s_or_b32 exec_lo, exec_lo, s33
.LBB1471_98:
	v_mul_lo_u32 v37, v30, s22
	v_mul_lo_u32 v38, v29, s23
	v_mad_u64_u32 v[33:34], null, v29, s22, 0
	s_and_not1_b32 vcc_lo, exec_lo, s25
	s_mov_b32 s2, 0
	s_delay_alu instid0(VALU_DEP_1) | instskip(NEXT) | instid1(VALU_DEP_1)
	v_add3_u32 v34, v34, v38, v37
	v_lshlrev_b64 v[33:34], 1, v[33:34]
	s_cbranch_vccnz .LBB1471_107
; %bb.99:
	s_delay_alu instid0(VALU_DEP_1) | instskip(NEXT) | instid1(VALU_DEP_2)
	v_add_co_u32 v37, vcc_lo, s8, v33
	v_add_co_ci_u32_e32 v38, vcc_lo, s9, v34, vcc_lo
	v_add_co_u32 v35, vcc_lo, s8, v35
	v_add_co_ci_u32_e32 v36, vcc_lo, s9, v36, vcc_lo
	s_mov_b32 s2, -1
	s_clause 0x1
	global_load_u16 v39, v[37:38], off
	global_load_u16 v40, v[35:36], off
	s_mov_b32 s33, exec_lo
	s_waitcnt vmcnt(0)
	v_cmpx_eq_u16_e64 v39, v40
	s_cbranch_execz .LBB1471_106
; %bb.100:
	v_add_co_u32 v35, vcc_lo, v35, 2
	v_add_co_ci_u32_e32 v36, vcc_lo, 0, v36, vcc_lo
	v_add_co_u32 v37, vcc_lo, v37, 2
	v_add_co_ci_u32_e32 v38, vcc_lo, 0, v38, vcc_lo
	s_add_u32 s6, s22, -1
	s_addc_u32 s7, s23, -1
	s_mov_b64 s[18:19], 0
	s_mov_b32 s34, 0
                                        ; implicit-def: $sgpr35
	s_set_inst_prefetch_distance 0x1
	s_branch .LBB1471_103
	.p2align	6
.LBB1471_101:                           ;   in Loop: Header=BB1471_103 Depth=1
	global_load_u16 v39, v[37:38], off
	global_load_u16 v40, v[35:36], off
	v_add_co_u32 v35, vcc_lo, v35, 2
	v_add_co_ci_u32_e32 v36, vcc_lo, 0, v36, vcc_lo
	v_add_co_u32 v37, s2, v37, 2
	s_delay_alu instid0(VALU_DEP_1)
	v_add_co_ci_u32_e64 v38, s2, 0, v38, s2
	s_add_u32 s18, s18, 1
	s_addc_u32 s19, s19, 0
	s_and_not1_b32 s2, s35, exec_lo
	s_waitcnt vmcnt(0)
	v_cmp_ne_u16_e32 vcc_lo, v39, v40
	s_and_b32 s35, vcc_lo, exec_lo
	s_delay_alu instid0(SALU_CYCLE_1)
	s_or_b32 s35, s2, s35
.LBB1471_102:                           ;   in Loop: Header=BB1471_103 Depth=1
	v_dual_mov_b32 v40, s19 :: v_dual_mov_b32 v39, s18
	s_and_b32 s2, exec_lo, s35
	s_delay_alu instid0(SALU_CYCLE_1) | instskip(NEXT) | instid1(SALU_CYCLE_1)
	s_or_b32 s34, s2, s34
	s_and_not1_b32 exec_lo, exec_lo, s34
	s_cbranch_execz .LBB1471_105
.LBB1471_103:                           ; =>This Inner Loop Header: Depth=1
	s_or_b32 s35, s35, exec_lo
	s_cmp_eq_u64 s[6:7], s[18:19]
	s_cbranch_scc0 .LBB1471_101
; %bb.104:                              ;   in Loop: Header=BB1471_103 Depth=1
	s_mov_b64 s[18:19], s[22:23]
                                        ; implicit-def: $vgpr35_vgpr36
                                        ; implicit-def: $vgpr37_vgpr38
	s_branch .LBB1471_102
.LBB1471_105:
	s_set_inst_prefetch_distance 0x2
	s_or_b32 exec_lo, exec_lo, s34
	v_cmp_gt_i64_e32 vcc_lo, s[22:23], v[39:40]
	s_or_not1_b32 s2, vcc_lo, exec_lo
.LBB1471_106:
	s_or_b32 exec_lo, exec_lo, s33
.LBB1471_107:
	s_waitcnt lgkmcnt(0)
	v_dual_mov_b32 v36, s5 :: v_dual_mov_b32 v35, s4
	s_mov_b32 s6, exec_lo
	s_barrier
	buffer_gl0_inv
	v_cmpx_ne_u32_e32 0, v0
	s_cbranch_execz .LBB1471_109
; %bb.108:
	v_add_nc_u32_e32 v35, -8, v55
	ds_load_b64 v[35:36], v35
.LBB1471_109:
	s_or_b32 exec_lo, exec_lo, s6
	v_cndmask_b32_e64 v38, 0, 1, s31
	v_cndmask_b32_e64 v40, 0, 1, s29
	;; [unrolled: 1-line block ×7, first 2 shown]
	v_lshlrev_b16 v38, 8, v38
	v_lshlrev_b16 v40, 8, v40
	;; [unrolled: 1-line block ×4, first 2 shown]
	s_mov_b32 s3, 0
	v_or_b32_e32 v37, v37, v38
	v_or_b32_e32 v38, v39, v40
	;; [unrolled: 1-line block ×3, first 2 shown]
	v_and_b32_e32 v39, 0xffff, v43
	s_and_not1_b32 vcc_lo, exec_lo, s25
	v_lshlrev_b32_e32 v40, 16, v37
	v_and_b32_e32 v42, 0xffff, v38
	v_lshlrev_b32_e32 v43, 16, v44
	s_mov_b32 s2, 0
	s_cbranch_vccnz .LBB1471_118
; %bb.110:
	s_waitcnt lgkmcnt(0)
	v_mul_lo_u32 v38, v36, s22
	v_mul_lo_u32 v44, v35, s23
	v_mad_u64_u32 v[36:37], null, v35, s22, 0
	s_mov_b32 s2, -1
	s_mov_b32 s26, exec_lo
	s_delay_alu instid0(VALU_DEP_1) | instskip(NEXT) | instid1(VALU_DEP_1)
	v_add3_u32 v37, v37, v44, v38
	v_lshlrev_b64 v[35:36], 1, v[36:37]
	s_delay_alu instid0(VALU_DEP_1) | instskip(NEXT) | instid1(VALU_DEP_2)
	v_add_co_u32 v35, vcc_lo, s8, v35
	v_add_co_ci_u32_e32 v36, vcc_lo, s9, v36, vcc_lo
	v_add_co_u32 v33, vcc_lo, s8, v33
	v_add_co_ci_u32_e32 v34, vcc_lo, s9, v34, vcc_lo
	s_clause 0x1
	global_load_u16 v37, v[35:36], off
	global_load_u16 v38, v[33:34], off
	s_waitcnt vmcnt(0)
	v_cmpx_eq_u16_e64 v37, v38
	s_cbranch_execz .LBB1471_117
; %bb.111:
	v_add_co_u32 v33, vcc_lo, v33, 2
	v_add_co_ci_u32_e32 v34, vcc_lo, 0, v34, vcc_lo
	v_add_co_u32 v35, vcc_lo, v35, 2
	v_add_co_ci_u32_e32 v36, vcc_lo, 0, v36, vcc_lo
	s_add_u32 s6, s22, -1
	s_addc_u32 s7, s23, -1
	s_mov_b64 s[18:19], 0
	s_mov_b32 s27, 0
                                        ; implicit-def: $sgpr29
	s_set_inst_prefetch_distance 0x1
	s_branch .LBB1471_114
	.p2align	6
.LBB1471_112:                           ;   in Loop: Header=BB1471_114 Depth=1
	global_load_u16 v37, v[35:36], off
	global_load_u16 v38, v[33:34], off
	v_add_co_u32 v33, vcc_lo, v33, 2
	v_add_co_ci_u32_e32 v34, vcc_lo, 0, v34, vcc_lo
	v_add_co_u32 v35, s2, v35, 2
	s_delay_alu instid0(VALU_DEP_1)
	v_add_co_ci_u32_e64 v36, s2, 0, v36, s2
	s_add_u32 s18, s18, 1
	s_addc_u32 s19, s19, 0
	s_and_not1_b32 s2, s29, exec_lo
	s_waitcnt vmcnt(0)
	v_cmp_ne_u16_e32 vcc_lo, v37, v38
	s_and_b32 s29, vcc_lo, exec_lo
	s_delay_alu instid0(SALU_CYCLE_1)
	s_or_b32 s29, s2, s29
.LBB1471_113:                           ;   in Loop: Header=BB1471_114 Depth=1
	v_dual_mov_b32 v38, s19 :: v_dual_mov_b32 v37, s18
	s_and_b32 s2, exec_lo, s29
	s_delay_alu instid0(SALU_CYCLE_1) | instskip(NEXT) | instid1(SALU_CYCLE_1)
	s_or_b32 s27, s2, s27
	s_and_not1_b32 exec_lo, exec_lo, s27
	s_cbranch_execz .LBB1471_116
.LBB1471_114:                           ; =>This Inner Loop Header: Depth=1
	s_or_b32 s29, s29, exec_lo
	s_cmp_eq_u64 s[6:7], s[18:19]
	s_cbranch_scc0 .LBB1471_112
; %bb.115:                              ;   in Loop: Header=BB1471_114 Depth=1
	s_mov_b64 s[18:19], s[22:23]
                                        ; implicit-def: $vgpr33_vgpr34
                                        ; implicit-def: $vgpr35_vgpr36
	s_branch .LBB1471_113
.LBB1471_116:
	s_set_inst_prefetch_distance 0x2
	s_or_b32 exec_lo, exec_lo, s27
	v_cmp_gt_i64_e32 vcc_lo, s[22:23], v[37:38]
	s_or_not1_b32 s2, vcc_lo, exec_lo
.LBB1471_117:
	s_or_b32 exec_lo, exec_lo, s26
.LBB1471_118:
	v_or_b32_e32 v33, v39, v40
	s_delay_alu instid0(VALU_DEP_2)
	v_or_b32_e32 v34, v42, v43
	s_and_b32 vcc_lo, exec_lo, s3
	s_cbranch_vccz .LBB1471_210
.LBB1471_119:
	v_or_b32_e32 v33, 7, v55
	s_mov_b32 s3, 0
	s_mov_b32 s26, 0
	s_mov_b32 s27, exec_lo
	s_delay_alu instid0(VALU_DEP_1)
	v_cmpx_gt_u32_e64 s28, v33
	s_cbranch_execz .LBB1471_130
; %bb.120:
	s_and_not1_b32 vcc_lo, exec_lo, s25
	s_mov_b32 s2, 0
	s_cbranch_vccnz .LBB1471_129
; %bb.121:
	v_mul_lo_u32 v37, v18, s22
	v_mul_lo_u32 v38, v17, s23
	v_mad_u64_u32 v[33:34], null, v17, s22, 0
	v_mul_lo_u32 v39, v20, s22
	v_mul_lo_u32 v40, v19, s23
	s_waitcnt lgkmcnt(0)
	v_mad_u64_u32 v[35:36], null, v19, s22, 0
	s_mov_b32 s2, -1
	s_mov_b32 s25, exec_lo
	s_delay_alu instid0(VALU_DEP_4) | instskip(NEXT) | instid1(VALU_DEP_2)
	v_add3_u32 v34, v34, v38, v37
	v_add3_u32 v36, v36, v40, v39
	s_delay_alu instid0(VALU_DEP_2) | instskip(NEXT) | instid1(VALU_DEP_2)
	v_lshlrev_b64 v[33:34], 1, v[33:34]
	v_lshlrev_b64 v[37:38], 1, v[35:36]
	s_delay_alu instid0(VALU_DEP_2) | instskip(NEXT) | instid1(VALU_DEP_3)
	v_add_co_u32 v35, vcc_lo, s8, v33
	v_add_co_ci_u32_e32 v36, vcc_lo, s9, v34, vcc_lo
	s_delay_alu instid0(VALU_DEP_3) | instskip(NEXT) | instid1(VALU_DEP_4)
	v_add_co_u32 v33, vcc_lo, s8, v37
	v_add_co_ci_u32_e32 v34, vcc_lo, s9, v38, vcc_lo
	s_clause 0x1
	global_load_u16 v37, v[35:36], off
	global_load_u16 v38, v[33:34], off
	s_waitcnt vmcnt(0)
	v_cmpx_eq_u16_e64 v37, v38
	s_cbranch_execz .LBB1471_128
; %bb.122:
	v_add_co_u32 v33, vcc_lo, v33, 2
	v_add_co_ci_u32_e32 v34, vcc_lo, 0, v34, vcc_lo
	v_add_co_u32 v35, vcc_lo, v35, 2
	v_add_co_ci_u32_e32 v36, vcc_lo, 0, v36, vcc_lo
	s_add_u32 s6, s22, -1
	s_addc_u32 s7, s23, -1
	s_mov_b64 s[18:19], 0
                                        ; implicit-def: $sgpr29
	s_set_inst_prefetch_distance 0x1
	s_branch .LBB1471_125
	.p2align	6
.LBB1471_123:                           ;   in Loop: Header=BB1471_125 Depth=1
	global_load_u16 v37, v[35:36], off
	global_load_u16 v38, v[33:34], off
	v_add_co_u32 v33, vcc_lo, v33, 2
	v_add_co_ci_u32_e32 v34, vcc_lo, 0, v34, vcc_lo
	v_add_co_u32 v35, s2, v35, 2
	s_delay_alu instid0(VALU_DEP_1)
	v_add_co_ci_u32_e64 v36, s2, 0, v36, s2
	s_add_u32 s18, s18, 1
	s_addc_u32 s19, s19, 0
	s_and_not1_b32 s2, s29, exec_lo
	s_waitcnt vmcnt(0)
	v_cmp_ne_u16_e32 vcc_lo, v37, v38
	s_and_b32 s29, vcc_lo, exec_lo
	s_delay_alu instid0(SALU_CYCLE_1)
	s_or_b32 s29, s2, s29
.LBB1471_124:                           ;   in Loop: Header=BB1471_125 Depth=1
	v_dual_mov_b32 v38, s19 :: v_dual_mov_b32 v37, s18
	s_and_b32 s2, exec_lo, s29
	s_delay_alu instid0(SALU_CYCLE_1) | instskip(NEXT) | instid1(SALU_CYCLE_1)
	s_or_b32 s26, s2, s26
	s_and_not1_b32 exec_lo, exec_lo, s26
	s_cbranch_execz .LBB1471_127
.LBB1471_125:                           ; =>This Inner Loop Header: Depth=1
	s_or_b32 s29, s29, exec_lo
	s_cmp_eq_u64 s[6:7], s[18:19]
	s_cbranch_scc0 .LBB1471_123
; %bb.126:                              ;   in Loop: Header=BB1471_125 Depth=1
	s_mov_b64 s[18:19], s[22:23]
                                        ; implicit-def: $vgpr33_vgpr34
                                        ; implicit-def: $vgpr35_vgpr36
	s_branch .LBB1471_124
.LBB1471_127:
	s_set_inst_prefetch_distance 0x2
	s_or_b32 exec_lo, exec_lo, s26
	v_cmp_gt_i64_e32 vcc_lo, s[22:23], v[37:38]
	s_or_not1_b32 s2, vcc_lo, exec_lo
.LBB1471_128:
	s_or_b32 exec_lo, exec_lo, s25
.LBB1471_129:
	s_delay_alu instid0(SALU_CYCLE_1)
	s_and_b32 s26, s2, exec_lo
.LBB1471_130:
	s_or_b32 exec_lo, exec_lo, s27
	v_or_b32_e32 v33, 6, v55
	s_mov_b32 s25, exec_lo
	s_delay_alu instid0(VALU_DEP_1)
	v_cmpx_gt_u32_e64 s28, v33
	s_cbranch_execz .LBB1471_141
; %bb.131:
	v_cmp_ne_u32_e32 vcc_lo, 1, v41
	s_mov_b32 s2, 0
	s_cbranch_vccnz .LBB1471_140
; %bb.132:
	v_mul_lo_u32 v37, v24, s22
	v_mul_lo_u32 v38, v23, s23
	v_mad_u64_u32 v[33:34], null, v23, s22, 0
	v_mul_lo_u32 v39, v18, s22
	v_mul_lo_u32 v40, v17, s23
	s_waitcnt lgkmcnt(0)
	v_mad_u64_u32 v[35:36], null, v17, s22, 0
	s_mov_b32 s2, -1
	s_mov_b32 s3, exec_lo
	s_delay_alu instid0(VALU_DEP_4) | instskip(NEXT) | instid1(VALU_DEP_2)
	v_add3_u32 v34, v34, v38, v37
	v_add3_u32 v36, v36, v40, v39
	s_delay_alu instid0(VALU_DEP_2) | instskip(NEXT) | instid1(VALU_DEP_2)
	v_lshlrev_b64 v[33:34], 1, v[33:34]
	v_lshlrev_b64 v[37:38], 1, v[35:36]
	s_delay_alu instid0(VALU_DEP_2) | instskip(NEXT) | instid1(VALU_DEP_3)
	v_add_co_u32 v35, vcc_lo, s8, v33
	v_add_co_ci_u32_e32 v36, vcc_lo, s9, v34, vcc_lo
	s_delay_alu instid0(VALU_DEP_3) | instskip(NEXT) | instid1(VALU_DEP_4)
	v_add_co_u32 v33, vcc_lo, s8, v37
	v_add_co_ci_u32_e32 v34, vcc_lo, s9, v38, vcc_lo
	s_clause 0x1
	global_load_u16 v37, v[35:36], off
	global_load_u16 v38, v[33:34], off
	s_waitcnt vmcnt(0)
	v_cmpx_eq_u16_e64 v37, v38
	s_cbranch_execz .LBB1471_139
; %bb.133:
	v_add_co_u32 v33, vcc_lo, v33, 2
	v_add_co_ci_u32_e32 v34, vcc_lo, 0, v34, vcc_lo
	v_add_co_u32 v35, vcc_lo, v35, 2
	v_add_co_ci_u32_e32 v36, vcc_lo, 0, v36, vcc_lo
	s_add_u32 s6, s22, -1
	s_addc_u32 s7, s23, -1
	s_mov_b64 s[18:19], 0
	s_mov_b32 s27, 0
                                        ; implicit-def: $sgpr29
	s_set_inst_prefetch_distance 0x1
	s_branch .LBB1471_136
	.p2align	6
.LBB1471_134:                           ;   in Loop: Header=BB1471_136 Depth=1
	global_load_u16 v37, v[35:36], off
	global_load_u16 v38, v[33:34], off
	v_add_co_u32 v33, vcc_lo, v33, 2
	v_add_co_ci_u32_e32 v34, vcc_lo, 0, v34, vcc_lo
	v_add_co_u32 v35, s2, v35, 2
	s_delay_alu instid0(VALU_DEP_1)
	v_add_co_ci_u32_e64 v36, s2, 0, v36, s2
	s_add_u32 s18, s18, 1
	s_addc_u32 s19, s19, 0
	s_and_not1_b32 s2, s29, exec_lo
	s_waitcnt vmcnt(0)
	v_cmp_ne_u16_e32 vcc_lo, v37, v38
	s_and_b32 s29, vcc_lo, exec_lo
	s_delay_alu instid0(SALU_CYCLE_1)
	s_or_b32 s29, s2, s29
.LBB1471_135:                           ;   in Loop: Header=BB1471_136 Depth=1
	v_dual_mov_b32 v38, s19 :: v_dual_mov_b32 v37, s18
	s_and_b32 s2, exec_lo, s29
	s_delay_alu instid0(SALU_CYCLE_1) | instskip(NEXT) | instid1(SALU_CYCLE_1)
	s_or_b32 s27, s2, s27
	s_and_not1_b32 exec_lo, exec_lo, s27
	s_cbranch_execz .LBB1471_138
.LBB1471_136:                           ; =>This Inner Loop Header: Depth=1
	s_or_b32 s29, s29, exec_lo
	s_cmp_eq_u64 s[6:7], s[18:19]
	s_cbranch_scc0 .LBB1471_134
; %bb.137:                              ;   in Loop: Header=BB1471_136 Depth=1
	s_mov_b64 s[18:19], s[22:23]
                                        ; implicit-def: $vgpr33_vgpr34
                                        ; implicit-def: $vgpr35_vgpr36
	s_branch .LBB1471_135
.LBB1471_138:
	s_set_inst_prefetch_distance 0x2
	s_or_b32 exec_lo, exec_lo, s27
	v_cmp_gt_i64_e32 vcc_lo, s[22:23], v[37:38]
	s_or_not1_b32 s2, vcc_lo, exec_lo
.LBB1471_139:
	s_or_b32 exec_lo, exec_lo, s3
.LBB1471_140:
	s_delay_alu instid0(SALU_CYCLE_1)
	s_and_b32 s3, s2, exec_lo
.LBB1471_141:
	s_or_b32 exec_lo, exec_lo, s25
	v_or_b32_e32 v33, 5, v55
	s_mov_b32 s27, 0
	s_mov_b32 s25, 0
	s_mov_b32 s29, exec_lo
	s_delay_alu instid0(VALU_DEP_1)
	v_cmpx_gt_u32_e64 s28, v33
	s_cbranch_execz .LBB1471_152
; %bb.142:
	v_cmp_ne_u32_e32 vcc_lo, 1, v41
	s_mov_b32 s2, 0
	s_cbranch_vccnz .LBB1471_151
; %bb.143:
	v_mul_lo_u32 v37, v22, s22
	v_mul_lo_u32 v38, v21, s23
	v_mad_u64_u32 v[33:34], null, v21, s22, 0
	v_mul_lo_u32 v39, v24, s22
	v_mul_lo_u32 v40, v23, s23
	s_waitcnt lgkmcnt(0)
	v_mad_u64_u32 v[35:36], null, v23, s22, 0
	s_mov_b32 s2, -1
	s_mov_b32 s25, exec_lo
	s_delay_alu instid0(VALU_DEP_4) | instskip(NEXT) | instid1(VALU_DEP_2)
	v_add3_u32 v34, v34, v38, v37
	v_add3_u32 v36, v36, v40, v39
	s_delay_alu instid0(VALU_DEP_2) | instskip(NEXT) | instid1(VALU_DEP_2)
	v_lshlrev_b64 v[33:34], 1, v[33:34]
	v_lshlrev_b64 v[37:38], 1, v[35:36]
	s_delay_alu instid0(VALU_DEP_2) | instskip(NEXT) | instid1(VALU_DEP_3)
	v_add_co_u32 v35, vcc_lo, s8, v33
	v_add_co_ci_u32_e32 v36, vcc_lo, s9, v34, vcc_lo
	s_delay_alu instid0(VALU_DEP_3) | instskip(NEXT) | instid1(VALU_DEP_4)
	v_add_co_u32 v33, vcc_lo, s8, v37
	v_add_co_ci_u32_e32 v34, vcc_lo, s9, v38, vcc_lo
	s_clause 0x1
	global_load_u16 v37, v[35:36], off
	global_load_u16 v38, v[33:34], off
	s_waitcnt vmcnt(0)
	v_cmpx_eq_u16_e64 v37, v38
	s_cbranch_execz .LBB1471_150
; %bb.144:
	v_add_co_u32 v33, vcc_lo, v33, 2
	v_add_co_ci_u32_e32 v34, vcc_lo, 0, v34, vcc_lo
	v_add_co_u32 v35, vcc_lo, v35, 2
	v_add_co_ci_u32_e32 v36, vcc_lo, 0, v36, vcc_lo
	s_add_u32 s6, s22, -1
	s_addc_u32 s7, s23, -1
	s_mov_b64 s[18:19], 0
	s_mov_b32 s30, 0
                                        ; implicit-def: $sgpr31
	s_set_inst_prefetch_distance 0x1
	s_branch .LBB1471_147
	.p2align	6
.LBB1471_145:                           ;   in Loop: Header=BB1471_147 Depth=1
	global_load_u16 v37, v[35:36], off
	global_load_u16 v38, v[33:34], off
	v_add_co_u32 v33, vcc_lo, v33, 2
	v_add_co_ci_u32_e32 v34, vcc_lo, 0, v34, vcc_lo
	v_add_co_u32 v35, s2, v35, 2
	s_delay_alu instid0(VALU_DEP_1)
	v_add_co_ci_u32_e64 v36, s2, 0, v36, s2
	s_add_u32 s18, s18, 1
	s_addc_u32 s19, s19, 0
	s_and_not1_b32 s2, s31, exec_lo
	s_waitcnt vmcnt(0)
	v_cmp_ne_u16_e32 vcc_lo, v37, v38
	s_and_b32 s31, vcc_lo, exec_lo
	s_delay_alu instid0(SALU_CYCLE_1)
	s_or_b32 s31, s2, s31
.LBB1471_146:                           ;   in Loop: Header=BB1471_147 Depth=1
	v_dual_mov_b32 v38, s19 :: v_dual_mov_b32 v37, s18
	s_and_b32 s2, exec_lo, s31
	s_delay_alu instid0(SALU_CYCLE_1) | instskip(NEXT) | instid1(SALU_CYCLE_1)
	s_or_b32 s30, s2, s30
	s_and_not1_b32 exec_lo, exec_lo, s30
	s_cbranch_execz .LBB1471_149
.LBB1471_147:                           ; =>This Inner Loop Header: Depth=1
	s_or_b32 s31, s31, exec_lo
	s_cmp_eq_u64 s[6:7], s[18:19]
	s_cbranch_scc0 .LBB1471_145
; %bb.148:                              ;   in Loop: Header=BB1471_147 Depth=1
	s_mov_b64 s[18:19], s[22:23]
                                        ; implicit-def: $vgpr33_vgpr34
                                        ; implicit-def: $vgpr35_vgpr36
	s_branch .LBB1471_146
.LBB1471_149:
	s_set_inst_prefetch_distance 0x2
	s_or_b32 exec_lo, exec_lo, s30
	v_cmp_gt_i64_e32 vcc_lo, s[22:23], v[37:38]
	s_or_not1_b32 s2, vcc_lo, exec_lo
.LBB1471_150:
	s_or_b32 exec_lo, exec_lo, s25
.LBB1471_151:
	s_delay_alu instid0(SALU_CYCLE_1)
	s_and_b32 s25, s2, exec_lo
.LBB1471_152:
	s_or_b32 exec_lo, exec_lo, s29
	v_or_b32_e32 v33, 4, v55
	s_mov_b32 s29, exec_lo
	s_delay_alu instid0(VALU_DEP_1)
	v_cmpx_gt_u32_e64 s28, v33
	s_cbranch_execz .LBB1471_163
; %bb.153:
	v_cmp_ne_u32_e32 vcc_lo, 1, v41
	s_mov_b32 s2, 0
	s_cbranch_vccnz .LBB1471_162
; %bb.154:
	v_mul_lo_u32 v37, v28, s22
	v_mul_lo_u32 v38, v27, s23
	v_mad_u64_u32 v[33:34], null, v27, s22, 0
	v_mul_lo_u32 v39, v22, s22
	v_mul_lo_u32 v40, v21, s23
	s_waitcnt lgkmcnt(0)
	v_mad_u64_u32 v[35:36], null, v21, s22, 0
	s_mov_b32 s2, -1
	s_mov_b32 s27, exec_lo
	s_delay_alu instid0(VALU_DEP_4) | instskip(NEXT) | instid1(VALU_DEP_2)
	v_add3_u32 v34, v34, v38, v37
	v_add3_u32 v36, v36, v40, v39
	s_delay_alu instid0(VALU_DEP_2) | instskip(NEXT) | instid1(VALU_DEP_2)
	v_lshlrev_b64 v[33:34], 1, v[33:34]
	v_lshlrev_b64 v[37:38], 1, v[35:36]
	s_delay_alu instid0(VALU_DEP_2) | instskip(NEXT) | instid1(VALU_DEP_3)
	v_add_co_u32 v35, vcc_lo, s8, v33
	v_add_co_ci_u32_e32 v36, vcc_lo, s9, v34, vcc_lo
	s_delay_alu instid0(VALU_DEP_3) | instskip(NEXT) | instid1(VALU_DEP_4)
	v_add_co_u32 v33, vcc_lo, s8, v37
	v_add_co_ci_u32_e32 v34, vcc_lo, s9, v38, vcc_lo
	s_clause 0x1
	global_load_u16 v37, v[35:36], off
	global_load_u16 v38, v[33:34], off
	s_waitcnt vmcnt(0)
	v_cmpx_eq_u16_e64 v37, v38
	s_cbranch_execz .LBB1471_161
; %bb.155:
	v_add_co_u32 v33, vcc_lo, v33, 2
	v_add_co_ci_u32_e32 v34, vcc_lo, 0, v34, vcc_lo
	v_add_co_u32 v35, vcc_lo, v35, 2
	v_add_co_ci_u32_e32 v36, vcc_lo, 0, v36, vcc_lo
	s_add_u32 s6, s22, -1
	s_addc_u32 s7, s23, -1
	s_mov_b64 s[18:19], 0
	s_mov_b32 s30, 0
                                        ; implicit-def: $sgpr31
	s_set_inst_prefetch_distance 0x1
	s_branch .LBB1471_158
	.p2align	6
.LBB1471_156:                           ;   in Loop: Header=BB1471_158 Depth=1
	global_load_u16 v37, v[35:36], off
	global_load_u16 v38, v[33:34], off
	v_add_co_u32 v33, vcc_lo, v33, 2
	v_add_co_ci_u32_e32 v34, vcc_lo, 0, v34, vcc_lo
	v_add_co_u32 v35, s2, v35, 2
	s_delay_alu instid0(VALU_DEP_1)
	v_add_co_ci_u32_e64 v36, s2, 0, v36, s2
	s_add_u32 s18, s18, 1
	s_addc_u32 s19, s19, 0
	s_and_not1_b32 s2, s31, exec_lo
	s_waitcnt vmcnt(0)
	v_cmp_ne_u16_e32 vcc_lo, v37, v38
	s_and_b32 s31, vcc_lo, exec_lo
	s_delay_alu instid0(SALU_CYCLE_1)
	s_or_b32 s31, s2, s31
.LBB1471_157:                           ;   in Loop: Header=BB1471_158 Depth=1
	v_dual_mov_b32 v38, s19 :: v_dual_mov_b32 v37, s18
	s_and_b32 s2, exec_lo, s31
	s_delay_alu instid0(SALU_CYCLE_1) | instskip(NEXT) | instid1(SALU_CYCLE_1)
	s_or_b32 s30, s2, s30
	s_and_not1_b32 exec_lo, exec_lo, s30
	s_cbranch_execz .LBB1471_160
.LBB1471_158:                           ; =>This Inner Loop Header: Depth=1
	s_or_b32 s31, s31, exec_lo
	s_cmp_eq_u64 s[6:7], s[18:19]
	s_cbranch_scc0 .LBB1471_156
; %bb.159:                              ;   in Loop: Header=BB1471_158 Depth=1
	s_mov_b64 s[18:19], s[22:23]
                                        ; implicit-def: $vgpr33_vgpr34
                                        ; implicit-def: $vgpr35_vgpr36
	s_branch .LBB1471_157
.LBB1471_160:
	s_set_inst_prefetch_distance 0x2
	s_or_b32 exec_lo, exec_lo, s30
	v_cmp_gt_i64_e32 vcc_lo, s[22:23], v[37:38]
	s_or_not1_b32 s2, vcc_lo, exec_lo
.LBB1471_161:
	s_or_b32 exec_lo, exec_lo, s27
.LBB1471_162:
	s_delay_alu instid0(SALU_CYCLE_1)
	s_and_b32 s27, s2, exec_lo
.LBB1471_163:
	s_or_b32 exec_lo, exec_lo, s29
	v_or_b32_e32 v33, 3, v55
	s_mov_b32 s30, 0
	s_mov_b32 s29, 0
	s_mov_b32 s31, exec_lo
	s_delay_alu instid0(VALU_DEP_1)
	v_cmpx_gt_u32_e64 s28, v33
	s_cbranch_execz .LBB1471_174
; %bb.164:
	v_cmp_ne_u32_e32 vcc_lo, 1, v41
	s_mov_b32 s2, 0
	s_cbranch_vccnz .LBB1471_173
; %bb.165:
	v_mul_lo_u32 v37, v26, s22
	v_mul_lo_u32 v38, v25, s23
	v_mad_u64_u32 v[33:34], null, v25, s22, 0
	v_mul_lo_u32 v39, v28, s22
	v_mul_lo_u32 v40, v27, s23
	s_waitcnt lgkmcnt(0)
	v_mad_u64_u32 v[35:36], null, v27, s22, 0
	s_mov_b32 s2, -1
	s_mov_b32 s29, exec_lo
	s_delay_alu instid0(VALU_DEP_4) | instskip(NEXT) | instid1(VALU_DEP_2)
	v_add3_u32 v34, v34, v38, v37
	v_add3_u32 v36, v36, v40, v39
	s_delay_alu instid0(VALU_DEP_2) | instskip(NEXT) | instid1(VALU_DEP_2)
	v_lshlrev_b64 v[33:34], 1, v[33:34]
	v_lshlrev_b64 v[37:38], 1, v[35:36]
	s_delay_alu instid0(VALU_DEP_2) | instskip(NEXT) | instid1(VALU_DEP_3)
	v_add_co_u32 v35, vcc_lo, s8, v33
	v_add_co_ci_u32_e32 v36, vcc_lo, s9, v34, vcc_lo
	s_delay_alu instid0(VALU_DEP_3) | instskip(NEXT) | instid1(VALU_DEP_4)
	v_add_co_u32 v33, vcc_lo, s8, v37
	v_add_co_ci_u32_e32 v34, vcc_lo, s9, v38, vcc_lo
	s_clause 0x1
	global_load_u16 v37, v[35:36], off
	global_load_u16 v38, v[33:34], off
	s_waitcnt vmcnt(0)
	v_cmpx_eq_u16_e64 v37, v38
	s_cbranch_execz .LBB1471_172
; %bb.166:
	v_add_co_u32 v33, vcc_lo, v33, 2
	v_add_co_ci_u32_e32 v34, vcc_lo, 0, v34, vcc_lo
	v_add_co_u32 v35, vcc_lo, v35, 2
	v_add_co_ci_u32_e32 v36, vcc_lo, 0, v36, vcc_lo
	s_add_u32 s6, s22, -1
	s_addc_u32 s7, s23, -1
	s_mov_b64 s[18:19], 0
	s_mov_b32 s33, 0
                                        ; implicit-def: $sgpr34
	s_set_inst_prefetch_distance 0x1
	s_branch .LBB1471_169
	.p2align	6
.LBB1471_167:                           ;   in Loop: Header=BB1471_169 Depth=1
	global_load_u16 v37, v[35:36], off
	global_load_u16 v38, v[33:34], off
	v_add_co_u32 v33, vcc_lo, v33, 2
	v_add_co_ci_u32_e32 v34, vcc_lo, 0, v34, vcc_lo
	v_add_co_u32 v35, s2, v35, 2
	s_delay_alu instid0(VALU_DEP_1)
	v_add_co_ci_u32_e64 v36, s2, 0, v36, s2
	s_add_u32 s18, s18, 1
	s_addc_u32 s19, s19, 0
	s_and_not1_b32 s2, s34, exec_lo
	s_waitcnt vmcnt(0)
	v_cmp_ne_u16_e32 vcc_lo, v37, v38
	s_and_b32 s34, vcc_lo, exec_lo
	s_delay_alu instid0(SALU_CYCLE_1)
	s_or_b32 s34, s2, s34
.LBB1471_168:                           ;   in Loop: Header=BB1471_169 Depth=1
	v_dual_mov_b32 v38, s19 :: v_dual_mov_b32 v37, s18
	s_and_b32 s2, exec_lo, s34
	s_delay_alu instid0(SALU_CYCLE_1) | instskip(NEXT) | instid1(SALU_CYCLE_1)
	s_or_b32 s33, s2, s33
	s_and_not1_b32 exec_lo, exec_lo, s33
	s_cbranch_execz .LBB1471_171
.LBB1471_169:                           ; =>This Inner Loop Header: Depth=1
	s_or_b32 s34, s34, exec_lo
	s_cmp_eq_u64 s[6:7], s[18:19]
	s_cbranch_scc0 .LBB1471_167
; %bb.170:                              ;   in Loop: Header=BB1471_169 Depth=1
	s_mov_b64 s[18:19], s[22:23]
                                        ; implicit-def: $vgpr33_vgpr34
                                        ; implicit-def: $vgpr35_vgpr36
	s_branch .LBB1471_168
.LBB1471_171:
	s_set_inst_prefetch_distance 0x2
	s_or_b32 exec_lo, exec_lo, s33
	v_cmp_gt_i64_e32 vcc_lo, s[22:23], v[37:38]
	s_or_not1_b32 s2, vcc_lo, exec_lo
.LBB1471_172:
	s_or_b32 exec_lo, exec_lo, s29
.LBB1471_173:
	s_delay_alu instid0(SALU_CYCLE_1)
	s_and_b32 s29, s2, exec_lo
.LBB1471_174:
	s_or_b32 exec_lo, exec_lo, s31
	v_or_b32_e32 v33, 2, v55
	s_mov_b32 s31, exec_lo
	s_delay_alu instid0(VALU_DEP_1)
	v_cmpx_gt_u32_e64 s28, v33
	s_cbranch_execz .LBB1471_185
; %bb.175:
	v_cmp_ne_u32_e32 vcc_lo, 1, v41
	s_mov_b32 s2, 0
	s_cbranch_vccnz .LBB1471_184
; %bb.176:
	v_mul_lo_u32 v37, v32, s22
	v_mul_lo_u32 v38, v31, s23
	v_mad_u64_u32 v[33:34], null, v31, s22, 0
	v_mul_lo_u32 v39, v26, s22
	v_mul_lo_u32 v40, v25, s23
	s_waitcnt lgkmcnt(0)
	v_mad_u64_u32 v[35:36], null, v25, s22, 0
	s_mov_b32 s2, -1
	s_mov_b32 s30, exec_lo
	s_delay_alu instid0(VALU_DEP_4) | instskip(NEXT) | instid1(VALU_DEP_2)
	v_add3_u32 v34, v34, v38, v37
	v_add3_u32 v36, v36, v40, v39
	s_delay_alu instid0(VALU_DEP_2) | instskip(NEXT) | instid1(VALU_DEP_2)
	v_lshlrev_b64 v[33:34], 1, v[33:34]
	v_lshlrev_b64 v[37:38], 1, v[35:36]
	s_delay_alu instid0(VALU_DEP_2) | instskip(NEXT) | instid1(VALU_DEP_3)
	v_add_co_u32 v35, vcc_lo, s8, v33
	v_add_co_ci_u32_e32 v36, vcc_lo, s9, v34, vcc_lo
	s_delay_alu instid0(VALU_DEP_3) | instskip(NEXT) | instid1(VALU_DEP_4)
	v_add_co_u32 v33, vcc_lo, s8, v37
	v_add_co_ci_u32_e32 v34, vcc_lo, s9, v38, vcc_lo
	s_clause 0x1
	global_load_u16 v37, v[35:36], off
	global_load_u16 v38, v[33:34], off
	s_waitcnt vmcnt(0)
	v_cmpx_eq_u16_e64 v37, v38
	s_cbranch_execz .LBB1471_183
; %bb.177:
	v_add_co_u32 v33, vcc_lo, v33, 2
	v_add_co_ci_u32_e32 v34, vcc_lo, 0, v34, vcc_lo
	v_add_co_u32 v35, vcc_lo, v35, 2
	v_add_co_ci_u32_e32 v36, vcc_lo, 0, v36, vcc_lo
	s_add_u32 s6, s22, -1
	s_addc_u32 s7, s23, -1
	s_mov_b64 s[18:19], 0
	s_mov_b32 s33, 0
                                        ; implicit-def: $sgpr34
	s_set_inst_prefetch_distance 0x1
	s_branch .LBB1471_180
	.p2align	6
.LBB1471_178:                           ;   in Loop: Header=BB1471_180 Depth=1
	global_load_u16 v37, v[35:36], off
	global_load_u16 v38, v[33:34], off
	v_add_co_u32 v33, vcc_lo, v33, 2
	v_add_co_ci_u32_e32 v34, vcc_lo, 0, v34, vcc_lo
	v_add_co_u32 v35, s2, v35, 2
	s_delay_alu instid0(VALU_DEP_1)
	v_add_co_ci_u32_e64 v36, s2, 0, v36, s2
	s_add_u32 s18, s18, 1
	s_addc_u32 s19, s19, 0
	s_and_not1_b32 s2, s34, exec_lo
	s_waitcnt vmcnt(0)
	v_cmp_ne_u16_e32 vcc_lo, v37, v38
	s_and_b32 s34, vcc_lo, exec_lo
	s_delay_alu instid0(SALU_CYCLE_1)
	s_or_b32 s34, s2, s34
.LBB1471_179:                           ;   in Loop: Header=BB1471_180 Depth=1
	v_dual_mov_b32 v38, s19 :: v_dual_mov_b32 v37, s18
	s_and_b32 s2, exec_lo, s34
	s_delay_alu instid0(SALU_CYCLE_1) | instskip(NEXT) | instid1(SALU_CYCLE_1)
	s_or_b32 s33, s2, s33
	s_and_not1_b32 exec_lo, exec_lo, s33
	s_cbranch_execz .LBB1471_182
.LBB1471_180:                           ; =>This Inner Loop Header: Depth=1
	s_or_b32 s34, s34, exec_lo
	s_cmp_eq_u64 s[6:7], s[18:19]
	s_cbranch_scc0 .LBB1471_178
; %bb.181:                              ;   in Loop: Header=BB1471_180 Depth=1
	s_mov_b64 s[18:19], s[22:23]
                                        ; implicit-def: $vgpr33_vgpr34
                                        ; implicit-def: $vgpr35_vgpr36
	s_branch .LBB1471_179
.LBB1471_182:
	s_set_inst_prefetch_distance 0x2
	s_or_b32 exec_lo, exec_lo, s33
	v_cmp_gt_i64_e32 vcc_lo, s[22:23], v[37:38]
	s_or_not1_b32 s2, vcc_lo, exec_lo
.LBB1471_183:
	s_or_b32 exec_lo, exec_lo, s30
.LBB1471_184:
	s_delay_alu instid0(SALU_CYCLE_1)
	s_and_b32 s30, s2, exec_lo
.LBB1471_185:
	s_or_b32 exec_lo, exec_lo, s31
	v_or_b32_e32 v33, 1, v55
	s_mov_b32 s2, 0
	s_mov_b32 s31, exec_lo
	s_delay_alu instid0(VALU_DEP_1)
	v_cmpx_gt_u32_e64 s28, v33
	s_cbranch_execz .LBB1471_196
; %bb.186:
	v_cmp_ne_u32_e32 vcc_lo, 1, v41
	s_cbranch_vccnz .LBB1471_195
; %bb.187:
	v_mul_lo_u32 v37, v30, s22
	v_mul_lo_u32 v38, v29, s23
	v_mad_u64_u32 v[33:34], null, v29, s22, 0
	v_mul_lo_u32 v39, v32, s22
	v_mul_lo_u32 v40, v31, s23
	s_waitcnt lgkmcnt(0)
	v_mad_u64_u32 v[35:36], null, v31, s22, 0
	s_mov_b32 s2, -1
	s_mov_b32 s33, exec_lo
	s_delay_alu instid0(VALU_DEP_4) | instskip(NEXT) | instid1(VALU_DEP_2)
	v_add3_u32 v34, v34, v38, v37
	v_add3_u32 v36, v36, v40, v39
	s_delay_alu instid0(VALU_DEP_2) | instskip(NEXT) | instid1(VALU_DEP_2)
	v_lshlrev_b64 v[33:34], 1, v[33:34]
	v_lshlrev_b64 v[37:38], 1, v[35:36]
	s_delay_alu instid0(VALU_DEP_2) | instskip(NEXT) | instid1(VALU_DEP_3)
	v_add_co_u32 v35, vcc_lo, s8, v33
	v_add_co_ci_u32_e32 v36, vcc_lo, s9, v34, vcc_lo
	s_delay_alu instid0(VALU_DEP_3) | instskip(NEXT) | instid1(VALU_DEP_4)
	v_add_co_u32 v33, vcc_lo, s8, v37
	v_add_co_ci_u32_e32 v34, vcc_lo, s9, v38, vcc_lo
	s_clause 0x1
	global_load_u16 v37, v[35:36], off
	global_load_u16 v38, v[33:34], off
	s_waitcnt vmcnt(0)
	v_cmpx_eq_u16_e64 v37, v38
	s_cbranch_execz .LBB1471_194
; %bb.188:
	v_add_co_u32 v33, vcc_lo, v33, 2
	v_add_co_ci_u32_e32 v34, vcc_lo, 0, v34, vcc_lo
	v_add_co_u32 v35, vcc_lo, v35, 2
	v_add_co_ci_u32_e32 v36, vcc_lo, 0, v36, vcc_lo
	s_add_u32 s6, s22, -1
	s_addc_u32 s7, s23, -1
	s_mov_b64 s[18:19], 0
	s_mov_b32 s34, 0
                                        ; implicit-def: $sgpr35
	s_set_inst_prefetch_distance 0x1
	s_branch .LBB1471_191
	.p2align	6
.LBB1471_189:                           ;   in Loop: Header=BB1471_191 Depth=1
	global_load_u16 v37, v[35:36], off
	global_load_u16 v38, v[33:34], off
	v_add_co_u32 v33, vcc_lo, v33, 2
	v_add_co_ci_u32_e32 v34, vcc_lo, 0, v34, vcc_lo
	v_add_co_u32 v35, s2, v35, 2
	s_delay_alu instid0(VALU_DEP_1)
	v_add_co_ci_u32_e64 v36, s2, 0, v36, s2
	s_add_u32 s18, s18, 1
	s_addc_u32 s19, s19, 0
	s_and_not1_b32 s2, s35, exec_lo
	s_waitcnt vmcnt(0)
	v_cmp_ne_u16_e32 vcc_lo, v37, v38
	s_and_b32 s35, vcc_lo, exec_lo
	s_delay_alu instid0(SALU_CYCLE_1)
	s_or_b32 s35, s2, s35
.LBB1471_190:                           ;   in Loop: Header=BB1471_191 Depth=1
	v_dual_mov_b32 v38, s19 :: v_dual_mov_b32 v37, s18
	s_and_b32 s2, exec_lo, s35
	s_delay_alu instid0(SALU_CYCLE_1) | instskip(NEXT) | instid1(SALU_CYCLE_1)
	s_or_b32 s34, s2, s34
	s_and_not1_b32 exec_lo, exec_lo, s34
	s_cbranch_execz .LBB1471_193
.LBB1471_191:                           ; =>This Inner Loop Header: Depth=1
	s_or_b32 s35, s35, exec_lo
	s_cmp_eq_u64 s[6:7], s[18:19]
	s_cbranch_scc0 .LBB1471_189
; %bb.192:                              ;   in Loop: Header=BB1471_191 Depth=1
	s_mov_b64 s[18:19], s[22:23]
                                        ; implicit-def: $vgpr33_vgpr34
                                        ; implicit-def: $vgpr35_vgpr36
	s_branch .LBB1471_190
.LBB1471_193:
	s_set_inst_prefetch_distance 0x2
	s_or_b32 exec_lo, exec_lo, s34
	v_cmp_gt_i64_e32 vcc_lo, s[22:23], v[37:38]
	s_or_not1_b32 s2, vcc_lo, exec_lo
.LBB1471_194:
	s_or_b32 exec_lo, exec_lo, s33
.LBB1471_195:
	s_delay_alu instid0(SALU_CYCLE_1)
	s_and_b32 s2, s2, exec_lo
.LBB1471_196:
	s_or_b32 exec_lo, exec_lo, s31
	s_waitcnt lgkmcnt(0)
	v_dual_mov_b32 v34, s5 :: v_dual_mov_b32 v33, s4
	s_mov_b32 s4, exec_lo
	s_barrier
	buffer_gl0_inv
	v_cmpx_ne_u32_e32 0, v0
	s_cbranch_execz .LBB1471_198
; %bb.197:
	v_add_nc_u32_e32 v33, -8, v55
	ds_load_b64 v[33:34], v33
.LBB1471_198:
	s_or_b32 exec_lo, exec_lo, s4
	v_cndmask_b32_e64 v36, 0, 1, s29
	v_cndmask_b32_e64 v38, 0, 1, s25
	;; [unrolled: 1-line block ×7, first 2 shown]
	v_lshlrev_b16 v36, 8, v36
	v_lshlrev_b16 v38, 8, v38
	;; [unrolled: 1-line block ×3, first 2 shown]
	s_mov_b32 s2, 0
	v_lshlrev_b16 v42, 8, v42
	v_or_b32_e32 v35, v35, v36
	v_or_b32_e32 v36, v37, v38
	;; [unrolled: 1-line block ×3, first 2 shown]
	s_mov_b32 s3, exec_lo
	v_and_b32_e32 v39, 0xffff, v42
	v_lshlrev_b32_e32 v40, 16, v35
	v_and_b32_e32 v42, 0xffff, v36
	v_lshlrev_b32_e32 v43, 16, v37
	v_cmpx_gt_u32_e64 s28, v55
	s_cbranch_execz .LBB1471_209
; %bb.199:
	v_cmp_ne_u32_e32 vcc_lo, 1, v41
	s_cbranch_vccnz .LBB1471_208
; %bb.200:
	s_waitcnt lgkmcnt(0)
	v_mul_lo_u32 v38, v34, s22
	v_mul_lo_u32 v41, v33, s23
	v_mad_u64_u32 v[34:35], null, v33, s22, 0
	v_mul_lo_u32 v33, v30, s22
	v_mul_lo_u32 v44, v29, s23
	v_mad_u64_u32 v[36:37], null, v29, s22, 0
	s_mov_b32 s2, -1
	s_mov_b32 s18, exec_lo
	s_delay_alu instid0(VALU_DEP_4) | instskip(NEXT) | instid1(VALU_DEP_2)
	v_add3_u32 v35, v35, v41, v38
	v_add3_u32 v37, v37, v44, v33
	s_delay_alu instid0(VALU_DEP_2) | instskip(NEXT) | instid1(VALU_DEP_2)
	v_lshlrev_b64 v[33:34], 1, v[34:35]
	v_lshlrev_b64 v[37:38], 1, v[36:37]
	s_delay_alu instid0(VALU_DEP_2) | instskip(NEXT) | instid1(VALU_DEP_3)
	v_add_co_u32 v35, vcc_lo, s8, v33
	v_add_co_ci_u32_e32 v36, vcc_lo, s9, v34, vcc_lo
	s_delay_alu instid0(VALU_DEP_3) | instskip(NEXT) | instid1(VALU_DEP_4)
	v_add_co_u32 v33, vcc_lo, s8, v37
	v_add_co_ci_u32_e32 v34, vcc_lo, s9, v38, vcc_lo
	s_clause 0x1
	global_load_u16 v37, v[35:36], off
	global_load_u16 v38, v[33:34], off
	s_waitcnt vmcnt(0)
	v_cmpx_eq_u16_e64 v37, v38
	s_cbranch_execz .LBB1471_207
; %bb.201:
	v_add_co_u32 v33, vcc_lo, v33, 2
	v_add_co_ci_u32_e32 v34, vcc_lo, 0, v34, vcc_lo
	v_add_co_u32 v35, vcc_lo, v35, 2
	v_add_co_ci_u32_e32 v36, vcc_lo, 0, v36, vcc_lo
	s_add_u32 s4, s22, -1
	s_addc_u32 s5, s23, -1
	s_mov_b64 s[6:7], 0
	s_mov_b32 s19, 0
                                        ; implicit-def: $sgpr25
	s_set_inst_prefetch_distance 0x1
	s_branch .LBB1471_204
	.p2align	6
.LBB1471_202:                           ;   in Loop: Header=BB1471_204 Depth=1
	global_load_u16 v37, v[35:36], off
	global_load_u16 v38, v[33:34], off
	v_add_co_u32 v33, vcc_lo, v33, 2
	v_add_co_ci_u32_e32 v34, vcc_lo, 0, v34, vcc_lo
	v_add_co_u32 v35, s2, v35, 2
	s_delay_alu instid0(VALU_DEP_1)
	v_add_co_ci_u32_e64 v36, s2, 0, v36, s2
	s_add_u32 s6, s6, 1
	s_addc_u32 s7, s7, 0
	s_and_not1_b32 s2, s25, exec_lo
	s_waitcnt vmcnt(0)
	v_cmp_ne_u16_e32 vcc_lo, v37, v38
	s_and_b32 s25, vcc_lo, exec_lo
	s_delay_alu instid0(SALU_CYCLE_1)
	s_or_b32 s25, s2, s25
.LBB1471_203:                           ;   in Loop: Header=BB1471_204 Depth=1
	v_dual_mov_b32 v38, s7 :: v_dual_mov_b32 v37, s6
	s_and_b32 s2, exec_lo, s25
	s_delay_alu instid0(SALU_CYCLE_1) | instskip(NEXT) | instid1(SALU_CYCLE_1)
	s_or_b32 s19, s2, s19
	s_and_not1_b32 exec_lo, exec_lo, s19
	s_cbranch_execz .LBB1471_206
.LBB1471_204:                           ; =>This Inner Loop Header: Depth=1
	s_or_b32 s25, s25, exec_lo
	s_cmp_eq_u64 s[4:5], s[6:7]
	s_cbranch_scc0 .LBB1471_202
; %bb.205:                              ;   in Loop: Header=BB1471_204 Depth=1
	s_mov_b64 s[6:7], s[22:23]
                                        ; implicit-def: $vgpr33_vgpr34
                                        ; implicit-def: $vgpr35_vgpr36
	s_branch .LBB1471_203
.LBB1471_206:
	s_set_inst_prefetch_distance 0x2
	s_or_b32 exec_lo, exec_lo, s19
	v_cmp_gt_i64_e32 vcc_lo, s[22:23], v[37:38]
	s_or_not1_b32 s2, vcc_lo, exec_lo
.LBB1471_207:
	s_or_b32 exec_lo, exec_lo, s18
.LBB1471_208:
	s_delay_alu instid0(SALU_CYCLE_1)
	s_and_b32 s2, s2, exec_lo
.LBB1471_209:
	s_or_b32 exec_lo, exec_lo, s3
	s_waitcnt lgkmcnt(0)
	v_or_b32_e32 v33, v39, v40
	v_or_b32_e32 v34, v42, v43
.LBB1471_210:
	s_waitcnt lgkmcnt(0)
	s_mov_b32 s3, -1
	s_cbranch_execnz .LBB1471_379
.LBB1471_211:
	v_cmp_gt_i64_e64 s18, s[22:23], 0
	s_and_b32 vcc_lo, exec_lo, s20
	ds_store_b64 v55, v[19:20]
	s_cbranch_vccz .LBB1471_219
; %bb.212:
	v_mul_lo_u32 v35, v18, s22
	v_mul_lo_u32 v36, v17, s23
	v_mad_u64_u32 v[33:34], null, v17, s22, 0
	s_mov_b32 s19, 0
	s_and_not1_b32 vcc_lo, exec_lo, s18
	s_mov_b32 s25, 0
	s_delay_alu instid0(VALU_DEP_1) | instskip(NEXT) | instid1(VALU_DEP_1)
	v_add3_u32 v34, v34, v36, v35
	v_lshlrev_b64 v[33:34], 1, v[33:34]
	s_cbranch_vccnz .LBB1471_222
; %bb.213:
	v_mul_lo_u32 v37, v20, s22
	v_mul_lo_u32 v38, v19, s23
	v_mad_u64_u32 v[35:36], null, v19, s22, 0
	s_mov_b32 s25, -1
	s_mov_b32 s26, exec_lo
	s_delay_alu instid0(VALU_DEP_1) | instskip(SKIP_2) | instid1(VALU_DEP_3)
	v_add3_u32 v36, v36, v38, v37
	v_add_co_u32 v37, vcc_lo, s8, v33
	v_add_co_ci_u32_e32 v38, vcc_lo, s9, v34, vcc_lo
	v_lshlrev_b64 v[35:36], 1, v[35:36]
	s_delay_alu instid0(VALU_DEP_1) | instskip(NEXT) | instid1(VALU_DEP_2)
	v_add_co_u32 v35, vcc_lo, s8, v35
	v_add_co_ci_u32_e32 v36, vcc_lo, s9, v36, vcc_lo
	s_clause 0x1
	global_load_u16 v39, v[37:38], off
	global_load_u16 v40, v[35:36], off
	s_waitcnt vmcnt(0)
	v_cmpx_eq_u16_e64 v39, v40
	s_cbranch_execz .LBB1471_221
; %bb.214:
	v_add_co_u32 v35, vcc_lo, v35, 2
	v_add_co_ci_u32_e32 v36, vcc_lo, 0, v36, vcc_lo
	v_add_co_u32 v37, vcc_lo, v37, 2
	v_add_co_ci_u32_e32 v38, vcc_lo, 0, v38, vcc_lo
	s_add_u32 s4, s22, -1
	s_addc_u32 s5, s23, -1
	s_mov_b64 s[6:7], 0
	s_mov_b32 s25, 0
                                        ; implicit-def: $sgpr27
	s_set_inst_prefetch_distance 0x1
	s_branch .LBB1471_217
	.p2align	6
.LBB1471_215:                           ;   in Loop: Header=BB1471_217 Depth=1
	global_load_u16 v39, v[37:38], off
	global_load_u16 v40, v[35:36], off
	v_add_co_u32 v35, vcc_lo, v35, 2
	v_add_co_ci_u32_e32 v36, vcc_lo, 0, v36, vcc_lo
	v_add_co_u32 v37, s2, v37, 2
	s_delay_alu instid0(VALU_DEP_1)
	v_add_co_ci_u32_e64 v38, s2, 0, v38, s2
	s_add_u32 s6, s6, 1
	s_addc_u32 s7, s7, 0
	s_and_not1_b32 s2, s27, exec_lo
	s_waitcnt vmcnt(0)
	v_cmp_ne_u16_e32 vcc_lo, v39, v40
	s_and_b32 s27, vcc_lo, exec_lo
	s_delay_alu instid0(SALU_CYCLE_1)
	s_or_b32 s27, s2, s27
.LBB1471_216:                           ;   in Loop: Header=BB1471_217 Depth=1
	v_dual_mov_b32 v40, s7 :: v_dual_mov_b32 v39, s6
	s_and_b32 s2, exec_lo, s27
	s_delay_alu instid0(SALU_CYCLE_1) | instskip(NEXT) | instid1(SALU_CYCLE_1)
	s_or_b32 s25, s2, s25
	s_and_not1_b32 exec_lo, exec_lo, s25
	s_cbranch_execz .LBB1471_220
.LBB1471_217:                           ; =>This Inner Loop Header: Depth=1
	s_or_b32 s27, s27, exec_lo
	s_cmp_eq_u64 s[4:5], s[6:7]
	s_cbranch_scc0 .LBB1471_215
; %bb.218:                              ;   in Loop: Header=BB1471_217 Depth=1
	s_mov_b64 s[6:7], s[22:23]
                                        ; implicit-def: $vgpr35_vgpr36
                                        ; implicit-def: $vgpr37_vgpr38
	s_branch .LBB1471_216
.LBB1471_219:
                                        ; implicit-def: $sgpr2
                                        ; implicit-def: $vgpr34
	s_cbranch_execnz .LBB1471_288
	s_branch .LBB1471_379
.LBB1471_220:
	s_set_inst_prefetch_distance 0x2
	s_or_b32 exec_lo, exec_lo, s25
	v_cmp_gt_i64_e32 vcc_lo, s[22:23], v[39:40]
	s_or_not1_b32 s25, vcc_lo, exec_lo
.LBB1471_221:
	s_or_b32 exec_lo, exec_lo, s26
.LBB1471_222:
	v_mul_lo_u32 v37, v24, s22
	v_mul_lo_u32 v38, v23, s23
	v_mad_u64_u32 v[35:36], null, v23, s22, 0
	s_and_not1_b32 vcc_lo, exec_lo, s18
	s_delay_alu instid0(VALU_DEP_1) | instskip(NEXT) | instid1(VALU_DEP_1)
	v_add3_u32 v36, v36, v38, v37
	v_lshlrev_b64 v[35:36], 1, v[35:36]
	s_cbranch_vccnz .LBB1471_231
; %bb.223:
	s_delay_alu instid0(VALU_DEP_1) | instskip(NEXT) | instid1(VALU_DEP_2)
	v_add_co_u32 v37, vcc_lo, s8, v35
	v_add_co_ci_u32_e32 v38, vcc_lo, s9, v36, vcc_lo
	v_add_co_u32 v33, vcc_lo, s8, v33
	v_add_co_ci_u32_e32 v34, vcc_lo, s9, v34, vcc_lo
	s_mov_b32 s19, -1
	s_clause 0x1
	global_load_u16 v39, v[37:38], off
	global_load_u16 v40, v[33:34], off
	s_mov_b32 s26, exec_lo
	s_waitcnt vmcnt(0)
	v_cmpx_eq_u16_e64 v39, v40
	s_cbranch_execz .LBB1471_230
; %bb.224:
	v_add_co_u32 v33, vcc_lo, v33, 2
	v_add_co_ci_u32_e32 v34, vcc_lo, 0, v34, vcc_lo
	v_add_co_u32 v37, vcc_lo, v37, 2
	v_add_co_ci_u32_e32 v38, vcc_lo, 0, v38, vcc_lo
	s_add_u32 s4, s22, -1
	s_addc_u32 s5, s23, -1
	s_mov_b64 s[6:7], 0
	s_mov_b32 s19, 0
                                        ; implicit-def: $sgpr27
	s_set_inst_prefetch_distance 0x1
	s_branch .LBB1471_227
	.p2align	6
.LBB1471_225:                           ;   in Loop: Header=BB1471_227 Depth=1
	global_load_u16 v39, v[37:38], off
	global_load_u16 v40, v[33:34], off
	v_add_co_u32 v33, vcc_lo, v33, 2
	v_add_co_ci_u32_e32 v34, vcc_lo, 0, v34, vcc_lo
	v_add_co_u32 v37, s2, v37, 2
	s_delay_alu instid0(VALU_DEP_1)
	v_add_co_ci_u32_e64 v38, s2, 0, v38, s2
	s_add_u32 s6, s6, 1
	s_addc_u32 s7, s7, 0
	s_and_not1_b32 s2, s27, exec_lo
	s_waitcnt vmcnt(0)
	v_cmp_ne_u16_e32 vcc_lo, v39, v40
	s_and_b32 s27, vcc_lo, exec_lo
	s_delay_alu instid0(SALU_CYCLE_1)
	s_or_b32 s27, s2, s27
.LBB1471_226:                           ;   in Loop: Header=BB1471_227 Depth=1
	v_dual_mov_b32 v40, s7 :: v_dual_mov_b32 v39, s6
	s_and_b32 s2, exec_lo, s27
	s_delay_alu instid0(SALU_CYCLE_1) | instskip(NEXT) | instid1(SALU_CYCLE_1)
	s_or_b32 s19, s2, s19
	s_and_not1_b32 exec_lo, exec_lo, s19
	s_cbranch_execz .LBB1471_229
.LBB1471_227:                           ; =>This Inner Loop Header: Depth=1
	s_or_b32 s27, s27, exec_lo
	s_cmp_eq_u64 s[4:5], s[6:7]
	s_cbranch_scc0 .LBB1471_225
; %bb.228:                              ;   in Loop: Header=BB1471_227 Depth=1
	s_mov_b64 s[6:7], s[22:23]
                                        ; implicit-def: $vgpr33_vgpr34
                                        ; implicit-def: $vgpr37_vgpr38
	s_branch .LBB1471_226
.LBB1471_229:
	s_set_inst_prefetch_distance 0x2
	s_or_b32 exec_lo, exec_lo, s19
	v_cmp_gt_i64_e32 vcc_lo, s[22:23], v[39:40]
	s_or_not1_b32 s19, vcc_lo, exec_lo
.LBB1471_230:
	s_or_b32 exec_lo, exec_lo, s26
.LBB1471_231:
	v_mul_lo_u32 v37, v22, s22
	v_mul_lo_u32 v38, v21, s23
	v_mad_u64_u32 v[33:34], null, v21, s22, 0
	s_mov_b32 s26, 0
	s_and_not1_b32 vcc_lo, exec_lo, s18
	s_mov_b32 s27, 0
	s_delay_alu instid0(VALU_DEP_1) | instskip(NEXT) | instid1(VALU_DEP_1)
	v_add3_u32 v34, v34, v38, v37
	v_lshlrev_b64 v[37:38], 1, v[33:34]
	s_cbranch_vccnz .LBB1471_240
; %bb.232:
	s_delay_alu instid0(VALU_DEP_1) | instskip(NEXT) | instid1(VALU_DEP_2)
	v_add_co_u32 v39, vcc_lo, s8, v37
	v_add_co_ci_u32_e32 v40, vcc_lo, s9, v38, vcc_lo
	v_add_co_u32 v33, vcc_lo, s8, v35
	v_add_co_ci_u32_e32 v34, vcc_lo, s9, v36, vcc_lo
	s_mov_b32 s27, -1
	s_clause 0x1
	global_load_u16 v35, v[39:40], off
	global_load_u16 v36, v[33:34], off
	s_mov_b32 s29, exec_lo
	s_waitcnt vmcnt(0)
	v_cmpx_eq_u16_e64 v35, v36
	s_cbranch_execz .LBB1471_239
; %bb.233:
	v_add_co_u32 v33, vcc_lo, v33, 2
	v_add_co_ci_u32_e32 v34, vcc_lo, 0, v34, vcc_lo
	v_add_co_u32 v35, vcc_lo, v39, 2
	v_add_co_ci_u32_e32 v36, vcc_lo, 0, v40, vcc_lo
	s_add_u32 s4, s22, -1
	s_addc_u32 s5, s23, -1
	s_mov_b64 s[6:7], 0
	s_mov_b32 s27, 0
                                        ; implicit-def: $sgpr30
	s_set_inst_prefetch_distance 0x1
	s_branch .LBB1471_236
	.p2align	6
.LBB1471_234:                           ;   in Loop: Header=BB1471_236 Depth=1
	global_load_u16 v39, v[35:36], off
	global_load_u16 v40, v[33:34], off
	v_add_co_u32 v33, vcc_lo, v33, 2
	v_add_co_ci_u32_e32 v34, vcc_lo, 0, v34, vcc_lo
	v_add_co_u32 v35, s2, v35, 2
	s_delay_alu instid0(VALU_DEP_1)
	v_add_co_ci_u32_e64 v36, s2, 0, v36, s2
	s_add_u32 s6, s6, 1
	s_addc_u32 s7, s7, 0
	s_and_not1_b32 s2, s30, exec_lo
	s_waitcnt vmcnt(0)
	v_cmp_ne_u16_e32 vcc_lo, v39, v40
	s_and_b32 s30, vcc_lo, exec_lo
	s_delay_alu instid0(SALU_CYCLE_1)
	s_or_b32 s30, s2, s30
.LBB1471_235:                           ;   in Loop: Header=BB1471_236 Depth=1
	v_dual_mov_b32 v40, s7 :: v_dual_mov_b32 v39, s6
	s_and_b32 s2, exec_lo, s30
	s_delay_alu instid0(SALU_CYCLE_1) | instskip(NEXT) | instid1(SALU_CYCLE_1)
	s_or_b32 s27, s2, s27
	s_and_not1_b32 exec_lo, exec_lo, s27
	s_cbranch_execz .LBB1471_238
.LBB1471_236:                           ; =>This Inner Loop Header: Depth=1
	s_or_b32 s30, s30, exec_lo
	s_cmp_eq_u64 s[4:5], s[6:7]
	s_cbranch_scc0 .LBB1471_234
; %bb.237:                              ;   in Loop: Header=BB1471_236 Depth=1
	s_mov_b64 s[6:7], s[22:23]
                                        ; implicit-def: $vgpr33_vgpr34
                                        ; implicit-def: $vgpr35_vgpr36
	s_branch .LBB1471_235
.LBB1471_238:
	s_set_inst_prefetch_distance 0x2
	s_or_b32 exec_lo, exec_lo, s27
	v_cmp_gt_i64_e32 vcc_lo, s[22:23], v[39:40]
	s_or_not1_b32 s27, vcc_lo, exec_lo
.LBB1471_239:
	s_or_b32 exec_lo, exec_lo, s29
.LBB1471_240:
	v_mul_lo_u32 v35, v28, s22
	v_mul_lo_u32 v36, v27, s23
	v_mad_u64_u32 v[33:34], null, v27, s22, 0
	s_and_not1_b32 vcc_lo, exec_lo, s18
	s_delay_alu instid0(VALU_DEP_1) | instskip(NEXT) | instid1(VALU_DEP_1)
	v_add3_u32 v34, v34, v36, v35
	v_lshlrev_b64 v[33:34], 1, v[33:34]
	s_cbranch_vccnz .LBB1471_249
; %bb.241:
	s_delay_alu instid0(VALU_DEP_1) | instskip(NEXT) | instid1(VALU_DEP_2)
	v_add_co_u32 v39, vcc_lo, s8, v33
	v_add_co_ci_u32_e32 v40, vcc_lo, s9, v34, vcc_lo
	v_add_co_u32 v35, vcc_lo, s8, v37
	v_add_co_ci_u32_e32 v36, vcc_lo, s9, v38, vcc_lo
	s_mov_b32 s26, -1
	s_clause 0x1
	global_load_u16 v37, v[39:40], off
	global_load_u16 v38, v[35:36], off
	s_mov_b32 s29, exec_lo
	s_waitcnt vmcnt(0)
	v_cmpx_eq_u16_e64 v37, v38
	s_cbranch_execz .LBB1471_248
; %bb.242:
	v_add_co_u32 v35, vcc_lo, v35, 2
	v_add_co_ci_u32_e32 v36, vcc_lo, 0, v36, vcc_lo
	v_add_co_u32 v37, vcc_lo, v39, 2
	v_add_co_ci_u32_e32 v38, vcc_lo, 0, v40, vcc_lo
	s_add_u32 s4, s22, -1
	s_addc_u32 s5, s23, -1
	s_mov_b64 s[6:7], 0
	s_mov_b32 s26, 0
                                        ; implicit-def: $sgpr30
	s_set_inst_prefetch_distance 0x1
	s_branch .LBB1471_245
	.p2align	6
.LBB1471_243:                           ;   in Loop: Header=BB1471_245 Depth=1
	global_load_u16 v39, v[37:38], off
	global_load_u16 v40, v[35:36], off
	v_add_co_u32 v35, vcc_lo, v35, 2
	v_add_co_ci_u32_e32 v36, vcc_lo, 0, v36, vcc_lo
	v_add_co_u32 v37, s2, v37, 2
	s_delay_alu instid0(VALU_DEP_1)
	v_add_co_ci_u32_e64 v38, s2, 0, v38, s2
	s_add_u32 s6, s6, 1
	s_addc_u32 s7, s7, 0
	s_and_not1_b32 s2, s30, exec_lo
	s_waitcnt vmcnt(0)
	v_cmp_ne_u16_e32 vcc_lo, v39, v40
	s_and_b32 s30, vcc_lo, exec_lo
	s_delay_alu instid0(SALU_CYCLE_1)
	s_or_b32 s30, s2, s30
.LBB1471_244:                           ;   in Loop: Header=BB1471_245 Depth=1
	v_dual_mov_b32 v40, s7 :: v_dual_mov_b32 v39, s6
	s_and_b32 s2, exec_lo, s30
	s_delay_alu instid0(SALU_CYCLE_1) | instskip(NEXT) | instid1(SALU_CYCLE_1)
	s_or_b32 s26, s2, s26
	s_and_not1_b32 exec_lo, exec_lo, s26
	s_cbranch_execz .LBB1471_247
.LBB1471_245:                           ; =>This Inner Loop Header: Depth=1
	s_or_b32 s30, s30, exec_lo
	s_cmp_eq_u64 s[4:5], s[6:7]
	s_cbranch_scc0 .LBB1471_243
; %bb.246:                              ;   in Loop: Header=BB1471_245 Depth=1
	s_mov_b64 s[6:7], s[22:23]
                                        ; implicit-def: $vgpr35_vgpr36
                                        ; implicit-def: $vgpr37_vgpr38
	s_branch .LBB1471_244
.LBB1471_247:
	s_set_inst_prefetch_distance 0x2
	s_or_b32 exec_lo, exec_lo, s26
	v_cmp_gt_i64_e32 vcc_lo, s[22:23], v[39:40]
	s_or_not1_b32 s26, vcc_lo, exec_lo
.LBB1471_248:
	s_or_b32 exec_lo, exec_lo, s29
.LBB1471_249:
	v_mul_lo_u32 v37, v26, s22
	v_mul_lo_u32 v38, v25, s23
	v_mad_u64_u32 v[35:36], null, v25, s22, 0
	s_mov_b32 s29, 0
	s_and_not1_b32 vcc_lo, exec_lo, s18
	s_mov_b32 s30, 0
	s_delay_alu instid0(VALU_DEP_1) | instskip(NEXT) | instid1(VALU_DEP_1)
	v_add3_u32 v36, v36, v38, v37
	v_lshlrev_b64 v[35:36], 1, v[35:36]
	s_cbranch_vccnz .LBB1471_258
; %bb.250:
	s_delay_alu instid0(VALU_DEP_1) | instskip(NEXT) | instid1(VALU_DEP_2)
	v_add_co_u32 v37, vcc_lo, s8, v35
	v_add_co_ci_u32_e32 v38, vcc_lo, s9, v36, vcc_lo
	v_add_co_u32 v33, vcc_lo, s8, v33
	v_add_co_ci_u32_e32 v34, vcc_lo, s9, v34, vcc_lo
	s_mov_b32 s30, -1
	s_clause 0x1
	global_load_u16 v39, v[37:38], off
	global_load_u16 v40, v[33:34], off
	s_mov_b32 s31, exec_lo
	s_waitcnt vmcnt(0)
	v_cmpx_eq_u16_e64 v39, v40
	s_cbranch_execz .LBB1471_257
; %bb.251:
	v_add_co_u32 v33, vcc_lo, v33, 2
	v_add_co_ci_u32_e32 v34, vcc_lo, 0, v34, vcc_lo
	v_add_co_u32 v37, vcc_lo, v37, 2
	v_add_co_ci_u32_e32 v38, vcc_lo, 0, v38, vcc_lo
	s_add_u32 s4, s22, -1
	s_addc_u32 s5, s23, -1
	s_mov_b64 s[6:7], 0
	s_mov_b32 s30, 0
                                        ; implicit-def: $sgpr33
	s_set_inst_prefetch_distance 0x1
	s_branch .LBB1471_254
	.p2align	6
.LBB1471_252:                           ;   in Loop: Header=BB1471_254 Depth=1
	global_load_u16 v39, v[37:38], off
	global_load_u16 v40, v[33:34], off
	v_add_co_u32 v33, vcc_lo, v33, 2
	v_add_co_ci_u32_e32 v34, vcc_lo, 0, v34, vcc_lo
	v_add_co_u32 v37, s2, v37, 2
	s_delay_alu instid0(VALU_DEP_1)
	v_add_co_ci_u32_e64 v38, s2, 0, v38, s2
	s_add_u32 s6, s6, 1
	s_addc_u32 s7, s7, 0
	s_and_not1_b32 s2, s33, exec_lo
	s_waitcnt vmcnt(0)
	v_cmp_ne_u16_e32 vcc_lo, v39, v40
	s_and_b32 s33, vcc_lo, exec_lo
	s_delay_alu instid0(SALU_CYCLE_1)
	s_or_b32 s33, s2, s33
.LBB1471_253:                           ;   in Loop: Header=BB1471_254 Depth=1
	v_dual_mov_b32 v40, s7 :: v_dual_mov_b32 v39, s6
	s_and_b32 s2, exec_lo, s33
	s_delay_alu instid0(SALU_CYCLE_1) | instskip(NEXT) | instid1(SALU_CYCLE_1)
	s_or_b32 s30, s2, s30
	s_and_not1_b32 exec_lo, exec_lo, s30
	s_cbranch_execz .LBB1471_256
.LBB1471_254:                           ; =>This Inner Loop Header: Depth=1
	s_or_b32 s33, s33, exec_lo
	s_cmp_eq_u64 s[4:5], s[6:7]
	s_cbranch_scc0 .LBB1471_252
; %bb.255:                              ;   in Loop: Header=BB1471_254 Depth=1
	s_mov_b64 s[6:7], s[22:23]
                                        ; implicit-def: $vgpr33_vgpr34
                                        ; implicit-def: $vgpr37_vgpr38
	s_branch .LBB1471_253
.LBB1471_256:
	s_set_inst_prefetch_distance 0x2
	s_or_b32 exec_lo, exec_lo, s30
	v_cmp_gt_i64_e32 vcc_lo, s[22:23], v[39:40]
	s_or_not1_b32 s30, vcc_lo, exec_lo
.LBB1471_257:
	s_or_b32 exec_lo, exec_lo, s31
.LBB1471_258:
	v_mul_lo_u32 v37, v32, s22
	v_mul_lo_u32 v38, v31, s23
	v_mad_u64_u32 v[33:34], null, v31, s22, 0
	s_and_not1_b32 vcc_lo, exec_lo, s18
	s_delay_alu instid0(VALU_DEP_1) | instskip(NEXT) | instid1(VALU_DEP_1)
	v_add3_u32 v34, v34, v38, v37
	v_lshlrev_b64 v[33:34], 1, v[33:34]
	s_cbranch_vccnz .LBB1471_267
; %bb.259:
	s_delay_alu instid0(VALU_DEP_1) | instskip(NEXT) | instid1(VALU_DEP_2)
	v_add_co_u32 v37, vcc_lo, s8, v33
	v_add_co_ci_u32_e32 v38, vcc_lo, s9, v34, vcc_lo
	v_add_co_u32 v35, vcc_lo, s8, v35
	v_add_co_ci_u32_e32 v36, vcc_lo, s9, v36, vcc_lo
	s_mov_b32 s29, -1
	s_clause 0x1
	global_load_u16 v39, v[37:38], off
	global_load_u16 v40, v[35:36], off
	s_mov_b32 s31, exec_lo
	s_waitcnt vmcnt(0)
	v_cmpx_eq_u16_e64 v39, v40
	s_cbranch_execz .LBB1471_266
; %bb.260:
	v_add_co_u32 v35, vcc_lo, v35, 2
	v_add_co_ci_u32_e32 v36, vcc_lo, 0, v36, vcc_lo
	v_add_co_u32 v37, vcc_lo, v37, 2
	v_add_co_ci_u32_e32 v38, vcc_lo, 0, v38, vcc_lo
	s_add_u32 s4, s22, -1
	s_addc_u32 s5, s23, -1
	s_mov_b64 s[6:7], 0
	s_mov_b32 s29, 0
                                        ; implicit-def: $sgpr33
	s_set_inst_prefetch_distance 0x1
	s_branch .LBB1471_263
	.p2align	6
.LBB1471_261:                           ;   in Loop: Header=BB1471_263 Depth=1
	global_load_u16 v39, v[37:38], off
	global_load_u16 v40, v[35:36], off
	v_add_co_u32 v35, vcc_lo, v35, 2
	v_add_co_ci_u32_e32 v36, vcc_lo, 0, v36, vcc_lo
	v_add_co_u32 v37, s2, v37, 2
	s_delay_alu instid0(VALU_DEP_1)
	v_add_co_ci_u32_e64 v38, s2, 0, v38, s2
	s_add_u32 s6, s6, 1
	s_addc_u32 s7, s7, 0
	s_and_not1_b32 s2, s33, exec_lo
	s_waitcnt vmcnt(0)
	v_cmp_ne_u16_e32 vcc_lo, v39, v40
	s_and_b32 s33, vcc_lo, exec_lo
	s_delay_alu instid0(SALU_CYCLE_1)
	s_or_b32 s33, s2, s33
.LBB1471_262:                           ;   in Loop: Header=BB1471_263 Depth=1
	v_dual_mov_b32 v40, s7 :: v_dual_mov_b32 v39, s6
	s_and_b32 s2, exec_lo, s33
	s_delay_alu instid0(SALU_CYCLE_1) | instskip(NEXT) | instid1(SALU_CYCLE_1)
	s_or_b32 s29, s2, s29
	s_and_not1_b32 exec_lo, exec_lo, s29
	s_cbranch_execz .LBB1471_265
.LBB1471_263:                           ; =>This Inner Loop Header: Depth=1
	s_or_b32 s33, s33, exec_lo
	s_cmp_eq_u64 s[4:5], s[6:7]
	s_cbranch_scc0 .LBB1471_261
; %bb.264:                              ;   in Loop: Header=BB1471_263 Depth=1
	s_mov_b64 s[6:7], s[22:23]
                                        ; implicit-def: $vgpr35_vgpr36
                                        ; implicit-def: $vgpr37_vgpr38
	s_branch .LBB1471_262
.LBB1471_265:
	s_set_inst_prefetch_distance 0x2
	s_or_b32 exec_lo, exec_lo, s29
	v_cmp_gt_i64_e32 vcc_lo, s[22:23], v[39:40]
	s_or_not1_b32 s29, vcc_lo, exec_lo
.LBB1471_266:
	s_or_b32 exec_lo, exec_lo, s31
.LBB1471_267:
	v_mul_lo_u32 v37, v30, s22
	v_mul_lo_u32 v38, v29, s23
	v_mad_u64_u32 v[35:36], null, v29, s22, 0
	s_and_not1_b32 vcc_lo, exec_lo, s18
	s_mov_b32 s2, 0
	s_delay_alu instid0(VALU_DEP_1)
	v_add3_u32 v36, v36, v38, v37
	s_cbranch_vccnz .LBB1471_276
; %bb.268:
	s_delay_alu instid0(VALU_DEP_1) | instskip(SKIP_2) | instid1(VALU_DEP_1)
	v_lshlrev_b64 v[37:38], 1, v[35:36]
	s_mov_b32 s2, -1
	s_mov_b32 s31, exec_lo
	v_add_co_u32 v37, vcc_lo, s8, v37
	s_delay_alu instid0(VALU_DEP_2)
	v_add_co_ci_u32_e32 v38, vcc_lo, s9, v38, vcc_lo
	v_add_co_u32 v33, vcc_lo, s8, v33
	v_add_co_ci_u32_e32 v34, vcc_lo, s9, v34, vcc_lo
	s_clause 0x1
	global_load_u16 v39, v[37:38], off
	global_load_u16 v40, v[33:34], off
	s_waitcnt vmcnt(0)
	v_cmpx_eq_u16_e64 v39, v40
	s_cbranch_execz .LBB1471_275
; %bb.269:
	v_add_co_u32 v33, vcc_lo, v33, 2
	v_add_co_ci_u32_e32 v34, vcc_lo, 0, v34, vcc_lo
	v_add_co_u32 v37, vcc_lo, v37, 2
	v_add_co_ci_u32_e32 v38, vcc_lo, 0, v38, vcc_lo
	s_add_u32 s4, s22, -1
	s_addc_u32 s5, s23, -1
	s_mov_b64 s[6:7], 0
	s_mov_b32 s33, 0
                                        ; implicit-def: $sgpr34
	s_set_inst_prefetch_distance 0x1
	s_branch .LBB1471_272
	.p2align	6
.LBB1471_270:                           ;   in Loop: Header=BB1471_272 Depth=1
	global_load_u16 v39, v[37:38], off
	global_load_u16 v40, v[33:34], off
	v_add_co_u32 v33, vcc_lo, v33, 2
	v_add_co_ci_u32_e32 v34, vcc_lo, 0, v34, vcc_lo
	v_add_co_u32 v37, s2, v37, 2
	s_delay_alu instid0(VALU_DEP_1)
	v_add_co_ci_u32_e64 v38, s2, 0, v38, s2
	s_add_u32 s6, s6, 1
	s_addc_u32 s7, s7, 0
	s_and_not1_b32 s2, s34, exec_lo
	s_waitcnt vmcnt(0)
	v_cmp_ne_u16_e32 vcc_lo, v39, v40
	s_and_b32 s34, vcc_lo, exec_lo
	s_delay_alu instid0(SALU_CYCLE_1)
	s_or_b32 s34, s2, s34
.LBB1471_271:                           ;   in Loop: Header=BB1471_272 Depth=1
	v_dual_mov_b32 v40, s7 :: v_dual_mov_b32 v39, s6
	s_and_b32 s2, exec_lo, s34
	s_delay_alu instid0(SALU_CYCLE_1) | instskip(NEXT) | instid1(SALU_CYCLE_1)
	s_or_b32 s33, s2, s33
	s_and_not1_b32 exec_lo, exec_lo, s33
	s_cbranch_execz .LBB1471_274
.LBB1471_272:                           ; =>This Inner Loop Header: Depth=1
	s_or_b32 s34, s34, exec_lo
	s_cmp_eq_u64 s[4:5], s[6:7]
	s_cbranch_scc0 .LBB1471_270
; %bb.273:                              ;   in Loop: Header=BB1471_272 Depth=1
	s_mov_b64 s[6:7], s[22:23]
                                        ; implicit-def: $vgpr33_vgpr34
                                        ; implicit-def: $vgpr37_vgpr38
	s_branch .LBB1471_271
.LBB1471_274:
	s_set_inst_prefetch_distance 0x2
	s_or_b32 exec_lo, exec_lo, s33
	v_cmp_gt_i64_e32 vcc_lo, s[22:23], v[39:40]
	s_or_not1_b32 s2, vcc_lo, exec_lo
.LBB1471_275:
	s_or_b32 exec_lo, exec_lo, s31
.LBB1471_276:
	v_cndmask_b32_e64 v34, 0, 1, s30
	v_cndmask_b32_e64 v37, 0, 1, s27
	;; [unrolled: 1-line block ×7, first 2 shown]
	v_lshlrev_b16 v37, 8, v37
	v_lshlrev_b16 v38, 8, v38
	;; [unrolled: 1-line block ×4, first 2 shown]
	s_waitcnt lgkmcnt(0)
	v_or_b32_e32 v37, v40, v37
	v_or_b32_e32 v38, v41, v38
	;; [unrolled: 1-line block ×4, first 2 shown]
	s_barrier
	v_and_b32_e32 v34, 0xffff, v37
	v_lshlrev_b32_e32 v37, 16, v38
	v_and_b32_e32 v38, 0xffff, v39
	v_lshlrev_b32_e32 v33, 16, v33
	buffer_gl0_inv
                                        ; implicit-def: $sgpr2
	s_mov_b32 s4, exec_lo
	v_or_b32_e32 v34, v34, v37
	v_or_b32_e32 v33, v38, v33
	v_cmpx_ne_u32_e32 0, v0
	s_xor_b32 s19, exec_lo, s4
	s_cbranch_execz .LBB1471_287
; %bb.277:
	s_and_not1_b32 vcc_lo, exec_lo, s18
	s_mov_b32 s2, 0
	s_cbranch_vccnz .LBB1471_286
; %bb.278:
	v_add_nc_u32_e32 v37, -8, v55
	v_lshlrev_b64 v[35:36], 1, v[35:36]
	s_mov_b32 s2, -1
	s_mov_b32 s25, exec_lo
	ds_load_b64 v[37:38], v37
	s_waitcnt lgkmcnt(0)
	v_mul_lo_u32 v40, v38, s22
	v_mul_lo_u32 v41, v37, s23
	v_mad_u64_u32 v[38:39], null, v37, s22, 0
	s_delay_alu instid0(VALU_DEP_1) | instskip(NEXT) | instid1(VALU_DEP_1)
	v_add3_u32 v39, v39, v41, v40
	v_lshlrev_b64 v[37:38], 1, v[38:39]
	s_delay_alu instid0(VALU_DEP_1) | instskip(NEXT) | instid1(VALU_DEP_2)
	v_add_co_u32 v37, vcc_lo, s8, v37
	v_add_co_ci_u32_e32 v38, vcc_lo, s9, v38, vcc_lo
	v_add_co_u32 v35, vcc_lo, s8, v35
	v_add_co_ci_u32_e32 v36, vcc_lo, s9, v36, vcc_lo
	s_clause 0x1
	global_load_u16 v39, v[37:38], off
	global_load_u16 v40, v[35:36], off
	s_waitcnt vmcnt(0)
	v_cmpx_eq_u16_e64 v39, v40
	s_cbranch_execz .LBB1471_285
; %bb.279:
	v_add_co_u32 v35, vcc_lo, v35, 2
	v_add_co_ci_u32_e32 v36, vcc_lo, 0, v36, vcc_lo
	v_add_co_u32 v37, vcc_lo, v37, 2
	v_add_co_ci_u32_e32 v38, vcc_lo, 0, v38, vcc_lo
	s_add_u32 s4, s22, -1
	s_addc_u32 s5, s23, -1
	s_mov_b64 s[6:7], 0
	s_mov_b32 s26, 0
                                        ; implicit-def: $sgpr27
	s_set_inst_prefetch_distance 0x1
	s_branch .LBB1471_282
	.p2align	6
.LBB1471_280:                           ;   in Loop: Header=BB1471_282 Depth=1
	global_load_u16 v39, v[37:38], off
	global_load_u16 v40, v[35:36], off
	v_add_co_u32 v35, vcc_lo, v35, 2
	v_add_co_ci_u32_e32 v36, vcc_lo, 0, v36, vcc_lo
	v_add_co_u32 v37, s2, v37, 2
	s_delay_alu instid0(VALU_DEP_1)
	v_add_co_ci_u32_e64 v38, s2, 0, v38, s2
	s_add_u32 s6, s6, 1
	s_addc_u32 s7, s7, 0
	s_and_not1_b32 s2, s27, exec_lo
	s_waitcnt vmcnt(0)
	v_cmp_ne_u16_e32 vcc_lo, v39, v40
	s_and_b32 s27, vcc_lo, exec_lo
	s_delay_alu instid0(SALU_CYCLE_1)
	s_or_b32 s27, s2, s27
.LBB1471_281:                           ;   in Loop: Header=BB1471_282 Depth=1
	v_dual_mov_b32 v40, s7 :: v_dual_mov_b32 v39, s6
	s_and_b32 s2, exec_lo, s27
	s_delay_alu instid0(SALU_CYCLE_1) | instskip(NEXT) | instid1(SALU_CYCLE_1)
	s_or_b32 s26, s2, s26
	s_and_not1_b32 exec_lo, exec_lo, s26
	s_cbranch_execz .LBB1471_284
.LBB1471_282:                           ; =>This Inner Loop Header: Depth=1
	s_or_b32 s27, s27, exec_lo
	s_cmp_eq_u64 s[4:5], s[6:7]
	s_cbranch_scc0 .LBB1471_280
; %bb.283:                              ;   in Loop: Header=BB1471_282 Depth=1
	s_mov_b64 s[6:7], s[22:23]
                                        ; implicit-def: $vgpr35_vgpr36
                                        ; implicit-def: $vgpr37_vgpr38
	s_branch .LBB1471_281
.LBB1471_284:
	s_set_inst_prefetch_distance 0x2
	s_or_b32 exec_lo, exec_lo, s26
	v_cmp_gt_i64_e32 vcc_lo, s[22:23], v[39:40]
	s_or_not1_b32 s2, vcc_lo, exec_lo
.LBB1471_285:
	s_or_b32 exec_lo, exec_lo, s25
.LBB1471_286:
	s_delay_alu instid0(SALU_CYCLE_1)
	s_and_b32 s2, s2, exec_lo
	s_or_b32 s3, s3, exec_lo
.LBB1471_287:
	s_or_b32 exec_lo, exec_lo, s19
	s_branch .LBB1471_379
.LBB1471_288:
	v_or_b32_e32 v33, 7, v55
	s_mov_b32 s19, 0
	s_mov_b32 s25, 0
	s_mov_b32 s26, exec_lo
	s_delay_alu instid0(VALU_DEP_1)
	v_cmpx_gt_u32_e64 s28, v33
	s_cbranch_execz .LBB1471_299
; %bb.289:
	s_and_not1_b32 vcc_lo, exec_lo, s18
	s_mov_b32 s2, 0
	s_cbranch_vccnz .LBB1471_298
; %bb.290:
	v_mul_lo_u32 v37, v18, s22
	v_mul_lo_u32 v38, v17, s23
	v_mad_u64_u32 v[33:34], null, v17, s22, 0
	v_mul_lo_u32 v39, v20, s22
	v_mul_lo_u32 v40, v19, s23
	v_mad_u64_u32 v[35:36], null, v19, s22, 0
	s_mov_b32 s2, -1
	s_mov_b32 s25, exec_lo
	s_delay_alu instid0(VALU_DEP_4) | instskip(NEXT) | instid1(VALU_DEP_2)
	v_add3_u32 v34, v34, v38, v37
	v_add3_u32 v36, v36, v40, v39
	s_delay_alu instid0(VALU_DEP_2) | instskip(NEXT) | instid1(VALU_DEP_2)
	v_lshlrev_b64 v[33:34], 1, v[33:34]
	v_lshlrev_b64 v[37:38], 1, v[35:36]
	s_delay_alu instid0(VALU_DEP_2) | instskip(NEXT) | instid1(VALU_DEP_3)
	v_add_co_u32 v35, vcc_lo, s8, v33
	v_add_co_ci_u32_e32 v36, vcc_lo, s9, v34, vcc_lo
	s_delay_alu instid0(VALU_DEP_3) | instskip(NEXT) | instid1(VALU_DEP_4)
	v_add_co_u32 v33, vcc_lo, s8, v37
	v_add_co_ci_u32_e32 v34, vcc_lo, s9, v38, vcc_lo
	s_clause 0x1
	global_load_u16 v37, v[35:36], off
	global_load_u16 v38, v[33:34], off
	s_waitcnt vmcnt(0)
	v_cmpx_eq_u16_e64 v37, v38
	s_cbranch_execz .LBB1471_297
; %bb.291:
	v_add_co_u32 v33, vcc_lo, v33, 2
	v_add_co_ci_u32_e32 v34, vcc_lo, 0, v34, vcc_lo
	v_add_co_u32 v35, vcc_lo, v35, 2
	v_add_co_ci_u32_e32 v36, vcc_lo, 0, v36, vcc_lo
	s_add_u32 s4, s22, -1
	s_addc_u32 s5, s23, -1
	s_mov_b64 s[6:7], 0
	s_mov_b32 s27, 0
                                        ; implicit-def: $sgpr29
	s_set_inst_prefetch_distance 0x1
	s_branch .LBB1471_294
	.p2align	6
.LBB1471_292:                           ;   in Loop: Header=BB1471_294 Depth=1
	global_load_u16 v37, v[35:36], off
	global_load_u16 v38, v[33:34], off
	v_add_co_u32 v33, vcc_lo, v33, 2
	v_add_co_ci_u32_e32 v34, vcc_lo, 0, v34, vcc_lo
	v_add_co_u32 v35, s2, v35, 2
	s_delay_alu instid0(VALU_DEP_1)
	v_add_co_ci_u32_e64 v36, s2, 0, v36, s2
	s_add_u32 s6, s6, 1
	s_addc_u32 s7, s7, 0
	s_and_not1_b32 s2, s29, exec_lo
	s_waitcnt vmcnt(0)
	v_cmp_ne_u16_e32 vcc_lo, v37, v38
	s_and_b32 s29, vcc_lo, exec_lo
	s_delay_alu instid0(SALU_CYCLE_1)
	s_or_b32 s29, s2, s29
.LBB1471_293:                           ;   in Loop: Header=BB1471_294 Depth=1
	v_dual_mov_b32 v38, s7 :: v_dual_mov_b32 v37, s6
	s_and_b32 s2, exec_lo, s29
	s_delay_alu instid0(SALU_CYCLE_1) | instskip(NEXT) | instid1(SALU_CYCLE_1)
	s_or_b32 s27, s2, s27
	s_and_not1_b32 exec_lo, exec_lo, s27
	s_cbranch_execz .LBB1471_296
.LBB1471_294:                           ; =>This Inner Loop Header: Depth=1
	s_or_b32 s29, s29, exec_lo
	s_cmp_eq_u64 s[4:5], s[6:7]
	s_cbranch_scc0 .LBB1471_292
; %bb.295:                              ;   in Loop: Header=BB1471_294 Depth=1
	s_mov_b64 s[6:7], s[22:23]
                                        ; implicit-def: $vgpr33_vgpr34
                                        ; implicit-def: $vgpr35_vgpr36
	s_branch .LBB1471_293
.LBB1471_296:
	s_set_inst_prefetch_distance 0x2
	s_or_b32 exec_lo, exec_lo, s27
	v_cmp_gt_i64_e32 vcc_lo, s[22:23], v[37:38]
	s_or_not1_b32 s2, vcc_lo, exec_lo
.LBB1471_297:
	s_or_b32 exec_lo, exec_lo, s25
.LBB1471_298:
	s_delay_alu instid0(SALU_CYCLE_1)
	s_and_b32 s25, s2, exec_lo
.LBB1471_299:
	s_or_b32 exec_lo, exec_lo, s26
	v_or_b32_e32 v33, 6, v55
	s_mov_b32 s26, exec_lo
	s_delay_alu instid0(VALU_DEP_1)
	v_cmpx_gt_u32_e64 s28, v33
	s_cbranch_execz .LBB1471_310
; %bb.300:
	s_and_not1_b32 vcc_lo, exec_lo, s18
	s_mov_b32 s2, 0
	s_cbranch_vccnz .LBB1471_309
; %bb.301:
	v_mul_lo_u32 v37, v24, s22
	v_mul_lo_u32 v38, v23, s23
	v_mad_u64_u32 v[33:34], null, v23, s22, 0
	v_mul_lo_u32 v39, v18, s22
	v_mul_lo_u32 v40, v17, s23
	v_mad_u64_u32 v[35:36], null, v17, s22, 0
	s_mov_b32 s2, -1
	s_mov_b32 s19, exec_lo
	s_delay_alu instid0(VALU_DEP_4) | instskip(NEXT) | instid1(VALU_DEP_2)
	v_add3_u32 v34, v34, v38, v37
	v_add3_u32 v36, v36, v40, v39
	s_delay_alu instid0(VALU_DEP_2) | instskip(NEXT) | instid1(VALU_DEP_2)
	v_lshlrev_b64 v[33:34], 1, v[33:34]
	v_lshlrev_b64 v[37:38], 1, v[35:36]
	s_delay_alu instid0(VALU_DEP_2) | instskip(NEXT) | instid1(VALU_DEP_3)
	v_add_co_u32 v35, vcc_lo, s8, v33
	v_add_co_ci_u32_e32 v36, vcc_lo, s9, v34, vcc_lo
	s_delay_alu instid0(VALU_DEP_3) | instskip(NEXT) | instid1(VALU_DEP_4)
	v_add_co_u32 v33, vcc_lo, s8, v37
	v_add_co_ci_u32_e32 v34, vcc_lo, s9, v38, vcc_lo
	s_clause 0x1
	global_load_u16 v37, v[35:36], off
	global_load_u16 v38, v[33:34], off
	s_waitcnt vmcnt(0)
	v_cmpx_eq_u16_e64 v37, v38
	s_cbranch_execz .LBB1471_308
; %bb.302:
	v_add_co_u32 v33, vcc_lo, v33, 2
	v_add_co_ci_u32_e32 v34, vcc_lo, 0, v34, vcc_lo
	v_add_co_u32 v35, vcc_lo, v35, 2
	v_add_co_ci_u32_e32 v36, vcc_lo, 0, v36, vcc_lo
	s_add_u32 s4, s22, -1
	s_addc_u32 s5, s23, -1
	s_mov_b64 s[6:7], 0
	s_mov_b32 s27, 0
                                        ; implicit-def: $sgpr29
	s_set_inst_prefetch_distance 0x1
	s_branch .LBB1471_305
	.p2align	6
.LBB1471_303:                           ;   in Loop: Header=BB1471_305 Depth=1
	global_load_u16 v37, v[35:36], off
	global_load_u16 v38, v[33:34], off
	v_add_co_u32 v33, vcc_lo, v33, 2
	v_add_co_ci_u32_e32 v34, vcc_lo, 0, v34, vcc_lo
	v_add_co_u32 v35, s2, v35, 2
	s_delay_alu instid0(VALU_DEP_1)
	v_add_co_ci_u32_e64 v36, s2, 0, v36, s2
	s_add_u32 s6, s6, 1
	s_addc_u32 s7, s7, 0
	s_and_not1_b32 s2, s29, exec_lo
	s_waitcnt vmcnt(0)
	v_cmp_ne_u16_e32 vcc_lo, v37, v38
	s_and_b32 s29, vcc_lo, exec_lo
	s_delay_alu instid0(SALU_CYCLE_1)
	s_or_b32 s29, s2, s29
.LBB1471_304:                           ;   in Loop: Header=BB1471_305 Depth=1
	v_dual_mov_b32 v38, s7 :: v_dual_mov_b32 v37, s6
	s_and_b32 s2, exec_lo, s29
	s_delay_alu instid0(SALU_CYCLE_1) | instskip(NEXT) | instid1(SALU_CYCLE_1)
	s_or_b32 s27, s2, s27
	s_and_not1_b32 exec_lo, exec_lo, s27
	s_cbranch_execz .LBB1471_307
.LBB1471_305:                           ; =>This Inner Loop Header: Depth=1
	s_or_b32 s29, s29, exec_lo
	s_cmp_eq_u64 s[4:5], s[6:7]
	s_cbranch_scc0 .LBB1471_303
; %bb.306:                              ;   in Loop: Header=BB1471_305 Depth=1
	s_mov_b64 s[6:7], s[22:23]
                                        ; implicit-def: $vgpr33_vgpr34
                                        ; implicit-def: $vgpr35_vgpr36
	s_branch .LBB1471_304
.LBB1471_307:
	s_set_inst_prefetch_distance 0x2
	s_or_b32 exec_lo, exec_lo, s27
	v_cmp_gt_i64_e32 vcc_lo, s[22:23], v[37:38]
	s_or_not1_b32 s2, vcc_lo, exec_lo
.LBB1471_308:
	s_or_b32 exec_lo, exec_lo, s19
.LBB1471_309:
	s_delay_alu instid0(SALU_CYCLE_1)
	s_and_b32 s19, s2, exec_lo
.LBB1471_310:
	s_or_b32 exec_lo, exec_lo, s26
	v_or_b32_e32 v33, 5, v55
	s_mov_b32 s26, 0
	s_mov_b32 s27, 0
	s_mov_b32 s29, exec_lo
	s_delay_alu instid0(VALU_DEP_1)
	v_cmpx_gt_u32_e64 s28, v33
	s_cbranch_execz .LBB1471_321
; %bb.311:
	s_and_not1_b32 vcc_lo, exec_lo, s18
	s_mov_b32 s2, 0
	s_cbranch_vccnz .LBB1471_320
; %bb.312:
	v_mul_lo_u32 v37, v22, s22
	v_mul_lo_u32 v38, v21, s23
	v_mad_u64_u32 v[33:34], null, v21, s22, 0
	v_mul_lo_u32 v39, v24, s22
	v_mul_lo_u32 v40, v23, s23
	v_mad_u64_u32 v[35:36], null, v23, s22, 0
	s_mov_b32 s2, -1
	s_mov_b32 s27, exec_lo
	s_delay_alu instid0(VALU_DEP_4) | instskip(NEXT) | instid1(VALU_DEP_2)
	v_add3_u32 v34, v34, v38, v37
	v_add3_u32 v36, v36, v40, v39
	s_delay_alu instid0(VALU_DEP_2) | instskip(NEXT) | instid1(VALU_DEP_2)
	v_lshlrev_b64 v[33:34], 1, v[33:34]
	v_lshlrev_b64 v[37:38], 1, v[35:36]
	s_delay_alu instid0(VALU_DEP_2) | instskip(NEXT) | instid1(VALU_DEP_3)
	v_add_co_u32 v35, vcc_lo, s8, v33
	v_add_co_ci_u32_e32 v36, vcc_lo, s9, v34, vcc_lo
	s_delay_alu instid0(VALU_DEP_3) | instskip(NEXT) | instid1(VALU_DEP_4)
	v_add_co_u32 v33, vcc_lo, s8, v37
	v_add_co_ci_u32_e32 v34, vcc_lo, s9, v38, vcc_lo
	s_clause 0x1
	global_load_u16 v37, v[35:36], off
	global_load_u16 v38, v[33:34], off
	s_waitcnt vmcnt(0)
	v_cmpx_eq_u16_e64 v37, v38
	s_cbranch_execz .LBB1471_319
; %bb.313:
	v_add_co_u32 v33, vcc_lo, v33, 2
	v_add_co_ci_u32_e32 v34, vcc_lo, 0, v34, vcc_lo
	v_add_co_u32 v35, vcc_lo, v35, 2
	v_add_co_ci_u32_e32 v36, vcc_lo, 0, v36, vcc_lo
	s_add_u32 s4, s22, -1
	s_addc_u32 s5, s23, -1
	s_mov_b64 s[6:7], 0
	s_mov_b32 s30, 0
                                        ; implicit-def: $sgpr31
	s_set_inst_prefetch_distance 0x1
	s_branch .LBB1471_316
	.p2align	6
.LBB1471_314:                           ;   in Loop: Header=BB1471_316 Depth=1
	global_load_u16 v37, v[35:36], off
	global_load_u16 v38, v[33:34], off
	v_add_co_u32 v33, vcc_lo, v33, 2
	v_add_co_ci_u32_e32 v34, vcc_lo, 0, v34, vcc_lo
	v_add_co_u32 v35, s2, v35, 2
	s_delay_alu instid0(VALU_DEP_1)
	v_add_co_ci_u32_e64 v36, s2, 0, v36, s2
	s_add_u32 s6, s6, 1
	s_addc_u32 s7, s7, 0
	s_and_not1_b32 s2, s31, exec_lo
	s_waitcnt vmcnt(0)
	v_cmp_ne_u16_e32 vcc_lo, v37, v38
	s_and_b32 s31, vcc_lo, exec_lo
	s_delay_alu instid0(SALU_CYCLE_1)
	s_or_b32 s31, s2, s31
.LBB1471_315:                           ;   in Loop: Header=BB1471_316 Depth=1
	v_dual_mov_b32 v38, s7 :: v_dual_mov_b32 v37, s6
	s_and_b32 s2, exec_lo, s31
	s_delay_alu instid0(SALU_CYCLE_1) | instskip(NEXT) | instid1(SALU_CYCLE_1)
	s_or_b32 s30, s2, s30
	s_and_not1_b32 exec_lo, exec_lo, s30
	s_cbranch_execz .LBB1471_318
.LBB1471_316:                           ; =>This Inner Loop Header: Depth=1
	s_or_b32 s31, s31, exec_lo
	s_cmp_eq_u64 s[4:5], s[6:7]
	s_cbranch_scc0 .LBB1471_314
; %bb.317:                              ;   in Loop: Header=BB1471_316 Depth=1
	s_mov_b64 s[6:7], s[22:23]
                                        ; implicit-def: $vgpr33_vgpr34
                                        ; implicit-def: $vgpr35_vgpr36
	s_branch .LBB1471_315
.LBB1471_318:
	s_set_inst_prefetch_distance 0x2
	s_or_b32 exec_lo, exec_lo, s30
	v_cmp_gt_i64_e32 vcc_lo, s[22:23], v[37:38]
	s_or_not1_b32 s2, vcc_lo, exec_lo
.LBB1471_319:
	s_or_b32 exec_lo, exec_lo, s27
.LBB1471_320:
	s_delay_alu instid0(SALU_CYCLE_1)
	s_and_b32 s27, s2, exec_lo
.LBB1471_321:
	s_or_b32 exec_lo, exec_lo, s29
	v_or_b32_e32 v33, 4, v55
	s_mov_b32 s29, exec_lo
	s_delay_alu instid0(VALU_DEP_1)
	v_cmpx_gt_u32_e64 s28, v33
	s_cbranch_execz .LBB1471_332
; %bb.322:
	s_and_not1_b32 vcc_lo, exec_lo, s18
	s_mov_b32 s2, 0
	s_cbranch_vccnz .LBB1471_331
; %bb.323:
	v_mul_lo_u32 v37, v28, s22
	v_mul_lo_u32 v38, v27, s23
	v_mad_u64_u32 v[33:34], null, v27, s22, 0
	v_mul_lo_u32 v39, v22, s22
	v_mul_lo_u32 v40, v21, s23
	v_mad_u64_u32 v[35:36], null, v21, s22, 0
	s_mov_b32 s2, -1
	s_mov_b32 s26, exec_lo
	s_delay_alu instid0(VALU_DEP_4) | instskip(NEXT) | instid1(VALU_DEP_2)
	v_add3_u32 v34, v34, v38, v37
	v_add3_u32 v36, v36, v40, v39
	s_delay_alu instid0(VALU_DEP_2) | instskip(NEXT) | instid1(VALU_DEP_2)
	v_lshlrev_b64 v[33:34], 1, v[33:34]
	v_lshlrev_b64 v[37:38], 1, v[35:36]
	s_delay_alu instid0(VALU_DEP_2) | instskip(NEXT) | instid1(VALU_DEP_3)
	v_add_co_u32 v35, vcc_lo, s8, v33
	v_add_co_ci_u32_e32 v36, vcc_lo, s9, v34, vcc_lo
	s_delay_alu instid0(VALU_DEP_3) | instskip(NEXT) | instid1(VALU_DEP_4)
	v_add_co_u32 v33, vcc_lo, s8, v37
	v_add_co_ci_u32_e32 v34, vcc_lo, s9, v38, vcc_lo
	s_clause 0x1
	global_load_u16 v37, v[35:36], off
	global_load_u16 v38, v[33:34], off
	s_waitcnt vmcnt(0)
	v_cmpx_eq_u16_e64 v37, v38
	s_cbranch_execz .LBB1471_330
; %bb.324:
	v_add_co_u32 v33, vcc_lo, v33, 2
	v_add_co_ci_u32_e32 v34, vcc_lo, 0, v34, vcc_lo
	v_add_co_u32 v35, vcc_lo, v35, 2
	v_add_co_ci_u32_e32 v36, vcc_lo, 0, v36, vcc_lo
	s_add_u32 s4, s22, -1
	s_addc_u32 s5, s23, -1
	s_mov_b64 s[6:7], 0
	s_mov_b32 s30, 0
                                        ; implicit-def: $sgpr31
	s_set_inst_prefetch_distance 0x1
	s_branch .LBB1471_327
	.p2align	6
.LBB1471_325:                           ;   in Loop: Header=BB1471_327 Depth=1
	global_load_u16 v37, v[35:36], off
	global_load_u16 v38, v[33:34], off
	v_add_co_u32 v33, vcc_lo, v33, 2
	v_add_co_ci_u32_e32 v34, vcc_lo, 0, v34, vcc_lo
	v_add_co_u32 v35, s2, v35, 2
	s_delay_alu instid0(VALU_DEP_1)
	v_add_co_ci_u32_e64 v36, s2, 0, v36, s2
	s_add_u32 s6, s6, 1
	s_addc_u32 s7, s7, 0
	s_and_not1_b32 s2, s31, exec_lo
	s_waitcnt vmcnt(0)
	v_cmp_ne_u16_e32 vcc_lo, v37, v38
	s_and_b32 s31, vcc_lo, exec_lo
	s_delay_alu instid0(SALU_CYCLE_1)
	s_or_b32 s31, s2, s31
.LBB1471_326:                           ;   in Loop: Header=BB1471_327 Depth=1
	v_dual_mov_b32 v38, s7 :: v_dual_mov_b32 v37, s6
	s_and_b32 s2, exec_lo, s31
	s_delay_alu instid0(SALU_CYCLE_1) | instskip(NEXT) | instid1(SALU_CYCLE_1)
	s_or_b32 s30, s2, s30
	s_and_not1_b32 exec_lo, exec_lo, s30
	s_cbranch_execz .LBB1471_329
.LBB1471_327:                           ; =>This Inner Loop Header: Depth=1
	s_or_b32 s31, s31, exec_lo
	s_cmp_eq_u64 s[4:5], s[6:7]
	s_cbranch_scc0 .LBB1471_325
; %bb.328:                              ;   in Loop: Header=BB1471_327 Depth=1
	s_mov_b64 s[6:7], s[22:23]
                                        ; implicit-def: $vgpr33_vgpr34
                                        ; implicit-def: $vgpr35_vgpr36
	s_branch .LBB1471_326
.LBB1471_329:
	s_set_inst_prefetch_distance 0x2
	s_or_b32 exec_lo, exec_lo, s30
	v_cmp_gt_i64_e32 vcc_lo, s[22:23], v[37:38]
	s_or_not1_b32 s2, vcc_lo, exec_lo
.LBB1471_330:
	s_or_b32 exec_lo, exec_lo, s26
.LBB1471_331:
	s_delay_alu instid0(SALU_CYCLE_1)
	s_and_b32 s26, s2, exec_lo
.LBB1471_332:
	s_or_b32 exec_lo, exec_lo, s29
	v_or_b32_e32 v33, 3, v55
	s_mov_b32 s30, 0
	s_mov_b32 s29, 0
	s_mov_b32 s31, exec_lo
	s_delay_alu instid0(VALU_DEP_1)
	v_cmpx_gt_u32_e64 s28, v33
	s_cbranch_execz .LBB1471_343
; %bb.333:
	s_and_not1_b32 vcc_lo, exec_lo, s18
	s_mov_b32 s2, 0
	s_cbranch_vccnz .LBB1471_342
; %bb.334:
	v_mul_lo_u32 v37, v26, s22
	v_mul_lo_u32 v38, v25, s23
	v_mad_u64_u32 v[33:34], null, v25, s22, 0
	v_mul_lo_u32 v39, v28, s22
	v_mul_lo_u32 v40, v27, s23
	v_mad_u64_u32 v[35:36], null, v27, s22, 0
	s_mov_b32 s2, -1
	s_mov_b32 s29, exec_lo
	s_delay_alu instid0(VALU_DEP_4) | instskip(NEXT) | instid1(VALU_DEP_2)
	v_add3_u32 v34, v34, v38, v37
	v_add3_u32 v36, v36, v40, v39
	s_delay_alu instid0(VALU_DEP_2) | instskip(NEXT) | instid1(VALU_DEP_2)
	v_lshlrev_b64 v[33:34], 1, v[33:34]
	v_lshlrev_b64 v[37:38], 1, v[35:36]
	s_delay_alu instid0(VALU_DEP_2) | instskip(NEXT) | instid1(VALU_DEP_3)
	v_add_co_u32 v35, vcc_lo, s8, v33
	v_add_co_ci_u32_e32 v36, vcc_lo, s9, v34, vcc_lo
	s_delay_alu instid0(VALU_DEP_3) | instskip(NEXT) | instid1(VALU_DEP_4)
	v_add_co_u32 v33, vcc_lo, s8, v37
	v_add_co_ci_u32_e32 v34, vcc_lo, s9, v38, vcc_lo
	s_clause 0x1
	global_load_u16 v37, v[35:36], off
	global_load_u16 v38, v[33:34], off
	s_waitcnt vmcnt(0)
	v_cmpx_eq_u16_e64 v37, v38
	s_cbranch_execz .LBB1471_341
; %bb.335:
	v_add_co_u32 v33, vcc_lo, v33, 2
	v_add_co_ci_u32_e32 v34, vcc_lo, 0, v34, vcc_lo
	v_add_co_u32 v35, vcc_lo, v35, 2
	v_add_co_ci_u32_e32 v36, vcc_lo, 0, v36, vcc_lo
	s_add_u32 s4, s22, -1
	s_addc_u32 s5, s23, -1
	s_mov_b64 s[6:7], 0
	s_mov_b32 s33, 0
                                        ; implicit-def: $sgpr34
	s_set_inst_prefetch_distance 0x1
	s_branch .LBB1471_338
	.p2align	6
.LBB1471_336:                           ;   in Loop: Header=BB1471_338 Depth=1
	global_load_u16 v37, v[35:36], off
	global_load_u16 v38, v[33:34], off
	v_add_co_u32 v33, vcc_lo, v33, 2
	v_add_co_ci_u32_e32 v34, vcc_lo, 0, v34, vcc_lo
	v_add_co_u32 v35, s2, v35, 2
	s_delay_alu instid0(VALU_DEP_1)
	v_add_co_ci_u32_e64 v36, s2, 0, v36, s2
	s_add_u32 s6, s6, 1
	s_addc_u32 s7, s7, 0
	s_and_not1_b32 s2, s34, exec_lo
	s_waitcnt vmcnt(0)
	v_cmp_ne_u16_e32 vcc_lo, v37, v38
	s_and_b32 s34, vcc_lo, exec_lo
	s_delay_alu instid0(SALU_CYCLE_1)
	s_or_b32 s34, s2, s34
.LBB1471_337:                           ;   in Loop: Header=BB1471_338 Depth=1
	v_dual_mov_b32 v38, s7 :: v_dual_mov_b32 v37, s6
	s_and_b32 s2, exec_lo, s34
	s_delay_alu instid0(SALU_CYCLE_1) | instskip(NEXT) | instid1(SALU_CYCLE_1)
	s_or_b32 s33, s2, s33
	s_and_not1_b32 exec_lo, exec_lo, s33
	s_cbranch_execz .LBB1471_340
.LBB1471_338:                           ; =>This Inner Loop Header: Depth=1
	s_or_b32 s34, s34, exec_lo
	s_cmp_eq_u64 s[4:5], s[6:7]
	s_cbranch_scc0 .LBB1471_336
; %bb.339:                              ;   in Loop: Header=BB1471_338 Depth=1
	s_mov_b64 s[6:7], s[22:23]
                                        ; implicit-def: $vgpr33_vgpr34
                                        ; implicit-def: $vgpr35_vgpr36
	s_branch .LBB1471_337
.LBB1471_340:
	s_set_inst_prefetch_distance 0x2
	s_or_b32 exec_lo, exec_lo, s33
	v_cmp_gt_i64_e32 vcc_lo, s[22:23], v[37:38]
	s_or_not1_b32 s2, vcc_lo, exec_lo
.LBB1471_341:
	s_or_b32 exec_lo, exec_lo, s29
.LBB1471_342:
	s_delay_alu instid0(SALU_CYCLE_1)
	s_and_b32 s29, s2, exec_lo
.LBB1471_343:
	s_or_b32 exec_lo, exec_lo, s31
	v_or_b32_e32 v33, 2, v55
	s_mov_b32 s31, exec_lo
	s_delay_alu instid0(VALU_DEP_1)
	v_cmpx_gt_u32_e64 s28, v33
	s_cbranch_execz .LBB1471_354
; %bb.344:
	s_and_not1_b32 vcc_lo, exec_lo, s18
	s_mov_b32 s2, 0
	s_cbranch_vccnz .LBB1471_353
; %bb.345:
	v_mul_lo_u32 v37, v32, s22
	v_mul_lo_u32 v38, v31, s23
	v_mad_u64_u32 v[33:34], null, v31, s22, 0
	v_mul_lo_u32 v39, v26, s22
	v_mul_lo_u32 v40, v25, s23
	v_mad_u64_u32 v[35:36], null, v25, s22, 0
	s_mov_b32 s2, -1
	s_mov_b32 s30, exec_lo
	s_delay_alu instid0(VALU_DEP_4) | instskip(NEXT) | instid1(VALU_DEP_2)
	v_add3_u32 v34, v34, v38, v37
	v_add3_u32 v36, v36, v40, v39
	s_delay_alu instid0(VALU_DEP_2) | instskip(NEXT) | instid1(VALU_DEP_2)
	v_lshlrev_b64 v[33:34], 1, v[33:34]
	v_lshlrev_b64 v[37:38], 1, v[35:36]
	s_delay_alu instid0(VALU_DEP_2) | instskip(NEXT) | instid1(VALU_DEP_3)
	v_add_co_u32 v35, vcc_lo, s8, v33
	v_add_co_ci_u32_e32 v36, vcc_lo, s9, v34, vcc_lo
	s_delay_alu instid0(VALU_DEP_3) | instskip(NEXT) | instid1(VALU_DEP_4)
	v_add_co_u32 v33, vcc_lo, s8, v37
	v_add_co_ci_u32_e32 v34, vcc_lo, s9, v38, vcc_lo
	s_clause 0x1
	global_load_u16 v37, v[35:36], off
	global_load_u16 v38, v[33:34], off
	s_waitcnt vmcnt(0)
	v_cmpx_eq_u16_e64 v37, v38
	s_cbranch_execz .LBB1471_352
; %bb.346:
	v_add_co_u32 v33, vcc_lo, v33, 2
	v_add_co_ci_u32_e32 v34, vcc_lo, 0, v34, vcc_lo
	v_add_co_u32 v35, vcc_lo, v35, 2
	v_add_co_ci_u32_e32 v36, vcc_lo, 0, v36, vcc_lo
	s_add_u32 s4, s22, -1
	s_addc_u32 s5, s23, -1
	s_mov_b64 s[6:7], 0
	s_mov_b32 s33, 0
                                        ; implicit-def: $sgpr34
	s_set_inst_prefetch_distance 0x1
	s_branch .LBB1471_349
	.p2align	6
.LBB1471_347:                           ;   in Loop: Header=BB1471_349 Depth=1
	global_load_u16 v37, v[35:36], off
	global_load_u16 v38, v[33:34], off
	v_add_co_u32 v33, vcc_lo, v33, 2
	v_add_co_ci_u32_e32 v34, vcc_lo, 0, v34, vcc_lo
	v_add_co_u32 v35, s2, v35, 2
	s_delay_alu instid0(VALU_DEP_1)
	v_add_co_ci_u32_e64 v36, s2, 0, v36, s2
	s_add_u32 s6, s6, 1
	s_addc_u32 s7, s7, 0
	s_and_not1_b32 s2, s34, exec_lo
	s_waitcnt vmcnt(0)
	v_cmp_ne_u16_e32 vcc_lo, v37, v38
	s_and_b32 s34, vcc_lo, exec_lo
	s_delay_alu instid0(SALU_CYCLE_1)
	s_or_b32 s34, s2, s34
.LBB1471_348:                           ;   in Loop: Header=BB1471_349 Depth=1
	v_dual_mov_b32 v38, s7 :: v_dual_mov_b32 v37, s6
	s_and_b32 s2, exec_lo, s34
	s_delay_alu instid0(SALU_CYCLE_1) | instskip(NEXT) | instid1(SALU_CYCLE_1)
	s_or_b32 s33, s2, s33
	s_and_not1_b32 exec_lo, exec_lo, s33
	s_cbranch_execz .LBB1471_351
.LBB1471_349:                           ; =>This Inner Loop Header: Depth=1
	s_or_b32 s34, s34, exec_lo
	s_cmp_eq_u64 s[4:5], s[6:7]
	s_cbranch_scc0 .LBB1471_347
; %bb.350:                              ;   in Loop: Header=BB1471_349 Depth=1
	s_mov_b64 s[6:7], s[22:23]
                                        ; implicit-def: $vgpr33_vgpr34
                                        ; implicit-def: $vgpr35_vgpr36
	s_branch .LBB1471_348
.LBB1471_351:
	s_set_inst_prefetch_distance 0x2
	s_or_b32 exec_lo, exec_lo, s33
	v_cmp_gt_i64_e32 vcc_lo, s[22:23], v[37:38]
	s_or_not1_b32 s2, vcc_lo, exec_lo
.LBB1471_352:
	s_or_b32 exec_lo, exec_lo, s30
.LBB1471_353:
	s_delay_alu instid0(SALU_CYCLE_1)
	s_and_b32 s30, s2, exec_lo
.LBB1471_354:
	s_or_b32 exec_lo, exec_lo, s31
	v_or_b32_e32 v33, 1, v55
	s_mov_b32 s2, 0
	s_mov_b32 s31, exec_lo
	s_delay_alu instid0(VALU_DEP_1)
	v_cmpx_gt_u32_e64 s28, v33
	s_cbranch_execz .LBB1471_365
; %bb.355:
	s_and_not1_b32 vcc_lo, exec_lo, s18
	s_cbranch_vccnz .LBB1471_364
; %bb.356:
	v_mul_lo_u32 v37, v30, s22
	v_mul_lo_u32 v38, v29, s23
	v_mad_u64_u32 v[33:34], null, v29, s22, 0
	v_mul_lo_u32 v39, v32, s22
	v_mul_lo_u32 v40, v31, s23
	v_mad_u64_u32 v[35:36], null, v31, s22, 0
	s_mov_b32 s2, -1
	s_mov_b32 s33, exec_lo
	s_delay_alu instid0(VALU_DEP_4) | instskip(NEXT) | instid1(VALU_DEP_2)
	v_add3_u32 v34, v34, v38, v37
	v_add3_u32 v36, v36, v40, v39
	s_delay_alu instid0(VALU_DEP_2) | instskip(NEXT) | instid1(VALU_DEP_2)
	v_lshlrev_b64 v[33:34], 1, v[33:34]
	v_lshlrev_b64 v[37:38], 1, v[35:36]
	s_delay_alu instid0(VALU_DEP_2) | instskip(NEXT) | instid1(VALU_DEP_3)
	v_add_co_u32 v35, vcc_lo, s8, v33
	v_add_co_ci_u32_e32 v36, vcc_lo, s9, v34, vcc_lo
	s_delay_alu instid0(VALU_DEP_3) | instskip(NEXT) | instid1(VALU_DEP_4)
	v_add_co_u32 v33, vcc_lo, s8, v37
	v_add_co_ci_u32_e32 v34, vcc_lo, s9, v38, vcc_lo
	s_clause 0x1
	global_load_u16 v37, v[35:36], off
	global_load_u16 v38, v[33:34], off
	s_waitcnt vmcnt(0)
	v_cmpx_eq_u16_e64 v37, v38
	s_cbranch_execz .LBB1471_363
; %bb.357:
	v_add_co_u32 v33, vcc_lo, v33, 2
	v_add_co_ci_u32_e32 v34, vcc_lo, 0, v34, vcc_lo
	v_add_co_u32 v35, vcc_lo, v35, 2
	v_add_co_ci_u32_e32 v36, vcc_lo, 0, v36, vcc_lo
	s_add_u32 s4, s22, -1
	s_addc_u32 s5, s23, -1
	s_mov_b64 s[6:7], 0
	s_mov_b32 s34, 0
                                        ; implicit-def: $sgpr35
	s_set_inst_prefetch_distance 0x1
	s_branch .LBB1471_360
	.p2align	6
.LBB1471_358:                           ;   in Loop: Header=BB1471_360 Depth=1
	global_load_u16 v37, v[35:36], off
	global_load_u16 v38, v[33:34], off
	v_add_co_u32 v33, vcc_lo, v33, 2
	v_add_co_ci_u32_e32 v34, vcc_lo, 0, v34, vcc_lo
	v_add_co_u32 v35, s2, v35, 2
	s_delay_alu instid0(VALU_DEP_1)
	v_add_co_ci_u32_e64 v36, s2, 0, v36, s2
	s_add_u32 s6, s6, 1
	s_addc_u32 s7, s7, 0
	s_and_not1_b32 s2, s35, exec_lo
	s_waitcnt vmcnt(0)
	v_cmp_ne_u16_e32 vcc_lo, v37, v38
	s_and_b32 s35, vcc_lo, exec_lo
	s_delay_alu instid0(SALU_CYCLE_1)
	s_or_b32 s35, s2, s35
.LBB1471_359:                           ;   in Loop: Header=BB1471_360 Depth=1
	v_dual_mov_b32 v38, s7 :: v_dual_mov_b32 v37, s6
	s_and_b32 s2, exec_lo, s35
	s_delay_alu instid0(SALU_CYCLE_1) | instskip(NEXT) | instid1(SALU_CYCLE_1)
	s_or_b32 s34, s2, s34
	s_and_not1_b32 exec_lo, exec_lo, s34
	s_cbranch_execz .LBB1471_362
.LBB1471_360:                           ; =>This Inner Loop Header: Depth=1
	s_or_b32 s35, s35, exec_lo
	s_cmp_eq_u64 s[4:5], s[6:7]
	s_cbranch_scc0 .LBB1471_358
; %bb.361:                              ;   in Loop: Header=BB1471_360 Depth=1
	s_mov_b64 s[6:7], s[22:23]
                                        ; implicit-def: $vgpr33_vgpr34
                                        ; implicit-def: $vgpr35_vgpr36
	s_branch .LBB1471_359
.LBB1471_362:
	s_set_inst_prefetch_distance 0x2
	s_or_b32 exec_lo, exec_lo, s34
	v_cmp_gt_i64_e32 vcc_lo, s[22:23], v[37:38]
	s_or_not1_b32 s2, vcc_lo, exec_lo
.LBB1471_363:
	s_or_b32 exec_lo, exec_lo, s33
.LBB1471_364:
	s_delay_alu instid0(SALU_CYCLE_1)
	s_and_b32 s2, s2, exec_lo
.LBB1471_365:
	s_or_b32 exec_lo, exec_lo, s31
	v_cndmask_b32_e64 v34, 0, 1, s29
	v_cndmask_b32_e64 v35, 0, 1, s27
	;; [unrolled: 1-line block ×7, first 2 shown]
	v_lshlrev_b16 v35, 8, v35
	v_lshlrev_b16 v36, 8, v36
	;; [unrolled: 1-line block ×4, first 2 shown]
	s_mov_b32 s19, exec_lo
	v_or_b32_e32 v35, v38, v35
	v_or_b32_e32 v36, v39, v36
	;; [unrolled: 1-line block ×4, first 2 shown]
	s_waitcnt lgkmcnt(0)
	v_and_b32_e32 v34, 0xffff, v35
	v_lshlrev_b32_e32 v35, 16, v36
	v_and_b32_e32 v36, 0xffff, v37
	v_lshlrev_b32_e32 v33, 16, v33
	s_barrier
	buffer_gl0_inv
	v_or_b32_e32 v34, v34, v35
                                        ; implicit-def: $sgpr2
	v_or_b32_e32 v33, v36, v33
	v_cmpx_ne_u32_e32 0, v0
	s_cbranch_execz .LBB1471_378
; %bb.366:
	s_mov_b32 s2, 0
	s_mov_b32 s25, exec_lo
	v_cmpx_gt_u32_e64 s28, v55
	s_cbranch_execz .LBB1471_377
; %bb.367:
	s_and_not1_b32 vcc_lo, exec_lo, s18
	s_cbranch_vccnz .LBB1471_376
; %bb.368:
	v_add_nc_u32_e32 v35, -8, v55
	v_mul_lo_u32 v42, v29, s23
	v_mad_u64_u32 v[38:39], null, v29, s22, 0
	s_mov_b32 s2, -1
	ds_load_b64 v[35:36], v35
	s_waitcnt lgkmcnt(0)
	v_mul_lo_u32 v40, v36, s22
	v_mul_lo_u32 v41, v35, s23
	v_mad_u64_u32 v[36:37], null, v35, s22, 0
	v_mul_lo_u32 v35, v30, s22
	s_delay_alu instid0(VALU_DEP_2) | instskip(NEXT) | instid1(VALU_DEP_2)
	v_add3_u32 v37, v37, v41, v40
	v_add3_u32 v39, v39, v42, v35
	s_delay_alu instid0(VALU_DEP_2) | instskip(NEXT) | instid1(VALU_DEP_2)
	v_lshlrev_b64 v[35:36], 1, v[36:37]
	v_lshlrev_b64 v[39:40], 1, v[38:39]
	s_delay_alu instid0(VALU_DEP_2) | instskip(NEXT) | instid1(VALU_DEP_3)
	v_add_co_u32 v37, vcc_lo, s8, v35
	v_add_co_ci_u32_e32 v38, vcc_lo, s9, v36, vcc_lo
	s_delay_alu instid0(VALU_DEP_3) | instskip(NEXT) | instid1(VALU_DEP_4)
	v_add_co_u32 v35, vcc_lo, s8, v39
	v_add_co_ci_u32_e32 v36, vcc_lo, s9, v40, vcc_lo
	s_clause 0x1
	global_load_u16 v39, v[37:38], off
	global_load_u16 v40, v[35:36], off
	s_mov_b32 s8, exec_lo
	s_waitcnt vmcnt(0)
	v_cmpx_eq_u16_e64 v39, v40
	s_cbranch_execz .LBB1471_375
; %bb.369:
	v_add_co_u32 v35, vcc_lo, v35, 2
	v_add_co_ci_u32_e32 v36, vcc_lo, 0, v36, vcc_lo
	v_add_co_u32 v37, vcc_lo, v37, 2
	v_add_co_ci_u32_e32 v38, vcc_lo, 0, v38, vcc_lo
	s_add_u32 s4, s22, -1
	s_addc_u32 s5, s23, -1
	s_mov_b64 s[6:7], 0
	s_mov_b32 s9, 0
                                        ; implicit-def: $sgpr18
	s_set_inst_prefetch_distance 0x1
	s_branch .LBB1471_372
	.p2align	6
.LBB1471_370:                           ;   in Loop: Header=BB1471_372 Depth=1
	global_load_u16 v39, v[37:38], off
	global_load_u16 v40, v[35:36], off
	v_add_co_u32 v35, vcc_lo, v35, 2
	v_add_co_ci_u32_e32 v36, vcc_lo, 0, v36, vcc_lo
	v_add_co_u32 v37, s2, v37, 2
	s_delay_alu instid0(VALU_DEP_1)
	v_add_co_ci_u32_e64 v38, s2, 0, v38, s2
	s_add_u32 s6, s6, 1
	s_addc_u32 s7, s7, 0
	s_and_not1_b32 s2, s18, exec_lo
	s_waitcnt vmcnt(0)
	v_cmp_ne_u16_e32 vcc_lo, v39, v40
	s_and_b32 s18, vcc_lo, exec_lo
	s_delay_alu instid0(SALU_CYCLE_1)
	s_or_b32 s18, s2, s18
.LBB1471_371:                           ;   in Loop: Header=BB1471_372 Depth=1
	v_dual_mov_b32 v40, s7 :: v_dual_mov_b32 v39, s6
	s_and_b32 s2, exec_lo, s18
	s_delay_alu instid0(SALU_CYCLE_1) | instskip(NEXT) | instid1(SALU_CYCLE_1)
	s_or_b32 s9, s2, s9
	s_and_not1_b32 exec_lo, exec_lo, s9
	s_cbranch_execz .LBB1471_374
.LBB1471_372:                           ; =>This Inner Loop Header: Depth=1
	s_or_b32 s18, s18, exec_lo
	s_cmp_eq_u64 s[4:5], s[6:7]
	s_cbranch_scc0 .LBB1471_370
; %bb.373:                              ;   in Loop: Header=BB1471_372 Depth=1
	s_mov_b64 s[6:7], s[22:23]
                                        ; implicit-def: $vgpr35_vgpr36
                                        ; implicit-def: $vgpr37_vgpr38
	s_branch .LBB1471_371
.LBB1471_374:
	s_set_inst_prefetch_distance 0x2
	s_or_b32 exec_lo, exec_lo, s9
	v_cmp_gt_i64_e32 vcc_lo, s[22:23], v[39:40]
	s_or_not1_b32 s2, vcc_lo, exec_lo
.LBB1471_375:
	s_or_b32 exec_lo, exec_lo, s8
.LBB1471_376:
	s_delay_alu instid0(SALU_CYCLE_1)
	s_and_b32 s2, s2, exec_lo
.LBB1471_377:
	s_or_b32 exec_lo, exec_lo, s25
	s_delay_alu instid0(SALU_CYCLE_1)
	s_and_b32 s2, s2, exec_lo
	s_or_b32 s3, s3, exec_lo
.LBB1471_378:
	s_or_b32 exec_lo, exec_lo, s19
.LBB1471_379:
	s_and_saveexec_b32 s4, s3
; %bb.380:
	v_and_b32_e32 v35, 0xffffff00, v33
	v_cndmask_b32_e64 v36, 0, 1, s2
	s_delay_alu instid0(VALU_DEP_1) | instskip(NEXT) | instid1(VALU_DEP_1)
	v_or_b32_e32 v35, v36, v35
	v_and_b32_e32 v35, 0xffff, v35
	s_delay_alu instid0(VALU_DEP_1)
	v_and_or_b32 v33, 0xffff0000, v33, v35
; %bb.381:
	s_or_b32 exec_lo, exec_lo, s4
	s_delay_alu instid0(SALU_CYCLE_1)
	s_and_not1_b32 vcc_lo, exec_lo, s21
	s_cbranch_vccnz .LBB1471_383
; %bb.382:
	v_cmp_gt_u32_e32 vcc_lo, s28, v55
	v_or_b32_e32 v36, 1, v55
	v_and_b32_e32 v37, 0xffffff00, v34
	v_or_b32_e32 v38, 2, v55
	v_cndmask_b32_e32 v35, 0, v33, vcc_lo
	s_delay_alu instid0(VALU_DEP_4) | instskip(SKIP_1) | instid1(VALU_DEP_4)
	v_cmp_gt_u32_e32 vcc_lo, s28, v36
	v_or_b32_e32 v36, 4, v55
	v_cmp_gt_u32_e64 s2, s28, v38
	v_or_b32_e32 v38, 3, v55
	v_and_b32_e32 v35, 0xff, v35
	s_delay_alu instid0(VALU_DEP_2) | instskip(NEXT) | instid1(VALU_DEP_2)
	v_cmp_gt_u32_e64 s3, s28, v38
	v_cndmask_b32_e32 v35, v35, v33, vcc_lo
	v_cmp_gt_u32_e32 vcc_lo, s28, v36
	v_cndmask_b32_e32 v36, v37, v34, vcc_lo
	v_or_b32_e32 v37, 5, v55
	s_delay_alu instid0(VALU_DEP_2) | instskip(SKIP_1) | instid1(VALU_DEP_1)
	v_and_b32_e32 v36, 0xffff00ff, v36
	v_and_b32_e32 v35, 0xffff, v35
	v_cndmask_b32_e64 v35, v35, v33, s2
	s_delay_alu instid0(VALU_DEP_4) | instskip(SKIP_1) | instid1(VALU_DEP_3)
	v_cmp_gt_u32_e64 s2, s28, v37
	v_or_b32_e32 v37, 6, v55
	v_and_b32_e32 v35, 0xffffff, v35
	s_delay_alu instid0(VALU_DEP_3) | instskip(NEXT) | instid1(VALU_DEP_2)
	v_cndmask_b32_e64 v36, v36, v34, s2
	v_cndmask_b32_e64 v35, v35, v33, s3
	s_delay_alu instid0(VALU_DEP_1) | instskip(SKIP_2) | instid1(VALU_DEP_3)
	v_dual_cndmask_b32 v35, v35, v33 :: v_dual_and_b32 v36, 0xff00ffff, v36
	v_cmp_gt_u32_e32 vcc_lo, s28, v37
	v_or_b32_e32 v37, 7, v55
	v_cndmask_b32_e64 v35, v35, v33, s2
	s_delay_alu instid0(VALU_DEP_1) | instskip(NEXT) | instid1(VALU_DEP_1)
	v_dual_cndmask_b32 v36, v36, v34 :: v_dual_cndmask_b32 v35, v35, v33
	v_and_b32_e32 v36, 0xffffff, v36
	s_delay_alu instid0(VALU_DEP_4) | instskip(NEXT) | instid1(VALU_DEP_2)
	v_cmp_gt_u32_e32 vcc_lo, s28, v37
	v_dual_cndmask_b32 v34, v36, v34 :: v_dual_cndmask_b32 v33, v35, v33
.LBB1471_383:
	s_delay_alu instid0(VALU_DEP_1) | instskip(NEXT) | instid1(VALU_DEP_2)
	v_and_b32_e32 v42, 0xff, v33
	v_alignbit_b32 v35, v34, v33, 24
	v_bfe_u32 v44, v33, 8, 8
	v_bfe_u32 v46, v33, 16, 8
	v_and_b32_e32 v50, 0xff, v34
	v_bfe_u32 v52, v34, 8, 8
	v_and_b32_e32 v48, 0xff, v35
	v_add_nc_u32_e32 v35, v44, v42
	v_mbcnt_lo_u32_b32 v57, -1, 0
	v_bfe_u32 v54, v34, 16, 8
	v_lshrrev_b32_e32 v56, 24, v34
	v_lshrrev_b32_e32 v58, 5, v0
	v_add3_u32 v35, v35, v46, v48
	v_and_b32_e32 v36, 15, v57
	v_and_b32_e32 v37, 16, v57
	s_and_b32 vcc_lo, exec_lo, s24
	s_mov_b32 s9, -1
	v_add3_u32 v35, v35, v50, v52
	v_cmp_eq_u32_e64 s4, 0, v36
	v_cmp_lt_u32_e64 s2, 1, v36
	v_cmp_lt_u32_e64 s5, 3, v36
	;; [unrolled: 1-line block ×3, first 2 shown]
	v_add3_u32 v59, v35, v54, v56
	v_or_b32_e32 v35, 31, v0
	v_cmp_eq_u32_e64 s7, 0, v37
	s_waitcnt lgkmcnt(0)
	s_barrier
	buffer_gl0_inv
	v_cmp_eq_u32_e64 s6, v35, v0
	s_cbranch_vccz .LBB1471_414
; %bb.384:
	v_mov_b32_dpp v35, v59 row_shr:1 row_mask:0xf bank_mask:0xf
	s_delay_alu instid0(VALU_DEP_1) | instskip(NEXT) | instid1(VALU_DEP_1)
	v_cndmask_b32_e64 v35, v35, 0, s4
	v_add_nc_u32_e32 v35, v35, v59
	s_delay_alu instid0(VALU_DEP_1) | instskip(NEXT) | instid1(VALU_DEP_1)
	v_mov_b32_dpp v36, v35 row_shr:2 row_mask:0xf bank_mask:0xf
	v_cndmask_b32_e64 v36, 0, v36, s2
	s_delay_alu instid0(VALU_DEP_1) | instskip(NEXT) | instid1(VALU_DEP_1)
	v_add_nc_u32_e32 v35, v35, v36
	v_mov_b32_dpp v36, v35 row_shr:4 row_mask:0xf bank_mask:0xf
	s_delay_alu instid0(VALU_DEP_1) | instskip(NEXT) | instid1(VALU_DEP_1)
	v_cndmask_b32_e64 v36, 0, v36, s5
	v_add_nc_u32_e32 v35, v35, v36
	s_delay_alu instid0(VALU_DEP_1) | instskip(NEXT) | instid1(VALU_DEP_1)
	v_mov_b32_dpp v36, v35 row_shr:8 row_mask:0xf bank_mask:0xf
	v_cndmask_b32_e64 v36, 0, v36, s3
	s_delay_alu instid0(VALU_DEP_1) | instskip(SKIP_3) | instid1(VALU_DEP_1)
	v_add_nc_u32_e32 v35, v35, v36
	ds_swizzle_b32 v36, v35 offset:swizzle(BROADCAST,32,15)
	s_waitcnt lgkmcnt(0)
	v_cndmask_b32_e64 v36, v36, 0, s7
	v_add_nc_u32_e32 v35, v35, v36
	s_and_saveexec_b32 s8, s6
	s_cbranch_execz .LBB1471_386
; %bb.385:
	v_lshlrev_b32_e32 v36, 2, v58
	ds_store_b32 v36, v35
.LBB1471_386:
	s_or_b32 exec_lo, exec_lo, s8
	s_delay_alu instid0(SALU_CYCLE_1)
	s_mov_b32 s8, exec_lo
	s_waitcnt lgkmcnt(0)
	s_barrier
	buffer_gl0_inv
	v_cmpx_gt_u32_e32 16, v0
	s_cbranch_execz .LBB1471_388
; %bb.387:
	v_lshlrev_b32_e32 v36, 2, v0
	ds_load_b32 v37, v36
	s_waitcnt lgkmcnt(0)
	v_mov_b32_dpp v38, v37 row_shr:1 row_mask:0xf bank_mask:0xf
	s_delay_alu instid0(VALU_DEP_1) | instskip(NEXT) | instid1(VALU_DEP_1)
	v_cndmask_b32_e64 v38, v38, 0, s4
	v_add_nc_u32_e32 v37, v38, v37
	s_delay_alu instid0(VALU_DEP_1) | instskip(NEXT) | instid1(VALU_DEP_1)
	v_mov_b32_dpp v38, v37 row_shr:2 row_mask:0xf bank_mask:0xf
	v_cndmask_b32_e64 v38, 0, v38, s2
	s_delay_alu instid0(VALU_DEP_1) | instskip(NEXT) | instid1(VALU_DEP_1)
	v_add_nc_u32_e32 v37, v37, v38
	v_mov_b32_dpp v38, v37 row_shr:4 row_mask:0xf bank_mask:0xf
	s_delay_alu instid0(VALU_DEP_1) | instskip(NEXT) | instid1(VALU_DEP_1)
	v_cndmask_b32_e64 v38, 0, v38, s5
	v_add_nc_u32_e32 v37, v37, v38
	s_delay_alu instid0(VALU_DEP_1) | instskip(NEXT) | instid1(VALU_DEP_1)
	v_mov_b32_dpp v38, v37 row_shr:8 row_mask:0xf bank_mask:0xf
	v_cndmask_b32_e64 v38, 0, v38, s3
	s_delay_alu instid0(VALU_DEP_1)
	v_add_nc_u32_e32 v37, v37, v38
	ds_store_b32 v36, v37
.LBB1471_388:
	s_or_b32 exec_lo, exec_lo, s8
	v_cmp_gt_u32_e32 vcc_lo, 32, v0
	s_mov_b32 s9, exec_lo
	s_waitcnt lgkmcnt(0)
	s_barrier
	buffer_gl0_inv
                                        ; implicit-def: $vgpr43
	v_cmpx_lt_u32_e32 31, v0
	s_cbranch_execz .LBB1471_390
; %bb.389:
	v_lshl_add_u32 v36, v58, 2, -4
	ds_load_b32 v43, v36
	s_waitcnt lgkmcnt(0)
	v_add_nc_u32_e32 v35, v43, v35
.LBB1471_390:
	s_or_b32 exec_lo, exec_lo, s9
	v_add_nc_u32_e32 v36, -1, v57
	s_delay_alu instid0(VALU_DEP_1) | instskip(NEXT) | instid1(VALU_DEP_1)
	v_cmp_gt_i32_e64 s8, 0, v36
	v_cndmask_b32_e64 v36, v36, v57, s8
	v_cmp_eq_u32_e64 s8, 0, v57
	s_delay_alu instid0(VALU_DEP_2)
	v_lshlrev_b32_e32 v36, 2, v36
	ds_bpermute_b32 v45, v36, v35
	s_and_saveexec_b32 s9, vcc_lo
	s_cbranch_execz .LBB1471_413
; %bb.391:
	v_mov_b32_e32 v38, 0
	ds_load_b32 v35, v38 offset:60
	s_and_saveexec_b32 s18, s8
	s_cbranch_execz .LBB1471_393
; %bb.392:
	s_add_i32 s22, s15, 32
	s_mov_b32 s23, 0
	v_mov_b32_e32 v36, 1
	s_lshl_b64 s[22:23], s[22:23], 3
	s_delay_alu instid0(SALU_CYCLE_1)
	s_add_u32 s22, s10, s22
	s_addc_u32 s23, s11, s23
	s_waitcnt lgkmcnt(0)
	global_store_b64 v38, v[35:36], s[22:23]
.LBB1471_393:
	s_or_b32 exec_lo, exec_lo, s18
	v_xad_u32 v36, v57, -1, s15
	s_mov_b32 s19, 0
	s_mov_b32 s18, exec_lo
	s_delay_alu instid0(VALU_DEP_1) | instskip(NEXT) | instid1(VALU_DEP_1)
	v_add_nc_u32_e32 v37, 32, v36
	v_lshlrev_b64 v[37:38], 3, v[37:38]
	s_delay_alu instid0(VALU_DEP_1) | instskip(NEXT) | instid1(VALU_DEP_2)
	v_add_co_u32 v40, vcc_lo, s10, v37
	v_add_co_ci_u32_e32 v41, vcc_lo, s11, v38, vcc_lo
	global_load_b64 v[38:39], v[40:41], off glc
	s_waitcnt vmcnt(0)
	v_and_b32_e32 v37, 0xff, v39
	s_delay_alu instid0(VALU_DEP_1)
	v_cmpx_eq_u16_e32 0, v37
	s_cbranch_execz .LBB1471_399
; %bb.394:
	s_mov_b32 s21, 1
	.p2align	6
.LBB1471_395:                           ; =>This Loop Header: Depth=1
                                        ;     Child Loop BB1471_396 Depth 2
	s_delay_alu instid0(SALU_CYCLE_1)
	s_max_u32 s22, s21, 1
.LBB1471_396:                           ;   Parent Loop BB1471_395 Depth=1
                                        ; =>  This Inner Loop Header: Depth=2
	s_delay_alu instid0(SALU_CYCLE_1)
	s_add_i32 s22, s22, -1
	s_sleep 1
	s_cmp_eq_u32 s22, 0
	s_cbranch_scc0 .LBB1471_396
; %bb.397:                              ;   in Loop: Header=BB1471_395 Depth=1
	global_load_b64 v[38:39], v[40:41], off glc
	s_cmp_lt_u32 s21, 32
	s_cselect_b32 s22, -1, 0
	s_delay_alu instid0(SALU_CYCLE_1) | instskip(SKIP_3) | instid1(VALU_DEP_1)
	s_cmp_lg_u32 s22, 0
	s_addc_u32 s21, s21, 0
	s_waitcnt vmcnt(0)
	v_and_b32_e32 v37, 0xff, v39
	v_cmp_ne_u16_e32 vcc_lo, 0, v37
	s_or_b32 s19, vcc_lo, s19
	s_delay_alu instid0(SALU_CYCLE_1)
	s_and_not1_b32 exec_lo, exec_lo, s19
	s_cbranch_execnz .LBB1471_395
; %bb.398:
	s_or_b32 exec_lo, exec_lo, s19
.LBB1471_399:
	s_delay_alu instid0(SALU_CYCLE_1)
	s_or_b32 exec_lo, exec_lo, s18
	v_cmp_ne_u32_e32 vcc_lo, 31, v57
	v_lshlrev_b32_e64 v49, v57, -1
	v_add_nc_u32_e32 v53, 2, v57
	v_add_nc_u32_e32 v62, 4, v57
	;; [unrolled: 1-line block ×3, first 2 shown]
	v_add_co_ci_u32_e32 v37, vcc_lo, 0, v57, vcc_lo
	v_add_nc_u32_e32 v66, 16, v57
	s_delay_alu instid0(VALU_DEP_2)
	v_lshlrev_b32_e32 v47, 2, v37
	v_and_b32_e32 v37, 0xff, v39
	ds_bpermute_b32 v40, v47, v38
	v_cmp_eq_u16_e32 vcc_lo, 2, v37
	v_and_or_b32 v37, vcc_lo, v49, 0x80000000
	v_cmp_gt_u32_e32 vcc_lo, 30, v57
	s_delay_alu instid0(VALU_DEP_2) | instskip(SKIP_1) | instid1(VALU_DEP_2)
	v_ctz_i32_b32_e32 v37, v37
	v_cndmask_b32_e64 v41, 0, 1, vcc_lo
	v_cmp_lt_u32_e32 vcc_lo, v57, v37
	s_waitcnt lgkmcnt(0)
	s_delay_alu instid0(VALU_DEP_2) | instskip(NEXT) | instid1(VALU_DEP_1)
	v_dual_cndmask_b32 v40, 0, v40 :: v_dual_lshlrev_b32 v41, 1, v41
	v_add_lshl_u32 v51, v41, v57, 2
	v_cmp_gt_u32_e32 vcc_lo, 28, v57
	s_delay_alu instid0(VALU_DEP_3) | instskip(SKIP_4) | instid1(VALU_DEP_1)
	v_add_nc_u32_e32 v38, v40, v38
	v_cndmask_b32_e64 v41, 0, 1, vcc_lo
	v_cmp_le_u32_e32 vcc_lo, v53, v37
	ds_bpermute_b32 v40, v51, v38
	v_lshlrev_b32_e32 v41, 2, v41
	v_add_lshl_u32 v60, v41, v57, 2
	s_waitcnt lgkmcnt(0)
	v_cndmask_b32_e32 v40, 0, v40, vcc_lo
	v_cmp_gt_u32_e32 vcc_lo, 24, v57
	s_delay_alu instid0(VALU_DEP_2) | instskip(SKIP_4) | instid1(VALU_DEP_1)
	v_add_nc_u32_e32 v38, v38, v40
	v_cndmask_b32_e64 v41, 0, 1, vcc_lo
	v_cmp_le_u32_e32 vcc_lo, v62, v37
	ds_bpermute_b32 v40, v60, v38
	v_lshlrev_b32_e32 v41, 3, v41
	v_add_lshl_u32 v63, v41, v57, 2
	s_waitcnt lgkmcnt(0)
	v_cndmask_b32_e32 v40, 0, v40, vcc_lo
	v_cmp_gt_u32_e32 vcc_lo, 16, v57
	s_delay_alu instid0(VALU_DEP_2) | instskip(SKIP_4) | instid1(VALU_DEP_1)
	v_add_nc_u32_e32 v38, v38, v40
	v_cndmask_b32_e64 v41, 0, 1, vcc_lo
	v_cmp_le_u32_e32 vcc_lo, v64, v37
	ds_bpermute_b32 v40, v63, v38
	v_lshlrev_b32_e32 v41, 4, v41
	v_add_lshl_u32 v65, v41, v57, 2
	s_waitcnt lgkmcnt(0)
	v_cndmask_b32_e32 v40, 0, v40, vcc_lo
	v_cmp_le_u32_e32 vcc_lo, v66, v37
	s_delay_alu instid0(VALU_DEP_2) | instskip(SKIP_3) | instid1(VALU_DEP_1)
	v_add_nc_u32_e32 v38, v38, v40
	ds_bpermute_b32 v40, v65, v38
	s_waitcnt lgkmcnt(0)
	v_cndmask_b32_e32 v37, 0, v40, vcc_lo
	v_dual_mov_b32 v37, 0 :: v_dual_add_nc_u32 v38, v38, v37
	s_branch .LBB1471_401
.LBB1471_400:                           ;   in Loop: Header=BB1471_401 Depth=1
	s_or_b32 exec_lo, exec_lo, s18
	ds_bpermute_b32 v41, v47, v38
	v_and_b32_e32 v40, 0xff, v39
	v_subrev_nc_u32_e32 v36, 32, v36
	s_delay_alu instid0(VALU_DEP_2) | instskip(SKIP_1) | instid1(VALU_DEP_1)
	v_cmp_eq_u16_e32 vcc_lo, 2, v40
	v_and_or_b32 v40, vcc_lo, v49, 0x80000000
	v_ctz_i32_b32_e32 v40, v40
	s_delay_alu instid0(VALU_DEP_1) | instskip(SKIP_3) | instid1(VALU_DEP_2)
	v_cmp_lt_u32_e32 vcc_lo, v57, v40
	s_waitcnt lgkmcnt(0)
	v_cndmask_b32_e32 v41, 0, v41, vcc_lo
	v_cmp_le_u32_e32 vcc_lo, v53, v40
	v_add_nc_u32_e32 v38, v41, v38
	ds_bpermute_b32 v41, v51, v38
	s_waitcnt lgkmcnt(0)
	v_cndmask_b32_e32 v41, 0, v41, vcc_lo
	v_cmp_le_u32_e32 vcc_lo, v62, v40
	s_delay_alu instid0(VALU_DEP_2) | instskip(SKIP_4) | instid1(VALU_DEP_2)
	v_add_nc_u32_e32 v38, v38, v41
	ds_bpermute_b32 v41, v60, v38
	s_waitcnt lgkmcnt(0)
	v_cndmask_b32_e32 v41, 0, v41, vcc_lo
	v_cmp_le_u32_e32 vcc_lo, v64, v40
	v_add_nc_u32_e32 v38, v38, v41
	ds_bpermute_b32 v41, v63, v38
	s_waitcnt lgkmcnt(0)
	v_cndmask_b32_e32 v41, 0, v41, vcc_lo
	v_cmp_le_u32_e32 vcc_lo, v66, v40
	s_delay_alu instid0(VALU_DEP_2) | instskip(SKIP_3) | instid1(VALU_DEP_1)
	v_add_nc_u32_e32 v38, v38, v41
	ds_bpermute_b32 v41, v65, v38
	s_waitcnt lgkmcnt(0)
	v_cndmask_b32_e32 v40, 0, v41, vcc_lo
	v_add3_u32 v38, v40, v61, v38
.LBB1471_401:                           ; =>This Loop Header: Depth=1
                                        ;     Child Loop BB1471_404 Depth 2
                                        ;       Child Loop BB1471_405 Depth 3
	v_and_b32_e32 v39, 0xff, v39
	s_delay_alu instid0(VALU_DEP_2) | instskip(NEXT) | instid1(VALU_DEP_2)
	v_mov_b32_e32 v61, v38
	v_cmp_ne_u16_e32 vcc_lo, 2, v39
	v_cndmask_b32_e64 v39, 0, 1, vcc_lo
	;;#ASMSTART
	;;#ASMEND
	s_delay_alu instid0(VALU_DEP_1)
	v_cmp_ne_u32_e32 vcc_lo, 0, v39
	s_cmp_lg_u32 vcc_lo, exec_lo
	s_cbranch_scc1 .LBB1471_408
; %bb.402:                              ;   in Loop: Header=BB1471_401 Depth=1
	v_lshlrev_b64 v[38:39], 3, v[36:37]
	s_mov_b32 s18, exec_lo
	s_delay_alu instid0(VALU_DEP_1) | instskip(NEXT) | instid1(VALU_DEP_2)
	v_add_co_u32 v40, vcc_lo, s10, v38
	v_add_co_ci_u32_e32 v41, vcc_lo, s11, v39, vcc_lo
	global_load_b64 v[38:39], v[40:41], off glc
	s_waitcnt vmcnt(0)
	v_and_b32_e32 v67, 0xff, v39
	s_delay_alu instid0(VALU_DEP_1)
	v_cmpx_eq_u16_e32 0, v67
	s_cbranch_execz .LBB1471_400
; %bb.403:                              ;   in Loop: Header=BB1471_401 Depth=1
	s_mov_b32 s21, 1
	s_mov_b32 s19, 0
	.p2align	6
.LBB1471_404:                           ;   Parent Loop BB1471_401 Depth=1
                                        ; =>  This Loop Header: Depth=2
                                        ;       Child Loop BB1471_405 Depth 3
	s_max_u32 s22, s21, 1
.LBB1471_405:                           ;   Parent Loop BB1471_401 Depth=1
                                        ;     Parent Loop BB1471_404 Depth=2
                                        ; =>    This Inner Loop Header: Depth=3
	s_delay_alu instid0(SALU_CYCLE_1)
	s_add_i32 s22, s22, -1
	s_sleep 1
	s_cmp_eq_u32 s22, 0
	s_cbranch_scc0 .LBB1471_405
; %bb.406:                              ;   in Loop: Header=BB1471_404 Depth=2
	global_load_b64 v[38:39], v[40:41], off glc
	s_cmp_lt_u32 s21, 32
	s_cselect_b32 s22, -1, 0
	s_delay_alu instid0(SALU_CYCLE_1) | instskip(SKIP_3) | instid1(VALU_DEP_1)
	s_cmp_lg_u32 s22, 0
	s_addc_u32 s21, s21, 0
	s_waitcnt vmcnt(0)
	v_and_b32_e32 v67, 0xff, v39
	v_cmp_ne_u16_e32 vcc_lo, 0, v67
	s_or_b32 s19, vcc_lo, s19
	s_delay_alu instid0(SALU_CYCLE_1)
	s_and_not1_b32 exec_lo, exec_lo, s19
	s_cbranch_execnz .LBB1471_404
; %bb.407:                              ;   in Loop: Header=BB1471_401 Depth=1
	s_or_b32 exec_lo, exec_lo, s19
	s_branch .LBB1471_400
.LBB1471_408:                           ;   in Loop: Header=BB1471_401 Depth=1
                                        ; implicit-def: $vgpr38
                                        ; implicit-def: $vgpr39
	s_cbranch_execz .LBB1471_401
; %bb.409:
	s_and_saveexec_b32 s18, s8
	s_cbranch_execz .LBB1471_411
; %bb.410:
	s_add_i32 s22, s15, 32
	s_mov_b32 s23, 0
	v_dual_mov_b32 v37, 2 :: v_dual_add_nc_u32 v36, v61, v35
	s_lshl_b64 s[22:23], s[22:23], 3
	v_mov_b32_e32 v38, 0
	v_add_nc_u32_e64 v39, 0x8400, 0
	s_add_u32 s22, s10, s22
	s_addc_u32 s23, s11, s23
	global_store_b64 v38, v[36:37], s[22:23]
	ds_store_2addr_b32 v39, v35, v61 offset1:2
.LBB1471_411:
	s_or_b32 exec_lo, exec_lo, s18
	v_cmp_eq_u32_e32 vcc_lo, 0, v0
	s_and_b32 exec_lo, exec_lo, vcc_lo
	s_cbranch_execz .LBB1471_413
; %bb.412:
	v_mov_b32_e32 v35, 0
	ds_store_b32 v35, v61 offset:60
.LBB1471_413:
	s_or_b32 exec_lo, exec_lo, s9
	s_waitcnt lgkmcnt(0)
	v_cndmask_b32_e64 v36, v45, v43, s8
	v_cmp_ne_u32_e32 vcc_lo, 0, v0
	v_mov_b32_e32 v35, 0
	s_waitcnt_vscnt null, 0x0
	s_barrier
	buffer_gl0_inv
	v_cndmask_b32_e32 v36, 0, v36, vcc_lo
	ds_load_b32 v35, v35 offset:60
	s_waitcnt lgkmcnt(0)
	s_barrier
	buffer_gl0_inv
	v_add_nc_u32_e32 v53, v35, v36
	v_add_nc_u32_e64 v35, 0x8400, 0
	s_delay_alu instid0(VALU_DEP_2) | instskip(SKIP_2) | instid1(VALU_DEP_1)
	v_add_nc_u32_e32 v51, v53, v42
	ds_load_2addr_b32 v[35:36], v35 offset1:2
	v_add_nc_u32_e32 v49, v51, v44
	v_add_nc_u32_e32 v47, v49, v46
	s_delay_alu instid0(VALU_DEP_1) | instskip(NEXT) | instid1(VALU_DEP_1)
	v_add_nc_u32_e32 v45, v47, v48
	v_add_nc_u32_e32 v43, v45, v50
	s_waitcnt lgkmcnt(0)
	v_readfirstlane_b32 s8, v36
	s_delay_alu instid0(VALU_DEP_2) | instskip(NEXT) | instid1(VALU_DEP_1)
	v_add_nc_u32_e32 v41, v43, v52
	v_add_nc_u32_e32 v39, v41, v54
	v_lshrrev_b64 v[37:38], 24, v[33:34]
	s_branch .LBB1471_424
.LBB1471_414:
                                        ; implicit-def: $vgpr39
                                        ; implicit-def: $vgpr41
                                        ; implicit-def: $vgpr43
                                        ; implicit-def: $vgpr45
                                        ; implicit-def: $vgpr47
                                        ; implicit-def: $vgpr49
                                        ; implicit-def: $vgpr51
                                        ; implicit-def: $vgpr53
                                        ; implicit-def: $sgpr8
                                        ; implicit-def: $vgpr35
	v_lshrrev_b64 v[37:38], 24, v[33:34]
	s_and_b32 vcc_lo, exec_lo, s9
	s_cbranch_vccz .LBB1471_424
; %bb.415:
	v_mov_b32_dpp v35, v59 row_shr:1 row_mask:0xf bank_mask:0xf
	s_delay_alu instid0(VALU_DEP_1) | instskip(NEXT) | instid1(VALU_DEP_1)
	v_cndmask_b32_e64 v35, v35, 0, s4
	v_add_nc_u32_e32 v35, v35, v59
	s_delay_alu instid0(VALU_DEP_1) | instskip(NEXT) | instid1(VALU_DEP_1)
	v_mov_b32_dpp v36, v35 row_shr:2 row_mask:0xf bank_mask:0xf
	v_cndmask_b32_e64 v36, 0, v36, s2
	s_delay_alu instid0(VALU_DEP_1) | instskip(NEXT) | instid1(VALU_DEP_1)
	v_add_nc_u32_e32 v35, v35, v36
	v_mov_b32_dpp v36, v35 row_shr:4 row_mask:0xf bank_mask:0xf
	s_delay_alu instid0(VALU_DEP_1) | instskip(NEXT) | instid1(VALU_DEP_1)
	v_cndmask_b32_e64 v36, 0, v36, s5
	v_add_nc_u32_e32 v35, v35, v36
	s_delay_alu instid0(VALU_DEP_1) | instskip(NEXT) | instid1(VALU_DEP_1)
	v_mov_b32_dpp v36, v35 row_shr:8 row_mask:0xf bank_mask:0xf
	v_cndmask_b32_e64 v36, 0, v36, s3
	s_delay_alu instid0(VALU_DEP_1) | instskip(SKIP_3) | instid1(VALU_DEP_1)
	v_add_nc_u32_e32 v35, v35, v36
	ds_swizzle_b32 v36, v35 offset:swizzle(BROADCAST,32,15)
	s_waitcnt lgkmcnt(0)
	v_cndmask_b32_e64 v36, v36, 0, s7
	v_add_nc_u32_e32 v35, v35, v36
	s_and_saveexec_b32 s7, s6
	s_cbranch_execz .LBB1471_417
; %bb.416:
	v_lshlrev_b32_e32 v36, 2, v58
	ds_store_b32 v36, v35
.LBB1471_417:
	s_or_b32 exec_lo, exec_lo, s7
	s_delay_alu instid0(SALU_CYCLE_1)
	s_mov_b32 s6, exec_lo
	s_waitcnt lgkmcnt(0)
	s_barrier
	buffer_gl0_inv
	v_cmpx_gt_u32_e32 16, v0
	s_cbranch_execz .LBB1471_419
; %bb.418:
	v_lshlrev_b32_e32 v36, 2, v0
	ds_load_b32 v38, v36
	s_waitcnt lgkmcnt(0)
	v_mov_b32_dpp v39, v38 row_shr:1 row_mask:0xf bank_mask:0xf
	s_delay_alu instid0(VALU_DEP_1) | instskip(NEXT) | instid1(VALU_DEP_1)
	v_cndmask_b32_e64 v39, v39, 0, s4
	v_add_nc_u32_e32 v38, v39, v38
	s_delay_alu instid0(VALU_DEP_1) | instskip(NEXT) | instid1(VALU_DEP_1)
	v_mov_b32_dpp v39, v38 row_shr:2 row_mask:0xf bank_mask:0xf
	v_cndmask_b32_e64 v39, 0, v39, s2
	s_delay_alu instid0(VALU_DEP_1) | instskip(NEXT) | instid1(VALU_DEP_1)
	v_add_nc_u32_e32 v38, v38, v39
	v_mov_b32_dpp v39, v38 row_shr:4 row_mask:0xf bank_mask:0xf
	s_delay_alu instid0(VALU_DEP_1) | instskip(NEXT) | instid1(VALU_DEP_1)
	v_cndmask_b32_e64 v39, 0, v39, s5
	v_add_nc_u32_e32 v38, v38, v39
	s_delay_alu instid0(VALU_DEP_1) | instskip(NEXT) | instid1(VALU_DEP_1)
	v_mov_b32_dpp v39, v38 row_shr:8 row_mask:0xf bank_mask:0xf
	v_cndmask_b32_e64 v39, 0, v39, s3
	s_delay_alu instid0(VALU_DEP_1)
	v_add_nc_u32_e32 v38, v38, v39
	ds_store_b32 v36, v38
.LBB1471_419:
	s_or_b32 exec_lo, exec_lo, s6
	v_mov_b32_e32 v36, 0
	v_mov_b32_e32 v38, 0
	s_mov_b32 s2, exec_lo
	s_waitcnt lgkmcnt(0)
	s_barrier
	buffer_gl0_inv
	v_cmpx_lt_u32_e32 31, v0
	s_cbranch_execz .LBB1471_421
; %bb.420:
	v_lshl_add_u32 v38, v58, 2, -4
	ds_load_b32 v38, v38
.LBB1471_421:
	s_or_b32 exec_lo, exec_lo, s2
	v_add_nc_u32_e32 v39, -1, v57
	s_waitcnt lgkmcnt(0)
	v_add_nc_u32_e32 v35, v38, v35
	s_mov_b32 s8, 0
	s_delay_alu instid0(VALU_DEP_2) | instskip(SKIP_2) | instid1(VALU_DEP_2)
	v_cmp_gt_i32_e32 vcc_lo, 0, v39
	v_cndmask_b32_e32 v39, v39, v57, vcc_lo
	v_cmp_eq_u32_e32 vcc_lo, 0, v0
	v_lshlrev_b32_e32 v39, 2, v39
	ds_bpermute_b32 v39, v39, v35
	ds_load_b32 v35, v36 offset:60
	s_and_saveexec_b32 s2, vcc_lo
	s_cbranch_execz .LBB1471_423
; %bb.422:
	v_mov_b32_e32 v40, 0
	v_mov_b32_e32 v36, 2
	s_waitcnt lgkmcnt(0)
	global_store_b64 v40, v[35:36], s[10:11] offset:256
.LBB1471_423:
	s_or_b32 exec_lo, exec_lo, s2
	v_cmp_eq_u32_e64 s2, 0, v57
	s_waitcnt lgkmcnt(0)
	s_waitcnt_vscnt null, 0x0
	s_barrier
	buffer_gl0_inv
	v_cndmask_b32_e64 v36, v39, v38, s2
	s_delay_alu instid0(VALU_DEP_1) | instskip(NEXT) | instid1(VALU_DEP_1)
	v_cndmask_b32_e64 v53, v36, 0, vcc_lo
	v_add_nc_u32_e32 v51, v53, v42
	s_delay_alu instid0(VALU_DEP_1) | instskip(NEXT) | instid1(VALU_DEP_1)
	v_add_nc_u32_e32 v49, v51, v44
	v_add_nc_u32_e32 v47, v49, v46
	s_delay_alu instid0(VALU_DEP_1) | instskip(NEXT) | instid1(VALU_DEP_1)
	v_add_nc_u32_e32 v45, v47, v48
	;; [unrolled: 3-line block ×3, first 2 shown]
	v_add_nc_u32_e32 v39, v41, v54
.LBB1471_424:
	s_load_b128 s[4:7], s[0:1], 0x28
	v_add_nc_u32_e32 v59, s8, v35
	v_cmp_gt_u32_e64 s0, 0x201, v35
	v_lshrrev_b32_e32 v58, 8, v33
	v_lshrrev_b32_e32 v57, 16, v33
	;; [unrolled: 1-line block ×4, first 2 shown]
	v_cmp_lt_u32_e64 s1, v53, v59
	s_and_b32 vcc_lo, exec_lo, s0
	s_mov_b32 s2, -1
	s_cbranch_vccz .LBB1471_450
; %bb.425:
	s_delay_alu instid0(VALU_DEP_1) | instskip(NEXT) | instid1(SALU_CYCLE_1)
	s_or_b32 s2, s20, s1
	s_and_saveexec_b32 s1, s2
	s_cbranch_execz .LBB1471_428
; %bb.426:
	v_and_b32_e32 v40, 1, v33
	s_delay_alu instid0(VALU_DEP_1)
	v_cmp_eq_u32_e32 vcc_lo, 1, v40
	s_and_b32 exec_lo, exec_lo, vcc_lo
	s_cbranch_execz .LBB1471_428
; %bb.427:
	v_mov_b32_e32 v54, 0
	s_lshl_b64 s[2:3], s[12:13], 3
	s_waitcnt lgkmcnt(0)
	s_add_u32 s2, s4, s2
	s_addc_u32 s3, s5, s3
	v_lshlrev_b64 v[60:61], 3, v[53:54]
	s_delay_alu instid0(VALU_DEP_1) | instskip(NEXT) | instid1(VALU_DEP_2)
	v_add_co_u32 v60, vcc_lo, s2, v60
	v_add_co_ci_u32_e32 v61, vcc_lo, s3, v61, vcc_lo
	global_store_b64 v[60:61], v[29:30], off
.LBB1471_428:
	s_or_b32 exec_lo, exec_lo, s1
	v_cmp_lt_u32_e32 vcc_lo, v51, v59
	s_or_b32 s2, s20, vcc_lo
	s_delay_alu instid0(SALU_CYCLE_1)
	s_and_saveexec_b32 s1, s2
	s_cbranch_execz .LBB1471_431
; %bb.429:
	v_and_b32_e32 v40, 1, v58
	s_delay_alu instid0(VALU_DEP_1)
	v_cmp_eq_u32_e32 vcc_lo, 1, v40
	s_and_b32 exec_lo, exec_lo, vcc_lo
	s_cbranch_execz .LBB1471_431
; %bb.430:
	v_mov_b32_e32 v52, 0
	s_lshl_b64 s[2:3], s[12:13], 3
	s_waitcnt lgkmcnt(0)
	s_add_u32 s2, s4, s2
	s_addc_u32 s3, s5, s3
	v_lshlrev_b64 v[60:61], 3, v[51:52]
	s_delay_alu instid0(VALU_DEP_1) | instskip(NEXT) | instid1(VALU_DEP_2)
	v_add_co_u32 v60, vcc_lo, s2, v60
	v_add_co_ci_u32_e32 v61, vcc_lo, s3, v61, vcc_lo
	global_store_b64 v[60:61], v[31:32], off
.LBB1471_431:
	s_or_b32 exec_lo, exec_lo, s1
	v_cmp_lt_u32_e32 vcc_lo, v49, v59
	s_or_b32 s2, s20, vcc_lo
	s_delay_alu instid0(SALU_CYCLE_1)
	;; [unrolled: 24-line block ×7, first 2 shown]
	s_and_saveexec_b32 s1, s2
	s_cbranch_execz .LBB1471_449
; %bb.447:
	v_and_b32_e32 v40, 1, v56
	s_delay_alu instid0(VALU_DEP_1)
	v_cmp_eq_u32_e32 vcc_lo, 1, v40
	s_and_b32 exec_lo, exec_lo, vcc_lo
	s_cbranch_execz .LBB1471_449
; %bb.448:
	v_mov_b32_e32 v40, 0
	s_lshl_b64 s[2:3], s[12:13], 3
	s_waitcnt lgkmcnt(0)
	s_add_u32 s2, s4, s2
	s_addc_u32 s3, s5, s3
	v_lshlrev_b64 v[60:61], 3, v[39:40]
	s_delay_alu instid0(VALU_DEP_1) | instskip(NEXT) | instid1(VALU_DEP_2)
	v_add_co_u32 v60, vcc_lo, s2, v60
	v_add_co_ci_u32_e32 v61, vcc_lo, s3, v61, vcc_lo
	global_store_b64 v[60:61], v[19:20], off
.LBB1471_449:
	s_or_b32 exec_lo, exec_lo, s1
	s_mov_b32 s2, 0
.LBB1471_450:
	v_and_b32_e32 v33, 1, v33
	s_and_b32 vcc_lo, exec_lo, s2
	s_delay_alu instid0(VALU_DEP_1)
	v_cmp_eq_u32_e64 s1, 1, v33
	s_cbranch_vccz .LBB1471_471
; %bb.451:
	s_delay_alu instid0(VALU_DEP_1)
	s_and_saveexec_b32 s2, s1
	s_cbranch_execz .LBB1471_453
; %bb.452:
	v_subrev_nc_u32_e32 v40, s8, v53
	s_delay_alu instid0(VALU_DEP_1)
	v_lshlrev_b32_e32 v40, 3, v40
	ds_store_b64 v40, v[29:30]
.LBB1471_453:
	s_or_b32 exec_lo, exec_lo, s2
	v_and_b32_e32 v29, 1, v58
	s_mov_b32 s1, exec_lo
	s_delay_alu instid0(VALU_DEP_1)
	v_cmpx_eq_u32_e32 1, v29
	s_cbranch_execz .LBB1471_455
; %bb.454:
	v_subrev_nc_u32_e32 v29, s8, v51
	s_delay_alu instid0(VALU_DEP_1)
	v_lshlrev_b32_e32 v29, 3, v29
	ds_store_b64 v29, v[31:32]
.LBB1471_455:
	s_or_b32 exec_lo, exec_lo, s1
	v_and_b32_e32 v29, 1, v57
	s_mov_b32 s1, exec_lo
	s_delay_alu instid0(VALU_DEP_1)
	v_cmpx_eq_u32_e32 1, v29
	;; [unrolled: 12-line block ×7, first 2 shown]
	s_cbranch_execz .LBB1471_467
; %bb.466:
	v_subrev_nc_u32_e32 v17, s8, v39
	s_delay_alu instid0(VALU_DEP_1)
	v_lshlrev_b32_e32 v17, 3, v17
	ds_store_b64 v17, v[19:20]
.LBB1471_467:
	s_or_b32 exec_lo, exec_lo, s1
	s_delay_alu instid0(SALU_CYCLE_1)
	s_mov_b32 s2, exec_lo
	s_waitcnt lgkmcnt(0)
	s_waitcnt_vscnt null, 0x0
	s_barrier
	buffer_gl0_inv
	v_cmpx_lt_u32_e64 v0, v35
	s_cbranch_execz .LBB1471_470
; %bb.468:
	s_mov_b32 s9, 0
	s_lshl_b64 s[10:11], s[12:13], 3
	s_lshl_b64 s[18:19], s[8:9], 3
	v_dual_mov_b32 v19, v55 :: v_dual_mov_b32 v20, v0
	s_add_u32 s1, s10, s18
	s_addc_u32 s3, s11, s19
	s_add_u32 s1, s4, s1
	s_addc_u32 s3, s5, s3
	v_add_co_u32 v17, s1, s1, v55
	s_delay_alu instid0(VALU_DEP_1)
	v_add_co_ci_u32_e64 v18, null, s3, 0, s1
	.p2align	6
.LBB1471_469:                           ; =>This Inner Loop Header: Depth=1
	ds_load_b64 v[21:22], v19
	v_add_nc_u32_e32 v20, 0x200, v20
	v_add_nc_u32_e32 v19, 0x1000, v19
	s_delay_alu instid0(VALU_DEP_2) | instskip(SKIP_4) | instid1(VALU_DEP_1)
	v_cmp_ge_u32_e32 vcc_lo, v20, v35
	s_or_b32 s9, vcc_lo, s9
	s_waitcnt lgkmcnt(0)
	global_store_b64 v[17:18], v[21:22], off
	v_add_co_u32 v17, s1, 0x1000, v17
	v_add_co_ci_u32_e64 v18, s1, 0, v18, s1
	s_and_not1_b32 exec_lo, exec_lo, s9
	s_cbranch_execnz .LBB1471_469
.LBB1471_470:
	s_or_b32 exec_lo, exec_lo, s2
.LBB1471_471:
	s_delay_alu instid0(SALU_CYCLE_1)
	s_and_b32 vcc_lo, exec_lo, s0
	s_mov_b32 s0, -1
	s_waitcnt lgkmcnt(0)
	s_waitcnt_vscnt null, 0x0
	s_barrier
	buffer_gl0_inv
	s_cbranch_vccz .LBB1471_499
; %bb.472:
	v_cmp_lt_u32_e32 vcc_lo, v53, v59
	s_or_b32 s1, s20, vcc_lo
	s_delay_alu instid0(SALU_CYCLE_1)
	s_and_saveexec_b32 s0, s1
	s_cbranch_execz .LBB1471_475
; %bb.473:
	v_cmp_eq_u32_e32 vcc_lo, 1, v33
	s_and_b32 exec_lo, exec_lo, vcc_lo
	s_cbranch_execz .LBB1471_475
; %bb.474:
	v_mov_b32_e32 v54, 0
	s_lshl_b64 s[2:3], s[12:13], 3
	s_delay_alu instid0(SALU_CYCLE_1) | instskip(SKIP_1) | instid1(VALU_DEP_1)
	s_add_u32 s1, s6, s2
	s_addc_u32 s2, s7, s3
	v_lshlrev_b64 v[17:18], 3, v[53:54]
	s_delay_alu instid0(VALU_DEP_1) | instskip(NEXT) | instid1(VALU_DEP_2)
	v_add_co_u32 v17, vcc_lo, s1, v17
	v_add_co_ci_u32_e32 v18, vcc_lo, s2, v18, vcc_lo
	global_store_b64 v[17:18], v[13:14], off
.LBB1471_475:
	s_or_b32 exec_lo, exec_lo, s0
	v_cmp_lt_u32_e32 vcc_lo, v51, v59
	s_or_b32 s1, s20, vcc_lo
	s_delay_alu instid0(SALU_CYCLE_1)
	s_and_saveexec_b32 s0, s1
	s_cbranch_execz .LBB1471_478
; %bb.476:
	v_and_b32_e32 v17, 1, v58
	s_delay_alu instid0(VALU_DEP_1)
	v_cmp_eq_u32_e32 vcc_lo, 1, v17
	s_and_b32 exec_lo, exec_lo, vcc_lo
	s_cbranch_execz .LBB1471_478
; %bb.477:
	v_mov_b32_e32 v52, 0
	s_lshl_b64 s[2:3], s[12:13], 3
	s_delay_alu instid0(SALU_CYCLE_1) | instskip(SKIP_1) | instid1(VALU_DEP_1)
	s_add_u32 s1, s6, s2
	s_addc_u32 s2, s7, s3
	v_lshlrev_b64 v[17:18], 3, v[51:52]
	s_delay_alu instid0(VALU_DEP_1) | instskip(NEXT) | instid1(VALU_DEP_2)
	v_add_co_u32 v17, vcc_lo, s1, v17
	v_add_co_ci_u32_e32 v18, vcc_lo, s2, v18, vcc_lo
	global_store_b64 v[17:18], v[15:16], off
.LBB1471_478:
	s_or_b32 exec_lo, exec_lo, s0
	v_cmp_lt_u32_e32 vcc_lo, v49, v59
	s_or_b32 s1, s20, vcc_lo
	s_delay_alu instid0(SALU_CYCLE_1)
	s_and_saveexec_b32 s0, s1
	s_cbranch_execz .LBB1471_481
; %bb.479:
	v_and_b32_e32 v17, 1, v57
	s_delay_alu instid0(VALU_DEP_1)
	v_cmp_eq_u32_e32 vcc_lo, 1, v17
	s_and_b32 exec_lo, exec_lo, vcc_lo
	s_cbranch_execz .LBB1471_481
; %bb.480:
	v_mov_b32_e32 v50, 0
	s_lshl_b64 s[2:3], s[12:13], 3
	s_delay_alu instid0(SALU_CYCLE_1) | instskip(SKIP_1) | instid1(VALU_DEP_1)
	s_add_u32 s1, s6, s2
	s_addc_u32 s2, s7, s3
	v_lshlrev_b64 v[17:18], 3, v[49:50]
	s_delay_alu instid0(VALU_DEP_1) | instskip(NEXT) | instid1(VALU_DEP_2)
	v_add_co_u32 v17, vcc_lo, s1, v17
	v_add_co_ci_u32_e32 v18, vcc_lo, s2, v18, vcc_lo
	global_store_b64 v[17:18], v[9:10], off
.LBB1471_481:
	;; [unrolled: 24-line block ×7, first 2 shown]
	s_or_b32 exec_lo, exec_lo, s0
.LBB1471_497:
	v_cmp_eq_u32_e32 vcc_lo, 0, v0
	s_and_b32 s0, vcc_lo, s14
	s_delay_alu instid0(SALU_CYCLE_1)
	s_and_saveexec_b32 s1, s0
	s_cbranch_execz .LBB1471_520
.LBB1471_498:
	v_add_co_u32 v0, s0, s12, v35
	s_delay_alu instid0(VALU_DEP_1) | instskip(SKIP_1) | instid1(VALU_DEP_3)
	v_add_co_ci_u32_e64 v1, null, s13, 0, s0
	v_mov_b32_e32 v2, 0
	v_add_co_u32 v0, vcc_lo, v0, s8
	s_delay_alu instid0(VALU_DEP_3)
	v_add_co_ci_u32_e32 v1, vcc_lo, 0, v1, vcc_lo
	global_store_b64 v2, v[0:1], s[16:17]
	s_nop 0
	s_sendmsg sendmsg(MSG_DEALLOC_VGPRS)
	s_endpgm
.LBB1471_499:
	s_and_b32 vcc_lo, exec_lo, s0
	s_cbranch_vccz .LBB1471_497
; %bb.500:
	s_mov_b32 s0, exec_lo
	v_cmpx_eq_u32_e32 1, v33
	s_cbranch_execz .LBB1471_502
; %bb.501:
	v_subrev_nc_u32_e32 v17, s8, v53
	s_delay_alu instid0(VALU_DEP_1)
	v_lshlrev_b32_e32 v17, 3, v17
	ds_store_b64 v17, v[13:14]
.LBB1471_502:
	s_or_b32 exec_lo, exec_lo, s0
	v_and_b32_e32 v13, 1, v58
	s_mov_b32 s0, exec_lo
	s_delay_alu instid0(VALU_DEP_1)
	v_cmpx_eq_u32_e32 1, v13
	s_cbranch_execz .LBB1471_504
; %bb.503:
	v_subrev_nc_u32_e32 v13, s8, v51
	s_delay_alu instid0(VALU_DEP_1)
	v_lshlrev_b32_e32 v13, 3, v13
	ds_store_b64 v13, v[15:16]
.LBB1471_504:
	s_or_b32 exec_lo, exec_lo, s0
	v_and_b32_e32 v13, 1, v57
	s_mov_b32 s0, exec_lo
	s_delay_alu instid0(VALU_DEP_1)
	;; [unrolled: 12-line block ×7, first 2 shown]
	v_cmpx_eq_u32_e32 1, v1
	s_cbranch_execz .LBB1471_516
; %bb.515:
	v_subrev_nc_u32_e32 v1, s8, v39
	s_delay_alu instid0(VALU_DEP_1)
	v_lshlrev_b32_e32 v1, 3, v1
	ds_store_b64 v1, v[3:4]
.LBB1471_516:
	s_or_b32 exec_lo, exec_lo, s0
	s_delay_alu instid0(SALU_CYCLE_1)
	s_mov_b32 s1, exec_lo
	s_waitcnt lgkmcnt(0)
	s_waitcnt_vscnt null, 0x0
	s_barrier
	buffer_gl0_inv
	v_cmpx_lt_u32_e64 v0, v35
	s_cbranch_execz .LBB1471_519
; %bb.517:
	s_mov_b32 s9, 0
	s_lshl_b64 s[2:3], s[12:13], 3
	s_lshl_b64 s[4:5], s[8:9], 3
	v_mov_b32_e32 v3, v0
	s_add_u32 s0, s2, s4
	s_addc_u32 s2, s3, s5
	s_add_u32 s0, s6, s0
	s_addc_u32 s2, s7, s2
	v_add_co_u32 v1, s0, s0, v55
	s_delay_alu instid0(VALU_DEP_1)
	v_add_co_ci_u32_e64 v2, null, s2, 0, s0
	.p2align	6
.LBB1471_518:                           ; =>This Inner Loop Header: Depth=1
	ds_load_b64 v[4:5], v55
	v_add_nc_u32_e32 v3, 0x200, v3
	v_add_nc_u32_e32 v55, 0x1000, v55
	s_delay_alu instid0(VALU_DEP_2) | instskip(SKIP_4) | instid1(VALU_DEP_1)
	v_cmp_ge_u32_e32 vcc_lo, v3, v35
	s_or_b32 s9, vcc_lo, s9
	s_waitcnt lgkmcnt(0)
	global_store_b64 v[1:2], v[4:5], off
	v_add_co_u32 v1, s0, 0x1000, v1
	v_add_co_ci_u32_e64 v2, s0, 0, v2, s0
	s_and_not1_b32 exec_lo, exec_lo, s9
	s_cbranch_execnz .LBB1471_518
.LBB1471_519:
	s_or_b32 exec_lo, exec_lo, s1
	v_cmp_eq_u32_e32 vcc_lo, 0, v0
	s_and_b32 s0, vcc_lo, s14
	s_delay_alu instid0(SALU_CYCLE_1)
	s_and_saveexec_b32 s1, s0
	s_cbranch_execnz .LBB1471_498
.LBB1471_520:
	s_nop 0
	s_sendmsg sendmsg(MSG_DEALLOC_VGPRS)
	s_endpgm
	.section	.rodata,"a",@progbits
	.p2align	6, 0x0
	.amdhsa_kernel _ZN7rocprim17ROCPRIM_400000_NS6detail17trampoline_kernelINS0_14default_configENS1_25partition_config_selectorILNS1_17partition_subalgoE9EllbEEZZNS1_14partition_implILS5_9ELb0ES3_jPlS8_PNS0_10empty_typeENS0_5tupleIJS8_S9_EEENSB_IJS8_SA_EEENS0_18inequality_wrapperIZN2at6native12_GLOBAL__N_124unique_dim_cuda_templateItEESt5tupleIJNSF_6TensorESK_SK_EERKSK_lbbbEUlllE0_EEPmJS9_EEE10hipError_tPvRmT3_T4_T5_T6_T7_T9_mT8_P12ihipStream_tbDpT10_ENKUlT_T0_E_clISt17integral_constantIbLb1EES19_IbLb0EEEEDaS15_S16_EUlS15_E_NS1_11comp_targetILNS1_3genE9ELNS1_11target_archE1100ELNS1_3gpuE3ELNS1_3repE0EEENS1_30default_config_static_selectorELNS0_4arch9wavefront6targetE0EEEvT1_
		.amdhsa_group_segment_fixed_size 33804
		.amdhsa_private_segment_fixed_size 0
		.amdhsa_kernarg_size 120
		.amdhsa_user_sgpr_count 15
		.amdhsa_user_sgpr_dispatch_ptr 0
		.amdhsa_user_sgpr_queue_ptr 0
		.amdhsa_user_sgpr_kernarg_segment_ptr 1
		.amdhsa_user_sgpr_dispatch_id 0
		.amdhsa_user_sgpr_private_segment_size 0
		.amdhsa_wavefront_size32 1
		.amdhsa_uses_dynamic_stack 0
		.amdhsa_enable_private_segment 0
		.amdhsa_system_sgpr_workgroup_id_x 1
		.amdhsa_system_sgpr_workgroup_id_y 0
		.amdhsa_system_sgpr_workgroup_id_z 0
		.amdhsa_system_sgpr_workgroup_info 0
		.amdhsa_system_vgpr_workitem_id 0
		.amdhsa_next_free_vgpr 68
		.amdhsa_next_free_sgpr 36
		.amdhsa_reserve_vcc 1
		.amdhsa_float_round_mode_32 0
		.amdhsa_float_round_mode_16_64 0
		.amdhsa_float_denorm_mode_32 3
		.amdhsa_float_denorm_mode_16_64 3
		.amdhsa_dx10_clamp 1
		.amdhsa_ieee_mode 1
		.amdhsa_fp16_overflow 0
		.amdhsa_workgroup_processor_mode 1
		.amdhsa_memory_ordered 1
		.amdhsa_forward_progress 0
		.amdhsa_shared_vgpr_count 0
		.amdhsa_exception_fp_ieee_invalid_op 0
		.amdhsa_exception_fp_denorm_src 0
		.amdhsa_exception_fp_ieee_div_zero 0
		.amdhsa_exception_fp_ieee_overflow 0
		.amdhsa_exception_fp_ieee_underflow 0
		.amdhsa_exception_fp_ieee_inexact 0
		.amdhsa_exception_int_div_zero 0
	.end_amdhsa_kernel
	.section	.text._ZN7rocprim17ROCPRIM_400000_NS6detail17trampoline_kernelINS0_14default_configENS1_25partition_config_selectorILNS1_17partition_subalgoE9EllbEEZZNS1_14partition_implILS5_9ELb0ES3_jPlS8_PNS0_10empty_typeENS0_5tupleIJS8_S9_EEENSB_IJS8_SA_EEENS0_18inequality_wrapperIZN2at6native12_GLOBAL__N_124unique_dim_cuda_templateItEESt5tupleIJNSF_6TensorESK_SK_EERKSK_lbbbEUlllE0_EEPmJS9_EEE10hipError_tPvRmT3_T4_T5_T6_T7_T9_mT8_P12ihipStream_tbDpT10_ENKUlT_T0_E_clISt17integral_constantIbLb1EES19_IbLb0EEEEDaS15_S16_EUlS15_E_NS1_11comp_targetILNS1_3genE9ELNS1_11target_archE1100ELNS1_3gpuE3ELNS1_3repE0EEENS1_30default_config_static_selectorELNS0_4arch9wavefront6targetE0EEEvT1_,"axG",@progbits,_ZN7rocprim17ROCPRIM_400000_NS6detail17trampoline_kernelINS0_14default_configENS1_25partition_config_selectorILNS1_17partition_subalgoE9EllbEEZZNS1_14partition_implILS5_9ELb0ES3_jPlS8_PNS0_10empty_typeENS0_5tupleIJS8_S9_EEENSB_IJS8_SA_EEENS0_18inequality_wrapperIZN2at6native12_GLOBAL__N_124unique_dim_cuda_templateItEESt5tupleIJNSF_6TensorESK_SK_EERKSK_lbbbEUlllE0_EEPmJS9_EEE10hipError_tPvRmT3_T4_T5_T6_T7_T9_mT8_P12ihipStream_tbDpT10_ENKUlT_T0_E_clISt17integral_constantIbLb1EES19_IbLb0EEEEDaS15_S16_EUlS15_E_NS1_11comp_targetILNS1_3genE9ELNS1_11target_archE1100ELNS1_3gpuE3ELNS1_3repE0EEENS1_30default_config_static_selectorELNS0_4arch9wavefront6targetE0EEEvT1_,comdat
.Lfunc_end1471:
	.size	_ZN7rocprim17ROCPRIM_400000_NS6detail17trampoline_kernelINS0_14default_configENS1_25partition_config_selectorILNS1_17partition_subalgoE9EllbEEZZNS1_14partition_implILS5_9ELb0ES3_jPlS8_PNS0_10empty_typeENS0_5tupleIJS8_S9_EEENSB_IJS8_SA_EEENS0_18inequality_wrapperIZN2at6native12_GLOBAL__N_124unique_dim_cuda_templateItEESt5tupleIJNSF_6TensorESK_SK_EERKSK_lbbbEUlllE0_EEPmJS9_EEE10hipError_tPvRmT3_T4_T5_T6_T7_T9_mT8_P12ihipStream_tbDpT10_ENKUlT_T0_E_clISt17integral_constantIbLb1EES19_IbLb0EEEEDaS15_S16_EUlS15_E_NS1_11comp_targetILNS1_3genE9ELNS1_11target_archE1100ELNS1_3gpuE3ELNS1_3repE0EEENS1_30default_config_static_selectorELNS0_4arch9wavefront6targetE0EEEvT1_, .Lfunc_end1471-_ZN7rocprim17ROCPRIM_400000_NS6detail17trampoline_kernelINS0_14default_configENS1_25partition_config_selectorILNS1_17partition_subalgoE9EllbEEZZNS1_14partition_implILS5_9ELb0ES3_jPlS8_PNS0_10empty_typeENS0_5tupleIJS8_S9_EEENSB_IJS8_SA_EEENS0_18inequality_wrapperIZN2at6native12_GLOBAL__N_124unique_dim_cuda_templateItEESt5tupleIJNSF_6TensorESK_SK_EERKSK_lbbbEUlllE0_EEPmJS9_EEE10hipError_tPvRmT3_T4_T5_T6_T7_T9_mT8_P12ihipStream_tbDpT10_ENKUlT_T0_E_clISt17integral_constantIbLb1EES19_IbLb0EEEEDaS15_S16_EUlS15_E_NS1_11comp_targetILNS1_3genE9ELNS1_11target_archE1100ELNS1_3gpuE3ELNS1_3repE0EEENS1_30default_config_static_selectorELNS0_4arch9wavefront6targetE0EEEvT1_
                                        ; -- End function
	.section	.AMDGPU.csdata,"",@progbits
; Kernel info:
; codeLenInByte = 20588
; NumSgprs: 38
; NumVgprs: 68
; ScratchSize: 0
; MemoryBound: 0
; FloatMode: 240
; IeeeMode: 1
; LDSByteSize: 33804 bytes/workgroup (compile time only)
; SGPRBlocks: 4
; VGPRBlocks: 8
; NumSGPRsForWavesPerEU: 38
; NumVGPRsForWavesPerEU: 68
; Occupancy: 12
; WaveLimiterHint : 1
; COMPUTE_PGM_RSRC2:SCRATCH_EN: 0
; COMPUTE_PGM_RSRC2:USER_SGPR: 15
; COMPUTE_PGM_RSRC2:TRAP_HANDLER: 0
; COMPUTE_PGM_RSRC2:TGID_X_EN: 1
; COMPUTE_PGM_RSRC2:TGID_Y_EN: 0
; COMPUTE_PGM_RSRC2:TGID_Z_EN: 0
; COMPUTE_PGM_RSRC2:TIDIG_COMP_CNT: 0
	.section	.text._ZN7rocprim17ROCPRIM_400000_NS6detail17trampoline_kernelINS0_14default_configENS1_25partition_config_selectorILNS1_17partition_subalgoE9EllbEEZZNS1_14partition_implILS5_9ELb0ES3_jPlS8_PNS0_10empty_typeENS0_5tupleIJS8_S9_EEENSB_IJS8_SA_EEENS0_18inequality_wrapperIZN2at6native12_GLOBAL__N_124unique_dim_cuda_templateItEESt5tupleIJNSF_6TensorESK_SK_EERKSK_lbbbEUlllE0_EEPmJS9_EEE10hipError_tPvRmT3_T4_T5_T6_T7_T9_mT8_P12ihipStream_tbDpT10_ENKUlT_T0_E_clISt17integral_constantIbLb1EES19_IbLb0EEEEDaS15_S16_EUlS15_E_NS1_11comp_targetILNS1_3genE8ELNS1_11target_archE1030ELNS1_3gpuE2ELNS1_3repE0EEENS1_30default_config_static_selectorELNS0_4arch9wavefront6targetE0EEEvT1_,"axG",@progbits,_ZN7rocprim17ROCPRIM_400000_NS6detail17trampoline_kernelINS0_14default_configENS1_25partition_config_selectorILNS1_17partition_subalgoE9EllbEEZZNS1_14partition_implILS5_9ELb0ES3_jPlS8_PNS0_10empty_typeENS0_5tupleIJS8_S9_EEENSB_IJS8_SA_EEENS0_18inequality_wrapperIZN2at6native12_GLOBAL__N_124unique_dim_cuda_templateItEESt5tupleIJNSF_6TensorESK_SK_EERKSK_lbbbEUlllE0_EEPmJS9_EEE10hipError_tPvRmT3_T4_T5_T6_T7_T9_mT8_P12ihipStream_tbDpT10_ENKUlT_T0_E_clISt17integral_constantIbLb1EES19_IbLb0EEEEDaS15_S16_EUlS15_E_NS1_11comp_targetILNS1_3genE8ELNS1_11target_archE1030ELNS1_3gpuE2ELNS1_3repE0EEENS1_30default_config_static_selectorELNS0_4arch9wavefront6targetE0EEEvT1_,comdat
	.globl	_ZN7rocprim17ROCPRIM_400000_NS6detail17trampoline_kernelINS0_14default_configENS1_25partition_config_selectorILNS1_17partition_subalgoE9EllbEEZZNS1_14partition_implILS5_9ELb0ES3_jPlS8_PNS0_10empty_typeENS0_5tupleIJS8_S9_EEENSB_IJS8_SA_EEENS0_18inequality_wrapperIZN2at6native12_GLOBAL__N_124unique_dim_cuda_templateItEESt5tupleIJNSF_6TensorESK_SK_EERKSK_lbbbEUlllE0_EEPmJS9_EEE10hipError_tPvRmT3_T4_T5_T6_T7_T9_mT8_P12ihipStream_tbDpT10_ENKUlT_T0_E_clISt17integral_constantIbLb1EES19_IbLb0EEEEDaS15_S16_EUlS15_E_NS1_11comp_targetILNS1_3genE8ELNS1_11target_archE1030ELNS1_3gpuE2ELNS1_3repE0EEENS1_30default_config_static_selectorELNS0_4arch9wavefront6targetE0EEEvT1_ ; -- Begin function _ZN7rocprim17ROCPRIM_400000_NS6detail17trampoline_kernelINS0_14default_configENS1_25partition_config_selectorILNS1_17partition_subalgoE9EllbEEZZNS1_14partition_implILS5_9ELb0ES3_jPlS8_PNS0_10empty_typeENS0_5tupleIJS8_S9_EEENSB_IJS8_SA_EEENS0_18inequality_wrapperIZN2at6native12_GLOBAL__N_124unique_dim_cuda_templateItEESt5tupleIJNSF_6TensorESK_SK_EERKSK_lbbbEUlllE0_EEPmJS9_EEE10hipError_tPvRmT3_T4_T5_T6_T7_T9_mT8_P12ihipStream_tbDpT10_ENKUlT_T0_E_clISt17integral_constantIbLb1EES19_IbLb0EEEEDaS15_S16_EUlS15_E_NS1_11comp_targetILNS1_3genE8ELNS1_11target_archE1030ELNS1_3gpuE2ELNS1_3repE0EEENS1_30default_config_static_selectorELNS0_4arch9wavefront6targetE0EEEvT1_
	.p2align	8
	.type	_ZN7rocprim17ROCPRIM_400000_NS6detail17trampoline_kernelINS0_14default_configENS1_25partition_config_selectorILNS1_17partition_subalgoE9EllbEEZZNS1_14partition_implILS5_9ELb0ES3_jPlS8_PNS0_10empty_typeENS0_5tupleIJS8_S9_EEENSB_IJS8_SA_EEENS0_18inequality_wrapperIZN2at6native12_GLOBAL__N_124unique_dim_cuda_templateItEESt5tupleIJNSF_6TensorESK_SK_EERKSK_lbbbEUlllE0_EEPmJS9_EEE10hipError_tPvRmT3_T4_T5_T6_T7_T9_mT8_P12ihipStream_tbDpT10_ENKUlT_T0_E_clISt17integral_constantIbLb1EES19_IbLb0EEEEDaS15_S16_EUlS15_E_NS1_11comp_targetILNS1_3genE8ELNS1_11target_archE1030ELNS1_3gpuE2ELNS1_3repE0EEENS1_30default_config_static_selectorELNS0_4arch9wavefront6targetE0EEEvT1_,@function
_ZN7rocprim17ROCPRIM_400000_NS6detail17trampoline_kernelINS0_14default_configENS1_25partition_config_selectorILNS1_17partition_subalgoE9EllbEEZZNS1_14partition_implILS5_9ELb0ES3_jPlS8_PNS0_10empty_typeENS0_5tupleIJS8_S9_EEENSB_IJS8_SA_EEENS0_18inequality_wrapperIZN2at6native12_GLOBAL__N_124unique_dim_cuda_templateItEESt5tupleIJNSF_6TensorESK_SK_EERKSK_lbbbEUlllE0_EEPmJS9_EEE10hipError_tPvRmT3_T4_T5_T6_T7_T9_mT8_P12ihipStream_tbDpT10_ENKUlT_T0_E_clISt17integral_constantIbLb1EES19_IbLb0EEEEDaS15_S16_EUlS15_E_NS1_11comp_targetILNS1_3genE8ELNS1_11target_archE1030ELNS1_3gpuE2ELNS1_3repE0EEENS1_30default_config_static_selectorELNS0_4arch9wavefront6targetE0EEEvT1_: ; @_ZN7rocprim17ROCPRIM_400000_NS6detail17trampoline_kernelINS0_14default_configENS1_25partition_config_selectorILNS1_17partition_subalgoE9EllbEEZZNS1_14partition_implILS5_9ELb0ES3_jPlS8_PNS0_10empty_typeENS0_5tupleIJS8_S9_EEENSB_IJS8_SA_EEENS0_18inequality_wrapperIZN2at6native12_GLOBAL__N_124unique_dim_cuda_templateItEESt5tupleIJNSF_6TensorESK_SK_EERKSK_lbbbEUlllE0_EEPmJS9_EEE10hipError_tPvRmT3_T4_T5_T6_T7_T9_mT8_P12ihipStream_tbDpT10_ENKUlT_T0_E_clISt17integral_constantIbLb1EES19_IbLb0EEEEDaS15_S16_EUlS15_E_NS1_11comp_targetILNS1_3genE8ELNS1_11target_archE1030ELNS1_3gpuE2ELNS1_3repE0EEENS1_30default_config_static_selectorELNS0_4arch9wavefront6targetE0EEEvT1_
; %bb.0:
	.section	.rodata,"a",@progbits
	.p2align	6, 0x0
	.amdhsa_kernel _ZN7rocprim17ROCPRIM_400000_NS6detail17trampoline_kernelINS0_14default_configENS1_25partition_config_selectorILNS1_17partition_subalgoE9EllbEEZZNS1_14partition_implILS5_9ELb0ES3_jPlS8_PNS0_10empty_typeENS0_5tupleIJS8_S9_EEENSB_IJS8_SA_EEENS0_18inequality_wrapperIZN2at6native12_GLOBAL__N_124unique_dim_cuda_templateItEESt5tupleIJNSF_6TensorESK_SK_EERKSK_lbbbEUlllE0_EEPmJS9_EEE10hipError_tPvRmT3_T4_T5_T6_T7_T9_mT8_P12ihipStream_tbDpT10_ENKUlT_T0_E_clISt17integral_constantIbLb1EES19_IbLb0EEEEDaS15_S16_EUlS15_E_NS1_11comp_targetILNS1_3genE8ELNS1_11target_archE1030ELNS1_3gpuE2ELNS1_3repE0EEENS1_30default_config_static_selectorELNS0_4arch9wavefront6targetE0EEEvT1_
		.amdhsa_group_segment_fixed_size 0
		.amdhsa_private_segment_fixed_size 0
		.amdhsa_kernarg_size 120
		.amdhsa_user_sgpr_count 15
		.amdhsa_user_sgpr_dispatch_ptr 0
		.amdhsa_user_sgpr_queue_ptr 0
		.amdhsa_user_sgpr_kernarg_segment_ptr 1
		.amdhsa_user_sgpr_dispatch_id 0
		.amdhsa_user_sgpr_private_segment_size 0
		.amdhsa_wavefront_size32 1
		.amdhsa_uses_dynamic_stack 0
		.amdhsa_enable_private_segment 0
		.amdhsa_system_sgpr_workgroup_id_x 1
		.amdhsa_system_sgpr_workgroup_id_y 0
		.amdhsa_system_sgpr_workgroup_id_z 0
		.amdhsa_system_sgpr_workgroup_info 0
		.amdhsa_system_vgpr_workitem_id 0
		.amdhsa_next_free_vgpr 1
		.amdhsa_next_free_sgpr 1
		.amdhsa_reserve_vcc 0
		.amdhsa_float_round_mode_32 0
		.amdhsa_float_round_mode_16_64 0
		.amdhsa_float_denorm_mode_32 3
		.amdhsa_float_denorm_mode_16_64 3
		.amdhsa_dx10_clamp 1
		.amdhsa_ieee_mode 1
		.amdhsa_fp16_overflow 0
		.amdhsa_workgroup_processor_mode 1
		.amdhsa_memory_ordered 1
		.amdhsa_forward_progress 0
		.amdhsa_shared_vgpr_count 0
		.amdhsa_exception_fp_ieee_invalid_op 0
		.amdhsa_exception_fp_denorm_src 0
		.amdhsa_exception_fp_ieee_div_zero 0
		.amdhsa_exception_fp_ieee_overflow 0
		.amdhsa_exception_fp_ieee_underflow 0
		.amdhsa_exception_fp_ieee_inexact 0
		.amdhsa_exception_int_div_zero 0
	.end_amdhsa_kernel
	.section	.text._ZN7rocprim17ROCPRIM_400000_NS6detail17trampoline_kernelINS0_14default_configENS1_25partition_config_selectorILNS1_17partition_subalgoE9EllbEEZZNS1_14partition_implILS5_9ELb0ES3_jPlS8_PNS0_10empty_typeENS0_5tupleIJS8_S9_EEENSB_IJS8_SA_EEENS0_18inequality_wrapperIZN2at6native12_GLOBAL__N_124unique_dim_cuda_templateItEESt5tupleIJNSF_6TensorESK_SK_EERKSK_lbbbEUlllE0_EEPmJS9_EEE10hipError_tPvRmT3_T4_T5_T6_T7_T9_mT8_P12ihipStream_tbDpT10_ENKUlT_T0_E_clISt17integral_constantIbLb1EES19_IbLb0EEEEDaS15_S16_EUlS15_E_NS1_11comp_targetILNS1_3genE8ELNS1_11target_archE1030ELNS1_3gpuE2ELNS1_3repE0EEENS1_30default_config_static_selectorELNS0_4arch9wavefront6targetE0EEEvT1_,"axG",@progbits,_ZN7rocprim17ROCPRIM_400000_NS6detail17trampoline_kernelINS0_14default_configENS1_25partition_config_selectorILNS1_17partition_subalgoE9EllbEEZZNS1_14partition_implILS5_9ELb0ES3_jPlS8_PNS0_10empty_typeENS0_5tupleIJS8_S9_EEENSB_IJS8_SA_EEENS0_18inequality_wrapperIZN2at6native12_GLOBAL__N_124unique_dim_cuda_templateItEESt5tupleIJNSF_6TensorESK_SK_EERKSK_lbbbEUlllE0_EEPmJS9_EEE10hipError_tPvRmT3_T4_T5_T6_T7_T9_mT8_P12ihipStream_tbDpT10_ENKUlT_T0_E_clISt17integral_constantIbLb1EES19_IbLb0EEEEDaS15_S16_EUlS15_E_NS1_11comp_targetILNS1_3genE8ELNS1_11target_archE1030ELNS1_3gpuE2ELNS1_3repE0EEENS1_30default_config_static_selectorELNS0_4arch9wavefront6targetE0EEEvT1_,comdat
.Lfunc_end1472:
	.size	_ZN7rocprim17ROCPRIM_400000_NS6detail17trampoline_kernelINS0_14default_configENS1_25partition_config_selectorILNS1_17partition_subalgoE9EllbEEZZNS1_14partition_implILS5_9ELb0ES3_jPlS8_PNS0_10empty_typeENS0_5tupleIJS8_S9_EEENSB_IJS8_SA_EEENS0_18inequality_wrapperIZN2at6native12_GLOBAL__N_124unique_dim_cuda_templateItEESt5tupleIJNSF_6TensorESK_SK_EERKSK_lbbbEUlllE0_EEPmJS9_EEE10hipError_tPvRmT3_T4_T5_T6_T7_T9_mT8_P12ihipStream_tbDpT10_ENKUlT_T0_E_clISt17integral_constantIbLb1EES19_IbLb0EEEEDaS15_S16_EUlS15_E_NS1_11comp_targetILNS1_3genE8ELNS1_11target_archE1030ELNS1_3gpuE2ELNS1_3repE0EEENS1_30default_config_static_selectorELNS0_4arch9wavefront6targetE0EEEvT1_, .Lfunc_end1472-_ZN7rocprim17ROCPRIM_400000_NS6detail17trampoline_kernelINS0_14default_configENS1_25partition_config_selectorILNS1_17partition_subalgoE9EllbEEZZNS1_14partition_implILS5_9ELb0ES3_jPlS8_PNS0_10empty_typeENS0_5tupleIJS8_S9_EEENSB_IJS8_SA_EEENS0_18inequality_wrapperIZN2at6native12_GLOBAL__N_124unique_dim_cuda_templateItEESt5tupleIJNSF_6TensorESK_SK_EERKSK_lbbbEUlllE0_EEPmJS9_EEE10hipError_tPvRmT3_T4_T5_T6_T7_T9_mT8_P12ihipStream_tbDpT10_ENKUlT_T0_E_clISt17integral_constantIbLb1EES19_IbLb0EEEEDaS15_S16_EUlS15_E_NS1_11comp_targetILNS1_3genE8ELNS1_11target_archE1030ELNS1_3gpuE2ELNS1_3repE0EEENS1_30default_config_static_selectorELNS0_4arch9wavefront6targetE0EEEvT1_
                                        ; -- End function
	.section	.AMDGPU.csdata,"",@progbits
; Kernel info:
; codeLenInByte = 0
; NumSgprs: 0
; NumVgprs: 0
; ScratchSize: 0
; MemoryBound: 0
; FloatMode: 240
; IeeeMode: 1
; LDSByteSize: 0 bytes/workgroup (compile time only)
; SGPRBlocks: 0
; VGPRBlocks: 0
; NumSGPRsForWavesPerEU: 1
; NumVGPRsForWavesPerEU: 1
; Occupancy: 16
; WaveLimiterHint : 0
; COMPUTE_PGM_RSRC2:SCRATCH_EN: 0
; COMPUTE_PGM_RSRC2:USER_SGPR: 15
; COMPUTE_PGM_RSRC2:TRAP_HANDLER: 0
; COMPUTE_PGM_RSRC2:TGID_X_EN: 1
; COMPUTE_PGM_RSRC2:TGID_Y_EN: 0
; COMPUTE_PGM_RSRC2:TGID_Z_EN: 0
; COMPUTE_PGM_RSRC2:TIDIG_COMP_CNT: 0
	.section	.text._ZN7rocprim17ROCPRIM_400000_NS6detail17trampoline_kernelINS0_14default_configENS1_25partition_config_selectorILNS1_17partition_subalgoE9EllbEEZZNS1_14partition_implILS5_9ELb0ES3_jPlS8_PNS0_10empty_typeENS0_5tupleIJS8_S9_EEENSB_IJS8_SA_EEENS0_18inequality_wrapperIZN2at6native12_GLOBAL__N_124unique_dim_cuda_templateItEESt5tupleIJNSF_6TensorESK_SK_EERKSK_lbbbEUlllE0_EEPmJS9_EEE10hipError_tPvRmT3_T4_T5_T6_T7_T9_mT8_P12ihipStream_tbDpT10_ENKUlT_T0_E_clISt17integral_constantIbLb0EES19_IbLb1EEEEDaS15_S16_EUlS15_E_NS1_11comp_targetILNS1_3genE0ELNS1_11target_archE4294967295ELNS1_3gpuE0ELNS1_3repE0EEENS1_30default_config_static_selectorELNS0_4arch9wavefront6targetE0EEEvT1_,"axG",@progbits,_ZN7rocprim17ROCPRIM_400000_NS6detail17trampoline_kernelINS0_14default_configENS1_25partition_config_selectorILNS1_17partition_subalgoE9EllbEEZZNS1_14partition_implILS5_9ELb0ES3_jPlS8_PNS0_10empty_typeENS0_5tupleIJS8_S9_EEENSB_IJS8_SA_EEENS0_18inequality_wrapperIZN2at6native12_GLOBAL__N_124unique_dim_cuda_templateItEESt5tupleIJNSF_6TensorESK_SK_EERKSK_lbbbEUlllE0_EEPmJS9_EEE10hipError_tPvRmT3_T4_T5_T6_T7_T9_mT8_P12ihipStream_tbDpT10_ENKUlT_T0_E_clISt17integral_constantIbLb0EES19_IbLb1EEEEDaS15_S16_EUlS15_E_NS1_11comp_targetILNS1_3genE0ELNS1_11target_archE4294967295ELNS1_3gpuE0ELNS1_3repE0EEENS1_30default_config_static_selectorELNS0_4arch9wavefront6targetE0EEEvT1_,comdat
	.globl	_ZN7rocprim17ROCPRIM_400000_NS6detail17trampoline_kernelINS0_14default_configENS1_25partition_config_selectorILNS1_17partition_subalgoE9EllbEEZZNS1_14partition_implILS5_9ELb0ES3_jPlS8_PNS0_10empty_typeENS0_5tupleIJS8_S9_EEENSB_IJS8_SA_EEENS0_18inequality_wrapperIZN2at6native12_GLOBAL__N_124unique_dim_cuda_templateItEESt5tupleIJNSF_6TensorESK_SK_EERKSK_lbbbEUlllE0_EEPmJS9_EEE10hipError_tPvRmT3_T4_T5_T6_T7_T9_mT8_P12ihipStream_tbDpT10_ENKUlT_T0_E_clISt17integral_constantIbLb0EES19_IbLb1EEEEDaS15_S16_EUlS15_E_NS1_11comp_targetILNS1_3genE0ELNS1_11target_archE4294967295ELNS1_3gpuE0ELNS1_3repE0EEENS1_30default_config_static_selectorELNS0_4arch9wavefront6targetE0EEEvT1_ ; -- Begin function _ZN7rocprim17ROCPRIM_400000_NS6detail17trampoline_kernelINS0_14default_configENS1_25partition_config_selectorILNS1_17partition_subalgoE9EllbEEZZNS1_14partition_implILS5_9ELb0ES3_jPlS8_PNS0_10empty_typeENS0_5tupleIJS8_S9_EEENSB_IJS8_SA_EEENS0_18inequality_wrapperIZN2at6native12_GLOBAL__N_124unique_dim_cuda_templateItEESt5tupleIJNSF_6TensorESK_SK_EERKSK_lbbbEUlllE0_EEPmJS9_EEE10hipError_tPvRmT3_T4_T5_T6_T7_T9_mT8_P12ihipStream_tbDpT10_ENKUlT_T0_E_clISt17integral_constantIbLb0EES19_IbLb1EEEEDaS15_S16_EUlS15_E_NS1_11comp_targetILNS1_3genE0ELNS1_11target_archE4294967295ELNS1_3gpuE0ELNS1_3repE0EEENS1_30default_config_static_selectorELNS0_4arch9wavefront6targetE0EEEvT1_
	.p2align	8
	.type	_ZN7rocprim17ROCPRIM_400000_NS6detail17trampoline_kernelINS0_14default_configENS1_25partition_config_selectorILNS1_17partition_subalgoE9EllbEEZZNS1_14partition_implILS5_9ELb0ES3_jPlS8_PNS0_10empty_typeENS0_5tupleIJS8_S9_EEENSB_IJS8_SA_EEENS0_18inequality_wrapperIZN2at6native12_GLOBAL__N_124unique_dim_cuda_templateItEESt5tupleIJNSF_6TensorESK_SK_EERKSK_lbbbEUlllE0_EEPmJS9_EEE10hipError_tPvRmT3_T4_T5_T6_T7_T9_mT8_P12ihipStream_tbDpT10_ENKUlT_T0_E_clISt17integral_constantIbLb0EES19_IbLb1EEEEDaS15_S16_EUlS15_E_NS1_11comp_targetILNS1_3genE0ELNS1_11target_archE4294967295ELNS1_3gpuE0ELNS1_3repE0EEENS1_30default_config_static_selectorELNS0_4arch9wavefront6targetE0EEEvT1_,@function
_ZN7rocprim17ROCPRIM_400000_NS6detail17trampoline_kernelINS0_14default_configENS1_25partition_config_selectorILNS1_17partition_subalgoE9EllbEEZZNS1_14partition_implILS5_9ELb0ES3_jPlS8_PNS0_10empty_typeENS0_5tupleIJS8_S9_EEENSB_IJS8_SA_EEENS0_18inequality_wrapperIZN2at6native12_GLOBAL__N_124unique_dim_cuda_templateItEESt5tupleIJNSF_6TensorESK_SK_EERKSK_lbbbEUlllE0_EEPmJS9_EEE10hipError_tPvRmT3_T4_T5_T6_T7_T9_mT8_P12ihipStream_tbDpT10_ENKUlT_T0_E_clISt17integral_constantIbLb0EES19_IbLb1EEEEDaS15_S16_EUlS15_E_NS1_11comp_targetILNS1_3genE0ELNS1_11target_archE4294967295ELNS1_3gpuE0ELNS1_3repE0EEENS1_30default_config_static_selectorELNS0_4arch9wavefront6targetE0EEEvT1_: ; @_ZN7rocprim17ROCPRIM_400000_NS6detail17trampoline_kernelINS0_14default_configENS1_25partition_config_selectorILNS1_17partition_subalgoE9EllbEEZZNS1_14partition_implILS5_9ELb0ES3_jPlS8_PNS0_10empty_typeENS0_5tupleIJS8_S9_EEENSB_IJS8_SA_EEENS0_18inequality_wrapperIZN2at6native12_GLOBAL__N_124unique_dim_cuda_templateItEESt5tupleIJNSF_6TensorESK_SK_EERKSK_lbbbEUlllE0_EEPmJS9_EEE10hipError_tPvRmT3_T4_T5_T6_T7_T9_mT8_P12ihipStream_tbDpT10_ENKUlT_T0_E_clISt17integral_constantIbLb0EES19_IbLb1EEEEDaS15_S16_EUlS15_E_NS1_11comp_targetILNS1_3genE0ELNS1_11target_archE4294967295ELNS1_3gpuE0ELNS1_3repE0EEENS1_30default_config_static_selectorELNS0_4arch9wavefront6targetE0EEEvT1_
; %bb.0:
	.section	.rodata,"a",@progbits
	.p2align	6, 0x0
	.amdhsa_kernel _ZN7rocprim17ROCPRIM_400000_NS6detail17trampoline_kernelINS0_14default_configENS1_25partition_config_selectorILNS1_17partition_subalgoE9EllbEEZZNS1_14partition_implILS5_9ELb0ES3_jPlS8_PNS0_10empty_typeENS0_5tupleIJS8_S9_EEENSB_IJS8_SA_EEENS0_18inequality_wrapperIZN2at6native12_GLOBAL__N_124unique_dim_cuda_templateItEESt5tupleIJNSF_6TensorESK_SK_EERKSK_lbbbEUlllE0_EEPmJS9_EEE10hipError_tPvRmT3_T4_T5_T6_T7_T9_mT8_P12ihipStream_tbDpT10_ENKUlT_T0_E_clISt17integral_constantIbLb0EES19_IbLb1EEEEDaS15_S16_EUlS15_E_NS1_11comp_targetILNS1_3genE0ELNS1_11target_archE4294967295ELNS1_3gpuE0ELNS1_3repE0EEENS1_30default_config_static_selectorELNS0_4arch9wavefront6targetE0EEEvT1_
		.amdhsa_group_segment_fixed_size 0
		.amdhsa_private_segment_fixed_size 0
		.amdhsa_kernarg_size 136
		.amdhsa_user_sgpr_count 15
		.amdhsa_user_sgpr_dispatch_ptr 0
		.amdhsa_user_sgpr_queue_ptr 0
		.amdhsa_user_sgpr_kernarg_segment_ptr 1
		.amdhsa_user_sgpr_dispatch_id 0
		.amdhsa_user_sgpr_private_segment_size 0
		.amdhsa_wavefront_size32 1
		.amdhsa_uses_dynamic_stack 0
		.amdhsa_enable_private_segment 0
		.amdhsa_system_sgpr_workgroup_id_x 1
		.amdhsa_system_sgpr_workgroup_id_y 0
		.amdhsa_system_sgpr_workgroup_id_z 0
		.amdhsa_system_sgpr_workgroup_info 0
		.amdhsa_system_vgpr_workitem_id 0
		.amdhsa_next_free_vgpr 1
		.amdhsa_next_free_sgpr 1
		.amdhsa_reserve_vcc 0
		.amdhsa_float_round_mode_32 0
		.amdhsa_float_round_mode_16_64 0
		.amdhsa_float_denorm_mode_32 3
		.amdhsa_float_denorm_mode_16_64 3
		.amdhsa_dx10_clamp 1
		.amdhsa_ieee_mode 1
		.amdhsa_fp16_overflow 0
		.amdhsa_workgroup_processor_mode 1
		.amdhsa_memory_ordered 1
		.amdhsa_forward_progress 0
		.amdhsa_shared_vgpr_count 0
		.amdhsa_exception_fp_ieee_invalid_op 0
		.amdhsa_exception_fp_denorm_src 0
		.amdhsa_exception_fp_ieee_div_zero 0
		.amdhsa_exception_fp_ieee_overflow 0
		.amdhsa_exception_fp_ieee_underflow 0
		.amdhsa_exception_fp_ieee_inexact 0
		.amdhsa_exception_int_div_zero 0
	.end_amdhsa_kernel
	.section	.text._ZN7rocprim17ROCPRIM_400000_NS6detail17trampoline_kernelINS0_14default_configENS1_25partition_config_selectorILNS1_17partition_subalgoE9EllbEEZZNS1_14partition_implILS5_9ELb0ES3_jPlS8_PNS0_10empty_typeENS0_5tupleIJS8_S9_EEENSB_IJS8_SA_EEENS0_18inequality_wrapperIZN2at6native12_GLOBAL__N_124unique_dim_cuda_templateItEESt5tupleIJNSF_6TensorESK_SK_EERKSK_lbbbEUlllE0_EEPmJS9_EEE10hipError_tPvRmT3_T4_T5_T6_T7_T9_mT8_P12ihipStream_tbDpT10_ENKUlT_T0_E_clISt17integral_constantIbLb0EES19_IbLb1EEEEDaS15_S16_EUlS15_E_NS1_11comp_targetILNS1_3genE0ELNS1_11target_archE4294967295ELNS1_3gpuE0ELNS1_3repE0EEENS1_30default_config_static_selectorELNS0_4arch9wavefront6targetE0EEEvT1_,"axG",@progbits,_ZN7rocprim17ROCPRIM_400000_NS6detail17trampoline_kernelINS0_14default_configENS1_25partition_config_selectorILNS1_17partition_subalgoE9EllbEEZZNS1_14partition_implILS5_9ELb0ES3_jPlS8_PNS0_10empty_typeENS0_5tupleIJS8_S9_EEENSB_IJS8_SA_EEENS0_18inequality_wrapperIZN2at6native12_GLOBAL__N_124unique_dim_cuda_templateItEESt5tupleIJNSF_6TensorESK_SK_EERKSK_lbbbEUlllE0_EEPmJS9_EEE10hipError_tPvRmT3_T4_T5_T6_T7_T9_mT8_P12ihipStream_tbDpT10_ENKUlT_T0_E_clISt17integral_constantIbLb0EES19_IbLb1EEEEDaS15_S16_EUlS15_E_NS1_11comp_targetILNS1_3genE0ELNS1_11target_archE4294967295ELNS1_3gpuE0ELNS1_3repE0EEENS1_30default_config_static_selectorELNS0_4arch9wavefront6targetE0EEEvT1_,comdat
.Lfunc_end1473:
	.size	_ZN7rocprim17ROCPRIM_400000_NS6detail17trampoline_kernelINS0_14default_configENS1_25partition_config_selectorILNS1_17partition_subalgoE9EllbEEZZNS1_14partition_implILS5_9ELb0ES3_jPlS8_PNS0_10empty_typeENS0_5tupleIJS8_S9_EEENSB_IJS8_SA_EEENS0_18inequality_wrapperIZN2at6native12_GLOBAL__N_124unique_dim_cuda_templateItEESt5tupleIJNSF_6TensorESK_SK_EERKSK_lbbbEUlllE0_EEPmJS9_EEE10hipError_tPvRmT3_T4_T5_T6_T7_T9_mT8_P12ihipStream_tbDpT10_ENKUlT_T0_E_clISt17integral_constantIbLb0EES19_IbLb1EEEEDaS15_S16_EUlS15_E_NS1_11comp_targetILNS1_3genE0ELNS1_11target_archE4294967295ELNS1_3gpuE0ELNS1_3repE0EEENS1_30default_config_static_selectorELNS0_4arch9wavefront6targetE0EEEvT1_, .Lfunc_end1473-_ZN7rocprim17ROCPRIM_400000_NS6detail17trampoline_kernelINS0_14default_configENS1_25partition_config_selectorILNS1_17partition_subalgoE9EllbEEZZNS1_14partition_implILS5_9ELb0ES3_jPlS8_PNS0_10empty_typeENS0_5tupleIJS8_S9_EEENSB_IJS8_SA_EEENS0_18inequality_wrapperIZN2at6native12_GLOBAL__N_124unique_dim_cuda_templateItEESt5tupleIJNSF_6TensorESK_SK_EERKSK_lbbbEUlllE0_EEPmJS9_EEE10hipError_tPvRmT3_T4_T5_T6_T7_T9_mT8_P12ihipStream_tbDpT10_ENKUlT_T0_E_clISt17integral_constantIbLb0EES19_IbLb1EEEEDaS15_S16_EUlS15_E_NS1_11comp_targetILNS1_3genE0ELNS1_11target_archE4294967295ELNS1_3gpuE0ELNS1_3repE0EEENS1_30default_config_static_selectorELNS0_4arch9wavefront6targetE0EEEvT1_
                                        ; -- End function
	.section	.AMDGPU.csdata,"",@progbits
; Kernel info:
; codeLenInByte = 0
; NumSgprs: 0
; NumVgprs: 0
; ScratchSize: 0
; MemoryBound: 0
; FloatMode: 240
; IeeeMode: 1
; LDSByteSize: 0 bytes/workgroup (compile time only)
; SGPRBlocks: 0
; VGPRBlocks: 0
; NumSGPRsForWavesPerEU: 1
; NumVGPRsForWavesPerEU: 1
; Occupancy: 16
; WaveLimiterHint : 0
; COMPUTE_PGM_RSRC2:SCRATCH_EN: 0
; COMPUTE_PGM_RSRC2:USER_SGPR: 15
; COMPUTE_PGM_RSRC2:TRAP_HANDLER: 0
; COMPUTE_PGM_RSRC2:TGID_X_EN: 1
; COMPUTE_PGM_RSRC2:TGID_Y_EN: 0
; COMPUTE_PGM_RSRC2:TGID_Z_EN: 0
; COMPUTE_PGM_RSRC2:TIDIG_COMP_CNT: 0
	.section	.text._ZN7rocprim17ROCPRIM_400000_NS6detail17trampoline_kernelINS0_14default_configENS1_25partition_config_selectorILNS1_17partition_subalgoE9EllbEEZZNS1_14partition_implILS5_9ELb0ES3_jPlS8_PNS0_10empty_typeENS0_5tupleIJS8_S9_EEENSB_IJS8_SA_EEENS0_18inequality_wrapperIZN2at6native12_GLOBAL__N_124unique_dim_cuda_templateItEESt5tupleIJNSF_6TensorESK_SK_EERKSK_lbbbEUlllE0_EEPmJS9_EEE10hipError_tPvRmT3_T4_T5_T6_T7_T9_mT8_P12ihipStream_tbDpT10_ENKUlT_T0_E_clISt17integral_constantIbLb0EES19_IbLb1EEEEDaS15_S16_EUlS15_E_NS1_11comp_targetILNS1_3genE5ELNS1_11target_archE942ELNS1_3gpuE9ELNS1_3repE0EEENS1_30default_config_static_selectorELNS0_4arch9wavefront6targetE0EEEvT1_,"axG",@progbits,_ZN7rocprim17ROCPRIM_400000_NS6detail17trampoline_kernelINS0_14default_configENS1_25partition_config_selectorILNS1_17partition_subalgoE9EllbEEZZNS1_14partition_implILS5_9ELb0ES3_jPlS8_PNS0_10empty_typeENS0_5tupleIJS8_S9_EEENSB_IJS8_SA_EEENS0_18inequality_wrapperIZN2at6native12_GLOBAL__N_124unique_dim_cuda_templateItEESt5tupleIJNSF_6TensorESK_SK_EERKSK_lbbbEUlllE0_EEPmJS9_EEE10hipError_tPvRmT3_T4_T5_T6_T7_T9_mT8_P12ihipStream_tbDpT10_ENKUlT_T0_E_clISt17integral_constantIbLb0EES19_IbLb1EEEEDaS15_S16_EUlS15_E_NS1_11comp_targetILNS1_3genE5ELNS1_11target_archE942ELNS1_3gpuE9ELNS1_3repE0EEENS1_30default_config_static_selectorELNS0_4arch9wavefront6targetE0EEEvT1_,comdat
	.globl	_ZN7rocprim17ROCPRIM_400000_NS6detail17trampoline_kernelINS0_14default_configENS1_25partition_config_selectorILNS1_17partition_subalgoE9EllbEEZZNS1_14partition_implILS5_9ELb0ES3_jPlS8_PNS0_10empty_typeENS0_5tupleIJS8_S9_EEENSB_IJS8_SA_EEENS0_18inequality_wrapperIZN2at6native12_GLOBAL__N_124unique_dim_cuda_templateItEESt5tupleIJNSF_6TensorESK_SK_EERKSK_lbbbEUlllE0_EEPmJS9_EEE10hipError_tPvRmT3_T4_T5_T6_T7_T9_mT8_P12ihipStream_tbDpT10_ENKUlT_T0_E_clISt17integral_constantIbLb0EES19_IbLb1EEEEDaS15_S16_EUlS15_E_NS1_11comp_targetILNS1_3genE5ELNS1_11target_archE942ELNS1_3gpuE9ELNS1_3repE0EEENS1_30default_config_static_selectorELNS0_4arch9wavefront6targetE0EEEvT1_ ; -- Begin function _ZN7rocprim17ROCPRIM_400000_NS6detail17trampoline_kernelINS0_14default_configENS1_25partition_config_selectorILNS1_17partition_subalgoE9EllbEEZZNS1_14partition_implILS5_9ELb0ES3_jPlS8_PNS0_10empty_typeENS0_5tupleIJS8_S9_EEENSB_IJS8_SA_EEENS0_18inequality_wrapperIZN2at6native12_GLOBAL__N_124unique_dim_cuda_templateItEESt5tupleIJNSF_6TensorESK_SK_EERKSK_lbbbEUlllE0_EEPmJS9_EEE10hipError_tPvRmT3_T4_T5_T6_T7_T9_mT8_P12ihipStream_tbDpT10_ENKUlT_T0_E_clISt17integral_constantIbLb0EES19_IbLb1EEEEDaS15_S16_EUlS15_E_NS1_11comp_targetILNS1_3genE5ELNS1_11target_archE942ELNS1_3gpuE9ELNS1_3repE0EEENS1_30default_config_static_selectorELNS0_4arch9wavefront6targetE0EEEvT1_
	.p2align	8
	.type	_ZN7rocprim17ROCPRIM_400000_NS6detail17trampoline_kernelINS0_14default_configENS1_25partition_config_selectorILNS1_17partition_subalgoE9EllbEEZZNS1_14partition_implILS5_9ELb0ES3_jPlS8_PNS0_10empty_typeENS0_5tupleIJS8_S9_EEENSB_IJS8_SA_EEENS0_18inequality_wrapperIZN2at6native12_GLOBAL__N_124unique_dim_cuda_templateItEESt5tupleIJNSF_6TensorESK_SK_EERKSK_lbbbEUlllE0_EEPmJS9_EEE10hipError_tPvRmT3_T4_T5_T6_T7_T9_mT8_P12ihipStream_tbDpT10_ENKUlT_T0_E_clISt17integral_constantIbLb0EES19_IbLb1EEEEDaS15_S16_EUlS15_E_NS1_11comp_targetILNS1_3genE5ELNS1_11target_archE942ELNS1_3gpuE9ELNS1_3repE0EEENS1_30default_config_static_selectorELNS0_4arch9wavefront6targetE0EEEvT1_,@function
_ZN7rocprim17ROCPRIM_400000_NS6detail17trampoline_kernelINS0_14default_configENS1_25partition_config_selectorILNS1_17partition_subalgoE9EllbEEZZNS1_14partition_implILS5_9ELb0ES3_jPlS8_PNS0_10empty_typeENS0_5tupleIJS8_S9_EEENSB_IJS8_SA_EEENS0_18inequality_wrapperIZN2at6native12_GLOBAL__N_124unique_dim_cuda_templateItEESt5tupleIJNSF_6TensorESK_SK_EERKSK_lbbbEUlllE0_EEPmJS9_EEE10hipError_tPvRmT3_T4_T5_T6_T7_T9_mT8_P12ihipStream_tbDpT10_ENKUlT_T0_E_clISt17integral_constantIbLb0EES19_IbLb1EEEEDaS15_S16_EUlS15_E_NS1_11comp_targetILNS1_3genE5ELNS1_11target_archE942ELNS1_3gpuE9ELNS1_3repE0EEENS1_30default_config_static_selectorELNS0_4arch9wavefront6targetE0EEEvT1_: ; @_ZN7rocprim17ROCPRIM_400000_NS6detail17trampoline_kernelINS0_14default_configENS1_25partition_config_selectorILNS1_17partition_subalgoE9EllbEEZZNS1_14partition_implILS5_9ELb0ES3_jPlS8_PNS0_10empty_typeENS0_5tupleIJS8_S9_EEENSB_IJS8_SA_EEENS0_18inequality_wrapperIZN2at6native12_GLOBAL__N_124unique_dim_cuda_templateItEESt5tupleIJNSF_6TensorESK_SK_EERKSK_lbbbEUlllE0_EEPmJS9_EEE10hipError_tPvRmT3_T4_T5_T6_T7_T9_mT8_P12ihipStream_tbDpT10_ENKUlT_T0_E_clISt17integral_constantIbLb0EES19_IbLb1EEEEDaS15_S16_EUlS15_E_NS1_11comp_targetILNS1_3genE5ELNS1_11target_archE942ELNS1_3gpuE9ELNS1_3repE0EEENS1_30default_config_static_selectorELNS0_4arch9wavefront6targetE0EEEvT1_
; %bb.0:
	.section	.rodata,"a",@progbits
	.p2align	6, 0x0
	.amdhsa_kernel _ZN7rocprim17ROCPRIM_400000_NS6detail17trampoline_kernelINS0_14default_configENS1_25partition_config_selectorILNS1_17partition_subalgoE9EllbEEZZNS1_14partition_implILS5_9ELb0ES3_jPlS8_PNS0_10empty_typeENS0_5tupleIJS8_S9_EEENSB_IJS8_SA_EEENS0_18inequality_wrapperIZN2at6native12_GLOBAL__N_124unique_dim_cuda_templateItEESt5tupleIJNSF_6TensorESK_SK_EERKSK_lbbbEUlllE0_EEPmJS9_EEE10hipError_tPvRmT3_T4_T5_T6_T7_T9_mT8_P12ihipStream_tbDpT10_ENKUlT_T0_E_clISt17integral_constantIbLb0EES19_IbLb1EEEEDaS15_S16_EUlS15_E_NS1_11comp_targetILNS1_3genE5ELNS1_11target_archE942ELNS1_3gpuE9ELNS1_3repE0EEENS1_30default_config_static_selectorELNS0_4arch9wavefront6targetE0EEEvT1_
		.amdhsa_group_segment_fixed_size 0
		.amdhsa_private_segment_fixed_size 0
		.amdhsa_kernarg_size 136
		.amdhsa_user_sgpr_count 15
		.amdhsa_user_sgpr_dispatch_ptr 0
		.amdhsa_user_sgpr_queue_ptr 0
		.amdhsa_user_sgpr_kernarg_segment_ptr 1
		.amdhsa_user_sgpr_dispatch_id 0
		.amdhsa_user_sgpr_private_segment_size 0
		.amdhsa_wavefront_size32 1
		.amdhsa_uses_dynamic_stack 0
		.amdhsa_enable_private_segment 0
		.amdhsa_system_sgpr_workgroup_id_x 1
		.amdhsa_system_sgpr_workgroup_id_y 0
		.amdhsa_system_sgpr_workgroup_id_z 0
		.amdhsa_system_sgpr_workgroup_info 0
		.amdhsa_system_vgpr_workitem_id 0
		.amdhsa_next_free_vgpr 1
		.amdhsa_next_free_sgpr 1
		.amdhsa_reserve_vcc 0
		.amdhsa_float_round_mode_32 0
		.amdhsa_float_round_mode_16_64 0
		.amdhsa_float_denorm_mode_32 3
		.amdhsa_float_denorm_mode_16_64 3
		.amdhsa_dx10_clamp 1
		.amdhsa_ieee_mode 1
		.amdhsa_fp16_overflow 0
		.amdhsa_workgroup_processor_mode 1
		.amdhsa_memory_ordered 1
		.amdhsa_forward_progress 0
		.amdhsa_shared_vgpr_count 0
		.amdhsa_exception_fp_ieee_invalid_op 0
		.amdhsa_exception_fp_denorm_src 0
		.amdhsa_exception_fp_ieee_div_zero 0
		.amdhsa_exception_fp_ieee_overflow 0
		.amdhsa_exception_fp_ieee_underflow 0
		.amdhsa_exception_fp_ieee_inexact 0
		.amdhsa_exception_int_div_zero 0
	.end_amdhsa_kernel
	.section	.text._ZN7rocprim17ROCPRIM_400000_NS6detail17trampoline_kernelINS0_14default_configENS1_25partition_config_selectorILNS1_17partition_subalgoE9EllbEEZZNS1_14partition_implILS5_9ELb0ES3_jPlS8_PNS0_10empty_typeENS0_5tupleIJS8_S9_EEENSB_IJS8_SA_EEENS0_18inequality_wrapperIZN2at6native12_GLOBAL__N_124unique_dim_cuda_templateItEESt5tupleIJNSF_6TensorESK_SK_EERKSK_lbbbEUlllE0_EEPmJS9_EEE10hipError_tPvRmT3_T4_T5_T6_T7_T9_mT8_P12ihipStream_tbDpT10_ENKUlT_T0_E_clISt17integral_constantIbLb0EES19_IbLb1EEEEDaS15_S16_EUlS15_E_NS1_11comp_targetILNS1_3genE5ELNS1_11target_archE942ELNS1_3gpuE9ELNS1_3repE0EEENS1_30default_config_static_selectorELNS0_4arch9wavefront6targetE0EEEvT1_,"axG",@progbits,_ZN7rocprim17ROCPRIM_400000_NS6detail17trampoline_kernelINS0_14default_configENS1_25partition_config_selectorILNS1_17partition_subalgoE9EllbEEZZNS1_14partition_implILS5_9ELb0ES3_jPlS8_PNS0_10empty_typeENS0_5tupleIJS8_S9_EEENSB_IJS8_SA_EEENS0_18inequality_wrapperIZN2at6native12_GLOBAL__N_124unique_dim_cuda_templateItEESt5tupleIJNSF_6TensorESK_SK_EERKSK_lbbbEUlllE0_EEPmJS9_EEE10hipError_tPvRmT3_T4_T5_T6_T7_T9_mT8_P12ihipStream_tbDpT10_ENKUlT_T0_E_clISt17integral_constantIbLb0EES19_IbLb1EEEEDaS15_S16_EUlS15_E_NS1_11comp_targetILNS1_3genE5ELNS1_11target_archE942ELNS1_3gpuE9ELNS1_3repE0EEENS1_30default_config_static_selectorELNS0_4arch9wavefront6targetE0EEEvT1_,comdat
.Lfunc_end1474:
	.size	_ZN7rocprim17ROCPRIM_400000_NS6detail17trampoline_kernelINS0_14default_configENS1_25partition_config_selectorILNS1_17partition_subalgoE9EllbEEZZNS1_14partition_implILS5_9ELb0ES3_jPlS8_PNS0_10empty_typeENS0_5tupleIJS8_S9_EEENSB_IJS8_SA_EEENS0_18inequality_wrapperIZN2at6native12_GLOBAL__N_124unique_dim_cuda_templateItEESt5tupleIJNSF_6TensorESK_SK_EERKSK_lbbbEUlllE0_EEPmJS9_EEE10hipError_tPvRmT3_T4_T5_T6_T7_T9_mT8_P12ihipStream_tbDpT10_ENKUlT_T0_E_clISt17integral_constantIbLb0EES19_IbLb1EEEEDaS15_S16_EUlS15_E_NS1_11comp_targetILNS1_3genE5ELNS1_11target_archE942ELNS1_3gpuE9ELNS1_3repE0EEENS1_30default_config_static_selectorELNS0_4arch9wavefront6targetE0EEEvT1_, .Lfunc_end1474-_ZN7rocprim17ROCPRIM_400000_NS6detail17trampoline_kernelINS0_14default_configENS1_25partition_config_selectorILNS1_17partition_subalgoE9EllbEEZZNS1_14partition_implILS5_9ELb0ES3_jPlS8_PNS0_10empty_typeENS0_5tupleIJS8_S9_EEENSB_IJS8_SA_EEENS0_18inequality_wrapperIZN2at6native12_GLOBAL__N_124unique_dim_cuda_templateItEESt5tupleIJNSF_6TensorESK_SK_EERKSK_lbbbEUlllE0_EEPmJS9_EEE10hipError_tPvRmT3_T4_T5_T6_T7_T9_mT8_P12ihipStream_tbDpT10_ENKUlT_T0_E_clISt17integral_constantIbLb0EES19_IbLb1EEEEDaS15_S16_EUlS15_E_NS1_11comp_targetILNS1_3genE5ELNS1_11target_archE942ELNS1_3gpuE9ELNS1_3repE0EEENS1_30default_config_static_selectorELNS0_4arch9wavefront6targetE0EEEvT1_
                                        ; -- End function
	.section	.AMDGPU.csdata,"",@progbits
; Kernel info:
; codeLenInByte = 0
; NumSgprs: 0
; NumVgprs: 0
; ScratchSize: 0
; MemoryBound: 0
; FloatMode: 240
; IeeeMode: 1
; LDSByteSize: 0 bytes/workgroup (compile time only)
; SGPRBlocks: 0
; VGPRBlocks: 0
; NumSGPRsForWavesPerEU: 1
; NumVGPRsForWavesPerEU: 1
; Occupancy: 16
; WaveLimiterHint : 0
; COMPUTE_PGM_RSRC2:SCRATCH_EN: 0
; COMPUTE_PGM_RSRC2:USER_SGPR: 15
; COMPUTE_PGM_RSRC2:TRAP_HANDLER: 0
; COMPUTE_PGM_RSRC2:TGID_X_EN: 1
; COMPUTE_PGM_RSRC2:TGID_Y_EN: 0
; COMPUTE_PGM_RSRC2:TGID_Z_EN: 0
; COMPUTE_PGM_RSRC2:TIDIG_COMP_CNT: 0
	.section	.text._ZN7rocprim17ROCPRIM_400000_NS6detail17trampoline_kernelINS0_14default_configENS1_25partition_config_selectorILNS1_17partition_subalgoE9EllbEEZZNS1_14partition_implILS5_9ELb0ES3_jPlS8_PNS0_10empty_typeENS0_5tupleIJS8_S9_EEENSB_IJS8_SA_EEENS0_18inequality_wrapperIZN2at6native12_GLOBAL__N_124unique_dim_cuda_templateItEESt5tupleIJNSF_6TensorESK_SK_EERKSK_lbbbEUlllE0_EEPmJS9_EEE10hipError_tPvRmT3_T4_T5_T6_T7_T9_mT8_P12ihipStream_tbDpT10_ENKUlT_T0_E_clISt17integral_constantIbLb0EES19_IbLb1EEEEDaS15_S16_EUlS15_E_NS1_11comp_targetILNS1_3genE4ELNS1_11target_archE910ELNS1_3gpuE8ELNS1_3repE0EEENS1_30default_config_static_selectorELNS0_4arch9wavefront6targetE0EEEvT1_,"axG",@progbits,_ZN7rocprim17ROCPRIM_400000_NS6detail17trampoline_kernelINS0_14default_configENS1_25partition_config_selectorILNS1_17partition_subalgoE9EllbEEZZNS1_14partition_implILS5_9ELb0ES3_jPlS8_PNS0_10empty_typeENS0_5tupleIJS8_S9_EEENSB_IJS8_SA_EEENS0_18inequality_wrapperIZN2at6native12_GLOBAL__N_124unique_dim_cuda_templateItEESt5tupleIJNSF_6TensorESK_SK_EERKSK_lbbbEUlllE0_EEPmJS9_EEE10hipError_tPvRmT3_T4_T5_T6_T7_T9_mT8_P12ihipStream_tbDpT10_ENKUlT_T0_E_clISt17integral_constantIbLb0EES19_IbLb1EEEEDaS15_S16_EUlS15_E_NS1_11comp_targetILNS1_3genE4ELNS1_11target_archE910ELNS1_3gpuE8ELNS1_3repE0EEENS1_30default_config_static_selectorELNS0_4arch9wavefront6targetE0EEEvT1_,comdat
	.globl	_ZN7rocprim17ROCPRIM_400000_NS6detail17trampoline_kernelINS0_14default_configENS1_25partition_config_selectorILNS1_17partition_subalgoE9EllbEEZZNS1_14partition_implILS5_9ELb0ES3_jPlS8_PNS0_10empty_typeENS0_5tupleIJS8_S9_EEENSB_IJS8_SA_EEENS0_18inequality_wrapperIZN2at6native12_GLOBAL__N_124unique_dim_cuda_templateItEESt5tupleIJNSF_6TensorESK_SK_EERKSK_lbbbEUlllE0_EEPmJS9_EEE10hipError_tPvRmT3_T4_T5_T6_T7_T9_mT8_P12ihipStream_tbDpT10_ENKUlT_T0_E_clISt17integral_constantIbLb0EES19_IbLb1EEEEDaS15_S16_EUlS15_E_NS1_11comp_targetILNS1_3genE4ELNS1_11target_archE910ELNS1_3gpuE8ELNS1_3repE0EEENS1_30default_config_static_selectorELNS0_4arch9wavefront6targetE0EEEvT1_ ; -- Begin function _ZN7rocprim17ROCPRIM_400000_NS6detail17trampoline_kernelINS0_14default_configENS1_25partition_config_selectorILNS1_17partition_subalgoE9EllbEEZZNS1_14partition_implILS5_9ELb0ES3_jPlS8_PNS0_10empty_typeENS0_5tupleIJS8_S9_EEENSB_IJS8_SA_EEENS0_18inequality_wrapperIZN2at6native12_GLOBAL__N_124unique_dim_cuda_templateItEESt5tupleIJNSF_6TensorESK_SK_EERKSK_lbbbEUlllE0_EEPmJS9_EEE10hipError_tPvRmT3_T4_T5_T6_T7_T9_mT8_P12ihipStream_tbDpT10_ENKUlT_T0_E_clISt17integral_constantIbLb0EES19_IbLb1EEEEDaS15_S16_EUlS15_E_NS1_11comp_targetILNS1_3genE4ELNS1_11target_archE910ELNS1_3gpuE8ELNS1_3repE0EEENS1_30default_config_static_selectorELNS0_4arch9wavefront6targetE0EEEvT1_
	.p2align	8
	.type	_ZN7rocprim17ROCPRIM_400000_NS6detail17trampoline_kernelINS0_14default_configENS1_25partition_config_selectorILNS1_17partition_subalgoE9EllbEEZZNS1_14partition_implILS5_9ELb0ES3_jPlS8_PNS0_10empty_typeENS0_5tupleIJS8_S9_EEENSB_IJS8_SA_EEENS0_18inequality_wrapperIZN2at6native12_GLOBAL__N_124unique_dim_cuda_templateItEESt5tupleIJNSF_6TensorESK_SK_EERKSK_lbbbEUlllE0_EEPmJS9_EEE10hipError_tPvRmT3_T4_T5_T6_T7_T9_mT8_P12ihipStream_tbDpT10_ENKUlT_T0_E_clISt17integral_constantIbLb0EES19_IbLb1EEEEDaS15_S16_EUlS15_E_NS1_11comp_targetILNS1_3genE4ELNS1_11target_archE910ELNS1_3gpuE8ELNS1_3repE0EEENS1_30default_config_static_selectorELNS0_4arch9wavefront6targetE0EEEvT1_,@function
_ZN7rocprim17ROCPRIM_400000_NS6detail17trampoline_kernelINS0_14default_configENS1_25partition_config_selectorILNS1_17partition_subalgoE9EllbEEZZNS1_14partition_implILS5_9ELb0ES3_jPlS8_PNS0_10empty_typeENS0_5tupleIJS8_S9_EEENSB_IJS8_SA_EEENS0_18inequality_wrapperIZN2at6native12_GLOBAL__N_124unique_dim_cuda_templateItEESt5tupleIJNSF_6TensorESK_SK_EERKSK_lbbbEUlllE0_EEPmJS9_EEE10hipError_tPvRmT3_T4_T5_T6_T7_T9_mT8_P12ihipStream_tbDpT10_ENKUlT_T0_E_clISt17integral_constantIbLb0EES19_IbLb1EEEEDaS15_S16_EUlS15_E_NS1_11comp_targetILNS1_3genE4ELNS1_11target_archE910ELNS1_3gpuE8ELNS1_3repE0EEENS1_30default_config_static_selectorELNS0_4arch9wavefront6targetE0EEEvT1_: ; @_ZN7rocprim17ROCPRIM_400000_NS6detail17trampoline_kernelINS0_14default_configENS1_25partition_config_selectorILNS1_17partition_subalgoE9EllbEEZZNS1_14partition_implILS5_9ELb0ES3_jPlS8_PNS0_10empty_typeENS0_5tupleIJS8_S9_EEENSB_IJS8_SA_EEENS0_18inequality_wrapperIZN2at6native12_GLOBAL__N_124unique_dim_cuda_templateItEESt5tupleIJNSF_6TensorESK_SK_EERKSK_lbbbEUlllE0_EEPmJS9_EEE10hipError_tPvRmT3_T4_T5_T6_T7_T9_mT8_P12ihipStream_tbDpT10_ENKUlT_T0_E_clISt17integral_constantIbLb0EES19_IbLb1EEEEDaS15_S16_EUlS15_E_NS1_11comp_targetILNS1_3genE4ELNS1_11target_archE910ELNS1_3gpuE8ELNS1_3repE0EEENS1_30default_config_static_selectorELNS0_4arch9wavefront6targetE0EEEvT1_
; %bb.0:
	.section	.rodata,"a",@progbits
	.p2align	6, 0x0
	.amdhsa_kernel _ZN7rocprim17ROCPRIM_400000_NS6detail17trampoline_kernelINS0_14default_configENS1_25partition_config_selectorILNS1_17partition_subalgoE9EllbEEZZNS1_14partition_implILS5_9ELb0ES3_jPlS8_PNS0_10empty_typeENS0_5tupleIJS8_S9_EEENSB_IJS8_SA_EEENS0_18inequality_wrapperIZN2at6native12_GLOBAL__N_124unique_dim_cuda_templateItEESt5tupleIJNSF_6TensorESK_SK_EERKSK_lbbbEUlllE0_EEPmJS9_EEE10hipError_tPvRmT3_T4_T5_T6_T7_T9_mT8_P12ihipStream_tbDpT10_ENKUlT_T0_E_clISt17integral_constantIbLb0EES19_IbLb1EEEEDaS15_S16_EUlS15_E_NS1_11comp_targetILNS1_3genE4ELNS1_11target_archE910ELNS1_3gpuE8ELNS1_3repE0EEENS1_30default_config_static_selectorELNS0_4arch9wavefront6targetE0EEEvT1_
		.amdhsa_group_segment_fixed_size 0
		.amdhsa_private_segment_fixed_size 0
		.amdhsa_kernarg_size 136
		.amdhsa_user_sgpr_count 15
		.amdhsa_user_sgpr_dispatch_ptr 0
		.amdhsa_user_sgpr_queue_ptr 0
		.amdhsa_user_sgpr_kernarg_segment_ptr 1
		.amdhsa_user_sgpr_dispatch_id 0
		.amdhsa_user_sgpr_private_segment_size 0
		.amdhsa_wavefront_size32 1
		.amdhsa_uses_dynamic_stack 0
		.amdhsa_enable_private_segment 0
		.amdhsa_system_sgpr_workgroup_id_x 1
		.amdhsa_system_sgpr_workgroup_id_y 0
		.amdhsa_system_sgpr_workgroup_id_z 0
		.amdhsa_system_sgpr_workgroup_info 0
		.amdhsa_system_vgpr_workitem_id 0
		.amdhsa_next_free_vgpr 1
		.amdhsa_next_free_sgpr 1
		.amdhsa_reserve_vcc 0
		.amdhsa_float_round_mode_32 0
		.amdhsa_float_round_mode_16_64 0
		.amdhsa_float_denorm_mode_32 3
		.amdhsa_float_denorm_mode_16_64 3
		.amdhsa_dx10_clamp 1
		.amdhsa_ieee_mode 1
		.amdhsa_fp16_overflow 0
		.amdhsa_workgroup_processor_mode 1
		.amdhsa_memory_ordered 1
		.amdhsa_forward_progress 0
		.amdhsa_shared_vgpr_count 0
		.amdhsa_exception_fp_ieee_invalid_op 0
		.amdhsa_exception_fp_denorm_src 0
		.amdhsa_exception_fp_ieee_div_zero 0
		.amdhsa_exception_fp_ieee_overflow 0
		.amdhsa_exception_fp_ieee_underflow 0
		.amdhsa_exception_fp_ieee_inexact 0
		.amdhsa_exception_int_div_zero 0
	.end_amdhsa_kernel
	.section	.text._ZN7rocprim17ROCPRIM_400000_NS6detail17trampoline_kernelINS0_14default_configENS1_25partition_config_selectorILNS1_17partition_subalgoE9EllbEEZZNS1_14partition_implILS5_9ELb0ES3_jPlS8_PNS0_10empty_typeENS0_5tupleIJS8_S9_EEENSB_IJS8_SA_EEENS0_18inequality_wrapperIZN2at6native12_GLOBAL__N_124unique_dim_cuda_templateItEESt5tupleIJNSF_6TensorESK_SK_EERKSK_lbbbEUlllE0_EEPmJS9_EEE10hipError_tPvRmT3_T4_T5_T6_T7_T9_mT8_P12ihipStream_tbDpT10_ENKUlT_T0_E_clISt17integral_constantIbLb0EES19_IbLb1EEEEDaS15_S16_EUlS15_E_NS1_11comp_targetILNS1_3genE4ELNS1_11target_archE910ELNS1_3gpuE8ELNS1_3repE0EEENS1_30default_config_static_selectorELNS0_4arch9wavefront6targetE0EEEvT1_,"axG",@progbits,_ZN7rocprim17ROCPRIM_400000_NS6detail17trampoline_kernelINS0_14default_configENS1_25partition_config_selectorILNS1_17partition_subalgoE9EllbEEZZNS1_14partition_implILS5_9ELb0ES3_jPlS8_PNS0_10empty_typeENS0_5tupleIJS8_S9_EEENSB_IJS8_SA_EEENS0_18inequality_wrapperIZN2at6native12_GLOBAL__N_124unique_dim_cuda_templateItEESt5tupleIJNSF_6TensorESK_SK_EERKSK_lbbbEUlllE0_EEPmJS9_EEE10hipError_tPvRmT3_T4_T5_T6_T7_T9_mT8_P12ihipStream_tbDpT10_ENKUlT_T0_E_clISt17integral_constantIbLb0EES19_IbLb1EEEEDaS15_S16_EUlS15_E_NS1_11comp_targetILNS1_3genE4ELNS1_11target_archE910ELNS1_3gpuE8ELNS1_3repE0EEENS1_30default_config_static_selectorELNS0_4arch9wavefront6targetE0EEEvT1_,comdat
.Lfunc_end1475:
	.size	_ZN7rocprim17ROCPRIM_400000_NS6detail17trampoline_kernelINS0_14default_configENS1_25partition_config_selectorILNS1_17partition_subalgoE9EllbEEZZNS1_14partition_implILS5_9ELb0ES3_jPlS8_PNS0_10empty_typeENS0_5tupleIJS8_S9_EEENSB_IJS8_SA_EEENS0_18inequality_wrapperIZN2at6native12_GLOBAL__N_124unique_dim_cuda_templateItEESt5tupleIJNSF_6TensorESK_SK_EERKSK_lbbbEUlllE0_EEPmJS9_EEE10hipError_tPvRmT3_T4_T5_T6_T7_T9_mT8_P12ihipStream_tbDpT10_ENKUlT_T0_E_clISt17integral_constantIbLb0EES19_IbLb1EEEEDaS15_S16_EUlS15_E_NS1_11comp_targetILNS1_3genE4ELNS1_11target_archE910ELNS1_3gpuE8ELNS1_3repE0EEENS1_30default_config_static_selectorELNS0_4arch9wavefront6targetE0EEEvT1_, .Lfunc_end1475-_ZN7rocprim17ROCPRIM_400000_NS6detail17trampoline_kernelINS0_14default_configENS1_25partition_config_selectorILNS1_17partition_subalgoE9EllbEEZZNS1_14partition_implILS5_9ELb0ES3_jPlS8_PNS0_10empty_typeENS0_5tupleIJS8_S9_EEENSB_IJS8_SA_EEENS0_18inequality_wrapperIZN2at6native12_GLOBAL__N_124unique_dim_cuda_templateItEESt5tupleIJNSF_6TensorESK_SK_EERKSK_lbbbEUlllE0_EEPmJS9_EEE10hipError_tPvRmT3_T4_T5_T6_T7_T9_mT8_P12ihipStream_tbDpT10_ENKUlT_T0_E_clISt17integral_constantIbLb0EES19_IbLb1EEEEDaS15_S16_EUlS15_E_NS1_11comp_targetILNS1_3genE4ELNS1_11target_archE910ELNS1_3gpuE8ELNS1_3repE0EEENS1_30default_config_static_selectorELNS0_4arch9wavefront6targetE0EEEvT1_
                                        ; -- End function
	.section	.AMDGPU.csdata,"",@progbits
; Kernel info:
; codeLenInByte = 0
; NumSgprs: 0
; NumVgprs: 0
; ScratchSize: 0
; MemoryBound: 0
; FloatMode: 240
; IeeeMode: 1
; LDSByteSize: 0 bytes/workgroup (compile time only)
; SGPRBlocks: 0
; VGPRBlocks: 0
; NumSGPRsForWavesPerEU: 1
; NumVGPRsForWavesPerEU: 1
; Occupancy: 16
; WaveLimiterHint : 0
; COMPUTE_PGM_RSRC2:SCRATCH_EN: 0
; COMPUTE_PGM_RSRC2:USER_SGPR: 15
; COMPUTE_PGM_RSRC2:TRAP_HANDLER: 0
; COMPUTE_PGM_RSRC2:TGID_X_EN: 1
; COMPUTE_PGM_RSRC2:TGID_Y_EN: 0
; COMPUTE_PGM_RSRC2:TGID_Z_EN: 0
; COMPUTE_PGM_RSRC2:TIDIG_COMP_CNT: 0
	.section	.text._ZN7rocprim17ROCPRIM_400000_NS6detail17trampoline_kernelINS0_14default_configENS1_25partition_config_selectorILNS1_17partition_subalgoE9EllbEEZZNS1_14partition_implILS5_9ELb0ES3_jPlS8_PNS0_10empty_typeENS0_5tupleIJS8_S9_EEENSB_IJS8_SA_EEENS0_18inequality_wrapperIZN2at6native12_GLOBAL__N_124unique_dim_cuda_templateItEESt5tupleIJNSF_6TensorESK_SK_EERKSK_lbbbEUlllE0_EEPmJS9_EEE10hipError_tPvRmT3_T4_T5_T6_T7_T9_mT8_P12ihipStream_tbDpT10_ENKUlT_T0_E_clISt17integral_constantIbLb0EES19_IbLb1EEEEDaS15_S16_EUlS15_E_NS1_11comp_targetILNS1_3genE3ELNS1_11target_archE908ELNS1_3gpuE7ELNS1_3repE0EEENS1_30default_config_static_selectorELNS0_4arch9wavefront6targetE0EEEvT1_,"axG",@progbits,_ZN7rocprim17ROCPRIM_400000_NS6detail17trampoline_kernelINS0_14default_configENS1_25partition_config_selectorILNS1_17partition_subalgoE9EllbEEZZNS1_14partition_implILS5_9ELb0ES3_jPlS8_PNS0_10empty_typeENS0_5tupleIJS8_S9_EEENSB_IJS8_SA_EEENS0_18inequality_wrapperIZN2at6native12_GLOBAL__N_124unique_dim_cuda_templateItEESt5tupleIJNSF_6TensorESK_SK_EERKSK_lbbbEUlllE0_EEPmJS9_EEE10hipError_tPvRmT3_T4_T5_T6_T7_T9_mT8_P12ihipStream_tbDpT10_ENKUlT_T0_E_clISt17integral_constantIbLb0EES19_IbLb1EEEEDaS15_S16_EUlS15_E_NS1_11comp_targetILNS1_3genE3ELNS1_11target_archE908ELNS1_3gpuE7ELNS1_3repE0EEENS1_30default_config_static_selectorELNS0_4arch9wavefront6targetE0EEEvT1_,comdat
	.globl	_ZN7rocprim17ROCPRIM_400000_NS6detail17trampoline_kernelINS0_14default_configENS1_25partition_config_selectorILNS1_17partition_subalgoE9EllbEEZZNS1_14partition_implILS5_9ELb0ES3_jPlS8_PNS0_10empty_typeENS0_5tupleIJS8_S9_EEENSB_IJS8_SA_EEENS0_18inequality_wrapperIZN2at6native12_GLOBAL__N_124unique_dim_cuda_templateItEESt5tupleIJNSF_6TensorESK_SK_EERKSK_lbbbEUlllE0_EEPmJS9_EEE10hipError_tPvRmT3_T4_T5_T6_T7_T9_mT8_P12ihipStream_tbDpT10_ENKUlT_T0_E_clISt17integral_constantIbLb0EES19_IbLb1EEEEDaS15_S16_EUlS15_E_NS1_11comp_targetILNS1_3genE3ELNS1_11target_archE908ELNS1_3gpuE7ELNS1_3repE0EEENS1_30default_config_static_selectorELNS0_4arch9wavefront6targetE0EEEvT1_ ; -- Begin function _ZN7rocprim17ROCPRIM_400000_NS6detail17trampoline_kernelINS0_14default_configENS1_25partition_config_selectorILNS1_17partition_subalgoE9EllbEEZZNS1_14partition_implILS5_9ELb0ES3_jPlS8_PNS0_10empty_typeENS0_5tupleIJS8_S9_EEENSB_IJS8_SA_EEENS0_18inequality_wrapperIZN2at6native12_GLOBAL__N_124unique_dim_cuda_templateItEESt5tupleIJNSF_6TensorESK_SK_EERKSK_lbbbEUlllE0_EEPmJS9_EEE10hipError_tPvRmT3_T4_T5_T6_T7_T9_mT8_P12ihipStream_tbDpT10_ENKUlT_T0_E_clISt17integral_constantIbLb0EES19_IbLb1EEEEDaS15_S16_EUlS15_E_NS1_11comp_targetILNS1_3genE3ELNS1_11target_archE908ELNS1_3gpuE7ELNS1_3repE0EEENS1_30default_config_static_selectorELNS0_4arch9wavefront6targetE0EEEvT1_
	.p2align	8
	.type	_ZN7rocprim17ROCPRIM_400000_NS6detail17trampoline_kernelINS0_14default_configENS1_25partition_config_selectorILNS1_17partition_subalgoE9EllbEEZZNS1_14partition_implILS5_9ELb0ES3_jPlS8_PNS0_10empty_typeENS0_5tupleIJS8_S9_EEENSB_IJS8_SA_EEENS0_18inequality_wrapperIZN2at6native12_GLOBAL__N_124unique_dim_cuda_templateItEESt5tupleIJNSF_6TensorESK_SK_EERKSK_lbbbEUlllE0_EEPmJS9_EEE10hipError_tPvRmT3_T4_T5_T6_T7_T9_mT8_P12ihipStream_tbDpT10_ENKUlT_T0_E_clISt17integral_constantIbLb0EES19_IbLb1EEEEDaS15_S16_EUlS15_E_NS1_11comp_targetILNS1_3genE3ELNS1_11target_archE908ELNS1_3gpuE7ELNS1_3repE0EEENS1_30default_config_static_selectorELNS0_4arch9wavefront6targetE0EEEvT1_,@function
_ZN7rocprim17ROCPRIM_400000_NS6detail17trampoline_kernelINS0_14default_configENS1_25partition_config_selectorILNS1_17partition_subalgoE9EllbEEZZNS1_14partition_implILS5_9ELb0ES3_jPlS8_PNS0_10empty_typeENS0_5tupleIJS8_S9_EEENSB_IJS8_SA_EEENS0_18inequality_wrapperIZN2at6native12_GLOBAL__N_124unique_dim_cuda_templateItEESt5tupleIJNSF_6TensorESK_SK_EERKSK_lbbbEUlllE0_EEPmJS9_EEE10hipError_tPvRmT3_T4_T5_T6_T7_T9_mT8_P12ihipStream_tbDpT10_ENKUlT_T0_E_clISt17integral_constantIbLb0EES19_IbLb1EEEEDaS15_S16_EUlS15_E_NS1_11comp_targetILNS1_3genE3ELNS1_11target_archE908ELNS1_3gpuE7ELNS1_3repE0EEENS1_30default_config_static_selectorELNS0_4arch9wavefront6targetE0EEEvT1_: ; @_ZN7rocprim17ROCPRIM_400000_NS6detail17trampoline_kernelINS0_14default_configENS1_25partition_config_selectorILNS1_17partition_subalgoE9EllbEEZZNS1_14partition_implILS5_9ELb0ES3_jPlS8_PNS0_10empty_typeENS0_5tupleIJS8_S9_EEENSB_IJS8_SA_EEENS0_18inequality_wrapperIZN2at6native12_GLOBAL__N_124unique_dim_cuda_templateItEESt5tupleIJNSF_6TensorESK_SK_EERKSK_lbbbEUlllE0_EEPmJS9_EEE10hipError_tPvRmT3_T4_T5_T6_T7_T9_mT8_P12ihipStream_tbDpT10_ENKUlT_T0_E_clISt17integral_constantIbLb0EES19_IbLb1EEEEDaS15_S16_EUlS15_E_NS1_11comp_targetILNS1_3genE3ELNS1_11target_archE908ELNS1_3gpuE7ELNS1_3repE0EEENS1_30default_config_static_selectorELNS0_4arch9wavefront6targetE0EEEvT1_
; %bb.0:
	.section	.rodata,"a",@progbits
	.p2align	6, 0x0
	.amdhsa_kernel _ZN7rocprim17ROCPRIM_400000_NS6detail17trampoline_kernelINS0_14default_configENS1_25partition_config_selectorILNS1_17partition_subalgoE9EllbEEZZNS1_14partition_implILS5_9ELb0ES3_jPlS8_PNS0_10empty_typeENS0_5tupleIJS8_S9_EEENSB_IJS8_SA_EEENS0_18inequality_wrapperIZN2at6native12_GLOBAL__N_124unique_dim_cuda_templateItEESt5tupleIJNSF_6TensorESK_SK_EERKSK_lbbbEUlllE0_EEPmJS9_EEE10hipError_tPvRmT3_T4_T5_T6_T7_T9_mT8_P12ihipStream_tbDpT10_ENKUlT_T0_E_clISt17integral_constantIbLb0EES19_IbLb1EEEEDaS15_S16_EUlS15_E_NS1_11comp_targetILNS1_3genE3ELNS1_11target_archE908ELNS1_3gpuE7ELNS1_3repE0EEENS1_30default_config_static_selectorELNS0_4arch9wavefront6targetE0EEEvT1_
		.amdhsa_group_segment_fixed_size 0
		.amdhsa_private_segment_fixed_size 0
		.amdhsa_kernarg_size 136
		.amdhsa_user_sgpr_count 15
		.amdhsa_user_sgpr_dispatch_ptr 0
		.amdhsa_user_sgpr_queue_ptr 0
		.amdhsa_user_sgpr_kernarg_segment_ptr 1
		.amdhsa_user_sgpr_dispatch_id 0
		.amdhsa_user_sgpr_private_segment_size 0
		.amdhsa_wavefront_size32 1
		.amdhsa_uses_dynamic_stack 0
		.amdhsa_enable_private_segment 0
		.amdhsa_system_sgpr_workgroup_id_x 1
		.amdhsa_system_sgpr_workgroup_id_y 0
		.amdhsa_system_sgpr_workgroup_id_z 0
		.amdhsa_system_sgpr_workgroup_info 0
		.amdhsa_system_vgpr_workitem_id 0
		.amdhsa_next_free_vgpr 1
		.amdhsa_next_free_sgpr 1
		.amdhsa_reserve_vcc 0
		.amdhsa_float_round_mode_32 0
		.amdhsa_float_round_mode_16_64 0
		.amdhsa_float_denorm_mode_32 3
		.amdhsa_float_denorm_mode_16_64 3
		.amdhsa_dx10_clamp 1
		.amdhsa_ieee_mode 1
		.amdhsa_fp16_overflow 0
		.amdhsa_workgroup_processor_mode 1
		.amdhsa_memory_ordered 1
		.amdhsa_forward_progress 0
		.amdhsa_shared_vgpr_count 0
		.amdhsa_exception_fp_ieee_invalid_op 0
		.amdhsa_exception_fp_denorm_src 0
		.amdhsa_exception_fp_ieee_div_zero 0
		.amdhsa_exception_fp_ieee_overflow 0
		.amdhsa_exception_fp_ieee_underflow 0
		.amdhsa_exception_fp_ieee_inexact 0
		.amdhsa_exception_int_div_zero 0
	.end_amdhsa_kernel
	.section	.text._ZN7rocprim17ROCPRIM_400000_NS6detail17trampoline_kernelINS0_14default_configENS1_25partition_config_selectorILNS1_17partition_subalgoE9EllbEEZZNS1_14partition_implILS5_9ELb0ES3_jPlS8_PNS0_10empty_typeENS0_5tupleIJS8_S9_EEENSB_IJS8_SA_EEENS0_18inequality_wrapperIZN2at6native12_GLOBAL__N_124unique_dim_cuda_templateItEESt5tupleIJNSF_6TensorESK_SK_EERKSK_lbbbEUlllE0_EEPmJS9_EEE10hipError_tPvRmT3_T4_T5_T6_T7_T9_mT8_P12ihipStream_tbDpT10_ENKUlT_T0_E_clISt17integral_constantIbLb0EES19_IbLb1EEEEDaS15_S16_EUlS15_E_NS1_11comp_targetILNS1_3genE3ELNS1_11target_archE908ELNS1_3gpuE7ELNS1_3repE0EEENS1_30default_config_static_selectorELNS0_4arch9wavefront6targetE0EEEvT1_,"axG",@progbits,_ZN7rocprim17ROCPRIM_400000_NS6detail17trampoline_kernelINS0_14default_configENS1_25partition_config_selectorILNS1_17partition_subalgoE9EllbEEZZNS1_14partition_implILS5_9ELb0ES3_jPlS8_PNS0_10empty_typeENS0_5tupleIJS8_S9_EEENSB_IJS8_SA_EEENS0_18inequality_wrapperIZN2at6native12_GLOBAL__N_124unique_dim_cuda_templateItEESt5tupleIJNSF_6TensorESK_SK_EERKSK_lbbbEUlllE0_EEPmJS9_EEE10hipError_tPvRmT3_T4_T5_T6_T7_T9_mT8_P12ihipStream_tbDpT10_ENKUlT_T0_E_clISt17integral_constantIbLb0EES19_IbLb1EEEEDaS15_S16_EUlS15_E_NS1_11comp_targetILNS1_3genE3ELNS1_11target_archE908ELNS1_3gpuE7ELNS1_3repE0EEENS1_30default_config_static_selectorELNS0_4arch9wavefront6targetE0EEEvT1_,comdat
.Lfunc_end1476:
	.size	_ZN7rocprim17ROCPRIM_400000_NS6detail17trampoline_kernelINS0_14default_configENS1_25partition_config_selectorILNS1_17partition_subalgoE9EllbEEZZNS1_14partition_implILS5_9ELb0ES3_jPlS8_PNS0_10empty_typeENS0_5tupleIJS8_S9_EEENSB_IJS8_SA_EEENS0_18inequality_wrapperIZN2at6native12_GLOBAL__N_124unique_dim_cuda_templateItEESt5tupleIJNSF_6TensorESK_SK_EERKSK_lbbbEUlllE0_EEPmJS9_EEE10hipError_tPvRmT3_T4_T5_T6_T7_T9_mT8_P12ihipStream_tbDpT10_ENKUlT_T0_E_clISt17integral_constantIbLb0EES19_IbLb1EEEEDaS15_S16_EUlS15_E_NS1_11comp_targetILNS1_3genE3ELNS1_11target_archE908ELNS1_3gpuE7ELNS1_3repE0EEENS1_30default_config_static_selectorELNS0_4arch9wavefront6targetE0EEEvT1_, .Lfunc_end1476-_ZN7rocprim17ROCPRIM_400000_NS6detail17trampoline_kernelINS0_14default_configENS1_25partition_config_selectorILNS1_17partition_subalgoE9EllbEEZZNS1_14partition_implILS5_9ELb0ES3_jPlS8_PNS0_10empty_typeENS0_5tupleIJS8_S9_EEENSB_IJS8_SA_EEENS0_18inequality_wrapperIZN2at6native12_GLOBAL__N_124unique_dim_cuda_templateItEESt5tupleIJNSF_6TensorESK_SK_EERKSK_lbbbEUlllE0_EEPmJS9_EEE10hipError_tPvRmT3_T4_T5_T6_T7_T9_mT8_P12ihipStream_tbDpT10_ENKUlT_T0_E_clISt17integral_constantIbLb0EES19_IbLb1EEEEDaS15_S16_EUlS15_E_NS1_11comp_targetILNS1_3genE3ELNS1_11target_archE908ELNS1_3gpuE7ELNS1_3repE0EEENS1_30default_config_static_selectorELNS0_4arch9wavefront6targetE0EEEvT1_
                                        ; -- End function
	.section	.AMDGPU.csdata,"",@progbits
; Kernel info:
; codeLenInByte = 0
; NumSgprs: 0
; NumVgprs: 0
; ScratchSize: 0
; MemoryBound: 0
; FloatMode: 240
; IeeeMode: 1
; LDSByteSize: 0 bytes/workgroup (compile time only)
; SGPRBlocks: 0
; VGPRBlocks: 0
; NumSGPRsForWavesPerEU: 1
; NumVGPRsForWavesPerEU: 1
; Occupancy: 16
; WaveLimiterHint : 0
; COMPUTE_PGM_RSRC2:SCRATCH_EN: 0
; COMPUTE_PGM_RSRC2:USER_SGPR: 15
; COMPUTE_PGM_RSRC2:TRAP_HANDLER: 0
; COMPUTE_PGM_RSRC2:TGID_X_EN: 1
; COMPUTE_PGM_RSRC2:TGID_Y_EN: 0
; COMPUTE_PGM_RSRC2:TGID_Z_EN: 0
; COMPUTE_PGM_RSRC2:TIDIG_COMP_CNT: 0
	.section	.text._ZN7rocprim17ROCPRIM_400000_NS6detail17trampoline_kernelINS0_14default_configENS1_25partition_config_selectorILNS1_17partition_subalgoE9EllbEEZZNS1_14partition_implILS5_9ELb0ES3_jPlS8_PNS0_10empty_typeENS0_5tupleIJS8_S9_EEENSB_IJS8_SA_EEENS0_18inequality_wrapperIZN2at6native12_GLOBAL__N_124unique_dim_cuda_templateItEESt5tupleIJNSF_6TensorESK_SK_EERKSK_lbbbEUlllE0_EEPmJS9_EEE10hipError_tPvRmT3_T4_T5_T6_T7_T9_mT8_P12ihipStream_tbDpT10_ENKUlT_T0_E_clISt17integral_constantIbLb0EES19_IbLb1EEEEDaS15_S16_EUlS15_E_NS1_11comp_targetILNS1_3genE2ELNS1_11target_archE906ELNS1_3gpuE6ELNS1_3repE0EEENS1_30default_config_static_selectorELNS0_4arch9wavefront6targetE0EEEvT1_,"axG",@progbits,_ZN7rocprim17ROCPRIM_400000_NS6detail17trampoline_kernelINS0_14default_configENS1_25partition_config_selectorILNS1_17partition_subalgoE9EllbEEZZNS1_14partition_implILS5_9ELb0ES3_jPlS8_PNS0_10empty_typeENS0_5tupleIJS8_S9_EEENSB_IJS8_SA_EEENS0_18inequality_wrapperIZN2at6native12_GLOBAL__N_124unique_dim_cuda_templateItEESt5tupleIJNSF_6TensorESK_SK_EERKSK_lbbbEUlllE0_EEPmJS9_EEE10hipError_tPvRmT3_T4_T5_T6_T7_T9_mT8_P12ihipStream_tbDpT10_ENKUlT_T0_E_clISt17integral_constantIbLb0EES19_IbLb1EEEEDaS15_S16_EUlS15_E_NS1_11comp_targetILNS1_3genE2ELNS1_11target_archE906ELNS1_3gpuE6ELNS1_3repE0EEENS1_30default_config_static_selectorELNS0_4arch9wavefront6targetE0EEEvT1_,comdat
	.globl	_ZN7rocprim17ROCPRIM_400000_NS6detail17trampoline_kernelINS0_14default_configENS1_25partition_config_selectorILNS1_17partition_subalgoE9EllbEEZZNS1_14partition_implILS5_9ELb0ES3_jPlS8_PNS0_10empty_typeENS0_5tupleIJS8_S9_EEENSB_IJS8_SA_EEENS0_18inequality_wrapperIZN2at6native12_GLOBAL__N_124unique_dim_cuda_templateItEESt5tupleIJNSF_6TensorESK_SK_EERKSK_lbbbEUlllE0_EEPmJS9_EEE10hipError_tPvRmT3_T4_T5_T6_T7_T9_mT8_P12ihipStream_tbDpT10_ENKUlT_T0_E_clISt17integral_constantIbLb0EES19_IbLb1EEEEDaS15_S16_EUlS15_E_NS1_11comp_targetILNS1_3genE2ELNS1_11target_archE906ELNS1_3gpuE6ELNS1_3repE0EEENS1_30default_config_static_selectorELNS0_4arch9wavefront6targetE0EEEvT1_ ; -- Begin function _ZN7rocprim17ROCPRIM_400000_NS6detail17trampoline_kernelINS0_14default_configENS1_25partition_config_selectorILNS1_17partition_subalgoE9EllbEEZZNS1_14partition_implILS5_9ELb0ES3_jPlS8_PNS0_10empty_typeENS0_5tupleIJS8_S9_EEENSB_IJS8_SA_EEENS0_18inequality_wrapperIZN2at6native12_GLOBAL__N_124unique_dim_cuda_templateItEESt5tupleIJNSF_6TensorESK_SK_EERKSK_lbbbEUlllE0_EEPmJS9_EEE10hipError_tPvRmT3_T4_T5_T6_T7_T9_mT8_P12ihipStream_tbDpT10_ENKUlT_T0_E_clISt17integral_constantIbLb0EES19_IbLb1EEEEDaS15_S16_EUlS15_E_NS1_11comp_targetILNS1_3genE2ELNS1_11target_archE906ELNS1_3gpuE6ELNS1_3repE0EEENS1_30default_config_static_selectorELNS0_4arch9wavefront6targetE0EEEvT1_
	.p2align	8
	.type	_ZN7rocprim17ROCPRIM_400000_NS6detail17trampoline_kernelINS0_14default_configENS1_25partition_config_selectorILNS1_17partition_subalgoE9EllbEEZZNS1_14partition_implILS5_9ELb0ES3_jPlS8_PNS0_10empty_typeENS0_5tupleIJS8_S9_EEENSB_IJS8_SA_EEENS0_18inequality_wrapperIZN2at6native12_GLOBAL__N_124unique_dim_cuda_templateItEESt5tupleIJNSF_6TensorESK_SK_EERKSK_lbbbEUlllE0_EEPmJS9_EEE10hipError_tPvRmT3_T4_T5_T6_T7_T9_mT8_P12ihipStream_tbDpT10_ENKUlT_T0_E_clISt17integral_constantIbLb0EES19_IbLb1EEEEDaS15_S16_EUlS15_E_NS1_11comp_targetILNS1_3genE2ELNS1_11target_archE906ELNS1_3gpuE6ELNS1_3repE0EEENS1_30default_config_static_selectorELNS0_4arch9wavefront6targetE0EEEvT1_,@function
_ZN7rocprim17ROCPRIM_400000_NS6detail17trampoline_kernelINS0_14default_configENS1_25partition_config_selectorILNS1_17partition_subalgoE9EllbEEZZNS1_14partition_implILS5_9ELb0ES3_jPlS8_PNS0_10empty_typeENS0_5tupleIJS8_S9_EEENSB_IJS8_SA_EEENS0_18inequality_wrapperIZN2at6native12_GLOBAL__N_124unique_dim_cuda_templateItEESt5tupleIJNSF_6TensorESK_SK_EERKSK_lbbbEUlllE0_EEPmJS9_EEE10hipError_tPvRmT3_T4_T5_T6_T7_T9_mT8_P12ihipStream_tbDpT10_ENKUlT_T0_E_clISt17integral_constantIbLb0EES19_IbLb1EEEEDaS15_S16_EUlS15_E_NS1_11comp_targetILNS1_3genE2ELNS1_11target_archE906ELNS1_3gpuE6ELNS1_3repE0EEENS1_30default_config_static_selectorELNS0_4arch9wavefront6targetE0EEEvT1_: ; @_ZN7rocprim17ROCPRIM_400000_NS6detail17trampoline_kernelINS0_14default_configENS1_25partition_config_selectorILNS1_17partition_subalgoE9EllbEEZZNS1_14partition_implILS5_9ELb0ES3_jPlS8_PNS0_10empty_typeENS0_5tupleIJS8_S9_EEENSB_IJS8_SA_EEENS0_18inequality_wrapperIZN2at6native12_GLOBAL__N_124unique_dim_cuda_templateItEESt5tupleIJNSF_6TensorESK_SK_EERKSK_lbbbEUlllE0_EEPmJS9_EEE10hipError_tPvRmT3_T4_T5_T6_T7_T9_mT8_P12ihipStream_tbDpT10_ENKUlT_T0_E_clISt17integral_constantIbLb0EES19_IbLb1EEEEDaS15_S16_EUlS15_E_NS1_11comp_targetILNS1_3genE2ELNS1_11target_archE906ELNS1_3gpuE6ELNS1_3repE0EEENS1_30default_config_static_selectorELNS0_4arch9wavefront6targetE0EEEvT1_
; %bb.0:
	.section	.rodata,"a",@progbits
	.p2align	6, 0x0
	.amdhsa_kernel _ZN7rocprim17ROCPRIM_400000_NS6detail17trampoline_kernelINS0_14default_configENS1_25partition_config_selectorILNS1_17partition_subalgoE9EllbEEZZNS1_14partition_implILS5_9ELb0ES3_jPlS8_PNS0_10empty_typeENS0_5tupleIJS8_S9_EEENSB_IJS8_SA_EEENS0_18inequality_wrapperIZN2at6native12_GLOBAL__N_124unique_dim_cuda_templateItEESt5tupleIJNSF_6TensorESK_SK_EERKSK_lbbbEUlllE0_EEPmJS9_EEE10hipError_tPvRmT3_T4_T5_T6_T7_T9_mT8_P12ihipStream_tbDpT10_ENKUlT_T0_E_clISt17integral_constantIbLb0EES19_IbLb1EEEEDaS15_S16_EUlS15_E_NS1_11comp_targetILNS1_3genE2ELNS1_11target_archE906ELNS1_3gpuE6ELNS1_3repE0EEENS1_30default_config_static_selectorELNS0_4arch9wavefront6targetE0EEEvT1_
		.amdhsa_group_segment_fixed_size 0
		.amdhsa_private_segment_fixed_size 0
		.amdhsa_kernarg_size 136
		.amdhsa_user_sgpr_count 15
		.amdhsa_user_sgpr_dispatch_ptr 0
		.amdhsa_user_sgpr_queue_ptr 0
		.amdhsa_user_sgpr_kernarg_segment_ptr 1
		.amdhsa_user_sgpr_dispatch_id 0
		.amdhsa_user_sgpr_private_segment_size 0
		.amdhsa_wavefront_size32 1
		.amdhsa_uses_dynamic_stack 0
		.amdhsa_enable_private_segment 0
		.amdhsa_system_sgpr_workgroup_id_x 1
		.amdhsa_system_sgpr_workgroup_id_y 0
		.amdhsa_system_sgpr_workgroup_id_z 0
		.amdhsa_system_sgpr_workgroup_info 0
		.amdhsa_system_vgpr_workitem_id 0
		.amdhsa_next_free_vgpr 1
		.amdhsa_next_free_sgpr 1
		.amdhsa_reserve_vcc 0
		.amdhsa_float_round_mode_32 0
		.amdhsa_float_round_mode_16_64 0
		.amdhsa_float_denorm_mode_32 3
		.amdhsa_float_denorm_mode_16_64 3
		.amdhsa_dx10_clamp 1
		.amdhsa_ieee_mode 1
		.amdhsa_fp16_overflow 0
		.amdhsa_workgroup_processor_mode 1
		.amdhsa_memory_ordered 1
		.amdhsa_forward_progress 0
		.amdhsa_shared_vgpr_count 0
		.amdhsa_exception_fp_ieee_invalid_op 0
		.amdhsa_exception_fp_denorm_src 0
		.amdhsa_exception_fp_ieee_div_zero 0
		.amdhsa_exception_fp_ieee_overflow 0
		.amdhsa_exception_fp_ieee_underflow 0
		.amdhsa_exception_fp_ieee_inexact 0
		.amdhsa_exception_int_div_zero 0
	.end_amdhsa_kernel
	.section	.text._ZN7rocprim17ROCPRIM_400000_NS6detail17trampoline_kernelINS0_14default_configENS1_25partition_config_selectorILNS1_17partition_subalgoE9EllbEEZZNS1_14partition_implILS5_9ELb0ES3_jPlS8_PNS0_10empty_typeENS0_5tupleIJS8_S9_EEENSB_IJS8_SA_EEENS0_18inequality_wrapperIZN2at6native12_GLOBAL__N_124unique_dim_cuda_templateItEESt5tupleIJNSF_6TensorESK_SK_EERKSK_lbbbEUlllE0_EEPmJS9_EEE10hipError_tPvRmT3_T4_T5_T6_T7_T9_mT8_P12ihipStream_tbDpT10_ENKUlT_T0_E_clISt17integral_constantIbLb0EES19_IbLb1EEEEDaS15_S16_EUlS15_E_NS1_11comp_targetILNS1_3genE2ELNS1_11target_archE906ELNS1_3gpuE6ELNS1_3repE0EEENS1_30default_config_static_selectorELNS0_4arch9wavefront6targetE0EEEvT1_,"axG",@progbits,_ZN7rocprim17ROCPRIM_400000_NS6detail17trampoline_kernelINS0_14default_configENS1_25partition_config_selectorILNS1_17partition_subalgoE9EllbEEZZNS1_14partition_implILS5_9ELb0ES3_jPlS8_PNS0_10empty_typeENS0_5tupleIJS8_S9_EEENSB_IJS8_SA_EEENS0_18inequality_wrapperIZN2at6native12_GLOBAL__N_124unique_dim_cuda_templateItEESt5tupleIJNSF_6TensorESK_SK_EERKSK_lbbbEUlllE0_EEPmJS9_EEE10hipError_tPvRmT3_T4_T5_T6_T7_T9_mT8_P12ihipStream_tbDpT10_ENKUlT_T0_E_clISt17integral_constantIbLb0EES19_IbLb1EEEEDaS15_S16_EUlS15_E_NS1_11comp_targetILNS1_3genE2ELNS1_11target_archE906ELNS1_3gpuE6ELNS1_3repE0EEENS1_30default_config_static_selectorELNS0_4arch9wavefront6targetE0EEEvT1_,comdat
.Lfunc_end1477:
	.size	_ZN7rocprim17ROCPRIM_400000_NS6detail17trampoline_kernelINS0_14default_configENS1_25partition_config_selectorILNS1_17partition_subalgoE9EllbEEZZNS1_14partition_implILS5_9ELb0ES3_jPlS8_PNS0_10empty_typeENS0_5tupleIJS8_S9_EEENSB_IJS8_SA_EEENS0_18inequality_wrapperIZN2at6native12_GLOBAL__N_124unique_dim_cuda_templateItEESt5tupleIJNSF_6TensorESK_SK_EERKSK_lbbbEUlllE0_EEPmJS9_EEE10hipError_tPvRmT3_T4_T5_T6_T7_T9_mT8_P12ihipStream_tbDpT10_ENKUlT_T0_E_clISt17integral_constantIbLb0EES19_IbLb1EEEEDaS15_S16_EUlS15_E_NS1_11comp_targetILNS1_3genE2ELNS1_11target_archE906ELNS1_3gpuE6ELNS1_3repE0EEENS1_30default_config_static_selectorELNS0_4arch9wavefront6targetE0EEEvT1_, .Lfunc_end1477-_ZN7rocprim17ROCPRIM_400000_NS6detail17trampoline_kernelINS0_14default_configENS1_25partition_config_selectorILNS1_17partition_subalgoE9EllbEEZZNS1_14partition_implILS5_9ELb0ES3_jPlS8_PNS0_10empty_typeENS0_5tupleIJS8_S9_EEENSB_IJS8_SA_EEENS0_18inequality_wrapperIZN2at6native12_GLOBAL__N_124unique_dim_cuda_templateItEESt5tupleIJNSF_6TensorESK_SK_EERKSK_lbbbEUlllE0_EEPmJS9_EEE10hipError_tPvRmT3_T4_T5_T6_T7_T9_mT8_P12ihipStream_tbDpT10_ENKUlT_T0_E_clISt17integral_constantIbLb0EES19_IbLb1EEEEDaS15_S16_EUlS15_E_NS1_11comp_targetILNS1_3genE2ELNS1_11target_archE906ELNS1_3gpuE6ELNS1_3repE0EEENS1_30default_config_static_selectorELNS0_4arch9wavefront6targetE0EEEvT1_
                                        ; -- End function
	.section	.AMDGPU.csdata,"",@progbits
; Kernel info:
; codeLenInByte = 0
; NumSgprs: 0
; NumVgprs: 0
; ScratchSize: 0
; MemoryBound: 0
; FloatMode: 240
; IeeeMode: 1
; LDSByteSize: 0 bytes/workgroup (compile time only)
; SGPRBlocks: 0
; VGPRBlocks: 0
; NumSGPRsForWavesPerEU: 1
; NumVGPRsForWavesPerEU: 1
; Occupancy: 15
; WaveLimiterHint : 0
; COMPUTE_PGM_RSRC2:SCRATCH_EN: 0
; COMPUTE_PGM_RSRC2:USER_SGPR: 15
; COMPUTE_PGM_RSRC2:TRAP_HANDLER: 0
; COMPUTE_PGM_RSRC2:TGID_X_EN: 1
; COMPUTE_PGM_RSRC2:TGID_Y_EN: 0
; COMPUTE_PGM_RSRC2:TGID_Z_EN: 0
; COMPUTE_PGM_RSRC2:TIDIG_COMP_CNT: 0
	.section	.text._ZN7rocprim17ROCPRIM_400000_NS6detail17trampoline_kernelINS0_14default_configENS1_25partition_config_selectorILNS1_17partition_subalgoE9EllbEEZZNS1_14partition_implILS5_9ELb0ES3_jPlS8_PNS0_10empty_typeENS0_5tupleIJS8_S9_EEENSB_IJS8_SA_EEENS0_18inequality_wrapperIZN2at6native12_GLOBAL__N_124unique_dim_cuda_templateItEESt5tupleIJNSF_6TensorESK_SK_EERKSK_lbbbEUlllE0_EEPmJS9_EEE10hipError_tPvRmT3_T4_T5_T6_T7_T9_mT8_P12ihipStream_tbDpT10_ENKUlT_T0_E_clISt17integral_constantIbLb0EES19_IbLb1EEEEDaS15_S16_EUlS15_E_NS1_11comp_targetILNS1_3genE10ELNS1_11target_archE1200ELNS1_3gpuE4ELNS1_3repE0EEENS1_30default_config_static_selectorELNS0_4arch9wavefront6targetE0EEEvT1_,"axG",@progbits,_ZN7rocprim17ROCPRIM_400000_NS6detail17trampoline_kernelINS0_14default_configENS1_25partition_config_selectorILNS1_17partition_subalgoE9EllbEEZZNS1_14partition_implILS5_9ELb0ES3_jPlS8_PNS0_10empty_typeENS0_5tupleIJS8_S9_EEENSB_IJS8_SA_EEENS0_18inequality_wrapperIZN2at6native12_GLOBAL__N_124unique_dim_cuda_templateItEESt5tupleIJNSF_6TensorESK_SK_EERKSK_lbbbEUlllE0_EEPmJS9_EEE10hipError_tPvRmT3_T4_T5_T6_T7_T9_mT8_P12ihipStream_tbDpT10_ENKUlT_T0_E_clISt17integral_constantIbLb0EES19_IbLb1EEEEDaS15_S16_EUlS15_E_NS1_11comp_targetILNS1_3genE10ELNS1_11target_archE1200ELNS1_3gpuE4ELNS1_3repE0EEENS1_30default_config_static_selectorELNS0_4arch9wavefront6targetE0EEEvT1_,comdat
	.globl	_ZN7rocprim17ROCPRIM_400000_NS6detail17trampoline_kernelINS0_14default_configENS1_25partition_config_selectorILNS1_17partition_subalgoE9EllbEEZZNS1_14partition_implILS5_9ELb0ES3_jPlS8_PNS0_10empty_typeENS0_5tupleIJS8_S9_EEENSB_IJS8_SA_EEENS0_18inequality_wrapperIZN2at6native12_GLOBAL__N_124unique_dim_cuda_templateItEESt5tupleIJNSF_6TensorESK_SK_EERKSK_lbbbEUlllE0_EEPmJS9_EEE10hipError_tPvRmT3_T4_T5_T6_T7_T9_mT8_P12ihipStream_tbDpT10_ENKUlT_T0_E_clISt17integral_constantIbLb0EES19_IbLb1EEEEDaS15_S16_EUlS15_E_NS1_11comp_targetILNS1_3genE10ELNS1_11target_archE1200ELNS1_3gpuE4ELNS1_3repE0EEENS1_30default_config_static_selectorELNS0_4arch9wavefront6targetE0EEEvT1_ ; -- Begin function _ZN7rocprim17ROCPRIM_400000_NS6detail17trampoline_kernelINS0_14default_configENS1_25partition_config_selectorILNS1_17partition_subalgoE9EllbEEZZNS1_14partition_implILS5_9ELb0ES3_jPlS8_PNS0_10empty_typeENS0_5tupleIJS8_S9_EEENSB_IJS8_SA_EEENS0_18inequality_wrapperIZN2at6native12_GLOBAL__N_124unique_dim_cuda_templateItEESt5tupleIJNSF_6TensorESK_SK_EERKSK_lbbbEUlllE0_EEPmJS9_EEE10hipError_tPvRmT3_T4_T5_T6_T7_T9_mT8_P12ihipStream_tbDpT10_ENKUlT_T0_E_clISt17integral_constantIbLb0EES19_IbLb1EEEEDaS15_S16_EUlS15_E_NS1_11comp_targetILNS1_3genE10ELNS1_11target_archE1200ELNS1_3gpuE4ELNS1_3repE0EEENS1_30default_config_static_selectorELNS0_4arch9wavefront6targetE0EEEvT1_
	.p2align	8
	.type	_ZN7rocprim17ROCPRIM_400000_NS6detail17trampoline_kernelINS0_14default_configENS1_25partition_config_selectorILNS1_17partition_subalgoE9EllbEEZZNS1_14partition_implILS5_9ELb0ES3_jPlS8_PNS0_10empty_typeENS0_5tupleIJS8_S9_EEENSB_IJS8_SA_EEENS0_18inequality_wrapperIZN2at6native12_GLOBAL__N_124unique_dim_cuda_templateItEESt5tupleIJNSF_6TensorESK_SK_EERKSK_lbbbEUlllE0_EEPmJS9_EEE10hipError_tPvRmT3_T4_T5_T6_T7_T9_mT8_P12ihipStream_tbDpT10_ENKUlT_T0_E_clISt17integral_constantIbLb0EES19_IbLb1EEEEDaS15_S16_EUlS15_E_NS1_11comp_targetILNS1_3genE10ELNS1_11target_archE1200ELNS1_3gpuE4ELNS1_3repE0EEENS1_30default_config_static_selectorELNS0_4arch9wavefront6targetE0EEEvT1_,@function
_ZN7rocprim17ROCPRIM_400000_NS6detail17trampoline_kernelINS0_14default_configENS1_25partition_config_selectorILNS1_17partition_subalgoE9EllbEEZZNS1_14partition_implILS5_9ELb0ES3_jPlS8_PNS0_10empty_typeENS0_5tupleIJS8_S9_EEENSB_IJS8_SA_EEENS0_18inequality_wrapperIZN2at6native12_GLOBAL__N_124unique_dim_cuda_templateItEESt5tupleIJNSF_6TensorESK_SK_EERKSK_lbbbEUlllE0_EEPmJS9_EEE10hipError_tPvRmT3_T4_T5_T6_T7_T9_mT8_P12ihipStream_tbDpT10_ENKUlT_T0_E_clISt17integral_constantIbLb0EES19_IbLb1EEEEDaS15_S16_EUlS15_E_NS1_11comp_targetILNS1_3genE10ELNS1_11target_archE1200ELNS1_3gpuE4ELNS1_3repE0EEENS1_30default_config_static_selectorELNS0_4arch9wavefront6targetE0EEEvT1_: ; @_ZN7rocprim17ROCPRIM_400000_NS6detail17trampoline_kernelINS0_14default_configENS1_25partition_config_selectorILNS1_17partition_subalgoE9EllbEEZZNS1_14partition_implILS5_9ELb0ES3_jPlS8_PNS0_10empty_typeENS0_5tupleIJS8_S9_EEENSB_IJS8_SA_EEENS0_18inequality_wrapperIZN2at6native12_GLOBAL__N_124unique_dim_cuda_templateItEESt5tupleIJNSF_6TensorESK_SK_EERKSK_lbbbEUlllE0_EEPmJS9_EEE10hipError_tPvRmT3_T4_T5_T6_T7_T9_mT8_P12ihipStream_tbDpT10_ENKUlT_T0_E_clISt17integral_constantIbLb0EES19_IbLb1EEEEDaS15_S16_EUlS15_E_NS1_11comp_targetILNS1_3genE10ELNS1_11target_archE1200ELNS1_3gpuE4ELNS1_3repE0EEENS1_30default_config_static_selectorELNS0_4arch9wavefront6targetE0EEEvT1_
; %bb.0:
	.section	.rodata,"a",@progbits
	.p2align	6, 0x0
	.amdhsa_kernel _ZN7rocprim17ROCPRIM_400000_NS6detail17trampoline_kernelINS0_14default_configENS1_25partition_config_selectorILNS1_17partition_subalgoE9EllbEEZZNS1_14partition_implILS5_9ELb0ES3_jPlS8_PNS0_10empty_typeENS0_5tupleIJS8_S9_EEENSB_IJS8_SA_EEENS0_18inequality_wrapperIZN2at6native12_GLOBAL__N_124unique_dim_cuda_templateItEESt5tupleIJNSF_6TensorESK_SK_EERKSK_lbbbEUlllE0_EEPmJS9_EEE10hipError_tPvRmT3_T4_T5_T6_T7_T9_mT8_P12ihipStream_tbDpT10_ENKUlT_T0_E_clISt17integral_constantIbLb0EES19_IbLb1EEEEDaS15_S16_EUlS15_E_NS1_11comp_targetILNS1_3genE10ELNS1_11target_archE1200ELNS1_3gpuE4ELNS1_3repE0EEENS1_30default_config_static_selectorELNS0_4arch9wavefront6targetE0EEEvT1_
		.amdhsa_group_segment_fixed_size 0
		.amdhsa_private_segment_fixed_size 0
		.amdhsa_kernarg_size 136
		.amdhsa_user_sgpr_count 15
		.amdhsa_user_sgpr_dispatch_ptr 0
		.amdhsa_user_sgpr_queue_ptr 0
		.amdhsa_user_sgpr_kernarg_segment_ptr 1
		.amdhsa_user_sgpr_dispatch_id 0
		.amdhsa_user_sgpr_private_segment_size 0
		.amdhsa_wavefront_size32 1
		.amdhsa_uses_dynamic_stack 0
		.amdhsa_enable_private_segment 0
		.amdhsa_system_sgpr_workgroup_id_x 1
		.amdhsa_system_sgpr_workgroup_id_y 0
		.amdhsa_system_sgpr_workgroup_id_z 0
		.amdhsa_system_sgpr_workgroup_info 0
		.amdhsa_system_vgpr_workitem_id 0
		.amdhsa_next_free_vgpr 1
		.amdhsa_next_free_sgpr 1
		.amdhsa_reserve_vcc 0
		.amdhsa_float_round_mode_32 0
		.amdhsa_float_round_mode_16_64 0
		.amdhsa_float_denorm_mode_32 3
		.amdhsa_float_denorm_mode_16_64 3
		.amdhsa_dx10_clamp 1
		.amdhsa_ieee_mode 1
		.amdhsa_fp16_overflow 0
		.amdhsa_workgroup_processor_mode 1
		.amdhsa_memory_ordered 1
		.amdhsa_forward_progress 0
		.amdhsa_shared_vgpr_count 0
		.amdhsa_exception_fp_ieee_invalid_op 0
		.amdhsa_exception_fp_denorm_src 0
		.amdhsa_exception_fp_ieee_div_zero 0
		.amdhsa_exception_fp_ieee_overflow 0
		.amdhsa_exception_fp_ieee_underflow 0
		.amdhsa_exception_fp_ieee_inexact 0
		.amdhsa_exception_int_div_zero 0
	.end_amdhsa_kernel
	.section	.text._ZN7rocprim17ROCPRIM_400000_NS6detail17trampoline_kernelINS0_14default_configENS1_25partition_config_selectorILNS1_17partition_subalgoE9EllbEEZZNS1_14partition_implILS5_9ELb0ES3_jPlS8_PNS0_10empty_typeENS0_5tupleIJS8_S9_EEENSB_IJS8_SA_EEENS0_18inequality_wrapperIZN2at6native12_GLOBAL__N_124unique_dim_cuda_templateItEESt5tupleIJNSF_6TensorESK_SK_EERKSK_lbbbEUlllE0_EEPmJS9_EEE10hipError_tPvRmT3_T4_T5_T6_T7_T9_mT8_P12ihipStream_tbDpT10_ENKUlT_T0_E_clISt17integral_constantIbLb0EES19_IbLb1EEEEDaS15_S16_EUlS15_E_NS1_11comp_targetILNS1_3genE10ELNS1_11target_archE1200ELNS1_3gpuE4ELNS1_3repE0EEENS1_30default_config_static_selectorELNS0_4arch9wavefront6targetE0EEEvT1_,"axG",@progbits,_ZN7rocprim17ROCPRIM_400000_NS6detail17trampoline_kernelINS0_14default_configENS1_25partition_config_selectorILNS1_17partition_subalgoE9EllbEEZZNS1_14partition_implILS5_9ELb0ES3_jPlS8_PNS0_10empty_typeENS0_5tupleIJS8_S9_EEENSB_IJS8_SA_EEENS0_18inequality_wrapperIZN2at6native12_GLOBAL__N_124unique_dim_cuda_templateItEESt5tupleIJNSF_6TensorESK_SK_EERKSK_lbbbEUlllE0_EEPmJS9_EEE10hipError_tPvRmT3_T4_T5_T6_T7_T9_mT8_P12ihipStream_tbDpT10_ENKUlT_T0_E_clISt17integral_constantIbLb0EES19_IbLb1EEEEDaS15_S16_EUlS15_E_NS1_11comp_targetILNS1_3genE10ELNS1_11target_archE1200ELNS1_3gpuE4ELNS1_3repE0EEENS1_30default_config_static_selectorELNS0_4arch9wavefront6targetE0EEEvT1_,comdat
.Lfunc_end1478:
	.size	_ZN7rocprim17ROCPRIM_400000_NS6detail17trampoline_kernelINS0_14default_configENS1_25partition_config_selectorILNS1_17partition_subalgoE9EllbEEZZNS1_14partition_implILS5_9ELb0ES3_jPlS8_PNS0_10empty_typeENS0_5tupleIJS8_S9_EEENSB_IJS8_SA_EEENS0_18inequality_wrapperIZN2at6native12_GLOBAL__N_124unique_dim_cuda_templateItEESt5tupleIJNSF_6TensorESK_SK_EERKSK_lbbbEUlllE0_EEPmJS9_EEE10hipError_tPvRmT3_T4_T5_T6_T7_T9_mT8_P12ihipStream_tbDpT10_ENKUlT_T0_E_clISt17integral_constantIbLb0EES19_IbLb1EEEEDaS15_S16_EUlS15_E_NS1_11comp_targetILNS1_3genE10ELNS1_11target_archE1200ELNS1_3gpuE4ELNS1_3repE0EEENS1_30default_config_static_selectorELNS0_4arch9wavefront6targetE0EEEvT1_, .Lfunc_end1478-_ZN7rocprim17ROCPRIM_400000_NS6detail17trampoline_kernelINS0_14default_configENS1_25partition_config_selectorILNS1_17partition_subalgoE9EllbEEZZNS1_14partition_implILS5_9ELb0ES3_jPlS8_PNS0_10empty_typeENS0_5tupleIJS8_S9_EEENSB_IJS8_SA_EEENS0_18inequality_wrapperIZN2at6native12_GLOBAL__N_124unique_dim_cuda_templateItEESt5tupleIJNSF_6TensorESK_SK_EERKSK_lbbbEUlllE0_EEPmJS9_EEE10hipError_tPvRmT3_T4_T5_T6_T7_T9_mT8_P12ihipStream_tbDpT10_ENKUlT_T0_E_clISt17integral_constantIbLb0EES19_IbLb1EEEEDaS15_S16_EUlS15_E_NS1_11comp_targetILNS1_3genE10ELNS1_11target_archE1200ELNS1_3gpuE4ELNS1_3repE0EEENS1_30default_config_static_selectorELNS0_4arch9wavefront6targetE0EEEvT1_
                                        ; -- End function
	.section	.AMDGPU.csdata,"",@progbits
; Kernel info:
; codeLenInByte = 0
; NumSgprs: 0
; NumVgprs: 0
; ScratchSize: 0
; MemoryBound: 0
; FloatMode: 240
; IeeeMode: 1
; LDSByteSize: 0 bytes/workgroup (compile time only)
; SGPRBlocks: 0
; VGPRBlocks: 0
; NumSGPRsForWavesPerEU: 1
; NumVGPRsForWavesPerEU: 1
; Occupancy: 15
; WaveLimiterHint : 0
; COMPUTE_PGM_RSRC2:SCRATCH_EN: 0
; COMPUTE_PGM_RSRC2:USER_SGPR: 15
; COMPUTE_PGM_RSRC2:TRAP_HANDLER: 0
; COMPUTE_PGM_RSRC2:TGID_X_EN: 1
; COMPUTE_PGM_RSRC2:TGID_Y_EN: 0
; COMPUTE_PGM_RSRC2:TGID_Z_EN: 0
; COMPUTE_PGM_RSRC2:TIDIG_COMP_CNT: 0
	.section	.text._ZN7rocprim17ROCPRIM_400000_NS6detail17trampoline_kernelINS0_14default_configENS1_25partition_config_selectorILNS1_17partition_subalgoE9EllbEEZZNS1_14partition_implILS5_9ELb0ES3_jPlS8_PNS0_10empty_typeENS0_5tupleIJS8_S9_EEENSB_IJS8_SA_EEENS0_18inequality_wrapperIZN2at6native12_GLOBAL__N_124unique_dim_cuda_templateItEESt5tupleIJNSF_6TensorESK_SK_EERKSK_lbbbEUlllE0_EEPmJS9_EEE10hipError_tPvRmT3_T4_T5_T6_T7_T9_mT8_P12ihipStream_tbDpT10_ENKUlT_T0_E_clISt17integral_constantIbLb0EES19_IbLb1EEEEDaS15_S16_EUlS15_E_NS1_11comp_targetILNS1_3genE9ELNS1_11target_archE1100ELNS1_3gpuE3ELNS1_3repE0EEENS1_30default_config_static_selectorELNS0_4arch9wavefront6targetE0EEEvT1_,"axG",@progbits,_ZN7rocprim17ROCPRIM_400000_NS6detail17trampoline_kernelINS0_14default_configENS1_25partition_config_selectorILNS1_17partition_subalgoE9EllbEEZZNS1_14partition_implILS5_9ELb0ES3_jPlS8_PNS0_10empty_typeENS0_5tupleIJS8_S9_EEENSB_IJS8_SA_EEENS0_18inequality_wrapperIZN2at6native12_GLOBAL__N_124unique_dim_cuda_templateItEESt5tupleIJNSF_6TensorESK_SK_EERKSK_lbbbEUlllE0_EEPmJS9_EEE10hipError_tPvRmT3_T4_T5_T6_T7_T9_mT8_P12ihipStream_tbDpT10_ENKUlT_T0_E_clISt17integral_constantIbLb0EES19_IbLb1EEEEDaS15_S16_EUlS15_E_NS1_11comp_targetILNS1_3genE9ELNS1_11target_archE1100ELNS1_3gpuE3ELNS1_3repE0EEENS1_30default_config_static_selectorELNS0_4arch9wavefront6targetE0EEEvT1_,comdat
	.globl	_ZN7rocprim17ROCPRIM_400000_NS6detail17trampoline_kernelINS0_14default_configENS1_25partition_config_selectorILNS1_17partition_subalgoE9EllbEEZZNS1_14partition_implILS5_9ELb0ES3_jPlS8_PNS0_10empty_typeENS0_5tupleIJS8_S9_EEENSB_IJS8_SA_EEENS0_18inequality_wrapperIZN2at6native12_GLOBAL__N_124unique_dim_cuda_templateItEESt5tupleIJNSF_6TensorESK_SK_EERKSK_lbbbEUlllE0_EEPmJS9_EEE10hipError_tPvRmT3_T4_T5_T6_T7_T9_mT8_P12ihipStream_tbDpT10_ENKUlT_T0_E_clISt17integral_constantIbLb0EES19_IbLb1EEEEDaS15_S16_EUlS15_E_NS1_11comp_targetILNS1_3genE9ELNS1_11target_archE1100ELNS1_3gpuE3ELNS1_3repE0EEENS1_30default_config_static_selectorELNS0_4arch9wavefront6targetE0EEEvT1_ ; -- Begin function _ZN7rocprim17ROCPRIM_400000_NS6detail17trampoline_kernelINS0_14default_configENS1_25partition_config_selectorILNS1_17partition_subalgoE9EllbEEZZNS1_14partition_implILS5_9ELb0ES3_jPlS8_PNS0_10empty_typeENS0_5tupleIJS8_S9_EEENSB_IJS8_SA_EEENS0_18inequality_wrapperIZN2at6native12_GLOBAL__N_124unique_dim_cuda_templateItEESt5tupleIJNSF_6TensorESK_SK_EERKSK_lbbbEUlllE0_EEPmJS9_EEE10hipError_tPvRmT3_T4_T5_T6_T7_T9_mT8_P12ihipStream_tbDpT10_ENKUlT_T0_E_clISt17integral_constantIbLb0EES19_IbLb1EEEEDaS15_S16_EUlS15_E_NS1_11comp_targetILNS1_3genE9ELNS1_11target_archE1100ELNS1_3gpuE3ELNS1_3repE0EEENS1_30default_config_static_selectorELNS0_4arch9wavefront6targetE0EEEvT1_
	.p2align	8
	.type	_ZN7rocprim17ROCPRIM_400000_NS6detail17trampoline_kernelINS0_14default_configENS1_25partition_config_selectorILNS1_17partition_subalgoE9EllbEEZZNS1_14partition_implILS5_9ELb0ES3_jPlS8_PNS0_10empty_typeENS0_5tupleIJS8_S9_EEENSB_IJS8_SA_EEENS0_18inequality_wrapperIZN2at6native12_GLOBAL__N_124unique_dim_cuda_templateItEESt5tupleIJNSF_6TensorESK_SK_EERKSK_lbbbEUlllE0_EEPmJS9_EEE10hipError_tPvRmT3_T4_T5_T6_T7_T9_mT8_P12ihipStream_tbDpT10_ENKUlT_T0_E_clISt17integral_constantIbLb0EES19_IbLb1EEEEDaS15_S16_EUlS15_E_NS1_11comp_targetILNS1_3genE9ELNS1_11target_archE1100ELNS1_3gpuE3ELNS1_3repE0EEENS1_30default_config_static_selectorELNS0_4arch9wavefront6targetE0EEEvT1_,@function
_ZN7rocprim17ROCPRIM_400000_NS6detail17trampoline_kernelINS0_14default_configENS1_25partition_config_selectorILNS1_17partition_subalgoE9EllbEEZZNS1_14partition_implILS5_9ELb0ES3_jPlS8_PNS0_10empty_typeENS0_5tupleIJS8_S9_EEENSB_IJS8_SA_EEENS0_18inequality_wrapperIZN2at6native12_GLOBAL__N_124unique_dim_cuda_templateItEESt5tupleIJNSF_6TensorESK_SK_EERKSK_lbbbEUlllE0_EEPmJS9_EEE10hipError_tPvRmT3_T4_T5_T6_T7_T9_mT8_P12ihipStream_tbDpT10_ENKUlT_T0_E_clISt17integral_constantIbLb0EES19_IbLb1EEEEDaS15_S16_EUlS15_E_NS1_11comp_targetILNS1_3genE9ELNS1_11target_archE1100ELNS1_3gpuE3ELNS1_3repE0EEENS1_30default_config_static_selectorELNS0_4arch9wavefront6targetE0EEEvT1_: ; @_ZN7rocprim17ROCPRIM_400000_NS6detail17trampoline_kernelINS0_14default_configENS1_25partition_config_selectorILNS1_17partition_subalgoE9EllbEEZZNS1_14partition_implILS5_9ELb0ES3_jPlS8_PNS0_10empty_typeENS0_5tupleIJS8_S9_EEENSB_IJS8_SA_EEENS0_18inequality_wrapperIZN2at6native12_GLOBAL__N_124unique_dim_cuda_templateItEESt5tupleIJNSF_6TensorESK_SK_EERKSK_lbbbEUlllE0_EEPmJS9_EEE10hipError_tPvRmT3_T4_T5_T6_T7_T9_mT8_P12ihipStream_tbDpT10_ENKUlT_T0_E_clISt17integral_constantIbLb0EES19_IbLb1EEEEDaS15_S16_EUlS15_E_NS1_11comp_targetILNS1_3genE9ELNS1_11target_archE1100ELNS1_3gpuE3ELNS1_3repE0EEENS1_30default_config_static_selectorELNS0_4arch9wavefront6targetE0EEEvT1_
; %bb.0:
	s_clause 0x3
	s_load_b128 s[4:7], s[0:1], 0x8
	s_load_b64 s[24:25], s[0:1], 0x18
	s_load_b256 s[8:15], s[0:1], 0x40
	s_load_b128 s[20:23], s[0:1], 0x60
	v_cmp_ne_u32_e64 s3, 0, v0
	v_cmp_eq_u32_e64 s2, 0, v0
	s_delay_alu instid0(VALU_DEP_1)
	s_and_saveexec_b32 s16, s2
	s_cbranch_execz .LBB1479_4
; %bb.1:
	s_mov_b32 s18, exec_lo
	s_mov_b32 s17, exec_lo
	v_mbcnt_lo_u32_b32 v1, s18, 0
                                        ; implicit-def: $vgpr2
	s_delay_alu instid0(VALU_DEP_1)
	v_cmpx_eq_u32_e32 0, v1
	s_cbranch_execz .LBB1479_3
; %bb.2:
	s_load_b64 s[26:27], s[0:1], 0x78
	s_bcnt1_i32_b32 s18, s18
	s_delay_alu instid0(SALU_CYCLE_1)
	v_dual_mov_b32 v2, 0 :: v_dual_mov_b32 v3, s18
	s_waitcnt lgkmcnt(0)
	global_atomic_add_u32 v2, v2, v3, s[26:27] glc
.LBB1479_3:
	s_or_b32 exec_lo, exec_lo, s17
	s_waitcnt vmcnt(0)
	v_readfirstlane_b32 s17, v2
	s_delay_alu instid0(VALU_DEP_1)
	v_dual_mov_b32 v2, 0 :: v_dual_add_nc_u32 v1, s17, v1
	ds_store_b32 v2, v1
.LBB1479_4:
	s_or_b32 exec_lo, exec_lo, s16
	v_mov_b32_e32 v1, 0
	s_clause 0x1
	s_load_b128 s[16:19], s[0:1], 0x28
	s_load_b32 s0, s[0:1], 0x70
	s_waitcnt lgkmcnt(0)
	s_barrier
	buffer_gl0_inv
	ds_load_b32 v3, v1
	s_waitcnt lgkmcnt(0)
	s_barrier
	buffer_gl0_inv
	global_load_b64 v[1:2], v1, s[10:11]
	s_lshl_b64 s[26:27], s[6:7], 3
	s_mov_b32 s1, 0
	s_add_u32 s10, s4, s26
	s_addc_u32 s11, s5, s27
	v_lshlrev_b32_e32 v55, 3, v0
	v_lshrrev_b32_e32 v34, 2, v0
	v_or_b32_e32 v39, 0x200, v0
	v_or_b32_e32 v38, 0x400, v0
	;; [unrolled: 1-line block ×5, first 2 shown]
	s_add_i32 s28, s0, -1
	s_lshl_b32 s5, s0, 12
	s_lshl_b32 s4, s28, 12
	v_or_b32_e32 v33, 0xc00, v0
	v_readfirstlane_b32 s30, v3
	s_add_i32 s4, s6, s4
	v_or_b32_e32 v36, 0xe00, v0
	s_sub_i32 s31, s12, s4
	s_delay_alu instid0(VALU_DEP_2)
	s_lshl_b32 s0, s30, 12
	s_add_u32 s4, s6, s5
	s_addc_u32 s5, s7, 0
	s_cmp_eq_u32 s30, s28
	v_cmp_ge_u64_e64 s4, s[4:5], s[12:13]
	s_cselect_b32 s28, -1, 0
	s_lshl_b64 s[12:13], s[0:1], 3
	s_mov_b32 s1, -1
	s_delay_alu instid0(VALU_DEP_1) | instskip(NEXT) | instid1(SALU_CYCLE_1)
	s_and_b32 s33, s4, s28
	s_xor_b32 s29, s33, -1
	s_add_u32 s4, s10, s12
	s_addc_u32 s5, s11, s13
	s_and_b32 vcc_lo, exec_lo, s29
	s_waitcnt vmcnt(0)
	v_readfirstlane_b32 s10, v1
	v_readfirstlane_b32 s11, v2
	s_cbranch_vccz .LBB1479_6
; %bb.5:
	v_add_co_u32 v9, s0, s4, v55
	s_delay_alu instid0(VALU_DEP_1)
	v_add_co_ci_u32_e64 v10, null, s5, 0, s0
	global_load_b64 v[1:2], v55, s[4:5]
	v_add_co_u32 v3, vcc_lo, v9, 0x2000
	v_add_co_ci_u32_e32 v4, vcc_lo, 0, v10, vcc_lo
	v_add_co_u32 v5, vcc_lo, v9, 0x4000
	v_add_co_ci_u32_e32 v6, vcc_lo, 0, v10, vcc_lo
	v_add_co_u32 v7, vcc_lo, v9, 0x6000
	v_add_co_ci_u32_e32 v8, vcc_lo, 0, v10, vcc_lo
	v_add_co_u32 v9, vcc_lo, 0x7000, v9
	v_add_co_ci_u32_e32 v10, vcc_lo, 0, v10, vcc_lo
	s_clause 0x6
	global_load_b64 v[11:12], v[3:4], off offset:-4096
	global_load_b64 v[3:4], v[3:4], off
	global_load_b64 v[13:14], v[5:6], off offset:-4096
	global_load_b64 v[5:6], v[5:6], off
	;; [unrolled: 2-line block ×3, first 2 shown]
	global_load_b64 v[9:10], v[9:10], off
	v_lshrrev_b32_e32 v18, 2, v39
	v_lshrrev_b32_e32 v19, 2, v38
	;; [unrolled: 1-line block ×4, first 2 shown]
	v_and_b32_e32 v17, 0x78, v34
	v_lshrrev_b32_e32 v22, 2, v35
	v_lshrrev_b32_e32 v23, 2, v33
	;; [unrolled: 1-line block ×3, first 2 shown]
	v_and_b32_e32 v18, 0xf8, v18
	v_and_b32_e32 v19, 0x178, v19
	;; [unrolled: 1-line block ×4, first 2 shown]
	v_add_nc_u32_e32 v17, v17, v55
	v_and_b32_e32 v22, 0x2f8, v22
	v_and_b32_e32 v23, 0x378, v23
	;; [unrolled: 1-line block ×3, first 2 shown]
	v_add_nc_u32_e32 v18, v18, v55
	v_add_nc_u32_e32 v19, v19, v55
	;; [unrolled: 1-line block ×4, first 2 shown]
	s_mov_b32 s1, 0
	v_add_nc_u32_e32 v22, v22, v55
	v_add_nc_u32_e32 v23, v23, v55
	;; [unrolled: 1-line block ×3, first 2 shown]
	s_waitcnt vmcnt(7)
	ds_store_b64 v17, v[1:2]
	s_waitcnt vmcnt(6)
	ds_store_b64 v18, v[11:12] offset:4096
	s_waitcnt vmcnt(5)
	ds_store_b64 v19, v[3:4] offset:8192
	;; [unrolled: 2-line block ×7, first 2 shown]
	s_waitcnt lgkmcnt(0)
	s_barrier
.LBB1479_6:
	v_cmp_gt_u32_e64 s0, s31, v0
	s_and_not1_b32 vcc_lo, exec_lo, s1
	s_cbranch_vccnz .LBB1479_24
; %bb.7:
                                        ; implicit-def: $vgpr1_vgpr2_vgpr3_vgpr4_vgpr5_vgpr6_vgpr7_vgpr8_vgpr9_vgpr10_vgpr11_vgpr12_vgpr13_vgpr14_vgpr15_vgpr16
	s_delay_alu instid0(VALU_DEP_1)
	s_and_saveexec_b32 s1, s0
	s_cbranch_execz .LBB1479_15
; %bb.8:
	global_load_b64 v[1:2], v55, s[4:5]
	s_or_b32 exec_lo, exec_lo, s1
	s_delay_alu instid0(SALU_CYCLE_1)
	s_mov_b32 s0, exec_lo
	v_cmpx_gt_u32_e64 s31, v39
	s_cbranch_execnz .LBB1479_16
.LBB1479_9:
	s_or_b32 exec_lo, exec_lo, s0
	s_delay_alu instid0(SALU_CYCLE_1)
	s_mov_b32 s0, exec_lo
	v_cmpx_gt_u32_e64 s31, v38
	s_cbranch_execz .LBB1479_17
.LBB1479_10:
	v_lshlrev_b32_e32 v5, 3, v38
	global_load_b64 v[5:6], v5, s[4:5]
	s_or_b32 exec_lo, exec_lo, s0
	s_delay_alu instid0(SALU_CYCLE_1)
	s_mov_b32 s0, exec_lo
	v_cmpx_gt_u32_e64 s31, v40
	s_cbranch_execnz .LBB1479_18
.LBB1479_11:
	s_or_b32 exec_lo, exec_lo, s0
	s_delay_alu instid0(SALU_CYCLE_1)
	s_mov_b32 s0, exec_lo
	v_cmpx_gt_u32_e64 s31, v37
	s_cbranch_execz .LBB1479_19
.LBB1479_12:
	v_lshlrev_b32_e32 v9, 3, v37
	global_load_b64 v[9:10], v9, s[4:5]
	s_or_b32 exec_lo, exec_lo, s0
	s_delay_alu instid0(SALU_CYCLE_1)
	s_mov_b32 s0, exec_lo
	v_cmpx_gt_u32_e64 s31, v35
	s_cbranch_execnz .LBB1479_20
.LBB1479_13:
	s_or_b32 exec_lo, exec_lo, s0
	s_delay_alu instid0(SALU_CYCLE_1)
	s_mov_b32 s0, exec_lo
	v_cmpx_gt_u32_e64 s31, v33
	s_cbranch_execz .LBB1479_21
.LBB1479_14:
	v_lshlrev_b32_e32 v13, 3, v33
	global_load_b64 v[13:14], v13, s[4:5]
	s_or_b32 exec_lo, exec_lo, s0
	s_delay_alu instid0(SALU_CYCLE_1)
	s_mov_b32 s0, exec_lo
	v_cmpx_gt_u32_e64 s31, v36
	s_cbranch_execnz .LBB1479_22
	s_branch .LBB1479_23
.LBB1479_15:
	s_or_b32 exec_lo, exec_lo, s1
	s_delay_alu instid0(SALU_CYCLE_1)
	s_mov_b32 s0, exec_lo
	v_cmpx_gt_u32_e64 s31, v39
	s_cbranch_execz .LBB1479_9
.LBB1479_16:
	v_lshlrev_b32_e32 v3, 3, v39
	global_load_b64 v[3:4], v3, s[4:5]
	s_or_b32 exec_lo, exec_lo, s0
	s_delay_alu instid0(SALU_CYCLE_1)
	s_mov_b32 s0, exec_lo
	v_cmpx_gt_u32_e64 s31, v38
	s_cbranch_execnz .LBB1479_10
.LBB1479_17:
	s_or_b32 exec_lo, exec_lo, s0
	s_delay_alu instid0(SALU_CYCLE_1)
	s_mov_b32 s0, exec_lo
	v_cmpx_gt_u32_e64 s31, v40
	s_cbranch_execz .LBB1479_11
.LBB1479_18:
	v_lshlrev_b32_e32 v7, 3, v40
	global_load_b64 v[7:8], v7, s[4:5]
	s_or_b32 exec_lo, exec_lo, s0
	s_delay_alu instid0(SALU_CYCLE_1)
	s_mov_b32 s0, exec_lo
	v_cmpx_gt_u32_e64 s31, v37
	s_cbranch_execnz .LBB1479_12
.LBB1479_19:
	s_or_b32 exec_lo, exec_lo, s0
	s_delay_alu instid0(SALU_CYCLE_1)
	s_mov_b32 s0, exec_lo
	v_cmpx_gt_u32_e64 s31, v35
	s_cbranch_execz .LBB1479_13
.LBB1479_20:
	v_lshlrev_b32_e32 v11, 3, v35
	global_load_b64 v[11:12], v11, s[4:5]
	s_or_b32 exec_lo, exec_lo, s0
	s_delay_alu instid0(SALU_CYCLE_1)
	s_mov_b32 s0, exec_lo
	v_cmpx_gt_u32_e64 s31, v33
	s_cbranch_execnz .LBB1479_14
.LBB1479_21:
	s_or_b32 exec_lo, exec_lo, s0
	s_delay_alu instid0(SALU_CYCLE_1)
	s_mov_b32 s0, exec_lo
	v_cmpx_gt_u32_e64 s31, v36
	s_cbranch_execz .LBB1479_23
.LBB1479_22:
	v_lshlrev_b32_e32 v15, 3, v36
	global_load_b64 v[15:16], v15, s[4:5]
.LBB1479_23:
	s_or_b32 exec_lo, exec_lo, s0
	v_lshrrev_b32_e32 v17, 2, v39
	v_lshrrev_b32_e32 v18, 2, v38
	;; [unrolled: 1-line block ×4, first 2 shown]
	v_and_b32_e32 v19, 0x78, v34
	v_lshrrev_b32_e32 v22, 2, v35
	v_lshrrev_b32_e32 v23, 2, v33
	;; [unrolled: 1-line block ×3, first 2 shown]
	v_and_b32_e32 v17, 0xf8, v17
	v_and_b32_e32 v18, 0x1f8, v18
	;; [unrolled: 1-line block ×4, first 2 shown]
	v_add_nc_u32_e32 v19, v19, v55
	v_and_b32_e32 v22, 0x3f8, v22
	v_and_b32_e32 v23, 0x3f8, v23
	;; [unrolled: 1-line block ×3, first 2 shown]
	v_add_nc_u32_e32 v17, v17, v55
	v_add_nc_u32_e32 v18, v18, v55
	v_add_nc_u32_e32 v20, v20, v55
	v_add_nc_u32_e32 v21, v21, v55
	v_add_nc_u32_e32 v22, v22, v55
	v_add_nc_u32_e32 v23, v23, v55
	v_add_nc_u32_e32 v24, v24, v55
	s_waitcnt vmcnt(0)
	ds_store_b64 v19, v[1:2]
	ds_store_b64 v17, v[3:4] offset:4096
	ds_store_b64 v18, v[5:6] offset:8192
	;; [unrolled: 1-line block ×7, first 2 shown]
	s_waitcnt lgkmcnt(0)
	s_barrier
.LBB1479_24:
	v_add_lshl_u32 v41, v34, v55, 3
	buffer_gl0_inv
	s_add_u32 s0, s24, s26
	s_addc_u32 s1, s25, s27
	s_add_u32 s0, s0, s12
	ds_load_2addr_b64 v[29:32], v41 offset1:1
	ds_load_2addr_b64 v[25:28], v41 offset0:2 offset1:3
	ds_load_2addr_b64 v[21:24], v41 offset0:4 offset1:5
	;; [unrolled: 1-line block ×3, first 2 shown]
	s_addc_u32 s1, s1, s13
	s_and_b32 vcc_lo, exec_lo, s29
	s_mov_b32 s12, -1
	s_waitcnt lgkmcnt(0)
	s_barrier
	buffer_gl0_inv
	s_cbranch_vccz .LBB1479_26
; %bb.25:
	v_add_co_u32 v9, s12, s0, v55
	s_delay_alu instid0(VALU_DEP_1)
	v_add_co_ci_u32_e64 v10, null, s1, 0, s12
	global_load_b64 v[1:2], v55, s[0:1]
	v_add_co_u32 v3, vcc_lo, v9, 0x2000
	v_add_co_ci_u32_e32 v4, vcc_lo, 0, v10, vcc_lo
	v_add_co_u32 v5, vcc_lo, v9, 0x4000
	v_add_co_ci_u32_e32 v6, vcc_lo, 0, v10, vcc_lo
	;; [unrolled: 2-line block ×4, first 2 shown]
	s_clause 0x6
	global_load_b64 v[11:12], v[3:4], off offset:-4096
	global_load_b64 v[3:4], v[3:4], off
	global_load_b64 v[13:14], v[5:6], off offset:-4096
	global_load_b64 v[5:6], v[5:6], off
	;; [unrolled: 2-line block ×3, first 2 shown]
	global_load_b64 v[9:10], v[9:10], off
	v_lshrrev_b32_e32 v43, 2, v39
	v_lshrrev_b32_e32 v44, 2, v38
	;; [unrolled: 1-line block ×4, first 2 shown]
	v_and_b32_e32 v42, 0x78, v34
	v_lshrrev_b32_e32 v47, 2, v35
	v_lshrrev_b32_e32 v48, 2, v33
	;; [unrolled: 1-line block ×3, first 2 shown]
	v_and_b32_e32 v43, 0xf8, v43
	v_and_b32_e32 v44, 0x178, v44
	;; [unrolled: 1-line block ×4, first 2 shown]
	v_add_nc_u32_e32 v42, v42, v55
	v_and_b32_e32 v47, 0x2f8, v47
	v_and_b32_e32 v48, 0x378, v48
	;; [unrolled: 1-line block ×3, first 2 shown]
	v_add_nc_u32_e32 v43, v43, v55
	v_add_nc_u32_e32 v44, v44, v55
	;; [unrolled: 1-line block ×4, first 2 shown]
	s_mov_b32 s12, 0
	v_add_nc_u32_e32 v47, v47, v55
	v_add_nc_u32_e32 v48, v48, v55
	;; [unrolled: 1-line block ×3, first 2 shown]
	s_waitcnt vmcnt(7)
	ds_store_b64 v42, v[1:2]
	s_waitcnt vmcnt(6)
	ds_store_b64 v43, v[11:12] offset:4096
	s_waitcnt vmcnt(5)
	ds_store_b64 v44, v[3:4] offset:8192
	;; [unrolled: 2-line block ×7, first 2 shown]
	s_waitcnt lgkmcnt(0)
	s_barrier
.LBB1479_26:
	s_and_not1_b32 vcc_lo, exec_lo, s12
	s_cbranch_vccnz .LBB1479_44
; %bb.27:
	s_mov_b32 s12, exec_lo
                                        ; implicit-def: $vgpr1_vgpr2
	v_cmpx_gt_u32_e64 s31, v0
	s_cbranch_execz .LBB1479_29
; %bb.28:
	global_load_b64 v[1:2], v55, s[0:1]
.LBB1479_29:
	s_or_b32 exec_lo, exec_lo, s12
	s_delay_alu instid0(SALU_CYCLE_1)
	s_mov_b32 s12, exec_lo
                                        ; implicit-def: $vgpr3_vgpr4
	v_cmpx_gt_u32_e64 s31, v39
	s_cbranch_execz .LBB1479_31
; %bb.30:
	v_lshlrev_b32_e32 v3, 3, v39
	global_load_b64 v[3:4], v3, s[0:1]
.LBB1479_31:
	s_or_b32 exec_lo, exec_lo, s12
	s_delay_alu instid0(SALU_CYCLE_1)
	s_mov_b32 s12, exec_lo
                                        ; implicit-def: $vgpr5_vgpr6
	v_cmpx_gt_u32_e64 s31, v38
	s_cbranch_execz .LBB1479_33
; %bb.32:
	v_lshlrev_b32_e32 v5, 3, v38
	global_load_b64 v[5:6], v5, s[0:1]
.LBB1479_33:
	s_or_b32 exec_lo, exec_lo, s12
	s_delay_alu instid0(SALU_CYCLE_1)
	s_mov_b32 s12, exec_lo
                                        ; implicit-def: $vgpr7_vgpr8
	v_cmpx_gt_u32_e64 s31, v40
	s_cbranch_execz .LBB1479_35
; %bb.34:
	v_lshlrev_b32_e32 v7, 3, v40
	global_load_b64 v[7:8], v7, s[0:1]
.LBB1479_35:
	s_or_b32 exec_lo, exec_lo, s12
	s_delay_alu instid0(SALU_CYCLE_1)
	s_mov_b32 s12, exec_lo
                                        ; implicit-def: $vgpr9_vgpr10
	v_cmpx_gt_u32_e64 s31, v37
	s_cbranch_execz .LBB1479_37
; %bb.36:
	v_lshlrev_b32_e32 v9, 3, v37
	global_load_b64 v[9:10], v9, s[0:1]
.LBB1479_37:
	s_or_b32 exec_lo, exec_lo, s12
	s_delay_alu instid0(SALU_CYCLE_1)
	s_mov_b32 s12, exec_lo
                                        ; implicit-def: $vgpr11_vgpr12
	v_cmpx_gt_u32_e64 s31, v35
	s_cbranch_execz .LBB1479_39
; %bb.38:
	v_lshlrev_b32_e32 v11, 3, v35
	global_load_b64 v[11:12], v11, s[0:1]
.LBB1479_39:
	s_or_b32 exec_lo, exec_lo, s12
	s_delay_alu instid0(SALU_CYCLE_1)
	s_mov_b32 s12, exec_lo
                                        ; implicit-def: $vgpr13_vgpr14
	v_cmpx_gt_u32_e64 s31, v33
	s_cbranch_execz .LBB1479_41
; %bb.40:
	v_lshlrev_b32_e32 v13, 3, v33
	global_load_b64 v[13:14], v13, s[0:1]
.LBB1479_41:
	s_or_b32 exec_lo, exec_lo, s12
	s_delay_alu instid0(SALU_CYCLE_1)
	s_mov_b32 s12, exec_lo
                                        ; implicit-def: $vgpr15_vgpr16
	v_cmpx_gt_u32_e64 s31, v36
	s_cbranch_execz .LBB1479_43
; %bb.42:
	v_lshlrev_b32_e32 v15, 3, v36
	global_load_b64 v[15:16], v15, s[0:1]
.LBB1479_43:
	s_or_b32 exec_lo, exec_lo, s12
	v_lshrrev_b32_e32 v39, 2, v39
	v_lshrrev_b32_e32 v38, 2, v38
	;; [unrolled: 1-line block ×4, first 2 shown]
	v_and_b32_e32 v34, 0x78, v34
	v_lshrrev_b32_e32 v35, 2, v35
	v_lshrrev_b32_e32 v33, 2, v33
	;; [unrolled: 1-line block ×3, first 2 shown]
	v_and_b32_e32 v39, 0xf8, v39
	v_and_b32_e32 v38, 0x1f8, v38
	;; [unrolled: 1-line block ×4, first 2 shown]
	v_add_nc_u32_e32 v34, v34, v55
	v_and_b32_e32 v35, 0x3f8, v35
	v_and_b32_e32 v33, 0x3f8, v33
	;; [unrolled: 1-line block ×3, first 2 shown]
	v_add_nc_u32_e32 v39, v39, v55
	v_add_nc_u32_e32 v38, v38, v55
	v_add_nc_u32_e32 v40, v40, v55
	v_add_nc_u32_e32 v37, v37, v55
	v_add_nc_u32_e32 v35, v35, v55
	v_add_nc_u32_e32 v33, v33, v55
	v_add_nc_u32_e32 v36, v36, v55
	s_waitcnt vmcnt(0)
	ds_store_b64 v34, v[1:2]
	ds_store_b64 v39, v[3:4] offset:4096
	ds_store_b64 v38, v[5:6] offset:8192
	;; [unrolled: 1-line block ×7, first 2 shown]
	s_waitcnt lgkmcnt(0)
	s_barrier
.LBB1479_44:
	buffer_gl0_inv
	ds_load_2addr_b64 v[13:16], v41 offset1:1
	ds_load_2addr_b64 v[9:12], v41 offset0:2 offset1:3
	ds_load_2addr_b64 v[5:8], v41 offset0:4 offset1:5
	;; [unrolled: 1-line block ×3, first 2 shown]
	s_cmp_lg_u32 s30, 0
	v_cmp_gt_i64_e64 s13, s[14:15], 0
	s_cselect_b32 s12, -1, 0
	s_cmp_lg_u64 s[6:7], 0
	s_mov_b32 s1, 0
	s_cselect_b32 s0, -1, 0
	s_waitcnt lgkmcnt(0)
	s_or_b32 s0, s0, s12
	s_barrier
	s_and_b32 vcc_lo, exec_lo, s0
	buffer_gl0_inv
	s_cbranch_vccz .LBB1479_53
; %bb.45:
	v_mov_b32_e32 v33, 0
	v_cndmask_b32_e64 v43, 0, 1, s13
	s_and_b32 vcc_lo, exec_lo, s29
	ds_store_b64 v55, v[19:20]
	global_load_b64 v[33:34], v33, s[4:5] offset:-8
	v_cmp_ne_u32_e64 s0, 1, v43
	s_cbranch_vccz .LBB1479_54
; %bb.46:
	v_mul_lo_u32 v37, v18, s14
	v_mul_lo_u32 v38, v17, s15
	v_mad_u64_u32 v[35:36], null, v17, s14, 0
	s_and_b32 vcc_lo, exec_lo, s0
	s_mov_b32 s24, 0
	s_delay_alu instid0(VALU_DEP_1) | instskip(NEXT) | instid1(VALU_DEP_1)
	v_add3_u32 v36, v36, v38, v37
	v_lshlrev_b64 v[35:36], 1, v[35:36]
	s_cbranch_vccnz .LBB1479_57
; %bb.47:
	v_mul_lo_u32 v39, v20, s14
	v_mul_lo_u32 v40, v19, s15
	v_mad_u64_u32 v[37:38], null, v19, s14, 0
	s_mov_b32 s24, -1
	s_mov_b32 s25, exec_lo
	s_delay_alu instid0(VALU_DEP_1) | instskip(SKIP_2) | instid1(VALU_DEP_3)
	v_add3_u32 v38, v38, v40, v39
	v_add_co_u32 v39, vcc_lo, s20, v35
	v_add_co_ci_u32_e32 v40, vcc_lo, s21, v36, vcc_lo
	v_lshlrev_b64 v[37:38], 1, v[37:38]
	s_delay_alu instid0(VALU_DEP_1) | instskip(NEXT) | instid1(VALU_DEP_2)
	v_add_co_u32 v37, vcc_lo, s20, v37
	v_add_co_ci_u32_e32 v38, vcc_lo, s21, v38, vcc_lo
	s_clause 0x1
	global_load_u16 v41, v[39:40], off
	global_load_u16 v42, v[37:38], off
	s_waitcnt vmcnt(0)
	v_cmpx_eq_u16_e64 v41, v42
	s_cbranch_execz .LBB1479_56
; %bb.48:
	v_add_co_u32 v37, vcc_lo, v37, 2
	v_add_co_ci_u32_e32 v38, vcc_lo, 0, v38, vcc_lo
	v_add_co_u32 v39, vcc_lo, v39, 2
	v_add_co_ci_u32_e32 v40, vcc_lo, 0, v40, vcc_lo
	s_add_u32 s4, s14, -1
	s_addc_u32 s5, s15, -1
	s_mov_b64 s[6:7], 0
	s_mov_b32 s24, 0
                                        ; implicit-def: $sgpr26
	s_set_inst_prefetch_distance 0x1
	s_branch .LBB1479_51
	.p2align	6
.LBB1479_49:                            ;   in Loop: Header=BB1479_51 Depth=1
	global_load_u16 v41, v[39:40], off
	global_load_u16 v42, v[37:38], off
	v_add_co_u32 v37, vcc_lo, v37, 2
	v_add_co_ci_u32_e32 v38, vcc_lo, 0, v38, vcc_lo
	v_add_co_u32 v39, s0, v39, 2
	s_delay_alu instid0(VALU_DEP_1)
	v_add_co_ci_u32_e64 v40, s0, 0, v40, s0
	s_add_u32 s6, s6, 1
	s_addc_u32 s7, s7, 0
	s_and_not1_b32 s0, s26, exec_lo
	s_waitcnt vmcnt(0)
	v_cmp_ne_u16_e32 vcc_lo, v41, v42
	s_and_b32 s26, vcc_lo, exec_lo
	s_delay_alu instid0(SALU_CYCLE_1)
	s_or_b32 s26, s0, s26
.LBB1479_50:                            ;   in Loop: Header=BB1479_51 Depth=1
	v_dual_mov_b32 v42, s7 :: v_dual_mov_b32 v41, s6
	s_and_b32 s0, exec_lo, s26
	s_delay_alu instid0(SALU_CYCLE_1) | instskip(NEXT) | instid1(SALU_CYCLE_1)
	s_or_b32 s24, s0, s24
	s_and_not1_b32 exec_lo, exec_lo, s24
	s_cbranch_execz .LBB1479_55
.LBB1479_51:                            ; =>This Inner Loop Header: Depth=1
	s_or_b32 s26, s26, exec_lo
	s_cmp_eq_u64 s[4:5], s[6:7]
	s_cbranch_scc0 .LBB1479_49
; %bb.52:                               ;   in Loop: Header=BB1479_51 Depth=1
	s_mov_b64 s[6:7], s[14:15]
                                        ; implicit-def: $vgpr37_vgpr38
                                        ; implicit-def: $vgpr39_vgpr40
	s_branch .LBB1479_50
.LBB1479_53:
                                        ; implicit-def: $sgpr0
                                        ; implicit-def: $vgpr36
	s_branch .LBB1479_215
.LBB1479_54:
                                        ; implicit-def: $sgpr0
                                        ; implicit-def: $vgpr36
	s_cbranch_execnz .LBB1479_123
	s_branch .LBB1479_214
.LBB1479_55:
	s_set_inst_prefetch_distance 0x2
	s_or_b32 exec_lo, exec_lo, s24
	v_cmp_gt_i64_e32 vcc_lo, s[14:15], v[41:42]
	s_or_not1_b32 s24, vcc_lo, exec_lo
.LBB1479_56:
	s_or_b32 exec_lo, exec_lo, s25
.LBB1479_57:
	v_mul_lo_u32 v39, v24, s14
	v_mul_lo_u32 v40, v23, s15
	v_mad_u64_u32 v[37:38], null, v23, s14, 0
	s_and_not1_b32 vcc_lo, exec_lo, s13
	s_delay_alu instid0(VALU_DEP_1) | instskip(NEXT) | instid1(VALU_DEP_1)
	v_add3_u32 v38, v38, v40, v39
	v_lshlrev_b64 v[37:38], 1, v[37:38]
	s_cbranch_vccnz .LBB1479_66
; %bb.58:
	s_delay_alu instid0(VALU_DEP_1) | instskip(NEXT) | instid1(VALU_DEP_2)
	v_add_co_u32 v39, vcc_lo, s20, v37
	v_add_co_ci_u32_e32 v40, vcc_lo, s21, v38, vcc_lo
	v_add_co_u32 v35, vcc_lo, s20, v35
	v_add_co_ci_u32_e32 v36, vcc_lo, s21, v36, vcc_lo
	s_mov_b32 s1, -1
	s_clause 0x1
	global_load_u16 v41, v[39:40], off
	global_load_u16 v42, v[35:36], off
	s_mov_b32 s25, exec_lo
	s_waitcnt vmcnt(0)
	v_cmpx_eq_u16_e64 v41, v42
	s_cbranch_execz .LBB1479_65
; %bb.59:
	v_add_co_u32 v35, vcc_lo, v35, 2
	v_add_co_ci_u32_e32 v36, vcc_lo, 0, v36, vcc_lo
	v_add_co_u32 v39, vcc_lo, v39, 2
	v_add_co_ci_u32_e32 v40, vcc_lo, 0, v40, vcc_lo
	s_add_u32 s4, s14, -1
	s_addc_u32 s5, s15, -1
	s_mov_b64 s[6:7], 0
	s_mov_b32 s1, 0
                                        ; implicit-def: $sgpr26
	s_set_inst_prefetch_distance 0x1
	s_branch .LBB1479_62
	.p2align	6
.LBB1479_60:                            ;   in Loop: Header=BB1479_62 Depth=1
	global_load_u16 v41, v[39:40], off
	global_load_u16 v42, v[35:36], off
	v_add_co_u32 v35, vcc_lo, v35, 2
	v_add_co_ci_u32_e32 v36, vcc_lo, 0, v36, vcc_lo
	v_add_co_u32 v39, s0, v39, 2
	s_delay_alu instid0(VALU_DEP_1)
	v_add_co_ci_u32_e64 v40, s0, 0, v40, s0
	s_add_u32 s6, s6, 1
	s_addc_u32 s7, s7, 0
	s_and_not1_b32 s0, s26, exec_lo
	s_waitcnt vmcnt(0)
	v_cmp_ne_u16_e32 vcc_lo, v41, v42
	s_and_b32 s26, vcc_lo, exec_lo
	s_delay_alu instid0(SALU_CYCLE_1)
	s_or_b32 s26, s0, s26
.LBB1479_61:                            ;   in Loop: Header=BB1479_62 Depth=1
	v_dual_mov_b32 v42, s7 :: v_dual_mov_b32 v41, s6
	s_and_b32 s0, exec_lo, s26
	s_delay_alu instid0(SALU_CYCLE_1) | instskip(NEXT) | instid1(SALU_CYCLE_1)
	s_or_b32 s1, s0, s1
	s_and_not1_b32 exec_lo, exec_lo, s1
	s_cbranch_execz .LBB1479_64
.LBB1479_62:                            ; =>This Inner Loop Header: Depth=1
	s_or_b32 s26, s26, exec_lo
	s_cmp_eq_u64 s[4:5], s[6:7]
	s_cbranch_scc0 .LBB1479_60
; %bb.63:                               ;   in Loop: Header=BB1479_62 Depth=1
	s_mov_b64 s[6:7], s[14:15]
                                        ; implicit-def: $vgpr35_vgpr36
                                        ; implicit-def: $vgpr39_vgpr40
	s_branch .LBB1479_61
.LBB1479_64:
	s_set_inst_prefetch_distance 0x2
	s_or_b32 exec_lo, exec_lo, s1
	v_cmp_gt_i64_e32 vcc_lo, s[14:15], v[41:42]
	s_or_not1_b32 s1, vcc_lo, exec_lo
.LBB1479_65:
	s_or_b32 exec_lo, exec_lo, s25
.LBB1479_66:
	v_mul_lo_u32 v39, v22, s14
	v_mul_lo_u32 v40, v21, s15
	v_mad_u64_u32 v[35:36], null, v21, s14, 0
	s_mov_b32 s25, 0
	s_and_not1_b32 vcc_lo, exec_lo, s13
	s_mov_b32 s26, 0
	s_delay_alu instid0(VALU_DEP_1) | instskip(NEXT) | instid1(VALU_DEP_1)
	v_add3_u32 v36, v36, v40, v39
	v_lshlrev_b64 v[39:40], 1, v[35:36]
	s_cbranch_vccnz .LBB1479_75
; %bb.67:
	s_delay_alu instid0(VALU_DEP_1) | instskip(NEXT) | instid1(VALU_DEP_2)
	v_add_co_u32 v41, vcc_lo, s20, v39
	v_add_co_ci_u32_e32 v42, vcc_lo, s21, v40, vcc_lo
	v_add_co_u32 v35, vcc_lo, s20, v37
	v_add_co_ci_u32_e32 v36, vcc_lo, s21, v38, vcc_lo
	s_mov_b32 s26, -1
	s_clause 0x1
	global_load_u16 v37, v[41:42], off
	global_load_u16 v38, v[35:36], off
	s_mov_b32 s27, exec_lo
	s_waitcnt vmcnt(0)
	v_cmpx_eq_u16_e64 v37, v38
	s_cbranch_execz .LBB1479_74
; %bb.68:
	v_add_co_u32 v35, vcc_lo, v35, 2
	v_add_co_ci_u32_e32 v36, vcc_lo, 0, v36, vcc_lo
	v_add_co_u32 v37, vcc_lo, v41, 2
	v_add_co_ci_u32_e32 v38, vcc_lo, 0, v42, vcc_lo
	s_add_u32 s4, s14, -1
	s_addc_u32 s5, s15, -1
	s_mov_b64 s[6:7], 0
	s_mov_b32 s26, 0
                                        ; implicit-def: $sgpr34
	s_set_inst_prefetch_distance 0x1
	s_branch .LBB1479_71
	.p2align	6
.LBB1479_69:                            ;   in Loop: Header=BB1479_71 Depth=1
	global_load_u16 v41, v[37:38], off
	global_load_u16 v42, v[35:36], off
	v_add_co_u32 v35, vcc_lo, v35, 2
	v_add_co_ci_u32_e32 v36, vcc_lo, 0, v36, vcc_lo
	v_add_co_u32 v37, s0, v37, 2
	s_delay_alu instid0(VALU_DEP_1)
	v_add_co_ci_u32_e64 v38, s0, 0, v38, s0
	s_add_u32 s6, s6, 1
	s_addc_u32 s7, s7, 0
	s_and_not1_b32 s0, s34, exec_lo
	s_waitcnt vmcnt(0)
	v_cmp_ne_u16_e32 vcc_lo, v41, v42
	s_and_b32 s34, vcc_lo, exec_lo
	s_delay_alu instid0(SALU_CYCLE_1)
	s_or_b32 s34, s0, s34
.LBB1479_70:                            ;   in Loop: Header=BB1479_71 Depth=1
	v_dual_mov_b32 v42, s7 :: v_dual_mov_b32 v41, s6
	s_and_b32 s0, exec_lo, s34
	s_delay_alu instid0(SALU_CYCLE_1) | instskip(NEXT) | instid1(SALU_CYCLE_1)
	s_or_b32 s26, s0, s26
	s_and_not1_b32 exec_lo, exec_lo, s26
	s_cbranch_execz .LBB1479_73
.LBB1479_71:                            ; =>This Inner Loop Header: Depth=1
	s_or_b32 s34, s34, exec_lo
	s_cmp_eq_u64 s[4:5], s[6:7]
	s_cbranch_scc0 .LBB1479_69
; %bb.72:                               ;   in Loop: Header=BB1479_71 Depth=1
	s_mov_b64 s[6:7], s[14:15]
                                        ; implicit-def: $vgpr35_vgpr36
                                        ; implicit-def: $vgpr37_vgpr38
	s_branch .LBB1479_70
.LBB1479_73:
	s_set_inst_prefetch_distance 0x2
	s_or_b32 exec_lo, exec_lo, s26
	v_cmp_gt_i64_e32 vcc_lo, s[14:15], v[41:42]
	s_or_not1_b32 s26, vcc_lo, exec_lo
.LBB1479_74:
	s_or_b32 exec_lo, exec_lo, s27
.LBB1479_75:
	v_mul_lo_u32 v37, v28, s14
	v_mul_lo_u32 v38, v27, s15
	v_mad_u64_u32 v[35:36], null, v27, s14, 0
	s_and_not1_b32 vcc_lo, exec_lo, s13
	s_delay_alu instid0(VALU_DEP_1) | instskip(NEXT) | instid1(VALU_DEP_1)
	v_add3_u32 v36, v36, v38, v37
	v_lshlrev_b64 v[35:36], 1, v[35:36]
	s_cbranch_vccnz .LBB1479_84
; %bb.76:
	s_delay_alu instid0(VALU_DEP_1) | instskip(NEXT) | instid1(VALU_DEP_2)
	v_add_co_u32 v41, vcc_lo, s20, v35
	v_add_co_ci_u32_e32 v42, vcc_lo, s21, v36, vcc_lo
	v_add_co_u32 v37, vcc_lo, s20, v39
	v_add_co_ci_u32_e32 v38, vcc_lo, s21, v40, vcc_lo
	s_mov_b32 s25, -1
	s_clause 0x1
	global_load_u16 v39, v[41:42], off
	global_load_u16 v40, v[37:38], off
	s_mov_b32 s27, exec_lo
	s_waitcnt vmcnt(0)
	v_cmpx_eq_u16_e64 v39, v40
	s_cbranch_execz .LBB1479_83
; %bb.77:
	v_add_co_u32 v37, vcc_lo, v37, 2
	v_add_co_ci_u32_e32 v38, vcc_lo, 0, v38, vcc_lo
	v_add_co_u32 v39, vcc_lo, v41, 2
	v_add_co_ci_u32_e32 v40, vcc_lo, 0, v42, vcc_lo
	s_add_u32 s4, s14, -1
	s_addc_u32 s5, s15, -1
	s_mov_b64 s[6:7], 0
	s_mov_b32 s25, 0
                                        ; implicit-def: $sgpr34
	s_set_inst_prefetch_distance 0x1
	s_branch .LBB1479_80
	.p2align	6
.LBB1479_78:                            ;   in Loop: Header=BB1479_80 Depth=1
	global_load_u16 v41, v[39:40], off
	global_load_u16 v42, v[37:38], off
	v_add_co_u32 v37, vcc_lo, v37, 2
	v_add_co_ci_u32_e32 v38, vcc_lo, 0, v38, vcc_lo
	v_add_co_u32 v39, s0, v39, 2
	s_delay_alu instid0(VALU_DEP_1)
	v_add_co_ci_u32_e64 v40, s0, 0, v40, s0
	s_add_u32 s6, s6, 1
	s_addc_u32 s7, s7, 0
	s_and_not1_b32 s0, s34, exec_lo
	s_waitcnt vmcnt(0)
	v_cmp_ne_u16_e32 vcc_lo, v41, v42
	s_and_b32 s34, vcc_lo, exec_lo
	s_delay_alu instid0(SALU_CYCLE_1)
	s_or_b32 s34, s0, s34
.LBB1479_79:                            ;   in Loop: Header=BB1479_80 Depth=1
	v_dual_mov_b32 v42, s7 :: v_dual_mov_b32 v41, s6
	s_and_b32 s0, exec_lo, s34
	s_delay_alu instid0(SALU_CYCLE_1) | instskip(NEXT) | instid1(SALU_CYCLE_1)
	s_or_b32 s25, s0, s25
	s_and_not1_b32 exec_lo, exec_lo, s25
	s_cbranch_execz .LBB1479_82
.LBB1479_80:                            ; =>This Inner Loop Header: Depth=1
	s_or_b32 s34, s34, exec_lo
	s_cmp_eq_u64 s[4:5], s[6:7]
	s_cbranch_scc0 .LBB1479_78
; %bb.81:                               ;   in Loop: Header=BB1479_80 Depth=1
	s_mov_b64 s[6:7], s[14:15]
                                        ; implicit-def: $vgpr37_vgpr38
                                        ; implicit-def: $vgpr39_vgpr40
	s_branch .LBB1479_79
.LBB1479_82:
	s_set_inst_prefetch_distance 0x2
	s_or_b32 exec_lo, exec_lo, s25
	v_cmp_gt_i64_e32 vcc_lo, s[14:15], v[41:42]
	s_or_not1_b32 s25, vcc_lo, exec_lo
.LBB1479_83:
	s_or_b32 exec_lo, exec_lo, s27
.LBB1479_84:
	v_mul_lo_u32 v39, v26, s14
	v_mul_lo_u32 v40, v25, s15
	v_mad_u64_u32 v[37:38], null, v25, s14, 0
	s_mov_b32 s27, 0
	s_and_not1_b32 vcc_lo, exec_lo, s13
	s_mov_b32 s34, 0
	s_delay_alu instid0(VALU_DEP_1) | instskip(NEXT) | instid1(VALU_DEP_1)
	v_add3_u32 v38, v38, v40, v39
	v_lshlrev_b64 v[39:40], 1, v[37:38]
	s_cbranch_vccnz .LBB1479_93
; %bb.85:
	s_delay_alu instid0(VALU_DEP_1) | instskip(NEXT) | instid1(VALU_DEP_2)
	v_add_co_u32 v37, vcc_lo, s20, v39
	v_add_co_ci_u32_e32 v38, vcc_lo, s21, v40, vcc_lo
	v_add_co_u32 v35, vcc_lo, s20, v35
	v_add_co_ci_u32_e32 v36, vcc_lo, s21, v36, vcc_lo
	s_mov_b32 s34, -1
	s_clause 0x1
	global_load_u16 v41, v[37:38], off
	global_load_u16 v42, v[35:36], off
	s_mov_b32 s35, exec_lo
	s_waitcnt vmcnt(0)
	v_cmpx_eq_u16_e64 v41, v42
	s_cbranch_execz .LBB1479_92
; %bb.86:
	v_add_co_u32 v35, vcc_lo, v35, 2
	v_add_co_ci_u32_e32 v36, vcc_lo, 0, v36, vcc_lo
	v_add_co_u32 v37, vcc_lo, v37, 2
	v_add_co_ci_u32_e32 v38, vcc_lo, 0, v38, vcc_lo
	s_add_u32 s4, s14, -1
	s_addc_u32 s5, s15, -1
	s_mov_b64 s[6:7], 0
	s_mov_b32 s34, 0
                                        ; implicit-def: $sgpr36
	s_set_inst_prefetch_distance 0x1
	s_branch .LBB1479_89
	.p2align	6
.LBB1479_87:                            ;   in Loop: Header=BB1479_89 Depth=1
	global_load_u16 v41, v[37:38], off
	global_load_u16 v42, v[35:36], off
	v_add_co_u32 v35, vcc_lo, v35, 2
	v_add_co_ci_u32_e32 v36, vcc_lo, 0, v36, vcc_lo
	v_add_co_u32 v37, s0, v37, 2
	s_delay_alu instid0(VALU_DEP_1)
	v_add_co_ci_u32_e64 v38, s0, 0, v38, s0
	s_add_u32 s6, s6, 1
	s_addc_u32 s7, s7, 0
	s_and_not1_b32 s0, s36, exec_lo
	s_waitcnt vmcnt(0)
	v_cmp_ne_u16_e32 vcc_lo, v41, v42
	s_and_b32 s36, vcc_lo, exec_lo
	s_delay_alu instid0(SALU_CYCLE_1)
	s_or_b32 s36, s0, s36
.LBB1479_88:                            ;   in Loop: Header=BB1479_89 Depth=1
	v_dual_mov_b32 v42, s7 :: v_dual_mov_b32 v41, s6
	s_and_b32 s0, exec_lo, s36
	s_delay_alu instid0(SALU_CYCLE_1) | instskip(NEXT) | instid1(SALU_CYCLE_1)
	s_or_b32 s34, s0, s34
	s_and_not1_b32 exec_lo, exec_lo, s34
	s_cbranch_execz .LBB1479_91
.LBB1479_89:                            ; =>This Inner Loop Header: Depth=1
	s_or_b32 s36, s36, exec_lo
	s_cmp_eq_u64 s[4:5], s[6:7]
	s_cbranch_scc0 .LBB1479_87
; %bb.90:                               ;   in Loop: Header=BB1479_89 Depth=1
	s_mov_b64 s[6:7], s[14:15]
                                        ; implicit-def: $vgpr35_vgpr36
                                        ; implicit-def: $vgpr37_vgpr38
	s_branch .LBB1479_88
.LBB1479_91:
	s_set_inst_prefetch_distance 0x2
	s_or_b32 exec_lo, exec_lo, s34
	v_cmp_gt_i64_e32 vcc_lo, s[14:15], v[41:42]
	s_or_not1_b32 s34, vcc_lo, exec_lo
.LBB1479_92:
	s_or_b32 exec_lo, exec_lo, s35
.LBB1479_93:
	v_mul_lo_u32 v37, v32, s14
	v_mul_lo_u32 v38, v31, s15
	v_mad_u64_u32 v[35:36], null, v31, s14, 0
	s_and_not1_b32 vcc_lo, exec_lo, s13
	s_delay_alu instid0(VALU_DEP_1) | instskip(NEXT) | instid1(VALU_DEP_1)
	v_add3_u32 v36, v36, v38, v37
	v_lshlrev_b64 v[37:38], 1, v[35:36]
	s_cbranch_vccnz .LBB1479_102
; %bb.94:
	s_delay_alu instid0(VALU_DEP_1) | instskip(NEXT) | instid1(VALU_DEP_2)
	v_add_co_u32 v41, vcc_lo, s20, v37
	v_add_co_ci_u32_e32 v42, vcc_lo, s21, v38, vcc_lo
	v_add_co_u32 v35, vcc_lo, s20, v39
	v_add_co_ci_u32_e32 v36, vcc_lo, s21, v40, vcc_lo
	s_mov_b32 s27, -1
	s_clause 0x1
	global_load_u16 v39, v[41:42], off
	global_load_u16 v40, v[35:36], off
	s_mov_b32 s35, exec_lo
	s_waitcnt vmcnt(0)
	v_cmpx_eq_u16_e64 v39, v40
	s_cbranch_execz .LBB1479_101
; %bb.95:
	v_add_co_u32 v35, vcc_lo, v35, 2
	v_add_co_ci_u32_e32 v36, vcc_lo, 0, v36, vcc_lo
	v_add_co_u32 v39, vcc_lo, v41, 2
	v_add_co_ci_u32_e32 v40, vcc_lo, 0, v42, vcc_lo
	s_add_u32 s4, s14, -1
	s_addc_u32 s5, s15, -1
	s_mov_b64 s[6:7], 0
	s_mov_b32 s27, 0
                                        ; implicit-def: $sgpr36
	s_set_inst_prefetch_distance 0x1
	s_branch .LBB1479_98
	.p2align	6
.LBB1479_96:                            ;   in Loop: Header=BB1479_98 Depth=1
	global_load_u16 v41, v[39:40], off
	global_load_u16 v42, v[35:36], off
	v_add_co_u32 v35, vcc_lo, v35, 2
	v_add_co_ci_u32_e32 v36, vcc_lo, 0, v36, vcc_lo
	v_add_co_u32 v39, s0, v39, 2
	s_delay_alu instid0(VALU_DEP_1)
	v_add_co_ci_u32_e64 v40, s0, 0, v40, s0
	s_add_u32 s6, s6, 1
	s_addc_u32 s7, s7, 0
	s_and_not1_b32 s0, s36, exec_lo
	s_waitcnt vmcnt(0)
	v_cmp_ne_u16_e32 vcc_lo, v41, v42
	s_and_b32 s36, vcc_lo, exec_lo
	s_delay_alu instid0(SALU_CYCLE_1)
	s_or_b32 s36, s0, s36
.LBB1479_97:                            ;   in Loop: Header=BB1479_98 Depth=1
	v_dual_mov_b32 v42, s7 :: v_dual_mov_b32 v41, s6
	s_and_b32 s0, exec_lo, s36
	s_delay_alu instid0(SALU_CYCLE_1) | instskip(NEXT) | instid1(SALU_CYCLE_1)
	s_or_b32 s27, s0, s27
	s_and_not1_b32 exec_lo, exec_lo, s27
	s_cbranch_execz .LBB1479_100
.LBB1479_98:                            ; =>This Inner Loop Header: Depth=1
	s_or_b32 s36, s36, exec_lo
	s_cmp_eq_u64 s[4:5], s[6:7]
	s_cbranch_scc0 .LBB1479_96
; %bb.99:                               ;   in Loop: Header=BB1479_98 Depth=1
	s_mov_b64 s[6:7], s[14:15]
                                        ; implicit-def: $vgpr35_vgpr36
                                        ; implicit-def: $vgpr39_vgpr40
	s_branch .LBB1479_97
.LBB1479_100:
	s_set_inst_prefetch_distance 0x2
	s_or_b32 exec_lo, exec_lo, s27
	v_cmp_gt_i64_e32 vcc_lo, s[14:15], v[41:42]
	s_or_not1_b32 s27, vcc_lo, exec_lo
.LBB1479_101:
	s_or_b32 exec_lo, exec_lo, s35
.LBB1479_102:
	v_mul_lo_u32 v39, v30, s14
	v_mul_lo_u32 v40, v29, s15
	v_mad_u64_u32 v[35:36], null, v29, s14, 0
	s_and_not1_b32 vcc_lo, exec_lo, s13
	s_mov_b32 s0, 0
	s_delay_alu instid0(VALU_DEP_1) | instskip(NEXT) | instid1(VALU_DEP_1)
	v_add3_u32 v36, v36, v40, v39
	v_lshlrev_b64 v[35:36], 1, v[35:36]
	s_cbranch_vccnz .LBB1479_111
; %bb.103:
	s_delay_alu instid0(VALU_DEP_1) | instskip(NEXT) | instid1(VALU_DEP_2)
	v_add_co_u32 v39, vcc_lo, s20, v35
	v_add_co_ci_u32_e32 v40, vcc_lo, s21, v36, vcc_lo
	v_add_co_u32 v37, vcc_lo, s20, v37
	v_add_co_ci_u32_e32 v38, vcc_lo, s21, v38, vcc_lo
	s_mov_b32 s0, -1
	s_clause 0x1
	global_load_u16 v41, v[39:40], off
	global_load_u16 v42, v[37:38], off
	s_mov_b32 s35, exec_lo
	s_waitcnt vmcnt(0)
	v_cmpx_eq_u16_e64 v41, v42
	s_cbranch_execz .LBB1479_110
; %bb.104:
	v_add_co_u32 v37, vcc_lo, v37, 2
	v_add_co_ci_u32_e32 v38, vcc_lo, 0, v38, vcc_lo
	v_add_co_u32 v39, vcc_lo, v39, 2
	v_add_co_ci_u32_e32 v40, vcc_lo, 0, v40, vcc_lo
	s_add_u32 s4, s14, -1
	s_addc_u32 s5, s15, -1
	s_mov_b64 s[6:7], 0
	s_mov_b32 s36, 0
                                        ; implicit-def: $sgpr37
	s_set_inst_prefetch_distance 0x1
	s_branch .LBB1479_107
	.p2align	6
.LBB1479_105:                           ;   in Loop: Header=BB1479_107 Depth=1
	global_load_u16 v41, v[39:40], off
	global_load_u16 v42, v[37:38], off
	v_add_co_u32 v37, vcc_lo, v37, 2
	v_add_co_ci_u32_e32 v38, vcc_lo, 0, v38, vcc_lo
	v_add_co_u32 v39, s0, v39, 2
	s_delay_alu instid0(VALU_DEP_1)
	v_add_co_ci_u32_e64 v40, s0, 0, v40, s0
	s_add_u32 s6, s6, 1
	s_addc_u32 s7, s7, 0
	s_and_not1_b32 s0, s37, exec_lo
	s_waitcnt vmcnt(0)
	v_cmp_ne_u16_e32 vcc_lo, v41, v42
	s_and_b32 s37, vcc_lo, exec_lo
	s_delay_alu instid0(SALU_CYCLE_1)
	s_or_b32 s37, s0, s37
.LBB1479_106:                           ;   in Loop: Header=BB1479_107 Depth=1
	v_dual_mov_b32 v42, s7 :: v_dual_mov_b32 v41, s6
	s_and_b32 s0, exec_lo, s37
	s_delay_alu instid0(SALU_CYCLE_1) | instskip(NEXT) | instid1(SALU_CYCLE_1)
	s_or_b32 s36, s0, s36
	s_and_not1_b32 exec_lo, exec_lo, s36
	s_cbranch_execz .LBB1479_109
.LBB1479_107:                           ; =>This Inner Loop Header: Depth=1
	s_or_b32 s37, s37, exec_lo
	s_cmp_eq_u64 s[4:5], s[6:7]
	s_cbranch_scc0 .LBB1479_105
; %bb.108:                              ;   in Loop: Header=BB1479_107 Depth=1
	s_mov_b64 s[6:7], s[14:15]
                                        ; implicit-def: $vgpr37_vgpr38
                                        ; implicit-def: $vgpr39_vgpr40
	s_branch .LBB1479_106
.LBB1479_109:
	s_set_inst_prefetch_distance 0x2
	s_or_b32 exec_lo, exec_lo, s36
	v_cmp_gt_i64_e32 vcc_lo, s[14:15], v[41:42]
	s_or_not1_b32 s0, vcc_lo, exec_lo
.LBB1479_110:
	s_or_b32 exec_lo, exec_lo, s35
.LBB1479_111:
	s_waitcnt vmcnt(0)
	v_dual_mov_b32 v38, v34 :: v_dual_mov_b32 v37, v33
	s_waitcnt lgkmcnt(0)
	s_barrier
	buffer_gl0_inv
	s_and_saveexec_b32 s4, s3
	s_cbranch_execz .LBB1479_113
; %bb.112:
	v_add_nc_u32_e32 v37, -8, v55
	ds_load_b64 v[37:38], v37
.LBB1479_113:
	s_or_b32 exec_lo, exec_lo, s4
	v_cndmask_b32_e64 v40, 0, 1, s34
	v_cndmask_b32_e64 v42, 0, 1, s26
	;; [unrolled: 1-line block ×7, first 2 shown]
	v_lshlrev_b16 v40, 8, v40
	v_lshlrev_b16 v42, 8, v42
	v_lshlrev_b16 v44, 8, v44
	v_lshlrev_b16 v45, 8, v45
	s_mov_b32 s1, 0
	v_or_b32_e32 v39, v39, v40
	v_or_b32_e32 v40, v41, v42
	;; [unrolled: 1-line block ×3, first 2 shown]
	v_and_b32_e32 v41, 0xffff, v45
	s_and_not1_b32 vcc_lo, exec_lo, s13
	v_lshlrev_b32_e32 v42, 16, v39
	v_and_b32_e32 v44, 0xffff, v40
	v_lshlrev_b32_e32 v45, 16, v46
	s_mov_b32 s0, 0
	s_cbranch_vccnz .LBB1479_122
; %bb.114:
	s_waitcnt lgkmcnt(0)
	v_mul_lo_u32 v40, v38, s14
	v_mul_lo_u32 v46, v37, s15
	v_mad_u64_u32 v[38:39], null, v37, s14, 0
	s_mov_b32 s0, -1
	s_mov_b32 s24, exec_lo
	s_delay_alu instid0(VALU_DEP_1) | instskip(NEXT) | instid1(VALU_DEP_1)
	v_add3_u32 v39, v39, v46, v40
	v_lshlrev_b64 v[37:38], 1, v[38:39]
	s_delay_alu instid0(VALU_DEP_1) | instskip(NEXT) | instid1(VALU_DEP_2)
	v_add_co_u32 v37, vcc_lo, s20, v37
	v_add_co_ci_u32_e32 v38, vcc_lo, s21, v38, vcc_lo
	v_add_co_u32 v35, vcc_lo, s20, v35
	v_add_co_ci_u32_e32 v36, vcc_lo, s21, v36, vcc_lo
	s_clause 0x1
	global_load_u16 v39, v[37:38], off
	global_load_u16 v40, v[35:36], off
	s_waitcnt vmcnt(0)
	v_cmpx_eq_u16_e64 v39, v40
	s_cbranch_execz .LBB1479_121
; %bb.115:
	v_add_co_u32 v35, vcc_lo, v35, 2
	v_add_co_ci_u32_e32 v36, vcc_lo, 0, v36, vcc_lo
	v_add_co_u32 v37, vcc_lo, v37, 2
	v_add_co_ci_u32_e32 v38, vcc_lo, 0, v38, vcc_lo
	s_add_u32 s4, s14, -1
	s_addc_u32 s5, s15, -1
	s_mov_b64 s[6:7], 0
	s_mov_b32 s25, 0
                                        ; implicit-def: $sgpr26
	s_set_inst_prefetch_distance 0x1
	s_branch .LBB1479_118
	.p2align	6
.LBB1479_116:                           ;   in Loop: Header=BB1479_118 Depth=1
	global_load_u16 v39, v[37:38], off
	global_load_u16 v40, v[35:36], off
	v_add_co_u32 v35, vcc_lo, v35, 2
	v_add_co_ci_u32_e32 v36, vcc_lo, 0, v36, vcc_lo
	v_add_co_u32 v37, s0, v37, 2
	s_delay_alu instid0(VALU_DEP_1)
	v_add_co_ci_u32_e64 v38, s0, 0, v38, s0
	s_add_u32 s6, s6, 1
	s_addc_u32 s7, s7, 0
	s_and_not1_b32 s0, s26, exec_lo
	s_waitcnt vmcnt(0)
	v_cmp_ne_u16_e32 vcc_lo, v39, v40
	s_and_b32 s26, vcc_lo, exec_lo
	s_delay_alu instid0(SALU_CYCLE_1)
	s_or_b32 s26, s0, s26
.LBB1479_117:                           ;   in Loop: Header=BB1479_118 Depth=1
	v_dual_mov_b32 v40, s7 :: v_dual_mov_b32 v39, s6
	s_and_b32 s0, exec_lo, s26
	s_delay_alu instid0(SALU_CYCLE_1) | instskip(NEXT) | instid1(SALU_CYCLE_1)
	s_or_b32 s25, s0, s25
	s_and_not1_b32 exec_lo, exec_lo, s25
	s_cbranch_execz .LBB1479_120
.LBB1479_118:                           ; =>This Inner Loop Header: Depth=1
	s_or_b32 s26, s26, exec_lo
	s_cmp_eq_u64 s[4:5], s[6:7]
	s_cbranch_scc0 .LBB1479_116
; %bb.119:                              ;   in Loop: Header=BB1479_118 Depth=1
	s_mov_b64 s[6:7], s[14:15]
                                        ; implicit-def: $vgpr35_vgpr36
                                        ; implicit-def: $vgpr37_vgpr38
	s_branch .LBB1479_117
.LBB1479_120:
	s_set_inst_prefetch_distance 0x2
	s_or_b32 exec_lo, exec_lo, s25
	v_cmp_gt_i64_e32 vcc_lo, s[14:15], v[39:40]
	s_or_not1_b32 s0, vcc_lo, exec_lo
.LBB1479_121:
	s_or_b32 exec_lo, exec_lo, s24
.LBB1479_122:
	v_or_b32_e32 v35, v41, v42
	s_delay_alu instid0(VALU_DEP_2)
	v_or_b32_e32 v36, v44, v45
	s_and_b32 vcc_lo, exec_lo, s1
	s_cbranch_vccz .LBB1479_214
.LBB1479_123:
	v_or_b32_e32 v35, 7, v55
	s_mov_b32 s1, 0
	s_mov_b32 s24, 0
	s_mov_b32 s25, exec_lo
	s_delay_alu instid0(VALU_DEP_1)
	v_cmpx_gt_u32_e64 s31, v35
	s_cbranch_execz .LBB1479_134
; %bb.124:
	s_and_not1_b32 vcc_lo, exec_lo, s13
	s_mov_b32 s0, 0
	s_cbranch_vccnz .LBB1479_133
; %bb.125:
	v_mul_lo_u32 v39, v18, s14
	v_mul_lo_u32 v40, v17, s15
	v_mad_u64_u32 v[35:36], null, v17, s14, 0
	v_mul_lo_u32 v41, v20, s14
	v_mul_lo_u32 v42, v19, s15
	s_waitcnt lgkmcnt(0)
	v_mad_u64_u32 v[37:38], null, v19, s14, 0
	s_mov_b32 s0, -1
	s_mov_b32 s13, exec_lo
	s_delay_alu instid0(VALU_DEP_4) | instskip(NEXT) | instid1(VALU_DEP_2)
	v_add3_u32 v36, v36, v40, v39
	v_add3_u32 v38, v38, v42, v41
	s_delay_alu instid0(VALU_DEP_2) | instskip(NEXT) | instid1(VALU_DEP_2)
	v_lshlrev_b64 v[35:36], 1, v[35:36]
	v_lshlrev_b64 v[39:40], 1, v[37:38]
	s_delay_alu instid0(VALU_DEP_2) | instskip(NEXT) | instid1(VALU_DEP_3)
	v_add_co_u32 v37, vcc_lo, s20, v35
	v_add_co_ci_u32_e32 v38, vcc_lo, s21, v36, vcc_lo
	s_delay_alu instid0(VALU_DEP_3) | instskip(NEXT) | instid1(VALU_DEP_4)
	v_add_co_u32 v35, vcc_lo, s20, v39
	v_add_co_ci_u32_e32 v36, vcc_lo, s21, v40, vcc_lo
	s_clause 0x1
	global_load_u16 v39, v[37:38], off
	global_load_u16 v40, v[35:36], off
	s_waitcnt vmcnt(0)
	v_cmpx_eq_u16_e64 v39, v40
	s_cbranch_execz .LBB1479_132
; %bb.126:
	v_add_co_u32 v35, vcc_lo, v35, 2
	v_add_co_ci_u32_e32 v36, vcc_lo, 0, v36, vcc_lo
	v_add_co_u32 v37, vcc_lo, v37, 2
	v_add_co_ci_u32_e32 v38, vcc_lo, 0, v38, vcc_lo
	s_add_u32 s4, s14, -1
	s_addc_u32 s5, s15, -1
	s_mov_b64 s[6:7], 0
                                        ; implicit-def: $sgpr26
	s_set_inst_prefetch_distance 0x1
	s_branch .LBB1479_129
	.p2align	6
.LBB1479_127:                           ;   in Loop: Header=BB1479_129 Depth=1
	global_load_u16 v39, v[37:38], off
	global_load_u16 v40, v[35:36], off
	v_add_co_u32 v35, vcc_lo, v35, 2
	v_add_co_ci_u32_e32 v36, vcc_lo, 0, v36, vcc_lo
	v_add_co_u32 v37, s0, v37, 2
	s_delay_alu instid0(VALU_DEP_1)
	v_add_co_ci_u32_e64 v38, s0, 0, v38, s0
	s_add_u32 s6, s6, 1
	s_addc_u32 s7, s7, 0
	s_and_not1_b32 s0, s26, exec_lo
	s_waitcnt vmcnt(0)
	v_cmp_ne_u16_e32 vcc_lo, v39, v40
	s_and_b32 s26, vcc_lo, exec_lo
	s_delay_alu instid0(SALU_CYCLE_1)
	s_or_b32 s26, s0, s26
.LBB1479_128:                           ;   in Loop: Header=BB1479_129 Depth=1
	v_dual_mov_b32 v40, s7 :: v_dual_mov_b32 v39, s6
	s_and_b32 s0, exec_lo, s26
	s_delay_alu instid0(SALU_CYCLE_1) | instskip(NEXT) | instid1(SALU_CYCLE_1)
	s_or_b32 s24, s0, s24
	s_and_not1_b32 exec_lo, exec_lo, s24
	s_cbranch_execz .LBB1479_131
.LBB1479_129:                           ; =>This Inner Loop Header: Depth=1
	s_or_b32 s26, s26, exec_lo
	s_cmp_eq_u64 s[4:5], s[6:7]
	s_cbranch_scc0 .LBB1479_127
; %bb.130:                              ;   in Loop: Header=BB1479_129 Depth=1
	s_mov_b64 s[6:7], s[14:15]
                                        ; implicit-def: $vgpr35_vgpr36
                                        ; implicit-def: $vgpr37_vgpr38
	s_branch .LBB1479_128
.LBB1479_131:
	s_set_inst_prefetch_distance 0x2
	s_or_b32 exec_lo, exec_lo, s24
	v_cmp_gt_i64_e32 vcc_lo, s[14:15], v[39:40]
	s_or_not1_b32 s0, vcc_lo, exec_lo
.LBB1479_132:
	s_or_b32 exec_lo, exec_lo, s13
.LBB1479_133:
	s_delay_alu instid0(SALU_CYCLE_1)
	s_and_b32 s24, s0, exec_lo
.LBB1479_134:
	s_or_b32 exec_lo, exec_lo, s25
	v_or_b32_e32 v35, 6, v55
	s_mov_b32 s13, exec_lo
	s_delay_alu instid0(VALU_DEP_1)
	v_cmpx_gt_u32_e64 s31, v35
	s_cbranch_execz .LBB1479_145
; %bb.135:
	v_cmp_ne_u32_e32 vcc_lo, 1, v43
	s_mov_b32 s0, 0
	s_cbranch_vccnz .LBB1479_144
; %bb.136:
	v_mul_lo_u32 v39, v24, s14
	v_mul_lo_u32 v40, v23, s15
	v_mad_u64_u32 v[35:36], null, v23, s14, 0
	v_mul_lo_u32 v41, v18, s14
	v_mul_lo_u32 v42, v17, s15
	s_waitcnt lgkmcnt(0)
	v_mad_u64_u32 v[37:38], null, v17, s14, 0
	s_mov_b32 s0, -1
	s_mov_b32 s1, exec_lo
	s_delay_alu instid0(VALU_DEP_4) | instskip(NEXT) | instid1(VALU_DEP_2)
	v_add3_u32 v36, v36, v40, v39
	v_add3_u32 v38, v38, v42, v41
	s_delay_alu instid0(VALU_DEP_2) | instskip(NEXT) | instid1(VALU_DEP_2)
	v_lshlrev_b64 v[35:36], 1, v[35:36]
	v_lshlrev_b64 v[39:40], 1, v[37:38]
	s_delay_alu instid0(VALU_DEP_2) | instskip(NEXT) | instid1(VALU_DEP_3)
	v_add_co_u32 v37, vcc_lo, s20, v35
	v_add_co_ci_u32_e32 v38, vcc_lo, s21, v36, vcc_lo
	s_delay_alu instid0(VALU_DEP_3) | instskip(NEXT) | instid1(VALU_DEP_4)
	v_add_co_u32 v35, vcc_lo, s20, v39
	v_add_co_ci_u32_e32 v36, vcc_lo, s21, v40, vcc_lo
	s_clause 0x1
	global_load_u16 v39, v[37:38], off
	global_load_u16 v40, v[35:36], off
	s_waitcnt vmcnt(0)
	v_cmpx_eq_u16_e64 v39, v40
	s_cbranch_execz .LBB1479_143
; %bb.137:
	v_add_co_u32 v35, vcc_lo, v35, 2
	v_add_co_ci_u32_e32 v36, vcc_lo, 0, v36, vcc_lo
	v_add_co_u32 v37, vcc_lo, v37, 2
	v_add_co_ci_u32_e32 v38, vcc_lo, 0, v38, vcc_lo
	s_add_u32 s4, s14, -1
	s_addc_u32 s5, s15, -1
	s_mov_b64 s[6:7], 0
	s_mov_b32 s25, 0
                                        ; implicit-def: $sgpr26
	s_set_inst_prefetch_distance 0x1
	s_branch .LBB1479_140
	.p2align	6
.LBB1479_138:                           ;   in Loop: Header=BB1479_140 Depth=1
	global_load_u16 v39, v[37:38], off
	global_load_u16 v40, v[35:36], off
	v_add_co_u32 v35, vcc_lo, v35, 2
	v_add_co_ci_u32_e32 v36, vcc_lo, 0, v36, vcc_lo
	v_add_co_u32 v37, s0, v37, 2
	s_delay_alu instid0(VALU_DEP_1)
	v_add_co_ci_u32_e64 v38, s0, 0, v38, s0
	s_add_u32 s6, s6, 1
	s_addc_u32 s7, s7, 0
	s_and_not1_b32 s0, s26, exec_lo
	s_waitcnt vmcnt(0)
	v_cmp_ne_u16_e32 vcc_lo, v39, v40
	s_and_b32 s26, vcc_lo, exec_lo
	s_delay_alu instid0(SALU_CYCLE_1)
	s_or_b32 s26, s0, s26
.LBB1479_139:                           ;   in Loop: Header=BB1479_140 Depth=1
	v_dual_mov_b32 v40, s7 :: v_dual_mov_b32 v39, s6
	s_and_b32 s0, exec_lo, s26
	s_delay_alu instid0(SALU_CYCLE_1) | instskip(NEXT) | instid1(SALU_CYCLE_1)
	s_or_b32 s25, s0, s25
	s_and_not1_b32 exec_lo, exec_lo, s25
	s_cbranch_execz .LBB1479_142
.LBB1479_140:                           ; =>This Inner Loop Header: Depth=1
	s_or_b32 s26, s26, exec_lo
	s_cmp_eq_u64 s[4:5], s[6:7]
	s_cbranch_scc0 .LBB1479_138
; %bb.141:                              ;   in Loop: Header=BB1479_140 Depth=1
	s_mov_b64 s[6:7], s[14:15]
                                        ; implicit-def: $vgpr35_vgpr36
                                        ; implicit-def: $vgpr37_vgpr38
	s_branch .LBB1479_139
.LBB1479_142:
	s_set_inst_prefetch_distance 0x2
	s_or_b32 exec_lo, exec_lo, s25
	v_cmp_gt_i64_e32 vcc_lo, s[14:15], v[39:40]
	s_or_not1_b32 s0, vcc_lo, exec_lo
.LBB1479_143:
	s_or_b32 exec_lo, exec_lo, s1
.LBB1479_144:
	s_delay_alu instid0(SALU_CYCLE_1)
	s_and_b32 s1, s0, exec_lo
.LBB1479_145:
	s_or_b32 exec_lo, exec_lo, s13
	v_or_b32_e32 v35, 5, v55
	s_mov_b32 s25, 0
	s_mov_b32 s13, 0
	s_mov_b32 s26, exec_lo
	s_delay_alu instid0(VALU_DEP_1)
	v_cmpx_gt_u32_e64 s31, v35
	s_cbranch_execz .LBB1479_156
; %bb.146:
	v_cmp_ne_u32_e32 vcc_lo, 1, v43
	s_mov_b32 s0, 0
	s_cbranch_vccnz .LBB1479_155
; %bb.147:
	v_mul_lo_u32 v39, v22, s14
	v_mul_lo_u32 v40, v21, s15
	v_mad_u64_u32 v[35:36], null, v21, s14, 0
	v_mul_lo_u32 v41, v24, s14
	v_mul_lo_u32 v42, v23, s15
	s_waitcnt lgkmcnt(0)
	v_mad_u64_u32 v[37:38], null, v23, s14, 0
	s_mov_b32 s0, -1
	s_mov_b32 s13, exec_lo
	s_delay_alu instid0(VALU_DEP_4) | instskip(NEXT) | instid1(VALU_DEP_2)
	v_add3_u32 v36, v36, v40, v39
	v_add3_u32 v38, v38, v42, v41
	s_delay_alu instid0(VALU_DEP_2) | instskip(NEXT) | instid1(VALU_DEP_2)
	v_lshlrev_b64 v[35:36], 1, v[35:36]
	v_lshlrev_b64 v[39:40], 1, v[37:38]
	s_delay_alu instid0(VALU_DEP_2) | instskip(NEXT) | instid1(VALU_DEP_3)
	v_add_co_u32 v37, vcc_lo, s20, v35
	v_add_co_ci_u32_e32 v38, vcc_lo, s21, v36, vcc_lo
	s_delay_alu instid0(VALU_DEP_3) | instskip(NEXT) | instid1(VALU_DEP_4)
	v_add_co_u32 v35, vcc_lo, s20, v39
	v_add_co_ci_u32_e32 v36, vcc_lo, s21, v40, vcc_lo
	s_clause 0x1
	global_load_u16 v39, v[37:38], off
	global_load_u16 v40, v[35:36], off
	s_waitcnt vmcnt(0)
	v_cmpx_eq_u16_e64 v39, v40
	s_cbranch_execz .LBB1479_154
; %bb.148:
	v_add_co_u32 v35, vcc_lo, v35, 2
	v_add_co_ci_u32_e32 v36, vcc_lo, 0, v36, vcc_lo
	v_add_co_u32 v37, vcc_lo, v37, 2
	v_add_co_ci_u32_e32 v38, vcc_lo, 0, v38, vcc_lo
	s_add_u32 s4, s14, -1
	s_addc_u32 s5, s15, -1
	s_mov_b64 s[6:7], 0
	s_mov_b32 s27, 0
                                        ; implicit-def: $sgpr34
	s_set_inst_prefetch_distance 0x1
	s_branch .LBB1479_151
	.p2align	6
.LBB1479_149:                           ;   in Loop: Header=BB1479_151 Depth=1
	global_load_u16 v39, v[37:38], off
	global_load_u16 v40, v[35:36], off
	v_add_co_u32 v35, vcc_lo, v35, 2
	v_add_co_ci_u32_e32 v36, vcc_lo, 0, v36, vcc_lo
	v_add_co_u32 v37, s0, v37, 2
	s_delay_alu instid0(VALU_DEP_1)
	v_add_co_ci_u32_e64 v38, s0, 0, v38, s0
	s_add_u32 s6, s6, 1
	s_addc_u32 s7, s7, 0
	s_and_not1_b32 s0, s34, exec_lo
	s_waitcnt vmcnt(0)
	v_cmp_ne_u16_e32 vcc_lo, v39, v40
	s_and_b32 s34, vcc_lo, exec_lo
	s_delay_alu instid0(SALU_CYCLE_1)
	s_or_b32 s34, s0, s34
.LBB1479_150:                           ;   in Loop: Header=BB1479_151 Depth=1
	v_dual_mov_b32 v40, s7 :: v_dual_mov_b32 v39, s6
	s_and_b32 s0, exec_lo, s34
	s_delay_alu instid0(SALU_CYCLE_1) | instskip(NEXT) | instid1(SALU_CYCLE_1)
	s_or_b32 s27, s0, s27
	s_and_not1_b32 exec_lo, exec_lo, s27
	s_cbranch_execz .LBB1479_153
.LBB1479_151:                           ; =>This Inner Loop Header: Depth=1
	s_or_b32 s34, s34, exec_lo
	s_cmp_eq_u64 s[4:5], s[6:7]
	s_cbranch_scc0 .LBB1479_149
; %bb.152:                              ;   in Loop: Header=BB1479_151 Depth=1
	s_mov_b64 s[6:7], s[14:15]
                                        ; implicit-def: $vgpr35_vgpr36
                                        ; implicit-def: $vgpr37_vgpr38
	s_branch .LBB1479_150
.LBB1479_153:
	s_set_inst_prefetch_distance 0x2
	s_or_b32 exec_lo, exec_lo, s27
	v_cmp_gt_i64_e32 vcc_lo, s[14:15], v[39:40]
	s_or_not1_b32 s0, vcc_lo, exec_lo
.LBB1479_154:
	s_or_b32 exec_lo, exec_lo, s13
.LBB1479_155:
	s_delay_alu instid0(SALU_CYCLE_1)
	s_and_b32 s13, s0, exec_lo
.LBB1479_156:
	s_or_b32 exec_lo, exec_lo, s26
	v_or_b32_e32 v35, 4, v55
	s_mov_b32 s26, exec_lo
	s_delay_alu instid0(VALU_DEP_1)
	v_cmpx_gt_u32_e64 s31, v35
	s_cbranch_execz .LBB1479_167
; %bb.157:
	v_cmp_ne_u32_e32 vcc_lo, 1, v43
	s_mov_b32 s0, 0
	s_cbranch_vccnz .LBB1479_166
; %bb.158:
	v_mul_lo_u32 v39, v28, s14
	v_mul_lo_u32 v40, v27, s15
	v_mad_u64_u32 v[35:36], null, v27, s14, 0
	v_mul_lo_u32 v41, v22, s14
	v_mul_lo_u32 v42, v21, s15
	s_waitcnt lgkmcnt(0)
	v_mad_u64_u32 v[37:38], null, v21, s14, 0
	s_mov_b32 s0, -1
	s_mov_b32 s25, exec_lo
	s_delay_alu instid0(VALU_DEP_4) | instskip(NEXT) | instid1(VALU_DEP_2)
	v_add3_u32 v36, v36, v40, v39
	v_add3_u32 v38, v38, v42, v41
	s_delay_alu instid0(VALU_DEP_2) | instskip(NEXT) | instid1(VALU_DEP_2)
	v_lshlrev_b64 v[35:36], 1, v[35:36]
	v_lshlrev_b64 v[39:40], 1, v[37:38]
	s_delay_alu instid0(VALU_DEP_2) | instskip(NEXT) | instid1(VALU_DEP_3)
	v_add_co_u32 v37, vcc_lo, s20, v35
	v_add_co_ci_u32_e32 v38, vcc_lo, s21, v36, vcc_lo
	s_delay_alu instid0(VALU_DEP_3) | instskip(NEXT) | instid1(VALU_DEP_4)
	v_add_co_u32 v35, vcc_lo, s20, v39
	v_add_co_ci_u32_e32 v36, vcc_lo, s21, v40, vcc_lo
	s_clause 0x1
	global_load_u16 v39, v[37:38], off
	global_load_u16 v40, v[35:36], off
	s_waitcnt vmcnt(0)
	v_cmpx_eq_u16_e64 v39, v40
	s_cbranch_execz .LBB1479_165
; %bb.159:
	v_add_co_u32 v35, vcc_lo, v35, 2
	v_add_co_ci_u32_e32 v36, vcc_lo, 0, v36, vcc_lo
	v_add_co_u32 v37, vcc_lo, v37, 2
	v_add_co_ci_u32_e32 v38, vcc_lo, 0, v38, vcc_lo
	s_add_u32 s4, s14, -1
	s_addc_u32 s5, s15, -1
	s_mov_b64 s[6:7], 0
	s_mov_b32 s27, 0
                                        ; implicit-def: $sgpr34
	s_set_inst_prefetch_distance 0x1
	s_branch .LBB1479_162
	.p2align	6
.LBB1479_160:                           ;   in Loop: Header=BB1479_162 Depth=1
	global_load_u16 v39, v[37:38], off
	global_load_u16 v40, v[35:36], off
	v_add_co_u32 v35, vcc_lo, v35, 2
	v_add_co_ci_u32_e32 v36, vcc_lo, 0, v36, vcc_lo
	v_add_co_u32 v37, s0, v37, 2
	s_delay_alu instid0(VALU_DEP_1)
	v_add_co_ci_u32_e64 v38, s0, 0, v38, s0
	s_add_u32 s6, s6, 1
	s_addc_u32 s7, s7, 0
	s_and_not1_b32 s0, s34, exec_lo
	s_waitcnt vmcnt(0)
	v_cmp_ne_u16_e32 vcc_lo, v39, v40
	s_and_b32 s34, vcc_lo, exec_lo
	s_delay_alu instid0(SALU_CYCLE_1)
	s_or_b32 s34, s0, s34
.LBB1479_161:                           ;   in Loop: Header=BB1479_162 Depth=1
	v_dual_mov_b32 v40, s7 :: v_dual_mov_b32 v39, s6
	s_and_b32 s0, exec_lo, s34
	s_delay_alu instid0(SALU_CYCLE_1) | instskip(NEXT) | instid1(SALU_CYCLE_1)
	s_or_b32 s27, s0, s27
	s_and_not1_b32 exec_lo, exec_lo, s27
	s_cbranch_execz .LBB1479_164
.LBB1479_162:                           ; =>This Inner Loop Header: Depth=1
	s_or_b32 s34, s34, exec_lo
	s_cmp_eq_u64 s[4:5], s[6:7]
	s_cbranch_scc0 .LBB1479_160
; %bb.163:                              ;   in Loop: Header=BB1479_162 Depth=1
	s_mov_b64 s[6:7], s[14:15]
                                        ; implicit-def: $vgpr35_vgpr36
                                        ; implicit-def: $vgpr37_vgpr38
	s_branch .LBB1479_161
.LBB1479_164:
	s_set_inst_prefetch_distance 0x2
	s_or_b32 exec_lo, exec_lo, s27
	v_cmp_gt_i64_e32 vcc_lo, s[14:15], v[39:40]
	s_or_not1_b32 s0, vcc_lo, exec_lo
.LBB1479_165:
	s_or_b32 exec_lo, exec_lo, s25
.LBB1479_166:
	s_delay_alu instid0(SALU_CYCLE_1)
	s_and_b32 s25, s0, exec_lo
.LBB1479_167:
	s_or_b32 exec_lo, exec_lo, s26
	v_or_b32_e32 v35, 3, v55
	s_mov_b32 s27, 0
	s_mov_b32 s26, 0
	s_mov_b32 s34, exec_lo
	s_delay_alu instid0(VALU_DEP_1)
	v_cmpx_gt_u32_e64 s31, v35
	s_cbranch_execz .LBB1479_178
; %bb.168:
	v_cmp_ne_u32_e32 vcc_lo, 1, v43
	s_mov_b32 s0, 0
	s_cbranch_vccnz .LBB1479_177
; %bb.169:
	v_mul_lo_u32 v39, v26, s14
	v_mul_lo_u32 v40, v25, s15
	v_mad_u64_u32 v[35:36], null, v25, s14, 0
	v_mul_lo_u32 v41, v28, s14
	v_mul_lo_u32 v42, v27, s15
	s_waitcnt lgkmcnt(0)
	v_mad_u64_u32 v[37:38], null, v27, s14, 0
	s_mov_b32 s0, -1
	s_mov_b32 s26, exec_lo
	s_delay_alu instid0(VALU_DEP_4) | instskip(NEXT) | instid1(VALU_DEP_2)
	v_add3_u32 v36, v36, v40, v39
	v_add3_u32 v38, v38, v42, v41
	s_delay_alu instid0(VALU_DEP_2) | instskip(NEXT) | instid1(VALU_DEP_2)
	v_lshlrev_b64 v[35:36], 1, v[35:36]
	v_lshlrev_b64 v[39:40], 1, v[37:38]
	s_delay_alu instid0(VALU_DEP_2) | instskip(NEXT) | instid1(VALU_DEP_3)
	v_add_co_u32 v37, vcc_lo, s20, v35
	v_add_co_ci_u32_e32 v38, vcc_lo, s21, v36, vcc_lo
	s_delay_alu instid0(VALU_DEP_3) | instskip(NEXT) | instid1(VALU_DEP_4)
	v_add_co_u32 v35, vcc_lo, s20, v39
	v_add_co_ci_u32_e32 v36, vcc_lo, s21, v40, vcc_lo
	s_clause 0x1
	global_load_u16 v39, v[37:38], off
	global_load_u16 v40, v[35:36], off
	s_waitcnt vmcnt(0)
	v_cmpx_eq_u16_e64 v39, v40
	s_cbranch_execz .LBB1479_176
; %bb.170:
	v_add_co_u32 v35, vcc_lo, v35, 2
	v_add_co_ci_u32_e32 v36, vcc_lo, 0, v36, vcc_lo
	v_add_co_u32 v37, vcc_lo, v37, 2
	v_add_co_ci_u32_e32 v38, vcc_lo, 0, v38, vcc_lo
	s_add_u32 s4, s14, -1
	s_addc_u32 s5, s15, -1
	s_mov_b64 s[6:7], 0
	s_mov_b32 s35, 0
                                        ; implicit-def: $sgpr36
	s_set_inst_prefetch_distance 0x1
	s_branch .LBB1479_173
	.p2align	6
.LBB1479_171:                           ;   in Loop: Header=BB1479_173 Depth=1
	global_load_u16 v39, v[37:38], off
	global_load_u16 v40, v[35:36], off
	v_add_co_u32 v35, vcc_lo, v35, 2
	v_add_co_ci_u32_e32 v36, vcc_lo, 0, v36, vcc_lo
	v_add_co_u32 v37, s0, v37, 2
	s_delay_alu instid0(VALU_DEP_1)
	v_add_co_ci_u32_e64 v38, s0, 0, v38, s0
	s_add_u32 s6, s6, 1
	s_addc_u32 s7, s7, 0
	s_and_not1_b32 s0, s36, exec_lo
	s_waitcnt vmcnt(0)
	v_cmp_ne_u16_e32 vcc_lo, v39, v40
	s_and_b32 s36, vcc_lo, exec_lo
	s_delay_alu instid0(SALU_CYCLE_1)
	s_or_b32 s36, s0, s36
.LBB1479_172:                           ;   in Loop: Header=BB1479_173 Depth=1
	v_dual_mov_b32 v40, s7 :: v_dual_mov_b32 v39, s6
	s_and_b32 s0, exec_lo, s36
	s_delay_alu instid0(SALU_CYCLE_1) | instskip(NEXT) | instid1(SALU_CYCLE_1)
	s_or_b32 s35, s0, s35
	s_and_not1_b32 exec_lo, exec_lo, s35
	s_cbranch_execz .LBB1479_175
.LBB1479_173:                           ; =>This Inner Loop Header: Depth=1
	s_or_b32 s36, s36, exec_lo
	s_cmp_eq_u64 s[4:5], s[6:7]
	s_cbranch_scc0 .LBB1479_171
; %bb.174:                              ;   in Loop: Header=BB1479_173 Depth=1
	s_mov_b64 s[6:7], s[14:15]
                                        ; implicit-def: $vgpr35_vgpr36
                                        ; implicit-def: $vgpr37_vgpr38
	s_branch .LBB1479_172
.LBB1479_175:
	s_set_inst_prefetch_distance 0x2
	s_or_b32 exec_lo, exec_lo, s35
	v_cmp_gt_i64_e32 vcc_lo, s[14:15], v[39:40]
	s_or_not1_b32 s0, vcc_lo, exec_lo
.LBB1479_176:
	s_or_b32 exec_lo, exec_lo, s26
.LBB1479_177:
	s_delay_alu instid0(SALU_CYCLE_1)
	s_and_b32 s26, s0, exec_lo
.LBB1479_178:
	s_or_b32 exec_lo, exec_lo, s34
	v_or_b32_e32 v35, 2, v55
	s_mov_b32 s34, exec_lo
	s_delay_alu instid0(VALU_DEP_1)
	v_cmpx_gt_u32_e64 s31, v35
	s_cbranch_execz .LBB1479_189
; %bb.179:
	v_cmp_ne_u32_e32 vcc_lo, 1, v43
	s_mov_b32 s0, 0
	s_cbranch_vccnz .LBB1479_188
; %bb.180:
	v_mul_lo_u32 v39, v32, s14
	v_mul_lo_u32 v40, v31, s15
	v_mad_u64_u32 v[35:36], null, v31, s14, 0
	v_mul_lo_u32 v41, v26, s14
	v_mul_lo_u32 v42, v25, s15
	s_waitcnt lgkmcnt(0)
	v_mad_u64_u32 v[37:38], null, v25, s14, 0
	s_mov_b32 s0, -1
	s_mov_b32 s27, exec_lo
	s_delay_alu instid0(VALU_DEP_4) | instskip(NEXT) | instid1(VALU_DEP_2)
	v_add3_u32 v36, v36, v40, v39
	v_add3_u32 v38, v38, v42, v41
	s_delay_alu instid0(VALU_DEP_2) | instskip(NEXT) | instid1(VALU_DEP_2)
	v_lshlrev_b64 v[35:36], 1, v[35:36]
	v_lshlrev_b64 v[39:40], 1, v[37:38]
	s_delay_alu instid0(VALU_DEP_2) | instskip(NEXT) | instid1(VALU_DEP_3)
	v_add_co_u32 v37, vcc_lo, s20, v35
	v_add_co_ci_u32_e32 v38, vcc_lo, s21, v36, vcc_lo
	s_delay_alu instid0(VALU_DEP_3) | instskip(NEXT) | instid1(VALU_DEP_4)
	v_add_co_u32 v35, vcc_lo, s20, v39
	v_add_co_ci_u32_e32 v36, vcc_lo, s21, v40, vcc_lo
	s_clause 0x1
	global_load_u16 v39, v[37:38], off
	global_load_u16 v40, v[35:36], off
	s_waitcnt vmcnt(0)
	v_cmpx_eq_u16_e64 v39, v40
	s_cbranch_execz .LBB1479_187
; %bb.181:
	v_add_co_u32 v35, vcc_lo, v35, 2
	v_add_co_ci_u32_e32 v36, vcc_lo, 0, v36, vcc_lo
	v_add_co_u32 v37, vcc_lo, v37, 2
	v_add_co_ci_u32_e32 v38, vcc_lo, 0, v38, vcc_lo
	s_add_u32 s4, s14, -1
	s_addc_u32 s5, s15, -1
	s_mov_b64 s[6:7], 0
	s_mov_b32 s35, 0
                                        ; implicit-def: $sgpr36
	s_set_inst_prefetch_distance 0x1
	s_branch .LBB1479_184
	.p2align	6
.LBB1479_182:                           ;   in Loop: Header=BB1479_184 Depth=1
	global_load_u16 v39, v[37:38], off
	global_load_u16 v40, v[35:36], off
	v_add_co_u32 v35, vcc_lo, v35, 2
	v_add_co_ci_u32_e32 v36, vcc_lo, 0, v36, vcc_lo
	v_add_co_u32 v37, s0, v37, 2
	s_delay_alu instid0(VALU_DEP_1)
	v_add_co_ci_u32_e64 v38, s0, 0, v38, s0
	s_add_u32 s6, s6, 1
	s_addc_u32 s7, s7, 0
	s_and_not1_b32 s0, s36, exec_lo
	s_waitcnt vmcnt(0)
	v_cmp_ne_u16_e32 vcc_lo, v39, v40
	s_and_b32 s36, vcc_lo, exec_lo
	s_delay_alu instid0(SALU_CYCLE_1)
	s_or_b32 s36, s0, s36
.LBB1479_183:                           ;   in Loop: Header=BB1479_184 Depth=1
	v_dual_mov_b32 v40, s7 :: v_dual_mov_b32 v39, s6
	s_and_b32 s0, exec_lo, s36
	s_delay_alu instid0(SALU_CYCLE_1) | instskip(NEXT) | instid1(SALU_CYCLE_1)
	s_or_b32 s35, s0, s35
	s_and_not1_b32 exec_lo, exec_lo, s35
	s_cbranch_execz .LBB1479_186
.LBB1479_184:                           ; =>This Inner Loop Header: Depth=1
	s_or_b32 s36, s36, exec_lo
	s_cmp_eq_u64 s[4:5], s[6:7]
	s_cbranch_scc0 .LBB1479_182
; %bb.185:                              ;   in Loop: Header=BB1479_184 Depth=1
	s_mov_b64 s[6:7], s[14:15]
                                        ; implicit-def: $vgpr35_vgpr36
                                        ; implicit-def: $vgpr37_vgpr38
	s_branch .LBB1479_183
.LBB1479_186:
	s_set_inst_prefetch_distance 0x2
	s_or_b32 exec_lo, exec_lo, s35
	v_cmp_gt_i64_e32 vcc_lo, s[14:15], v[39:40]
	s_or_not1_b32 s0, vcc_lo, exec_lo
.LBB1479_187:
	s_or_b32 exec_lo, exec_lo, s27
.LBB1479_188:
	s_delay_alu instid0(SALU_CYCLE_1)
	s_and_b32 s27, s0, exec_lo
.LBB1479_189:
	s_or_b32 exec_lo, exec_lo, s34
	v_or_b32_e32 v35, 1, v55
	s_mov_b32 s0, 0
	s_mov_b32 s34, exec_lo
	s_delay_alu instid0(VALU_DEP_1)
	v_cmpx_gt_u32_e64 s31, v35
	s_cbranch_execz .LBB1479_200
; %bb.190:
	v_cmp_ne_u32_e32 vcc_lo, 1, v43
	s_cbranch_vccnz .LBB1479_199
; %bb.191:
	v_mul_lo_u32 v39, v30, s14
	v_mul_lo_u32 v40, v29, s15
	v_mad_u64_u32 v[35:36], null, v29, s14, 0
	v_mul_lo_u32 v41, v32, s14
	v_mul_lo_u32 v42, v31, s15
	s_waitcnt lgkmcnt(0)
	v_mad_u64_u32 v[37:38], null, v31, s14, 0
	s_mov_b32 s0, -1
	s_mov_b32 s35, exec_lo
	s_delay_alu instid0(VALU_DEP_4) | instskip(NEXT) | instid1(VALU_DEP_2)
	v_add3_u32 v36, v36, v40, v39
	v_add3_u32 v38, v38, v42, v41
	s_delay_alu instid0(VALU_DEP_2) | instskip(NEXT) | instid1(VALU_DEP_2)
	v_lshlrev_b64 v[35:36], 1, v[35:36]
	v_lshlrev_b64 v[39:40], 1, v[37:38]
	s_delay_alu instid0(VALU_DEP_2) | instskip(NEXT) | instid1(VALU_DEP_3)
	v_add_co_u32 v37, vcc_lo, s20, v35
	v_add_co_ci_u32_e32 v38, vcc_lo, s21, v36, vcc_lo
	s_delay_alu instid0(VALU_DEP_3) | instskip(NEXT) | instid1(VALU_DEP_4)
	v_add_co_u32 v35, vcc_lo, s20, v39
	v_add_co_ci_u32_e32 v36, vcc_lo, s21, v40, vcc_lo
	s_clause 0x1
	global_load_u16 v39, v[37:38], off
	global_load_u16 v40, v[35:36], off
	s_waitcnt vmcnt(0)
	v_cmpx_eq_u16_e64 v39, v40
	s_cbranch_execz .LBB1479_198
; %bb.192:
	v_add_co_u32 v35, vcc_lo, v35, 2
	v_add_co_ci_u32_e32 v36, vcc_lo, 0, v36, vcc_lo
	v_add_co_u32 v37, vcc_lo, v37, 2
	v_add_co_ci_u32_e32 v38, vcc_lo, 0, v38, vcc_lo
	s_add_u32 s4, s14, -1
	s_addc_u32 s5, s15, -1
	s_mov_b64 s[6:7], 0
	s_mov_b32 s36, 0
                                        ; implicit-def: $sgpr37
	s_set_inst_prefetch_distance 0x1
	s_branch .LBB1479_195
	.p2align	6
.LBB1479_193:                           ;   in Loop: Header=BB1479_195 Depth=1
	global_load_u16 v39, v[37:38], off
	global_load_u16 v40, v[35:36], off
	v_add_co_u32 v35, vcc_lo, v35, 2
	v_add_co_ci_u32_e32 v36, vcc_lo, 0, v36, vcc_lo
	v_add_co_u32 v37, s0, v37, 2
	s_delay_alu instid0(VALU_DEP_1)
	v_add_co_ci_u32_e64 v38, s0, 0, v38, s0
	s_add_u32 s6, s6, 1
	s_addc_u32 s7, s7, 0
	s_and_not1_b32 s0, s37, exec_lo
	s_waitcnt vmcnt(0)
	v_cmp_ne_u16_e32 vcc_lo, v39, v40
	s_and_b32 s37, vcc_lo, exec_lo
	s_delay_alu instid0(SALU_CYCLE_1)
	s_or_b32 s37, s0, s37
.LBB1479_194:                           ;   in Loop: Header=BB1479_195 Depth=1
	v_dual_mov_b32 v40, s7 :: v_dual_mov_b32 v39, s6
	s_and_b32 s0, exec_lo, s37
	s_delay_alu instid0(SALU_CYCLE_1) | instskip(NEXT) | instid1(SALU_CYCLE_1)
	s_or_b32 s36, s0, s36
	s_and_not1_b32 exec_lo, exec_lo, s36
	s_cbranch_execz .LBB1479_197
.LBB1479_195:                           ; =>This Inner Loop Header: Depth=1
	s_or_b32 s37, s37, exec_lo
	s_cmp_eq_u64 s[4:5], s[6:7]
	s_cbranch_scc0 .LBB1479_193
; %bb.196:                              ;   in Loop: Header=BB1479_195 Depth=1
	s_mov_b64 s[6:7], s[14:15]
                                        ; implicit-def: $vgpr35_vgpr36
                                        ; implicit-def: $vgpr37_vgpr38
	s_branch .LBB1479_194
.LBB1479_197:
	s_set_inst_prefetch_distance 0x2
	s_or_b32 exec_lo, exec_lo, s36
	v_cmp_gt_i64_e32 vcc_lo, s[14:15], v[39:40]
	s_or_not1_b32 s0, vcc_lo, exec_lo
.LBB1479_198:
	s_or_b32 exec_lo, exec_lo, s35
.LBB1479_199:
	s_delay_alu instid0(SALU_CYCLE_1)
	s_and_b32 s0, s0, exec_lo
.LBB1479_200:
	s_or_b32 exec_lo, exec_lo, s34
	s_waitcnt vmcnt(0) lgkmcnt(0)
	s_barrier
	buffer_gl0_inv
	s_and_saveexec_b32 s4, s3
	s_cbranch_execz .LBB1479_202
; %bb.201:
	v_add_nc_u32_e32 v33, -8, v55
	ds_load_b64 v[33:34], v33
.LBB1479_202:
	s_or_b32 exec_lo, exec_lo, s4
	v_cndmask_b32_e64 v36, 0, 1, s26
	v_cndmask_b32_e64 v38, 0, 1, s13
	;; [unrolled: 1-line block ×7, first 2 shown]
	v_lshlrev_b16 v36, 8, v36
	v_lshlrev_b16 v38, 8, v38
	;; [unrolled: 1-line block ×3, first 2 shown]
	s_mov_b32 s0, 0
	v_lshlrev_b16 v41, 8, v41
	v_or_b32_e32 v35, v35, v36
	v_or_b32_e32 v36, v37, v38
	;; [unrolled: 1-line block ×3, first 2 shown]
	s_mov_b32 s1, exec_lo
	v_and_b32_e32 v39, 0xffff, v41
	v_lshlrev_b32_e32 v40, 16, v35
	v_and_b32_e32 v41, 0xffff, v36
	v_lshlrev_b32_e32 v42, 16, v37
	v_cmpx_gt_u32_e64 s31, v55
	s_cbranch_execz .LBB1479_213
; %bb.203:
	v_cmp_ne_u32_e32 vcc_lo, 1, v43
	s_cbranch_vccnz .LBB1479_212
; %bb.204:
	s_waitcnt lgkmcnt(0)
	v_mul_lo_u32 v38, v34, s14
	v_mul_lo_u32 v43, v33, s15
	v_mad_u64_u32 v[34:35], null, v33, s14, 0
	v_mul_lo_u32 v33, v30, s14
	v_mul_lo_u32 v44, v29, s15
	v_mad_u64_u32 v[36:37], null, v29, s14, 0
	s_mov_b32 s0, -1
	s_mov_b32 s13, exec_lo
	s_delay_alu instid0(VALU_DEP_4) | instskip(NEXT) | instid1(VALU_DEP_2)
	v_add3_u32 v35, v35, v43, v38
	v_add3_u32 v37, v37, v44, v33
	s_delay_alu instid0(VALU_DEP_2) | instskip(NEXT) | instid1(VALU_DEP_2)
	v_lshlrev_b64 v[33:34], 1, v[34:35]
	v_lshlrev_b64 v[37:38], 1, v[36:37]
	s_delay_alu instid0(VALU_DEP_2) | instskip(NEXT) | instid1(VALU_DEP_3)
	v_add_co_u32 v35, vcc_lo, s20, v33
	v_add_co_ci_u32_e32 v36, vcc_lo, s21, v34, vcc_lo
	s_delay_alu instid0(VALU_DEP_3) | instskip(NEXT) | instid1(VALU_DEP_4)
	v_add_co_u32 v33, vcc_lo, s20, v37
	v_add_co_ci_u32_e32 v34, vcc_lo, s21, v38, vcc_lo
	s_clause 0x1
	global_load_u16 v37, v[35:36], off
	global_load_u16 v38, v[33:34], off
	s_waitcnt vmcnt(0)
	v_cmpx_eq_u16_e64 v37, v38
	s_cbranch_execz .LBB1479_211
; %bb.205:
	v_add_co_u32 v33, vcc_lo, v33, 2
	v_add_co_ci_u32_e32 v34, vcc_lo, 0, v34, vcc_lo
	v_add_co_u32 v35, vcc_lo, v35, 2
	v_add_co_ci_u32_e32 v36, vcc_lo, 0, v36, vcc_lo
	s_add_u32 s4, s14, -1
	s_addc_u32 s5, s15, -1
	s_mov_b64 s[6:7], 0
	s_mov_b32 s24, 0
                                        ; implicit-def: $sgpr25
	s_set_inst_prefetch_distance 0x1
	s_branch .LBB1479_208
	.p2align	6
.LBB1479_206:                           ;   in Loop: Header=BB1479_208 Depth=1
	global_load_u16 v37, v[35:36], off
	global_load_u16 v38, v[33:34], off
	v_add_co_u32 v33, vcc_lo, v33, 2
	v_add_co_ci_u32_e32 v34, vcc_lo, 0, v34, vcc_lo
	v_add_co_u32 v35, s0, v35, 2
	s_delay_alu instid0(VALU_DEP_1)
	v_add_co_ci_u32_e64 v36, s0, 0, v36, s0
	s_add_u32 s6, s6, 1
	s_addc_u32 s7, s7, 0
	s_and_not1_b32 s0, s25, exec_lo
	s_waitcnt vmcnt(0)
	v_cmp_ne_u16_e32 vcc_lo, v37, v38
	s_and_b32 s25, vcc_lo, exec_lo
	s_delay_alu instid0(SALU_CYCLE_1)
	s_or_b32 s25, s0, s25
.LBB1479_207:                           ;   in Loop: Header=BB1479_208 Depth=1
	v_dual_mov_b32 v38, s7 :: v_dual_mov_b32 v37, s6
	s_and_b32 s0, exec_lo, s25
	s_delay_alu instid0(SALU_CYCLE_1) | instskip(NEXT) | instid1(SALU_CYCLE_1)
	s_or_b32 s24, s0, s24
	s_and_not1_b32 exec_lo, exec_lo, s24
	s_cbranch_execz .LBB1479_210
.LBB1479_208:                           ; =>This Inner Loop Header: Depth=1
	s_or_b32 s25, s25, exec_lo
	s_cmp_eq_u64 s[4:5], s[6:7]
	s_cbranch_scc0 .LBB1479_206
; %bb.209:                              ;   in Loop: Header=BB1479_208 Depth=1
	s_mov_b64 s[6:7], s[14:15]
                                        ; implicit-def: $vgpr33_vgpr34
                                        ; implicit-def: $vgpr35_vgpr36
	s_branch .LBB1479_207
.LBB1479_210:
	s_set_inst_prefetch_distance 0x2
	s_or_b32 exec_lo, exec_lo, s24
	v_cmp_gt_i64_e32 vcc_lo, s[14:15], v[37:38]
	s_or_not1_b32 s0, vcc_lo, exec_lo
.LBB1479_211:
	s_or_b32 exec_lo, exec_lo, s13
.LBB1479_212:
	s_delay_alu instid0(SALU_CYCLE_1)
	s_and_b32 s0, s0, exec_lo
.LBB1479_213:
	s_or_b32 exec_lo, exec_lo, s1
	v_or_b32_e32 v35, v39, v40
	v_or_b32_e32 v36, v41, v42
.LBB1479_214:
	s_mov_b32 s1, -1
	s_cbranch_execnz .LBB1479_383
.LBB1479_215:
	v_cmp_gt_i64_e64 s13, s[14:15], 0
	s_and_b32 vcc_lo, exec_lo, s29
	ds_store_b64 v55, v[19:20]
	s_cbranch_vccz .LBB1479_223
; %bb.216:
	v_mul_lo_u32 v35, v18, s14
	v_mul_lo_u32 v36, v17, s15
	s_waitcnt vmcnt(0) lgkmcnt(1)
	v_mad_u64_u32 v[33:34], null, v17, s14, 0
	s_mov_b32 s24, 0
	s_and_not1_b32 vcc_lo, exec_lo, s13
	s_mov_b32 s25, 0
	s_delay_alu instid0(VALU_DEP_1) | instskip(NEXT) | instid1(VALU_DEP_1)
	v_add3_u32 v34, v34, v36, v35
	v_lshlrev_b64 v[33:34], 1, v[33:34]
	s_cbranch_vccnz .LBB1479_226
; %bb.217:
	v_mul_lo_u32 v37, v20, s14
	v_mul_lo_u32 v38, v19, s15
	v_mad_u64_u32 v[35:36], null, v19, s14, 0
	s_mov_b32 s25, -1
	s_mov_b32 s26, exec_lo
	s_delay_alu instid0(VALU_DEP_1) | instskip(SKIP_2) | instid1(VALU_DEP_3)
	v_add3_u32 v36, v36, v38, v37
	v_add_co_u32 v37, vcc_lo, s20, v33
	v_add_co_ci_u32_e32 v38, vcc_lo, s21, v34, vcc_lo
	v_lshlrev_b64 v[35:36], 1, v[35:36]
	s_delay_alu instid0(VALU_DEP_1) | instskip(NEXT) | instid1(VALU_DEP_2)
	v_add_co_u32 v35, vcc_lo, s20, v35
	v_add_co_ci_u32_e32 v36, vcc_lo, s21, v36, vcc_lo
	s_clause 0x1
	global_load_u16 v39, v[37:38], off
	global_load_u16 v40, v[35:36], off
	s_waitcnt vmcnt(0)
	v_cmpx_eq_u16_e64 v39, v40
	s_cbranch_execz .LBB1479_225
; %bb.218:
	v_add_co_u32 v35, vcc_lo, v35, 2
	v_add_co_ci_u32_e32 v36, vcc_lo, 0, v36, vcc_lo
	v_add_co_u32 v37, vcc_lo, v37, 2
	v_add_co_ci_u32_e32 v38, vcc_lo, 0, v38, vcc_lo
	s_add_u32 s4, s14, -1
	s_addc_u32 s5, s15, -1
	s_mov_b64 s[6:7], 0
	s_mov_b32 s25, 0
                                        ; implicit-def: $sgpr27
	s_set_inst_prefetch_distance 0x1
	s_branch .LBB1479_221
	.p2align	6
.LBB1479_219:                           ;   in Loop: Header=BB1479_221 Depth=1
	global_load_u16 v39, v[37:38], off
	global_load_u16 v40, v[35:36], off
	v_add_co_u32 v35, vcc_lo, v35, 2
	v_add_co_ci_u32_e32 v36, vcc_lo, 0, v36, vcc_lo
	v_add_co_u32 v37, s0, v37, 2
	s_delay_alu instid0(VALU_DEP_1)
	v_add_co_ci_u32_e64 v38, s0, 0, v38, s0
	s_add_u32 s6, s6, 1
	s_addc_u32 s7, s7, 0
	s_and_not1_b32 s0, s27, exec_lo
	s_waitcnt vmcnt(0)
	v_cmp_ne_u16_e32 vcc_lo, v39, v40
	s_and_b32 s27, vcc_lo, exec_lo
	s_delay_alu instid0(SALU_CYCLE_1)
	s_or_b32 s27, s0, s27
.LBB1479_220:                           ;   in Loop: Header=BB1479_221 Depth=1
	v_dual_mov_b32 v40, s7 :: v_dual_mov_b32 v39, s6
	s_and_b32 s0, exec_lo, s27
	s_delay_alu instid0(SALU_CYCLE_1) | instskip(NEXT) | instid1(SALU_CYCLE_1)
	s_or_b32 s25, s0, s25
	s_and_not1_b32 exec_lo, exec_lo, s25
	s_cbranch_execz .LBB1479_224
.LBB1479_221:                           ; =>This Inner Loop Header: Depth=1
	s_or_b32 s27, s27, exec_lo
	s_cmp_eq_u64 s[4:5], s[6:7]
	s_cbranch_scc0 .LBB1479_219
; %bb.222:                              ;   in Loop: Header=BB1479_221 Depth=1
	s_mov_b64 s[6:7], s[14:15]
                                        ; implicit-def: $vgpr35_vgpr36
                                        ; implicit-def: $vgpr37_vgpr38
	s_branch .LBB1479_220
.LBB1479_223:
                                        ; implicit-def: $sgpr0
                                        ; implicit-def: $vgpr36
	s_cbranch_execnz .LBB1479_292
	s_branch .LBB1479_383
.LBB1479_224:
	s_set_inst_prefetch_distance 0x2
	s_or_b32 exec_lo, exec_lo, s25
	v_cmp_gt_i64_e32 vcc_lo, s[14:15], v[39:40]
	s_or_not1_b32 s25, vcc_lo, exec_lo
.LBB1479_225:
	s_or_b32 exec_lo, exec_lo, s26
.LBB1479_226:
	v_mul_lo_u32 v37, v24, s14
	v_mul_lo_u32 v38, v23, s15
	v_mad_u64_u32 v[35:36], null, v23, s14, 0
	s_and_not1_b32 vcc_lo, exec_lo, s13
	s_delay_alu instid0(VALU_DEP_1) | instskip(NEXT) | instid1(VALU_DEP_1)
	v_add3_u32 v36, v36, v38, v37
	v_lshlrev_b64 v[35:36], 1, v[35:36]
	s_cbranch_vccnz .LBB1479_235
; %bb.227:
	s_delay_alu instid0(VALU_DEP_1) | instskip(NEXT) | instid1(VALU_DEP_2)
	v_add_co_u32 v37, vcc_lo, s20, v35
	v_add_co_ci_u32_e32 v38, vcc_lo, s21, v36, vcc_lo
	v_add_co_u32 v33, vcc_lo, s20, v33
	v_add_co_ci_u32_e32 v34, vcc_lo, s21, v34, vcc_lo
	s_mov_b32 s24, -1
	s_clause 0x1
	global_load_u16 v39, v[37:38], off
	global_load_u16 v40, v[33:34], off
	s_mov_b32 s26, exec_lo
	s_waitcnt vmcnt(0)
	v_cmpx_eq_u16_e64 v39, v40
	s_cbranch_execz .LBB1479_234
; %bb.228:
	v_add_co_u32 v33, vcc_lo, v33, 2
	v_add_co_ci_u32_e32 v34, vcc_lo, 0, v34, vcc_lo
	v_add_co_u32 v37, vcc_lo, v37, 2
	v_add_co_ci_u32_e32 v38, vcc_lo, 0, v38, vcc_lo
	s_add_u32 s4, s14, -1
	s_addc_u32 s5, s15, -1
	s_mov_b64 s[6:7], 0
	s_mov_b32 s24, 0
                                        ; implicit-def: $sgpr27
	s_set_inst_prefetch_distance 0x1
	s_branch .LBB1479_231
	.p2align	6
.LBB1479_229:                           ;   in Loop: Header=BB1479_231 Depth=1
	global_load_u16 v39, v[37:38], off
	global_load_u16 v40, v[33:34], off
	v_add_co_u32 v33, vcc_lo, v33, 2
	v_add_co_ci_u32_e32 v34, vcc_lo, 0, v34, vcc_lo
	v_add_co_u32 v37, s0, v37, 2
	s_delay_alu instid0(VALU_DEP_1)
	v_add_co_ci_u32_e64 v38, s0, 0, v38, s0
	s_add_u32 s6, s6, 1
	s_addc_u32 s7, s7, 0
	s_and_not1_b32 s0, s27, exec_lo
	s_waitcnt vmcnt(0)
	v_cmp_ne_u16_e32 vcc_lo, v39, v40
	s_and_b32 s27, vcc_lo, exec_lo
	s_delay_alu instid0(SALU_CYCLE_1)
	s_or_b32 s27, s0, s27
.LBB1479_230:                           ;   in Loop: Header=BB1479_231 Depth=1
	v_dual_mov_b32 v40, s7 :: v_dual_mov_b32 v39, s6
	s_and_b32 s0, exec_lo, s27
	s_delay_alu instid0(SALU_CYCLE_1) | instskip(NEXT) | instid1(SALU_CYCLE_1)
	s_or_b32 s24, s0, s24
	s_and_not1_b32 exec_lo, exec_lo, s24
	s_cbranch_execz .LBB1479_233
.LBB1479_231:                           ; =>This Inner Loop Header: Depth=1
	s_or_b32 s27, s27, exec_lo
	s_cmp_eq_u64 s[4:5], s[6:7]
	s_cbranch_scc0 .LBB1479_229
; %bb.232:                              ;   in Loop: Header=BB1479_231 Depth=1
	s_mov_b64 s[6:7], s[14:15]
                                        ; implicit-def: $vgpr33_vgpr34
                                        ; implicit-def: $vgpr37_vgpr38
	s_branch .LBB1479_230
.LBB1479_233:
	s_set_inst_prefetch_distance 0x2
	s_or_b32 exec_lo, exec_lo, s24
	v_cmp_gt_i64_e32 vcc_lo, s[14:15], v[39:40]
	s_or_not1_b32 s24, vcc_lo, exec_lo
.LBB1479_234:
	s_or_b32 exec_lo, exec_lo, s26
.LBB1479_235:
	v_mul_lo_u32 v37, v22, s14
	v_mul_lo_u32 v38, v21, s15
	v_mad_u64_u32 v[33:34], null, v21, s14, 0
	s_mov_b32 s26, 0
	s_and_not1_b32 vcc_lo, exec_lo, s13
	s_mov_b32 s27, 0
	s_delay_alu instid0(VALU_DEP_1) | instskip(NEXT) | instid1(VALU_DEP_1)
	v_add3_u32 v34, v34, v38, v37
	v_lshlrev_b64 v[37:38], 1, v[33:34]
	s_cbranch_vccnz .LBB1479_244
; %bb.236:
	s_delay_alu instid0(VALU_DEP_1) | instskip(NEXT) | instid1(VALU_DEP_2)
	v_add_co_u32 v39, vcc_lo, s20, v37
	v_add_co_ci_u32_e32 v40, vcc_lo, s21, v38, vcc_lo
	v_add_co_u32 v33, vcc_lo, s20, v35
	v_add_co_ci_u32_e32 v34, vcc_lo, s21, v36, vcc_lo
	s_mov_b32 s27, -1
	s_clause 0x1
	global_load_u16 v35, v[39:40], off
	global_load_u16 v36, v[33:34], off
	s_mov_b32 s34, exec_lo
	s_waitcnt vmcnt(0)
	v_cmpx_eq_u16_e64 v35, v36
	s_cbranch_execz .LBB1479_243
; %bb.237:
	v_add_co_u32 v33, vcc_lo, v33, 2
	v_add_co_ci_u32_e32 v34, vcc_lo, 0, v34, vcc_lo
	v_add_co_u32 v35, vcc_lo, v39, 2
	v_add_co_ci_u32_e32 v36, vcc_lo, 0, v40, vcc_lo
	s_add_u32 s4, s14, -1
	s_addc_u32 s5, s15, -1
	s_mov_b64 s[6:7], 0
	s_mov_b32 s27, 0
                                        ; implicit-def: $sgpr35
	s_set_inst_prefetch_distance 0x1
	s_branch .LBB1479_240
	.p2align	6
.LBB1479_238:                           ;   in Loop: Header=BB1479_240 Depth=1
	global_load_u16 v39, v[35:36], off
	global_load_u16 v40, v[33:34], off
	v_add_co_u32 v33, vcc_lo, v33, 2
	v_add_co_ci_u32_e32 v34, vcc_lo, 0, v34, vcc_lo
	v_add_co_u32 v35, s0, v35, 2
	s_delay_alu instid0(VALU_DEP_1)
	v_add_co_ci_u32_e64 v36, s0, 0, v36, s0
	s_add_u32 s6, s6, 1
	s_addc_u32 s7, s7, 0
	s_and_not1_b32 s0, s35, exec_lo
	s_waitcnt vmcnt(0)
	v_cmp_ne_u16_e32 vcc_lo, v39, v40
	s_and_b32 s35, vcc_lo, exec_lo
	s_delay_alu instid0(SALU_CYCLE_1)
	s_or_b32 s35, s0, s35
.LBB1479_239:                           ;   in Loop: Header=BB1479_240 Depth=1
	v_dual_mov_b32 v40, s7 :: v_dual_mov_b32 v39, s6
	s_and_b32 s0, exec_lo, s35
	s_delay_alu instid0(SALU_CYCLE_1) | instskip(NEXT) | instid1(SALU_CYCLE_1)
	s_or_b32 s27, s0, s27
	s_and_not1_b32 exec_lo, exec_lo, s27
	s_cbranch_execz .LBB1479_242
.LBB1479_240:                           ; =>This Inner Loop Header: Depth=1
	s_or_b32 s35, s35, exec_lo
	s_cmp_eq_u64 s[4:5], s[6:7]
	s_cbranch_scc0 .LBB1479_238
; %bb.241:                              ;   in Loop: Header=BB1479_240 Depth=1
	s_mov_b64 s[6:7], s[14:15]
                                        ; implicit-def: $vgpr33_vgpr34
                                        ; implicit-def: $vgpr35_vgpr36
	s_branch .LBB1479_239
.LBB1479_242:
	s_set_inst_prefetch_distance 0x2
	s_or_b32 exec_lo, exec_lo, s27
	v_cmp_gt_i64_e32 vcc_lo, s[14:15], v[39:40]
	s_or_not1_b32 s27, vcc_lo, exec_lo
.LBB1479_243:
	s_or_b32 exec_lo, exec_lo, s34
.LBB1479_244:
	v_mul_lo_u32 v35, v28, s14
	v_mul_lo_u32 v36, v27, s15
	v_mad_u64_u32 v[33:34], null, v27, s14, 0
	s_and_not1_b32 vcc_lo, exec_lo, s13
	s_delay_alu instid0(VALU_DEP_1) | instskip(NEXT) | instid1(VALU_DEP_1)
	v_add3_u32 v34, v34, v36, v35
	v_lshlrev_b64 v[33:34], 1, v[33:34]
	s_cbranch_vccnz .LBB1479_253
; %bb.245:
	s_delay_alu instid0(VALU_DEP_1) | instskip(NEXT) | instid1(VALU_DEP_2)
	v_add_co_u32 v39, vcc_lo, s20, v33
	v_add_co_ci_u32_e32 v40, vcc_lo, s21, v34, vcc_lo
	v_add_co_u32 v35, vcc_lo, s20, v37
	v_add_co_ci_u32_e32 v36, vcc_lo, s21, v38, vcc_lo
	s_mov_b32 s26, -1
	s_clause 0x1
	global_load_u16 v37, v[39:40], off
	global_load_u16 v38, v[35:36], off
	s_mov_b32 s34, exec_lo
	s_waitcnt vmcnt(0)
	v_cmpx_eq_u16_e64 v37, v38
	s_cbranch_execz .LBB1479_252
; %bb.246:
	v_add_co_u32 v35, vcc_lo, v35, 2
	v_add_co_ci_u32_e32 v36, vcc_lo, 0, v36, vcc_lo
	v_add_co_u32 v37, vcc_lo, v39, 2
	v_add_co_ci_u32_e32 v38, vcc_lo, 0, v40, vcc_lo
	s_add_u32 s4, s14, -1
	s_addc_u32 s5, s15, -1
	s_mov_b64 s[6:7], 0
	s_mov_b32 s26, 0
                                        ; implicit-def: $sgpr35
	s_set_inst_prefetch_distance 0x1
	s_branch .LBB1479_249
	.p2align	6
.LBB1479_247:                           ;   in Loop: Header=BB1479_249 Depth=1
	global_load_u16 v39, v[37:38], off
	global_load_u16 v40, v[35:36], off
	v_add_co_u32 v35, vcc_lo, v35, 2
	v_add_co_ci_u32_e32 v36, vcc_lo, 0, v36, vcc_lo
	v_add_co_u32 v37, s0, v37, 2
	s_delay_alu instid0(VALU_DEP_1)
	v_add_co_ci_u32_e64 v38, s0, 0, v38, s0
	s_add_u32 s6, s6, 1
	s_addc_u32 s7, s7, 0
	s_and_not1_b32 s0, s35, exec_lo
	s_waitcnt vmcnt(0)
	v_cmp_ne_u16_e32 vcc_lo, v39, v40
	s_and_b32 s35, vcc_lo, exec_lo
	s_delay_alu instid0(SALU_CYCLE_1)
	s_or_b32 s35, s0, s35
.LBB1479_248:                           ;   in Loop: Header=BB1479_249 Depth=1
	v_dual_mov_b32 v40, s7 :: v_dual_mov_b32 v39, s6
	s_and_b32 s0, exec_lo, s35
	s_delay_alu instid0(SALU_CYCLE_1) | instskip(NEXT) | instid1(SALU_CYCLE_1)
	s_or_b32 s26, s0, s26
	s_and_not1_b32 exec_lo, exec_lo, s26
	s_cbranch_execz .LBB1479_251
.LBB1479_249:                           ; =>This Inner Loop Header: Depth=1
	s_or_b32 s35, s35, exec_lo
	s_cmp_eq_u64 s[4:5], s[6:7]
	s_cbranch_scc0 .LBB1479_247
; %bb.250:                              ;   in Loop: Header=BB1479_249 Depth=1
	s_mov_b64 s[6:7], s[14:15]
                                        ; implicit-def: $vgpr35_vgpr36
                                        ; implicit-def: $vgpr37_vgpr38
	s_branch .LBB1479_248
.LBB1479_251:
	s_set_inst_prefetch_distance 0x2
	s_or_b32 exec_lo, exec_lo, s26
	v_cmp_gt_i64_e32 vcc_lo, s[14:15], v[39:40]
	s_or_not1_b32 s26, vcc_lo, exec_lo
.LBB1479_252:
	s_or_b32 exec_lo, exec_lo, s34
.LBB1479_253:
	v_mul_lo_u32 v37, v26, s14
	v_mul_lo_u32 v38, v25, s15
	v_mad_u64_u32 v[35:36], null, v25, s14, 0
	s_mov_b32 s34, 0
	s_and_not1_b32 vcc_lo, exec_lo, s13
	s_mov_b32 s35, 0
	s_delay_alu instid0(VALU_DEP_1) | instskip(NEXT) | instid1(VALU_DEP_1)
	v_add3_u32 v36, v36, v38, v37
	v_lshlrev_b64 v[37:38], 1, v[35:36]
	s_cbranch_vccnz .LBB1479_262
; %bb.254:
	s_delay_alu instid0(VALU_DEP_1) | instskip(NEXT) | instid1(VALU_DEP_2)
	v_add_co_u32 v35, vcc_lo, s20, v37
	v_add_co_ci_u32_e32 v36, vcc_lo, s21, v38, vcc_lo
	v_add_co_u32 v33, vcc_lo, s20, v33
	v_add_co_ci_u32_e32 v34, vcc_lo, s21, v34, vcc_lo
	s_mov_b32 s35, -1
	s_clause 0x1
	global_load_u16 v39, v[35:36], off
	global_load_u16 v40, v[33:34], off
	s_mov_b32 s36, exec_lo
	s_waitcnt vmcnt(0)
	v_cmpx_eq_u16_e64 v39, v40
	s_cbranch_execz .LBB1479_261
; %bb.255:
	v_add_co_u32 v33, vcc_lo, v33, 2
	v_add_co_ci_u32_e32 v34, vcc_lo, 0, v34, vcc_lo
	v_add_co_u32 v35, vcc_lo, v35, 2
	v_add_co_ci_u32_e32 v36, vcc_lo, 0, v36, vcc_lo
	s_add_u32 s4, s14, -1
	s_addc_u32 s5, s15, -1
	s_mov_b64 s[6:7], 0
	s_mov_b32 s35, 0
                                        ; implicit-def: $sgpr37
	s_set_inst_prefetch_distance 0x1
	s_branch .LBB1479_258
	.p2align	6
.LBB1479_256:                           ;   in Loop: Header=BB1479_258 Depth=1
	global_load_u16 v39, v[35:36], off
	global_load_u16 v40, v[33:34], off
	v_add_co_u32 v33, vcc_lo, v33, 2
	v_add_co_ci_u32_e32 v34, vcc_lo, 0, v34, vcc_lo
	v_add_co_u32 v35, s0, v35, 2
	s_delay_alu instid0(VALU_DEP_1)
	v_add_co_ci_u32_e64 v36, s0, 0, v36, s0
	s_add_u32 s6, s6, 1
	s_addc_u32 s7, s7, 0
	s_and_not1_b32 s0, s37, exec_lo
	s_waitcnt vmcnt(0)
	v_cmp_ne_u16_e32 vcc_lo, v39, v40
	s_and_b32 s37, vcc_lo, exec_lo
	s_delay_alu instid0(SALU_CYCLE_1)
	s_or_b32 s37, s0, s37
.LBB1479_257:                           ;   in Loop: Header=BB1479_258 Depth=1
	v_dual_mov_b32 v40, s7 :: v_dual_mov_b32 v39, s6
	s_and_b32 s0, exec_lo, s37
	s_delay_alu instid0(SALU_CYCLE_1) | instskip(NEXT) | instid1(SALU_CYCLE_1)
	s_or_b32 s35, s0, s35
	s_and_not1_b32 exec_lo, exec_lo, s35
	s_cbranch_execz .LBB1479_260
.LBB1479_258:                           ; =>This Inner Loop Header: Depth=1
	s_or_b32 s37, s37, exec_lo
	s_cmp_eq_u64 s[4:5], s[6:7]
	s_cbranch_scc0 .LBB1479_256
; %bb.259:                              ;   in Loop: Header=BB1479_258 Depth=1
	s_mov_b64 s[6:7], s[14:15]
                                        ; implicit-def: $vgpr33_vgpr34
                                        ; implicit-def: $vgpr35_vgpr36
	s_branch .LBB1479_257
.LBB1479_260:
	s_set_inst_prefetch_distance 0x2
	s_or_b32 exec_lo, exec_lo, s35
	v_cmp_gt_i64_e32 vcc_lo, s[14:15], v[39:40]
	s_or_not1_b32 s35, vcc_lo, exec_lo
.LBB1479_261:
	s_or_b32 exec_lo, exec_lo, s36
.LBB1479_262:
	v_mul_lo_u32 v35, v32, s14
	v_mul_lo_u32 v36, v31, s15
	v_mad_u64_u32 v[33:34], null, v31, s14, 0
	s_and_not1_b32 vcc_lo, exec_lo, s13
	s_delay_alu instid0(VALU_DEP_1) | instskip(NEXT) | instid1(VALU_DEP_1)
	v_add3_u32 v34, v34, v36, v35
	v_lshlrev_b64 v[35:36], 1, v[33:34]
	s_cbranch_vccnz .LBB1479_271
; %bb.263:
	s_delay_alu instid0(VALU_DEP_1) | instskip(NEXT) | instid1(VALU_DEP_2)
	v_add_co_u32 v39, vcc_lo, s20, v35
	v_add_co_ci_u32_e32 v40, vcc_lo, s21, v36, vcc_lo
	v_add_co_u32 v33, vcc_lo, s20, v37
	v_add_co_ci_u32_e32 v34, vcc_lo, s21, v38, vcc_lo
	s_mov_b32 s34, -1
	s_clause 0x1
	global_load_u16 v37, v[39:40], off
	global_load_u16 v38, v[33:34], off
	s_mov_b32 s36, exec_lo
	s_waitcnt vmcnt(0)
	v_cmpx_eq_u16_e64 v37, v38
	s_cbranch_execz .LBB1479_270
; %bb.264:
	v_add_co_u32 v33, vcc_lo, v33, 2
	v_add_co_ci_u32_e32 v34, vcc_lo, 0, v34, vcc_lo
	v_add_co_u32 v37, vcc_lo, v39, 2
	v_add_co_ci_u32_e32 v38, vcc_lo, 0, v40, vcc_lo
	s_add_u32 s4, s14, -1
	s_addc_u32 s5, s15, -1
	s_mov_b64 s[6:7], 0
	s_mov_b32 s34, 0
                                        ; implicit-def: $sgpr37
	s_set_inst_prefetch_distance 0x1
	s_branch .LBB1479_267
	.p2align	6
.LBB1479_265:                           ;   in Loop: Header=BB1479_267 Depth=1
	global_load_u16 v39, v[37:38], off
	global_load_u16 v40, v[33:34], off
	v_add_co_u32 v33, vcc_lo, v33, 2
	v_add_co_ci_u32_e32 v34, vcc_lo, 0, v34, vcc_lo
	v_add_co_u32 v37, s0, v37, 2
	s_delay_alu instid0(VALU_DEP_1)
	v_add_co_ci_u32_e64 v38, s0, 0, v38, s0
	s_add_u32 s6, s6, 1
	s_addc_u32 s7, s7, 0
	s_and_not1_b32 s0, s37, exec_lo
	s_waitcnt vmcnt(0)
	v_cmp_ne_u16_e32 vcc_lo, v39, v40
	s_and_b32 s37, vcc_lo, exec_lo
	s_delay_alu instid0(SALU_CYCLE_1)
	s_or_b32 s37, s0, s37
.LBB1479_266:                           ;   in Loop: Header=BB1479_267 Depth=1
	v_dual_mov_b32 v40, s7 :: v_dual_mov_b32 v39, s6
	s_and_b32 s0, exec_lo, s37
	s_delay_alu instid0(SALU_CYCLE_1) | instskip(NEXT) | instid1(SALU_CYCLE_1)
	s_or_b32 s34, s0, s34
	s_and_not1_b32 exec_lo, exec_lo, s34
	s_cbranch_execz .LBB1479_269
.LBB1479_267:                           ; =>This Inner Loop Header: Depth=1
	s_or_b32 s37, s37, exec_lo
	s_cmp_eq_u64 s[4:5], s[6:7]
	s_cbranch_scc0 .LBB1479_265
; %bb.268:                              ;   in Loop: Header=BB1479_267 Depth=1
	s_mov_b64 s[6:7], s[14:15]
                                        ; implicit-def: $vgpr33_vgpr34
                                        ; implicit-def: $vgpr37_vgpr38
	s_branch .LBB1479_266
.LBB1479_269:
	s_set_inst_prefetch_distance 0x2
	s_or_b32 exec_lo, exec_lo, s34
	v_cmp_gt_i64_e32 vcc_lo, s[14:15], v[39:40]
	s_or_not1_b32 s34, vcc_lo, exec_lo
.LBB1479_270:
	s_or_b32 exec_lo, exec_lo, s36
.LBB1479_271:
	v_mul_lo_u32 v37, v30, s14
	v_mul_lo_u32 v38, v29, s15
	v_mad_u64_u32 v[33:34], null, v29, s14, 0
	s_and_not1_b32 vcc_lo, exec_lo, s13
	s_mov_b32 s0, 0
	s_delay_alu instid0(VALU_DEP_1)
	v_add3_u32 v34, v34, v38, v37
	s_cbranch_vccnz .LBB1479_280
; %bb.272:
	s_delay_alu instid0(VALU_DEP_1) | instskip(SKIP_2) | instid1(VALU_DEP_1)
	v_lshlrev_b64 v[37:38], 1, v[33:34]
	s_mov_b32 s0, -1
	s_mov_b32 s36, exec_lo
	v_add_co_u32 v37, vcc_lo, s20, v37
	s_delay_alu instid0(VALU_DEP_2)
	v_add_co_ci_u32_e32 v38, vcc_lo, s21, v38, vcc_lo
	v_add_co_u32 v35, vcc_lo, s20, v35
	v_add_co_ci_u32_e32 v36, vcc_lo, s21, v36, vcc_lo
	s_clause 0x1
	global_load_u16 v39, v[37:38], off
	global_load_u16 v40, v[35:36], off
	s_waitcnt vmcnt(0)
	v_cmpx_eq_u16_e64 v39, v40
	s_cbranch_execz .LBB1479_279
; %bb.273:
	v_add_co_u32 v35, vcc_lo, v35, 2
	v_add_co_ci_u32_e32 v36, vcc_lo, 0, v36, vcc_lo
	v_add_co_u32 v37, vcc_lo, v37, 2
	v_add_co_ci_u32_e32 v38, vcc_lo, 0, v38, vcc_lo
	s_add_u32 s4, s14, -1
	s_addc_u32 s5, s15, -1
	s_mov_b64 s[6:7], 0
	s_mov_b32 s37, 0
                                        ; implicit-def: $sgpr38
	s_set_inst_prefetch_distance 0x1
	s_branch .LBB1479_276
	.p2align	6
.LBB1479_274:                           ;   in Loop: Header=BB1479_276 Depth=1
	global_load_u16 v39, v[37:38], off
	global_load_u16 v40, v[35:36], off
	v_add_co_u32 v35, vcc_lo, v35, 2
	v_add_co_ci_u32_e32 v36, vcc_lo, 0, v36, vcc_lo
	v_add_co_u32 v37, s0, v37, 2
	s_delay_alu instid0(VALU_DEP_1)
	v_add_co_ci_u32_e64 v38, s0, 0, v38, s0
	s_add_u32 s6, s6, 1
	s_addc_u32 s7, s7, 0
	s_and_not1_b32 s0, s38, exec_lo
	s_waitcnt vmcnt(0)
	v_cmp_ne_u16_e32 vcc_lo, v39, v40
	s_and_b32 s38, vcc_lo, exec_lo
	s_delay_alu instid0(SALU_CYCLE_1)
	s_or_b32 s38, s0, s38
.LBB1479_275:                           ;   in Loop: Header=BB1479_276 Depth=1
	v_dual_mov_b32 v40, s7 :: v_dual_mov_b32 v39, s6
	s_and_b32 s0, exec_lo, s38
	s_delay_alu instid0(SALU_CYCLE_1) | instskip(NEXT) | instid1(SALU_CYCLE_1)
	s_or_b32 s37, s0, s37
	s_and_not1_b32 exec_lo, exec_lo, s37
	s_cbranch_execz .LBB1479_278
.LBB1479_276:                           ; =>This Inner Loop Header: Depth=1
	s_or_b32 s38, s38, exec_lo
	s_cmp_eq_u64 s[4:5], s[6:7]
	s_cbranch_scc0 .LBB1479_274
; %bb.277:                              ;   in Loop: Header=BB1479_276 Depth=1
	s_mov_b64 s[6:7], s[14:15]
                                        ; implicit-def: $vgpr35_vgpr36
                                        ; implicit-def: $vgpr37_vgpr38
	s_branch .LBB1479_275
.LBB1479_278:
	s_set_inst_prefetch_distance 0x2
	s_or_b32 exec_lo, exec_lo, s37
	v_cmp_gt_i64_e32 vcc_lo, s[14:15], v[39:40]
	s_or_not1_b32 s0, vcc_lo, exec_lo
.LBB1479_279:
	s_or_b32 exec_lo, exec_lo, s36
.LBB1479_280:
	v_cndmask_b32_e64 v36, 0, 1, s35
	v_cndmask_b32_e64 v37, 0, 1, s27
	;; [unrolled: 1-line block ×7, first 2 shown]
	v_lshlrev_b16 v37, 8, v37
	v_lshlrev_b16 v38, 8, v38
	;; [unrolled: 1-line block ×4, first 2 shown]
	s_waitcnt lgkmcnt(0)
	v_or_b32_e32 v37, v40, v37
	v_or_b32_e32 v38, v41, v38
	v_or_b32_e32 v39, 1, v39
	v_or_b32_e32 v35, v35, v36
	s_barrier
	v_and_b32_e32 v36, 0xffff, v37
	v_lshlrev_b32_e32 v37, 16, v38
	v_and_b32_e32 v38, 0xffff, v39
	v_lshlrev_b32_e32 v35, 16, v35
	buffer_gl0_inv
                                        ; implicit-def: $sgpr0
	v_or_b32_e32 v36, v36, v37
	v_or_b32_e32 v35, v38, v35
	s_and_saveexec_b32 s4, s3
	s_delay_alu instid0(SALU_CYCLE_1)
	s_xor_b32 s24, exec_lo, s4
	s_cbranch_execz .LBB1479_291
; %bb.281:
	s_and_not1_b32 vcc_lo, exec_lo, s13
	s_mov_b32 s0, 0
	s_cbranch_vccnz .LBB1479_290
; %bb.282:
	v_add_nc_u32_e32 v37, -8, v55
	v_lshlrev_b64 v[33:34], 1, v[33:34]
	s_mov_b32 s0, -1
	s_mov_b32 s25, exec_lo
	ds_load_b64 v[37:38], v37
	s_waitcnt lgkmcnt(0)
	v_mul_lo_u32 v40, v38, s14
	v_mul_lo_u32 v41, v37, s15
	v_mad_u64_u32 v[38:39], null, v37, s14, 0
	s_delay_alu instid0(VALU_DEP_1) | instskip(NEXT) | instid1(VALU_DEP_1)
	v_add3_u32 v39, v39, v41, v40
	v_lshlrev_b64 v[37:38], 1, v[38:39]
	s_delay_alu instid0(VALU_DEP_1) | instskip(NEXT) | instid1(VALU_DEP_2)
	v_add_co_u32 v37, vcc_lo, s20, v37
	v_add_co_ci_u32_e32 v38, vcc_lo, s21, v38, vcc_lo
	v_add_co_u32 v33, vcc_lo, s20, v33
	v_add_co_ci_u32_e32 v34, vcc_lo, s21, v34, vcc_lo
	s_clause 0x1
	global_load_u16 v39, v[37:38], off
	global_load_u16 v40, v[33:34], off
	s_waitcnt vmcnt(0)
	v_cmpx_eq_u16_e64 v39, v40
	s_cbranch_execz .LBB1479_289
; %bb.283:
	v_add_co_u32 v33, vcc_lo, v33, 2
	v_add_co_ci_u32_e32 v34, vcc_lo, 0, v34, vcc_lo
	v_add_co_u32 v37, vcc_lo, v37, 2
	v_add_co_ci_u32_e32 v38, vcc_lo, 0, v38, vcc_lo
	s_add_u32 s4, s14, -1
	s_addc_u32 s5, s15, -1
	s_mov_b64 s[6:7], 0
	s_mov_b32 s26, 0
                                        ; implicit-def: $sgpr27
	s_set_inst_prefetch_distance 0x1
	s_branch .LBB1479_286
	.p2align	6
.LBB1479_284:                           ;   in Loop: Header=BB1479_286 Depth=1
	global_load_u16 v39, v[37:38], off
	global_load_u16 v40, v[33:34], off
	v_add_co_u32 v33, vcc_lo, v33, 2
	v_add_co_ci_u32_e32 v34, vcc_lo, 0, v34, vcc_lo
	v_add_co_u32 v37, s0, v37, 2
	s_delay_alu instid0(VALU_DEP_1)
	v_add_co_ci_u32_e64 v38, s0, 0, v38, s0
	s_add_u32 s6, s6, 1
	s_addc_u32 s7, s7, 0
	s_and_not1_b32 s0, s27, exec_lo
	s_waitcnt vmcnt(0)
	v_cmp_ne_u16_e32 vcc_lo, v39, v40
	s_and_b32 s27, vcc_lo, exec_lo
	s_delay_alu instid0(SALU_CYCLE_1)
	s_or_b32 s27, s0, s27
.LBB1479_285:                           ;   in Loop: Header=BB1479_286 Depth=1
	v_dual_mov_b32 v40, s7 :: v_dual_mov_b32 v39, s6
	s_and_b32 s0, exec_lo, s27
	s_delay_alu instid0(SALU_CYCLE_1) | instskip(NEXT) | instid1(SALU_CYCLE_1)
	s_or_b32 s26, s0, s26
	s_and_not1_b32 exec_lo, exec_lo, s26
	s_cbranch_execz .LBB1479_288
.LBB1479_286:                           ; =>This Inner Loop Header: Depth=1
	s_or_b32 s27, s27, exec_lo
	s_cmp_eq_u64 s[4:5], s[6:7]
	s_cbranch_scc0 .LBB1479_284
; %bb.287:                              ;   in Loop: Header=BB1479_286 Depth=1
	s_mov_b64 s[6:7], s[14:15]
                                        ; implicit-def: $vgpr33_vgpr34
                                        ; implicit-def: $vgpr37_vgpr38
	s_branch .LBB1479_285
.LBB1479_288:
	s_set_inst_prefetch_distance 0x2
	s_or_b32 exec_lo, exec_lo, s26
	v_cmp_gt_i64_e32 vcc_lo, s[14:15], v[39:40]
	s_or_not1_b32 s0, vcc_lo, exec_lo
.LBB1479_289:
	s_or_b32 exec_lo, exec_lo, s25
.LBB1479_290:
	s_delay_alu instid0(SALU_CYCLE_1)
	s_and_b32 s0, s0, exec_lo
	s_or_b32 s1, s1, exec_lo
.LBB1479_291:
	s_or_b32 exec_lo, exec_lo, s24
	s_branch .LBB1479_383
.LBB1479_292:
	s_waitcnt vmcnt(0) lgkmcnt(1)
	v_or_b32_e32 v33, 7, v55
	s_mov_b32 s24, 0
	s_mov_b32 s25, 0
	s_mov_b32 s26, exec_lo
	s_delay_alu instid0(VALU_DEP_1)
	v_cmpx_gt_u32_e64 s31, v33
	s_cbranch_execz .LBB1479_303
; %bb.293:
	s_and_not1_b32 vcc_lo, exec_lo, s13
	s_mov_b32 s0, 0
	s_cbranch_vccnz .LBB1479_302
; %bb.294:
	v_mul_lo_u32 v37, v18, s14
	v_mul_lo_u32 v38, v17, s15
	v_mad_u64_u32 v[33:34], null, v17, s14, 0
	v_mul_lo_u32 v39, v20, s14
	v_mul_lo_u32 v40, v19, s15
	v_mad_u64_u32 v[35:36], null, v19, s14, 0
	s_mov_b32 s0, -1
	s_mov_b32 s25, exec_lo
	s_delay_alu instid0(VALU_DEP_4) | instskip(NEXT) | instid1(VALU_DEP_2)
	v_add3_u32 v34, v34, v38, v37
	v_add3_u32 v36, v36, v40, v39
	s_delay_alu instid0(VALU_DEP_2) | instskip(NEXT) | instid1(VALU_DEP_2)
	v_lshlrev_b64 v[33:34], 1, v[33:34]
	v_lshlrev_b64 v[37:38], 1, v[35:36]
	s_delay_alu instid0(VALU_DEP_2) | instskip(NEXT) | instid1(VALU_DEP_3)
	v_add_co_u32 v35, vcc_lo, s20, v33
	v_add_co_ci_u32_e32 v36, vcc_lo, s21, v34, vcc_lo
	s_delay_alu instid0(VALU_DEP_3) | instskip(NEXT) | instid1(VALU_DEP_4)
	v_add_co_u32 v33, vcc_lo, s20, v37
	v_add_co_ci_u32_e32 v34, vcc_lo, s21, v38, vcc_lo
	s_clause 0x1
	global_load_u16 v37, v[35:36], off
	global_load_u16 v38, v[33:34], off
	s_waitcnt vmcnt(0)
	v_cmpx_eq_u16_e64 v37, v38
	s_cbranch_execz .LBB1479_301
; %bb.295:
	v_add_co_u32 v33, vcc_lo, v33, 2
	v_add_co_ci_u32_e32 v34, vcc_lo, 0, v34, vcc_lo
	v_add_co_u32 v35, vcc_lo, v35, 2
	v_add_co_ci_u32_e32 v36, vcc_lo, 0, v36, vcc_lo
	s_add_u32 s4, s14, -1
	s_addc_u32 s5, s15, -1
	s_mov_b64 s[6:7], 0
	s_mov_b32 s27, 0
                                        ; implicit-def: $sgpr34
	s_set_inst_prefetch_distance 0x1
	s_branch .LBB1479_298
	.p2align	6
.LBB1479_296:                           ;   in Loop: Header=BB1479_298 Depth=1
	global_load_u16 v37, v[35:36], off
	global_load_u16 v38, v[33:34], off
	v_add_co_u32 v33, vcc_lo, v33, 2
	v_add_co_ci_u32_e32 v34, vcc_lo, 0, v34, vcc_lo
	v_add_co_u32 v35, s0, v35, 2
	s_delay_alu instid0(VALU_DEP_1)
	v_add_co_ci_u32_e64 v36, s0, 0, v36, s0
	s_add_u32 s6, s6, 1
	s_addc_u32 s7, s7, 0
	s_and_not1_b32 s0, s34, exec_lo
	s_waitcnt vmcnt(0)
	v_cmp_ne_u16_e32 vcc_lo, v37, v38
	s_and_b32 s34, vcc_lo, exec_lo
	s_delay_alu instid0(SALU_CYCLE_1)
	s_or_b32 s34, s0, s34
.LBB1479_297:                           ;   in Loop: Header=BB1479_298 Depth=1
	v_dual_mov_b32 v38, s7 :: v_dual_mov_b32 v37, s6
	s_and_b32 s0, exec_lo, s34
	s_delay_alu instid0(SALU_CYCLE_1) | instskip(NEXT) | instid1(SALU_CYCLE_1)
	s_or_b32 s27, s0, s27
	s_and_not1_b32 exec_lo, exec_lo, s27
	s_cbranch_execz .LBB1479_300
.LBB1479_298:                           ; =>This Inner Loop Header: Depth=1
	s_or_b32 s34, s34, exec_lo
	s_cmp_eq_u64 s[4:5], s[6:7]
	s_cbranch_scc0 .LBB1479_296
; %bb.299:                              ;   in Loop: Header=BB1479_298 Depth=1
	s_mov_b64 s[6:7], s[14:15]
                                        ; implicit-def: $vgpr33_vgpr34
                                        ; implicit-def: $vgpr35_vgpr36
	s_branch .LBB1479_297
.LBB1479_300:
	s_set_inst_prefetch_distance 0x2
	s_or_b32 exec_lo, exec_lo, s27
	v_cmp_gt_i64_e32 vcc_lo, s[14:15], v[37:38]
	s_or_not1_b32 s0, vcc_lo, exec_lo
.LBB1479_301:
	s_or_b32 exec_lo, exec_lo, s25
.LBB1479_302:
	s_delay_alu instid0(SALU_CYCLE_1)
	s_and_b32 s25, s0, exec_lo
.LBB1479_303:
	s_or_b32 exec_lo, exec_lo, s26
	v_or_b32_e32 v33, 6, v55
	s_mov_b32 s26, exec_lo
	s_delay_alu instid0(VALU_DEP_1)
	v_cmpx_gt_u32_e64 s31, v33
	s_cbranch_execz .LBB1479_314
; %bb.304:
	s_and_not1_b32 vcc_lo, exec_lo, s13
	s_mov_b32 s0, 0
	s_cbranch_vccnz .LBB1479_313
; %bb.305:
	v_mul_lo_u32 v37, v24, s14
	v_mul_lo_u32 v38, v23, s15
	v_mad_u64_u32 v[33:34], null, v23, s14, 0
	v_mul_lo_u32 v39, v18, s14
	v_mul_lo_u32 v40, v17, s15
	v_mad_u64_u32 v[35:36], null, v17, s14, 0
	s_mov_b32 s0, -1
	s_mov_b32 s24, exec_lo
	s_delay_alu instid0(VALU_DEP_4) | instskip(NEXT) | instid1(VALU_DEP_2)
	v_add3_u32 v34, v34, v38, v37
	v_add3_u32 v36, v36, v40, v39
	s_delay_alu instid0(VALU_DEP_2) | instskip(NEXT) | instid1(VALU_DEP_2)
	v_lshlrev_b64 v[33:34], 1, v[33:34]
	v_lshlrev_b64 v[37:38], 1, v[35:36]
	s_delay_alu instid0(VALU_DEP_2) | instskip(NEXT) | instid1(VALU_DEP_3)
	v_add_co_u32 v35, vcc_lo, s20, v33
	v_add_co_ci_u32_e32 v36, vcc_lo, s21, v34, vcc_lo
	s_delay_alu instid0(VALU_DEP_3) | instskip(NEXT) | instid1(VALU_DEP_4)
	v_add_co_u32 v33, vcc_lo, s20, v37
	v_add_co_ci_u32_e32 v34, vcc_lo, s21, v38, vcc_lo
	s_clause 0x1
	global_load_u16 v37, v[35:36], off
	global_load_u16 v38, v[33:34], off
	s_waitcnt vmcnt(0)
	v_cmpx_eq_u16_e64 v37, v38
	s_cbranch_execz .LBB1479_312
; %bb.306:
	v_add_co_u32 v33, vcc_lo, v33, 2
	v_add_co_ci_u32_e32 v34, vcc_lo, 0, v34, vcc_lo
	v_add_co_u32 v35, vcc_lo, v35, 2
	v_add_co_ci_u32_e32 v36, vcc_lo, 0, v36, vcc_lo
	s_add_u32 s4, s14, -1
	s_addc_u32 s5, s15, -1
	s_mov_b64 s[6:7], 0
	s_mov_b32 s27, 0
                                        ; implicit-def: $sgpr34
	s_set_inst_prefetch_distance 0x1
	s_branch .LBB1479_309
	.p2align	6
.LBB1479_307:                           ;   in Loop: Header=BB1479_309 Depth=1
	global_load_u16 v37, v[35:36], off
	global_load_u16 v38, v[33:34], off
	v_add_co_u32 v33, vcc_lo, v33, 2
	v_add_co_ci_u32_e32 v34, vcc_lo, 0, v34, vcc_lo
	v_add_co_u32 v35, s0, v35, 2
	s_delay_alu instid0(VALU_DEP_1)
	v_add_co_ci_u32_e64 v36, s0, 0, v36, s0
	s_add_u32 s6, s6, 1
	s_addc_u32 s7, s7, 0
	s_and_not1_b32 s0, s34, exec_lo
	s_waitcnt vmcnt(0)
	v_cmp_ne_u16_e32 vcc_lo, v37, v38
	s_and_b32 s34, vcc_lo, exec_lo
	s_delay_alu instid0(SALU_CYCLE_1)
	s_or_b32 s34, s0, s34
.LBB1479_308:                           ;   in Loop: Header=BB1479_309 Depth=1
	v_dual_mov_b32 v38, s7 :: v_dual_mov_b32 v37, s6
	s_and_b32 s0, exec_lo, s34
	s_delay_alu instid0(SALU_CYCLE_1) | instskip(NEXT) | instid1(SALU_CYCLE_1)
	s_or_b32 s27, s0, s27
	s_and_not1_b32 exec_lo, exec_lo, s27
	s_cbranch_execz .LBB1479_311
.LBB1479_309:                           ; =>This Inner Loop Header: Depth=1
	s_or_b32 s34, s34, exec_lo
	s_cmp_eq_u64 s[4:5], s[6:7]
	s_cbranch_scc0 .LBB1479_307
; %bb.310:                              ;   in Loop: Header=BB1479_309 Depth=1
	s_mov_b64 s[6:7], s[14:15]
                                        ; implicit-def: $vgpr33_vgpr34
                                        ; implicit-def: $vgpr35_vgpr36
	s_branch .LBB1479_308
.LBB1479_311:
	s_set_inst_prefetch_distance 0x2
	s_or_b32 exec_lo, exec_lo, s27
	v_cmp_gt_i64_e32 vcc_lo, s[14:15], v[37:38]
	s_or_not1_b32 s0, vcc_lo, exec_lo
.LBB1479_312:
	s_or_b32 exec_lo, exec_lo, s24
.LBB1479_313:
	s_delay_alu instid0(SALU_CYCLE_1)
	s_and_b32 s24, s0, exec_lo
.LBB1479_314:
	s_or_b32 exec_lo, exec_lo, s26
	v_or_b32_e32 v33, 5, v55
	s_mov_b32 s26, 0
	s_mov_b32 s27, 0
	s_mov_b32 s34, exec_lo
	s_delay_alu instid0(VALU_DEP_1)
	v_cmpx_gt_u32_e64 s31, v33
	s_cbranch_execz .LBB1479_325
; %bb.315:
	s_and_not1_b32 vcc_lo, exec_lo, s13
	s_mov_b32 s0, 0
	s_cbranch_vccnz .LBB1479_324
; %bb.316:
	v_mul_lo_u32 v37, v22, s14
	v_mul_lo_u32 v38, v21, s15
	v_mad_u64_u32 v[33:34], null, v21, s14, 0
	v_mul_lo_u32 v39, v24, s14
	v_mul_lo_u32 v40, v23, s15
	v_mad_u64_u32 v[35:36], null, v23, s14, 0
	s_mov_b32 s0, -1
	s_mov_b32 s27, exec_lo
	s_delay_alu instid0(VALU_DEP_4) | instskip(NEXT) | instid1(VALU_DEP_2)
	v_add3_u32 v34, v34, v38, v37
	v_add3_u32 v36, v36, v40, v39
	s_delay_alu instid0(VALU_DEP_2) | instskip(NEXT) | instid1(VALU_DEP_2)
	v_lshlrev_b64 v[33:34], 1, v[33:34]
	v_lshlrev_b64 v[37:38], 1, v[35:36]
	s_delay_alu instid0(VALU_DEP_2) | instskip(NEXT) | instid1(VALU_DEP_3)
	v_add_co_u32 v35, vcc_lo, s20, v33
	v_add_co_ci_u32_e32 v36, vcc_lo, s21, v34, vcc_lo
	s_delay_alu instid0(VALU_DEP_3) | instskip(NEXT) | instid1(VALU_DEP_4)
	v_add_co_u32 v33, vcc_lo, s20, v37
	v_add_co_ci_u32_e32 v34, vcc_lo, s21, v38, vcc_lo
	s_clause 0x1
	global_load_u16 v37, v[35:36], off
	global_load_u16 v38, v[33:34], off
	s_waitcnt vmcnt(0)
	v_cmpx_eq_u16_e64 v37, v38
	s_cbranch_execz .LBB1479_323
; %bb.317:
	v_add_co_u32 v33, vcc_lo, v33, 2
	v_add_co_ci_u32_e32 v34, vcc_lo, 0, v34, vcc_lo
	v_add_co_u32 v35, vcc_lo, v35, 2
	v_add_co_ci_u32_e32 v36, vcc_lo, 0, v36, vcc_lo
	s_add_u32 s4, s14, -1
	s_addc_u32 s5, s15, -1
	s_mov_b64 s[6:7], 0
	s_mov_b32 s35, 0
                                        ; implicit-def: $sgpr36
	s_set_inst_prefetch_distance 0x1
	s_branch .LBB1479_320
	.p2align	6
.LBB1479_318:                           ;   in Loop: Header=BB1479_320 Depth=1
	global_load_u16 v37, v[35:36], off
	global_load_u16 v38, v[33:34], off
	v_add_co_u32 v33, vcc_lo, v33, 2
	v_add_co_ci_u32_e32 v34, vcc_lo, 0, v34, vcc_lo
	v_add_co_u32 v35, s0, v35, 2
	s_delay_alu instid0(VALU_DEP_1)
	v_add_co_ci_u32_e64 v36, s0, 0, v36, s0
	s_add_u32 s6, s6, 1
	s_addc_u32 s7, s7, 0
	s_and_not1_b32 s0, s36, exec_lo
	s_waitcnt vmcnt(0)
	v_cmp_ne_u16_e32 vcc_lo, v37, v38
	s_and_b32 s36, vcc_lo, exec_lo
	s_delay_alu instid0(SALU_CYCLE_1)
	s_or_b32 s36, s0, s36
.LBB1479_319:                           ;   in Loop: Header=BB1479_320 Depth=1
	v_dual_mov_b32 v38, s7 :: v_dual_mov_b32 v37, s6
	s_and_b32 s0, exec_lo, s36
	s_delay_alu instid0(SALU_CYCLE_1) | instskip(NEXT) | instid1(SALU_CYCLE_1)
	s_or_b32 s35, s0, s35
	s_and_not1_b32 exec_lo, exec_lo, s35
	s_cbranch_execz .LBB1479_322
.LBB1479_320:                           ; =>This Inner Loop Header: Depth=1
	s_or_b32 s36, s36, exec_lo
	s_cmp_eq_u64 s[4:5], s[6:7]
	s_cbranch_scc0 .LBB1479_318
; %bb.321:                              ;   in Loop: Header=BB1479_320 Depth=1
	s_mov_b64 s[6:7], s[14:15]
                                        ; implicit-def: $vgpr33_vgpr34
                                        ; implicit-def: $vgpr35_vgpr36
	s_branch .LBB1479_319
.LBB1479_322:
	s_set_inst_prefetch_distance 0x2
	s_or_b32 exec_lo, exec_lo, s35
	v_cmp_gt_i64_e32 vcc_lo, s[14:15], v[37:38]
	s_or_not1_b32 s0, vcc_lo, exec_lo
.LBB1479_323:
	s_or_b32 exec_lo, exec_lo, s27
.LBB1479_324:
	s_delay_alu instid0(SALU_CYCLE_1)
	s_and_b32 s27, s0, exec_lo
.LBB1479_325:
	s_or_b32 exec_lo, exec_lo, s34
	v_or_b32_e32 v33, 4, v55
	s_mov_b32 s34, exec_lo
	s_delay_alu instid0(VALU_DEP_1)
	v_cmpx_gt_u32_e64 s31, v33
	s_cbranch_execz .LBB1479_336
; %bb.326:
	s_and_not1_b32 vcc_lo, exec_lo, s13
	s_mov_b32 s0, 0
	s_cbranch_vccnz .LBB1479_335
; %bb.327:
	v_mul_lo_u32 v37, v28, s14
	v_mul_lo_u32 v38, v27, s15
	v_mad_u64_u32 v[33:34], null, v27, s14, 0
	v_mul_lo_u32 v39, v22, s14
	v_mul_lo_u32 v40, v21, s15
	v_mad_u64_u32 v[35:36], null, v21, s14, 0
	s_mov_b32 s0, -1
	s_mov_b32 s26, exec_lo
	s_delay_alu instid0(VALU_DEP_4) | instskip(NEXT) | instid1(VALU_DEP_2)
	v_add3_u32 v34, v34, v38, v37
	v_add3_u32 v36, v36, v40, v39
	s_delay_alu instid0(VALU_DEP_2) | instskip(NEXT) | instid1(VALU_DEP_2)
	v_lshlrev_b64 v[33:34], 1, v[33:34]
	v_lshlrev_b64 v[37:38], 1, v[35:36]
	s_delay_alu instid0(VALU_DEP_2) | instskip(NEXT) | instid1(VALU_DEP_3)
	v_add_co_u32 v35, vcc_lo, s20, v33
	v_add_co_ci_u32_e32 v36, vcc_lo, s21, v34, vcc_lo
	s_delay_alu instid0(VALU_DEP_3) | instskip(NEXT) | instid1(VALU_DEP_4)
	v_add_co_u32 v33, vcc_lo, s20, v37
	v_add_co_ci_u32_e32 v34, vcc_lo, s21, v38, vcc_lo
	s_clause 0x1
	global_load_u16 v37, v[35:36], off
	global_load_u16 v38, v[33:34], off
	s_waitcnt vmcnt(0)
	v_cmpx_eq_u16_e64 v37, v38
	s_cbranch_execz .LBB1479_334
; %bb.328:
	v_add_co_u32 v33, vcc_lo, v33, 2
	v_add_co_ci_u32_e32 v34, vcc_lo, 0, v34, vcc_lo
	v_add_co_u32 v35, vcc_lo, v35, 2
	v_add_co_ci_u32_e32 v36, vcc_lo, 0, v36, vcc_lo
	s_add_u32 s4, s14, -1
	s_addc_u32 s5, s15, -1
	s_mov_b64 s[6:7], 0
	s_mov_b32 s35, 0
                                        ; implicit-def: $sgpr36
	s_set_inst_prefetch_distance 0x1
	s_branch .LBB1479_331
	.p2align	6
.LBB1479_329:                           ;   in Loop: Header=BB1479_331 Depth=1
	global_load_u16 v37, v[35:36], off
	global_load_u16 v38, v[33:34], off
	v_add_co_u32 v33, vcc_lo, v33, 2
	v_add_co_ci_u32_e32 v34, vcc_lo, 0, v34, vcc_lo
	v_add_co_u32 v35, s0, v35, 2
	s_delay_alu instid0(VALU_DEP_1)
	v_add_co_ci_u32_e64 v36, s0, 0, v36, s0
	s_add_u32 s6, s6, 1
	s_addc_u32 s7, s7, 0
	s_and_not1_b32 s0, s36, exec_lo
	s_waitcnt vmcnt(0)
	v_cmp_ne_u16_e32 vcc_lo, v37, v38
	s_and_b32 s36, vcc_lo, exec_lo
	s_delay_alu instid0(SALU_CYCLE_1)
	s_or_b32 s36, s0, s36
.LBB1479_330:                           ;   in Loop: Header=BB1479_331 Depth=1
	v_dual_mov_b32 v38, s7 :: v_dual_mov_b32 v37, s6
	s_and_b32 s0, exec_lo, s36
	s_delay_alu instid0(SALU_CYCLE_1) | instskip(NEXT) | instid1(SALU_CYCLE_1)
	s_or_b32 s35, s0, s35
	s_and_not1_b32 exec_lo, exec_lo, s35
	s_cbranch_execz .LBB1479_333
.LBB1479_331:                           ; =>This Inner Loop Header: Depth=1
	s_or_b32 s36, s36, exec_lo
	s_cmp_eq_u64 s[4:5], s[6:7]
	s_cbranch_scc0 .LBB1479_329
; %bb.332:                              ;   in Loop: Header=BB1479_331 Depth=1
	s_mov_b64 s[6:7], s[14:15]
                                        ; implicit-def: $vgpr33_vgpr34
                                        ; implicit-def: $vgpr35_vgpr36
	s_branch .LBB1479_330
.LBB1479_333:
	s_set_inst_prefetch_distance 0x2
	s_or_b32 exec_lo, exec_lo, s35
	v_cmp_gt_i64_e32 vcc_lo, s[14:15], v[37:38]
	s_or_not1_b32 s0, vcc_lo, exec_lo
.LBB1479_334:
	s_or_b32 exec_lo, exec_lo, s26
.LBB1479_335:
	s_delay_alu instid0(SALU_CYCLE_1)
	s_and_b32 s26, s0, exec_lo
.LBB1479_336:
	s_or_b32 exec_lo, exec_lo, s34
	v_or_b32_e32 v33, 3, v55
	s_mov_b32 s35, 0
	s_mov_b32 s34, 0
	s_mov_b32 s36, exec_lo
	s_delay_alu instid0(VALU_DEP_1)
	v_cmpx_gt_u32_e64 s31, v33
	s_cbranch_execz .LBB1479_347
; %bb.337:
	s_and_not1_b32 vcc_lo, exec_lo, s13
	s_mov_b32 s0, 0
	s_cbranch_vccnz .LBB1479_346
; %bb.338:
	v_mul_lo_u32 v37, v26, s14
	v_mul_lo_u32 v38, v25, s15
	v_mad_u64_u32 v[33:34], null, v25, s14, 0
	v_mul_lo_u32 v39, v28, s14
	v_mul_lo_u32 v40, v27, s15
	v_mad_u64_u32 v[35:36], null, v27, s14, 0
	s_mov_b32 s0, -1
	s_mov_b32 s34, exec_lo
	s_delay_alu instid0(VALU_DEP_4) | instskip(NEXT) | instid1(VALU_DEP_2)
	v_add3_u32 v34, v34, v38, v37
	v_add3_u32 v36, v36, v40, v39
	s_delay_alu instid0(VALU_DEP_2) | instskip(NEXT) | instid1(VALU_DEP_2)
	v_lshlrev_b64 v[33:34], 1, v[33:34]
	v_lshlrev_b64 v[37:38], 1, v[35:36]
	s_delay_alu instid0(VALU_DEP_2) | instskip(NEXT) | instid1(VALU_DEP_3)
	v_add_co_u32 v35, vcc_lo, s20, v33
	v_add_co_ci_u32_e32 v36, vcc_lo, s21, v34, vcc_lo
	s_delay_alu instid0(VALU_DEP_3) | instskip(NEXT) | instid1(VALU_DEP_4)
	v_add_co_u32 v33, vcc_lo, s20, v37
	v_add_co_ci_u32_e32 v34, vcc_lo, s21, v38, vcc_lo
	s_clause 0x1
	global_load_u16 v37, v[35:36], off
	global_load_u16 v38, v[33:34], off
	s_waitcnt vmcnt(0)
	v_cmpx_eq_u16_e64 v37, v38
	s_cbranch_execz .LBB1479_345
; %bb.339:
	v_add_co_u32 v33, vcc_lo, v33, 2
	v_add_co_ci_u32_e32 v34, vcc_lo, 0, v34, vcc_lo
	v_add_co_u32 v35, vcc_lo, v35, 2
	v_add_co_ci_u32_e32 v36, vcc_lo, 0, v36, vcc_lo
	s_add_u32 s4, s14, -1
	s_addc_u32 s5, s15, -1
	s_mov_b64 s[6:7], 0
	s_mov_b32 s37, 0
                                        ; implicit-def: $sgpr38
	s_set_inst_prefetch_distance 0x1
	s_branch .LBB1479_342
	.p2align	6
.LBB1479_340:                           ;   in Loop: Header=BB1479_342 Depth=1
	global_load_u16 v37, v[35:36], off
	global_load_u16 v38, v[33:34], off
	v_add_co_u32 v33, vcc_lo, v33, 2
	v_add_co_ci_u32_e32 v34, vcc_lo, 0, v34, vcc_lo
	v_add_co_u32 v35, s0, v35, 2
	s_delay_alu instid0(VALU_DEP_1)
	v_add_co_ci_u32_e64 v36, s0, 0, v36, s0
	s_add_u32 s6, s6, 1
	s_addc_u32 s7, s7, 0
	s_and_not1_b32 s0, s38, exec_lo
	s_waitcnt vmcnt(0)
	v_cmp_ne_u16_e32 vcc_lo, v37, v38
	s_and_b32 s38, vcc_lo, exec_lo
	s_delay_alu instid0(SALU_CYCLE_1)
	s_or_b32 s38, s0, s38
.LBB1479_341:                           ;   in Loop: Header=BB1479_342 Depth=1
	v_dual_mov_b32 v38, s7 :: v_dual_mov_b32 v37, s6
	s_and_b32 s0, exec_lo, s38
	s_delay_alu instid0(SALU_CYCLE_1) | instskip(NEXT) | instid1(SALU_CYCLE_1)
	s_or_b32 s37, s0, s37
	s_and_not1_b32 exec_lo, exec_lo, s37
	s_cbranch_execz .LBB1479_344
.LBB1479_342:                           ; =>This Inner Loop Header: Depth=1
	s_or_b32 s38, s38, exec_lo
	s_cmp_eq_u64 s[4:5], s[6:7]
	s_cbranch_scc0 .LBB1479_340
; %bb.343:                              ;   in Loop: Header=BB1479_342 Depth=1
	s_mov_b64 s[6:7], s[14:15]
                                        ; implicit-def: $vgpr33_vgpr34
                                        ; implicit-def: $vgpr35_vgpr36
	s_branch .LBB1479_341
.LBB1479_344:
	s_set_inst_prefetch_distance 0x2
	s_or_b32 exec_lo, exec_lo, s37
	v_cmp_gt_i64_e32 vcc_lo, s[14:15], v[37:38]
	s_or_not1_b32 s0, vcc_lo, exec_lo
.LBB1479_345:
	s_or_b32 exec_lo, exec_lo, s34
.LBB1479_346:
	s_delay_alu instid0(SALU_CYCLE_1)
	s_and_b32 s34, s0, exec_lo
.LBB1479_347:
	s_or_b32 exec_lo, exec_lo, s36
	v_or_b32_e32 v33, 2, v55
	s_mov_b32 s36, exec_lo
	s_delay_alu instid0(VALU_DEP_1)
	v_cmpx_gt_u32_e64 s31, v33
	s_cbranch_execz .LBB1479_358
; %bb.348:
	s_and_not1_b32 vcc_lo, exec_lo, s13
	s_mov_b32 s0, 0
	s_cbranch_vccnz .LBB1479_357
; %bb.349:
	v_mul_lo_u32 v37, v32, s14
	v_mul_lo_u32 v38, v31, s15
	v_mad_u64_u32 v[33:34], null, v31, s14, 0
	v_mul_lo_u32 v39, v26, s14
	v_mul_lo_u32 v40, v25, s15
	v_mad_u64_u32 v[35:36], null, v25, s14, 0
	s_mov_b32 s0, -1
	s_mov_b32 s35, exec_lo
	s_delay_alu instid0(VALU_DEP_4) | instskip(NEXT) | instid1(VALU_DEP_2)
	v_add3_u32 v34, v34, v38, v37
	v_add3_u32 v36, v36, v40, v39
	s_delay_alu instid0(VALU_DEP_2) | instskip(NEXT) | instid1(VALU_DEP_2)
	v_lshlrev_b64 v[33:34], 1, v[33:34]
	v_lshlrev_b64 v[37:38], 1, v[35:36]
	s_delay_alu instid0(VALU_DEP_2) | instskip(NEXT) | instid1(VALU_DEP_3)
	v_add_co_u32 v35, vcc_lo, s20, v33
	v_add_co_ci_u32_e32 v36, vcc_lo, s21, v34, vcc_lo
	s_delay_alu instid0(VALU_DEP_3) | instskip(NEXT) | instid1(VALU_DEP_4)
	v_add_co_u32 v33, vcc_lo, s20, v37
	v_add_co_ci_u32_e32 v34, vcc_lo, s21, v38, vcc_lo
	s_clause 0x1
	global_load_u16 v37, v[35:36], off
	global_load_u16 v38, v[33:34], off
	s_waitcnt vmcnt(0)
	v_cmpx_eq_u16_e64 v37, v38
	s_cbranch_execz .LBB1479_356
; %bb.350:
	v_add_co_u32 v33, vcc_lo, v33, 2
	v_add_co_ci_u32_e32 v34, vcc_lo, 0, v34, vcc_lo
	v_add_co_u32 v35, vcc_lo, v35, 2
	v_add_co_ci_u32_e32 v36, vcc_lo, 0, v36, vcc_lo
	s_add_u32 s4, s14, -1
	s_addc_u32 s5, s15, -1
	s_mov_b64 s[6:7], 0
	s_mov_b32 s37, 0
                                        ; implicit-def: $sgpr38
	s_set_inst_prefetch_distance 0x1
	s_branch .LBB1479_353
	.p2align	6
.LBB1479_351:                           ;   in Loop: Header=BB1479_353 Depth=1
	global_load_u16 v37, v[35:36], off
	global_load_u16 v38, v[33:34], off
	v_add_co_u32 v33, vcc_lo, v33, 2
	v_add_co_ci_u32_e32 v34, vcc_lo, 0, v34, vcc_lo
	v_add_co_u32 v35, s0, v35, 2
	s_delay_alu instid0(VALU_DEP_1)
	v_add_co_ci_u32_e64 v36, s0, 0, v36, s0
	s_add_u32 s6, s6, 1
	s_addc_u32 s7, s7, 0
	s_and_not1_b32 s0, s38, exec_lo
	s_waitcnt vmcnt(0)
	v_cmp_ne_u16_e32 vcc_lo, v37, v38
	s_and_b32 s38, vcc_lo, exec_lo
	s_delay_alu instid0(SALU_CYCLE_1)
	s_or_b32 s38, s0, s38
.LBB1479_352:                           ;   in Loop: Header=BB1479_353 Depth=1
	v_dual_mov_b32 v38, s7 :: v_dual_mov_b32 v37, s6
	s_and_b32 s0, exec_lo, s38
	s_delay_alu instid0(SALU_CYCLE_1) | instskip(NEXT) | instid1(SALU_CYCLE_1)
	s_or_b32 s37, s0, s37
	s_and_not1_b32 exec_lo, exec_lo, s37
	s_cbranch_execz .LBB1479_355
.LBB1479_353:                           ; =>This Inner Loop Header: Depth=1
	s_or_b32 s38, s38, exec_lo
	s_cmp_eq_u64 s[4:5], s[6:7]
	s_cbranch_scc0 .LBB1479_351
; %bb.354:                              ;   in Loop: Header=BB1479_353 Depth=1
	s_mov_b64 s[6:7], s[14:15]
                                        ; implicit-def: $vgpr33_vgpr34
                                        ; implicit-def: $vgpr35_vgpr36
	s_branch .LBB1479_352
.LBB1479_355:
	s_set_inst_prefetch_distance 0x2
	s_or_b32 exec_lo, exec_lo, s37
	v_cmp_gt_i64_e32 vcc_lo, s[14:15], v[37:38]
	s_or_not1_b32 s0, vcc_lo, exec_lo
.LBB1479_356:
	s_or_b32 exec_lo, exec_lo, s35
.LBB1479_357:
	s_delay_alu instid0(SALU_CYCLE_1)
	s_and_b32 s35, s0, exec_lo
.LBB1479_358:
	s_or_b32 exec_lo, exec_lo, s36
	v_or_b32_e32 v33, 1, v55
	s_mov_b32 s0, 0
	s_mov_b32 s36, exec_lo
	s_delay_alu instid0(VALU_DEP_1)
	v_cmpx_gt_u32_e64 s31, v33
	s_cbranch_execz .LBB1479_369
; %bb.359:
	s_and_not1_b32 vcc_lo, exec_lo, s13
	s_cbranch_vccnz .LBB1479_368
; %bb.360:
	v_mul_lo_u32 v37, v30, s14
	v_mul_lo_u32 v38, v29, s15
	v_mad_u64_u32 v[33:34], null, v29, s14, 0
	v_mul_lo_u32 v39, v32, s14
	v_mul_lo_u32 v40, v31, s15
	v_mad_u64_u32 v[35:36], null, v31, s14, 0
	s_mov_b32 s0, -1
	s_mov_b32 s37, exec_lo
	s_delay_alu instid0(VALU_DEP_4) | instskip(NEXT) | instid1(VALU_DEP_2)
	v_add3_u32 v34, v34, v38, v37
	v_add3_u32 v36, v36, v40, v39
	s_delay_alu instid0(VALU_DEP_2) | instskip(NEXT) | instid1(VALU_DEP_2)
	v_lshlrev_b64 v[33:34], 1, v[33:34]
	v_lshlrev_b64 v[37:38], 1, v[35:36]
	s_delay_alu instid0(VALU_DEP_2) | instskip(NEXT) | instid1(VALU_DEP_3)
	v_add_co_u32 v35, vcc_lo, s20, v33
	v_add_co_ci_u32_e32 v36, vcc_lo, s21, v34, vcc_lo
	s_delay_alu instid0(VALU_DEP_3) | instskip(NEXT) | instid1(VALU_DEP_4)
	v_add_co_u32 v33, vcc_lo, s20, v37
	v_add_co_ci_u32_e32 v34, vcc_lo, s21, v38, vcc_lo
	s_clause 0x1
	global_load_u16 v37, v[35:36], off
	global_load_u16 v38, v[33:34], off
	s_waitcnt vmcnt(0)
	v_cmpx_eq_u16_e64 v37, v38
	s_cbranch_execz .LBB1479_367
; %bb.361:
	v_add_co_u32 v33, vcc_lo, v33, 2
	v_add_co_ci_u32_e32 v34, vcc_lo, 0, v34, vcc_lo
	v_add_co_u32 v35, vcc_lo, v35, 2
	v_add_co_ci_u32_e32 v36, vcc_lo, 0, v36, vcc_lo
	s_add_u32 s4, s14, -1
	s_addc_u32 s5, s15, -1
	s_mov_b64 s[6:7], 0
	s_mov_b32 s38, 0
                                        ; implicit-def: $sgpr39
	s_set_inst_prefetch_distance 0x1
	s_branch .LBB1479_364
	.p2align	6
.LBB1479_362:                           ;   in Loop: Header=BB1479_364 Depth=1
	global_load_u16 v37, v[35:36], off
	global_load_u16 v38, v[33:34], off
	v_add_co_u32 v33, vcc_lo, v33, 2
	v_add_co_ci_u32_e32 v34, vcc_lo, 0, v34, vcc_lo
	v_add_co_u32 v35, s0, v35, 2
	s_delay_alu instid0(VALU_DEP_1)
	v_add_co_ci_u32_e64 v36, s0, 0, v36, s0
	s_add_u32 s6, s6, 1
	s_addc_u32 s7, s7, 0
	s_and_not1_b32 s0, s39, exec_lo
	s_waitcnt vmcnt(0)
	v_cmp_ne_u16_e32 vcc_lo, v37, v38
	s_and_b32 s39, vcc_lo, exec_lo
	s_delay_alu instid0(SALU_CYCLE_1)
	s_or_b32 s39, s0, s39
.LBB1479_363:                           ;   in Loop: Header=BB1479_364 Depth=1
	v_dual_mov_b32 v38, s7 :: v_dual_mov_b32 v37, s6
	s_and_b32 s0, exec_lo, s39
	s_delay_alu instid0(SALU_CYCLE_1) | instskip(NEXT) | instid1(SALU_CYCLE_1)
	s_or_b32 s38, s0, s38
	s_and_not1_b32 exec_lo, exec_lo, s38
	s_cbranch_execz .LBB1479_366
.LBB1479_364:                           ; =>This Inner Loop Header: Depth=1
	s_or_b32 s39, s39, exec_lo
	s_cmp_eq_u64 s[4:5], s[6:7]
	s_cbranch_scc0 .LBB1479_362
; %bb.365:                              ;   in Loop: Header=BB1479_364 Depth=1
	s_mov_b64 s[6:7], s[14:15]
                                        ; implicit-def: $vgpr33_vgpr34
                                        ; implicit-def: $vgpr35_vgpr36
	s_branch .LBB1479_363
.LBB1479_366:
	s_set_inst_prefetch_distance 0x2
	s_or_b32 exec_lo, exec_lo, s38
	v_cmp_gt_i64_e32 vcc_lo, s[14:15], v[37:38]
	s_or_not1_b32 s0, vcc_lo, exec_lo
.LBB1479_367:
	s_or_b32 exec_lo, exec_lo, s37
.LBB1479_368:
	s_delay_alu instid0(SALU_CYCLE_1)
	s_and_b32 s0, s0, exec_lo
.LBB1479_369:
	s_or_b32 exec_lo, exec_lo, s36
	v_cndmask_b32_e64 v34, 0, 1, s34
	v_cndmask_b32_e64 v35, 0, 1, s27
	;; [unrolled: 1-line block ×7, first 2 shown]
	v_lshlrev_b16 v35, 8, v35
	v_lshlrev_b16 v36, 8, v36
	;; [unrolled: 1-line block ×4, first 2 shown]
	s_waitcnt lgkmcnt(0)
	v_or_b32_e32 v35, v38, v35
	v_or_b32_e32 v36, v39, v36
	;; [unrolled: 1-line block ×4, first 2 shown]
	s_barrier
	v_and_b32_e32 v34, 0xffff, v35
	v_lshlrev_b32_e32 v35, 16, v36
	v_and_b32_e32 v37, 0xffff, v37
	v_lshlrev_b32_e32 v33, 16, v33
	buffer_gl0_inv
                                        ; implicit-def: $sgpr0
	v_or_b32_e32 v36, v34, v35
	v_or_b32_e32 v35, v37, v33
	s_and_saveexec_b32 s24, s3
	s_cbranch_execz .LBB1479_382
; %bb.370:
	s_mov_b32 s0, 0
	s_mov_b32 s3, exec_lo
	v_cmpx_gt_u32_e64 s31, v55
	s_cbranch_execz .LBB1479_381
; %bb.371:
	s_and_not1_b32 vcc_lo, exec_lo, s13
	s_cbranch_vccnz .LBB1479_380
; %bb.372:
	v_add_nc_u32_e32 v33, -8, v55
	v_mul_lo_u32 v41, v30, s14
	v_mul_lo_u32 v42, v29, s15
	s_mov_b32 s0, -1
	s_mov_b32 s13, exec_lo
	ds_load_b64 v[33:34], v33
	s_waitcnt lgkmcnt(0)
	v_mul_lo_u32 v39, v34, s14
	v_mul_lo_u32 v40, v33, s15
	v_mad_u64_u32 v[37:38], null, v33, s14, 0
	v_mad_u64_u32 v[33:34], null, v29, s14, 0
	s_delay_alu instid0(VALU_DEP_2) | instskip(NEXT) | instid1(VALU_DEP_2)
	v_add3_u32 v38, v38, v40, v39
	v_add3_u32 v34, v34, v42, v41
	s_delay_alu instid0(VALU_DEP_2) | instskip(NEXT) | instid1(VALU_DEP_2)
	v_lshlrev_b64 v[37:38], 1, v[37:38]
	v_lshlrev_b64 v[33:34], 1, v[33:34]
	s_delay_alu instid0(VALU_DEP_2) | instskip(NEXT) | instid1(VALU_DEP_3)
	v_add_co_u32 v37, vcc_lo, s20, v37
	v_add_co_ci_u32_e32 v38, vcc_lo, s21, v38, vcc_lo
	s_delay_alu instid0(VALU_DEP_3) | instskip(NEXT) | instid1(VALU_DEP_4)
	v_add_co_u32 v33, vcc_lo, s20, v33
	v_add_co_ci_u32_e32 v34, vcc_lo, s21, v34, vcc_lo
	s_clause 0x1
	global_load_u16 v39, v[37:38], off
	global_load_u16 v40, v[33:34], off
	s_waitcnt vmcnt(0)
	v_cmpx_eq_u16_e64 v39, v40
	s_cbranch_execz .LBB1479_379
; %bb.373:
	v_add_co_u32 v33, vcc_lo, v33, 2
	v_add_co_ci_u32_e32 v34, vcc_lo, 0, v34, vcc_lo
	v_add_co_u32 v37, vcc_lo, v37, 2
	v_add_co_ci_u32_e32 v38, vcc_lo, 0, v38, vcc_lo
	s_add_u32 s4, s14, -1
	s_addc_u32 s5, s15, -1
	s_mov_b64 s[6:7], 0
	s_mov_b32 s20, 0
                                        ; implicit-def: $sgpr21
	s_set_inst_prefetch_distance 0x1
	s_branch .LBB1479_376
	.p2align	6
.LBB1479_374:                           ;   in Loop: Header=BB1479_376 Depth=1
	global_load_u16 v39, v[37:38], off
	global_load_u16 v40, v[33:34], off
	v_add_co_u32 v33, vcc_lo, v33, 2
	v_add_co_ci_u32_e32 v34, vcc_lo, 0, v34, vcc_lo
	v_add_co_u32 v37, s0, v37, 2
	s_delay_alu instid0(VALU_DEP_1)
	v_add_co_ci_u32_e64 v38, s0, 0, v38, s0
	s_add_u32 s6, s6, 1
	s_addc_u32 s7, s7, 0
	s_and_not1_b32 s0, s21, exec_lo
	s_waitcnt vmcnt(0)
	v_cmp_ne_u16_e32 vcc_lo, v39, v40
	s_and_b32 s21, vcc_lo, exec_lo
	s_delay_alu instid0(SALU_CYCLE_1)
	s_or_b32 s21, s0, s21
.LBB1479_375:                           ;   in Loop: Header=BB1479_376 Depth=1
	v_dual_mov_b32 v40, s7 :: v_dual_mov_b32 v39, s6
	s_and_b32 s0, exec_lo, s21
	s_delay_alu instid0(SALU_CYCLE_1) | instskip(NEXT) | instid1(SALU_CYCLE_1)
	s_or_b32 s20, s0, s20
	s_and_not1_b32 exec_lo, exec_lo, s20
	s_cbranch_execz .LBB1479_378
.LBB1479_376:                           ; =>This Inner Loop Header: Depth=1
	s_or_b32 s21, s21, exec_lo
	s_cmp_eq_u64 s[4:5], s[6:7]
	s_cbranch_scc0 .LBB1479_374
; %bb.377:                              ;   in Loop: Header=BB1479_376 Depth=1
	s_mov_b64 s[6:7], s[14:15]
                                        ; implicit-def: $vgpr33_vgpr34
                                        ; implicit-def: $vgpr37_vgpr38
	s_branch .LBB1479_375
.LBB1479_378:
	s_set_inst_prefetch_distance 0x2
	s_or_b32 exec_lo, exec_lo, s20
	v_cmp_gt_i64_e32 vcc_lo, s[14:15], v[39:40]
	s_or_not1_b32 s0, vcc_lo, exec_lo
.LBB1479_379:
	s_or_b32 exec_lo, exec_lo, s13
.LBB1479_380:
	s_delay_alu instid0(SALU_CYCLE_1)
	s_and_b32 s0, s0, exec_lo
.LBB1479_381:
	s_or_b32 exec_lo, exec_lo, s3
	s_delay_alu instid0(SALU_CYCLE_1)
	s_and_b32 s0, s0, exec_lo
	s_or_b32 s1, s1, exec_lo
.LBB1479_382:
	s_or_b32 exec_lo, exec_lo, s24
.LBB1479_383:
	s_and_saveexec_b32 s3, s1
	s_cbranch_execz .LBB1479_385
; %bb.384:
	s_waitcnt vmcnt(0) lgkmcnt(0)
	v_and_b32_e32 v33, 0xffffff00, v35
	v_cndmask_b32_e64 v34, 0, 1, s0
	s_delay_alu instid0(VALU_DEP_1) | instskip(NEXT) | instid1(VALU_DEP_1)
	v_or_b32_e32 v33, v34, v33
	v_and_b32_e32 v33, 0xffff, v33
	s_delay_alu instid0(VALU_DEP_1)
	v_and_or_b32 v35, 0xffff0000, v35, v33
.LBB1479_385:
	s_or_b32 exec_lo, exec_lo, s3
	s_delay_alu instid0(SALU_CYCLE_1)
	s_and_not1_b32 vcc_lo, exec_lo, s33
	s_cbranch_vccnz .LBB1479_387
; %bb.386:
	v_cmp_gt_u32_e32 vcc_lo, s31, v55
	s_waitcnt vmcnt(0) lgkmcnt(0)
	v_or_b32_e32 v34, 1, v55
	v_and_b32_e32 v37, 0xffffff00, v36
	v_or_b32_e32 v38, 2, v55
	v_cndmask_b32_e32 v33, 0, v35, vcc_lo
	s_delay_alu instid0(VALU_DEP_4) | instskip(SKIP_1) | instid1(VALU_DEP_4)
	v_cmp_gt_u32_e32 vcc_lo, s31, v34
	v_or_b32_e32 v34, 4, v55
	v_cmp_gt_u32_e64 s0, s31, v38
	v_or_b32_e32 v38, 3, v55
	v_and_b32_e32 v33, 0xff, v33
	s_delay_alu instid0(VALU_DEP_2) | instskip(NEXT) | instid1(VALU_DEP_2)
	v_cmp_gt_u32_e64 s1, s31, v38
	v_cndmask_b32_e32 v33, v33, v35, vcc_lo
	v_cmp_gt_u32_e32 vcc_lo, s31, v34
	v_cndmask_b32_e32 v34, v37, v36, vcc_lo
	v_or_b32_e32 v37, 5, v55
	s_delay_alu instid0(VALU_DEP_2) | instskip(SKIP_1) | instid1(VALU_DEP_1)
	v_and_b32_e32 v34, 0xffff00ff, v34
	v_and_b32_e32 v33, 0xffff, v33
	v_cndmask_b32_e64 v33, v33, v35, s0
	s_delay_alu instid0(VALU_DEP_4) | instskip(SKIP_1) | instid1(VALU_DEP_3)
	v_cmp_gt_u32_e64 s0, s31, v37
	v_or_b32_e32 v37, 6, v55
	v_and_b32_e32 v33, 0xffffff, v33
	s_delay_alu instid0(VALU_DEP_3) | instskip(NEXT) | instid1(VALU_DEP_2)
	v_cndmask_b32_e64 v34, v34, v36, s0
	v_cndmask_b32_e64 v33, v33, v35, s1
	s_delay_alu instid0(VALU_DEP_1) | instskip(SKIP_2) | instid1(VALU_DEP_3)
	v_dual_cndmask_b32 v33, v33, v35 :: v_dual_and_b32 v34, 0xff00ffff, v34
	v_cmp_gt_u32_e32 vcc_lo, s31, v37
	v_or_b32_e32 v37, 7, v55
	v_cndmask_b32_e64 v33, v33, v35, s0
	s_delay_alu instid0(VALU_DEP_1) | instskip(NEXT) | instid1(VALU_DEP_1)
	v_dual_cndmask_b32 v34, v34, v36 :: v_dual_cndmask_b32 v33, v33, v35
	v_and_b32_e32 v34, 0xffffff, v34
	s_delay_alu instid0(VALU_DEP_4) | instskip(NEXT) | instid1(VALU_DEP_2)
	v_cmp_gt_u32_e32 vcc_lo, s31, v37
	v_dual_cndmask_b32 v36, v34, v36 :: v_dual_cndmask_b32 v35, v33, v35
.LBB1479_387:
	s_delay_alu instid0(VALU_DEP_1) | instskip(SKIP_1) | instid1(VALU_DEP_2)
	v_and_b32_e32 v44, 0xff, v35
	s_waitcnt vmcnt(0) lgkmcnt(0)
	v_alignbit_b32 v33, v36, v35, 24
	v_bfe_u32 v46, v35, 8, 8
	v_bfe_u32 v48, v35, 16, 8
	v_and_b32_e32 v52, 0xff, v36
	v_bfe_u32 v54, v36, 8, 8
	v_and_b32_e32 v50, 0xff, v33
	v_add_nc_u32_e32 v33, v46, v44
	v_mbcnt_lo_u32_b32 v58, -1, 0
	v_bfe_u32 v57, v36, 16, 8
	v_lshrrev_b32_e32 v56, 24, v36
	v_lshrrev_b32_e32 v59, 5, v0
	v_add3_u32 v33, v33, v48, v50
	v_and_b32_e32 v34, 15, v58
	v_and_b32_e32 v37, 16, v58
	s_and_b32 vcc_lo, exec_lo, s12
	s_mov_b32 s7, -1
	v_add3_u32 v33, v33, v52, v54
	v_cmp_eq_u32_e64 s3, 0, v34
	v_cmp_lt_u32_e64 s0, 1, v34
	v_cmp_lt_u32_e64 s4, 3, v34
	;; [unrolled: 1-line block ×3, first 2 shown]
	v_add3_u32 v60, v33, v57, v56
	v_or_b32_e32 v33, 31, v0
	v_cmp_eq_u32_e64 s6, 0, v37
	s_barrier
	buffer_gl0_inv
	v_cmp_eq_u32_e64 s5, v33, v0
	s_cbranch_vccz .LBB1479_413
; %bb.388:
	v_mov_b32_dpp v33, v60 row_shr:1 row_mask:0xf bank_mask:0xf
	s_delay_alu instid0(VALU_DEP_1) | instskip(NEXT) | instid1(VALU_DEP_1)
	v_cndmask_b32_e64 v33, v33, 0, s3
	v_add_nc_u32_e32 v33, v33, v60
	s_delay_alu instid0(VALU_DEP_1) | instskip(NEXT) | instid1(VALU_DEP_1)
	v_mov_b32_dpp v34, v33 row_shr:2 row_mask:0xf bank_mask:0xf
	v_cndmask_b32_e64 v34, 0, v34, s0
	s_delay_alu instid0(VALU_DEP_1) | instskip(NEXT) | instid1(VALU_DEP_1)
	v_add_nc_u32_e32 v33, v33, v34
	v_mov_b32_dpp v34, v33 row_shr:4 row_mask:0xf bank_mask:0xf
	s_delay_alu instid0(VALU_DEP_1) | instskip(NEXT) | instid1(VALU_DEP_1)
	v_cndmask_b32_e64 v34, 0, v34, s4
	v_add_nc_u32_e32 v33, v33, v34
	s_delay_alu instid0(VALU_DEP_1) | instskip(NEXT) | instid1(VALU_DEP_1)
	v_mov_b32_dpp v34, v33 row_shr:8 row_mask:0xf bank_mask:0xf
	v_cndmask_b32_e64 v34, 0, v34, s1
	s_delay_alu instid0(VALU_DEP_1) | instskip(SKIP_3) | instid1(VALU_DEP_1)
	v_add_nc_u32_e32 v33, v33, v34
	ds_swizzle_b32 v34, v33 offset:swizzle(BROADCAST,32,15)
	s_waitcnt lgkmcnt(0)
	v_cndmask_b32_e64 v34, v34, 0, s6
	v_add_nc_u32_e32 v33, v33, v34
	s_and_saveexec_b32 s7, s5
	s_cbranch_execz .LBB1479_390
; %bb.389:
	v_lshlrev_b32_e32 v34, 2, v59
	ds_store_b32 v34, v33
.LBB1479_390:
	s_or_b32 exec_lo, exec_lo, s7
	s_delay_alu instid0(SALU_CYCLE_1)
	s_mov_b32 s7, exec_lo
	s_waitcnt lgkmcnt(0)
	s_barrier
	buffer_gl0_inv
	v_cmpx_gt_u32_e32 16, v0
	s_cbranch_execz .LBB1479_392
; %bb.391:
	v_lshlrev_b32_e32 v34, 2, v0
	ds_load_b32 v37, v34
	s_waitcnt lgkmcnt(0)
	v_mov_b32_dpp v38, v37 row_shr:1 row_mask:0xf bank_mask:0xf
	s_delay_alu instid0(VALU_DEP_1) | instskip(NEXT) | instid1(VALU_DEP_1)
	v_cndmask_b32_e64 v38, v38, 0, s3
	v_add_nc_u32_e32 v37, v38, v37
	s_delay_alu instid0(VALU_DEP_1) | instskip(NEXT) | instid1(VALU_DEP_1)
	v_mov_b32_dpp v38, v37 row_shr:2 row_mask:0xf bank_mask:0xf
	v_cndmask_b32_e64 v38, 0, v38, s0
	s_delay_alu instid0(VALU_DEP_1) | instskip(NEXT) | instid1(VALU_DEP_1)
	v_add_nc_u32_e32 v37, v37, v38
	v_mov_b32_dpp v38, v37 row_shr:4 row_mask:0xf bank_mask:0xf
	s_delay_alu instid0(VALU_DEP_1) | instskip(NEXT) | instid1(VALU_DEP_1)
	v_cndmask_b32_e64 v38, 0, v38, s4
	v_add_nc_u32_e32 v37, v37, v38
	s_delay_alu instid0(VALU_DEP_1) | instskip(NEXT) | instid1(VALU_DEP_1)
	v_mov_b32_dpp v38, v37 row_shr:8 row_mask:0xf bank_mask:0xf
	v_cndmask_b32_e64 v38, 0, v38, s1
	s_delay_alu instid0(VALU_DEP_1)
	v_add_nc_u32_e32 v37, v37, v38
	ds_store_b32 v34, v37
.LBB1479_392:
	s_or_b32 exec_lo, exec_lo, s7
	v_cmp_gt_u32_e32 vcc_lo, 32, v0
	s_mov_b32 s12, exec_lo
	s_waitcnt lgkmcnt(0)
	s_barrier
	buffer_gl0_inv
                                        ; implicit-def: $vgpr43
	v_cmpx_lt_u32_e32 31, v0
	s_cbranch_execz .LBB1479_394
; %bb.393:
	v_lshl_add_u32 v34, v59, 2, -4
	ds_load_b32 v43, v34
	s_waitcnt lgkmcnt(0)
	v_add_nc_u32_e32 v33, v43, v33
.LBB1479_394:
	s_or_b32 exec_lo, exec_lo, s12
	v_add_nc_u32_e32 v34, -1, v58
	s_delay_alu instid0(VALU_DEP_1) | instskip(NEXT) | instid1(VALU_DEP_1)
	v_cmp_gt_i32_e64 s7, 0, v34
	v_cndmask_b32_e64 v34, v34, v58, s7
	v_cmp_eq_u32_e64 s7, 0, v58
	s_delay_alu instid0(VALU_DEP_2)
	v_lshlrev_b32_e32 v34, 2, v34
	ds_bpermute_b32 v45, v34, v33
	s_and_saveexec_b32 s12, vcc_lo
	s_cbranch_execz .LBB1479_412
; %bb.395:
	v_mov_b32_e32 v39, 0
	ds_load_b32 v33, v39 offset:60
	s_and_saveexec_b32 s13, s7
	s_cbranch_execz .LBB1479_397
; %bb.396:
	s_add_i32 s14, s30, 32
	s_mov_b32 s15, 0
	v_mov_b32_e32 v34, 1
	s_lshl_b64 s[14:15], s[14:15], 3
	s_delay_alu instid0(SALU_CYCLE_1)
	s_add_u32 s14, s22, s14
	s_addc_u32 s15, s23, s15
	s_waitcnt lgkmcnt(0)
	global_store_b64 v39, v[33:34], s[14:15]
.LBB1479_397:
	s_or_b32 exec_lo, exec_lo, s13
	v_xad_u32 v37, v58, -1, s30
	s_mov_b32 s14, 0
	s_mov_b32 s13, exec_lo
	s_delay_alu instid0(VALU_DEP_1) | instskip(NEXT) | instid1(VALU_DEP_1)
	v_add_nc_u32_e32 v38, 32, v37
	v_lshlrev_b64 v[38:39], 3, v[38:39]
	s_delay_alu instid0(VALU_DEP_1) | instskip(NEXT) | instid1(VALU_DEP_2)
	v_add_co_u32 v41, vcc_lo, s22, v38
	v_add_co_ci_u32_e32 v42, vcc_lo, s23, v39, vcc_lo
	global_load_b64 v[39:40], v[41:42], off glc
	s_waitcnt vmcnt(0)
	v_and_b32_e32 v34, 0xff, v40
	s_delay_alu instid0(VALU_DEP_1)
	v_cmpx_eq_u16_e32 0, v34
	s_cbranch_execz .LBB1479_400
.LBB1479_398:                           ; =>This Inner Loop Header: Depth=1
	global_load_b64 v[39:40], v[41:42], off glc
	s_waitcnt vmcnt(0)
	v_and_b32_e32 v34, 0xff, v40
	s_delay_alu instid0(VALU_DEP_1) | instskip(SKIP_1) | instid1(SALU_CYCLE_1)
	v_cmp_ne_u16_e32 vcc_lo, 0, v34
	s_or_b32 s14, vcc_lo, s14
	s_and_not1_b32 exec_lo, exec_lo, s14
	s_cbranch_execnz .LBB1479_398
; %bb.399:
	s_or_b32 exec_lo, exec_lo, s14
.LBB1479_400:
	s_delay_alu instid0(SALU_CYCLE_1)
	s_or_b32 exec_lo, exec_lo, s13
	v_cmp_ne_u32_e32 vcc_lo, 31, v58
	v_and_b32_e32 v38, 0xff, v40
	v_lshlrev_b32_e64 v47, v58, -1
	v_add_nc_u32_e32 v51, 2, v58
	v_add_nc_u32_e32 v61, 4, v58
	v_add_co_ci_u32_e32 v34, vcc_lo, 0, v58, vcc_lo
	v_cmp_eq_u16_e32 vcc_lo, 2, v38
	v_add_nc_u32_e32 v64, 8, v58
	v_add_nc_u32_e32 v66, 16, v58
	v_and_or_b32 v38, vcc_lo, v47, 0x80000000
	v_cmp_gt_u32_e32 vcc_lo, 30, v58
	s_delay_alu instid0(VALU_DEP_2) | instskip(SKIP_1) | instid1(VALU_DEP_2)
	v_ctz_i32_b32_e32 v38, v38
	v_cndmask_b32_e64 v42, 0, 1, vcc_lo
	v_cmp_lt_u32_e32 vcc_lo, v58, v38
	v_lshlrev_b32_e32 v34, 2, v34
	s_delay_alu instid0(VALU_DEP_3)
	v_lshlrev_b32_e32 v42, 1, v42
	ds_bpermute_b32 v41, v34, v39
	v_add_lshl_u32 v49, v42, v58, 2
	s_waitcnt lgkmcnt(0)
	v_cndmask_b32_e32 v41, 0, v41, vcc_lo
	v_cmp_gt_u32_e32 vcc_lo, 28, v58
	s_delay_alu instid0(VALU_DEP_2) | instskip(SKIP_4) | instid1(VALU_DEP_1)
	v_add_nc_u32_e32 v39, v41, v39
	v_cndmask_b32_e64 v42, 0, 1, vcc_lo
	v_cmp_le_u32_e32 vcc_lo, v51, v38
	ds_bpermute_b32 v41, v49, v39
	v_lshlrev_b32_e32 v42, 2, v42
	v_add_lshl_u32 v53, v42, v58, 2
	s_waitcnt lgkmcnt(0)
	v_cndmask_b32_e32 v41, 0, v41, vcc_lo
	v_cmp_gt_u32_e32 vcc_lo, 24, v58
	s_delay_alu instid0(VALU_DEP_2) | instskip(SKIP_4) | instid1(VALU_DEP_1)
	v_add_nc_u32_e32 v39, v39, v41
	v_cndmask_b32_e64 v42, 0, 1, vcc_lo
	v_cmp_le_u32_e32 vcc_lo, v61, v38
	ds_bpermute_b32 v41, v53, v39
	v_lshlrev_b32_e32 v42, 3, v42
	;; [unrolled: 10-line block ×3, first 2 shown]
	v_add_lshl_u32 v65, v42, v58, 2
	s_waitcnt lgkmcnt(0)
	v_cndmask_b32_e32 v41, 0, v41, vcc_lo
	v_cmp_le_u32_e32 vcc_lo, v66, v38
	s_delay_alu instid0(VALU_DEP_2) | instskip(SKIP_3) | instid1(VALU_DEP_1)
	v_add_nc_u32_e32 v39, v39, v41
	ds_bpermute_b32 v41, v65, v39
	s_waitcnt lgkmcnt(0)
	v_cndmask_b32_e32 v38, 0, v41, vcc_lo
	v_dual_mov_b32 v38, 0 :: v_dual_add_nc_u32 v39, v39, v38
	s_branch .LBB1479_402
.LBB1479_401:                           ;   in Loop: Header=BB1479_402 Depth=1
	s_or_b32 exec_lo, exec_lo, s13
	ds_bpermute_b32 v42, v34, v39
	v_and_b32_e32 v41, 0xff, v40
	v_subrev_nc_u32_e32 v37, 32, v37
	s_delay_alu instid0(VALU_DEP_2) | instskip(SKIP_1) | instid1(VALU_DEP_1)
	v_cmp_eq_u16_e32 vcc_lo, 2, v41
	v_and_or_b32 v41, vcc_lo, v47, 0x80000000
	v_ctz_i32_b32_e32 v41, v41
	s_delay_alu instid0(VALU_DEP_1) | instskip(SKIP_3) | instid1(VALU_DEP_2)
	v_cmp_lt_u32_e32 vcc_lo, v58, v41
	s_waitcnt lgkmcnt(0)
	v_cndmask_b32_e32 v42, 0, v42, vcc_lo
	v_cmp_le_u32_e32 vcc_lo, v51, v41
	v_add_nc_u32_e32 v39, v42, v39
	ds_bpermute_b32 v42, v49, v39
	s_waitcnt lgkmcnt(0)
	v_cndmask_b32_e32 v42, 0, v42, vcc_lo
	v_cmp_le_u32_e32 vcc_lo, v61, v41
	s_delay_alu instid0(VALU_DEP_2) | instskip(SKIP_4) | instid1(VALU_DEP_2)
	v_add_nc_u32_e32 v39, v39, v42
	ds_bpermute_b32 v42, v53, v39
	s_waitcnt lgkmcnt(0)
	v_cndmask_b32_e32 v42, 0, v42, vcc_lo
	v_cmp_le_u32_e32 vcc_lo, v64, v41
	v_add_nc_u32_e32 v39, v39, v42
	ds_bpermute_b32 v42, v63, v39
	s_waitcnt lgkmcnt(0)
	v_cndmask_b32_e32 v42, 0, v42, vcc_lo
	v_cmp_le_u32_e32 vcc_lo, v66, v41
	s_delay_alu instid0(VALU_DEP_2) | instskip(SKIP_3) | instid1(VALU_DEP_1)
	v_add_nc_u32_e32 v39, v39, v42
	ds_bpermute_b32 v42, v65, v39
	s_waitcnt lgkmcnt(0)
	v_cndmask_b32_e32 v41, 0, v42, vcc_lo
	v_add3_u32 v39, v41, v62, v39
.LBB1479_402:                           ; =>This Loop Header: Depth=1
                                        ;     Child Loop BB1479_405 Depth 2
	v_and_b32_e32 v40, 0xff, v40
	s_delay_alu instid0(VALU_DEP_2) | instskip(NEXT) | instid1(VALU_DEP_2)
	v_mov_b32_e32 v62, v39
	v_cmp_ne_u16_e32 vcc_lo, 2, v40
	v_cndmask_b32_e64 v40, 0, 1, vcc_lo
	;;#ASMSTART
	;;#ASMEND
	s_delay_alu instid0(VALU_DEP_1)
	v_cmp_ne_u32_e32 vcc_lo, 0, v40
	s_cmp_lg_u32 vcc_lo, exec_lo
	s_cbranch_scc1 .LBB1479_407
; %bb.403:                              ;   in Loop: Header=BB1479_402 Depth=1
	v_lshlrev_b64 v[39:40], 3, v[37:38]
	s_mov_b32 s13, exec_lo
	s_delay_alu instid0(VALU_DEP_1) | instskip(NEXT) | instid1(VALU_DEP_2)
	v_add_co_u32 v41, vcc_lo, s22, v39
	v_add_co_ci_u32_e32 v42, vcc_lo, s23, v40, vcc_lo
	global_load_b64 v[39:40], v[41:42], off glc
	s_waitcnt vmcnt(0)
	v_and_b32_e32 v67, 0xff, v40
	s_delay_alu instid0(VALU_DEP_1)
	v_cmpx_eq_u16_e32 0, v67
	s_cbranch_execz .LBB1479_401
; %bb.404:                              ;   in Loop: Header=BB1479_402 Depth=1
	s_mov_b32 s14, 0
.LBB1479_405:                           ;   Parent Loop BB1479_402 Depth=1
                                        ; =>  This Inner Loop Header: Depth=2
	global_load_b64 v[39:40], v[41:42], off glc
	s_waitcnt vmcnt(0)
	v_and_b32_e32 v67, 0xff, v40
	s_delay_alu instid0(VALU_DEP_1) | instskip(SKIP_1) | instid1(SALU_CYCLE_1)
	v_cmp_ne_u16_e32 vcc_lo, 0, v67
	s_or_b32 s14, vcc_lo, s14
	s_and_not1_b32 exec_lo, exec_lo, s14
	s_cbranch_execnz .LBB1479_405
; %bb.406:                              ;   in Loop: Header=BB1479_402 Depth=1
	s_or_b32 exec_lo, exec_lo, s14
	s_branch .LBB1479_401
.LBB1479_407:                           ;   in Loop: Header=BB1479_402 Depth=1
                                        ; implicit-def: $vgpr39
                                        ; implicit-def: $vgpr40
	s_cbranch_execz .LBB1479_402
; %bb.408:
	s_and_saveexec_b32 s13, s7
	s_cbranch_execz .LBB1479_410
; %bb.409:
	s_add_i32 s14, s30, 32
	s_mov_b32 s15, 0
	v_dual_mov_b32 v38, 2 :: v_dual_add_nc_u32 v37, v62, v33
	s_lshl_b64 s[14:15], s[14:15], 3
	v_mov_b32_e32 v34, 0
	v_add_nc_u32_e64 v39, 0x8400, 0
	s_add_u32 s14, s22, s14
	s_addc_u32 s15, s23, s15
	global_store_b64 v34, v[37:38], s[14:15]
	ds_store_2addr_b32 v39, v33, v62 offset1:2
.LBB1479_410:
	s_or_b32 exec_lo, exec_lo, s13
	s_delay_alu instid0(SALU_CYCLE_1)
	s_and_b32 exec_lo, exec_lo, s2
	s_cbranch_execz .LBB1479_412
; %bb.411:
	v_mov_b32_e32 v33, 0
	ds_store_b32 v33, v62 offset:60
.LBB1479_412:
	s_or_b32 exec_lo, exec_lo, s12
	v_mov_b32_e32 v33, 0
	s_waitcnt lgkmcnt(0)
	s_waitcnt_vscnt null, 0x0
	s_barrier
	buffer_gl0_inv
	v_cndmask_b32_e64 v34, v45, v43, s7
	ds_load_b32 v33, v33 offset:60
	s_waitcnt lgkmcnt(0)
	s_barrier
	buffer_gl0_inv
	v_cndmask_b32_e64 v34, v34, 0, s2
	s_delay_alu instid0(VALU_DEP_1) | instskip(SKIP_1) | instid1(VALU_DEP_2)
	v_add_nc_u32_e32 v53, v33, v34
	v_add_nc_u32_e64 v33, 0x8400, 0
	v_add_nc_u32_e32 v51, v53, v44
	ds_load_2addr_b32 v[33:34], v33 offset1:2
	v_add_nc_u32_e32 v49, v51, v46
	s_delay_alu instid0(VALU_DEP_1) | instskip(NEXT) | instid1(VALU_DEP_1)
	v_add_nc_u32_e32 v47, v49, v48
	v_add_nc_u32_e32 v45, v47, v50
	s_delay_alu instid0(VALU_DEP_1) | instskip(SKIP_2) | instid1(VALU_DEP_2)
	v_add_nc_u32_e32 v43, v45, v52
	s_waitcnt lgkmcnt(0)
	v_readfirstlane_b32 s12, v34
	v_add_nc_u32_e32 v41, v43, v54
	s_delay_alu instid0(VALU_DEP_1)
	v_add_nc_u32_e32 v39, v41, v57
	v_lshrrev_b64 v[37:38], 24, v[35:36]
	s_branch .LBB1479_423
.LBB1479_413:
                                        ; implicit-def: $vgpr39
                                        ; implicit-def: $vgpr41
                                        ; implicit-def: $vgpr43
                                        ; implicit-def: $vgpr45
                                        ; implicit-def: $vgpr47
                                        ; implicit-def: $vgpr49
                                        ; implicit-def: $vgpr51
                                        ; implicit-def: $vgpr53
                                        ; implicit-def: $sgpr12
                                        ; implicit-def: $vgpr33
	v_lshrrev_b64 v[37:38], 24, v[35:36]
	s_and_b32 vcc_lo, exec_lo, s7
	s_cbranch_vccz .LBB1479_423
; %bb.414:
	v_mov_b32_dpp v33, v60 row_shr:1 row_mask:0xf bank_mask:0xf
	s_delay_alu instid0(VALU_DEP_1) | instskip(NEXT) | instid1(VALU_DEP_1)
	v_cndmask_b32_e64 v33, v33, 0, s3
	v_add_nc_u32_e32 v33, v33, v60
	s_delay_alu instid0(VALU_DEP_1) | instskip(NEXT) | instid1(VALU_DEP_1)
	v_mov_b32_dpp v34, v33 row_shr:2 row_mask:0xf bank_mask:0xf
	v_cndmask_b32_e64 v34, 0, v34, s0
	s_delay_alu instid0(VALU_DEP_1) | instskip(NEXT) | instid1(VALU_DEP_1)
	v_add_nc_u32_e32 v33, v33, v34
	v_mov_b32_dpp v34, v33 row_shr:4 row_mask:0xf bank_mask:0xf
	s_delay_alu instid0(VALU_DEP_1) | instskip(NEXT) | instid1(VALU_DEP_1)
	v_cndmask_b32_e64 v34, 0, v34, s4
	v_add_nc_u32_e32 v33, v33, v34
	s_delay_alu instid0(VALU_DEP_1) | instskip(NEXT) | instid1(VALU_DEP_1)
	v_mov_b32_dpp v34, v33 row_shr:8 row_mask:0xf bank_mask:0xf
	v_cndmask_b32_e64 v34, 0, v34, s1
	s_delay_alu instid0(VALU_DEP_1) | instskip(SKIP_3) | instid1(VALU_DEP_1)
	v_add_nc_u32_e32 v33, v33, v34
	ds_swizzle_b32 v34, v33 offset:swizzle(BROADCAST,32,15)
	s_waitcnt lgkmcnt(0)
	v_cndmask_b32_e64 v34, v34, 0, s6
	v_add_nc_u32_e32 v33, v33, v34
	s_and_saveexec_b32 s6, s5
	s_cbranch_execz .LBB1479_416
; %bb.415:
	v_lshlrev_b32_e32 v34, 2, v59
	ds_store_b32 v34, v33
.LBB1479_416:
	s_or_b32 exec_lo, exec_lo, s6
	s_delay_alu instid0(SALU_CYCLE_1)
	s_mov_b32 s5, exec_lo
	s_waitcnt lgkmcnt(0)
	s_barrier
	buffer_gl0_inv
	v_cmpx_gt_u32_e32 16, v0
	s_cbranch_execz .LBB1479_418
; %bb.417:
	v_lshlrev_b32_e32 v34, 2, v0
	ds_load_b32 v38, v34
	s_waitcnt lgkmcnt(0)
	v_mov_b32_dpp v39, v38 row_shr:1 row_mask:0xf bank_mask:0xf
	s_delay_alu instid0(VALU_DEP_1) | instskip(NEXT) | instid1(VALU_DEP_1)
	v_cndmask_b32_e64 v39, v39, 0, s3
	v_add_nc_u32_e32 v38, v39, v38
	s_delay_alu instid0(VALU_DEP_1) | instskip(NEXT) | instid1(VALU_DEP_1)
	v_mov_b32_dpp v39, v38 row_shr:2 row_mask:0xf bank_mask:0xf
	v_cndmask_b32_e64 v39, 0, v39, s0
	s_delay_alu instid0(VALU_DEP_1) | instskip(NEXT) | instid1(VALU_DEP_1)
	v_add_nc_u32_e32 v38, v38, v39
	v_mov_b32_dpp v39, v38 row_shr:4 row_mask:0xf bank_mask:0xf
	s_delay_alu instid0(VALU_DEP_1) | instskip(NEXT) | instid1(VALU_DEP_1)
	v_cndmask_b32_e64 v39, 0, v39, s4
	v_add_nc_u32_e32 v38, v38, v39
	s_delay_alu instid0(VALU_DEP_1) | instskip(NEXT) | instid1(VALU_DEP_1)
	v_mov_b32_dpp v39, v38 row_shr:8 row_mask:0xf bank_mask:0xf
	v_cndmask_b32_e64 v39, 0, v39, s1
	s_delay_alu instid0(VALU_DEP_1)
	v_add_nc_u32_e32 v38, v38, v39
	ds_store_b32 v34, v38
.LBB1479_418:
	s_or_b32 exec_lo, exec_lo, s5
	v_mov_b32_e32 v34, 0
	v_mov_b32_e32 v38, 0
	s_mov_b32 s0, exec_lo
	s_waitcnt lgkmcnt(0)
	s_barrier
	buffer_gl0_inv
	v_cmpx_lt_u32_e32 31, v0
	s_cbranch_execz .LBB1479_420
; %bb.419:
	v_lshl_add_u32 v38, v59, 2, -4
	ds_load_b32 v38, v38
.LBB1479_420:
	s_or_b32 exec_lo, exec_lo, s0
	v_add_nc_u32_e32 v39, -1, v58
	s_waitcnt lgkmcnt(0)
	v_add_nc_u32_e32 v33, v38, v33
	s_mov_b32 s12, 0
	s_delay_alu instid0(VALU_DEP_2) | instskip(SKIP_1) | instid1(VALU_DEP_1)
	v_cmp_gt_i32_e32 vcc_lo, 0, v39
	v_cndmask_b32_e32 v39, v39, v58, vcc_lo
	v_lshlrev_b32_e32 v39, 2, v39
	ds_bpermute_b32 v39, v39, v33
	ds_load_b32 v33, v34 offset:60
	s_and_saveexec_b32 s0, s2
	s_cbranch_execz .LBB1479_422
; %bb.421:
	v_mov_b32_e32 v40, 0
	v_mov_b32_e32 v34, 2
	s_waitcnt lgkmcnt(0)
	global_store_b64 v40, v[33:34], s[22:23] offset:256
.LBB1479_422:
	s_or_b32 exec_lo, exec_lo, s0
	v_cmp_eq_u32_e32 vcc_lo, 0, v58
	s_waitcnt lgkmcnt(0)
	s_waitcnt_vscnt null, 0x0
	s_barrier
	buffer_gl0_inv
	v_cndmask_b32_e32 v34, v39, v38, vcc_lo
	s_delay_alu instid0(VALU_DEP_1) | instskip(NEXT) | instid1(VALU_DEP_1)
	v_cndmask_b32_e64 v53, v34, 0, s2
	v_add_nc_u32_e32 v51, v53, v44
	s_delay_alu instid0(VALU_DEP_1) | instskip(NEXT) | instid1(VALU_DEP_1)
	v_add_nc_u32_e32 v49, v51, v46
	v_add_nc_u32_e32 v47, v49, v48
	s_delay_alu instid0(VALU_DEP_1) | instskip(NEXT) | instid1(VALU_DEP_1)
	v_add_nc_u32_e32 v45, v47, v50
	;; [unrolled: 3-line block ×3, first 2 shown]
	v_add_nc_u32_e32 v39, v41, v57
.LBB1479_423:
	v_add_nc_u32_e32 v59, s12, v33
	v_cmp_gt_u32_e64 s0, 0x201, v33
	v_lshrrev_b32_e32 v58, 8, v35
	v_lshrrev_b32_e32 v57, 16, v35
	;; [unrolled: 1-line block ×4, first 2 shown]
	v_cmp_lt_u32_e64 s1, v53, v59
	s_and_b32 vcc_lo, exec_lo, s0
	s_mov_b32 s3, -1
	s_cbranch_vccz .LBB1479_449
; %bb.424:
	s_delay_alu instid0(VALU_DEP_1) | instskip(NEXT) | instid1(SALU_CYCLE_1)
	s_or_b32 s3, s29, s1
	s_and_saveexec_b32 s1, s3
	s_cbranch_execz .LBB1479_427
; %bb.425:
	v_and_b32_e32 v40, 1, v35
	s_delay_alu instid0(VALU_DEP_1)
	v_cmp_eq_u32_e32 vcc_lo, 1, v40
	s_and_b32 exec_lo, exec_lo, vcc_lo
	s_cbranch_execz .LBB1479_427
; %bb.426:
	v_mov_b32_e32 v54, 0
	s_lshl_b64 s[4:5], s[10:11], 3
	s_delay_alu instid0(SALU_CYCLE_1) | instskip(SKIP_1) | instid1(VALU_DEP_1)
	s_add_u32 s3, s16, s4
	s_addc_u32 s4, s17, s5
	v_lshlrev_b64 v[60:61], 3, v[53:54]
	s_delay_alu instid0(VALU_DEP_1) | instskip(NEXT) | instid1(VALU_DEP_2)
	v_add_co_u32 v60, vcc_lo, s3, v60
	v_add_co_ci_u32_e32 v61, vcc_lo, s4, v61, vcc_lo
	global_store_b64 v[60:61], v[29:30], off
.LBB1479_427:
	s_or_b32 exec_lo, exec_lo, s1
	v_cmp_lt_u32_e32 vcc_lo, v51, v59
	s_or_b32 s3, s29, vcc_lo
	s_delay_alu instid0(SALU_CYCLE_1)
	s_and_saveexec_b32 s1, s3
	s_cbranch_execz .LBB1479_430
; %bb.428:
	v_and_b32_e32 v40, 1, v58
	s_delay_alu instid0(VALU_DEP_1)
	v_cmp_eq_u32_e32 vcc_lo, 1, v40
	s_and_b32 exec_lo, exec_lo, vcc_lo
	s_cbranch_execz .LBB1479_430
; %bb.429:
	v_mov_b32_e32 v52, 0
	s_lshl_b64 s[4:5], s[10:11], 3
	s_delay_alu instid0(SALU_CYCLE_1) | instskip(SKIP_1) | instid1(VALU_DEP_1)
	s_add_u32 s3, s16, s4
	s_addc_u32 s4, s17, s5
	v_lshlrev_b64 v[60:61], 3, v[51:52]
	s_delay_alu instid0(VALU_DEP_1) | instskip(NEXT) | instid1(VALU_DEP_2)
	v_add_co_u32 v60, vcc_lo, s3, v60
	v_add_co_ci_u32_e32 v61, vcc_lo, s4, v61, vcc_lo
	global_store_b64 v[60:61], v[31:32], off
.LBB1479_430:
	s_or_b32 exec_lo, exec_lo, s1
	v_cmp_lt_u32_e32 vcc_lo, v49, v59
	s_or_b32 s3, s29, vcc_lo
	s_delay_alu instid0(SALU_CYCLE_1)
	;; [unrolled: 24-line block ×7, first 2 shown]
	s_and_saveexec_b32 s1, s3
	s_cbranch_execz .LBB1479_448
; %bb.446:
	v_and_b32_e32 v40, 1, v56
	s_delay_alu instid0(VALU_DEP_1)
	v_cmp_eq_u32_e32 vcc_lo, 1, v40
	s_and_b32 exec_lo, exec_lo, vcc_lo
	s_cbranch_execz .LBB1479_448
; %bb.447:
	v_mov_b32_e32 v40, 0
	s_lshl_b64 s[4:5], s[10:11], 3
	s_delay_alu instid0(SALU_CYCLE_1) | instskip(SKIP_1) | instid1(VALU_DEP_1)
	s_add_u32 s3, s16, s4
	s_addc_u32 s4, s17, s5
	v_lshlrev_b64 v[60:61], 3, v[39:40]
	s_delay_alu instid0(VALU_DEP_1) | instskip(NEXT) | instid1(VALU_DEP_2)
	v_add_co_u32 v60, vcc_lo, s3, v60
	v_add_co_ci_u32_e32 v61, vcc_lo, s4, v61, vcc_lo
	global_store_b64 v[60:61], v[19:20], off
.LBB1479_448:
	s_or_b32 exec_lo, exec_lo, s1
	s_mov_b32 s3, 0
.LBB1479_449:
	v_and_b32_e32 v35, 1, v35
	s_and_b32 vcc_lo, exec_lo, s3
	s_delay_alu instid0(VALU_DEP_1)
	v_cmp_eq_u32_e64 s1, 1, v35
	s_cbranch_vccz .LBB1479_470
; %bb.450:
	s_delay_alu instid0(VALU_DEP_1)
	s_and_saveexec_b32 s3, s1
	s_cbranch_execz .LBB1479_452
; %bb.451:
	v_subrev_nc_u32_e32 v40, s12, v53
	s_delay_alu instid0(VALU_DEP_1)
	v_lshlrev_b32_e32 v40, 3, v40
	ds_store_b64 v40, v[29:30]
.LBB1479_452:
	s_or_b32 exec_lo, exec_lo, s3
	v_and_b32_e32 v29, 1, v58
	s_mov_b32 s1, exec_lo
	s_delay_alu instid0(VALU_DEP_1)
	v_cmpx_eq_u32_e32 1, v29
	s_cbranch_execz .LBB1479_454
; %bb.453:
	v_subrev_nc_u32_e32 v29, s12, v51
	s_delay_alu instid0(VALU_DEP_1)
	v_lshlrev_b32_e32 v29, 3, v29
	ds_store_b64 v29, v[31:32]
.LBB1479_454:
	s_or_b32 exec_lo, exec_lo, s1
	v_and_b32_e32 v29, 1, v57
	s_mov_b32 s1, exec_lo
	s_delay_alu instid0(VALU_DEP_1)
	v_cmpx_eq_u32_e32 1, v29
	s_cbranch_execz .LBB1479_456
; %bb.455:
	v_subrev_nc_u32_e32 v29, s12, v49
	s_delay_alu instid0(VALU_DEP_1)
	v_lshlrev_b32_e32 v29, 3, v29
	ds_store_b64 v29, v[25:26]
.LBB1479_456:
	s_or_b32 exec_lo, exec_lo, s1
	v_and_b32_e32 v25, 1, v37
	s_mov_b32 s1, exec_lo
	s_delay_alu instid0(VALU_DEP_1)
	v_cmpx_eq_u32_e32 1, v25
	s_cbranch_execz .LBB1479_458
; %bb.457:
	v_subrev_nc_u32_e32 v25, s12, v47
	s_delay_alu instid0(VALU_DEP_1)
	v_lshlrev_b32_e32 v25, 3, v25
	ds_store_b64 v25, v[27:28]
.LBB1479_458:
	s_or_b32 exec_lo, exec_lo, s1
	v_and_b32_e32 v25, 1, v36
	s_mov_b32 s1, exec_lo
	s_delay_alu instid0(VALU_DEP_1)
	v_cmpx_eq_u32_e32 1, v25
	s_cbranch_execz .LBB1479_460
; %bb.459:
	v_subrev_nc_u32_e32 v25, s12, v45
	s_delay_alu instid0(VALU_DEP_1)
	v_lshlrev_b32_e32 v25, 3, v25
	ds_store_b64 v25, v[21:22]
.LBB1479_460:
	s_or_b32 exec_lo, exec_lo, s1
	v_and_b32_e32 v21, 1, v38
	s_mov_b32 s1, exec_lo
	s_delay_alu instid0(VALU_DEP_1)
	v_cmpx_eq_u32_e32 1, v21
	s_cbranch_execz .LBB1479_462
; %bb.461:
	v_subrev_nc_u32_e32 v21, s12, v43
	s_delay_alu instid0(VALU_DEP_1)
	v_lshlrev_b32_e32 v21, 3, v21
	ds_store_b64 v21, v[23:24]
.LBB1479_462:
	s_or_b32 exec_lo, exec_lo, s1
	v_and_b32_e32 v21, 1, v34
	s_mov_b32 s1, exec_lo
	s_delay_alu instid0(VALU_DEP_1)
	v_cmpx_eq_u32_e32 1, v21
	s_cbranch_execz .LBB1479_464
; %bb.463:
	v_subrev_nc_u32_e32 v21, s12, v41
	s_delay_alu instid0(VALU_DEP_1)
	v_lshlrev_b32_e32 v21, 3, v21
	ds_store_b64 v21, v[17:18]
.LBB1479_464:
	s_or_b32 exec_lo, exec_lo, s1
	v_and_b32_e32 v17, 1, v56
	s_mov_b32 s1, exec_lo
	s_delay_alu instid0(VALU_DEP_1)
	v_cmpx_eq_u32_e32 1, v17
	s_cbranch_execz .LBB1479_466
; %bb.465:
	v_subrev_nc_u32_e32 v17, s12, v39
	s_delay_alu instid0(VALU_DEP_1)
	v_lshlrev_b32_e32 v17, 3, v17
	ds_store_b64 v17, v[19:20]
.LBB1479_466:
	s_or_b32 exec_lo, exec_lo, s1
	s_delay_alu instid0(SALU_CYCLE_1)
	s_mov_b32 s3, exec_lo
	s_waitcnt lgkmcnt(0)
	s_waitcnt_vscnt null, 0x0
	s_barrier
	buffer_gl0_inv
	v_cmpx_lt_u32_e64 v0, v33
	s_cbranch_execz .LBB1479_469
; %bb.467:
	s_mov_b32 s13, 0
	s_lshl_b64 s[4:5], s[10:11], 3
	s_lshl_b64 s[6:7], s[12:13], 3
	v_dual_mov_b32 v19, v55 :: v_dual_mov_b32 v20, v0
	s_add_u32 s1, s4, s6
	s_addc_u32 s4, s5, s7
	s_add_u32 s1, s16, s1
	s_addc_u32 s4, s17, s4
	v_add_co_u32 v17, s1, s1, v55
	s_delay_alu instid0(VALU_DEP_1)
	v_add_co_ci_u32_e64 v18, null, s4, 0, s1
	.p2align	6
.LBB1479_468:                           ; =>This Inner Loop Header: Depth=1
	ds_load_b64 v[21:22], v19
	v_add_nc_u32_e32 v20, 0x200, v20
	v_add_nc_u32_e32 v19, 0x1000, v19
	s_delay_alu instid0(VALU_DEP_2) | instskip(SKIP_4) | instid1(VALU_DEP_1)
	v_cmp_ge_u32_e32 vcc_lo, v20, v33
	s_or_b32 s13, vcc_lo, s13
	s_waitcnt lgkmcnt(0)
	global_store_b64 v[17:18], v[21:22], off
	v_add_co_u32 v17, s1, 0x1000, v17
	v_add_co_ci_u32_e64 v18, s1, 0, v18, s1
	s_and_not1_b32 exec_lo, exec_lo, s13
	s_cbranch_execnz .LBB1479_468
.LBB1479_469:
	s_or_b32 exec_lo, exec_lo, s3
.LBB1479_470:
	s_delay_alu instid0(SALU_CYCLE_1)
	s_and_b32 vcc_lo, exec_lo, s0
	s_mov_b32 s0, -1
	s_waitcnt_vscnt null, 0x0
	s_barrier
	buffer_gl0_inv
	s_cbranch_vccz .LBB1479_498
; %bb.471:
	v_cmp_lt_u32_e32 vcc_lo, v53, v59
	s_or_b32 s1, s29, vcc_lo
	s_delay_alu instid0(SALU_CYCLE_1)
	s_and_saveexec_b32 s0, s1
	s_cbranch_execz .LBB1479_474
; %bb.472:
	v_cmp_eq_u32_e32 vcc_lo, 1, v35
	s_and_b32 exec_lo, exec_lo, vcc_lo
	s_cbranch_execz .LBB1479_474
; %bb.473:
	v_mov_b32_e32 v54, 0
	s_lshl_b64 s[4:5], s[10:11], 3
	s_delay_alu instid0(SALU_CYCLE_1) | instskip(SKIP_1) | instid1(VALU_DEP_1)
	s_add_u32 s1, s18, s4
	s_addc_u32 s3, s19, s5
	v_lshlrev_b64 v[17:18], 3, v[53:54]
	s_delay_alu instid0(VALU_DEP_1) | instskip(NEXT) | instid1(VALU_DEP_2)
	v_add_co_u32 v17, vcc_lo, s1, v17
	v_add_co_ci_u32_e32 v18, vcc_lo, s3, v18, vcc_lo
	global_store_b64 v[17:18], v[13:14], off
.LBB1479_474:
	s_or_b32 exec_lo, exec_lo, s0
	v_cmp_lt_u32_e32 vcc_lo, v51, v59
	s_or_b32 s1, s29, vcc_lo
	s_delay_alu instid0(SALU_CYCLE_1)
	s_and_saveexec_b32 s0, s1
	s_cbranch_execz .LBB1479_477
; %bb.475:
	v_and_b32_e32 v17, 1, v58
	s_delay_alu instid0(VALU_DEP_1)
	v_cmp_eq_u32_e32 vcc_lo, 1, v17
	s_and_b32 exec_lo, exec_lo, vcc_lo
	s_cbranch_execz .LBB1479_477
; %bb.476:
	v_mov_b32_e32 v52, 0
	s_lshl_b64 s[4:5], s[10:11], 3
	s_delay_alu instid0(SALU_CYCLE_1) | instskip(SKIP_1) | instid1(VALU_DEP_1)
	s_add_u32 s1, s18, s4
	s_addc_u32 s3, s19, s5
	v_lshlrev_b64 v[17:18], 3, v[51:52]
	s_delay_alu instid0(VALU_DEP_1) | instskip(NEXT) | instid1(VALU_DEP_2)
	v_add_co_u32 v17, vcc_lo, s1, v17
	v_add_co_ci_u32_e32 v18, vcc_lo, s3, v18, vcc_lo
	global_store_b64 v[17:18], v[15:16], off
.LBB1479_477:
	s_or_b32 exec_lo, exec_lo, s0
	v_cmp_lt_u32_e32 vcc_lo, v49, v59
	s_or_b32 s1, s29, vcc_lo
	s_delay_alu instid0(SALU_CYCLE_1)
	s_and_saveexec_b32 s0, s1
	s_cbranch_execz .LBB1479_480
; %bb.478:
	v_and_b32_e32 v17, 1, v57
	s_delay_alu instid0(VALU_DEP_1)
	v_cmp_eq_u32_e32 vcc_lo, 1, v17
	s_and_b32 exec_lo, exec_lo, vcc_lo
	s_cbranch_execz .LBB1479_480
; %bb.479:
	v_mov_b32_e32 v50, 0
	s_lshl_b64 s[4:5], s[10:11], 3
	s_delay_alu instid0(SALU_CYCLE_1) | instskip(SKIP_1) | instid1(VALU_DEP_1)
	s_add_u32 s1, s18, s4
	s_addc_u32 s3, s19, s5
	v_lshlrev_b64 v[17:18], 3, v[49:50]
	s_delay_alu instid0(VALU_DEP_1) | instskip(NEXT) | instid1(VALU_DEP_2)
	v_add_co_u32 v17, vcc_lo, s1, v17
	v_add_co_ci_u32_e32 v18, vcc_lo, s3, v18, vcc_lo
	global_store_b64 v[17:18], v[9:10], off
.LBB1479_480:
	;; [unrolled: 24-line block ×7, first 2 shown]
	s_or_b32 exec_lo, exec_lo, s0
.LBB1479_496:
	s_and_b32 s0, s2, s28
	s_delay_alu instid0(SALU_CYCLE_1)
	s_and_saveexec_b32 s1, s0
	s_cbranch_execz .LBB1479_519
.LBB1479_497:
	v_add_co_u32 v0, s0, s10, v33
	s_delay_alu instid0(VALU_DEP_1) | instskip(SKIP_1) | instid1(VALU_DEP_3)
	v_add_co_ci_u32_e64 v1, null, s11, 0, s0
	v_mov_b32_e32 v2, 0
	v_add_co_u32 v0, vcc_lo, v0, s12
	s_delay_alu instid0(VALU_DEP_3)
	v_add_co_ci_u32_e32 v1, vcc_lo, 0, v1, vcc_lo
	global_store_b64 v2, v[0:1], s[8:9]
	s_nop 0
	s_sendmsg sendmsg(MSG_DEALLOC_VGPRS)
	s_endpgm
.LBB1479_498:
	s_and_b32 vcc_lo, exec_lo, s0
	s_cbranch_vccz .LBB1479_496
; %bb.499:
	s_mov_b32 s0, exec_lo
	v_cmpx_eq_u32_e32 1, v35
	s_cbranch_execz .LBB1479_501
; %bb.500:
	v_subrev_nc_u32_e32 v17, s12, v53
	s_delay_alu instid0(VALU_DEP_1)
	v_lshlrev_b32_e32 v17, 3, v17
	ds_store_b64 v17, v[13:14]
.LBB1479_501:
	s_or_b32 exec_lo, exec_lo, s0
	v_and_b32_e32 v13, 1, v58
	s_mov_b32 s0, exec_lo
	s_delay_alu instid0(VALU_DEP_1)
	v_cmpx_eq_u32_e32 1, v13
	s_cbranch_execz .LBB1479_503
; %bb.502:
	v_subrev_nc_u32_e32 v13, s12, v51
	s_delay_alu instid0(VALU_DEP_1)
	v_lshlrev_b32_e32 v13, 3, v13
	ds_store_b64 v13, v[15:16]
.LBB1479_503:
	s_or_b32 exec_lo, exec_lo, s0
	v_and_b32_e32 v13, 1, v57
	s_mov_b32 s0, exec_lo
	s_delay_alu instid0(VALU_DEP_1)
	;; [unrolled: 12-line block ×7, first 2 shown]
	v_cmpx_eq_u32_e32 1, v1
	s_cbranch_execz .LBB1479_515
; %bb.514:
	v_subrev_nc_u32_e32 v1, s12, v39
	s_delay_alu instid0(VALU_DEP_1)
	v_lshlrev_b32_e32 v1, 3, v1
	ds_store_b64 v1, v[3:4]
.LBB1479_515:
	s_or_b32 exec_lo, exec_lo, s0
	s_delay_alu instid0(SALU_CYCLE_1)
	s_mov_b32 s1, exec_lo
	s_waitcnt lgkmcnt(0)
	s_waitcnt_vscnt null, 0x0
	s_barrier
	buffer_gl0_inv
	v_cmpx_lt_u32_e64 v0, v33
	s_cbranch_execz .LBB1479_518
; %bb.516:
	s_mov_b32 s13, 0
	s_lshl_b64 s[4:5], s[10:11], 3
	s_lshl_b64 s[6:7], s[12:13], 3
	s_delay_alu instid0(SALU_CYCLE_1) | instskip(SKIP_4) | instid1(VALU_DEP_1)
	s_add_u32 s0, s4, s6
	s_addc_u32 s3, s5, s7
	s_add_u32 s0, s18, s0
	s_addc_u32 s3, s19, s3
	v_add_co_u32 v1, s0, s0, v55
	v_add_co_ci_u32_e64 v2, null, s3, 0, s0
	.p2align	6
.LBB1479_517:                           ; =>This Inner Loop Header: Depth=1
	ds_load_b64 v[3:4], v55
	v_add_nc_u32_e32 v0, 0x200, v0
	v_add_nc_u32_e32 v55, 0x1000, v55
	s_delay_alu instid0(VALU_DEP_2) | instskip(SKIP_4) | instid1(VALU_DEP_1)
	v_cmp_ge_u32_e32 vcc_lo, v0, v33
	s_or_b32 s13, vcc_lo, s13
	s_waitcnt lgkmcnt(0)
	global_store_b64 v[1:2], v[3:4], off
	v_add_co_u32 v1, s0, 0x1000, v1
	v_add_co_ci_u32_e64 v2, s0, 0, v2, s0
	s_and_not1_b32 exec_lo, exec_lo, s13
	s_cbranch_execnz .LBB1479_517
.LBB1479_518:
	s_or_b32 exec_lo, exec_lo, s1
	s_and_b32 s0, s2, s28
	s_delay_alu instid0(SALU_CYCLE_1)
	s_and_saveexec_b32 s1, s0
	s_cbranch_execnz .LBB1479_497
.LBB1479_519:
	s_nop 0
	s_sendmsg sendmsg(MSG_DEALLOC_VGPRS)
	s_endpgm
	.section	.rodata,"a",@progbits
	.p2align	6, 0x0
	.amdhsa_kernel _ZN7rocprim17ROCPRIM_400000_NS6detail17trampoline_kernelINS0_14default_configENS1_25partition_config_selectorILNS1_17partition_subalgoE9EllbEEZZNS1_14partition_implILS5_9ELb0ES3_jPlS8_PNS0_10empty_typeENS0_5tupleIJS8_S9_EEENSB_IJS8_SA_EEENS0_18inequality_wrapperIZN2at6native12_GLOBAL__N_124unique_dim_cuda_templateItEESt5tupleIJNSF_6TensorESK_SK_EERKSK_lbbbEUlllE0_EEPmJS9_EEE10hipError_tPvRmT3_T4_T5_T6_T7_T9_mT8_P12ihipStream_tbDpT10_ENKUlT_T0_E_clISt17integral_constantIbLb0EES19_IbLb1EEEEDaS15_S16_EUlS15_E_NS1_11comp_targetILNS1_3genE9ELNS1_11target_archE1100ELNS1_3gpuE3ELNS1_3repE0EEENS1_30default_config_static_selectorELNS0_4arch9wavefront6targetE0EEEvT1_
		.amdhsa_group_segment_fixed_size 33804
		.amdhsa_private_segment_fixed_size 0
		.amdhsa_kernarg_size 136
		.amdhsa_user_sgpr_count 15
		.amdhsa_user_sgpr_dispatch_ptr 0
		.amdhsa_user_sgpr_queue_ptr 0
		.amdhsa_user_sgpr_kernarg_segment_ptr 1
		.amdhsa_user_sgpr_dispatch_id 0
		.amdhsa_user_sgpr_private_segment_size 0
		.amdhsa_wavefront_size32 1
		.amdhsa_uses_dynamic_stack 0
		.amdhsa_enable_private_segment 0
		.amdhsa_system_sgpr_workgroup_id_x 1
		.amdhsa_system_sgpr_workgroup_id_y 0
		.amdhsa_system_sgpr_workgroup_id_z 0
		.amdhsa_system_sgpr_workgroup_info 0
		.amdhsa_system_vgpr_workitem_id 0
		.amdhsa_next_free_vgpr 68
		.amdhsa_next_free_sgpr 40
		.amdhsa_reserve_vcc 1
		.amdhsa_float_round_mode_32 0
		.amdhsa_float_round_mode_16_64 0
		.amdhsa_float_denorm_mode_32 3
		.amdhsa_float_denorm_mode_16_64 3
		.amdhsa_dx10_clamp 1
		.amdhsa_ieee_mode 1
		.amdhsa_fp16_overflow 0
		.amdhsa_workgroup_processor_mode 1
		.amdhsa_memory_ordered 1
		.amdhsa_forward_progress 0
		.amdhsa_shared_vgpr_count 0
		.amdhsa_exception_fp_ieee_invalid_op 0
		.amdhsa_exception_fp_denorm_src 0
		.amdhsa_exception_fp_ieee_div_zero 0
		.amdhsa_exception_fp_ieee_overflow 0
		.amdhsa_exception_fp_ieee_underflow 0
		.amdhsa_exception_fp_ieee_inexact 0
		.amdhsa_exception_int_div_zero 0
	.end_amdhsa_kernel
	.section	.text._ZN7rocprim17ROCPRIM_400000_NS6detail17trampoline_kernelINS0_14default_configENS1_25partition_config_selectorILNS1_17partition_subalgoE9EllbEEZZNS1_14partition_implILS5_9ELb0ES3_jPlS8_PNS0_10empty_typeENS0_5tupleIJS8_S9_EEENSB_IJS8_SA_EEENS0_18inequality_wrapperIZN2at6native12_GLOBAL__N_124unique_dim_cuda_templateItEESt5tupleIJNSF_6TensorESK_SK_EERKSK_lbbbEUlllE0_EEPmJS9_EEE10hipError_tPvRmT3_T4_T5_T6_T7_T9_mT8_P12ihipStream_tbDpT10_ENKUlT_T0_E_clISt17integral_constantIbLb0EES19_IbLb1EEEEDaS15_S16_EUlS15_E_NS1_11comp_targetILNS1_3genE9ELNS1_11target_archE1100ELNS1_3gpuE3ELNS1_3repE0EEENS1_30default_config_static_selectorELNS0_4arch9wavefront6targetE0EEEvT1_,"axG",@progbits,_ZN7rocprim17ROCPRIM_400000_NS6detail17trampoline_kernelINS0_14default_configENS1_25partition_config_selectorILNS1_17partition_subalgoE9EllbEEZZNS1_14partition_implILS5_9ELb0ES3_jPlS8_PNS0_10empty_typeENS0_5tupleIJS8_S9_EEENSB_IJS8_SA_EEENS0_18inequality_wrapperIZN2at6native12_GLOBAL__N_124unique_dim_cuda_templateItEESt5tupleIJNSF_6TensorESK_SK_EERKSK_lbbbEUlllE0_EEPmJS9_EEE10hipError_tPvRmT3_T4_T5_T6_T7_T9_mT8_P12ihipStream_tbDpT10_ENKUlT_T0_E_clISt17integral_constantIbLb0EES19_IbLb1EEEEDaS15_S16_EUlS15_E_NS1_11comp_targetILNS1_3genE9ELNS1_11target_archE1100ELNS1_3gpuE3ELNS1_3repE0EEENS1_30default_config_static_selectorELNS0_4arch9wavefront6targetE0EEEvT1_,comdat
.Lfunc_end1479:
	.size	_ZN7rocprim17ROCPRIM_400000_NS6detail17trampoline_kernelINS0_14default_configENS1_25partition_config_selectorILNS1_17partition_subalgoE9EllbEEZZNS1_14partition_implILS5_9ELb0ES3_jPlS8_PNS0_10empty_typeENS0_5tupleIJS8_S9_EEENSB_IJS8_SA_EEENS0_18inequality_wrapperIZN2at6native12_GLOBAL__N_124unique_dim_cuda_templateItEESt5tupleIJNSF_6TensorESK_SK_EERKSK_lbbbEUlllE0_EEPmJS9_EEE10hipError_tPvRmT3_T4_T5_T6_T7_T9_mT8_P12ihipStream_tbDpT10_ENKUlT_T0_E_clISt17integral_constantIbLb0EES19_IbLb1EEEEDaS15_S16_EUlS15_E_NS1_11comp_targetILNS1_3genE9ELNS1_11target_archE1100ELNS1_3gpuE3ELNS1_3repE0EEENS1_30default_config_static_selectorELNS0_4arch9wavefront6targetE0EEEvT1_, .Lfunc_end1479-_ZN7rocprim17ROCPRIM_400000_NS6detail17trampoline_kernelINS0_14default_configENS1_25partition_config_selectorILNS1_17partition_subalgoE9EllbEEZZNS1_14partition_implILS5_9ELb0ES3_jPlS8_PNS0_10empty_typeENS0_5tupleIJS8_S9_EEENSB_IJS8_SA_EEENS0_18inequality_wrapperIZN2at6native12_GLOBAL__N_124unique_dim_cuda_templateItEESt5tupleIJNSF_6TensorESK_SK_EERKSK_lbbbEUlllE0_EEPmJS9_EEE10hipError_tPvRmT3_T4_T5_T6_T7_T9_mT8_P12ihipStream_tbDpT10_ENKUlT_T0_E_clISt17integral_constantIbLb0EES19_IbLb1EEEEDaS15_S16_EUlS15_E_NS1_11comp_targetILNS1_3genE9ELNS1_11target_archE1100ELNS1_3gpuE3ELNS1_3repE0EEENS1_30default_config_static_selectorELNS0_4arch9wavefront6targetE0EEEvT1_
                                        ; -- End function
	.section	.AMDGPU.csdata,"",@progbits
; Kernel info:
; codeLenInByte = 20632
; NumSgprs: 42
; NumVgprs: 68
; ScratchSize: 0
; MemoryBound: 0
; FloatMode: 240
; IeeeMode: 1
; LDSByteSize: 33804 bytes/workgroup (compile time only)
; SGPRBlocks: 5
; VGPRBlocks: 8
; NumSGPRsForWavesPerEU: 42
; NumVGPRsForWavesPerEU: 68
; Occupancy: 12
; WaveLimiterHint : 1
; COMPUTE_PGM_RSRC2:SCRATCH_EN: 0
; COMPUTE_PGM_RSRC2:USER_SGPR: 15
; COMPUTE_PGM_RSRC2:TRAP_HANDLER: 0
; COMPUTE_PGM_RSRC2:TGID_X_EN: 1
; COMPUTE_PGM_RSRC2:TGID_Y_EN: 0
; COMPUTE_PGM_RSRC2:TGID_Z_EN: 0
; COMPUTE_PGM_RSRC2:TIDIG_COMP_CNT: 0
	.section	.text._ZN7rocprim17ROCPRIM_400000_NS6detail17trampoline_kernelINS0_14default_configENS1_25partition_config_selectorILNS1_17partition_subalgoE9EllbEEZZNS1_14partition_implILS5_9ELb0ES3_jPlS8_PNS0_10empty_typeENS0_5tupleIJS8_S9_EEENSB_IJS8_SA_EEENS0_18inequality_wrapperIZN2at6native12_GLOBAL__N_124unique_dim_cuda_templateItEESt5tupleIJNSF_6TensorESK_SK_EERKSK_lbbbEUlllE0_EEPmJS9_EEE10hipError_tPvRmT3_T4_T5_T6_T7_T9_mT8_P12ihipStream_tbDpT10_ENKUlT_T0_E_clISt17integral_constantIbLb0EES19_IbLb1EEEEDaS15_S16_EUlS15_E_NS1_11comp_targetILNS1_3genE8ELNS1_11target_archE1030ELNS1_3gpuE2ELNS1_3repE0EEENS1_30default_config_static_selectorELNS0_4arch9wavefront6targetE0EEEvT1_,"axG",@progbits,_ZN7rocprim17ROCPRIM_400000_NS6detail17trampoline_kernelINS0_14default_configENS1_25partition_config_selectorILNS1_17partition_subalgoE9EllbEEZZNS1_14partition_implILS5_9ELb0ES3_jPlS8_PNS0_10empty_typeENS0_5tupleIJS8_S9_EEENSB_IJS8_SA_EEENS0_18inequality_wrapperIZN2at6native12_GLOBAL__N_124unique_dim_cuda_templateItEESt5tupleIJNSF_6TensorESK_SK_EERKSK_lbbbEUlllE0_EEPmJS9_EEE10hipError_tPvRmT3_T4_T5_T6_T7_T9_mT8_P12ihipStream_tbDpT10_ENKUlT_T0_E_clISt17integral_constantIbLb0EES19_IbLb1EEEEDaS15_S16_EUlS15_E_NS1_11comp_targetILNS1_3genE8ELNS1_11target_archE1030ELNS1_3gpuE2ELNS1_3repE0EEENS1_30default_config_static_selectorELNS0_4arch9wavefront6targetE0EEEvT1_,comdat
	.globl	_ZN7rocprim17ROCPRIM_400000_NS6detail17trampoline_kernelINS0_14default_configENS1_25partition_config_selectorILNS1_17partition_subalgoE9EllbEEZZNS1_14partition_implILS5_9ELb0ES3_jPlS8_PNS0_10empty_typeENS0_5tupleIJS8_S9_EEENSB_IJS8_SA_EEENS0_18inequality_wrapperIZN2at6native12_GLOBAL__N_124unique_dim_cuda_templateItEESt5tupleIJNSF_6TensorESK_SK_EERKSK_lbbbEUlllE0_EEPmJS9_EEE10hipError_tPvRmT3_T4_T5_T6_T7_T9_mT8_P12ihipStream_tbDpT10_ENKUlT_T0_E_clISt17integral_constantIbLb0EES19_IbLb1EEEEDaS15_S16_EUlS15_E_NS1_11comp_targetILNS1_3genE8ELNS1_11target_archE1030ELNS1_3gpuE2ELNS1_3repE0EEENS1_30default_config_static_selectorELNS0_4arch9wavefront6targetE0EEEvT1_ ; -- Begin function _ZN7rocprim17ROCPRIM_400000_NS6detail17trampoline_kernelINS0_14default_configENS1_25partition_config_selectorILNS1_17partition_subalgoE9EllbEEZZNS1_14partition_implILS5_9ELb0ES3_jPlS8_PNS0_10empty_typeENS0_5tupleIJS8_S9_EEENSB_IJS8_SA_EEENS0_18inequality_wrapperIZN2at6native12_GLOBAL__N_124unique_dim_cuda_templateItEESt5tupleIJNSF_6TensorESK_SK_EERKSK_lbbbEUlllE0_EEPmJS9_EEE10hipError_tPvRmT3_T4_T5_T6_T7_T9_mT8_P12ihipStream_tbDpT10_ENKUlT_T0_E_clISt17integral_constantIbLb0EES19_IbLb1EEEEDaS15_S16_EUlS15_E_NS1_11comp_targetILNS1_3genE8ELNS1_11target_archE1030ELNS1_3gpuE2ELNS1_3repE0EEENS1_30default_config_static_selectorELNS0_4arch9wavefront6targetE0EEEvT1_
	.p2align	8
	.type	_ZN7rocprim17ROCPRIM_400000_NS6detail17trampoline_kernelINS0_14default_configENS1_25partition_config_selectorILNS1_17partition_subalgoE9EllbEEZZNS1_14partition_implILS5_9ELb0ES3_jPlS8_PNS0_10empty_typeENS0_5tupleIJS8_S9_EEENSB_IJS8_SA_EEENS0_18inequality_wrapperIZN2at6native12_GLOBAL__N_124unique_dim_cuda_templateItEESt5tupleIJNSF_6TensorESK_SK_EERKSK_lbbbEUlllE0_EEPmJS9_EEE10hipError_tPvRmT3_T4_T5_T6_T7_T9_mT8_P12ihipStream_tbDpT10_ENKUlT_T0_E_clISt17integral_constantIbLb0EES19_IbLb1EEEEDaS15_S16_EUlS15_E_NS1_11comp_targetILNS1_3genE8ELNS1_11target_archE1030ELNS1_3gpuE2ELNS1_3repE0EEENS1_30default_config_static_selectorELNS0_4arch9wavefront6targetE0EEEvT1_,@function
_ZN7rocprim17ROCPRIM_400000_NS6detail17trampoline_kernelINS0_14default_configENS1_25partition_config_selectorILNS1_17partition_subalgoE9EllbEEZZNS1_14partition_implILS5_9ELb0ES3_jPlS8_PNS0_10empty_typeENS0_5tupleIJS8_S9_EEENSB_IJS8_SA_EEENS0_18inequality_wrapperIZN2at6native12_GLOBAL__N_124unique_dim_cuda_templateItEESt5tupleIJNSF_6TensorESK_SK_EERKSK_lbbbEUlllE0_EEPmJS9_EEE10hipError_tPvRmT3_T4_T5_T6_T7_T9_mT8_P12ihipStream_tbDpT10_ENKUlT_T0_E_clISt17integral_constantIbLb0EES19_IbLb1EEEEDaS15_S16_EUlS15_E_NS1_11comp_targetILNS1_3genE8ELNS1_11target_archE1030ELNS1_3gpuE2ELNS1_3repE0EEENS1_30default_config_static_selectorELNS0_4arch9wavefront6targetE0EEEvT1_: ; @_ZN7rocprim17ROCPRIM_400000_NS6detail17trampoline_kernelINS0_14default_configENS1_25partition_config_selectorILNS1_17partition_subalgoE9EllbEEZZNS1_14partition_implILS5_9ELb0ES3_jPlS8_PNS0_10empty_typeENS0_5tupleIJS8_S9_EEENSB_IJS8_SA_EEENS0_18inequality_wrapperIZN2at6native12_GLOBAL__N_124unique_dim_cuda_templateItEESt5tupleIJNSF_6TensorESK_SK_EERKSK_lbbbEUlllE0_EEPmJS9_EEE10hipError_tPvRmT3_T4_T5_T6_T7_T9_mT8_P12ihipStream_tbDpT10_ENKUlT_T0_E_clISt17integral_constantIbLb0EES19_IbLb1EEEEDaS15_S16_EUlS15_E_NS1_11comp_targetILNS1_3genE8ELNS1_11target_archE1030ELNS1_3gpuE2ELNS1_3repE0EEENS1_30default_config_static_selectorELNS0_4arch9wavefront6targetE0EEEvT1_
; %bb.0:
	.section	.rodata,"a",@progbits
	.p2align	6, 0x0
	.amdhsa_kernel _ZN7rocprim17ROCPRIM_400000_NS6detail17trampoline_kernelINS0_14default_configENS1_25partition_config_selectorILNS1_17partition_subalgoE9EllbEEZZNS1_14partition_implILS5_9ELb0ES3_jPlS8_PNS0_10empty_typeENS0_5tupleIJS8_S9_EEENSB_IJS8_SA_EEENS0_18inequality_wrapperIZN2at6native12_GLOBAL__N_124unique_dim_cuda_templateItEESt5tupleIJNSF_6TensorESK_SK_EERKSK_lbbbEUlllE0_EEPmJS9_EEE10hipError_tPvRmT3_T4_T5_T6_T7_T9_mT8_P12ihipStream_tbDpT10_ENKUlT_T0_E_clISt17integral_constantIbLb0EES19_IbLb1EEEEDaS15_S16_EUlS15_E_NS1_11comp_targetILNS1_3genE8ELNS1_11target_archE1030ELNS1_3gpuE2ELNS1_3repE0EEENS1_30default_config_static_selectorELNS0_4arch9wavefront6targetE0EEEvT1_
		.amdhsa_group_segment_fixed_size 0
		.amdhsa_private_segment_fixed_size 0
		.amdhsa_kernarg_size 136
		.amdhsa_user_sgpr_count 15
		.amdhsa_user_sgpr_dispatch_ptr 0
		.amdhsa_user_sgpr_queue_ptr 0
		.amdhsa_user_sgpr_kernarg_segment_ptr 1
		.amdhsa_user_sgpr_dispatch_id 0
		.amdhsa_user_sgpr_private_segment_size 0
		.amdhsa_wavefront_size32 1
		.amdhsa_uses_dynamic_stack 0
		.amdhsa_enable_private_segment 0
		.amdhsa_system_sgpr_workgroup_id_x 1
		.amdhsa_system_sgpr_workgroup_id_y 0
		.amdhsa_system_sgpr_workgroup_id_z 0
		.amdhsa_system_sgpr_workgroup_info 0
		.amdhsa_system_vgpr_workitem_id 0
		.amdhsa_next_free_vgpr 1
		.amdhsa_next_free_sgpr 1
		.amdhsa_reserve_vcc 0
		.amdhsa_float_round_mode_32 0
		.amdhsa_float_round_mode_16_64 0
		.amdhsa_float_denorm_mode_32 3
		.amdhsa_float_denorm_mode_16_64 3
		.amdhsa_dx10_clamp 1
		.amdhsa_ieee_mode 1
		.amdhsa_fp16_overflow 0
		.amdhsa_workgroup_processor_mode 1
		.amdhsa_memory_ordered 1
		.amdhsa_forward_progress 0
		.amdhsa_shared_vgpr_count 0
		.amdhsa_exception_fp_ieee_invalid_op 0
		.amdhsa_exception_fp_denorm_src 0
		.amdhsa_exception_fp_ieee_div_zero 0
		.amdhsa_exception_fp_ieee_overflow 0
		.amdhsa_exception_fp_ieee_underflow 0
		.amdhsa_exception_fp_ieee_inexact 0
		.amdhsa_exception_int_div_zero 0
	.end_amdhsa_kernel
	.section	.text._ZN7rocprim17ROCPRIM_400000_NS6detail17trampoline_kernelINS0_14default_configENS1_25partition_config_selectorILNS1_17partition_subalgoE9EllbEEZZNS1_14partition_implILS5_9ELb0ES3_jPlS8_PNS0_10empty_typeENS0_5tupleIJS8_S9_EEENSB_IJS8_SA_EEENS0_18inequality_wrapperIZN2at6native12_GLOBAL__N_124unique_dim_cuda_templateItEESt5tupleIJNSF_6TensorESK_SK_EERKSK_lbbbEUlllE0_EEPmJS9_EEE10hipError_tPvRmT3_T4_T5_T6_T7_T9_mT8_P12ihipStream_tbDpT10_ENKUlT_T0_E_clISt17integral_constantIbLb0EES19_IbLb1EEEEDaS15_S16_EUlS15_E_NS1_11comp_targetILNS1_3genE8ELNS1_11target_archE1030ELNS1_3gpuE2ELNS1_3repE0EEENS1_30default_config_static_selectorELNS0_4arch9wavefront6targetE0EEEvT1_,"axG",@progbits,_ZN7rocprim17ROCPRIM_400000_NS6detail17trampoline_kernelINS0_14default_configENS1_25partition_config_selectorILNS1_17partition_subalgoE9EllbEEZZNS1_14partition_implILS5_9ELb0ES3_jPlS8_PNS0_10empty_typeENS0_5tupleIJS8_S9_EEENSB_IJS8_SA_EEENS0_18inequality_wrapperIZN2at6native12_GLOBAL__N_124unique_dim_cuda_templateItEESt5tupleIJNSF_6TensorESK_SK_EERKSK_lbbbEUlllE0_EEPmJS9_EEE10hipError_tPvRmT3_T4_T5_T6_T7_T9_mT8_P12ihipStream_tbDpT10_ENKUlT_T0_E_clISt17integral_constantIbLb0EES19_IbLb1EEEEDaS15_S16_EUlS15_E_NS1_11comp_targetILNS1_3genE8ELNS1_11target_archE1030ELNS1_3gpuE2ELNS1_3repE0EEENS1_30default_config_static_selectorELNS0_4arch9wavefront6targetE0EEEvT1_,comdat
.Lfunc_end1480:
	.size	_ZN7rocprim17ROCPRIM_400000_NS6detail17trampoline_kernelINS0_14default_configENS1_25partition_config_selectorILNS1_17partition_subalgoE9EllbEEZZNS1_14partition_implILS5_9ELb0ES3_jPlS8_PNS0_10empty_typeENS0_5tupleIJS8_S9_EEENSB_IJS8_SA_EEENS0_18inequality_wrapperIZN2at6native12_GLOBAL__N_124unique_dim_cuda_templateItEESt5tupleIJNSF_6TensorESK_SK_EERKSK_lbbbEUlllE0_EEPmJS9_EEE10hipError_tPvRmT3_T4_T5_T6_T7_T9_mT8_P12ihipStream_tbDpT10_ENKUlT_T0_E_clISt17integral_constantIbLb0EES19_IbLb1EEEEDaS15_S16_EUlS15_E_NS1_11comp_targetILNS1_3genE8ELNS1_11target_archE1030ELNS1_3gpuE2ELNS1_3repE0EEENS1_30default_config_static_selectorELNS0_4arch9wavefront6targetE0EEEvT1_, .Lfunc_end1480-_ZN7rocprim17ROCPRIM_400000_NS6detail17trampoline_kernelINS0_14default_configENS1_25partition_config_selectorILNS1_17partition_subalgoE9EllbEEZZNS1_14partition_implILS5_9ELb0ES3_jPlS8_PNS0_10empty_typeENS0_5tupleIJS8_S9_EEENSB_IJS8_SA_EEENS0_18inequality_wrapperIZN2at6native12_GLOBAL__N_124unique_dim_cuda_templateItEESt5tupleIJNSF_6TensorESK_SK_EERKSK_lbbbEUlllE0_EEPmJS9_EEE10hipError_tPvRmT3_T4_T5_T6_T7_T9_mT8_P12ihipStream_tbDpT10_ENKUlT_T0_E_clISt17integral_constantIbLb0EES19_IbLb1EEEEDaS15_S16_EUlS15_E_NS1_11comp_targetILNS1_3genE8ELNS1_11target_archE1030ELNS1_3gpuE2ELNS1_3repE0EEENS1_30default_config_static_selectorELNS0_4arch9wavefront6targetE0EEEvT1_
                                        ; -- End function
	.section	.AMDGPU.csdata,"",@progbits
; Kernel info:
; codeLenInByte = 0
; NumSgprs: 0
; NumVgprs: 0
; ScratchSize: 0
; MemoryBound: 0
; FloatMode: 240
; IeeeMode: 1
; LDSByteSize: 0 bytes/workgroup (compile time only)
; SGPRBlocks: 0
; VGPRBlocks: 0
; NumSGPRsForWavesPerEU: 1
; NumVGPRsForWavesPerEU: 1
; Occupancy: 16
; WaveLimiterHint : 0
; COMPUTE_PGM_RSRC2:SCRATCH_EN: 0
; COMPUTE_PGM_RSRC2:USER_SGPR: 15
; COMPUTE_PGM_RSRC2:TRAP_HANDLER: 0
; COMPUTE_PGM_RSRC2:TGID_X_EN: 1
; COMPUTE_PGM_RSRC2:TGID_Y_EN: 0
; COMPUTE_PGM_RSRC2:TGID_Z_EN: 0
; COMPUTE_PGM_RSRC2:TIDIG_COMP_CNT: 0
	.section	.text._ZN7rocprim17ROCPRIM_400000_NS6detail17trampoline_kernelINS0_14default_configENS1_37merge_sort_block_sort_config_selectorIlNS0_10empty_typeEEEZNS1_21merge_sort_block_sortIS3_PlS8_PS5_S9_ZN2at6native12_GLOBAL__N_124unique_dim_cuda_templateIjEESt5tupleIJNSA_6TensorESF_SF_EERKSF_lbbbEUlllE_EE10hipError_tT0_T1_T2_T3_mRjT4_P12ihipStream_tbNS1_7vsmem_tEEUlT_E_NS1_11comp_targetILNS1_3genE0ELNS1_11target_archE4294967295ELNS1_3gpuE0ELNS1_3repE0EEENS1_30default_config_static_selectorELNS0_4arch9wavefront6targetE0EEEvSM_,"axG",@progbits,_ZN7rocprim17ROCPRIM_400000_NS6detail17trampoline_kernelINS0_14default_configENS1_37merge_sort_block_sort_config_selectorIlNS0_10empty_typeEEEZNS1_21merge_sort_block_sortIS3_PlS8_PS5_S9_ZN2at6native12_GLOBAL__N_124unique_dim_cuda_templateIjEESt5tupleIJNSA_6TensorESF_SF_EERKSF_lbbbEUlllE_EE10hipError_tT0_T1_T2_T3_mRjT4_P12ihipStream_tbNS1_7vsmem_tEEUlT_E_NS1_11comp_targetILNS1_3genE0ELNS1_11target_archE4294967295ELNS1_3gpuE0ELNS1_3repE0EEENS1_30default_config_static_selectorELNS0_4arch9wavefront6targetE0EEEvSM_,comdat
	.globl	_ZN7rocprim17ROCPRIM_400000_NS6detail17trampoline_kernelINS0_14default_configENS1_37merge_sort_block_sort_config_selectorIlNS0_10empty_typeEEEZNS1_21merge_sort_block_sortIS3_PlS8_PS5_S9_ZN2at6native12_GLOBAL__N_124unique_dim_cuda_templateIjEESt5tupleIJNSA_6TensorESF_SF_EERKSF_lbbbEUlllE_EE10hipError_tT0_T1_T2_T3_mRjT4_P12ihipStream_tbNS1_7vsmem_tEEUlT_E_NS1_11comp_targetILNS1_3genE0ELNS1_11target_archE4294967295ELNS1_3gpuE0ELNS1_3repE0EEENS1_30default_config_static_selectorELNS0_4arch9wavefront6targetE0EEEvSM_ ; -- Begin function _ZN7rocprim17ROCPRIM_400000_NS6detail17trampoline_kernelINS0_14default_configENS1_37merge_sort_block_sort_config_selectorIlNS0_10empty_typeEEEZNS1_21merge_sort_block_sortIS3_PlS8_PS5_S9_ZN2at6native12_GLOBAL__N_124unique_dim_cuda_templateIjEESt5tupleIJNSA_6TensorESF_SF_EERKSF_lbbbEUlllE_EE10hipError_tT0_T1_T2_T3_mRjT4_P12ihipStream_tbNS1_7vsmem_tEEUlT_E_NS1_11comp_targetILNS1_3genE0ELNS1_11target_archE4294967295ELNS1_3gpuE0ELNS1_3repE0EEENS1_30default_config_static_selectorELNS0_4arch9wavefront6targetE0EEEvSM_
	.p2align	8
	.type	_ZN7rocprim17ROCPRIM_400000_NS6detail17trampoline_kernelINS0_14default_configENS1_37merge_sort_block_sort_config_selectorIlNS0_10empty_typeEEEZNS1_21merge_sort_block_sortIS3_PlS8_PS5_S9_ZN2at6native12_GLOBAL__N_124unique_dim_cuda_templateIjEESt5tupleIJNSA_6TensorESF_SF_EERKSF_lbbbEUlllE_EE10hipError_tT0_T1_T2_T3_mRjT4_P12ihipStream_tbNS1_7vsmem_tEEUlT_E_NS1_11comp_targetILNS1_3genE0ELNS1_11target_archE4294967295ELNS1_3gpuE0ELNS1_3repE0EEENS1_30default_config_static_selectorELNS0_4arch9wavefront6targetE0EEEvSM_,@function
_ZN7rocprim17ROCPRIM_400000_NS6detail17trampoline_kernelINS0_14default_configENS1_37merge_sort_block_sort_config_selectorIlNS0_10empty_typeEEEZNS1_21merge_sort_block_sortIS3_PlS8_PS5_S9_ZN2at6native12_GLOBAL__N_124unique_dim_cuda_templateIjEESt5tupleIJNSA_6TensorESF_SF_EERKSF_lbbbEUlllE_EE10hipError_tT0_T1_T2_T3_mRjT4_P12ihipStream_tbNS1_7vsmem_tEEUlT_E_NS1_11comp_targetILNS1_3genE0ELNS1_11target_archE4294967295ELNS1_3gpuE0ELNS1_3repE0EEENS1_30default_config_static_selectorELNS0_4arch9wavefront6targetE0EEEvSM_: ; @_ZN7rocprim17ROCPRIM_400000_NS6detail17trampoline_kernelINS0_14default_configENS1_37merge_sort_block_sort_config_selectorIlNS0_10empty_typeEEEZNS1_21merge_sort_block_sortIS3_PlS8_PS5_S9_ZN2at6native12_GLOBAL__N_124unique_dim_cuda_templateIjEESt5tupleIJNSA_6TensorESF_SF_EERKSF_lbbbEUlllE_EE10hipError_tT0_T1_T2_T3_mRjT4_P12ihipStream_tbNS1_7vsmem_tEEUlT_E_NS1_11comp_targetILNS1_3genE0ELNS1_11target_archE4294967295ELNS1_3gpuE0ELNS1_3repE0EEENS1_30default_config_static_selectorELNS0_4arch9wavefront6targetE0EEEvSM_
; %bb.0:
	.section	.rodata,"a",@progbits
	.p2align	6, 0x0
	.amdhsa_kernel _ZN7rocprim17ROCPRIM_400000_NS6detail17trampoline_kernelINS0_14default_configENS1_37merge_sort_block_sort_config_selectorIlNS0_10empty_typeEEEZNS1_21merge_sort_block_sortIS3_PlS8_PS5_S9_ZN2at6native12_GLOBAL__N_124unique_dim_cuda_templateIjEESt5tupleIJNSA_6TensorESF_SF_EERKSF_lbbbEUlllE_EE10hipError_tT0_T1_T2_T3_mRjT4_P12ihipStream_tbNS1_7vsmem_tEEUlT_E_NS1_11comp_targetILNS1_3genE0ELNS1_11target_archE4294967295ELNS1_3gpuE0ELNS1_3repE0EEENS1_30default_config_static_selectorELNS0_4arch9wavefront6targetE0EEEvSM_
		.amdhsa_group_segment_fixed_size 0
		.amdhsa_private_segment_fixed_size 0
		.amdhsa_kernarg_size 72
		.amdhsa_user_sgpr_count 15
		.amdhsa_user_sgpr_dispatch_ptr 0
		.amdhsa_user_sgpr_queue_ptr 0
		.amdhsa_user_sgpr_kernarg_segment_ptr 1
		.amdhsa_user_sgpr_dispatch_id 0
		.amdhsa_user_sgpr_private_segment_size 0
		.amdhsa_wavefront_size32 1
		.amdhsa_uses_dynamic_stack 0
		.amdhsa_enable_private_segment 0
		.amdhsa_system_sgpr_workgroup_id_x 1
		.amdhsa_system_sgpr_workgroup_id_y 0
		.amdhsa_system_sgpr_workgroup_id_z 0
		.amdhsa_system_sgpr_workgroup_info 0
		.amdhsa_system_vgpr_workitem_id 0
		.amdhsa_next_free_vgpr 1
		.amdhsa_next_free_sgpr 1
		.amdhsa_reserve_vcc 0
		.amdhsa_float_round_mode_32 0
		.amdhsa_float_round_mode_16_64 0
		.amdhsa_float_denorm_mode_32 3
		.amdhsa_float_denorm_mode_16_64 3
		.amdhsa_dx10_clamp 1
		.amdhsa_ieee_mode 1
		.amdhsa_fp16_overflow 0
		.amdhsa_workgroup_processor_mode 1
		.amdhsa_memory_ordered 1
		.amdhsa_forward_progress 0
		.amdhsa_shared_vgpr_count 0
		.amdhsa_exception_fp_ieee_invalid_op 0
		.amdhsa_exception_fp_denorm_src 0
		.amdhsa_exception_fp_ieee_div_zero 0
		.amdhsa_exception_fp_ieee_overflow 0
		.amdhsa_exception_fp_ieee_underflow 0
		.amdhsa_exception_fp_ieee_inexact 0
		.amdhsa_exception_int_div_zero 0
	.end_amdhsa_kernel
	.section	.text._ZN7rocprim17ROCPRIM_400000_NS6detail17trampoline_kernelINS0_14default_configENS1_37merge_sort_block_sort_config_selectorIlNS0_10empty_typeEEEZNS1_21merge_sort_block_sortIS3_PlS8_PS5_S9_ZN2at6native12_GLOBAL__N_124unique_dim_cuda_templateIjEESt5tupleIJNSA_6TensorESF_SF_EERKSF_lbbbEUlllE_EE10hipError_tT0_T1_T2_T3_mRjT4_P12ihipStream_tbNS1_7vsmem_tEEUlT_E_NS1_11comp_targetILNS1_3genE0ELNS1_11target_archE4294967295ELNS1_3gpuE0ELNS1_3repE0EEENS1_30default_config_static_selectorELNS0_4arch9wavefront6targetE0EEEvSM_,"axG",@progbits,_ZN7rocprim17ROCPRIM_400000_NS6detail17trampoline_kernelINS0_14default_configENS1_37merge_sort_block_sort_config_selectorIlNS0_10empty_typeEEEZNS1_21merge_sort_block_sortIS3_PlS8_PS5_S9_ZN2at6native12_GLOBAL__N_124unique_dim_cuda_templateIjEESt5tupleIJNSA_6TensorESF_SF_EERKSF_lbbbEUlllE_EE10hipError_tT0_T1_T2_T3_mRjT4_P12ihipStream_tbNS1_7vsmem_tEEUlT_E_NS1_11comp_targetILNS1_3genE0ELNS1_11target_archE4294967295ELNS1_3gpuE0ELNS1_3repE0EEENS1_30default_config_static_selectorELNS0_4arch9wavefront6targetE0EEEvSM_,comdat
.Lfunc_end1481:
	.size	_ZN7rocprim17ROCPRIM_400000_NS6detail17trampoline_kernelINS0_14default_configENS1_37merge_sort_block_sort_config_selectorIlNS0_10empty_typeEEEZNS1_21merge_sort_block_sortIS3_PlS8_PS5_S9_ZN2at6native12_GLOBAL__N_124unique_dim_cuda_templateIjEESt5tupleIJNSA_6TensorESF_SF_EERKSF_lbbbEUlllE_EE10hipError_tT0_T1_T2_T3_mRjT4_P12ihipStream_tbNS1_7vsmem_tEEUlT_E_NS1_11comp_targetILNS1_3genE0ELNS1_11target_archE4294967295ELNS1_3gpuE0ELNS1_3repE0EEENS1_30default_config_static_selectorELNS0_4arch9wavefront6targetE0EEEvSM_, .Lfunc_end1481-_ZN7rocprim17ROCPRIM_400000_NS6detail17trampoline_kernelINS0_14default_configENS1_37merge_sort_block_sort_config_selectorIlNS0_10empty_typeEEEZNS1_21merge_sort_block_sortIS3_PlS8_PS5_S9_ZN2at6native12_GLOBAL__N_124unique_dim_cuda_templateIjEESt5tupleIJNSA_6TensorESF_SF_EERKSF_lbbbEUlllE_EE10hipError_tT0_T1_T2_T3_mRjT4_P12ihipStream_tbNS1_7vsmem_tEEUlT_E_NS1_11comp_targetILNS1_3genE0ELNS1_11target_archE4294967295ELNS1_3gpuE0ELNS1_3repE0EEENS1_30default_config_static_selectorELNS0_4arch9wavefront6targetE0EEEvSM_
                                        ; -- End function
	.section	.AMDGPU.csdata,"",@progbits
; Kernel info:
; codeLenInByte = 0
; NumSgprs: 0
; NumVgprs: 0
; ScratchSize: 0
; MemoryBound: 0
; FloatMode: 240
; IeeeMode: 1
; LDSByteSize: 0 bytes/workgroup (compile time only)
; SGPRBlocks: 0
; VGPRBlocks: 0
; NumSGPRsForWavesPerEU: 1
; NumVGPRsForWavesPerEU: 1
; Occupancy: 16
; WaveLimiterHint : 0
; COMPUTE_PGM_RSRC2:SCRATCH_EN: 0
; COMPUTE_PGM_RSRC2:USER_SGPR: 15
; COMPUTE_PGM_RSRC2:TRAP_HANDLER: 0
; COMPUTE_PGM_RSRC2:TGID_X_EN: 1
; COMPUTE_PGM_RSRC2:TGID_Y_EN: 0
; COMPUTE_PGM_RSRC2:TGID_Z_EN: 0
; COMPUTE_PGM_RSRC2:TIDIG_COMP_CNT: 0
	.section	.text._ZN7rocprim17ROCPRIM_400000_NS6detail17trampoline_kernelINS0_14default_configENS1_37merge_sort_block_sort_config_selectorIlNS0_10empty_typeEEEZNS1_21merge_sort_block_sortIS3_PlS8_PS5_S9_ZN2at6native12_GLOBAL__N_124unique_dim_cuda_templateIjEESt5tupleIJNSA_6TensorESF_SF_EERKSF_lbbbEUlllE_EE10hipError_tT0_T1_T2_T3_mRjT4_P12ihipStream_tbNS1_7vsmem_tEEUlT_E_NS1_11comp_targetILNS1_3genE5ELNS1_11target_archE942ELNS1_3gpuE9ELNS1_3repE0EEENS1_30default_config_static_selectorELNS0_4arch9wavefront6targetE0EEEvSM_,"axG",@progbits,_ZN7rocprim17ROCPRIM_400000_NS6detail17trampoline_kernelINS0_14default_configENS1_37merge_sort_block_sort_config_selectorIlNS0_10empty_typeEEEZNS1_21merge_sort_block_sortIS3_PlS8_PS5_S9_ZN2at6native12_GLOBAL__N_124unique_dim_cuda_templateIjEESt5tupleIJNSA_6TensorESF_SF_EERKSF_lbbbEUlllE_EE10hipError_tT0_T1_T2_T3_mRjT4_P12ihipStream_tbNS1_7vsmem_tEEUlT_E_NS1_11comp_targetILNS1_3genE5ELNS1_11target_archE942ELNS1_3gpuE9ELNS1_3repE0EEENS1_30default_config_static_selectorELNS0_4arch9wavefront6targetE0EEEvSM_,comdat
	.globl	_ZN7rocprim17ROCPRIM_400000_NS6detail17trampoline_kernelINS0_14default_configENS1_37merge_sort_block_sort_config_selectorIlNS0_10empty_typeEEEZNS1_21merge_sort_block_sortIS3_PlS8_PS5_S9_ZN2at6native12_GLOBAL__N_124unique_dim_cuda_templateIjEESt5tupleIJNSA_6TensorESF_SF_EERKSF_lbbbEUlllE_EE10hipError_tT0_T1_T2_T3_mRjT4_P12ihipStream_tbNS1_7vsmem_tEEUlT_E_NS1_11comp_targetILNS1_3genE5ELNS1_11target_archE942ELNS1_3gpuE9ELNS1_3repE0EEENS1_30default_config_static_selectorELNS0_4arch9wavefront6targetE0EEEvSM_ ; -- Begin function _ZN7rocprim17ROCPRIM_400000_NS6detail17trampoline_kernelINS0_14default_configENS1_37merge_sort_block_sort_config_selectorIlNS0_10empty_typeEEEZNS1_21merge_sort_block_sortIS3_PlS8_PS5_S9_ZN2at6native12_GLOBAL__N_124unique_dim_cuda_templateIjEESt5tupleIJNSA_6TensorESF_SF_EERKSF_lbbbEUlllE_EE10hipError_tT0_T1_T2_T3_mRjT4_P12ihipStream_tbNS1_7vsmem_tEEUlT_E_NS1_11comp_targetILNS1_3genE5ELNS1_11target_archE942ELNS1_3gpuE9ELNS1_3repE0EEENS1_30default_config_static_selectorELNS0_4arch9wavefront6targetE0EEEvSM_
	.p2align	8
	.type	_ZN7rocprim17ROCPRIM_400000_NS6detail17trampoline_kernelINS0_14default_configENS1_37merge_sort_block_sort_config_selectorIlNS0_10empty_typeEEEZNS1_21merge_sort_block_sortIS3_PlS8_PS5_S9_ZN2at6native12_GLOBAL__N_124unique_dim_cuda_templateIjEESt5tupleIJNSA_6TensorESF_SF_EERKSF_lbbbEUlllE_EE10hipError_tT0_T1_T2_T3_mRjT4_P12ihipStream_tbNS1_7vsmem_tEEUlT_E_NS1_11comp_targetILNS1_3genE5ELNS1_11target_archE942ELNS1_3gpuE9ELNS1_3repE0EEENS1_30default_config_static_selectorELNS0_4arch9wavefront6targetE0EEEvSM_,@function
_ZN7rocprim17ROCPRIM_400000_NS6detail17trampoline_kernelINS0_14default_configENS1_37merge_sort_block_sort_config_selectorIlNS0_10empty_typeEEEZNS1_21merge_sort_block_sortIS3_PlS8_PS5_S9_ZN2at6native12_GLOBAL__N_124unique_dim_cuda_templateIjEESt5tupleIJNSA_6TensorESF_SF_EERKSF_lbbbEUlllE_EE10hipError_tT0_T1_T2_T3_mRjT4_P12ihipStream_tbNS1_7vsmem_tEEUlT_E_NS1_11comp_targetILNS1_3genE5ELNS1_11target_archE942ELNS1_3gpuE9ELNS1_3repE0EEENS1_30default_config_static_selectorELNS0_4arch9wavefront6targetE0EEEvSM_: ; @_ZN7rocprim17ROCPRIM_400000_NS6detail17trampoline_kernelINS0_14default_configENS1_37merge_sort_block_sort_config_selectorIlNS0_10empty_typeEEEZNS1_21merge_sort_block_sortIS3_PlS8_PS5_S9_ZN2at6native12_GLOBAL__N_124unique_dim_cuda_templateIjEESt5tupleIJNSA_6TensorESF_SF_EERKSF_lbbbEUlllE_EE10hipError_tT0_T1_T2_T3_mRjT4_P12ihipStream_tbNS1_7vsmem_tEEUlT_E_NS1_11comp_targetILNS1_3genE5ELNS1_11target_archE942ELNS1_3gpuE9ELNS1_3repE0EEENS1_30default_config_static_selectorELNS0_4arch9wavefront6targetE0EEEvSM_
; %bb.0:
	.section	.rodata,"a",@progbits
	.p2align	6, 0x0
	.amdhsa_kernel _ZN7rocprim17ROCPRIM_400000_NS6detail17trampoline_kernelINS0_14default_configENS1_37merge_sort_block_sort_config_selectorIlNS0_10empty_typeEEEZNS1_21merge_sort_block_sortIS3_PlS8_PS5_S9_ZN2at6native12_GLOBAL__N_124unique_dim_cuda_templateIjEESt5tupleIJNSA_6TensorESF_SF_EERKSF_lbbbEUlllE_EE10hipError_tT0_T1_T2_T3_mRjT4_P12ihipStream_tbNS1_7vsmem_tEEUlT_E_NS1_11comp_targetILNS1_3genE5ELNS1_11target_archE942ELNS1_3gpuE9ELNS1_3repE0EEENS1_30default_config_static_selectorELNS0_4arch9wavefront6targetE0EEEvSM_
		.amdhsa_group_segment_fixed_size 0
		.amdhsa_private_segment_fixed_size 0
		.amdhsa_kernarg_size 72
		.amdhsa_user_sgpr_count 15
		.amdhsa_user_sgpr_dispatch_ptr 0
		.amdhsa_user_sgpr_queue_ptr 0
		.amdhsa_user_sgpr_kernarg_segment_ptr 1
		.amdhsa_user_sgpr_dispatch_id 0
		.amdhsa_user_sgpr_private_segment_size 0
		.amdhsa_wavefront_size32 1
		.amdhsa_uses_dynamic_stack 0
		.amdhsa_enable_private_segment 0
		.amdhsa_system_sgpr_workgroup_id_x 1
		.amdhsa_system_sgpr_workgroup_id_y 0
		.amdhsa_system_sgpr_workgroup_id_z 0
		.amdhsa_system_sgpr_workgroup_info 0
		.amdhsa_system_vgpr_workitem_id 0
		.amdhsa_next_free_vgpr 1
		.amdhsa_next_free_sgpr 1
		.amdhsa_reserve_vcc 0
		.amdhsa_float_round_mode_32 0
		.amdhsa_float_round_mode_16_64 0
		.amdhsa_float_denorm_mode_32 3
		.amdhsa_float_denorm_mode_16_64 3
		.amdhsa_dx10_clamp 1
		.amdhsa_ieee_mode 1
		.amdhsa_fp16_overflow 0
		.amdhsa_workgroup_processor_mode 1
		.amdhsa_memory_ordered 1
		.amdhsa_forward_progress 0
		.amdhsa_shared_vgpr_count 0
		.amdhsa_exception_fp_ieee_invalid_op 0
		.amdhsa_exception_fp_denorm_src 0
		.amdhsa_exception_fp_ieee_div_zero 0
		.amdhsa_exception_fp_ieee_overflow 0
		.amdhsa_exception_fp_ieee_underflow 0
		.amdhsa_exception_fp_ieee_inexact 0
		.amdhsa_exception_int_div_zero 0
	.end_amdhsa_kernel
	.section	.text._ZN7rocprim17ROCPRIM_400000_NS6detail17trampoline_kernelINS0_14default_configENS1_37merge_sort_block_sort_config_selectorIlNS0_10empty_typeEEEZNS1_21merge_sort_block_sortIS3_PlS8_PS5_S9_ZN2at6native12_GLOBAL__N_124unique_dim_cuda_templateIjEESt5tupleIJNSA_6TensorESF_SF_EERKSF_lbbbEUlllE_EE10hipError_tT0_T1_T2_T3_mRjT4_P12ihipStream_tbNS1_7vsmem_tEEUlT_E_NS1_11comp_targetILNS1_3genE5ELNS1_11target_archE942ELNS1_3gpuE9ELNS1_3repE0EEENS1_30default_config_static_selectorELNS0_4arch9wavefront6targetE0EEEvSM_,"axG",@progbits,_ZN7rocprim17ROCPRIM_400000_NS6detail17trampoline_kernelINS0_14default_configENS1_37merge_sort_block_sort_config_selectorIlNS0_10empty_typeEEEZNS1_21merge_sort_block_sortIS3_PlS8_PS5_S9_ZN2at6native12_GLOBAL__N_124unique_dim_cuda_templateIjEESt5tupleIJNSA_6TensorESF_SF_EERKSF_lbbbEUlllE_EE10hipError_tT0_T1_T2_T3_mRjT4_P12ihipStream_tbNS1_7vsmem_tEEUlT_E_NS1_11comp_targetILNS1_3genE5ELNS1_11target_archE942ELNS1_3gpuE9ELNS1_3repE0EEENS1_30default_config_static_selectorELNS0_4arch9wavefront6targetE0EEEvSM_,comdat
.Lfunc_end1482:
	.size	_ZN7rocprim17ROCPRIM_400000_NS6detail17trampoline_kernelINS0_14default_configENS1_37merge_sort_block_sort_config_selectorIlNS0_10empty_typeEEEZNS1_21merge_sort_block_sortIS3_PlS8_PS5_S9_ZN2at6native12_GLOBAL__N_124unique_dim_cuda_templateIjEESt5tupleIJNSA_6TensorESF_SF_EERKSF_lbbbEUlllE_EE10hipError_tT0_T1_T2_T3_mRjT4_P12ihipStream_tbNS1_7vsmem_tEEUlT_E_NS1_11comp_targetILNS1_3genE5ELNS1_11target_archE942ELNS1_3gpuE9ELNS1_3repE0EEENS1_30default_config_static_selectorELNS0_4arch9wavefront6targetE0EEEvSM_, .Lfunc_end1482-_ZN7rocprim17ROCPRIM_400000_NS6detail17trampoline_kernelINS0_14default_configENS1_37merge_sort_block_sort_config_selectorIlNS0_10empty_typeEEEZNS1_21merge_sort_block_sortIS3_PlS8_PS5_S9_ZN2at6native12_GLOBAL__N_124unique_dim_cuda_templateIjEESt5tupleIJNSA_6TensorESF_SF_EERKSF_lbbbEUlllE_EE10hipError_tT0_T1_T2_T3_mRjT4_P12ihipStream_tbNS1_7vsmem_tEEUlT_E_NS1_11comp_targetILNS1_3genE5ELNS1_11target_archE942ELNS1_3gpuE9ELNS1_3repE0EEENS1_30default_config_static_selectorELNS0_4arch9wavefront6targetE0EEEvSM_
                                        ; -- End function
	.section	.AMDGPU.csdata,"",@progbits
; Kernel info:
; codeLenInByte = 0
; NumSgprs: 0
; NumVgprs: 0
; ScratchSize: 0
; MemoryBound: 0
; FloatMode: 240
; IeeeMode: 1
; LDSByteSize: 0 bytes/workgroup (compile time only)
; SGPRBlocks: 0
; VGPRBlocks: 0
; NumSGPRsForWavesPerEU: 1
; NumVGPRsForWavesPerEU: 1
; Occupancy: 16
; WaveLimiterHint : 0
; COMPUTE_PGM_RSRC2:SCRATCH_EN: 0
; COMPUTE_PGM_RSRC2:USER_SGPR: 15
; COMPUTE_PGM_RSRC2:TRAP_HANDLER: 0
; COMPUTE_PGM_RSRC2:TGID_X_EN: 1
; COMPUTE_PGM_RSRC2:TGID_Y_EN: 0
; COMPUTE_PGM_RSRC2:TGID_Z_EN: 0
; COMPUTE_PGM_RSRC2:TIDIG_COMP_CNT: 0
	.section	.text._ZN7rocprim17ROCPRIM_400000_NS6detail17trampoline_kernelINS0_14default_configENS1_37merge_sort_block_sort_config_selectorIlNS0_10empty_typeEEEZNS1_21merge_sort_block_sortIS3_PlS8_PS5_S9_ZN2at6native12_GLOBAL__N_124unique_dim_cuda_templateIjEESt5tupleIJNSA_6TensorESF_SF_EERKSF_lbbbEUlllE_EE10hipError_tT0_T1_T2_T3_mRjT4_P12ihipStream_tbNS1_7vsmem_tEEUlT_E_NS1_11comp_targetILNS1_3genE4ELNS1_11target_archE910ELNS1_3gpuE8ELNS1_3repE0EEENS1_30default_config_static_selectorELNS0_4arch9wavefront6targetE0EEEvSM_,"axG",@progbits,_ZN7rocprim17ROCPRIM_400000_NS6detail17trampoline_kernelINS0_14default_configENS1_37merge_sort_block_sort_config_selectorIlNS0_10empty_typeEEEZNS1_21merge_sort_block_sortIS3_PlS8_PS5_S9_ZN2at6native12_GLOBAL__N_124unique_dim_cuda_templateIjEESt5tupleIJNSA_6TensorESF_SF_EERKSF_lbbbEUlllE_EE10hipError_tT0_T1_T2_T3_mRjT4_P12ihipStream_tbNS1_7vsmem_tEEUlT_E_NS1_11comp_targetILNS1_3genE4ELNS1_11target_archE910ELNS1_3gpuE8ELNS1_3repE0EEENS1_30default_config_static_selectorELNS0_4arch9wavefront6targetE0EEEvSM_,comdat
	.globl	_ZN7rocprim17ROCPRIM_400000_NS6detail17trampoline_kernelINS0_14default_configENS1_37merge_sort_block_sort_config_selectorIlNS0_10empty_typeEEEZNS1_21merge_sort_block_sortIS3_PlS8_PS5_S9_ZN2at6native12_GLOBAL__N_124unique_dim_cuda_templateIjEESt5tupleIJNSA_6TensorESF_SF_EERKSF_lbbbEUlllE_EE10hipError_tT0_T1_T2_T3_mRjT4_P12ihipStream_tbNS1_7vsmem_tEEUlT_E_NS1_11comp_targetILNS1_3genE4ELNS1_11target_archE910ELNS1_3gpuE8ELNS1_3repE0EEENS1_30default_config_static_selectorELNS0_4arch9wavefront6targetE0EEEvSM_ ; -- Begin function _ZN7rocprim17ROCPRIM_400000_NS6detail17trampoline_kernelINS0_14default_configENS1_37merge_sort_block_sort_config_selectorIlNS0_10empty_typeEEEZNS1_21merge_sort_block_sortIS3_PlS8_PS5_S9_ZN2at6native12_GLOBAL__N_124unique_dim_cuda_templateIjEESt5tupleIJNSA_6TensorESF_SF_EERKSF_lbbbEUlllE_EE10hipError_tT0_T1_T2_T3_mRjT4_P12ihipStream_tbNS1_7vsmem_tEEUlT_E_NS1_11comp_targetILNS1_3genE4ELNS1_11target_archE910ELNS1_3gpuE8ELNS1_3repE0EEENS1_30default_config_static_selectorELNS0_4arch9wavefront6targetE0EEEvSM_
	.p2align	8
	.type	_ZN7rocprim17ROCPRIM_400000_NS6detail17trampoline_kernelINS0_14default_configENS1_37merge_sort_block_sort_config_selectorIlNS0_10empty_typeEEEZNS1_21merge_sort_block_sortIS3_PlS8_PS5_S9_ZN2at6native12_GLOBAL__N_124unique_dim_cuda_templateIjEESt5tupleIJNSA_6TensorESF_SF_EERKSF_lbbbEUlllE_EE10hipError_tT0_T1_T2_T3_mRjT4_P12ihipStream_tbNS1_7vsmem_tEEUlT_E_NS1_11comp_targetILNS1_3genE4ELNS1_11target_archE910ELNS1_3gpuE8ELNS1_3repE0EEENS1_30default_config_static_selectorELNS0_4arch9wavefront6targetE0EEEvSM_,@function
_ZN7rocprim17ROCPRIM_400000_NS6detail17trampoline_kernelINS0_14default_configENS1_37merge_sort_block_sort_config_selectorIlNS0_10empty_typeEEEZNS1_21merge_sort_block_sortIS3_PlS8_PS5_S9_ZN2at6native12_GLOBAL__N_124unique_dim_cuda_templateIjEESt5tupleIJNSA_6TensorESF_SF_EERKSF_lbbbEUlllE_EE10hipError_tT0_T1_T2_T3_mRjT4_P12ihipStream_tbNS1_7vsmem_tEEUlT_E_NS1_11comp_targetILNS1_3genE4ELNS1_11target_archE910ELNS1_3gpuE8ELNS1_3repE0EEENS1_30default_config_static_selectorELNS0_4arch9wavefront6targetE0EEEvSM_: ; @_ZN7rocprim17ROCPRIM_400000_NS6detail17trampoline_kernelINS0_14default_configENS1_37merge_sort_block_sort_config_selectorIlNS0_10empty_typeEEEZNS1_21merge_sort_block_sortIS3_PlS8_PS5_S9_ZN2at6native12_GLOBAL__N_124unique_dim_cuda_templateIjEESt5tupleIJNSA_6TensorESF_SF_EERKSF_lbbbEUlllE_EE10hipError_tT0_T1_T2_T3_mRjT4_P12ihipStream_tbNS1_7vsmem_tEEUlT_E_NS1_11comp_targetILNS1_3genE4ELNS1_11target_archE910ELNS1_3gpuE8ELNS1_3repE0EEENS1_30default_config_static_selectorELNS0_4arch9wavefront6targetE0EEEvSM_
; %bb.0:
	.section	.rodata,"a",@progbits
	.p2align	6, 0x0
	.amdhsa_kernel _ZN7rocprim17ROCPRIM_400000_NS6detail17trampoline_kernelINS0_14default_configENS1_37merge_sort_block_sort_config_selectorIlNS0_10empty_typeEEEZNS1_21merge_sort_block_sortIS3_PlS8_PS5_S9_ZN2at6native12_GLOBAL__N_124unique_dim_cuda_templateIjEESt5tupleIJNSA_6TensorESF_SF_EERKSF_lbbbEUlllE_EE10hipError_tT0_T1_T2_T3_mRjT4_P12ihipStream_tbNS1_7vsmem_tEEUlT_E_NS1_11comp_targetILNS1_3genE4ELNS1_11target_archE910ELNS1_3gpuE8ELNS1_3repE0EEENS1_30default_config_static_selectorELNS0_4arch9wavefront6targetE0EEEvSM_
		.amdhsa_group_segment_fixed_size 0
		.amdhsa_private_segment_fixed_size 0
		.amdhsa_kernarg_size 72
		.amdhsa_user_sgpr_count 15
		.amdhsa_user_sgpr_dispatch_ptr 0
		.amdhsa_user_sgpr_queue_ptr 0
		.amdhsa_user_sgpr_kernarg_segment_ptr 1
		.amdhsa_user_sgpr_dispatch_id 0
		.amdhsa_user_sgpr_private_segment_size 0
		.amdhsa_wavefront_size32 1
		.amdhsa_uses_dynamic_stack 0
		.amdhsa_enable_private_segment 0
		.amdhsa_system_sgpr_workgroup_id_x 1
		.amdhsa_system_sgpr_workgroup_id_y 0
		.amdhsa_system_sgpr_workgroup_id_z 0
		.amdhsa_system_sgpr_workgroup_info 0
		.amdhsa_system_vgpr_workitem_id 0
		.amdhsa_next_free_vgpr 1
		.amdhsa_next_free_sgpr 1
		.amdhsa_reserve_vcc 0
		.amdhsa_float_round_mode_32 0
		.amdhsa_float_round_mode_16_64 0
		.amdhsa_float_denorm_mode_32 3
		.amdhsa_float_denorm_mode_16_64 3
		.amdhsa_dx10_clamp 1
		.amdhsa_ieee_mode 1
		.amdhsa_fp16_overflow 0
		.amdhsa_workgroup_processor_mode 1
		.amdhsa_memory_ordered 1
		.amdhsa_forward_progress 0
		.amdhsa_shared_vgpr_count 0
		.amdhsa_exception_fp_ieee_invalid_op 0
		.amdhsa_exception_fp_denorm_src 0
		.amdhsa_exception_fp_ieee_div_zero 0
		.amdhsa_exception_fp_ieee_overflow 0
		.amdhsa_exception_fp_ieee_underflow 0
		.amdhsa_exception_fp_ieee_inexact 0
		.amdhsa_exception_int_div_zero 0
	.end_amdhsa_kernel
	.section	.text._ZN7rocprim17ROCPRIM_400000_NS6detail17trampoline_kernelINS0_14default_configENS1_37merge_sort_block_sort_config_selectorIlNS0_10empty_typeEEEZNS1_21merge_sort_block_sortIS3_PlS8_PS5_S9_ZN2at6native12_GLOBAL__N_124unique_dim_cuda_templateIjEESt5tupleIJNSA_6TensorESF_SF_EERKSF_lbbbEUlllE_EE10hipError_tT0_T1_T2_T3_mRjT4_P12ihipStream_tbNS1_7vsmem_tEEUlT_E_NS1_11comp_targetILNS1_3genE4ELNS1_11target_archE910ELNS1_3gpuE8ELNS1_3repE0EEENS1_30default_config_static_selectorELNS0_4arch9wavefront6targetE0EEEvSM_,"axG",@progbits,_ZN7rocprim17ROCPRIM_400000_NS6detail17trampoline_kernelINS0_14default_configENS1_37merge_sort_block_sort_config_selectorIlNS0_10empty_typeEEEZNS1_21merge_sort_block_sortIS3_PlS8_PS5_S9_ZN2at6native12_GLOBAL__N_124unique_dim_cuda_templateIjEESt5tupleIJNSA_6TensorESF_SF_EERKSF_lbbbEUlllE_EE10hipError_tT0_T1_T2_T3_mRjT4_P12ihipStream_tbNS1_7vsmem_tEEUlT_E_NS1_11comp_targetILNS1_3genE4ELNS1_11target_archE910ELNS1_3gpuE8ELNS1_3repE0EEENS1_30default_config_static_selectorELNS0_4arch9wavefront6targetE0EEEvSM_,comdat
.Lfunc_end1483:
	.size	_ZN7rocprim17ROCPRIM_400000_NS6detail17trampoline_kernelINS0_14default_configENS1_37merge_sort_block_sort_config_selectorIlNS0_10empty_typeEEEZNS1_21merge_sort_block_sortIS3_PlS8_PS5_S9_ZN2at6native12_GLOBAL__N_124unique_dim_cuda_templateIjEESt5tupleIJNSA_6TensorESF_SF_EERKSF_lbbbEUlllE_EE10hipError_tT0_T1_T2_T3_mRjT4_P12ihipStream_tbNS1_7vsmem_tEEUlT_E_NS1_11comp_targetILNS1_3genE4ELNS1_11target_archE910ELNS1_3gpuE8ELNS1_3repE0EEENS1_30default_config_static_selectorELNS0_4arch9wavefront6targetE0EEEvSM_, .Lfunc_end1483-_ZN7rocprim17ROCPRIM_400000_NS6detail17trampoline_kernelINS0_14default_configENS1_37merge_sort_block_sort_config_selectorIlNS0_10empty_typeEEEZNS1_21merge_sort_block_sortIS3_PlS8_PS5_S9_ZN2at6native12_GLOBAL__N_124unique_dim_cuda_templateIjEESt5tupleIJNSA_6TensorESF_SF_EERKSF_lbbbEUlllE_EE10hipError_tT0_T1_T2_T3_mRjT4_P12ihipStream_tbNS1_7vsmem_tEEUlT_E_NS1_11comp_targetILNS1_3genE4ELNS1_11target_archE910ELNS1_3gpuE8ELNS1_3repE0EEENS1_30default_config_static_selectorELNS0_4arch9wavefront6targetE0EEEvSM_
                                        ; -- End function
	.section	.AMDGPU.csdata,"",@progbits
; Kernel info:
; codeLenInByte = 0
; NumSgprs: 0
; NumVgprs: 0
; ScratchSize: 0
; MemoryBound: 0
; FloatMode: 240
; IeeeMode: 1
; LDSByteSize: 0 bytes/workgroup (compile time only)
; SGPRBlocks: 0
; VGPRBlocks: 0
; NumSGPRsForWavesPerEU: 1
; NumVGPRsForWavesPerEU: 1
; Occupancy: 16
; WaveLimiterHint : 0
; COMPUTE_PGM_RSRC2:SCRATCH_EN: 0
; COMPUTE_PGM_RSRC2:USER_SGPR: 15
; COMPUTE_PGM_RSRC2:TRAP_HANDLER: 0
; COMPUTE_PGM_RSRC2:TGID_X_EN: 1
; COMPUTE_PGM_RSRC2:TGID_Y_EN: 0
; COMPUTE_PGM_RSRC2:TGID_Z_EN: 0
; COMPUTE_PGM_RSRC2:TIDIG_COMP_CNT: 0
	.section	.text._ZN7rocprim17ROCPRIM_400000_NS6detail17trampoline_kernelINS0_14default_configENS1_37merge_sort_block_sort_config_selectorIlNS0_10empty_typeEEEZNS1_21merge_sort_block_sortIS3_PlS8_PS5_S9_ZN2at6native12_GLOBAL__N_124unique_dim_cuda_templateIjEESt5tupleIJNSA_6TensorESF_SF_EERKSF_lbbbEUlllE_EE10hipError_tT0_T1_T2_T3_mRjT4_P12ihipStream_tbNS1_7vsmem_tEEUlT_E_NS1_11comp_targetILNS1_3genE3ELNS1_11target_archE908ELNS1_3gpuE7ELNS1_3repE0EEENS1_30default_config_static_selectorELNS0_4arch9wavefront6targetE0EEEvSM_,"axG",@progbits,_ZN7rocprim17ROCPRIM_400000_NS6detail17trampoline_kernelINS0_14default_configENS1_37merge_sort_block_sort_config_selectorIlNS0_10empty_typeEEEZNS1_21merge_sort_block_sortIS3_PlS8_PS5_S9_ZN2at6native12_GLOBAL__N_124unique_dim_cuda_templateIjEESt5tupleIJNSA_6TensorESF_SF_EERKSF_lbbbEUlllE_EE10hipError_tT0_T1_T2_T3_mRjT4_P12ihipStream_tbNS1_7vsmem_tEEUlT_E_NS1_11comp_targetILNS1_3genE3ELNS1_11target_archE908ELNS1_3gpuE7ELNS1_3repE0EEENS1_30default_config_static_selectorELNS0_4arch9wavefront6targetE0EEEvSM_,comdat
	.globl	_ZN7rocprim17ROCPRIM_400000_NS6detail17trampoline_kernelINS0_14default_configENS1_37merge_sort_block_sort_config_selectorIlNS0_10empty_typeEEEZNS1_21merge_sort_block_sortIS3_PlS8_PS5_S9_ZN2at6native12_GLOBAL__N_124unique_dim_cuda_templateIjEESt5tupleIJNSA_6TensorESF_SF_EERKSF_lbbbEUlllE_EE10hipError_tT0_T1_T2_T3_mRjT4_P12ihipStream_tbNS1_7vsmem_tEEUlT_E_NS1_11comp_targetILNS1_3genE3ELNS1_11target_archE908ELNS1_3gpuE7ELNS1_3repE0EEENS1_30default_config_static_selectorELNS0_4arch9wavefront6targetE0EEEvSM_ ; -- Begin function _ZN7rocprim17ROCPRIM_400000_NS6detail17trampoline_kernelINS0_14default_configENS1_37merge_sort_block_sort_config_selectorIlNS0_10empty_typeEEEZNS1_21merge_sort_block_sortIS3_PlS8_PS5_S9_ZN2at6native12_GLOBAL__N_124unique_dim_cuda_templateIjEESt5tupleIJNSA_6TensorESF_SF_EERKSF_lbbbEUlllE_EE10hipError_tT0_T1_T2_T3_mRjT4_P12ihipStream_tbNS1_7vsmem_tEEUlT_E_NS1_11comp_targetILNS1_3genE3ELNS1_11target_archE908ELNS1_3gpuE7ELNS1_3repE0EEENS1_30default_config_static_selectorELNS0_4arch9wavefront6targetE0EEEvSM_
	.p2align	8
	.type	_ZN7rocprim17ROCPRIM_400000_NS6detail17trampoline_kernelINS0_14default_configENS1_37merge_sort_block_sort_config_selectorIlNS0_10empty_typeEEEZNS1_21merge_sort_block_sortIS3_PlS8_PS5_S9_ZN2at6native12_GLOBAL__N_124unique_dim_cuda_templateIjEESt5tupleIJNSA_6TensorESF_SF_EERKSF_lbbbEUlllE_EE10hipError_tT0_T1_T2_T3_mRjT4_P12ihipStream_tbNS1_7vsmem_tEEUlT_E_NS1_11comp_targetILNS1_3genE3ELNS1_11target_archE908ELNS1_3gpuE7ELNS1_3repE0EEENS1_30default_config_static_selectorELNS0_4arch9wavefront6targetE0EEEvSM_,@function
_ZN7rocprim17ROCPRIM_400000_NS6detail17trampoline_kernelINS0_14default_configENS1_37merge_sort_block_sort_config_selectorIlNS0_10empty_typeEEEZNS1_21merge_sort_block_sortIS3_PlS8_PS5_S9_ZN2at6native12_GLOBAL__N_124unique_dim_cuda_templateIjEESt5tupleIJNSA_6TensorESF_SF_EERKSF_lbbbEUlllE_EE10hipError_tT0_T1_T2_T3_mRjT4_P12ihipStream_tbNS1_7vsmem_tEEUlT_E_NS1_11comp_targetILNS1_3genE3ELNS1_11target_archE908ELNS1_3gpuE7ELNS1_3repE0EEENS1_30default_config_static_selectorELNS0_4arch9wavefront6targetE0EEEvSM_: ; @_ZN7rocprim17ROCPRIM_400000_NS6detail17trampoline_kernelINS0_14default_configENS1_37merge_sort_block_sort_config_selectorIlNS0_10empty_typeEEEZNS1_21merge_sort_block_sortIS3_PlS8_PS5_S9_ZN2at6native12_GLOBAL__N_124unique_dim_cuda_templateIjEESt5tupleIJNSA_6TensorESF_SF_EERKSF_lbbbEUlllE_EE10hipError_tT0_T1_T2_T3_mRjT4_P12ihipStream_tbNS1_7vsmem_tEEUlT_E_NS1_11comp_targetILNS1_3genE3ELNS1_11target_archE908ELNS1_3gpuE7ELNS1_3repE0EEENS1_30default_config_static_selectorELNS0_4arch9wavefront6targetE0EEEvSM_
; %bb.0:
	.section	.rodata,"a",@progbits
	.p2align	6, 0x0
	.amdhsa_kernel _ZN7rocprim17ROCPRIM_400000_NS6detail17trampoline_kernelINS0_14default_configENS1_37merge_sort_block_sort_config_selectorIlNS0_10empty_typeEEEZNS1_21merge_sort_block_sortIS3_PlS8_PS5_S9_ZN2at6native12_GLOBAL__N_124unique_dim_cuda_templateIjEESt5tupleIJNSA_6TensorESF_SF_EERKSF_lbbbEUlllE_EE10hipError_tT0_T1_T2_T3_mRjT4_P12ihipStream_tbNS1_7vsmem_tEEUlT_E_NS1_11comp_targetILNS1_3genE3ELNS1_11target_archE908ELNS1_3gpuE7ELNS1_3repE0EEENS1_30default_config_static_selectorELNS0_4arch9wavefront6targetE0EEEvSM_
		.amdhsa_group_segment_fixed_size 0
		.amdhsa_private_segment_fixed_size 0
		.amdhsa_kernarg_size 72
		.amdhsa_user_sgpr_count 15
		.amdhsa_user_sgpr_dispatch_ptr 0
		.amdhsa_user_sgpr_queue_ptr 0
		.amdhsa_user_sgpr_kernarg_segment_ptr 1
		.amdhsa_user_sgpr_dispatch_id 0
		.amdhsa_user_sgpr_private_segment_size 0
		.amdhsa_wavefront_size32 1
		.amdhsa_uses_dynamic_stack 0
		.amdhsa_enable_private_segment 0
		.amdhsa_system_sgpr_workgroup_id_x 1
		.amdhsa_system_sgpr_workgroup_id_y 0
		.amdhsa_system_sgpr_workgroup_id_z 0
		.amdhsa_system_sgpr_workgroup_info 0
		.amdhsa_system_vgpr_workitem_id 0
		.amdhsa_next_free_vgpr 1
		.amdhsa_next_free_sgpr 1
		.amdhsa_reserve_vcc 0
		.amdhsa_float_round_mode_32 0
		.amdhsa_float_round_mode_16_64 0
		.amdhsa_float_denorm_mode_32 3
		.amdhsa_float_denorm_mode_16_64 3
		.amdhsa_dx10_clamp 1
		.amdhsa_ieee_mode 1
		.amdhsa_fp16_overflow 0
		.amdhsa_workgroup_processor_mode 1
		.amdhsa_memory_ordered 1
		.amdhsa_forward_progress 0
		.amdhsa_shared_vgpr_count 0
		.amdhsa_exception_fp_ieee_invalid_op 0
		.amdhsa_exception_fp_denorm_src 0
		.amdhsa_exception_fp_ieee_div_zero 0
		.amdhsa_exception_fp_ieee_overflow 0
		.amdhsa_exception_fp_ieee_underflow 0
		.amdhsa_exception_fp_ieee_inexact 0
		.amdhsa_exception_int_div_zero 0
	.end_amdhsa_kernel
	.section	.text._ZN7rocprim17ROCPRIM_400000_NS6detail17trampoline_kernelINS0_14default_configENS1_37merge_sort_block_sort_config_selectorIlNS0_10empty_typeEEEZNS1_21merge_sort_block_sortIS3_PlS8_PS5_S9_ZN2at6native12_GLOBAL__N_124unique_dim_cuda_templateIjEESt5tupleIJNSA_6TensorESF_SF_EERKSF_lbbbEUlllE_EE10hipError_tT0_T1_T2_T3_mRjT4_P12ihipStream_tbNS1_7vsmem_tEEUlT_E_NS1_11comp_targetILNS1_3genE3ELNS1_11target_archE908ELNS1_3gpuE7ELNS1_3repE0EEENS1_30default_config_static_selectorELNS0_4arch9wavefront6targetE0EEEvSM_,"axG",@progbits,_ZN7rocprim17ROCPRIM_400000_NS6detail17trampoline_kernelINS0_14default_configENS1_37merge_sort_block_sort_config_selectorIlNS0_10empty_typeEEEZNS1_21merge_sort_block_sortIS3_PlS8_PS5_S9_ZN2at6native12_GLOBAL__N_124unique_dim_cuda_templateIjEESt5tupleIJNSA_6TensorESF_SF_EERKSF_lbbbEUlllE_EE10hipError_tT0_T1_T2_T3_mRjT4_P12ihipStream_tbNS1_7vsmem_tEEUlT_E_NS1_11comp_targetILNS1_3genE3ELNS1_11target_archE908ELNS1_3gpuE7ELNS1_3repE0EEENS1_30default_config_static_selectorELNS0_4arch9wavefront6targetE0EEEvSM_,comdat
.Lfunc_end1484:
	.size	_ZN7rocprim17ROCPRIM_400000_NS6detail17trampoline_kernelINS0_14default_configENS1_37merge_sort_block_sort_config_selectorIlNS0_10empty_typeEEEZNS1_21merge_sort_block_sortIS3_PlS8_PS5_S9_ZN2at6native12_GLOBAL__N_124unique_dim_cuda_templateIjEESt5tupleIJNSA_6TensorESF_SF_EERKSF_lbbbEUlllE_EE10hipError_tT0_T1_T2_T3_mRjT4_P12ihipStream_tbNS1_7vsmem_tEEUlT_E_NS1_11comp_targetILNS1_3genE3ELNS1_11target_archE908ELNS1_3gpuE7ELNS1_3repE0EEENS1_30default_config_static_selectorELNS0_4arch9wavefront6targetE0EEEvSM_, .Lfunc_end1484-_ZN7rocprim17ROCPRIM_400000_NS6detail17trampoline_kernelINS0_14default_configENS1_37merge_sort_block_sort_config_selectorIlNS0_10empty_typeEEEZNS1_21merge_sort_block_sortIS3_PlS8_PS5_S9_ZN2at6native12_GLOBAL__N_124unique_dim_cuda_templateIjEESt5tupleIJNSA_6TensorESF_SF_EERKSF_lbbbEUlllE_EE10hipError_tT0_T1_T2_T3_mRjT4_P12ihipStream_tbNS1_7vsmem_tEEUlT_E_NS1_11comp_targetILNS1_3genE3ELNS1_11target_archE908ELNS1_3gpuE7ELNS1_3repE0EEENS1_30default_config_static_selectorELNS0_4arch9wavefront6targetE0EEEvSM_
                                        ; -- End function
	.section	.AMDGPU.csdata,"",@progbits
; Kernel info:
; codeLenInByte = 0
; NumSgprs: 0
; NumVgprs: 0
; ScratchSize: 0
; MemoryBound: 0
; FloatMode: 240
; IeeeMode: 1
; LDSByteSize: 0 bytes/workgroup (compile time only)
; SGPRBlocks: 0
; VGPRBlocks: 0
; NumSGPRsForWavesPerEU: 1
; NumVGPRsForWavesPerEU: 1
; Occupancy: 16
; WaveLimiterHint : 0
; COMPUTE_PGM_RSRC2:SCRATCH_EN: 0
; COMPUTE_PGM_RSRC2:USER_SGPR: 15
; COMPUTE_PGM_RSRC2:TRAP_HANDLER: 0
; COMPUTE_PGM_RSRC2:TGID_X_EN: 1
; COMPUTE_PGM_RSRC2:TGID_Y_EN: 0
; COMPUTE_PGM_RSRC2:TGID_Z_EN: 0
; COMPUTE_PGM_RSRC2:TIDIG_COMP_CNT: 0
	.section	.text._ZN7rocprim17ROCPRIM_400000_NS6detail17trampoline_kernelINS0_14default_configENS1_37merge_sort_block_sort_config_selectorIlNS0_10empty_typeEEEZNS1_21merge_sort_block_sortIS3_PlS8_PS5_S9_ZN2at6native12_GLOBAL__N_124unique_dim_cuda_templateIjEESt5tupleIJNSA_6TensorESF_SF_EERKSF_lbbbEUlllE_EE10hipError_tT0_T1_T2_T3_mRjT4_P12ihipStream_tbNS1_7vsmem_tEEUlT_E_NS1_11comp_targetILNS1_3genE2ELNS1_11target_archE906ELNS1_3gpuE6ELNS1_3repE0EEENS1_30default_config_static_selectorELNS0_4arch9wavefront6targetE0EEEvSM_,"axG",@progbits,_ZN7rocprim17ROCPRIM_400000_NS6detail17trampoline_kernelINS0_14default_configENS1_37merge_sort_block_sort_config_selectorIlNS0_10empty_typeEEEZNS1_21merge_sort_block_sortIS3_PlS8_PS5_S9_ZN2at6native12_GLOBAL__N_124unique_dim_cuda_templateIjEESt5tupleIJNSA_6TensorESF_SF_EERKSF_lbbbEUlllE_EE10hipError_tT0_T1_T2_T3_mRjT4_P12ihipStream_tbNS1_7vsmem_tEEUlT_E_NS1_11comp_targetILNS1_3genE2ELNS1_11target_archE906ELNS1_3gpuE6ELNS1_3repE0EEENS1_30default_config_static_selectorELNS0_4arch9wavefront6targetE0EEEvSM_,comdat
	.globl	_ZN7rocprim17ROCPRIM_400000_NS6detail17trampoline_kernelINS0_14default_configENS1_37merge_sort_block_sort_config_selectorIlNS0_10empty_typeEEEZNS1_21merge_sort_block_sortIS3_PlS8_PS5_S9_ZN2at6native12_GLOBAL__N_124unique_dim_cuda_templateIjEESt5tupleIJNSA_6TensorESF_SF_EERKSF_lbbbEUlllE_EE10hipError_tT0_T1_T2_T3_mRjT4_P12ihipStream_tbNS1_7vsmem_tEEUlT_E_NS1_11comp_targetILNS1_3genE2ELNS1_11target_archE906ELNS1_3gpuE6ELNS1_3repE0EEENS1_30default_config_static_selectorELNS0_4arch9wavefront6targetE0EEEvSM_ ; -- Begin function _ZN7rocprim17ROCPRIM_400000_NS6detail17trampoline_kernelINS0_14default_configENS1_37merge_sort_block_sort_config_selectorIlNS0_10empty_typeEEEZNS1_21merge_sort_block_sortIS3_PlS8_PS5_S9_ZN2at6native12_GLOBAL__N_124unique_dim_cuda_templateIjEESt5tupleIJNSA_6TensorESF_SF_EERKSF_lbbbEUlllE_EE10hipError_tT0_T1_T2_T3_mRjT4_P12ihipStream_tbNS1_7vsmem_tEEUlT_E_NS1_11comp_targetILNS1_3genE2ELNS1_11target_archE906ELNS1_3gpuE6ELNS1_3repE0EEENS1_30default_config_static_selectorELNS0_4arch9wavefront6targetE0EEEvSM_
	.p2align	8
	.type	_ZN7rocprim17ROCPRIM_400000_NS6detail17trampoline_kernelINS0_14default_configENS1_37merge_sort_block_sort_config_selectorIlNS0_10empty_typeEEEZNS1_21merge_sort_block_sortIS3_PlS8_PS5_S9_ZN2at6native12_GLOBAL__N_124unique_dim_cuda_templateIjEESt5tupleIJNSA_6TensorESF_SF_EERKSF_lbbbEUlllE_EE10hipError_tT0_T1_T2_T3_mRjT4_P12ihipStream_tbNS1_7vsmem_tEEUlT_E_NS1_11comp_targetILNS1_3genE2ELNS1_11target_archE906ELNS1_3gpuE6ELNS1_3repE0EEENS1_30default_config_static_selectorELNS0_4arch9wavefront6targetE0EEEvSM_,@function
_ZN7rocprim17ROCPRIM_400000_NS6detail17trampoline_kernelINS0_14default_configENS1_37merge_sort_block_sort_config_selectorIlNS0_10empty_typeEEEZNS1_21merge_sort_block_sortIS3_PlS8_PS5_S9_ZN2at6native12_GLOBAL__N_124unique_dim_cuda_templateIjEESt5tupleIJNSA_6TensorESF_SF_EERKSF_lbbbEUlllE_EE10hipError_tT0_T1_T2_T3_mRjT4_P12ihipStream_tbNS1_7vsmem_tEEUlT_E_NS1_11comp_targetILNS1_3genE2ELNS1_11target_archE906ELNS1_3gpuE6ELNS1_3repE0EEENS1_30default_config_static_selectorELNS0_4arch9wavefront6targetE0EEEvSM_: ; @_ZN7rocprim17ROCPRIM_400000_NS6detail17trampoline_kernelINS0_14default_configENS1_37merge_sort_block_sort_config_selectorIlNS0_10empty_typeEEEZNS1_21merge_sort_block_sortIS3_PlS8_PS5_S9_ZN2at6native12_GLOBAL__N_124unique_dim_cuda_templateIjEESt5tupleIJNSA_6TensorESF_SF_EERKSF_lbbbEUlllE_EE10hipError_tT0_T1_T2_T3_mRjT4_P12ihipStream_tbNS1_7vsmem_tEEUlT_E_NS1_11comp_targetILNS1_3genE2ELNS1_11target_archE906ELNS1_3gpuE6ELNS1_3repE0EEENS1_30default_config_static_selectorELNS0_4arch9wavefront6targetE0EEEvSM_
; %bb.0:
	.section	.rodata,"a",@progbits
	.p2align	6, 0x0
	.amdhsa_kernel _ZN7rocprim17ROCPRIM_400000_NS6detail17trampoline_kernelINS0_14default_configENS1_37merge_sort_block_sort_config_selectorIlNS0_10empty_typeEEEZNS1_21merge_sort_block_sortIS3_PlS8_PS5_S9_ZN2at6native12_GLOBAL__N_124unique_dim_cuda_templateIjEESt5tupleIJNSA_6TensorESF_SF_EERKSF_lbbbEUlllE_EE10hipError_tT0_T1_T2_T3_mRjT4_P12ihipStream_tbNS1_7vsmem_tEEUlT_E_NS1_11comp_targetILNS1_3genE2ELNS1_11target_archE906ELNS1_3gpuE6ELNS1_3repE0EEENS1_30default_config_static_selectorELNS0_4arch9wavefront6targetE0EEEvSM_
		.amdhsa_group_segment_fixed_size 0
		.amdhsa_private_segment_fixed_size 0
		.amdhsa_kernarg_size 72
		.amdhsa_user_sgpr_count 15
		.amdhsa_user_sgpr_dispatch_ptr 0
		.amdhsa_user_sgpr_queue_ptr 0
		.amdhsa_user_sgpr_kernarg_segment_ptr 1
		.amdhsa_user_sgpr_dispatch_id 0
		.amdhsa_user_sgpr_private_segment_size 0
		.amdhsa_wavefront_size32 1
		.amdhsa_uses_dynamic_stack 0
		.amdhsa_enable_private_segment 0
		.amdhsa_system_sgpr_workgroup_id_x 1
		.amdhsa_system_sgpr_workgroup_id_y 0
		.amdhsa_system_sgpr_workgroup_id_z 0
		.amdhsa_system_sgpr_workgroup_info 0
		.amdhsa_system_vgpr_workitem_id 0
		.amdhsa_next_free_vgpr 1
		.amdhsa_next_free_sgpr 1
		.amdhsa_reserve_vcc 0
		.amdhsa_float_round_mode_32 0
		.amdhsa_float_round_mode_16_64 0
		.amdhsa_float_denorm_mode_32 3
		.amdhsa_float_denorm_mode_16_64 3
		.amdhsa_dx10_clamp 1
		.amdhsa_ieee_mode 1
		.amdhsa_fp16_overflow 0
		.amdhsa_workgroup_processor_mode 1
		.amdhsa_memory_ordered 1
		.amdhsa_forward_progress 0
		.amdhsa_shared_vgpr_count 0
		.amdhsa_exception_fp_ieee_invalid_op 0
		.amdhsa_exception_fp_denorm_src 0
		.amdhsa_exception_fp_ieee_div_zero 0
		.amdhsa_exception_fp_ieee_overflow 0
		.amdhsa_exception_fp_ieee_underflow 0
		.amdhsa_exception_fp_ieee_inexact 0
		.amdhsa_exception_int_div_zero 0
	.end_amdhsa_kernel
	.section	.text._ZN7rocprim17ROCPRIM_400000_NS6detail17trampoline_kernelINS0_14default_configENS1_37merge_sort_block_sort_config_selectorIlNS0_10empty_typeEEEZNS1_21merge_sort_block_sortIS3_PlS8_PS5_S9_ZN2at6native12_GLOBAL__N_124unique_dim_cuda_templateIjEESt5tupleIJNSA_6TensorESF_SF_EERKSF_lbbbEUlllE_EE10hipError_tT0_T1_T2_T3_mRjT4_P12ihipStream_tbNS1_7vsmem_tEEUlT_E_NS1_11comp_targetILNS1_3genE2ELNS1_11target_archE906ELNS1_3gpuE6ELNS1_3repE0EEENS1_30default_config_static_selectorELNS0_4arch9wavefront6targetE0EEEvSM_,"axG",@progbits,_ZN7rocprim17ROCPRIM_400000_NS6detail17trampoline_kernelINS0_14default_configENS1_37merge_sort_block_sort_config_selectorIlNS0_10empty_typeEEEZNS1_21merge_sort_block_sortIS3_PlS8_PS5_S9_ZN2at6native12_GLOBAL__N_124unique_dim_cuda_templateIjEESt5tupleIJNSA_6TensorESF_SF_EERKSF_lbbbEUlllE_EE10hipError_tT0_T1_T2_T3_mRjT4_P12ihipStream_tbNS1_7vsmem_tEEUlT_E_NS1_11comp_targetILNS1_3genE2ELNS1_11target_archE906ELNS1_3gpuE6ELNS1_3repE0EEENS1_30default_config_static_selectorELNS0_4arch9wavefront6targetE0EEEvSM_,comdat
.Lfunc_end1485:
	.size	_ZN7rocprim17ROCPRIM_400000_NS6detail17trampoline_kernelINS0_14default_configENS1_37merge_sort_block_sort_config_selectorIlNS0_10empty_typeEEEZNS1_21merge_sort_block_sortIS3_PlS8_PS5_S9_ZN2at6native12_GLOBAL__N_124unique_dim_cuda_templateIjEESt5tupleIJNSA_6TensorESF_SF_EERKSF_lbbbEUlllE_EE10hipError_tT0_T1_T2_T3_mRjT4_P12ihipStream_tbNS1_7vsmem_tEEUlT_E_NS1_11comp_targetILNS1_3genE2ELNS1_11target_archE906ELNS1_3gpuE6ELNS1_3repE0EEENS1_30default_config_static_selectorELNS0_4arch9wavefront6targetE0EEEvSM_, .Lfunc_end1485-_ZN7rocprim17ROCPRIM_400000_NS6detail17trampoline_kernelINS0_14default_configENS1_37merge_sort_block_sort_config_selectorIlNS0_10empty_typeEEEZNS1_21merge_sort_block_sortIS3_PlS8_PS5_S9_ZN2at6native12_GLOBAL__N_124unique_dim_cuda_templateIjEESt5tupleIJNSA_6TensorESF_SF_EERKSF_lbbbEUlllE_EE10hipError_tT0_T1_T2_T3_mRjT4_P12ihipStream_tbNS1_7vsmem_tEEUlT_E_NS1_11comp_targetILNS1_3genE2ELNS1_11target_archE906ELNS1_3gpuE6ELNS1_3repE0EEENS1_30default_config_static_selectorELNS0_4arch9wavefront6targetE0EEEvSM_
                                        ; -- End function
	.section	.AMDGPU.csdata,"",@progbits
; Kernel info:
; codeLenInByte = 0
; NumSgprs: 0
; NumVgprs: 0
; ScratchSize: 0
; MemoryBound: 0
; FloatMode: 240
; IeeeMode: 1
; LDSByteSize: 0 bytes/workgroup (compile time only)
; SGPRBlocks: 0
; VGPRBlocks: 0
; NumSGPRsForWavesPerEU: 1
; NumVGPRsForWavesPerEU: 1
; Occupancy: 16
; WaveLimiterHint : 0
; COMPUTE_PGM_RSRC2:SCRATCH_EN: 0
; COMPUTE_PGM_RSRC2:USER_SGPR: 15
; COMPUTE_PGM_RSRC2:TRAP_HANDLER: 0
; COMPUTE_PGM_RSRC2:TGID_X_EN: 1
; COMPUTE_PGM_RSRC2:TGID_Y_EN: 0
; COMPUTE_PGM_RSRC2:TGID_Z_EN: 0
; COMPUTE_PGM_RSRC2:TIDIG_COMP_CNT: 0
	.section	.text._ZN7rocprim17ROCPRIM_400000_NS6detail17trampoline_kernelINS0_14default_configENS1_37merge_sort_block_sort_config_selectorIlNS0_10empty_typeEEEZNS1_21merge_sort_block_sortIS3_PlS8_PS5_S9_ZN2at6native12_GLOBAL__N_124unique_dim_cuda_templateIjEESt5tupleIJNSA_6TensorESF_SF_EERKSF_lbbbEUlllE_EE10hipError_tT0_T1_T2_T3_mRjT4_P12ihipStream_tbNS1_7vsmem_tEEUlT_E_NS1_11comp_targetILNS1_3genE10ELNS1_11target_archE1201ELNS1_3gpuE5ELNS1_3repE0EEENS1_30default_config_static_selectorELNS0_4arch9wavefront6targetE0EEEvSM_,"axG",@progbits,_ZN7rocprim17ROCPRIM_400000_NS6detail17trampoline_kernelINS0_14default_configENS1_37merge_sort_block_sort_config_selectorIlNS0_10empty_typeEEEZNS1_21merge_sort_block_sortIS3_PlS8_PS5_S9_ZN2at6native12_GLOBAL__N_124unique_dim_cuda_templateIjEESt5tupleIJNSA_6TensorESF_SF_EERKSF_lbbbEUlllE_EE10hipError_tT0_T1_T2_T3_mRjT4_P12ihipStream_tbNS1_7vsmem_tEEUlT_E_NS1_11comp_targetILNS1_3genE10ELNS1_11target_archE1201ELNS1_3gpuE5ELNS1_3repE0EEENS1_30default_config_static_selectorELNS0_4arch9wavefront6targetE0EEEvSM_,comdat
	.globl	_ZN7rocprim17ROCPRIM_400000_NS6detail17trampoline_kernelINS0_14default_configENS1_37merge_sort_block_sort_config_selectorIlNS0_10empty_typeEEEZNS1_21merge_sort_block_sortIS3_PlS8_PS5_S9_ZN2at6native12_GLOBAL__N_124unique_dim_cuda_templateIjEESt5tupleIJNSA_6TensorESF_SF_EERKSF_lbbbEUlllE_EE10hipError_tT0_T1_T2_T3_mRjT4_P12ihipStream_tbNS1_7vsmem_tEEUlT_E_NS1_11comp_targetILNS1_3genE10ELNS1_11target_archE1201ELNS1_3gpuE5ELNS1_3repE0EEENS1_30default_config_static_selectorELNS0_4arch9wavefront6targetE0EEEvSM_ ; -- Begin function _ZN7rocprim17ROCPRIM_400000_NS6detail17trampoline_kernelINS0_14default_configENS1_37merge_sort_block_sort_config_selectorIlNS0_10empty_typeEEEZNS1_21merge_sort_block_sortIS3_PlS8_PS5_S9_ZN2at6native12_GLOBAL__N_124unique_dim_cuda_templateIjEESt5tupleIJNSA_6TensorESF_SF_EERKSF_lbbbEUlllE_EE10hipError_tT0_T1_T2_T3_mRjT4_P12ihipStream_tbNS1_7vsmem_tEEUlT_E_NS1_11comp_targetILNS1_3genE10ELNS1_11target_archE1201ELNS1_3gpuE5ELNS1_3repE0EEENS1_30default_config_static_selectorELNS0_4arch9wavefront6targetE0EEEvSM_
	.p2align	8
	.type	_ZN7rocprim17ROCPRIM_400000_NS6detail17trampoline_kernelINS0_14default_configENS1_37merge_sort_block_sort_config_selectorIlNS0_10empty_typeEEEZNS1_21merge_sort_block_sortIS3_PlS8_PS5_S9_ZN2at6native12_GLOBAL__N_124unique_dim_cuda_templateIjEESt5tupleIJNSA_6TensorESF_SF_EERKSF_lbbbEUlllE_EE10hipError_tT0_T1_T2_T3_mRjT4_P12ihipStream_tbNS1_7vsmem_tEEUlT_E_NS1_11comp_targetILNS1_3genE10ELNS1_11target_archE1201ELNS1_3gpuE5ELNS1_3repE0EEENS1_30default_config_static_selectorELNS0_4arch9wavefront6targetE0EEEvSM_,@function
_ZN7rocprim17ROCPRIM_400000_NS6detail17trampoline_kernelINS0_14default_configENS1_37merge_sort_block_sort_config_selectorIlNS0_10empty_typeEEEZNS1_21merge_sort_block_sortIS3_PlS8_PS5_S9_ZN2at6native12_GLOBAL__N_124unique_dim_cuda_templateIjEESt5tupleIJNSA_6TensorESF_SF_EERKSF_lbbbEUlllE_EE10hipError_tT0_T1_T2_T3_mRjT4_P12ihipStream_tbNS1_7vsmem_tEEUlT_E_NS1_11comp_targetILNS1_3genE10ELNS1_11target_archE1201ELNS1_3gpuE5ELNS1_3repE0EEENS1_30default_config_static_selectorELNS0_4arch9wavefront6targetE0EEEvSM_: ; @_ZN7rocprim17ROCPRIM_400000_NS6detail17trampoline_kernelINS0_14default_configENS1_37merge_sort_block_sort_config_selectorIlNS0_10empty_typeEEEZNS1_21merge_sort_block_sortIS3_PlS8_PS5_S9_ZN2at6native12_GLOBAL__N_124unique_dim_cuda_templateIjEESt5tupleIJNSA_6TensorESF_SF_EERKSF_lbbbEUlllE_EE10hipError_tT0_T1_T2_T3_mRjT4_P12ihipStream_tbNS1_7vsmem_tEEUlT_E_NS1_11comp_targetILNS1_3genE10ELNS1_11target_archE1201ELNS1_3gpuE5ELNS1_3repE0EEENS1_30default_config_static_selectorELNS0_4arch9wavefront6targetE0EEEvSM_
; %bb.0:
	.section	.rodata,"a",@progbits
	.p2align	6, 0x0
	.amdhsa_kernel _ZN7rocprim17ROCPRIM_400000_NS6detail17trampoline_kernelINS0_14default_configENS1_37merge_sort_block_sort_config_selectorIlNS0_10empty_typeEEEZNS1_21merge_sort_block_sortIS3_PlS8_PS5_S9_ZN2at6native12_GLOBAL__N_124unique_dim_cuda_templateIjEESt5tupleIJNSA_6TensorESF_SF_EERKSF_lbbbEUlllE_EE10hipError_tT0_T1_T2_T3_mRjT4_P12ihipStream_tbNS1_7vsmem_tEEUlT_E_NS1_11comp_targetILNS1_3genE10ELNS1_11target_archE1201ELNS1_3gpuE5ELNS1_3repE0EEENS1_30default_config_static_selectorELNS0_4arch9wavefront6targetE0EEEvSM_
		.amdhsa_group_segment_fixed_size 0
		.amdhsa_private_segment_fixed_size 0
		.amdhsa_kernarg_size 72
		.amdhsa_user_sgpr_count 15
		.amdhsa_user_sgpr_dispatch_ptr 0
		.amdhsa_user_sgpr_queue_ptr 0
		.amdhsa_user_sgpr_kernarg_segment_ptr 1
		.amdhsa_user_sgpr_dispatch_id 0
		.amdhsa_user_sgpr_private_segment_size 0
		.amdhsa_wavefront_size32 1
		.amdhsa_uses_dynamic_stack 0
		.amdhsa_enable_private_segment 0
		.amdhsa_system_sgpr_workgroup_id_x 1
		.amdhsa_system_sgpr_workgroup_id_y 0
		.amdhsa_system_sgpr_workgroup_id_z 0
		.amdhsa_system_sgpr_workgroup_info 0
		.amdhsa_system_vgpr_workitem_id 0
		.amdhsa_next_free_vgpr 1
		.amdhsa_next_free_sgpr 1
		.amdhsa_reserve_vcc 0
		.amdhsa_float_round_mode_32 0
		.amdhsa_float_round_mode_16_64 0
		.amdhsa_float_denorm_mode_32 3
		.amdhsa_float_denorm_mode_16_64 3
		.amdhsa_dx10_clamp 1
		.amdhsa_ieee_mode 1
		.amdhsa_fp16_overflow 0
		.amdhsa_workgroup_processor_mode 1
		.amdhsa_memory_ordered 1
		.amdhsa_forward_progress 0
		.amdhsa_shared_vgpr_count 0
		.amdhsa_exception_fp_ieee_invalid_op 0
		.amdhsa_exception_fp_denorm_src 0
		.amdhsa_exception_fp_ieee_div_zero 0
		.amdhsa_exception_fp_ieee_overflow 0
		.amdhsa_exception_fp_ieee_underflow 0
		.amdhsa_exception_fp_ieee_inexact 0
		.amdhsa_exception_int_div_zero 0
	.end_amdhsa_kernel
	.section	.text._ZN7rocprim17ROCPRIM_400000_NS6detail17trampoline_kernelINS0_14default_configENS1_37merge_sort_block_sort_config_selectorIlNS0_10empty_typeEEEZNS1_21merge_sort_block_sortIS3_PlS8_PS5_S9_ZN2at6native12_GLOBAL__N_124unique_dim_cuda_templateIjEESt5tupleIJNSA_6TensorESF_SF_EERKSF_lbbbEUlllE_EE10hipError_tT0_T1_T2_T3_mRjT4_P12ihipStream_tbNS1_7vsmem_tEEUlT_E_NS1_11comp_targetILNS1_3genE10ELNS1_11target_archE1201ELNS1_3gpuE5ELNS1_3repE0EEENS1_30default_config_static_selectorELNS0_4arch9wavefront6targetE0EEEvSM_,"axG",@progbits,_ZN7rocprim17ROCPRIM_400000_NS6detail17trampoline_kernelINS0_14default_configENS1_37merge_sort_block_sort_config_selectorIlNS0_10empty_typeEEEZNS1_21merge_sort_block_sortIS3_PlS8_PS5_S9_ZN2at6native12_GLOBAL__N_124unique_dim_cuda_templateIjEESt5tupleIJNSA_6TensorESF_SF_EERKSF_lbbbEUlllE_EE10hipError_tT0_T1_T2_T3_mRjT4_P12ihipStream_tbNS1_7vsmem_tEEUlT_E_NS1_11comp_targetILNS1_3genE10ELNS1_11target_archE1201ELNS1_3gpuE5ELNS1_3repE0EEENS1_30default_config_static_selectorELNS0_4arch9wavefront6targetE0EEEvSM_,comdat
.Lfunc_end1486:
	.size	_ZN7rocprim17ROCPRIM_400000_NS6detail17trampoline_kernelINS0_14default_configENS1_37merge_sort_block_sort_config_selectorIlNS0_10empty_typeEEEZNS1_21merge_sort_block_sortIS3_PlS8_PS5_S9_ZN2at6native12_GLOBAL__N_124unique_dim_cuda_templateIjEESt5tupleIJNSA_6TensorESF_SF_EERKSF_lbbbEUlllE_EE10hipError_tT0_T1_T2_T3_mRjT4_P12ihipStream_tbNS1_7vsmem_tEEUlT_E_NS1_11comp_targetILNS1_3genE10ELNS1_11target_archE1201ELNS1_3gpuE5ELNS1_3repE0EEENS1_30default_config_static_selectorELNS0_4arch9wavefront6targetE0EEEvSM_, .Lfunc_end1486-_ZN7rocprim17ROCPRIM_400000_NS6detail17trampoline_kernelINS0_14default_configENS1_37merge_sort_block_sort_config_selectorIlNS0_10empty_typeEEEZNS1_21merge_sort_block_sortIS3_PlS8_PS5_S9_ZN2at6native12_GLOBAL__N_124unique_dim_cuda_templateIjEESt5tupleIJNSA_6TensorESF_SF_EERKSF_lbbbEUlllE_EE10hipError_tT0_T1_T2_T3_mRjT4_P12ihipStream_tbNS1_7vsmem_tEEUlT_E_NS1_11comp_targetILNS1_3genE10ELNS1_11target_archE1201ELNS1_3gpuE5ELNS1_3repE0EEENS1_30default_config_static_selectorELNS0_4arch9wavefront6targetE0EEEvSM_
                                        ; -- End function
	.section	.AMDGPU.csdata,"",@progbits
; Kernel info:
; codeLenInByte = 0
; NumSgprs: 0
; NumVgprs: 0
; ScratchSize: 0
; MemoryBound: 0
; FloatMode: 240
; IeeeMode: 1
; LDSByteSize: 0 bytes/workgroup (compile time only)
; SGPRBlocks: 0
; VGPRBlocks: 0
; NumSGPRsForWavesPerEU: 1
; NumVGPRsForWavesPerEU: 1
; Occupancy: 16
; WaveLimiterHint : 0
; COMPUTE_PGM_RSRC2:SCRATCH_EN: 0
; COMPUTE_PGM_RSRC2:USER_SGPR: 15
; COMPUTE_PGM_RSRC2:TRAP_HANDLER: 0
; COMPUTE_PGM_RSRC2:TGID_X_EN: 1
; COMPUTE_PGM_RSRC2:TGID_Y_EN: 0
; COMPUTE_PGM_RSRC2:TGID_Z_EN: 0
; COMPUTE_PGM_RSRC2:TIDIG_COMP_CNT: 0
	.section	.text._ZN7rocprim17ROCPRIM_400000_NS6detail17trampoline_kernelINS0_14default_configENS1_37merge_sort_block_sort_config_selectorIlNS0_10empty_typeEEEZNS1_21merge_sort_block_sortIS3_PlS8_PS5_S9_ZN2at6native12_GLOBAL__N_124unique_dim_cuda_templateIjEESt5tupleIJNSA_6TensorESF_SF_EERKSF_lbbbEUlllE_EE10hipError_tT0_T1_T2_T3_mRjT4_P12ihipStream_tbNS1_7vsmem_tEEUlT_E_NS1_11comp_targetILNS1_3genE10ELNS1_11target_archE1200ELNS1_3gpuE4ELNS1_3repE0EEENS1_30default_config_static_selectorELNS0_4arch9wavefront6targetE0EEEvSM_,"axG",@progbits,_ZN7rocprim17ROCPRIM_400000_NS6detail17trampoline_kernelINS0_14default_configENS1_37merge_sort_block_sort_config_selectorIlNS0_10empty_typeEEEZNS1_21merge_sort_block_sortIS3_PlS8_PS5_S9_ZN2at6native12_GLOBAL__N_124unique_dim_cuda_templateIjEESt5tupleIJNSA_6TensorESF_SF_EERKSF_lbbbEUlllE_EE10hipError_tT0_T1_T2_T3_mRjT4_P12ihipStream_tbNS1_7vsmem_tEEUlT_E_NS1_11comp_targetILNS1_3genE10ELNS1_11target_archE1200ELNS1_3gpuE4ELNS1_3repE0EEENS1_30default_config_static_selectorELNS0_4arch9wavefront6targetE0EEEvSM_,comdat
	.globl	_ZN7rocprim17ROCPRIM_400000_NS6detail17trampoline_kernelINS0_14default_configENS1_37merge_sort_block_sort_config_selectorIlNS0_10empty_typeEEEZNS1_21merge_sort_block_sortIS3_PlS8_PS5_S9_ZN2at6native12_GLOBAL__N_124unique_dim_cuda_templateIjEESt5tupleIJNSA_6TensorESF_SF_EERKSF_lbbbEUlllE_EE10hipError_tT0_T1_T2_T3_mRjT4_P12ihipStream_tbNS1_7vsmem_tEEUlT_E_NS1_11comp_targetILNS1_3genE10ELNS1_11target_archE1200ELNS1_3gpuE4ELNS1_3repE0EEENS1_30default_config_static_selectorELNS0_4arch9wavefront6targetE0EEEvSM_ ; -- Begin function _ZN7rocprim17ROCPRIM_400000_NS6detail17trampoline_kernelINS0_14default_configENS1_37merge_sort_block_sort_config_selectorIlNS0_10empty_typeEEEZNS1_21merge_sort_block_sortIS3_PlS8_PS5_S9_ZN2at6native12_GLOBAL__N_124unique_dim_cuda_templateIjEESt5tupleIJNSA_6TensorESF_SF_EERKSF_lbbbEUlllE_EE10hipError_tT0_T1_T2_T3_mRjT4_P12ihipStream_tbNS1_7vsmem_tEEUlT_E_NS1_11comp_targetILNS1_3genE10ELNS1_11target_archE1200ELNS1_3gpuE4ELNS1_3repE0EEENS1_30default_config_static_selectorELNS0_4arch9wavefront6targetE0EEEvSM_
	.p2align	8
	.type	_ZN7rocprim17ROCPRIM_400000_NS6detail17trampoline_kernelINS0_14default_configENS1_37merge_sort_block_sort_config_selectorIlNS0_10empty_typeEEEZNS1_21merge_sort_block_sortIS3_PlS8_PS5_S9_ZN2at6native12_GLOBAL__N_124unique_dim_cuda_templateIjEESt5tupleIJNSA_6TensorESF_SF_EERKSF_lbbbEUlllE_EE10hipError_tT0_T1_T2_T3_mRjT4_P12ihipStream_tbNS1_7vsmem_tEEUlT_E_NS1_11comp_targetILNS1_3genE10ELNS1_11target_archE1200ELNS1_3gpuE4ELNS1_3repE0EEENS1_30default_config_static_selectorELNS0_4arch9wavefront6targetE0EEEvSM_,@function
_ZN7rocprim17ROCPRIM_400000_NS6detail17trampoline_kernelINS0_14default_configENS1_37merge_sort_block_sort_config_selectorIlNS0_10empty_typeEEEZNS1_21merge_sort_block_sortIS3_PlS8_PS5_S9_ZN2at6native12_GLOBAL__N_124unique_dim_cuda_templateIjEESt5tupleIJNSA_6TensorESF_SF_EERKSF_lbbbEUlllE_EE10hipError_tT0_T1_T2_T3_mRjT4_P12ihipStream_tbNS1_7vsmem_tEEUlT_E_NS1_11comp_targetILNS1_3genE10ELNS1_11target_archE1200ELNS1_3gpuE4ELNS1_3repE0EEENS1_30default_config_static_selectorELNS0_4arch9wavefront6targetE0EEEvSM_: ; @_ZN7rocprim17ROCPRIM_400000_NS6detail17trampoline_kernelINS0_14default_configENS1_37merge_sort_block_sort_config_selectorIlNS0_10empty_typeEEEZNS1_21merge_sort_block_sortIS3_PlS8_PS5_S9_ZN2at6native12_GLOBAL__N_124unique_dim_cuda_templateIjEESt5tupleIJNSA_6TensorESF_SF_EERKSF_lbbbEUlllE_EE10hipError_tT0_T1_T2_T3_mRjT4_P12ihipStream_tbNS1_7vsmem_tEEUlT_E_NS1_11comp_targetILNS1_3genE10ELNS1_11target_archE1200ELNS1_3gpuE4ELNS1_3repE0EEENS1_30default_config_static_selectorELNS0_4arch9wavefront6targetE0EEEvSM_
; %bb.0:
	.section	.rodata,"a",@progbits
	.p2align	6, 0x0
	.amdhsa_kernel _ZN7rocprim17ROCPRIM_400000_NS6detail17trampoline_kernelINS0_14default_configENS1_37merge_sort_block_sort_config_selectorIlNS0_10empty_typeEEEZNS1_21merge_sort_block_sortIS3_PlS8_PS5_S9_ZN2at6native12_GLOBAL__N_124unique_dim_cuda_templateIjEESt5tupleIJNSA_6TensorESF_SF_EERKSF_lbbbEUlllE_EE10hipError_tT0_T1_T2_T3_mRjT4_P12ihipStream_tbNS1_7vsmem_tEEUlT_E_NS1_11comp_targetILNS1_3genE10ELNS1_11target_archE1200ELNS1_3gpuE4ELNS1_3repE0EEENS1_30default_config_static_selectorELNS0_4arch9wavefront6targetE0EEEvSM_
		.amdhsa_group_segment_fixed_size 0
		.amdhsa_private_segment_fixed_size 0
		.amdhsa_kernarg_size 72
		.amdhsa_user_sgpr_count 15
		.amdhsa_user_sgpr_dispatch_ptr 0
		.amdhsa_user_sgpr_queue_ptr 0
		.amdhsa_user_sgpr_kernarg_segment_ptr 1
		.amdhsa_user_sgpr_dispatch_id 0
		.amdhsa_user_sgpr_private_segment_size 0
		.amdhsa_wavefront_size32 1
		.amdhsa_uses_dynamic_stack 0
		.amdhsa_enable_private_segment 0
		.amdhsa_system_sgpr_workgroup_id_x 1
		.amdhsa_system_sgpr_workgroup_id_y 0
		.amdhsa_system_sgpr_workgroup_id_z 0
		.amdhsa_system_sgpr_workgroup_info 0
		.amdhsa_system_vgpr_workitem_id 0
		.amdhsa_next_free_vgpr 1
		.amdhsa_next_free_sgpr 1
		.amdhsa_reserve_vcc 0
		.amdhsa_float_round_mode_32 0
		.amdhsa_float_round_mode_16_64 0
		.amdhsa_float_denorm_mode_32 3
		.amdhsa_float_denorm_mode_16_64 3
		.amdhsa_dx10_clamp 1
		.amdhsa_ieee_mode 1
		.amdhsa_fp16_overflow 0
		.amdhsa_workgroup_processor_mode 1
		.amdhsa_memory_ordered 1
		.amdhsa_forward_progress 0
		.amdhsa_shared_vgpr_count 0
		.amdhsa_exception_fp_ieee_invalid_op 0
		.amdhsa_exception_fp_denorm_src 0
		.amdhsa_exception_fp_ieee_div_zero 0
		.amdhsa_exception_fp_ieee_overflow 0
		.amdhsa_exception_fp_ieee_underflow 0
		.amdhsa_exception_fp_ieee_inexact 0
		.amdhsa_exception_int_div_zero 0
	.end_amdhsa_kernel
	.section	.text._ZN7rocprim17ROCPRIM_400000_NS6detail17trampoline_kernelINS0_14default_configENS1_37merge_sort_block_sort_config_selectorIlNS0_10empty_typeEEEZNS1_21merge_sort_block_sortIS3_PlS8_PS5_S9_ZN2at6native12_GLOBAL__N_124unique_dim_cuda_templateIjEESt5tupleIJNSA_6TensorESF_SF_EERKSF_lbbbEUlllE_EE10hipError_tT0_T1_T2_T3_mRjT4_P12ihipStream_tbNS1_7vsmem_tEEUlT_E_NS1_11comp_targetILNS1_3genE10ELNS1_11target_archE1200ELNS1_3gpuE4ELNS1_3repE0EEENS1_30default_config_static_selectorELNS0_4arch9wavefront6targetE0EEEvSM_,"axG",@progbits,_ZN7rocprim17ROCPRIM_400000_NS6detail17trampoline_kernelINS0_14default_configENS1_37merge_sort_block_sort_config_selectorIlNS0_10empty_typeEEEZNS1_21merge_sort_block_sortIS3_PlS8_PS5_S9_ZN2at6native12_GLOBAL__N_124unique_dim_cuda_templateIjEESt5tupleIJNSA_6TensorESF_SF_EERKSF_lbbbEUlllE_EE10hipError_tT0_T1_T2_T3_mRjT4_P12ihipStream_tbNS1_7vsmem_tEEUlT_E_NS1_11comp_targetILNS1_3genE10ELNS1_11target_archE1200ELNS1_3gpuE4ELNS1_3repE0EEENS1_30default_config_static_selectorELNS0_4arch9wavefront6targetE0EEEvSM_,comdat
.Lfunc_end1487:
	.size	_ZN7rocprim17ROCPRIM_400000_NS6detail17trampoline_kernelINS0_14default_configENS1_37merge_sort_block_sort_config_selectorIlNS0_10empty_typeEEEZNS1_21merge_sort_block_sortIS3_PlS8_PS5_S9_ZN2at6native12_GLOBAL__N_124unique_dim_cuda_templateIjEESt5tupleIJNSA_6TensorESF_SF_EERKSF_lbbbEUlllE_EE10hipError_tT0_T1_T2_T3_mRjT4_P12ihipStream_tbNS1_7vsmem_tEEUlT_E_NS1_11comp_targetILNS1_3genE10ELNS1_11target_archE1200ELNS1_3gpuE4ELNS1_3repE0EEENS1_30default_config_static_selectorELNS0_4arch9wavefront6targetE0EEEvSM_, .Lfunc_end1487-_ZN7rocprim17ROCPRIM_400000_NS6detail17trampoline_kernelINS0_14default_configENS1_37merge_sort_block_sort_config_selectorIlNS0_10empty_typeEEEZNS1_21merge_sort_block_sortIS3_PlS8_PS5_S9_ZN2at6native12_GLOBAL__N_124unique_dim_cuda_templateIjEESt5tupleIJNSA_6TensorESF_SF_EERKSF_lbbbEUlllE_EE10hipError_tT0_T1_T2_T3_mRjT4_P12ihipStream_tbNS1_7vsmem_tEEUlT_E_NS1_11comp_targetILNS1_3genE10ELNS1_11target_archE1200ELNS1_3gpuE4ELNS1_3repE0EEENS1_30default_config_static_selectorELNS0_4arch9wavefront6targetE0EEEvSM_
                                        ; -- End function
	.section	.AMDGPU.csdata,"",@progbits
; Kernel info:
; codeLenInByte = 0
; NumSgprs: 0
; NumVgprs: 0
; ScratchSize: 0
; MemoryBound: 0
; FloatMode: 240
; IeeeMode: 1
; LDSByteSize: 0 bytes/workgroup (compile time only)
; SGPRBlocks: 0
; VGPRBlocks: 0
; NumSGPRsForWavesPerEU: 1
; NumVGPRsForWavesPerEU: 1
; Occupancy: 16
; WaveLimiterHint : 0
; COMPUTE_PGM_RSRC2:SCRATCH_EN: 0
; COMPUTE_PGM_RSRC2:USER_SGPR: 15
; COMPUTE_PGM_RSRC2:TRAP_HANDLER: 0
; COMPUTE_PGM_RSRC2:TGID_X_EN: 1
; COMPUTE_PGM_RSRC2:TGID_Y_EN: 0
; COMPUTE_PGM_RSRC2:TGID_Z_EN: 0
; COMPUTE_PGM_RSRC2:TIDIG_COMP_CNT: 0
	.section	.text._ZN7rocprim17ROCPRIM_400000_NS6detail17trampoline_kernelINS0_14default_configENS1_37merge_sort_block_sort_config_selectorIlNS0_10empty_typeEEEZNS1_21merge_sort_block_sortIS3_PlS8_PS5_S9_ZN2at6native12_GLOBAL__N_124unique_dim_cuda_templateIjEESt5tupleIJNSA_6TensorESF_SF_EERKSF_lbbbEUlllE_EE10hipError_tT0_T1_T2_T3_mRjT4_P12ihipStream_tbNS1_7vsmem_tEEUlT_E_NS1_11comp_targetILNS1_3genE9ELNS1_11target_archE1100ELNS1_3gpuE3ELNS1_3repE0EEENS1_30default_config_static_selectorELNS0_4arch9wavefront6targetE0EEEvSM_,"axG",@progbits,_ZN7rocprim17ROCPRIM_400000_NS6detail17trampoline_kernelINS0_14default_configENS1_37merge_sort_block_sort_config_selectorIlNS0_10empty_typeEEEZNS1_21merge_sort_block_sortIS3_PlS8_PS5_S9_ZN2at6native12_GLOBAL__N_124unique_dim_cuda_templateIjEESt5tupleIJNSA_6TensorESF_SF_EERKSF_lbbbEUlllE_EE10hipError_tT0_T1_T2_T3_mRjT4_P12ihipStream_tbNS1_7vsmem_tEEUlT_E_NS1_11comp_targetILNS1_3genE9ELNS1_11target_archE1100ELNS1_3gpuE3ELNS1_3repE0EEENS1_30default_config_static_selectorELNS0_4arch9wavefront6targetE0EEEvSM_,comdat
	.globl	_ZN7rocprim17ROCPRIM_400000_NS6detail17trampoline_kernelINS0_14default_configENS1_37merge_sort_block_sort_config_selectorIlNS0_10empty_typeEEEZNS1_21merge_sort_block_sortIS3_PlS8_PS5_S9_ZN2at6native12_GLOBAL__N_124unique_dim_cuda_templateIjEESt5tupleIJNSA_6TensorESF_SF_EERKSF_lbbbEUlllE_EE10hipError_tT0_T1_T2_T3_mRjT4_P12ihipStream_tbNS1_7vsmem_tEEUlT_E_NS1_11comp_targetILNS1_3genE9ELNS1_11target_archE1100ELNS1_3gpuE3ELNS1_3repE0EEENS1_30default_config_static_selectorELNS0_4arch9wavefront6targetE0EEEvSM_ ; -- Begin function _ZN7rocprim17ROCPRIM_400000_NS6detail17trampoline_kernelINS0_14default_configENS1_37merge_sort_block_sort_config_selectorIlNS0_10empty_typeEEEZNS1_21merge_sort_block_sortIS3_PlS8_PS5_S9_ZN2at6native12_GLOBAL__N_124unique_dim_cuda_templateIjEESt5tupleIJNSA_6TensorESF_SF_EERKSF_lbbbEUlllE_EE10hipError_tT0_T1_T2_T3_mRjT4_P12ihipStream_tbNS1_7vsmem_tEEUlT_E_NS1_11comp_targetILNS1_3genE9ELNS1_11target_archE1100ELNS1_3gpuE3ELNS1_3repE0EEENS1_30default_config_static_selectorELNS0_4arch9wavefront6targetE0EEEvSM_
	.p2align	8
	.type	_ZN7rocprim17ROCPRIM_400000_NS6detail17trampoline_kernelINS0_14default_configENS1_37merge_sort_block_sort_config_selectorIlNS0_10empty_typeEEEZNS1_21merge_sort_block_sortIS3_PlS8_PS5_S9_ZN2at6native12_GLOBAL__N_124unique_dim_cuda_templateIjEESt5tupleIJNSA_6TensorESF_SF_EERKSF_lbbbEUlllE_EE10hipError_tT0_T1_T2_T3_mRjT4_P12ihipStream_tbNS1_7vsmem_tEEUlT_E_NS1_11comp_targetILNS1_3genE9ELNS1_11target_archE1100ELNS1_3gpuE3ELNS1_3repE0EEENS1_30default_config_static_selectorELNS0_4arch9wavefront6targetE0EEEvSM_,@function
_ZN7rocprim17ROCPRIM_400000_NS6detail17trampoline_kernelINS0_14default_configENS1_37merge_sort_block_sort_config_selectorIlNS0_10empty_typeEEEZNS1_21merge_sort_block_sortIS3_PlS8_PS5_S9_ZN2at6native12_GLOBAL__N_124unique_dim_cuda_templateIjEESt5tupleIJNSA_6TensorESF_SF_EERKSF_lbbbEUlllE_EE10hipError_tT0_T1_T2_T3_mRjT4_P12ihipStream_tbNS1_7vsmem_tEEUlT_E_NS1_11comp_targetILNS1_3genE9ELNS1_11target_archE1100ELNS1_3gpuE3ELNS1_3repE0EEENS1_30default_config_static_selectorELNS0_4arch9wavefront6targetE0EEEvSM_: ; @_ZN7rocprim17ROCPRIM_400000_NS6detail17trampoline_kernelINS0_14default_configENS1_37merge_sort_block_sort_config_selectorIlNS0_10empty_typeEEEZNS1_21merge_sort_block_sortIS3_PlS8_PS5_S9_ZN2at6native12_GLOBAL__N_124unique_dim_cuda_templateIjEESt5tupleIJNSA_6TensorESF_SF_EERKSF_lbbbEUlllE_EE10hipError_tT0_T1_T2_T3_mRjT4_P12ihipStream_tbNS1_7vsmem_tEEUlT_E_NS1_11comp_targetILNS1_3genE9ELNS1_11target_archE1100ELNS1_3gpuE3ELNS1_3repE0EEENS1_30default_config_static_selectorELNS0_4arch9wavefront6targetE0EEEvSM_
; %bb.0:
	s_clause 0x1
	s_load_b64 s[6:7], s[0:1], 0x48
	s_load_b32 s3, s[0:1], 0x0
	s_add_u32 s4, s0, 0x48
	s_addc_u32 s5, s1, 0
	s_waitcnt lgkmcnt(0)
	s_mul_i32 s2, s7, s15
	s_delay_alu instid0(SALU_CYCLE_1) | instskip(NEXT) | instid1(SALU_CYCLE_1)
	s_add_i32 s2, s2, s14
	s_mul_i32 s2, s2, s6
	s_delay_alu instid0(SALU_CYCLE_1) | instskip(NEXT) | instid1(SALU_CYCLE_1)
	s_add_i32 s2, s2, s13
	s_cmp_ge_u32 s2, s3
	s_cbranch_scc1 .LBB1488_878
; %bb.1:
	s_clause 0x2
	s_load_b64 s[18:19], s[0:1], 0x8
	s_load_b128 s[8:11], s[0:1], 0x38
	s_load_b128 s[20:23], s[0:1], 0x18
	v_and_b32_e32 v12, 0x3ff, v0
	s_mov_b32 s3, 0
	v_bfe_u32 v28, v0, 10, 10
	s_lshl_b64 s[0:1], s[2:3], 13
	v_bfe_u32 v29, v0, 20, 10
	v_lshlrev_b32_e32 v26, 3, v12
	v_lshrrev_b32_e32 v31, 2, v12
	v_add_nc_u32_e32 v34, 0x100, v12
	v_add_nc_u32_e32 v33, 0x200, v12
	;; [unrolled: 1-line block ×3, first 2 shown]
	v_lshlrev_b32_e32 v27, 2, v12
	v_lshrrev_b32_e32 v30, 3, v12
	s_waitcnt lgkmcnt(0)
	s_lshr_b64 s[24:25], s[18:19], 10
	v_cmp_gt_i64_e64 s7, s[8:9], 0
	s_add_u32 s16, s20, s0
	s_addc_u32 s17, s21, s1
	s_add_u32 s14, s22, s0
	s_addc_u32 s15, s23, s1
	s_cmp_lg_u64 s[24:25], s[2:3]
	s_cbranch_scc0 .LBB1488_8
; %bb.2:
	v_add_co_u32 v0, s0, s16, v26
	s_delay_alu instid0(VALU_DEP_1) | instskip(SKIP_1) | instid1(VALU_DEP_3)
	v_add_co_ci_u32_e64 v1, null, s17, 0, s0
	v_lshrrev_b32_e32 v8, 2, v34
	v_add_co_u32 v0, vcc_lo, 0x1000, v0
	s_delay_alu instid0(VALU_DEP_3)
	v_add_co_ci_u32_e32 v1, vcc_lo, 0, v1, vcc_lo
	v_lshrrev_b32_e32 v9, 2, v33
	s_clause 0x3
	global_load_b64 v[2:3], v26, s[16:17]
	global_load_b64 v[4:5], v26, s[16:17] offset:2048
	global_load_b64 v[6:7], v[0:1], off
	global_load_b64 v[0:1], v[0:1], off offset:2048
	v_lshrrev_b32_e32 v10, 2, v32
	v_and_b32_e32 v11, 0xf8, v31
	v_dual_mov_b32 v13, 0 :: v_dual_and_b32 v8, 0x1f8, v8
	v_and_b32_e32 v9, 0x1f8, v9
	s_delay_alu instid0(VALU_DEP_4) | instskip(NEXT) | instid1(VALU_DEP_4)
	v_and_b32_e32 v10, 0x1f8, v10
	v_add_nc_u32_e32 v35, v11, v26
	v_add_lshl_u32 v39, v30, v27, 3
	v_add_nc_u32_e32 v38, v8, v26
	v_add_nc_u32_e32 v36, v9, v26
	;; [unrolled: 1-line block ×3, first 2 shown]
	s_waitcnt vmcnt(3)
	ds_store_b64 v35, v[2:3]
	s_waitcnt vmcnt(2)
	ds_store_b64 v38, v[4:5] offset:2048
	s_waitcnt vmcnt(1)
	ds_store_b64 v36, v[6:7] offset:4096
	;; [unrolled: 2-line block ×3, first 2 shown]
	s_waitcnt lgkmcnt(0)
	s_barrier
	buffer_gl0_inv
	ds_load_2addr_b64 v[8:11], v39 offset1:1
	ds_load_2addr_b64 v[4:7], v39 offset0:2 offset1:3
	s_waitcnt lgkmcnt(0)
	s_barrier
	buffer_gl0_inv
	s_load_b32 s0, s[4:5], 0xc
	v_dual_mov_b32 v3, v11 :: v_dual_mov_b32 v2, v10
	s_waitcnt lgkmcnt(0)
	s_lshr_b32 s12, s0, 16
	s_cmp_lt_u32 s13, s6
	v_mad_u32_u24 v1, v29, s12, v28
	s_cselect_b32 s0, 12, 18
	s_mov_b32 s12, exec_lo
	s_add_u32 s0, s4, s0
	s_addc_u32 s1, s5, 0
	global_load_u16 v0, v13, s[0:1]
	s_waitcnt vmcnt(0)
	v_mul_lo_u32 v0, v1, v0
	v_mov_b32_e32 v1, v9
	s_delay_alu instid0(VALU_DEP_2) | instskip(SKIP_1) | instid1(VALU_DEP_2)
	v_add_lshl_u32 v40, v0, v12, 2
	v_mov_b32_e32 v0, v8
	v_cmpx_gt_u32_e32 0x400, v40
	s_cbranch_execz .LBB1488_62
; %bb.3:
	s_and_not1_b32 vcc_lo, exec_lo, s7
	s_cbranch_vccnz .LBB1488_14
; %bb.4:
	v_mul_lo_u32 v18, v11, s8
	v_mul_lo_u32 v19, v10, s9
	v_mad_u64_u32 v[14:15], null, v10, s8, 0
	v_mul_lo_u32 v20, v9, s8
	v_mul_lo_u32 v21, v8, s9
	v_mad_u64_u32 v[16:17], null, v8, s8, 0
	s_mov_b32 s22, 0
	s_mov_b64 s[20:21], s[8:9]
	s_delay_alu instid0(VALU_DEP_4) | instskip(NEXT) | instid1(VALU_DEP_2)
	v_add3_u32 v15, v15, v19, v18
                                        ; implicit-def: $sgpr19
                                        ; implicit-def: $sgpr23
                                        ; implicit-def: $sgpr25
                                        ; implicit-def: $sgpr24
                                        ; implicit-def: $sgpr26
                                        ; implicit-def: $sgpr27
	v_add3_u32 v17, v17, v21, v20
	s_delay_alu instid0(VALU_DEP_2) | instskip(NEXT) | instid1(VALU_DEP_2)
	v_lshlrev_b64 v[14:15], 2, v[14:15]
	v_lshlrev_b64 v[16:17], 2, v[16:17]
	s_delay_alu instid0(VALU_DEP_2) | instskip(NEXT) | instid1(VALU_DEP_3)
	v_add_co_u32 v14, vcc_lo, s10, v14
	v_add_co_ci_u32_e32 v15, vcc_lo, s11, v15, vcc_lo
	s_delay_alu instid0(VALU_DEP_3) | instskip(NEXT) | instid1(VALU_DEP_4)
	v_add_co_u32 v16, vcc_lo, s10, v16
	v_add_co_ci_u32_e32 v17, vcc_lo, s11, v17, vcc_lo
	s_set_inst_prefetch_distance 0x1
	s_branch .LBB1488_6
	.p2align	6
.LBB1488_5:                             ;   in Loop: Header=BB1488_6 Depth=1
	s_or_b32 exec_lo, exec_lo, s28
	s_delay_alu instid0(SALU_CYCLE_1) | instskip(NEXT) | instid1(SALU_CYCLE_1)
	s_and_b32 s1, exec_lo, s25
	s_or_b32 s22, s1, s22
	s_and_not1_b32 s1, s27, exec_lo
	s_and_b32 s27, s26, exec_lo
	s_and_not1_b32 s23, s23, exec_lo
	s_or_b32 s27, s1, s27
	s_and_b32 s1, s24, exec_lo
	s_and_not1_b32 s19, s19, exec_lo
	s_and_b32 s0, s0, exec_lo
	s_or_b32 s23, s23, s1
	s_or_b32 s19, s19, s0
	s_and_not1_b32 exec_lo, exec_lo, s22
	s_cbranch_execz .LBB1488_9
.LBB1488_6:                             ; =>This Inner Loop Header: Depth=1
	global_load_b32 v18, v[14:15], off
	global_load_b32 v19, v[16:17], off
	s_and_not1_b32 s26, s26, exec_lo
	s_or_b32 s24, s24, exec_lo
	s_or_b32 s25, s25, exec_lo
	s_waitcnt vmcnt(0)
	v_cmp_le_u32_e32 vcc_lo, v18, v19
	v_cmp_lt_u32_e64 s0, v18, v19
	s_and_b32 s28, vcc_lo, s27
	s_delay_alu instid0(VALU_DEP_1) | instid1(SALU_CYCLE_1)
	s_or_b32 s0, s0, s28
	s_mov_b32 s28, exec_lo
	v_cmpx_eq_u32_e64 v18, v19
	s_cbranch_execz .LBB1488_5
; %bb.7:                                ;   in Loop: Header=BB1488_6 Depth=1
	s_add_u32 s20, s20, -1
	s_addc_u32 s21, s21, -1
	v_add_co_u32 v14, vcc_lo, v14, 4
	s_cmp_eq_u64 s[20:21], 0
	v_add_co_ci_u32_e32 v15, vcc_lo, 0, v15, vcc_lo
	v_add_co_u32 v16, vcc_lo, v16, 4
	s_cselect_b32 s1, -1, 0
	v_add_co_ci_u32_e32 v17, vcc_lo, 0, v17, vcc_lo
	s_and_not1_b32 s26, s26, exec_lo
	s_and_b32 s27, s0, exec_lo
	s_and_not1_b32 s25, s25, exec_lo
	s_and_b32 s1, s1, exec_lo
	s_or_b32 s26, s26, s27
	s_and_not1_b32 s24, s24, exec_lo
	s_or_b32 s25, s25, s1
                                        ; implicit-def: $sgpr27
	s_branch .LBB1488_5
.LBB1488_8:
	s_mov_b32 s19, s3
                                        ; implicit-def: $vgpr0_vgpr1
	s_cbranch_execnz .LBB1488_520
	s_branch .LBB1488_876
.LBB1488_9:
	s_set_inst_prefetch_distance 0x2
	s_or_b32 exec_lo, exec_lo, s22
	s_and_saveexec_b32 s0, s23
	s_delay_alu instid0(SALU_CYCLE_1)
	s_xor_b32 s0, exec_lo, s0
	s_cbranch_execz .LBB1488_13
; %bb.10:
	v_dual_mov_b32 v15, v11 :: v_dual_mov_b32 v14, v10
	s_and_saveexec_b32 s1, s19
; %bb.11:
	v_dual_mov_b32 v0, v10 :: v_dual_mov_b32 v1, v11
	v_dual_mov_b32 v2, v8 :: v_dual_mov_b32 v3, v9
	;; [unrolled: 1-line block ×4, first 2 shown]
; %bb.12:
	s_or_b32 exec_lo, exec_lo, s1
	s_delay_alu instid0(VALU_DEP_2)
	v_dual_mov_b32 v10, v14 :: v_dual_mov_b32 v11, v15
.LBB1488_13:
	s_or_b32 exec_lo, exec_lo, s0
.LBB1488_14:
	v_mul_lo_u32 v20, v5, s8
	v_mul_lo_u32 v21, v4, s9
	v_mad_u64_u32 v[18:19], null, v4, s8, 0
	v_dual_mov_b32 v16, v6 :: v_dual_mov_b32 v17, v7
	v_dual_mov_b32 v14, v4 :: v_dual_mov_b32 v15, v5
	s_and_not1_b32 vcc_lo, exec_lo, s7
	s_delay_alu instid0(VALU_DEP_3)
	v_add3_u32 v19, v19, v21, v20
	s_cbranch_vccnz .LBB1488_24
; %bb.15:
	v_mul_lo_u32 v22, v7, s8
	v_mul_lo_u32 v23, v6, s9
	v_mad_u64_u32 v[20:21], null, v6, s8, 0
	v_lshlrev_b64 v[24:25], 2, v[18:19]
	s_mov_b32 s22, 0
	s_mov_b64 s[20:21], s[8:9]
                                        ; implicit-def: $sgpr19
                                        ; implicit-def: $sgpr23
                                        ; implicit-def: $sgpr25
                                        ; implicit-def: $sgpr24
                                        ; implicit-def: $sgpr26
                                        ; implicit-def: $sgpr27
	s_delay_alu instid0(VALU_DEP_2) | instskip(NEXT) | instid1(VALU_DEP_1)
	v_add3_u32 v21, v21, v23, v22
	v_lshlrev_b64 v[22:23], 2, v[20:21]
	s_delay_alu instid0(VALU_DEP_1) | instskip(NEXT) | instid1(VALU_DEP_2)
	v_add_co_u32 v22, vcc_lo, s10, v22
	v_add_co_ci_u32_e32 v23, vcc_lo, s11, v23, vcc_lo
	v_add_co_u32 v24, vcc_lo, s10, v24
	v_add_co_ci_u32_e32 v25, vcc_lo, s11, v25, vcc_lo
	s_set_inst_prefetch_distance 0x1
	s_branch .LBB1488_17
	.p2align	6
.LBB1488_16:                            ;   in Loop: Header=BB1488_17 Depth=1
	s_or_b32 exec_lo, exec_lo, s28
	s_delay_alu instid0(SALU_CYCLE_1) | instskip(NEXT) | instid1(SALU_CYCLE_1)
	s_and_b32 s1, exec_lo, s25
	s_or_b32 s22, s1, s22
	s_and_not1_b32 s1, s27, exec_lo
	s_and_b32 s27, s26, exec_lo
	s_and_not1_b32 s23, s23, exec_lo
	s_or_b32 s27, s1, s27
	s_and_b32 s1, s24, exec_lo
	s_and_not1_b32 s19, s19, exec_lo
	s_and_b32 s0, s0, exec_lo
	s_or_b32 s23, s23, s1
	s_or_b32 s19, s19, s0
	s_and_not1_b32 exec_lo, exec_lo, s22
	s_cbranch_execz .LBB1488_19
.LBB1488_17:                            ; =>This Inner Loop Header: Depth=1
	global_load_b32 v41, v[22:23], off
	global_load_b32 v42, v[24:25], off
	s_and_not1_b32 s26, s26, exec_lo
	s_or_b32 s24, s24, exec_lo
	s_or_b32 s25, s25, exec_lo
	s_waitcnt vmcnt(0)
	v_cmp_le_u32_e32 vcc_lo, v41, v42
	v_cmp_lt_u32_e64 s0, v41, v42
	s_and_b32 s28, vcc_lo, s27
	s_delay_alu instid0(VALU_DEP_1) | instid1(SALU_CYCLE_1)
	s_or_b32 s0, s0, s28
	s_mov_b32 s28, exec_lo
	v_cmpx_eq_u32_e64 v41, v42
	s_cbranch_execz .LBB1488_16
; %bb.18:                               ;   in Loop: Header=BB1488_17 Depth=1
	s_add_u32 s20, s20, -1
	s_addc_u32 s21, s21, -1
	v_add_co_u32 v22, vcc_lo, v22, 4
	s_cmp_eq_u64 s[20:21], 0
	v_add_co_ci_u32_e32 v23, vcc_lo, 0, v23, vcc_lo
	v_add_co_u32 v24, vcc_lo, v24, 4
	s_cselect_b32 s1, -1, 0
	v_add_co_ci_u32_e32 v25, vcc_lo, 0, v25, vcc_lo
	s_and_not1_b32 s26, s26, exec_lo
	s_and_b32 s27, s0, exec_lo
	s_and_not1_b32 s25, s25, exec_lo
	s_and_b32 s1, s1, exec_lo
	s_or_b32 s26, s26, s27
	s_and_not1_b32 s24, s24, exec_lo
	s_or_b32 s25, s25, s1
                                        ; implicit-def: $sgpr27
	s_branch .LBB1488_16
.LBB1488_19:
	s_set_inst_prefetch_distance 0x2
	s_or_b32 exec_lo, exec_lo, s22
	s_and_saveexec_b32 s0, s23
	s_delay_alu instid0(SALU_CYCLE_1)
	s_xor_b32 s0, exec_lo, s0
	s_cbranch_execz .LBB1488_23
; %bb.20:
	s_and_saveexec_b32 s1, s19
	s_cbranch_execz .LBB1488_22
; %bb.21:
	v_dual_mov_b32 v41, v0 :: v_dual_mov_b32 v42, v1
	v_dual_mov_b32 v43, v2 :: v_dual_mov_b32 v44, v3
	;; [unrolled: 1-line block ×12, first 2 shown]
.LBB1488_22:
	s_or_b32 exec_lo, exec_lo, s1
.LBB1488_23:
	s_delay_alu instid0(SALU_CYCLE_1)
	s_or_b32 exec_lo, exec_lo, s0
.LBB1488_24:
	v_mul_lo_u32 v22, v11, s8
	v_mul_lo_u32 v23, v10, s9
	v_mad_u64_u32 v[20:21], null, v10, s8, 0
	s_and_not1_b32 vcc_lo, exec_lo, s7
	s_delay_alu instid0(VALU_DEP_1)
	v_add3_u32 v21, v21, v23, v22
	s_cbranch_vccnz .LBB1488_34
; %bb.25:
	v_lshlrev_b64 v[22:23], 2, v[18:19]
	s_delay_alu instid0(VALU_DEP_2) | instskip(SKIP_2) | instid1(VALU_DEP_2)
	v_lshlrev_b64 v[24:25], 2, v[20:21]
	s_mov_b32 s22, 0
	s_mov_b64 s[20:21], s[8:9]
                                        ; implicit-def: $sgpr19
                                        ; implicit-def: $sgpr23
                                        ; implicit-def: $sgpr25
                                        ; implicit-def: $sgpr24
                                        ; implicit-def: $sgpr26
                                        ; implicit-def: $sgpr27
	v_add_co_u32 v22, vcc_lo, s10, v22
	s_delay_alu instid0(VALU_DEP_3) | instskip(NEXT) | instid1(VALU_DEP_3)
	v_add_co_ci_u32_e32 v23, vcc_lo, s11, v23, vcc_lo
	v_add_co_u32 v24, vcc_lo, s10, v24
	v_add_co_ci_u32_e32 v25, vcc_lo, s11, v25, vcc_lo
	s_set_inst_prefetch_distance 0x1
	s_branch .LBB1488_27
	.p2align	6
.LBB1488_26:                            ;   in Loop: Header=BB1488_27 Depth=1
	s_or_b32 exec_lo, exec_lo, s28
	s_delay_alu instid0(SALU_CYCLE_1) | instskip(NEXT) | instid1(SALU_CYCLE_1)
	s_and_b32 s1, exec_lo, s25
	s_or_b32 s22, s1, s22
	s_and_not1_b32 s1, s27, exec_lo
	s_and_b32 s27, s26, exec_lo
	s_and_not1_b32 s23, s23, exec_lo
	s_or_b32 s27, s1, s27
	s_and_b32 s1, s24, exec_lo
	s_and_not1_b32 s19, s19, exec_lo
	s_and_b32 s0, s0, exec_lo
	s_or_b32 s23, s23, s1
	s_or_b32 s19, s19, s0
	s_and_not1_b32 exec_lo, exec_lo, s22
	s_cbranch_execz .LBB1488_29
.LBB1488_27:                            ; =>This Inner Loop Header: Depth=1
	global_load_b32 v41, v[22:23], off
	global_load_b32 v42, v[24:25], off
	s_and_not1_b32 s26, s26, exec_lo
	s_or_b32 s24, s24, exec_lo
	s_or_b32 s25, s25, exec_lo
	s_waitcnt vmcnt(0)
	v_cmp_le_u32_e32 vcc_lo, v41, v42
	v_cmp_lt_u32_e64 s0, v41, v42
	s_and_b32 s28, vcc_lo, s27
	s_delay_alu instid0(VALU_DEP_1) | instid1(SALU_CYCLE_1)
	s_or_b32 s0, s0, s28
	s_mov_b32 s28, exec_lo
	v_cmpx_eq_u32_e64 v41, v42
	s_cbranch_execz .LBB1488_26
; %bb.28:                               ;   in Loop: Header=BB1488_27 Depth=1
	s_add_u32 s20, s20, -1
	s_addc_u32 s21, s21, -1
	v_add_co_u32 v22, vcc_lo, v22, 4
	s_cmp_eq_u64 s[20:21], 0
	v_add_co_ci_u32_e32 v23, vcc_lo, 0, v23, vcc_lo
	v_add_co_u32 v24, vcc_lo, v24, 4
	s_cselect_b32 s1, -1, 0
	v_add_co_ci_u32_e32 v25, vcc_lo, 0, v25, vcc_lo
	s_and_not1_b32 s26, s26, exec_lo
	s_and_b32 s27, s0, exec_lo
	s_and_not1_b32 s25, s25, exec_lo
	s_and_b32 s1, s1, exec_lo
	s_or_b32 s26, s26, s27
	s_and_not1_b32 s24, s24, exec_lo
	s_or_b32 s25, s25, s1
                                        ; implicit-def: $sgpr27
	s_branch .LBB1488_26
.LBB1488_29:
	s_set_inst_prefetch_distance 0x2
	s_or_b32 exec_lo, exec_lo, s22
	s_and_saveexec_b32 s0, s23
	s_delay_alu instid0(SALU_CYCLE_1)
	s_xor_b32 s0, exec_lo, s0
	s_cbranch_execz .LBB1488_33
; %bb.30:
	v_dual_mov_b32 v23, v11 :: v_dual_mov_b32 v22, v10
	s_and_saveexec_b32 s1, s19
; %bb.31:
	v_dual_mov_b32 v2, v14 :: v_dual_mov_b32 v3, v15
	v_dual_mov_b32 v4, v10 :: v_dual_mov_b32 v5, v11
	v_dual_mov_b32 v23, v15 :: v_dual_mov_b32 v22, v14
	v_dual_mov_b32 v15, v11 :: v_dual_mov_b32 v14, v10
	v_dual_mov_b32 v21, v19 :: v_dual_mov_b32 v20, v18
; %bb.32:
	s_or_b32 exec_lo, exec_lo, s1
	s_delay_alu instid0(VALU_DEP_3)
	v_dual_mov_b32 v10, v22 :: v_dual_mov_b32 v11, v23
.LBB1488_33:
	s_or_b32 exec_lo, exec_lo, s0
.LBB1488_34:
	s_delay_alu instid0(SALU_CYCLE_1)
	s_and_not1_b32 vcc_lo, exec_lo, s7
	s_cbranch_vccnz .LBB1488_44
; %bb.35:
	v_mul_lo_u32 v22, v9, s8
	v_mul_lo_u32 v23, v8, s9
	v_mad_u64_u32 v[18:19], null, v8, s8, 0
	v_lshlrev_b64 v[20:21], 2, v[20:21]
	s_mov_b32 s22, 0
	s_mov_b64 s[20:21], s[8:9]
                                        ; implicit-def: $sgpr19
                                        ; implicit-def: $sgpr23
                                        ; implicit-def: $sgpr25
                                        ; implicit-def: $sgpr24
                                        ; implicit-def: $sgpr26
                                        ; implicit-def: $sgpr27
	s_delay_alu instid0(VALU_DEP_2) | instskip(NEXT) | instid1(VALU_DEP_1)
	v_add3_u32 v19, v19, v23, v22
	v_lshlrev_b64 v[22:23], 2, v[18:19]
	s_delay_alu instid0(VALU_DEP_3) | instskip(SKIP_1) | instid1(VALU_DEP_3)
	v_add_co_u32 v18, vcc_lo, s10, v20
	v_add_co_ci_u32_e32 v19, vcc_lo, s11, v21, vcc_lo
	v_add_co_u32 v20, vcc_lo, s10, v22
	s_delay_alu instid0(VALU_DEP_4)
	v_add_co_ci_u32_e32 v21, vcc_lo, s11, v23, vcc_lo
	s_set_inst_prefetch_distance 0x1
	s_branch .LBB1488_37
	.p2align	6
.LBB1488_36:                            ;   in Loop: Header=BB1488_37 Depth=1
	s_or_b32 exec_lo, exec_lo, s28
	s_delay_alu instid0(SALU_CYCLE_1) | instskip(NEXT) | instid1(SALU_CYCLE_1)
	s_and_b32 s1, exec_lo, s25
	s_or_b32 s22, s1, s22
	s_and_not1_b32 s1, s27, exec_lo
	s_and_b32 s27, s26, exec_lo
	s_and_not1_b32 s23, s23, exec_lo
	s_or_b32 s27, s1, s27
	s_and_b32 s1, s24, exec_lo
	s_and_not1_b32 s19, s19, exec_lo
	s_and_b32 s0, s0, exec_lo
	s_or_b32 s23, s23, s1
	s_or_b32 s19, s19, s0
	s_and_not1_b32 exec_lo, exec_lo, s22
	s_cbranch_execz .LBB1488_39
.LBB1488_37:                            ; =>This Inner Loop Header: Depth=1
	global_load_b32 v22, v[18:19], off
	global_load_b32 v23, v[20:21], off
	s_and_not1_b32 s26, s26, exec_lo
	s_or_b32 s24, s24, exec_lo
	s_or_b32 s25, s25, exec_lo
	s_waitcnt vmcnt(0)
	v_cmp_le_u32_e32 vcc_lo, v22, v23
	v_cmp_lt_u32_e64 s0, v22, v23
	s_and_b32 s28, vcc_lo, s27
	s_delay_alu instid0(VALU_DEP_1) | instid1(SALU_CYCLE_1)
	s_or_b32 s0, s0, s28
	s_mov_b32 s28, exec_lo
	v_cmpx_eq_u32_e64 v22, v23
	s_cbranch_execz .LBB1488_36
; %bb.38:                               ;   in Loop: Header=BB1488_37 Depth=1
	s_add_u32 s20, s20, -1
	s_addc_u32 s21, s21, -1
	v_add_co_u32 v18, vcc_lo, v18, 4
	s_cmp_eq_u64 s[20:21], 0
	v_add_co_ci_u32_e32 v19, vcc_lo, 0, v19, vcc_lo
	v_add_co_u32 v20, vcc_lo, v20, 4
	s_cselect_b32 s1, -1, 0
	v_add_co_ci_u32_e32 v21, vcc_lo, 0, v21, vcc_lo
	s_and_not1_b32 s26, s26, exec_lo
	s_and_b32 s27, s0, exec_lo
	s_and_not1_b32 s25, s25, exec_lo
	s_and_b32 s1, s1, exec_lo
	s_or_b32 s26, s26, s27
	s_and_not1_b32 s24, s24, exec_lo
	s_or_b32 s25, s25, s1
                                        ; implicit-def: $sgpr27
	s_branch .LBB1488_36
.LBB1488_39:
	s_set_inst_prefetch_distance 0x2
	s_or_b32 exec_lo, exec_lo, s22
	s_and_saveexec_b32 s0, s23
	s_delay_alu instid0(SALU_CYCLE_1)
	s_xor_b32 s0, exec_lo, s0
	s_cbranch_execz .LBB1488_43
; %bb.40:
	v_dual_mov_b32 v19, v11 :: v_dual_mov_b32 v18, v10
	s_and_saveexec_b32 s1, s19
; %bb.41:
	v_dual_mov_b32 v0, v10 :: v_dual_mov_b32 v1, v11
	v_dual_mov_b32 v2, v8 :: v_dual_mov_b32 v3, v9
	;; [unrolled: 1-line block ×4, first 2 shown]
; %bb.42:
	s_or_b32 exec_lo, exec_lo, s1
	s_delay_alu instid0(VALU_DEP_2)
	v_dual_mov_b32 v10, v18 :: v_dual_mov_b32 v11, v19
.LBB1488_43:
	s_or_b32 exec_lo, exec_lo, s0
.LBB1488_44:
	v_mul_lo_u32 v20, v15, s8
	v_mul_lo_u32 v21, v14, s9
	v_mad_u64_u32 v[18:19], null, v14, s8, 0
	s_and_not1_b32 vcc_lo, exec_lo, s7
	s_delay_alu instid0(VALU_DEP_1)
	v_add3_u32 v19, v19, v21, v20
	s_cbranch_vccnz .LBB1488_54
; %bb.45:
	v_mul_lo_u32 v22, v17, s8
	v_mul_lo_u32 v23, v16, s9
	v_mad_u64_u32 v[20:21], null, v16, s8, 0
	v_lshlrev_b64 v[24:25], 2, v[18:19]
	s_mov_b32 s22, 0
	s_mov_b64 s[20:21], s[8:9]
                                        ; implicit-def: $sgpr19
                                        ; implicit-def: $sgpr23
                                        ; implicit-def: $sgpr25
                                        ; implicit-def: $sgpr24
                                        ; implicit-def: $sgpr26
                                        ; implicit-def: $sgpr27
	s_delay_alu instid0(VALU_DEP_2) | instskip(NEXT) | instid1(VALU_DEP_1)
	v_add3_u32 v21, v21, v23, v22
	v_lshlrev_b64 v[22:23], 2, v[20:21]
	s_delay_alu instid0(VALU_DEP_1) | instskip(NEXT) | instid1(VALU_DEP_2)
	v_add_co_u32 v22, vcc_lo, s10, v22
	v_add_co_ci_u32_e32 v23, vcc_lo, s11, v23, vcc_lo
	v_add_co_u32 v24, vcc_lo, s10, v24
	v_add_co_ci_u32_e32 v25, vcc_lo, s11, v25, vcc_lo
	s_set_inst_prefetch_distance 0x1
	s_branch .LBB1488_47
	.p2align	6
.LBB1488_46:                            ;   in Loop: Header=BB1488_47 Depth=1
	s_or_b32 exec_lo, exec_lo, s28
	s_delay_alu instid0(SALU_CYCLE_1) | instskip(NEXT) | instid1(SALU_CYCLE_1)
	s_and_b32 s1, exec_lo, s25
	s_or_b32 s22, s1, s22
	s_and_not1_b32 s1, s27, exec_lo
	s_and_b32 s27, s26, exec_lo
	s_and_not1_b32 s23, s23, exec_lo
	s_or_b32 s27, s1, s27
	s_and_b32 s1, s24, exec_lo
	s_and_not1_b32 s19, s19, exec_lo
	s_and_b32 s0, s0, exec_lo
	s_or_b32 s23, s23, s1
	s_or_b32 s19, s19, s0
	s_and_not1_b32 exec_lo, exec_lo, s22
	s_cbranch_execz .LBB1488_49
.LBB1488_47:                            ; =>This Inner Loop Header: Depth=1
	global_load_b32 v41, v[22:23], off
	global_load_b32 v42, v[24:25], off
	s_and_not1_b32 s26, s26, exec_lo
	s_or_b32 s24, s24, exec_lo
	s_or_b32 s25, s25, exec_lo
	s_waitcnt vmcnt(0)
	v_cmp_le_u32_e32 vcc_lo, v41, v42
	v_cmp_lt_u32_e64 s0, v41, v42
	s_and_b32 s28, vcc_lo, s27
	s_delay_alu instid0(VALU_DEP_1) | instid1(SALU_CYCLE_1)
	s_or_b32 s0, s0, s28
	s_mov_b32 s28, exec_lo
	v_cmpx_eq_u32_e64 v41, v42
	s_cbranch_execz .LBB1488_46
; %bb.48:                               ;   in Loop: Header=BB1488_47 Depth=1
	s_add_u32 s20, s20, -1
	s_addc_u32 s21, s21, -1
	v_add_co_u32 v22, vcc_lo, v22, 4
	s_cmp_eq_u64 s[20:21], 0
	v_add_co_ci_u32_e32 v23, vcc_lo, 0, v23, vcc_lo
	v_add_co_u32 v24, vcc_lo, v24, 4
	s_cselect_b32 s1, -1, 0
	v_add_co_ci_u32_e32 v25, vcc_lo, 0, v25, vcc_lo
	s_and_not1_b32 s26, s26, exec_lo
	s_and_b32 s27, s0, exec_lo
	s_and_not1_b32 s25, s25, exec_lo
	s_and_b32 s1, s1, exec_lo
	s_or_b32 s26, s26, s27
	s_and_not1_b32 s24, s24, exec_lo
	s_or_b32 s25, s25, s1
                                        ; implicit-def: $sgpr27
	s_branch .LBB1488_46
.LBB1488_49:
	s_set_inst_prefetch_distance 0x2
	s_or_b32 exec_lo, exec_lo, s22
	s_and_saveexec_b32 s0, s23
	s_delay_alu instid0(SALU_CYCLE_1)
	s_xor_b32 s0, exec_lo, s0
	s_cbranch_execz .LBB1488_53
; %bb.50:
	s_and_saveexec_b32 s1, s19
; %bb.51:
	v_dual_mov_b32 v4, v16 :: v_dual_mov_b32 v5, v17
	v_dual_mov_b32 v6, v14 :: v_dual_mov_b32 v7, v15
	;; [unrolled: 1-line block ×4, first 2 shown]
; %bb.52:
	s_or_b32 exec_lo, exec_lo, s1
.LBB1488_53:
	s_delay_alu instid0(SALU_CYCLE_1)
	s_or_b32 exec_lo, exec_lo, s0
.LBB1488_54:
	s_delay_alu instid0(SALU_CYCLE_1)
	s_and_not1_b32 vcc_lo, exec_lo, s7
	s_cbranch_vccnz .LBB1488_62
; %bb.55:
	v_mul_lo_u32 v20, v11, s8
	v_mul_lo_u32 v21, v10, s9
	v_mad_u64_u32 v[16:17], null, v10, s8, 0
	v_lshlrev_b64 v[18:19], 2, v[18:19]
	s_mov_b32 s22, 0
	s_mov_b64 s[20:21], s[8:9]
                                        ; implicit-def: $sgpr19
                                        ; implicit-def: $sgpr23
                                        ; implicit-def: $sgpr25
                                        ; implicit-def: $sgpr24
                                        ; implicit-def: $sgpr26
                                        ; implicit-def: $sgpr27
	s_delay_alu instid0(VALU_DEP_2) | instskip(NEXT) | instid1(VALU_DEP_1)
	v_add3_u32 v17, v17, v21, v20
	v_lshlrev_b64 v[20:21], 2, v[16:17]
	s_delay_alu instid0(VALU_DEP_3) | instskip(SKIP_1) | instid1(VALU_DEP_3)
	v_add_co_u32 v16, vcc_lo, s10, v18
	v_add_co_ci_u32_e32 v17, vcc_lo, s11, v19, vcc_lo
	v_add_co_u32 v18, vcc_lo, s10, v20
	s_delay_alu instid0(VALU_DEP_4)
	v_add_co_ci_u32_e32 v19, vcc_lo, s11, v21, vcc_lo
	s_set_inst_prefetch_distance 0x1
	s_branch .LBB1488_57
	.p2align	6
.LBB1488_56:                            ;   in Loop: Header=BB1488_57 Depth=1
	s_or_b32 exec_lo, exec_lo, s28
	s_delay_alu instid0(SALU_CYCLE_1) | instskip(NEXT) | instid1(SALU_CYCLE_1)
	s_and_b32 s1, exec_lo, s25
	s_or_b32 s22, s1, s22
	s_and_not1_b32 s1, s27, exec_lo
	s_and_b32 s27, s26, exec_lo
	s_and_not1_b32 s23, s23, exec_lo
	s_or_b32 s27, s1, s27
	s_and_b32 s1, s24, exec_lo
	s_and_not1_b32 s19, s19, exec_lo
	s_and_b32 s0, s0, exec_lo
	s_or_b32 s23, s23, s1
	s_or_b32 s19, s19, s0
	s_and_not1_b32 exec_lo, exec_lo, s22
	s_cbranch_execz .LBB1488_59
.LBB1488_57:                            ; =>This Inner Loop Header: Depth=1
	global_load_b32 v20, v[16:17], off
	global_load_b32 v21, v[18:19], off
	s_and_not1_b32 s26, s26, exec_lo
	s_or_b32 s24, s24, exec_lo
	s_or_b32 s25, s25, exec_lo
	s_waitcnt vmcnt(0)
	v_cmp_le_u32_e32 vcc_lo, v20, v21
	v_cmp_lt_u32_e64 s0, v20, v21
	s_and_b32 s28, vcc_lo, s27
	s_delay_alu instid0(VALU_DEP_1) | instid1(SALU_CYCLE_1)
	s_or_b32 s0, s0, s28
	s_mov_b32 s28, exec_lo
	v_cmpx_eq_u32_e64 v20, v21
	s_cbranch_execz .LBB1488_56
; %bb.58:                               ;   in Loop: Header=BB1488_57 Depth=1
	s_add_u32 s20, s20, -1
	s_addc_u32 s21, s21, -1
	v_add_co_u32 v16, vcc_lo, v16, 4
	s_cmp_eq_u64 s[20:21], 0
	v_add_co_ci_u32_e32 v17, vcc_lo, 0, v17, vcc_lo
	v_add_co_u32 v18, vcc_lo, v18, 4
	s_cselect_b32 s1, -1, 0
	v_add_co_ci_u32_e32 v19, vcc_lo, 0, v19, vcc_lo
	s_and_not1_b32 s26, s26, exec_lo
	s_and_b32 s27, s0, exec_lo
	s_and_not1_b32 s25, s25, exec_lo
	s_and_b32 s1, s1, exec_lo
	s_or_b32 s26, s26, s27
	s_and_not1_b32 s24, s24, exec_lo
	s_or_b32 s25, s25, s1
                                        ; implicit-def: $sgpr27
	s_branch .LBB1488_56
.LBB1488_59:
	s_set_inst_prefetch_distance 0x2
	s_or_b32 exec_lo, exec_lo, s22
	s_and_saveexec_b32 s0, s23
	s_delay_alu instid0(SALU_CYCLE_1)
	s_xor_b32 s0, exec_lo, s0
; %bb.60:
	v_cndmask_b32_e64 v5, v5, v11, s19
	v_cndmask_b32_e64 v4, v4, v10, s19
	;; [unrolled: 1-line block ×4, first 2 shown]
; %bb.61:
	s_or_b32 exec_lo, exec_lo, s0
.LBB1488_62:
	s_delay_alu instid0(SALU_CYCLE_1) | instskip(SKIP_4) | instid1(VALU_DEP_2)
	s_or_b32 exec_lo, exec_lo, s12
	v_mbcnt_lo_u32_b32 v11, -1, 0
	v_and_b32_e32 v10, 0xffffff80, v40
	s_mov_b32 s1, 0
	s_mov_b32 s12, exec_lo
	v_lshlrev_b32_e32 v18, 2, v11
	s_delay_alu instid0(VALU_DEP_2) | instskip(SKIP_2) | instid1(VALU_DEP_4)
	v_sub_nc_u32_e64 v17, 0x400, v10 clamp
	v_lshlrev_b32_e32 v16, 3, v10
	v_mov_b32_e32 v10, v2
	v_or_b32_e32 v14, 4, v18
	v_and_b32_e32 v19, 4, v18
	v_and_b32_e32 v22, 0x78, v18
	s_delay_alu instid0(VALU_DEP_3) | instskip(NEXT) | instid1(VALU_DEP_3)
	v_min_u32_e32 v14, v17, v14
	v_min_u32_e32 v23, v17, v19
	v_lshl_or_b32 v19, v11, 5, v16
	v_mov_b32_e32 v11, v3
	ds_store_b128 v19, v[8:11]
	ds_store_b128 v19, v[4:7] offset:16
	v_add_nc_u32_e32 v15, 4, v14
	v_sub_nc_u32_e32 v21, v14, v22
	; wave barrier
	s_delay_alu instid0(VALU_DEP_2) | instskip(NEXT) | instid1(VALU_DEP_2)
	v_min_u32_e32 v15, v17, v15
	v_min_u32_e32 v24, v23, v21
	v_lshl_or_b32 v21, v22, 3, v16
	s_delay_alu instid0(VALU_DEP_3) | instskip(NEXT) | instid1(VALU_DEP_1)
	v_sub_nc_u32_e32 v20, v15, v14
	v_sub_nc_u32_e64 v20, v23, v20 clamp
	s_delay_alu instid0(VALU_DEP_1)
	v_cmpx_lt_u32_e64 v20, v24
	s_cbranch_execz .LBB1488_73
; %bb.63:
	v_lshlrev_b32_e32 v8, 3, v14
	v_lshlrev_b32_e32 v9, 3, v23
	s_lshl_b64 s[20:21], s[8:9], 2
	s_delay_alu instid0(VALU_DEP_1)
	v_add3_u32 v25, v16, v8, v9
	s_branch .LBB1488_66
.LBB1488_64:                            ;   in Loop: Header=BB1488_66 Depth=1
	s_set_inst_prefetch_distance 0x2
	s_or_b32 exec_lo, exec_lo, s19
.LBB1488_65:                            ;   in Loop: Header=BB1488_66 Depth=1
	s_delay_alu instid0(VALU_DEP_1) | instskip(SKIP_1) | instid1(VALU_DEP_2)
	v_add_nc_u32_e32 v8, 1, v40
	v_cndmask_b32_e64 v24, v24, v40, s24
	v_cndmask_b32_e64 v20, v8, v20, s24
	s_delay_alu instid0(VALU_DEP_1) | instskip(SKIP_1) | instid1(SALU_CYCLE_1)
	v_cmp_ge_u32_e32 vcc_lo, v20, v24
	s_or_b32 s1, vcc_lo, s1
	s_and_not1_b32 exec_lo, exec_lo, s1
	s_cbranch_execz .LBB1488_72
.LBB1488_66:                            ; =>This Loop Header: Depth=1
                                        ;     Child Loop BB1488_69 Depth 2
	v_add_nc_u32_e32 v8, v24, v20
	s_and_not1_b32 vcc_lo, exec_lo, s7
	s_delay_alu instid0(VALU_DEP_1)
	v_lshrrev_b32_e32 v40, 1, v8
	s_cbranch_vccnz .LBB1488_71
; %bb.67:                               ;   in Loop: Header=BB1488_66 Depth=1
	s_delay_alu instid0(VALU_DEP_1) | instskip(SKIP_3) | instid1(VALU_DEP_2)
	v_not_b32_e32 v8, v40
	v_lshl_add_u32 v9, v40, 3, v21
	s_mov_b32 s19, 0
	s_mov_b64 s[22:23], s[8:9]
                                        ; implicit-def: $sgpr24
                                        ; implicit-def: $sgpr25
                                        ; implicit-def: $sgpr26
                                        ; implicit-def: $sgpr27
                                        ; implicit-def: $sgpr28
	v_lshl_add_u32 v8, v8, 3, v25
	ds_load_b64 v[10:11], v8
	ds_load_b64 v[41:42], v9
	s_waitcnt lgkmcnt(1)
	v_mul_lo_u32 v43, s20, v11
	v_mul_lo_u32 v44, s21, v10
	v_mad_u64_u32 v[8:9], null, s20, v10, s[10:11]
	s_waitcnt lgkmcnt(0)
	v_mul_lo_u32 v42, s20, v42
	v_mul_lo_u32 v45, s21, v41
	v_mad_u64_u32 v[10:11], null, s20, v41, s[10:11]
	s_delay_alu instid0(VALU_DEP_4) | instskip(NEXT) | instid1(VALU_DEP_2)
	v_add3_u32 v9, v44, v9, v43
	v_add3_u32 v11, v45, v11, v42
	s_set_inst_prefetch_distance 0x1
	s_branch .LBB1488_69
	.p2align	6
.LBB1488_68:                            ;   in Loop: Header=BB1488_69 Depth=2
	s_or_b32 exec_lo, exec_lo, s0
	s_delay_alu instid0(SALU_CYCLE_1) | instskip(NEXT) | instid1(SALU_CYCLE_1)
	s_and_b32 s0, exec_lo, s25
	s_or_b32 s19, s0, s19
	s_and_not1_b32 s0, s28, exec_lo
	s_and_b32 s28, s26, exec_lo
	s_and_not1_b32 s24, s24, exec_lo
	s_and_b32 s29, s27, exec_lo
	s_or_b32 s28, s0, s28
	s_or_b32 s24, s24, s29
	s_and_not1_b32 exec_lo, exec_lo, s19
	s_cbranch_execz .LBB1488_64
.LBB1488_69:                            ;   Parent Loop BB1488_66 Depth=1
                                        ; =>  This Inner Loop Header: Depth=2
	global_load_b32 v41, v[8:9], off
	global_load_b32 v42, v[10:11], off
	s_and_not1_b32 s27, s27, exec_lo
	s_and_not1_b32 s26, s26, exec_lo
	s_or_b32 s25, s25, exec_lo
	s_waitcnt vmcnt(0)
	v_cmp_le_u32_e32 vcc_lo, v41, v42
	v_cmp_lt_u32_e64 s0, v41, v42
	s_and_b32 s29, vcc_lo, s28
	s_delay_alu instid0(VALU_DEP_1) | instid1(SALU_CYCLE_1)
	s_or_b32 s29, s0, s29
	s_delay_alu instid0(SALU_CYCLE_1) | instskip(NEXT) | instid1(SALU_CYCLE_1)
	s_and_b32 s0, s29, exec_lo
	s_or_b32 s27, s27, s0
	s_mov_b32 s0, exec_lo
	v_cmpx_eq_u32_e64 v41, v42
	s_cbranch_execz .LBB1488_68
; %bb.70:                               ;   in Loop: Header=BB1488_69 Depth=2
	s_add_u32 s22, s22, -1
	s_addc_u32 s23, s23, -1
	v_add_co_u32 v8, vcc_lo, v8, 4
	s_cmp_eq_u64 s[22:23], 0
	v_add_co_ci_u32_e32 v9, vcc_lo, 0, v9, vcc_lo
	s_cselect_b32 s28, -1, 0
	v_add_co_u32 v10, vcc_lo, v10, 4
	s_and_not1_b32 s26, s26, exec_lo
	s_and_b32 s29, s29, exec_lo
	s_and_not1_b32 s25, s25, exec_lo
	s_and_b32 s28, s28, exec_lo
	v_add_co_ci_u32_e32 v11, vcc_lo, 0, v11, vcc_lo
	s_and_not1_b32 s27, s27, exec_lo
	s_or_b32 s26, s26, s29
	s_or_b32 s25, s25, s28
                                        ; implicit-def: $sgpr28
	s_branch .LBB1488_68
.LBB1488_71:                            ;   in Loop: Header=BB1488_66 Depth=1
	s_mov_b32 s24, 0
	s_branch .LBB1488_65
.LBB1488_72:
	s_or_b32 exec_lo, exec_lo, s1
.LBB1488_73:
	s_delay_alu instid0(SALU_CYCLE_1) | instskip(SKIP_2) | instid1(VALU_DEP_2)
	s_or_b32 exec_lo, exec_lo, s12
	v_add_nc_u32_e32 v9, v14, v23
	v_add_nc_u32_e32 v8, v20, v22
	v_sub_nc_u32_e32 v9, v9, v20
	s_delay_alu instid0(VALU_DEP_2) | instskip(NEXT) | instid1(VALU_DEP_2)
	v_cmp_le_u32_e32 vcc_lo, v8, v14
	v_cmp_le_u32_e64 s0, v9, v15
	s_delay_alu instid0(VALU_DEP_1) | instskip(NEXT) | instid1(SALU_CYCLE_1)
	s_or_b32 s0, vcc_lo, s0
	s_and_saveexec_b32 s1, s0
	s_cbranch_execz .LBB1488_120
; %bb.74:
	v_cmp_ge_u32_e32 vcc_lo, v8, v14
	s_mov_b32 s12, exec_lo
                                        ; implicit-def: $vgpr0_vgpr1
	v_cmpx_lt_u32_e64 v8, v14
	s_cbranch_execz .LBB1488_76
; %bb.75:
	v_lshl_add_u32 v0, v20, 3, v21
	ds_load_b64 v[0:1], v0
.LBB1488_76:
	s_or_b32 exec_lo, exec_lo, s12
	v_cmp_ge_u32_e64 s12, v9, v15
	s_mov_b32 s19, exec_lo
                                        ; implicit-def: $vgpr2_vgpr3
	v_cmpx_lt_u32_e64 v9, v15
	s_cbranch_execz .LBB1488_78
; %bb.77:
	v_lshl_add_u32 v2, v9, 3, v16
	ds_load_b64 v[2:3], v2
.LBB1488_78:
	s_or_b32 exec_lo, exec_lo, s19
	s_or_b32 s0, vcc_lo, s12
	s_mov_b32 s19, -1
	s_xor_b32 s0, s0, -1
	s_delay_alu instid0(SALU_CYCLE_1)
	s_and_saveexec_b32 s22, s0
	s_cbranch_execz .LBB1488_87
; %bb.79:
	s_and_not1_b32 vcc_lo, exec_lo, s7
	s_cbranch_vccnz .LBB1488_85
; %bb.80:
	s_waitcnt lgkmcnt(0)
	v_mul_lo_u32 v10, v3, s8
	v_mul_lo_u32 v11, v2, s9
	v_mad_u64_u32 v[4:5], null, v2, s8, 0
	v_mul_lo_u32 v20, v1, s8
	v_mul_lo_u32 v21, v0, s9
	v_mad_u64_u32 v[6:7], null, v0, s8, 0
	s_mov_b32 s23, 0
	s_mov_b64 s[20:21], s[8:9]
	s_delay_alu instid0(VALU_DEP_4) | instskip(NEXT) | instid1(VALU_DEP_2)
	v_add3_u32 v5, v5, v11, v10
                                        ; implicit-def: $sgpr24
                                        ; implicit-def: $sgpr25
                                        ; implicit-def: $sgpr26
                                        ; implicit-def: $sgpr27
                                        ; implicit-def: $sgpr28
	v_add3_u32 v7, v7, v21, v20
	s_delay_alu instid0(VALU_DEP_2) | instskip(NEXT) | instid1(VALU_DEP_2)
	v_lshlrev_b64 v[4:5], 2, v[4:5]
	v_lshlrev_b64 v[6:7], 2, v[6:7]
	s_delay_alu instid0(VALU_DEP_2) | instskip(NEXT) | instid1(VALU_DEP_3)
	v_add_co_u32 v4, vcc_lo, s10, v4
	v_add_co_ci_u32_e32 v5, vcc_lo, s11, v5, vcc_lo
	s_delay_alu instid0(VALU_DEP_3) | instskip(NEXT) | instid1(VALU_DEP_4)
	v_add_co_u32 v6, vcc_lo, s10, v6
	v_add_co_ci_u32_e32 v7, vcc_lo, s11, v7, vcc_lo
	s_set_inst_prefetch_distance 0x1
	s_branch .LBB1488_82
	.p2align	6
.LBB1488_81:                            ;   in Loop: Header=BB1488_82 Depth=1
	s_or_b32 exec_lo, exec_lo, s0
	s_delay_alu instid0(SALU_CYCLE_1) | instskip(NEXT) | instid1(SALU_CYCLE_1)
	s_and_b32 s0, exec_lo, s25
	s_or_b32 s23, s0, s23
	s_and_not1_b32 s0, s28, exec_lo
	s_and_b32 s28, s27, exec_lo
	s_and_not1_b32 s24, s24, exec_lo
	s_and_b32 s29, s26, exec_lo
	s_or_b32 s28, s0, s28
	s_or_b32 s24, s24, s29
	s_and_not1_b32 exec_lo, exec_lo, s23
	s_cbranch_execz .LBB1488_84
.LBB1488_82:                            ; =>This Inner Loop Header: Depth=1
	global_load_b32 v10, v[4:5], off
	global_load_b32 v11, v[6:7], off
	s_and_not1_b32 s26, s26, exec_lo
	s_and_not1_b32 s27, s27, exec_lo
	s_or_b32 s25, s25, exec_lo
	s_waitcnt vmcnt(0)
	v_cmp_le_u32_e32 vcc_lo, v10, v11
	v_cmp_lt_u32_e64 s0, v10, v11
	s_and_b32 s29, vcc_lo, s28
	s_delay_alu instid0(VALU_DEP_1) | instid1(SALU_CYCLE_1)
	s_or_b32 s29, s0, s29
	s_delay_alu instid0(SALU_CYCLE_1) | instskip(NEXT) | instid1(SALU_CYCLE_1)
	s_and_b32 s0, s29, exec_lo
	s_or_b32 s26, s26, s0
	s_mov_b32 s0, exec_lo
	v_cmpx_eq_u32_e64 v10, v11
	s_cbranch_execz .LBB1488_81
; %bb.83:                               ;   in Loop: Header=BB1488_82 Depth=1
	s_add_u32 s20, s20, -1
	s_addc_u32 s21, s21, -1
	v_add_co_u32 v4, vcc_lo, v4, 4
	s_cmp_eq_u64 s[20:21], 0
	v_add_co_ci_u32_e32 v5, vcc_lo, 0, v5, vcc_lo
	s_cselect_b32 s28, -1, 0
	s_and_not1_b32 s27, s27, exec_lo
	s_and_b32 s29, s29, exec_lo
	v_add_co_u32 v6, vcc_lo, v6, 4
	s_and_not1_b32 s25, s25, exec_lo
	s_and_b32 s28, s28, exec_lo
	v_add_co_ci_u32_e32 v7, vcc_lo, 0, v7, vcc_lo
	s_or_b32 s27, s27, s29
	s_and_not1_b32 s26, s26, exec_lo
	s_or_b32 s25, s25, s28
                                        ; implicit-def: $sgpr28
	s_branch .LBB1488_81
.LBB1488_84:
	s_set_inst_prefetch_distance 0x2
	s_or_b32 exec_lo, exec_lo, s23
	s_xor_b32 s0, s24, -1
	s_branch .LBB1488_86
.LBB1488_85:
	s_mov_b32 s0, -1
.LBB1488_86:
	s_and_not1_b32 s12, s12, exec_lo
	s_and_b32 s0, s0, exec_lo
	s_delay_alu instid0(SALU_CYCLE_1)
	s_or_b32 s12, s12, s0
.LBB1488_87:
	s_or_b32 exec_lo, exec_lo, s22
	v_cndmask_b32_e64 v4, v9, v8, s12
	v_cndmask_b32_e64 v5, v15, v14, s12
	s_mov_b32 s22, exec_lo
	s_delay_alu instid0(VALU_DEP_2) | instskip(NEXT) | instid1(VALU_DEP_2)
	v_add_nc_u32_e32 v6, 1, v4
	v_add_nc_u32_e32 v4, -1, v5
	s_delay_alu instid0(VALU_DEP_2) | instskip(NEXT) | instid1(VALU_DEP_2)
	v_cndmask_b32_e64 v9, v6, v9, s12
	v_min_u32_e32 v4, v6, v4
	v_cndmask_b32_e64 v8, v8, v6, s12
	s_delay_alu instid0(VALU_DEP_2)
	v_lshl_add_u32 v4, v4, 3, v16
	ds_load_b64 v[4:5], v4
	s_waitcnt lgkmcnt(0)
	v_cndmask_b32_e64 v20, v5, v3, s12
	v_cndmask_b32_e64 v21, v4, v2, s12
	;; [unrolled: 1-line block ×4, first 2 shown]
	v_cmpx_lt_u32_e64 v9, v15
	s_cbranch_execz .LBB1488_98
; %bb.88:
	s_mov_b32 s0, 0
	s_mov_b32 s19, exec_lo
	v_cmpx_lt_u32_e64 v8, v14
	s_cbranch_execz .LBB1488_97
; %bb.89:
	s_and_not1_b32 vcc_lo, exec_lo, s7
	s_cbranch_vccnz .LBB1488_95
; %bb.90:
	v_mul_lo_u32 v10, v20, s8
	v_mul_lo_u32 v11, v21, s9
	v_mad_u64_u32 v[4:5], null, v21, s8, 0
	v_mul_lo_u32 v24, v22, s8
	v_mul_lo_u32 v25, v23, s9
	v_mad_u64_u32 v[6:7], null, v23, s8, 0
	s_mov_b32 s23, 0
	s_mov_b64 s[20:21], s[8:9]
	s_delay_alu instid0(VALU_DEP_4) | instskip(NEXT) | instid1(VALU_DEP_2)
	v_add3_u32 v5, v5, v11, v10
                                        ; implicit-def: $sgpr24
                                        ; implicit-def: $sgpr25
                                        ; implicit-def: $sgpr26
                                        ; implicit-def: $sgpr27
                                        ; implicit-def: $sgpr28
	v_add3_u32 v7, v7, v25, v24
	s_delay_alu instid0(VALU_DEP_2) | instskip(NEXT) | instid1(VALU_DEP_2)
	v_lshlrev_b64 v[4:5], 2, v[4:5]
	v_lshlrev_b64 v[6:7], 2, v[6:7]
	s_delay_alu instid0(VALU_DEP_2) | instskip(NEXT) | instid1(VALU_DEP_3)
	v_add_co_u32 v4, vcc_lo, s10, v4
	v_add_co_ci_u32_e32 v5, vcc_lo, s11, v5, vcc_lo
	s_delay_alu instid0(VALU_DEP_3) | instskip(NEXT) | instid1(VALU_DEP_4)
	v_add_co_u32 v6, vcc_lo, s10, v6
	v_add_co_ci_u32_e32 v7, vcc_lo, s11, v7, vcc_lo
	s_set_inst_prefetch_distance 0x1
	s_branch .LBB1488_92
	.p2align	6
.LBB1488_91:                            ;   in Loop: Header=BB1488_92 Depth=1
	s_or_b32 exec_lo, exec_lo, s0
	s_delay_alu instid0(SALU_CYCLE_1) | instskip(NEXT) | instid1(SALU_CYCLE_1)
	s_and_b32 s0, exec_lo, s25
	s_or_b32 s23, s0, s23
	s_and_not1_b32 s0, s28, exec_lo
	s_and_b32 s28, s27, exec_lo
	s_and_not1_b32 s24, s24, exec_lo
	s_and_b32 s29, s26, exec_lo
	s_or_b32 s28, s0, s28
	s_or_b32 s24, s24, s29
	s_and_not1_b32 exec_lo, exec_lo, s23
	s_cbranch_execz .LBB1488_94
.LBB1488_92:                            ; =>This Inner Loop Header: Depth=1
	global_load_b32 v10, v[4:5], off
	global_load_b32 v11, v[6:7], off
	s_and_not1_b32 s26, s26, exec_lo
	s_and_not1_b32 s27, s27, exec_lo
	s_or_b32 s25, s25, exec_lo
	s_waitcnt vmcnt(0)
	v_cmp_le_u32_e32 vcc_lo, v10, v11
	v_cmp_lt_u32_e64 s0, v10, v11
	s_and_b32 s29, vcc_lo, s28
	s_delay_alu instid0(VALU_DEP_1) | instid1(SALU_CYCLE_1)
	s_or_b32 s29, s0, s29
	s_delay_alu instid0(SALU_CYCLE_1) | instskip(NEXT) | instid1(SALU_CYCLE_1)
	s_and_b32 s0, s29, exec_lo
	s_or_b32 s26, s26, s0
	s_mov_b32 s0, exec_lo
	v_cmpx_eq_u32_e64 v10, v11
	s_cbranch_execz .LBB1488_91
; %bb.93:                               ;   in Loop: Header=BB1488_92 Depth=1
	s_add_u32 s20, s20, -1
	s_addc_u32 s21, s21, -1
	v_add_co_u32 v4, vcc_lo, v4, 4
	s_cmp_eq_u64 s[20:21], 0
	v_add_co_ci_u32_e32 v5, vcc_lo, 0, v5, vcc_lo
	v_add_co_u32 v6, vcc_lo, v6, 4
	s_cselect_b32 s28, -1, 0
	v_add_co_ci_u32_e32 v7, vcc_lo, 0, v7, vcc_lo
	s_and_not1_b32 s27, s27, exec_lo
	s_and_b32 s29, s29, exec_lo
	s_and_not1_b32 s25, s25, exec_lo
	s_and_b32 s28, s28, exec_lo
	s_or_b32 s27, s27, s29
	s_and_not1_b32 s26, s26, exec_lo
	s_or_b32 s25, s25, s28
                                        ; implicit-def: $sgpr28
	s_branch .LBB1488_91
.LBB1488_94:
	s_set_inst_prefetch_distance 0x2
	s_or_b32 exec_lo, exec_lo, s23
	s_xor_b32 s0, s24, -1
	s_branch .LBB1488_96
.LBB1488_95:
	s_mov_b32 s0, -1
.LBB1488_96:
	s_delay_alu instid0(SALU_CYCLE_1)
	s_and_b32 s0, s0, exec_lo
.LBB1488_97:
	s_or_b32 exec_lo, exec_lo, s19
	s_delay_alu instid0(SALU_CYCLE_1)
	s_or_not1_b32 s19, s0, exec_lo
.LBB1488_98:
	s_or_b32 exec_lo, exec_lo, s22
	v_cndmask_b32_e64 v4, v9, v8, s19
	v_cndmask_b32_e64 v5, v15, v14, s19
	s_mov_b32 s22, -1
	s_mov_b32 s23, exec_lo
	s_delay_alu instid0(VALU_DEP_2) | instskip(NEXT) | instid1(VALU_DEP_2)
	v_add_nc_u32_e32 v6, 1, v4
	v_add_nc_u32_e32 v4, -1, v5
	s_delay_alu instid0(VALU_DEP_2) | instskip(NEXT) | instid1(VALU_DEP_2)
	v_cndmask_b32_e64 v9, v6, v9, s19
	v_min_u32_e32 v4, v6, v4
	v_cndmask_b32_e64 v8, v8, v6, s19
	s_delay_alu instid0(VALU_DEP_2)
	v_lshl_add_u32 v4, v4, 3, v16
	ds_load_b64 v[4:5], v4
	s_waitcnt lgkmcnt(0)
	v_cndmask_b32_e64 v24, v5, v20, s19
	v_cndmask_b32_e64 v25, v4, v21, s19
	v_cndmask_b32_e64 v40, v22, v5, s19
	v_cndmask_b32_e64 v41, v23, v4, s19
	v_cmpx_lt_u32_e64 v9, v15
	s_cbranch_execz .LBB1488_109
; %bb.99:
	s_mov_b32 s0, 0
	s_mov_b32 s22, exec_lo
	v_cmpx_lt_u32_e64 v8, v14
	s_cbranch_execz .LBB1488_108
; %bb.100:
	s_and_not1_b32 vcc_lo, exec_lo, s7
	s_cbranch_vccnz .LBB1488_106
; %bb.101:
	v_mul_lo_u32 v10, v24, s8
	v_mul_lo_u32 v11, v25, s9
	v_mad_u64_u32 v[4:5], null, v25, s8, 0
	v_mul_lo_u32 v42, v40, s8
	v_mul_lo_u32 v43, v41, s9
	v_mad_u64_u32 v[6:7], null, v41, s8, 0
	s_mov_b32 s24, 0
	s_mov_b64 s[20:21], s[8:9]
	s_delay_alu instid0(VALU_DEP_4) | instskip(NEXT) | instid1(VALU_DEP_2)
	v_add3_u32 v5, v5, v11, v10
                                        ; implicit-def: $sgpr25
                                        ; implicit-def: $sgpr26
                                        ; implicit-def: $sgpr27
                                        ; implicit-def: $sgpr28
                                        ; implicit-def: $sgpr29
	v_add3_u32 v7, v7, v43, v42
	s_delay_alu instid0(VALU_DEP_2) | instskip(NEXT) | instid1(VALU_DEP_2)
	v_lshlrev_b64 v[4:5], 2, v[4:5]
	v_lshlrev_b64 v[6:7], 2, v[6:7]
	s_delay_alu instid0(VALU_DEP_2) | instskip(NEXT) | instid1(VALU_DEP_3)
	v_add_co_u32 v4, vcc_lo, s10, v4
	v_add_co_ci_u32_e32 v5, vcc_lo, s11, v5, vcc_lo
	s_delay_alu instid0(VALU_DEP_3) | instskip(NEXT) | instid1(VALU_DEP_4)
	v_add_co_u32 v6, vcc_lo, s10, v6
	v_add_co_ci_u32_e32 v7, vcc_lo, s11, v7, vcc_lo
	s_set_inst_prefetch_distance 0x1
	s_branch .LBB1488_103
	.p2align	6
.LBB1488_102:                           ;   in Loop: Header=BB1488_103 Depth=1
	s_or_b32 exec_lo, exec_lo, s0
	s_delay_alu instid0(SALU_CYCLE_1) | instskip(NEXT) | instid1(SALU_CYCLE_1)
	s_and_b32 s0, exec_lo, s26
	s_or_b32 s24, s0, s24
	s_and_not1_b32 s0, s29, exec_lo
	s_and_b32 s29, s28, exec_lo
	s_and_not1_b32 s25, s25, exec_lo
	s_and_b32 s30, s27, exec_lo
	s_or_b32 s29, s0, s29
	s_or_b32 s25, s25, s30
	s_and_not1_b32 exec_lo, exec_lo, s24
	s_cbranch_execz .LBB1488_105
.LBB1488_103:                           ; =>This Inner Loop Header: Depth=1
	global_load_b32 v10, v[4:5], off
	global_load_b32 v11, v[6:7], off
	s_and_not1_b32 s27, s27, exec_lo
	s_and_not1_b32 s28, s28, exec_lo
	s_or_b32 s26, s26, exec_lo
	s_waitcnt vmcnt(0)
	v_cmp_le_u32_e32 vcc_lo, v10, v11
	v_cmp_lt_u32_e64 s0, v10, v11
	s_and_b32 s30, vcc_lo, s29
	s_delay_alu instid0(VALU_DEP_1) | instid1(SALU_CYCLE_1)
	s_or_b32 s30, s0, s30
	s_delay_alu instid0(SALU_CYCLE_1) | instskip(NEXT) | instid1(SALU_CYCLE_1)
	s_and_b32 s0, s30, exec_lo
	s_or_b32 s27, s27, s0
	s_mov_b32 s0, exec_lo
	v_cmpx_eq_u32_e64 v10, v11
	s_cbranch_execz .LBB1488_102
; %bb.104:                              ;   in Loop: Header=BB1488_103 Depth=1
	s_add_u32 s20, s20, -1
	s_addc_u32 s21, s21, -1
	v_add_co_u32 v4, vcc_lo, v4, 4
	s_cmp_eq_u64 s[20:21], 0
	v_add_co_ci_u32_e32 v5, vcc_lo, 0, v5, vcc_lo
	v_add_co_u32 v6, vcc_lo, v6, 4
	s_cselect_b32 s29, -1, 0
	v_add_co_ci_u32_e32 v7, vcc_lo, 0, v7, vcc_lo
	s_and_not1_b32 s28, s28, exec_lo
	s_and_b32 s30, s30, exec_lo
	s_and_not1_b32 s26, s26, exec_lo
	s_and_b32 s29, s29, exec_lo
	s_or_b32 s28, s28, s30
	s_and_not1_b32 s27, s27, exec_lo
	s_or_b32 s26, s26, s29
                                        ; implicit-def: $sgpr29
	s_branch .LBB1488_102
.LBB1488_105:
	s_set_inst_prefetch_distance 0x2
	s_or_b32 exec_lo, exec_lo, s24
	s_xor_b32 s0, s25, -1
	s_branch .LBB1488_107
.LBB1488_106:
	s_mov_b32 s0, -1
.LBB1488_107:
	s_delay_alu instid0(SALU_CYCLE_1)
	s_and_b32 s0, s0, exec_lo
.LBB1488_108:
	s_or_b32 exec_lo, exec_lo, s22
	s_delay_alu instid0(SALU_CYCLE_1)
	s_or_not1_b32 s22, s0, exec_lo
.LBB1488_109:
	s_or_b32 exec_lo, exec_lo, s23
	v_cndmask_b32_e64 v4, v9, v8, s22
	v_cndmask_b32_e64 v5, v15, v14, s22
	s_mov_b32 s23, exec_lo
	s_delay_alu instid0(VALU_DEP_2) | instskip(NEXT) | instid1(VALU_DEP_2)
	v_add_nc_u32_e32 v10, 1, v4
	v_add_nc_u32_e32 v4, -1, v5
	s_delay_alu instid0(VALU_DEP_2) | instskip(NEXT) | instid1(VALU_DEP_2)
	v_cndmask_b32_e64 v9, v10, v9, s22
	v_min_u32_e32 v4, v10, v4
	s_delay_alu instid0(VALU_DEP_1)
	v_lshl_add_u32 v4, v4, 3, v16
	ds_load_b64 v[4:5], v4
	s_waitcnt lgkmcnt(0)
	v_cndmask_b32_e64 v7, v40, v5, s22
	v_cndmask_b32_e64 v6, v41, v4, s22
	v_cmpx_lt_u32_e64 v9, v15
	s_cbranch_execz .LBB1488_119
; %bb.110:
	v_cndmask_b32_e64 v8, v8, v10, s22
	v_cndmask_b32_e64 v5, v5, v24, s22
	;; [unrolled: 1-line block ×3, first 2 shown]
	s_mov_b32 s24, exec_lo
	s_delay_alu instid0(VALU_DEP_3)
	v_cmpx_lt_u32_e64 v8, v14
	s_cbranch_execz .LBB1488_118
; %bb.111:
	s_and_not1_b32 vcc_lo, exec_lo, s7
	s_cbranch_vccnz .LBB1488_117
; %bb.112:
	v_mul_lo_u32 v14, v5, s8
	v_mul_lo_u32 v15, v4, s9
	v_mad_u64_u32 v[8:9], null, v4, s8, 0
	v_mul_lo_u32 v42, v7, s8
	v_mul_lo_u32 v43, v6, s9
	v_mad_u64_u32 v[10:11], null, v6, s8, 0
	s_mov_b32 s25, 0
	s_mov_b64 s[20:21], s[8:9]
	s_delay_alu instid0(VALU_DEP_4) | instskip(NEXT) | instid1(VALU_DEP_2)
	v_add3_u32 v9, v9, v15, v14
                                        ; implicit-def: $sgpr26
                                        ; implicit-def: $sgpr27
                                        ; implicit-def: $sgpr28
                                        ; implicit-def: $sgpr29
                                        ; implicit-def: $sgpr30
	v_add3_u32 v11, v11, v43, v42
	s_delay_alu instid0(VALU_DEP_2) | instskip(NEXT) | instid1(VALU_DEP_2)
	v_lshlrev_b64 v[8:9], 2, v[8:9]
	v_lshlrev_b64 v[10:11], 2, v[10:11]
	s_delay_alu instid0(VALU_DEP_2) | instskip(NEXT) | instid1(VALU_DEP_3)
	v_add_co_u32 v8, vcc_lo, s10, v8
	v_add_co_ci_u32_e32 v9, vcc_lo, s11, v9, vcc_lo
	s_delay_alu instid0(VALU_DEP_3) | instskip(NEXT) | instid1(VALU_DEP_4)
	v_add_co_u32 v10, vcc_lo, s10, v10
	v_add_co_ci_u32_e32 v11, vcc_lo, s11, v11, vcc_lo
	s_set_inst_prefetch_distance 0x1
	s_branch .LBB1488_114
	.p2align	6
.LBB1488_113:                           ;   in Loop: Header=BB1488_114 Depth=1
	s_or_b32 exec_lo, exec_lo, s0
	s_delay_alu instid0(SALU_CYCLE_1) | instskip(NEXT) | instid1(SALU_CYCLE_1)
	s_and_b32 s0, exec_lo, s27
	s_or_b32 s25, s0, s25
	s_and_not1_b32 s0, s30, exec_lo
	s_and_b32 s30, s29, exec_lo
	s_and_not1_b32 s26, s26, exec_lo
	s_and_b32 s31, s28, exec_lo
	s_or_b32 s30, s0, s30
	s_or_b32 s26, s26, s31
	s_and_not1_b32 exec_lo, exec_lo, s25
	s_cbranch_execz .LBB1488_116
.LBB1488_114:                           ; =>This Inner Loop Header: Depth=1
	global_load_b32 v14, v[8:9], off
	global_load_b32 v15, v[10:11], off
	s_and_not1_b32 s28, s28, exec_lo
	s_and_not1_b32 s29, s29, exec_lo
	s_or_b32 s27, s27, exec_lo
	s_waitcnt vmcnt(0)
	v_cmp_le_u32_e32 vcc_lo, v14, v15
	v_cmp_lt_u32_e64 s0, v14, v15
	s_and_b32 s31, vcc_lo, s30
	s_delay_alu instid0(VALU_DEP_1) | instid1(SALU_CYCLE_1)
	s_or_b32 s31, s0, s31
	s_delay_alu instid0(SALU_CYCLE_1) | instskip(NEXT) | instid1(SALU_CYCLE_1)
	s_and_b32 s0, s31, exec_lo
	s_or_b32 s28, s28, s0
	s_mov_b32 s0, exec_lo
	v_cmpx_eq_u32_e64 v14, v15
	s_cbranch_execz .LBB1488_113
; %bb.115:                              ;   in Loop: Header=BB1488_114 Depth=1
	s_add_u32 s20, s20, -1
	s_addc_u32 s21, s21, -1
	v_add_co_u32 v8, vcc_lo, v8, 4
	s_cmp_eq_u64 s[20:21], 0
	v_add_co_ci_u32_e32 v9, vcc_lo, 0, v9, vcc_lo
	v_add_co_u32 v10, vcc_lo, v10, 4
	s_cselect_b32 s30, -1, 0
	v_add_co_ci_u32_e32 v11, vcc_lo, 0, v11, vcc_lo
	s_and_not1_b32 s29, s29, exec_lo
	s_and_b32 s31, s31, exec_lo
	s_and_not1_b32 s27, s27, exec_lo
	s_and_b32 s30, s30, exec_lo
	s_or_b32 s29, s29, s31
	s_and_not1_b32 s28, s28, exec_lo
	s_or_b32 s27, s27, s30
                                        ; implicit-def: $sgpr30
	s_branch .LBB1488_113
.LBB1488_116:
	s_set_inst_prefetch_distance 0x2
	s_or_b32 exec_lo, exec_lo, s25
	v_cndmask_b32_e64 v7, v7, v5, s26
	v_cndmask_b32_e64 v6, v6, v4, s26
.LBB1488_117:
	s_delay_alu instid0(VALU_DEP_1)
	v_dual_mov_b32 v4, v6 :: v_dual_mov_b32 v5, v7
.LBB1488_118:
	s_or_b32 exec_lo, exec_lo, s24
	s_delay_alu instid0(VALU_DEP_1)
	v_dual_mov_b32 v7, v5 :: v_dual_mov_b32 v6, v4
.LBB1488_119:
	s_or_b32 exec_lo, exec_lo, s23
	v_cndmask_b32_e64 v1, v3, v1, s12
	v_cndmask_b32_e64 v0, v2, v0, s12
	;; [unrolled: 1-line block ×6, first 2 shown]
.LBB1488_120:
	s_or_b32 exec_lo, exec_lo, s1
	v_and_b32_e32 v22, 0x70, v18
	v_and_b32_e32 v9, 12, v18
	s_mov_b32 s1, exec_lo
	; wave barrier
	s_delay_alu instid0(VALU_DEP_2) | instskip(NEXT) | instid1(VALU_DEP_2)
	v_or_b32_e32 v8, 8, v22
	v_min_u32_e32 v23, v17, v9
	v_lshl_add_u32 v21, v22, 3, v16
	ds_store_b128 v19, v[0:3]
	ds_store_b128 v19, v[4:7] offset:16
	v_min_u32_e32 v14, v17, v8
	; wave barrier
	s_delay_alu instid0(VALU_DEP_1) | instskip(SKIP_1) | instid1(VALU_DEP_2)
	v_add_nc_u32_e32 v8, 8, v14
	v_sub_nc_u32_e32 v9, v14, v22
	v_min_u32_e32 v15, v17, v8
	s_delay_alu instid0(VALU_DEP_2) | instskip(NEXT) | instid1(VALU_DEP_2)
	v_min_u32_e32 v24, v23, v9
	v_sub_nc_u32_e32 v8, v15, v14
	s_delay_alu instid0(VALU_DEP_1) | instskip(NEXT) | instid1(VALU_DEP_1)
	v_sub_nc_u32_e64 v20, v23, v8 clamp
	v_cmpx_lt_u32_e64 v20, v24
	s_cbranch_execz .LBB1488_130
; %bb.121:
	v_lshlrev_b32_e32 v8, 3, v14
	v_lshlrev_b32_e32 v9, 3, v23
	s_lshl_b64 s[20:21], s[8:9], 2
	s_mov_b32 s12, 0
	s_delay_alu instid0(VALU_DEP_1)
	v_add3_u32 v25, v16, v8, v9
	s_branch .LBB1488_124
.LBB1488_122:                           ;   in Loop: Header=BB1488_124 Depth=1
	s_set_inst_prefetch_distance 0x2
	s_or_b32 exec_lo, exec_lo, s19
.LBB1488_123:                           ;   in Loop: Header=BB1488_124 Depth=1
	s_delay_alu instid0(VALU_DEP_1) | instskip(SKIP_1) | instid1(VALU_DEP_2)
	v_add_nc_u32_e32 v8, 1, v40
	v_cndmask_b32_e64 v24, v24, v40, s24
	v_cndmask_b32_e64 v20, v8, v20, s24
	s_delay_alu instid0(VALU_DEP_1) | instskip(SKIP_1) | instid1(SALU_CYCLE_1)
	v_cmp_ge_u32_e32 vcc_lo, v20, v24
	s_or_b32 s12, vcc_lo, s12
	s_and_not1_b32 exec_lo, exec_lo, s12
	s_cbranch_execz .LBB1488_129
.LBB1488_124:                           ; =>This Loop Header: Depth=1
                                        ;     Child Loop BB1488_127 Depth 2
	v_add_nc_u32_e32 v8, v24, v20
	s_and_not1_b32 vcc_lo, exec_lo, s7
	s_mov_b32 s24, 0
	s_delay_alu instid0(VALU_DEP_1)
	v_lshrrev_b32_e32 v40, 1, v8
	s_cbranch_vccnz .LBB1488_123
; %bb.125:                              ;   in Loop: Header=BB1488_124 Depth=1
	s_delay_alu instid0(VALU_DEP_1) | instskip(SKIP_3) | instid1(VALU_DEP_2)
	v_not_b32_e32 v8, v40
	v_lshl_add_u32 v9, v40, 3, v21
	s_mov_b32 s19, 0
	s_mov_b64 s[22:23], s[8:9]
                                        ; implicit-def: $sgpr24
                                        ; implicit-def: $sgpr25
                                        ; implicit-def: $sgpr26
                                        ; implicit-def: $sgpr27
                                        ; implicit-def: $sgpr28
	v_lshl_add_u32 v8, v8, 3, v25
	ds_load_b64 v[10:11], v8
	ds_load_b64 v[41:42], v9
	s_waitcnt lgkmcnt(1)
	v_mul_lo_u32 v43, s20, v11
	v_mul_lo_u32 v44, s21, v10
	v_mad_u64_u32 v[8:9], null, s20, v10, s[10:11]
	s_waitcnt lgkmcnt(0)
	v_mul_lo_u32 v42, s20, v42
	v_mul_lo_u32 v45, s21, v41
	v_mad_u64_u32 v[10:11], null, s20, v41, s[10:11]
	s_delay_alu instid0(VALU_DEP_4) | instskip(NEXT) | instid1(VALU_DEP_2)
	v_add3_u32 v9, v44, v9, v43
	v_add3_u32 v11, v45, v11, v42
	s_set_inst_prefetch_distance 0x1
	s_branch .LBB1488_127
	.p2align	6
.LBB1488_126:                           ;   in Loop: Header=BB1488_127 Depth=2
	s_or_b32 exec_lo, exec_lo, s29
	s_delay_alu instid0(SALU_CYCLE_1) | instskip(NEXT) | instid1(SALU_CYCLE_1)
	s_and_b32 s0, exec_lo, s25
	s_or_b32 s19, s0, s19
	s_and_not1_b32 s0, s28, exec_lo
	s_and_b32 s28, s26, exec_lo
	s_and_not1_b32 s24, s24, exec_lo
	s_and_b32 s29, s27, exec_lo
	s_or_b32 s28, s0, s28
	s_or_b32 s24, s24, s29
	s_and_not1_b32 exec_lo, exec_lo, s19
	s_cbranch_execz .LBB1488_122
.LBB1488_127:                           ;   Parent Loop BB1488_124 Depth=1
                                        ; =>  This Inner Loop Header: Depth=2
	global_load_b32 v41, v[8:9], off
	global_load_b32 v42, v[10:11], off
	s_and_not1_b32 s27, s27, exec_lo
	s_and_not1_b32 s26, s26, exec_lo
	s_or_b32 s25, s25, exec_lo
	s_waitcnt vmcnt(0)
	v_cmp_le_u32_e32 vcc_lo, v41, v42
	v_cmp_lt_u32_e64 s0, v41, v42
	s_and_b32 s29, vcc_lo, s28
	s_delay_alu instid0(VALU_DEP_1) | instid1(SALU_CYCLE_1)
	s_or_b32 s0, s0, s29
	s_delay_alu instid0(SALU_CYCLE_1) | instskip(NEXT) | instid1(SALU_CYCLE_1)
	s_and_b32 s29, s0, exec_lo
	s_or_b32 s27, s27, s29
	s_mov_b32 s29, exec_lo
	v_cmpx_eq_u32_e64 v41, v42
	s_cbranch_execz .LBB1488_126
; %bb.128:                              ;   in Loop: Header=BB1488_127 Depth=2
	s_add_u32 s22, s22, -1
	s_addc_u32 s23, s23, -1
	v_add_co_u32 v8, vcc_lo, v8, 4
	v_add_co_ci_u32_e32 v9, vcc_lo, 0, v9, vcc_lo
	s_cmp_eq_u64 s[22:23], 0
	v_add_co_u32 v10, vcc_lo, v10, 4
	s_cselect_b32 s28, -1, 0
	v_add_co_ci_u32_e32 v11, vcc_lo, 0, v11, vcc_lo
	s_and_not1_b32 s26, s26, exec_lo
	s_and_b32 s0, s0, exec_lo
	s_and_not1_b32 s25, s25, exec_lo
	s_and_b32 s28, s28, exec_lo
	s_and_not1_b32 s27, s27, exec_lo
	s_or_b32 s26, s26, s0
	s_or_b32 s25, s25, s28
                                        ; implicit-def: $sgpr28
	s_branch .LBB1488_126
.LBB1488_129:
	s_or_b32 exec_lo, exec_lo, s12
.LBB1488_130:
	s_delay_alu instid0(SALU_CYCLE_1) | instskip(SKIP_2) | instid1(VALU_DEP_2)
	s_or_b32 exec_lo, exec_lo, s1
	v_add_nc_u32_e32 v9, v14, v23
	v_add_nc_u32_e32 v8, v20, v22
	v_sub_nc_u32_e32 v9, v9, v20
	s_delay_alu instid0(VALU_DEP_2) | instskip(NEXT) | instid1(VALU_DEP_2)
	v_cmp_le_u32_e32 vcc_lo, v8, v14
	v_cmp_le_u32_e64 s0, v9, v15
	s_delay_alu instid0(VALU_DEP_1) | instskip(NEXT) | instid1(SALU_CYCLE_1)
	s_or_b32 s0, vcc_lo, s0
	s_and_saveexec_b32 s1, s0
	s_cbranch_execz .LBB1488_177
; %bb.131:
	v_cmp_ge_u32_e32 vcc_lo, v8, v14
	s_mov_b32 s12, exec_lo
                                        ; implicit-def: $vgpr0_vgpr1
	v_cmpx_lt_u32_e64 v8, v14
	s_cbranch_execz .LBB1488_133
; %bb.132:
	v_lshl_add_u32 v0, v20, 3, v21
	ds_load_b64 v[0:1], v0
.LBB1488_133:
	s_or_b32 exec_lo, exec_lo, s12
	v_cmp_ge_u32_e64 s12, v9, v15
	s_mov_b32 s19, exec_lo
                                        ; implicit-def: $vgpr4_vgpr5
	v_cmpx_lt_u32_e64 v9, v15
	s_cbranch_execz .LBB1488_135
; %bb.134:
	v_lshl_add_u32 v2, v9, 3, v16
	ds_load_b64 v[4:5], v2
.LBB1488_135:
	s_or_b32 exec_lo, exec_lo, s19
	s_or_b32 s0, vcc_lo, s12
	s_mov_b32 s19, -1
	s_xor_b32 s0, s0, -1
	s_delay_alu instid0(SALU_CYCLE_1)
	s_and_saveexec_b32 s22, s0
	s_cbranch_execz .LBB1488_144
; %bb.136:
	s_and_not1_b32 vcc_lo, exec_lo, s7
	s_cbranch_vccnz .LBB1488_142
; %bb.137:
	s_waitcnt lgkmcnt(0)
	v_mul_lo_u32 v10, v5, s8
	v_mul_lo_u32 v11, v4, s9
	v_mad_u64_u32 v[2:3], null, v4, s8, 0
	v_mul_lo_u32 v20, v1, s8
	v_mul_lo_u32 v21, v0, s9
	v_mad_u64_u32 v[6:7], null, v0, s8, 0
	s_mov_b32 s23, 0
	s_mov_b64 s[20:21], s[8:9]
	s_delay_alu instid0(VALU_DEP_4) | instskip(NEXT) | instid1(VALU_DEP_2)
	v_add3_u32 v3, v3, v11, v10
                                        ; implicit-def: $sgpr24
                                        ; implicit-def: $sgpr25
                                        ; implicit-def: $sgpr26
                                        ; implicit-def: $sgpr27
                                        ; implicit-def: $sgpr28
	v_add3_u32 v7, v7, v21, v20
	s_delay_alu instid0(VALU_DEP_2) | instskip(NEXT) | instid1(VALU_DEP_2)
	v_lshlrev_b64 v[2:3], 2, v[2:3]
	v_lshlrev_b64 v[6:7], 2, v[6:7]
	s_delay_alu instid0(VALU_DEP_2) | instskip(NEXT) | instid1(VALU_DEP_3)
	v_add_co_u32 v2, vcc_lo, s10, v2
	v_add_co_ci_u32_e32 v3, vcc_lo, s11, v3, vcc_lo
	s_delay_alu instid0(VALU_DEP_3) | instskip(NEXT) | instid1(VALU_DEP_4)
	v_add_co_u32 v6, vcc_lo, s10, v6
	v_add_co_ci_u32_e32 v7, vcc_lo, s11, v7, vcc_lo
	s_set_inst_prefetch_distance 0x1
	s_branch .LBB1488_139
	.p2align	6
.LBB1488_138:                           ;   in Loop: Header=BB1488_139 Depth=1
	s_or_b32 exec_lo, exec_lo, s0
	s_delay_alu instid0(SALU_CYCLE_1) | instskip(NEXT) | instid1(SALU_CYCLE_1)
	s_and_b32 s0, exec_lo, s25
	s_or_b32 s23, s0, s23
	s_and_not1_b32 s0, s28, exec_lo
	s_and_b32 s28, s27, exec_lo
	s_and_not1_b32 s24, s24, exec_lo
	s_and_b32 s29, s26, exec_lo
	s_or_b32 s28, s0, s28
	s_or_b32 s24, s24, s29
	s_and_not1_b32 exec_lo, exec_lo, s23
	s_cbranch_execz .LBB1488_141
.LBB1488_139:                           ; =>This Inner Loop Header: Depth=1
	global_load_b32 v10, v[2:3], off
	global_load_b32 v11, v[6:7], off
	s_and_not1_b32 s26, s26, exec_lo
	s_and_not1_b32 s27, s27, exec_lo
	s_or_b32 s25, s25, exec_lo
	s_waitcnt vmcnt(0)
	v_cmp_le_u32_e32 vcc_lo, v10, v11
	v_cmp_lt_u32_e64 s0, v10, v11
	s_and_b32 s29, vcc_lo, s28
	s_delay_alu instid0(VALU_DEP_1) | instid1(SALU_CYCLE_1)
	s_or_b32 s29, s0, s29
	s_delay_alu instid0(SALU_CYCLE_1) | instskip(NEXT) | instid1(SALU_CYCLE_1)
	s_and_b32 s0, s29, exec_lo
	s_or_b32 s26, s26, s0
	s_mov_b32 s0, exec_lo
	v_cmpx_eq_u32_e64 v10, v11
	s_cbranch_execz .LBB1488_138
; %bb.140:                              ;   in Loop: Header=BB1488_139 Depth=1
	s_add_u32 s20, s20, -1
	s_addc_u32 s21, s21, -1
	v_add_co_u32 v2, vcc_lo, v2, 4
	s_cmp_eq_u64 s[20:21], 0
	v_add_co_ci_u32_e32 v3, vcc_lo, 0, v3, vcc_lo
	v_add_co_u32 v6, vcc_lo, v6, 4
	s_cselect_b32 s28, -1, 0
	v_add_co_ci_u32_e32 v7, vcc_lo, 0, v7, vcc_lo
	s_and_not1_b32 s27, s27, exec_lo
	s_and_b32 s29, s29, exec_lo
	s_and_not1_b32 s25, s25, exec_lo
	s_and_b32 s28, s28, exec_lo
	s_or_b32 s27, s27, s29
	s_and_not1_b32 s26, s26, exec_lo
	s_or_b32 s25, s25, s28
                                        ; implicit-def: $sgpr28
	s_branch .LBB1488_138
.LBB1488_141:
	s_set_inst_prefetch_distance 0x2
	s_or_b32 exec_lo, exec_lo, s23
	s_xor_b32 s0, s24, -1
	s_branch .LBB1488_143
.LBB1488_142:
	s_mov_b32 s0, -1
.LBB1488_143:
	s_and_not1_b32 s12, s12, exec_lo
	s_and_b32 s0, s0, exec_lo
	s_delay_alu instid0(SALU_CYCLE_1)
	s_or_b32 s12, s12, s0
.LBB1488_144:
	s_or_b32 exec_lo, exec_lo, s22
	v_cndmask_b32_e64 v2, v9, v8, s12
	v_cndmask_b32_e64 v3, v15, v14, s12
	s_mov_b32 s22, exec_lo
	s_delay_alu instid0(VALU_DEP_2) | instskip(NEXT) | instid1(VALU_DEP_2)
	v_add_nc_u32_e32 v6, 1, v2
	v_add_nc_u32_e32 v2, -1, v3
	s_delay_alu instid0(VALU_DEP_2) | instskip(NEXT) | instid1(VALU_DEP_2)
	v_cndmask_b32_e64 v9, v6, v9, s12
	v_min_u32_e32 v2, v6, v2
	v_cndmask_b32_e64 v8, v8, v6, s12
	s_delay_alu instid0(VALU_DEP_2)
	v_lshl_add_u32 v2, v2, 3, v16
	ds_load_b64 v[2:3], v2
	s_waitcnt lgkmcnt(0)
	v_cndmask_b32_e64 v10, v3, v5, s12
	v_cndmask_b32_e64 v11, v2, v4, s12
	;; [unrolled: 1-line block ×4, first 2 shown]
	v_cmpx_lt_u32_e64 v9, v15
	s_cbranch_execz .LBB1488_155
; %bb.145:
	s_mov_b32 s0, 0
	s_mov_b32 s19, exec_lo
	v_cmpx_lt_u32_e64 v8, v14
	s_cbranch_execz .LBB1488_154
; %bb.146:
	s_and_not1_b32 vcc_lo, exec_lo, s7
	s_cbranch_vccnz .LBB1488_152
; %bb.147:
	v_mul_lo_u32 v22, v10, s8
	v_mul_lo_u32 v23, v11, s9
	v_mad_u64_u32 v[2:3], null, v11, s8, 0
	v_mul_lo_u32 v24, v20, s8
	v_mul_lo_u32 v25, v21, s9
	v_mad_u64_u32 v[6:7], null, v21, s8, 0
	s_mov_b32 s23, 0
	s_mov_b64 s[20:21], s[8:9]
	s_delay_alu instid0(VALU_DEP_4) | instskip(NEXT) | instid1(VALU_DEP_2)
	v_add3_u32 v3, v3, v23, v22
                                        ; implicit-def: $sgpr24
                                        ; implicit-def: $sgpr25
                                        ; implicit-def: $sgpr26
                                        ; implicit-def: $sgpr27
                                        ; implicit-def: $sgpr28
	v_add3_u32 v7, v7, v25, v24
	s_delay_alu instid0(VALU_DEP_2) | instskip(NEXT) | instid1(VALU_DEP_2)
	v_lshlrev_b64 v[2:3], 2, v[2:3]
	v_lshlrev_b64 v[6:7], 2, v[6:7]
	s_delay_alu instid0(VALU_DEP_2) | instskip(NEXT) | instid1(VALU_DEP_3)
	v_add_co_u32 v2, vcc_lo, s10, v2
	v_add_co_ci_u32_e32 v3, vcc_lo, s11, v3, vcc_lo
	s_delay_alu instid0(VALU_DEP_3) | instskip(NEXT) | instid1(VALU_DEP_4)
	v_add_co_u32 v6, vcc_lo, s10, v6
	v_add_co_ci_u32_e32 v7, vcc_lo, s11, v7, vcc_lo
	s_set_inst_prefetch_distance 0x1
	s_branch .LBB1488_149
	.p2align	6
.LBB1488_148:                           ;   in Loop: Header=BB1488_149 Depth=1
	s_or_b32 exec_lo, exec_lo, s0
	s_delay_alu instid0(SALU_CYCLE_1) | instskip(NEXT) | instid1(SALU_CYCLE_1)
	s_and_b32 s0, exec_lo, s25
	s_or_b32 s23, s0, s23
	s_and_not1_b32 s0, s28, exec_lo
	s_and_b32 s28, s27, exec_lo
	s_and_not1_b32 s24, s24, exec_lo
	s_and_b32 s29, s26, exec_lo
	s_or_b32 s28, s0, s28
	s_or_b32 s24, s24, s29
	s_and_not1_b32 exec_lo, exec_lo, s23
	s_cbranch_execz .LBB1488_151
.LBB1488_149:                           ; =>This Inner Loop Header: Depth=1
	global_load_b32 v22, v[2:3], off
	global_load_b32 v23, v[6:7], off
	s_and_not1_b32 s26, s26, exec_lo
	s_and_not1_b32 s27, s27, exec_lo
	s_or_b32 s25, s25, exec_lo
	s_waitcnt vmcnt(0)
	v_cmp_le_u32_e32 vcc_lo, v22, v23
	v_cmp_lt_u32_e64 s0, v22, v23
	s_and_b32 s29, vcc_lo, s28
	s_delay_alu instid0(VALU_DEP_1) | instid1(SALU_CYCLE_1)
	s_or_b32 s29, s0, s29
	s_delay_alu instid0(SALU_CYCLE_1) | instskip(NEXT) | instid1(SALU_CYCLE_1)
	s_and_b32 s0, s29, exec_lo
	s_or_b32 s26, s26, s0
	s_mov_b32 s0, exec_lo
	v_cmpx_eq_u32_e64 v22, v23
	s_cbranch_execz .LBB1488_148
; %bb.150:                              ;   in Loop: Header=BB1488_149 Depth=1
	s_add_u32 s20, s20, -1
	s_addc_u32 s21, s21, -1
	v_add_co_u32 v2, vcc_lo, v2, 4
	s_cmp_eq_u64 s[20:21], 0
	v_add_co_ci_u32_e32 v3, vcc_lo, 0, v3, vcc_lo
	v_add_co_u32 v6, vcc_lo, v6, 4
	s_cselect_b32 s28, -1, 0
	v_add_co_ci_u32_e32 v7, vcc_lo, 0, v7, vcc_lo
	s_and_not1_b32 s27, s27, exec_lo
	s_and_b32 s29, s29, exec_lo
	s_and_not1_b32 s25, s25, exec_lo
	s_and_b32 s28, s28, exec_lo
	s_or_b32 s27, s27, s29
	s_and_not1_b32 s26, s26, exec_lo
	s_or_b32 s25, s25, s28
                                        ; implicit-def: $sgpr28
	s_branch .LBB1488_148
.LBB1488_151:
	s_set_inst_prefetch_distance 0x2
	s_or_b32 exec_lo, exec_lo, s23
	s_xor_b32 s0, s24, -1
	s_branch .LBB1488_153
.LBB1488_152:
	s_mov_b32 s0, -1
.LBB1488_153:
	s_delay_alu instid0(SALU_CYCLE_1)
	s_and_b32 s0, s0, exec_lo
.LBB1488_154:
	s_or_b32 exec_lo, exec_lo, s19
	s_delay_alu instid0(SALU_CYCLE_1)
	s_or_not1_b32 s19, s0, exec_lo
.LBB1488_155:
	s_or_b32 exec_lo, exec_lo, s22
	v_cndmask_b32_e64 v2, v9, v8, s19
	v_cndmask_b32_e64 v3, v15, v14, s19
	s_mov_b32 s0, -1
	s_mov_b32 s22, exec_lo
	s_delay_alu instid0(VALU_DEP_2) | instskip(NEXT) | instid1(VALU_DEP_2)
	v_add_nc_u32_e32 v6, 1, v2
	v_add_nc_u32_e32 v2, -1, v3
	s_delay_alu instid0(VALU_DEP_2) | instskip(NEXT) | instid1(VALU_DEP_2)
	v_cndmask_b32_e64 v25, v6, v9, s19
	v_min_u32_e32 v2, v6, v2
	v_cndmask_b32_e64 v22, v8, v6, s19
	s_delay_alu instid0(VALU_DEP_2)
	v_lshl_add_u32 v2, v2, 3, v16
	ds_load_b64 v[2:3], v2
	s_waitcnt lgkmcnt(0)
	v_cndmask_b32_e64 v23, v3, v10, s19
	v_cndmask_b32_e64 v24, v2, v11, s19
	;; [unrolled: 1-line block ×4, first 2 shown]
	v_cmpx_lt_u32_e64 v25, v15
	s_cbranch_execz .LBB1488_166
; %bb.156:
	s_mov_b32 s0, 0
	s_mov_b32 s23, exec_lo
	v_cmpx_lt_u32_e64 v22, v14
	s_cbranch_execz .LBB1488_165
; %bb.157:
	s_and_not1_b32 vcc_lo, exec_lo, s7
	s_cbranch_vccnz .LBB1488_163
; %bb.158:
	v_mul_lo_u32 v8, v23, s8
	v_mul_lo_u32 v9, v24, s9
	v_mad_u64_u32 v[2:3], null, v24, s8, 0
	v_mul_lo_u32 v42, v40, s8
	v_mul_lo_u32 v43, v41, s9
	v_mad_u64_u32 v[6:7], null, v41, s8, 0
	s_mov_b32 s24, 0
	s_mov_b64 s[20:21], s[8:9]
	s_delay_alu instid0(VALU_DEP_4) | instskip(NEXT) | instid1(VALU_DEP_2)
	v_add3_u32 v3, v3, v9, v8
                                        ; implicit-def: $sgpr25
                                        ; implicit-def: $sgpr26
                                        ; implicit-def: $sgpr27
                                        ; implicit-def: $sgpr28
                                        ; implicit-def: $sgpr29
	v_add3_u32 v7, v7, v43, v42
	s_delay_alu instid0(VALU_DEP_2) | instskip(NEXT) | instid1(VALU_DEP_2)
	v_lshlrev_b64 v[2:3], 2, v[2:3]
	v_lshlrev_b64 v[6:7], 2, v[6:7]
	s_delay_alu instid0(VALU_DEP_2) | instskip(NEXT) | instid1(VALU_DEP_3)
	v_add_co_u32 v2, vcc_lo, s10, v2
	v_add_co_ci_u32_e32 v3, vcc_lo, s11, v3, vcc_lo
	s_delay_alu instid0(VALU_DEP_3) | instskip(NEXT) | instid1(VALU_DEP_4)
	v_add_co_u32 v6, vcc_lo, s10, v6
	v_add_co_ci_u32_e32 v7, vcc_lo, s11, v7, vcc_lo
	s_set_inst_prefetch_distance 0x1
	s_branch .LBB1488_160
	.p2align	6
.LBB1488_159:                           ;   in Loop: Header=BB1488_160 Depth=1
	s_or_b32 exec_lo, exec_lo, s0
	s_delay_alu instid0(SALU_CYCLE_1) | instskip(NEXT) | instid1(SALU_CYCLE_1)
	s_and_b32 s0, exec_lo, s26
	s_or_b32 s24, s0, s24
	s_and_not1_b32 s0, s29, exec_lo
	s_and_b32 s29, s28, exec_lo
	s_and_not1_b32 s25, s25, exec_lo
	s_and_b32 s30, s27, exec_lo
	s_or_b32 s29, s0, s29
	s_or_b32 s25, s25, s30
	s_and_not1_b32 exec_lo, exec_lo, s24
	s_cbranch_execz .LBB1488_162
.LBB1488_160:                           ; =>This Inner Loop Header: Depth=1
	global_load_b32 v8, v[2:3], off
	global_load_b32 v9, v[6:7], off
	s_and_not1_b32 s27, s27, exec_lo
	s_and_not1_b32 s28, s28, exec_lo
	s_or_b32 s26, s26, exec_lo
	s_waitcnt vmcnt(0)
	v_cmp_le_u32_e32 vcc_lo, v8, v9
	v_cmp_lt_u32_e64 s0, v8, v9
	s_and_b32 s30, vcc_lo, s29
	s_delay_alu instid0(VALU_DEP_1) | instid1(SALU_CYCLE_1)
	s_or_b32 s30, s0, s30
	s_delay_alu instid0(SALU_CYCLE_1) | instskip(NEXT) | instid1(SALU_CYCLE_1)
	s_and_b32 s0, s30, exec_lo
	s_or_b32 s27, s27, s0
	s_mov_b32 s0, exec_lo
	v_cmpx_eq_u32_e64 v8, v9
	s_cbranch_execz .LBB1488_159
; %bb.161:                              ;   in Loop: Header=BB1488_160 Depth=1
	s_add_u32 s20, s20, -1
	s_addc_u32 s21, s21, -1
	v_add_co_u32 v2, vcc_lo, v2, 4
	s_cmp_eq_u64 s[20:21], 0
	v_add_co_ci_u32_e32 v3, vcc_lo, 0, v3, vcc_lo
	v_add_co_u32 v6, vcc_lo, v6, 4
	s_cselect_b32 s29, -1, 0
	v_add_co_ci_u32_e32 v7, vcc_lo, 0, v7, vcc_lo
	s_and_not1_b32 s28, s28, exec_lo
	s_and_b32 s30, s30, exec_lo
	s_and_not1_b32 s26, s26, exec_lo
	s_and_b32 s29, s29, exec_lo
	s_or_b32 s28, s28, s30
	s_and_not1_b32 s27, s27, exec_lo
	s_or_b32 s26, s26, s29
                                        ; implicit-def: $sgpr29
	s_branch .LBB1488_159
.LBB1488_162:
	s_set_inst_prefetch_distance 0x2
	s_or_b32 exec_lo, exec_lo, s24
	s_xor_b32 s0, s25, -1
	s_branch .LBB1488_164
.LBB1488_163:
	s_mov_b32 s0, -1
.LBB1488_164:
	s_delay_alu instid0(SALU_CYCLE_1)
	s_and_b32 s0, s0, exec_lo
.LBB1488_165:
	s_or_b32 exec_lo, exec_lo, s23
	s_delay_alu instid0(SALU_CYCLE_1)
	s_or_not1_b32 s0, s0, exec_lo
.LBB1488_166:
	s_or_b32 exec_lo, exec_lo, s22
	v_cndmask_b32_e64 v2, v25, v22, s0
	v_cndmask_b32_e64 v3, v15, v14, s0
	;; [unrolled: 1-line block ×5, first 2 shown]
	v_add_nc_u32_e32 v42, 1, v2
	v_add_nc_u32_e32 v2, -1, v3
	v_cndmask_b32_e64 v3, v10, v20, s19
	v_cndmask_b32_e64 v4, v24, v41, s0
	s_mov_b32 s12, exec_lo
	v_cndmask_b32_e64 v10, v42, v25, s0
	v_min_u32_e32 v2, v42, v2
	s_delay_alu instid0(VALU_DEP_1)
	v_lshl_add_u32 v2, v2, 3, v16
	ds_load_b64 v[8:9], v2
	v_cndmask_b32_e64 v2, v11, v21, s19
	s_waitcnt lgkmcnt(0)
	v_cndmask_b32_e64 v7, v40, v9, s0
	v_cndmask_b32_e64 v6, v41, v8, s0
	v_cmpx_lt_u32_e64 v10, v15
	s_cbranch_execz .LBB1488_176
; %bb.167:
	v_cndmask_b32_e64 v10, v22, v42, s0
	v_cndmask_b32_e64 v9, v9, v23, s0
	;; [unrolled: 1-line block ×3, first 2 shown]
	s_mov_b32 s19, exec_lo
	s_delay_alu instid0(VALU_DEP_3)
	v_cmpx_lt_u32_e64 v10, v14
	s_cbranch_execz .LBB1488_175
; %bb.168:
	s_and_not1_b32 vcc_lo, exec_lo, s7
	s_cbranch_vccnz .LBB1488_174
; %bb.169:
	v_mul_lo_u32 v20, v9, s8
	v_mul_lo_u32 v21, v8, s9
	v_mad_u64_u32 v[10:11], null, v8, s8, 0
	v_mul_lo_u32 v22, v7, s8
	v_mul_lo_u32 v23, v6, s9
	v_mad_u64_u32 v[14:15], null, v6, s8, 0
	s_mov_b32 s22, 0
	s_mov_b64 s[20:21], s[8:9]
	s_delay_alu instid0(VALU_DEP_4) | instskip(NEXT) | instid1(VALU_DEP_2)
	v_add3_u32 v11, v11, v21, v20
                                        ; implicit-def: $sgpr23
                                        ; implicit-def: $sgpr24
                                        ; implicit-def: $sgpr25
                                        ; implicit-def: $sgpr26
                                        ; implicit-def: $sgpr27
	v_add3_u32 v15, v15, v23, v22
	s_delay_alu instid0(VALU_DEP_2) | instskip(NEXT) | instid1(VALU_DEP_2)
	v_lshlrev_b64 v[10:11], 2, v[10:11]
	v_lshlrev_b64 v[14:15], 2, v[14:15]
	s_delay_alu instid0(VALU_DEP_2) | instskip(NEXT) | instid1(VALU_DEP_3)
	v_add_co_u32 v10, vcc_lo, s10, v10
	v_add_co_ci_u32_e32 v11, vcc_lo, s11, v11, vcc_lo
	s_delay_alu instid0(VALU_DEP_3) | instskip(NEXT) | instid1(VALU_DEP_4)
	v_add_co_u32 v14, vcc_lo, s10, v14
	v_add_co_ci_u32_e32 v15, vcc_lo, s11, v15, vcc_lo
	s_set_inst_prefetch_distance 0x1
	s_branch .LBB1488_171
	.p2align	6
.LBB1488_170:                           ;   in Loop: Header=BB1488_171 Depth=1
	s_or_b32 exec_lo, exec_lo, s0
	s_delay_alu instid0(SALU_CYCLE_1) | instskip(NEXT) | instid1(SALU_CYCLE_1)
	s_and_b32 s0, exec_lo, s24
	s_or_b32 s22, s0, s22
	s_and_not1_b32 s0, s27, exec_lo
	s_and_b32 s27, s26, exec_lo
	s_and_not1_b32 s23, s23, exec_lo
	s_and_b32 s28, s25, exec_lo
	s_or_b32 s27, s0, s27
	s_or_b32 s23, s23, s28
	s_and_not1_b32 exec_lo, exec_lo, s22
	s_cbranch_execz .LBB1488_173
.LBB1488_171:                           ; =>This Inner Loop Header: Depth=1
	global_load_b32 v20, v[10:11], off
	global_load_b32 v21, v[14:15], off
	s_and_not1_b32 s25, s25, exec_lo
	s_and_not1_b32 s26, s26, exec_lo
	s_or_b32 s24, s24, exec_lo
	s_waitcnt vmcnt(0)
	v_cmp_le_u32_e32 vcc_lo, v20, v21
	v_cmp_lt_u32_e64 s0, v20, v21
	s_and_b32 s28, vcc_lo, s27
	s_delay_alu instid0(VALU_DEP_1) | instid1(SALU_CYCLE_1)
	s_or_b32 s28, s0, s28
	s_delay_alu instid0(SALU_CYCLE_1) | instskip(NEXT) | instid1(SALU_CYCLE_1)
	s_and_b32 s0, s28, exec_lo
	s_or_b32 s25, s25, s0
	s_mov_b32 s0, exec_lo
	v_cmpx_eq_u32_e64 v20, v21
	s_cbranch_execz .LBB1488_170
; %bb.172:                              ;   in Loop: Header=BB1488_171 Depth=1
	s_add_u32 s20, s20, -1
	s_addc_u32 s21, s21, -1
	v_add_co_u32 v10, vcc_lo, v10, 4
	s_cmp_eq_u64 s[20:21], 0
	v_add_co_ci_u32_e32 v11, vcc_lo, 0, v11, vcc_lo
	v_add_co_u32 v14, vcc_lo, v14, 4
	s_cselect_b32 s27, -1, 0
	v_add_co_ci_u32_e32 v15, vcc_lo, 0, v15, vcc_lo
	s_and_not1_b32 s26, s26, exec_lo
	s_and_b32 s28, s28, exec_lo
	s_and_not1_b32 s24, s24, exec_lo
	s_and_b32 s27, s27, exec_lo
	s_or_b32 s26, s26, s28
	s_and_not1_b32 s25, s25, exec_lo
	s_or_b32 s24, s24, s27
                                        ; implicit-def: $sgpr27
	s_branch .LBB1488_170
.LBB1488_173:
	s_set_inst_prefetch_distance 0x2
	s_or_b32 exec_lo, exec_lo, s22
	v_cndmask_b32_e64 v7, v7, v9, s23
	v_cndmask_b32_e64 v6, v6, v8, s23
.LBB1488_174:
	s_delay_alu instid0(VALU_DEP_1)
	v_dual_mov_b32 v9, v7 :: v_dual_mov_b32 v8, v6
.LBB1488_175:
	s_or_b32 exec_lo, exec_lo, s19
	s_delay_alu instid0(VALU_DEP_1)
	v_dual_mov_b32 v6, v8 :: v_dual_mov_b32 v7, v9
.LBB1488_176:
	s_or_b32 exec_lo, exec_lo, s12
.LBB1488_177:
	s_delay_alu instid0(SALU_CYCLE_1) | instskip(SKIP_3) | instid1(VALU_DEP_2)
	s_or_b32 exec_lo, exec_lo, s1
	v_and_b32_e32 v22, 0x60, v18
	v_and_b32_e32 v9, 28, v18
	s_mov_b32 s1, exec_lo
	; wave barrier
	v_or_b32_e32 v8, 16, v22
	s_delay_alu instid0(VALU_DEP_2) | instskip(SKIP_4) | instid1(VALU_DEP_1)
	v_min_u32_e32 v23, v17, v9
	v_lshl_add_u32 v21, v22, 3, v16
	ds_store_b128 v19, v[0:3]
	ds_store_b128 v19, v[4:7] offset:16
	v_min_u32_e32 v14, v17, v8
	; wave barrier
	v_add_nc_u32_e32 v8, 16, v14
	v_sub_nc_u32_e32 v9, v14, v22
	s_delay_alu instid0(VALU_DEP_2) | instskip(NEXT) | instid1(VALU_DEP_2)
	v_min_u32_e32 v15, v17, v8
	v_min_u32_e32 v24, v23, v9
	s_delay_alu instid0(VALU_DEP_2) | instskip(NEXT) | instid1(VALU_DEP_1)
	v_sub_nc_u32_e32 v8, v15, v14
	v_sub_nc_u32_e64 v20, v23, v8 clamp
	s_delay_alu instid0(VALU_DEP_1)
	v_cmpx_lt_u32_e64 v20, v24
	s_cbranch_execz .LBB1488_187
; %bb.178:
	v_lshlrev_b32_e32 v8, 3, v14
	v_lshlrev_b32_e32 v9, 3, v23
	s_lshl_b64 s[20:21], s[8:9], 2
	s_mov_b32 s12, 0
	s_delay_alu instid0(VALU_DEP_1)
	v_add3_u32 v25, v16, v8, v9
	s_branch .LBB1488_181
.LBB1488_179:                           ;   in Loop: Header=BB1488_181 Depth=1
	s_set_inst_prefetch_distance 0x2
	s_or_b32 exec_lo, exec_lo, s19
.LBB1488_180:                           ;   in Loop: Header=BB1488_181 Depth=1
	s_delay_alu instid0(VALU_DEP_1) | instskip(SKIP_1) | instid1(VALU_DEP_2)
	v_add_nc_u32_e32 v8, 1, v40
	v_cndmask_b32_e64 v24, v24, v40, s24
	v_cndmask_b32_e64 v20, v8, v20, s24
	s_delay_alu instid0(VALU_DEP_1) | instskip(SKIP_1) | instid1(SALU_CYCLE_1)
	v_cmp_ge_u32_e32 vcc_lo, v20, v24
	s_or_b32 s12, vcc_lo, s12
	s_and_not1_b32 exec_lo, exec_lo, s12
	s_cbranch_execz .LBB1488_186
.LBB1488_181:                           ; =>This Loop Header: Depth=1
                                        ;     Child Loop BB1488_184 Depth 2
	v_add_nc_u32_e32 v8, v24, v20
	s_and_not1_b32 vcc_lo, exec_lo, s7
	s_mov_b32 s24, 0
	s_delay_alu instid0(VALU_DEP_1)
	v_lshrrev_b32_e32 v40, 1, v8
	s_cbranch_vccnz .LBB1488_180
; %bb.182:                              ;   in Loop: Header=BB1488_181 Depth=1
	s_delay_alu instid0(VALU_DEP_1) | instskip(SKIP_3) | instid1(VALU_DEP_2)
	v_not_b32_e32 v8, v40
	v_lshl_add_u32 v9, v40, 3, v21
	s_mov_b32 s19, 0
	s_mov_b64 s[22:23], s[8:9]
                                        ; implicit-def: $sgpr24
                                        ; implicit-def: $sgpr25
                                        ; implicit-def: $sgpr26
                                        ; implicit-def: $sgpr27
                                        ; implicit-def: $sgpr28
	v_lshl_add_u32 v8, v8, 3, v25
	ds_load_b64 v[10:11], v8
	ds_load_b64 v[41:42], v9
	s_waitcnt lgkmcnt(1)
	v_mul_lo_u32 v43, s20, v11
	v_mul_lo_u32 v44, s21, v10
	v_mad_u64_u32 v[8:9], null, s20, v10, s[10:11]
	s_waitcnt lgkmcnt(0)
	v_mul_lo_u32 v42, s20, v42
	v_mul_lo_u32 v45, s21, v41
	v_mad_u64_u32 v[10:11], null, s20, v41, s[10:11]
	s_delay_alu instid0(VALU_DEP_4) | instskip(NEXT) | instid1(VALU_DEP_2)
	v_add3_u32 v9, v44, v9, v43
	v_add3_u32 v11, v45, v11, v42
	s_set_inst_prefetch_distance 0x1
	s_branch .LBB1488_184
	.p2align	6
.LBB1488_183:                           ;   in Loop: Header=BB1488_184 Depth=2
	s_or_b32 exec_lo, exec_lo, s29
	s_delay_alu instid0(SALU_CYCLE_1) | instskip(NEXT) | instid1(SALU_CYCLE_1)
	s_and_b32 s0, exec_lo, s25
	s_or_b32 s19, s0, s19
	s_and_not1_b32 s0, s28, exec_lo
	s_and_b32 s28, s26, exec_lo
	s_and_not1_b32 s24, s24, exec_lo
	s_and_b32 s29, s27, exec_lo
	s_or_b32 s28, s0, s28
	s_or_b32 s24, s24, s29
	s_and_not1_b32 exec_lo, exec_lo, s19
	s_cbranch_execz .LBB1488_179
.LBB1488_184:                           ;   Parent Loop BB1488_181 Depth=1
                                        ; =>  This Inner Loop Header: Depth=2
	global_load_b32 v41, v[8:9], off
	global_load_b32 v42, v[10:11], off
	s_and_not1_b32 s27, s27, exec_lo
	s_and_not1_b32 s26, s26, exec_lo
	s_or_b32 s25, s25, exec_lo
	s_waitcnt vmcnt(0)
	v_cmp_le_u32_e32 vcc_lo, v41, v42
	v_cmp_lt_u32_e64 s0, v41, v42
	s_and_b32 s29, vcc_lo, s28
	s_delay_alu instid0(VALU_DEP_1) | instid1(SALU_CYCLE_1)
	s_or_b32 s0, s0, s29
	s_delay_alu instid0(SALU_CYCLE_1) | instskip(NEXT) | instid1(SALU_CYCLE_1)
	s_and_b32 s29, s0, exec_lo
	s_or_b32 s27, s27, s29
	s_mov_b32 s29, exec_lo
	v_cmpx_eq_u32_e64 v41, v42
	s_cbranch_execz .LBB1488_183
; %bb.185:                              ;   in Loop: Header=BB1488_184 Depth=2
	s_add_u32 s22, s22, -1
	s_addc_u32 s23, s23, -1
	v_add_co_u32 v8, vcc_lo, v8, 4
	v_add_co_ci_u32_e32 v9, vcc_lo, 0, v9, vcc_lo
	s_cmp_eq_u64 s[22:23], 0
	v_add_co_u32 v10, vcc_lo, v10, 4
	s_cselect_b32 s28, -1, 0
	v_add_co_ci_u32_e32 v11, vcc_lo, 0, v11, vcc_lo
	s_and_not1_b32 s26, s26, exec_lo
	s_and_b32 s0, s0, exec_lo
	s_and_not1_b32 s25, s25, exec_lo
	s_and_b32 s28, s28, exec_lo
	s_and_not1_b32 s27, s27, exec_lo
	s_or_b32 s26, s26, s0
	s_or_b32 s25, s25, s28
                                        ; implicit-def: $sgpr28
	s_branch .LBB1488_183
.LBB1488_186:
	s_or_b32 exec_lo, exec_lo, s12
.LBB1488_187:
	s_delay_alu instid0(SALU_CYCLE_1) | instskip(SKIP_2) | instid1(VALU_DEP_2)
	s_or_b32 exec_lo, exec_lo, s1
	v_add_nc_u32_e32 v9, v14, v23
	v_add_nc_u32_e32 v8, v20, v22
	v_sub_nc_u32_e32 v9, v9, v20
	s_delay_alu instid0(VALU_DEP_2) | instskip(NEXT) | instid1(VALU_DEP_2)
	v_cmp_le_u32_e32 vcc_lo, v8, v14
	v_cmp_le_u32_e64 s0, v9, v15
	s_delay_alu instid0(VALU_DEP_1) | instskip(NEXT) | instid1(SALU_CYCLE_1)
	s_or_b32 s0, vcc_lo, s0
	s_and_saveexec_b32 s1, s0
	s_cbranch_execz .LBB1488_234
; %bb.188:
	v_cmp_ge_u32_e32 vcc_lo, v8, v14
	s_mov_b32 s12, exec_lo
                                        ; implicit-def: $vgpr0_vgpr1
	v_cmpx_lt_u32_e64 v8, v14
	s_cbranch_execz .LBB1488_190
; %bb.189:
	v_lshl_add_u32 v0, v20, 3, v21
	ds_load_b64 v[0:1], v0
.LBB1488_190:
	s_or_b32 exec_lo, exec_lo, s12
	v_cmp_ge_u32_e64 s12, v9, v15
	s_mov_b32 s19, exec_lo
                                        ; implicit-def: $vgpr4_vgpr5
	v_cmpx_lt_u32_e64 v9, v15
	s_cbranch_execz .LBB1488_192
; %bb.191:
	v_lshl_add_u32 v2, v9, 3, v16
	ds_load_b64 v[4:5], v2
.LBB1488_192:
	s_or_b32 exec_lo, exec_lo, s19
	s_or_b32 s0, vcc_lo, s12
	s_mov_b32 s19, -1
	s_xor_b32 s0, s0, -1
	s_delay_alu instid0(SALU_CYCLE_1)
	s_and_saveexec_b32 s22, s0
	s_cbranch_execz .LBB1488_201
; %bb.193:
	s_and_not1_b32 vcc_lo, exec_lo, s7
	s_cbranch_vccnz .LBB1488_199
; %bb.194:
	s_waitcnt lgkmcnt(0)
	v_mul_lo_u32 v10, v5, s8
	v_mul_lo_u32 v11, v4, s9
	v_mad_u64_u32 v[2:3], null, v4, s8, 0
	v_mul_lo_u32 v20, v1, s8
	v_mul_lo_u32 v21, v0, s9
	v_mad_u64_u32 v[6:7], null, v0, s8, 0
	s_mov_b32 s23, 0
	s_mov_b64 s[20:21], s[8:9]
	s_delay_alu instid0(VALU_DEP_4) | instskip(NEXT) | instid1(VALU_DEP_2)
	v_add3_u32 v3, v3, v11, v10
                                        ; implicit-def: $sgpr24
                                        ; implicit-def: $sgpr25
                                        ; implicit-def: $sgpr26
                                        ; implicit-def: $sgpr27
                                        ; implicit-def: $sgpr28
	v_add3_u32 v7, v7, v21, v20
	s_delay_alu instid0(VALU_DEP_2) | instskip(NEXT) | instid1(VALU_DEP_2)
	v_lshlrev_b64 v[2:3], 2, v[2:3]
	v_lshlrev_b64 v[6:7], 2, v[6:7]
	s_delay_alu instid0(VALU_DEP_2) | instskip(NEXT) | instid1(VALU_DEP_3)
	v_add_co_u32 v2, vcc_lo, s10, v2
	v_add_co_ci_u32_e32 v3, vcc_lo, s11, v3, vcc_lo
	s_delay_alu instid0(VALU_DEP_3) | instskip(NEXT) | instid1(VALU_DEP_4)
	v_add_co_u32 v6, vcc_lo, s10, v6
	v_add_co_ci_u32_e32 v7, vcc_lo, s11, v7, vcc_lo
	s_set_inst_prefetch_distance 0x1
	s_branch .LBB1488_196
	.p2align	6
.LBB1488_195:                           ;   in Loop: Header=BB1488_196 Depth=1
	s_or_b32 exec_lo, exec_lo, s0
	s_delay_alu instid0(SALU_CYCLE_1) | instskip(NEXT) | instid1(SALU_CYCLE_1)
	s_and_b32 s0, exec_lo, s25
	s_or_b32 s23, s0, s23
	s_and_not1_b32 s0, s28, exec_lo
	s_and_b32 s28, s27, exec_lo
	s_and_not1_b32 s24, s24, exec_lo
	s_and_b32 s29, s26, exec_lo
	s_or_b32 s28, s0, s28
	s_or_b32 s24, s24, s29
	s_and_not1_b32 exec_lo, exec_lo, s23
	s_cbranch_execz .LBB1488_198
.LBB1488_196:                           ; =>This Inner Loop Header: Depth=1
	global_load_b32 v10, v[2:3], off
	global_load_b32 v11, v[6:7], off
	s_and_not1_b32 s26, s26, exec_lo
	s_and_not1_b32 s27, s27, exec_lo
	s_or_b32 s25, s25, exec_lo
	s_waitcnt vmcnt(0)
	v_cmp_le_u32_e32 vcc_lo, v10, v11
	v_cmp_lt_u32_e64 s0, v10, v11
	s_and_b32 s29, vcc_lo, s28
	s_delay_alu instid0(VALU_DEP_1) | instid1(SALU_CYCLE_1)
	s_or_b32 s29, s0, s29
	s_delay_alu instid0(SALU_CYCLE_1) | instskip(NEXT) | instid1(SALU_CYCLE_1)
	s_and_b32 s0, s29, exec_lo
	s_or_b32 s26, s26, s0
	s_mov_b32 s0, exec_lo
	v_cmpx_eq_u32_e64 v10, v11
	s_cbranch_execz .LBB1488_195
; %bb.197:                              ;   in Loop: Header=BB1488_196 Depth=1
	s_add_u32 s20, s20, -1
	s_addc_u32 s21, s21, -1
	v_add_co_u32 v2, vcc_lo, v2, 4
	s_cmp_eq_u64 s[20:21], 0
	v_add_co_ci_u32_e32 v3, vcc_lo, 0, v3, vcc_lo
	v_add_co_u32 v6, vcc_lo, v6, 4
	s_cselect_b32 s28, -1, 0
	v_add_co_ci_u32_e32 v7, vcc_lo, 0, v7, vcc_lo
	s_and_not1_b32 s27, s27, exec_lo
	s_and_b32 s29, s29, exec_lo
	s_and_not1_b32 s25, s25, exec_lo
	s_and_b32 s28, s28, exec_lo
	s_or_b32 s27, s27, s29
	s_and_not1_b32 s26, s26, exec_lo
	s_or_b32 s25, s25, s28
                                        ; implicit-def: $sgpr28
	s_branch .LBB1488_195
.LBB1488_198:
	s_set_inst_prefetch_distance 0x2
	s_or_b32 exec_lo, exec_lo, s23
	s_xor_b32 s0, s24, -1
	s_branch .LBB1488_200
.LBB1488_199:
	s_mov_b32 s0, -1
.LBB1488_200:
	s_and_not1_b32 s12, s12, exec_lo
	s_and_b32 s0, s0, exec_lo
	s_delay_alu instid0(SALU_CYCLE_1)
	s_or_b32 s12, s12, s0
.LBB1488_201:
	s_or_b32 exec_lo, exec_lo, s22
	v_cndmask_b32_e64 v2, v9, v8, s12
	v_cndmask_b32_e64 v3, v15, v14, s12
	s_mov_b32 s22, exec_lo
	s_delay_alu instid0(VALU_DEP_2) | instskip(NEXT) | instid1(VALU_DEP_2)
	v_add_nc_u32_e32 v6, 1, v2
	v_add_nc_u32_e32 v2, -1, v3
	s_delay_alu instid0(VALU_DEP_2) | instskip(NEXT) | instid1(VALU_DEP_2)
	v_cndmask_b32_e64 v9, v6, v9, s12
	v_min_u32_e32 v2, v6, v2
	v_cndmask_b32_e64 v8, v8, v6, s12
	s_delay_alu instid0(VALU_DEP_2)
	v_lshl_add_u32 v2, v2, 3, v16
	ds_load_b64 v[2:3], v2
	s_waitcnt lgkmcnt(0)
	v_cndmask_b32_e64 v10, v3, v5, s12
	v_cndmask_b32_e64 v11, v2, v4, s12
	;; [unrolled: 1-line block ×4, first 2 shown]
	v_cmpx_lt_u32_e64 v9, v15
	s_cbranch_execz .LBB1488_212
; %bb.202:
	s_mov_b32 s0, 0
	s_mov_b32 s19, exec_lo
	v_cmpx_lt_u32_e64 v8, v14
	s_cbranch_execz .LBB1488_211
; %bb.203:
	s_and_not1_b32 vcc_lo, exec_lo, s7
	s_cbranch_vccnz .LBB1488_209
; %bb.204:
	v_mul_lo_u32 v22, v10, s8
	v_mul_lo_u32 v23, v11, s9
	v_mad_u64_u32 v[2:3], null, v11, s8, 0
	v_mul_lo_u32 v24, v20, s8
	v_mul_lo_u32 v25, v21, s9
	v_mad_u64_u32 v[6:7], null, v21, s8, 0
	s_mov_b32 s23, 0
	s_mov_b64 s[20:21], s[8:9]
	s_delay_alu instid0(VALU_DEP_4) | instskip(NEXT) | instid1(VALU_DEP_2)
	v_add3_u32 v3, v3, v23, v22
                                        ; implicit-def: $sgpr24
                                        ; implicit-def: $sgpr25
                                        ; implicit-def: $sgpr26
                                        ; implicit-def: $sgpr27
                                        ; implicit-def: $sgpr28
	v_add3_u32 v7, v7, v25, v24
	s_delay_alu instid0(VALU_DEP_2) | instskip(NEXT) | instid1(VALU_DEP_2)
	v_lshlrev_b64 v[2:3], 2, v[2:3]
	v_lshlrev_b64 v[6:7], 2, v[6:7]
	s_delay_alu instid0(VALU_DEP_2) | instskip(NEXT) | instid1(VALU_DEP_3)
	v_add_co_u32 v2, vcc_lo, s10, v2
	v_add_co_ci_u32_e32 v3, vcc_lo, s11, v3, vcc_lo
	s_delay_alu instid0(VALU_DEP_3) | instskip(NEXT) | instid1(VALU_DEP_4)
	v_add_co_u32 v6, vcc_lo, s10, v6
	v_add_co_ci_u32_e32 v7, vcc_lo, s11, v7, vcc_lo
	s_set_inst_prefetch_distance 0x1
	s_branch .LBB1488_206
	.p2align	6
.LBB1488_205:                           ;   in Loop: Header=BB1488_206 Depth=1
	s_or_b32 exec_lo, exec_lo, s0
	s_delay_alu instid0(SALU_CYCLE_1) | instskip(NEXT) | instid1(SALU_CYCLE_1)
	s_and_b32 s0, exec_lo, s25
	s_or_b32 s23, s0, s23
	s_and_not1_b32 s0, s28, exec_lo
	s_and_b32 s28, s27, exec_lo
	s_and_not1_b32 s24, s24, exec_lo
	s_and_b32 s29, s26, exec_lo
	s_or_b32 s28, s0, s28
	s_or_b32 s24, s24, s29
	s_and_not1_b32 exec_lo, exec_lo, s23
	s_cbranch_execz .LBB1488_208
.LBB1488_206:                           ; =>This Inner Loop Header: Depth=1
	global_load_b32 v22, v[2:3], off
	global_load_b32 v23, v[6:7], off
	s_and_not1_b32 s26, s26, exec_lo
	s_and_not1_b32 s27, s27, exec_lo
	s_or_b32 s25, s25, exec_lo
	s_waitcnt vmcnt(0)
	v_cmp_le_u32_e32 vcc_lo, v22, v23
	v_cmp_lt_u32_e64 s0, v22, v23
	s_and_b32 s29, vcc_lo, s28
	s_delay_alu instid0(VALU_DEP_1) | instid1(SALU_CYCLE_1)
	s_or_b32 s29, s0, s29
	s_delay_alu instid0(SALU_CYCLE_1) | instskip(NEXT) | instid1(SALU_CYCLE_1)
	s_and_b32 s0, s29, exec_lo
	s_or_b32 s26, s26, s0
	s_mov_b32 s0, exec_lo
	v_cmpx_eq_u32_e64 v22, v23
	s_cbranch_execz .LBB1488_205
; %bb.207:                              ;   in Loop: Header=BB1488_206 Depth=1
	s_add_u32 s20, s20, -1
	s_addc_u32 s21, s21, -1
	v_add_co_u32 v2, vcc_lo, v2, 4
	s_cmp_eq_u64 s[20:21], 0
	v_add_co_ci_u32_e32 v3, vcc_lo, 0, v3, vcc_lo
	v_add_co_u32 v6, vcc_lo, v6, 4
	s_cselect_b32 s28, -1, 0
	v_add_co_ci_u32_e32 v7, vcc_lo, 0, v7, vcc_lo
	s_and_not1_b32 s27, s27, exec_lo
	s_and_b32 s29, s29, exec_lo
	s_and_not1_b32 s25, s25, exec_lo
	s_and_b32 s28, s28, exec_lo
	s_or_b32 s27, s27, s29
	s_and_not1_b32 s26, s26, exec_lo
	s_or_b32 s25, s25, s28
                                        ; implicit-def: $sgpr28
	s_branch .LBB1488_205
.LBB1488_208:
	s_set_inst_prefetch_distance 0x2
	s_or_b32 exec_lo, exec_lo, s23
	s_xor_b32 s0, s24, -1
	s_branch .LBB1488_210
.LBB1488_209:
	s_mov_b32 s0, -1
.LBB1488_210:
	s_delay_alu instid0(SALU_CYCLE_1)
	s_and_b32 s0, s0, exec_lo
.LBB1488_211:
	s_or_b32 exec_lo, exec_lo, s19
	s_delay_alu instid0(SALU_CYCLE_1)
	s_or_not1_b32 s19, s0, exec_lo
.LBB1488_212:
	s_or_b32 exec_lo, exec_lo, s22
	v_cndmask_b32_e64 v2, v9, v8, s19
	v_cndmask_b32_e64 v3, v15, v14, s19
	s_mov_b32 s0, -1
	s_mov_b32 s22, exec_lo
	s_delay_alu instid0(VALU_DEP_2) | instskip(NEXT) | instid1(VALU_DEP_2)
	v_add_nc_u32_e32 v6, 1, v2
	v_add_nc_u32_e32 v2, -1, v3
	s_delay_alu instid0(VALU_DEP_2) | instskip(NEXT) | instid1(VALU_DEP_2)
	v_cndmask_b32_e64 v25, v6, v9, s19
	v_min_u32_e32 v2, v6, v2
	v_cndmask_b32_e64 v22, v8, v6, s19
	s_delay_alu instid0(VALU_DEP_2)
	v_lshl_add_u32 v2, v2, 3, v16
	ds_load_b64 v[2:3], v2
	s_waitcnt lgkmcnt(0)
	v_cndmask_b32_e64 v23, v3, v10, s19
	v_cndmask_b32_e64 v24, v2, v11, s19
	;; [unrolled: 1-line block ×4, first 2 shown]
	v_cmpx_lt_u32_e64 v25, v15
	s_cbranch_execz .LBB1488_223
; %bb.213:
	s_mov_b32 s0, 0
	s_mov_b32 s23, exec_lo
	v_cmpx_lt_u32_e64 v22, v14
	s_cbranch_execz .LBB1488_222
; %bb.214:
	s_and_not1_b32 vcc_lo, exec_lo, s7
	s_cbranch_vccnz .LBB1488_220
; %bb.215:
	v_mul_lo_u32 v8, v23, s8
	v_mul_lo_u32 v9, v24, s9
	v_mad_u64_u32 v[2:3], null, v24, s8, 0
	v_mul_lo_u32 v42, v40, s8
	v_mul_lo_u32 v43, v41, s9
	v_mad_u64_u32 v[6:7], null, v41, s8, 0
	s_mov_b32 s24, 0
	s_mov_b64 s[20:21], s[8:9]
	s_delay_alu instid0(VALU_DEP_4) | instskip(NEXT) | instid1(VALU_DEP_2)
	v_add3_u32 v3, v3, v9, v8
                                        ; implicit-def: $sgpr25
                                        ; implicit-def: $sgpr26
                                        ; implicit-def: $sgpr27
                                        ; implicit-def: $sgpr28
                                        ; implicit-def: $sgpr29
	v_add3_u32 v7, v7, v43, v42
	s_delay_alu instid0(VALU_DEP_2) | instskip(NEXT) | instid1(VALU_DEP_2)
	v_lshlrev_b64 v[2:3], 2, v[2:3]
	v_lshlrev_b64 v[6:7], 2, v[6:7]
	s_delay_alu instid0(VALU_DEP_2) | instskip(NEXT) | instid1(VALU_DEP_3)
	v_add_co_u32 v2, vcc_lo, s10, v2
	v_add_co_ci_u32_e32 v3, vcc_lo, s11, v3, vcc_lo
	s_delay_alu instid0(VALU_DEP_3) | instskip(NEXT) | instid1(VALU_DEP_4)
	v_add_co_u32 v6, vcc_lo, s10, v6
	v_add_co_ci_u32_e32 v7, vcc_lo, s11, v7, vcc_lo
	s_set_inst_prefetch_distance 0x1
	s_branch .LBB1488_217
	.p2align	6
.LBB1488_216:                           ;   in Loop: Header=BB1488_217 Depth=1
	s_or_b32 exec_lo, exec_lo, s0
	s_delay_alu instid0(SALU_CYCLE_1) | instskip(NEXT) | instid1(SALU_CYCLE_1)
	s_and_b32 s0, exec_lo, s26
	s_or_b32 s24, s0, s24
	s_and_not1_b32 s0, s29, exec_lo
	s_and_b32 s29, s28, exec_lo
	s_and_not1_b32 s25, s25, exec_lo
	s_and_b32 s30, s27, exec_lo
	s_or_b32 s29, s0, s29
	s_or_b32 s25, s25, s30
	s_and_not1_b32 exec_lo, exec_lo, s24
	s_cbranch_execz .LBB1488_219
.LBB1488_217:                           ; =>This Inner Loop Header: Depth=1
	global_load_b32 v8, v[2:3], off
	global_load_b32 v9, v[6:7], off
	s_and_not1_b32 s27, s27, exec_lo
	s_and_not1_b32 s28, s28, exec_lo
	s_or_b32 s26, s26, exec_lo
	s_waitcnt vmcnt(0)
	v_cmp_le_u32_e32 vcc_lo, v8, v9
	v_cmp_lt_u32_e64 s0, v8, v9
	s_and_b32 s30, vcc_lo, s29
	s_delay_alu instid0(VALU_DEP_1) | instid1(SALU_CYCLE_1)
	s_or_b32 s30, s0, s30
	s_delay_alu instid0(SALU_CYCLE_1) | instskip(NEXT) | instid1(SALU_CYCLE_1)
	s_and_b32 s0, s30, exec_lo
	s_or_b32 s27, s27, s0
	s_mov_b32 s0, exec_lo
	v_cmpx_eq_u32_e64 v8, v9
	s_cbranch_execz .LBB1488_216
; %bb.218:                              ;   in Loop: Header=BB1488_217 Depth=1
	s_add_u32 s20, s20, -1
	s_addc_u32 s21, s21, -1
	v_add_co_u32 v2, vcc_lo, v2, 4
	s_cmp_eq_u64 s[20:21], 0
	v_add_co_ci_u32_e32 v3, vcc_lo, 0, v3, vcc_lo
	v_add_co_u32 v6, vcc_lo, v6, 4
	s_cselect_b32 s29, -1, 0
	v_add_co_ci_u32_e32 v7, vcc_lo, 0, v7, vcc_lo
	s_and_not1_b32 s28, s28, exec_lo
	s_and_b32 s30, s30, exec_lo
	s_and_not1_b32 s26, s26, exec_lo
	s_and_b32 s29, s29, exec_lo
	s_or_b32 s28, s28, s30
	s_and_not1_b32 s27, s27, exec_lo
	s_or_b32 s26, s26, s29
                                        ; implicit-def: $sgpr29
	s_branch .LBB1488_216
.LBB1488_219:
	s_set_inst_prefetch_distance 0x2
	s_or_b32 exec_lo, exec_lo, s24
	s_xor_b32 s0, s25, -1
	s_branch .LBB1488_221
.LBB1488_220:
	s_mov_b32 s0, -1
.LBB1488_221:
	s_delay_alu instid0(SALU_CYCLE_1)
	s_and_b32 s0, s0, exec_lo
.LBB1488_222:
	s_or_b32 exec_lo, exec_lo, s23
	s_delay_alu instid0(SALU_CYCLE_1)
	s_or_not1_b32 s0, s0, exec_lo
.LBB1488_223:
	s_or_b32 exec_lo, exec_lo, s22
	v_cndmask_b32_e64 v2, v25, v22, s0
	v_cndmask_b32_e64 v3, v15, v14, s0
	;; [unrolled: 1-line block ×5, first 2 shown]
	v_add_nc_u32_e32 v42, 1, v2
	v_add_nc_u32_e32 v2, -1, v3
	v_cndmask_b32_e64 v3, v10, v20, s19
	v_cndmask_b32_e64 v4, v24, v41, s0
	s_mov_b32 s12, exec_lo
	v_cndmask_b32_e64 v10, v42, v25, s0
	v_min_u32_e32 v2, v42, v2
	s_delay_alu instid0(VALU_DEP_1)
	v_lshl_add_u32 v2, v2, 3, v16
	ds_load_b64 v[8:9], v2
	v_cndmask_b32_e64 v2, v11, v21, s19
	s_waitcnt lgkmcnt(0)
	v_cndmask_b32_e64 v7, v40, v9, s0
	v_cndmask_b32_e64 v6, v41, v8, s0
	v_cmpx_lt_u32_e64 v10, v15
	s_cbranch_execz .LBB1488_233
; %bb.224:
	v_cndmask_b32_e64 v10, v22, v42, s0
	v_cndmask_b32_e64 v9, v9, v23, s0
	;; [unrolled: 1-line block ×3, first 2 shown]
	s_mov_b32 s19, exec_lo
	s_delay_alu instid0(VALU_DEP_3)
	v_cmpx_lt_u32_e64 v10, v14
	s_cbranch_execz .LBB1488_232
; %bb.225:
	s_and_not1_b32 vcc_lo, exec_lo, s7
	s_cbranch_vccnz .LBB1488_231
; %bb.226:
	v_mul_lo_u32 v20, v9, s8
	v_mul_lo_u32 v21, v8, s9
	v_mad_u64_u32 v[10:11], null, v8, s8, 0
	v_mul_lo_u32 v22, v7, s8
	v_mul_lo_u32 v23, v6, s9
	v_mad_u64_u32 v[14:15], null, v6, s8, 0
	s_mov_b32 s22, 0
	s_mov_b64 s[20:21], s[8:9]
	s_delay_alu instid0(VALU_DEP_4) | instskip(NEXT) | instid1(VALU_DEP_2)
	v_add3_u32 v11, v11, v21, v20
                                        ; implicit-def: $sgpr23
                                        ; implicit-def: $sgpr24
                                        ; implicit-def: $sgpr25
                                        ; implicit-def: $sgpr26
                                        ; implicit-def: $sgpr27
	v_add3_u32 v15, v15, v23, v22
	s_delay_alu instid0(VALU_DEP_2) | instskip(NEXT) | instid1(VALU_DEP_2)
	v_lshlrev_b64 v[10:11], 2, v[10:11]
	v_lshlrev_b64 v[14:15], 2, v[14:15]
	s_delay_alu instid0(VALU_DEP_2) | instskip(NEXT) | instid1(VALU_DEP_3)
	v_add_co_u32 v10, vcc_lo, s10, v10
	v_add_co_ci_u32_e32 v11, vcc_lo, s11, v11, vcc_lo
	s_delay_alu instid0(VALU_DEP_3) | instskip(NEXT) | instid1(VALU_DEP_4)
	v_add_co_u32 v14, vcc_lo, s10, v14
	v_add_co_ci_u32_e32 v15, vcc_lo, s11, v15, vcc_lo
	s_set_inst_prefetch_distance 0x1
	s_branch .LBB1488_228
	.p2align	6
.LBB1488_227:                           ;   in Loop: Header=BB1488_228 Depth=1
	s_or_b32 exec_lo, exec_lo, s0
	s_delay_alu instid0(SALU_CYCLE_1) | instskip(NEXT) | instid1(SALU_CYCLE_1)
	s_and_b32 s0, exec_lo, s24
	s_or_b32 s22, s0, s22
	s_and_not1_b32 s0, s27, exec_lo
	s_and_b32 s27, s26, exec_lo
	s_and_not1_b32 s23, s23, exec_lo
	s_and_b32 s28, s25, exec_lo
	s_or_b32 s27, s0, s27
	s_or_b32 s23, s23, s28
	s_and_not1_b32 exec_lo, exec_lo, s22
	s_cbranch_execz .LBB1488_230
.LBB1488_228:                           ; =>This Inner Loop Header: Depth=1
	global_load_b32 v20, v[10:11], off
	global_load_b32 v21, v[14:15], off
	s_and_not1_b32 s25, s25, exec_lo
	s_and_not1_b32 s26, s26, exec_lo
	s_or_b32 s24, s24, exec_lo
	s_waitcnt vmcnt(0)
	v_cmp_le_u32_e32 vcc_lo, v20, v21
	v_cmp_lt_u32_e64 s0, v20, v21
	s_and_b32 s28, vcc_lo, s27
	s_delay_alu instid0(VALU_DEP_1) | instid1(SALU_CYCLE_1)
	s_or_b32 s28, s0, s28
	s_delay_alu instid0(SALU_CYCLE_1) | instskip(NEXT) | instid1(SALU_CYCLE_1)
	s_and_b32 s0, s28, exec_lo
	s_or_b32 s25, s25, s0
	s_mov_b32 s0, exec_lo
	v_cmpx_eq_u32_e64 v20, v21
	s_cbranch_execz .LBB1488_227
; %bb.229:                              ;   in Loop: Header=BB1488_228 Depth=1
	s_add_u32 s20, s20, -1
	s_addc_u32 s21, s21, -1
	v_add_co_u32 v10, vcc_lo, v10, 4
	s_cmp_eq_u64 s[20:21], 0
	v_add_co_ci_u32_e32 v11, vcc_lo, 0, v11, vcc_lo
	v_add_co_u32 v14, vcc_lo, v14, 4
	s_cselect_b32 s27, -1, 0
	v_add_co_ci_u32_e32 v15, vcc_lo, 0, v15, vcc_lo
	s_and_not1_b32 s26, s26, exec_lo
	s_and_b32 s28, s28, exec_lo
	s_and_not1_b32 s24, s24, exec_lo
	s_and_b32 s27, s27, exec_lo
	s_or_b32 s26, s26, s28
	s_and_not1_b32 s25, s25, exec_lo
	s_or_b32 s24, s24, s27
                                        ; implicit-def: $sgpr27
	s_branch .LBB1488_227
.LBB1488_230:
	s_set_inst_prefetch_distance 0x2
	s_or_b32 exec_lo, exec_lo, s22
	v_cndmask_b32_e64 v7, v7, v9, s23
	v_cndmask_b32_e64 v6, v6, v8, s23
.LBB1488_231:
	s_delay_alu instid0(VALU_DEP_1)
	v_dual_mov_b32 v9, v7 :: v_dual_mov_b32 v8, v6
.LBB1488_232:
	s_or_b32 exec_lo, exec_lo, s19
	s_delay_alu instid0(VALU_DEP_1)
	v_dual_mov_b32 v6, v8 :: v_dual_mov_b32 v7, v9
.LBB1488_233:
	s_or_b32 exec_lo, exec_lo, s12
.LBB1488_234:
	s_delay_alu instid0(SALU_CYCLE_1) | instskip(SKIP_3) | instid1(VALU_DEP_2)
	s_or_b32 exec_lo, exec_lo, s1
	v_and_b32_e32 v20, 64, v18
	v_and_b32_e32 v9, 60, v18
	s_mov_b32 s1, exec_lo
	; wave barrier
	v_or_b32_e32 v8, 32, v20
	s_delay_alu instid0(VALU_DEP_2) | instskip(SKIP_4) | instid1(VALU_DEP_1)
	v_min_u32_e32 v21, v17, v9
	v_lshl_add_u32 v18, v20, 3, v16
	ds_store_b128 v19, v[0:3]
	ds_store_b128 v19, v[4:7] offset:16
	v_min_u32_e32 v14, v17, v8
	; wave barrier
	v_add_nc_u32_e32 v8, 32, v14
	v_sub_nc_u32_e32 v9, v14, v20
	s_delay_alu instid0(VALU_DEP_2) | instskip(NEXT) | instid1(VALU_DEP_2)
	v_min_u32_e32 v15, v17, v8
	v_min_u32_e32 v22, v21, v9
	s_delay_alu instid0(VALU_DEP_2) | instskip(NEXT) | instid1(VALU_DEP_1)
	v_sub_nc_u32_e32 v8, v15, v14
	v_sub_nc_u32_e64 v17, v21, v8 clamp
	s_delay_alu instid0(VALU_DEP_1)
	v_cmpx_lt_u32_e64 v17, v22
	s_cbranch_execz .LBB1488_244
; %bb.235:
	v_lshlrev_b32_e32 v8, 3, v14
	v_lshlrev_b32_e32 v9, 3, v21
	s_lshl_b64 s[20:21], s[8:9], 2
	s_mov_b32 s12, 0
	s_delay_alu instid0(VALU_DEP_1)
	v_add3_u32 v19, v16, v8, v9
	s_branch .LBB1488_238
.LBB1488_236:                           ;   in Loop: Header=BB1488_238 Depth=1
	s_set_inst_prefetch_distance 0x2
	s_or_b32 exec_lo, exec_lo, s19
.LBB1488_237:                           ;   in Loop: Header=BB1488_238 Depth=1
	s_delay_alu instid0(VALU_DEP_1) | instskip(SKIP_1) | instid1(VALU_DEP_2)
	v_add_nc_u32_e32 v8, 1, v23
	v_cndmask_b32_e64 v22, v22, v23, s24
	v_cndmask_b32_e64 v17, v8, v17, s24
	s_delay_alu instid0(VALU_DEP_1) | instskip(SKIP_1) | instid1(SALU_CYCLE_1)
	v_cmp_ge_u32_e32 vcc_lo, v17, v22
	s_or_b32 s12, vcc_lo, s12
	s_and_not1_b32 exec_lo, exec_lo, s12
	s_cbranch_execz .LBB1488_243
.LBB1488_238:                           ; =>This Loop Header: Depth=1
                                        ;     Child Loop BB1488_241 Depth 2
	v_add_nc_u32_e32 v8, v22, v17
	s_and_not1_b32 vcc_lo, exec_lo, s7
	s_mov_b32 s24, 0
	s_delay_alu instid0(VALU_DEP_1)
	v_lshrrev_b32_e32 v23, 1, v8
	s_cbranch_vccnz .LBB1488_237
; %bb.239:                              ;   in Loop: Header=BB1488_238 Depth=1
	s_delay_alu instid0(VALU_DEP_1) | instskip(SKIP_3) | instid1(VALU_DEP_2)
	v_not_b32_e32 v8, v23
	v_lshl_add_u32 v9, v23, 3, v18
	s_mov_b32 s19, 0
	s_mov_b64 s[22:23], s[8:9]
                                        ; implicit-def: $sgpr24
                                        ; implicit-def: $sgpr25
                                        ; implicit-def: $sgpr26
                                        ; implicit-def: $sgpr27
                                        ; implicit-def: $sgpr28
	v_lshl_add_u32 v8, v8, 3, v19
	ds_load_b64 v[10:11], v8
	ds_load_b64 v[24:25], v9
	s_waitcnt lgkmcnt(1)
	v_mul_lo_u32 v40, s20, v11
	v_mul_lo_u32 v41, s21, v10
	v_mad_u64_u32 v[8:9], null, s20, v10, s[10:11]
	s_waitcnt lgkmcnt(0)
	v_mul_lo_u32 v25, s20, v25
	v_mul_lo_u32 v42, s21, v24
	v_mad_u64_u32 v[10:11], null, s20, v24, s[10:11]
	s_delay_alu instid0(VALU_DEP_4) | instskip(NEXT) | instid1(VALU_DEP_2)
	v_add3_u32 v9, v41, v9, v40
	v_add3_u32 v11, v42, v11, v25
	s_set_inst_prefetch_distance 0x1
	s_branch .LBB1488_241
	.p2align	6
.LBB1488_240:                           ;   in Loop: Header=BB1488_241 Depth=2
	s_or_b32 exec_lo, exec_lo, s29
	s_delay_alu instid0(SALU_CYCLE_1) | instskip(NEXT) | instid1(SALU_CYCLE_1)
	s_and_b32 s0, exec_lo, s25
	s_or_b32 s19, s0, s19
	s_and_not1_b32 s0, s28, exec_lo
	s_and_b32 s28, s26, exec_lo
	s_and_not1_b32 s24, s24, exec_lo
	s_and_b32 s29, s27, exec_lo
	s_or_b32 s28, s0, s28
	s_or_b32 s24, s24, s29
	s_and_not1_b32 exec_lo, exec_lo, s19
	s_cbranch_execz .LBB1488_236
.LBB1488_241:                           ;   Parent Loop BB1488_238 Depth=1
                                        ; =>  This Inner Loop Header: Depth=2
	global_load_b32 v24, v[8:9], off
	global_load_b32 v25, v[10:11], off
	s_and_not1_b32 s27, s27, exec_lo
	s_and_not1_b32 s26, s26, exec_lo
	s_or_b32 s25, s25, exec_lo
	s_waitcnt vmcnt(0)
	v_cmp_le_u32_e32 vcc_lo, v24, v25
	v_cmp_lt_u32_e64 s0, v24, v25
	s_and_b32 s29, vcc_lo, s28
	s_delay_alu instid0(VALU_DEP_1) | instid1(SALU_CYCLE_1)
	s_or_b32 s0, s0, s29
	s_delay_alu instid0(SALU_CYCLE_1) | instskip(NEXT) | instid1(SALU_CYCLE_1)
	s_and_b32 s29, s0, exec_lo
	s_or_b32 s27, s27, s29
	s_mov_b32 s29, exec_lo
	v_cmpx_eq_u32_e64 v24, v25
	s_cbranch_execz .LBB1488_240
; %bb.242:                              ;   in Loop: Header=BB1488_241 Depth=2
	s_add_u32 s22, s22, -1
	s_addc_u32 s23, s23, -1
	v_add_co_u32 v8, vcc_lo, v8, 4
	v_add_co_ci_u32_e32 v9, vcc_lo, 0, v9, vcc_lo
	s_cmp_eq_u64 s[22:23], 0
	v_add_co_u32 v10, vcc_lo, v10, 4
	s_cselect_b32 s28, -1, 0
	v_add_co_ci_u32_e32 v11, vcc_lo, 0, v11, vcc_lo
	s_and_not1_b32 s26, s26, exec_lo
	s_and_b32 s0, s0, exec_lo
	s_and_not1_b32 s25, s25, exec_lo
	s_and_b32 s28, s28, exec_lo
	s_and_not1_b32 s27, s27, exec_lo
	s_or_b32 s26, s26, s0
	s_or_b32 s25, s25, s28
                                        ; implicit-def: $sgpr28
	s_branch .LBB1488_240
.LBB1488_243:
	s_or_b32 exec_lo, exec_lo, s12
.LBB1488_244:
	s_delay_alu instid0(SALU_CYCLE_1) | instskip(SKIP_2) | instid1(VALU_DEP_2)
	s_or_b32 exec_lo, exec_lo, s1
	v_add_nc_u32_e32 v9, v14, v21
	v_add_nc_u32_e32 v8, v17, v20
	v_sub_nc_u32_e32 v9, v9, v17
	s_delay_alu instid0(VALU_DEP_2) | instskip(NEXT) | instid1(VALU_DEP_2)
	v_cmp_le_u32_e32 vcc_lo, v8, v14
	v_cmp_le_u32_e64 s0, v9, v15
	s_delay_alu instid0(VALU_DEP_1) | instskip(NEXT) | instid1(SALU_CYCLE_1)
	s_or_b32 s0, vcc_lo, s0
	s_and_saveexec_b32 s1, s0
	s_cbranch_execz .LBB1488_291
; %bb.245:
	v_cmp_ge_u32_e32 vcc_lo, v8, v14
	s_mov_b32 s12, exec_lo
                                        ; implicit-def: $vgpr0_vgpr1
	v_cmpx_lt_u32_e64 v8, v14
	s_cbranch_execz .LBB1488_247
; %bb.246:
	v_lshl_add_u32 v0, v17, 3, v18
	ds_load_b64 v[0:1], v0
.LBB1488_247:
	s_or_b32 exec_lo, exec_lo, s12
	v_cmp_ge_u32_e64 s12, v9, v15
	s_mov_b32 s19, exec_lo
                                        ; implicit-def: $vgpr4_vgpr5
	v_cmpx_lt_u32_e64 v9, v15
	s_cbranch_execz .LBB1488_249
; %bb.248:
	v_lshl_add_u32 v2, v9, 3, v16
	ds_load_b64 v[4:5], v2
.LBB1488_249:
	s_or_b32 exec_lo, exec_lo, s19
	s_or_b32 s0, vcc_lo, s12
	s_mov_b32 s19, -1
	s_xor_b32 s0, s0, -1
	s_delay_alu instid0(SALU_CYCLE_1)
	s_and_saveexec_b32 s22, s0
	s_cbranch_execz .LBB1488_258
; %bb.250:
	s_and_not1_b32 vcc_lo, exec_lo, s7
	s_cbranch_vccnz .LBB1488_256
; %bb.251:
	s_waitcnt lgkmcnt(0)
	v_mul_lo_u32 v10, v5, s8
	v_mul_lo_u32 v11, v4, s9
	v_mad_u64_u32 v[2:3], null, v4, s8, 0
	v_mul_lo_u32 v17, v1, s8
	v_mul_lo_u32 v18, v0, s9
	v_mad_u64_u32 v[6:7], null, v0, s8, 0
	s_mov_b32 s23, 0
	s_mov_b64 s[20:21], s[8:9]
	s_delay_alu instid0(VALU_DEP_4) | instskip(NEXT) | instid1(VALU_DEP_2)
	v_add3_u32 v3, v3, v11, v10
                                        ; implicit-def: $sgpr24
                                        ; implicit-def: $sgpr25
                                        ; implicit-def: $sgpr26
                                        ; implicit-def: $sgpr27
                                        ; implicit-def: $sgpr28
	v_add3_u32 v7, v7, v18, v17
	s_delay_alu instid0(VALU_DEP_2) | instskip(NEXT) | instid1(VALU_DEP_2)
	v_lshlrev_b64 v[2:3], 2, v[2:3]
	v_lshlrev_b64 v[6:7], 2, v[6:7]
	s_delay_alu instid0(VALU_DEP_2) | instskip(NEXT) | instid1(VALU_DEP_3)
	v_add_co_u32 v2, vcc_lo, s10, v2
	v_add_co_ci_u32_e32 v3, vcc_lo, s11, v3, vcc_lo
	s_delay_alu instid0(VALU_DEP_3) | instskip(NEXT) | instid1(VALU_DEP_4)
	v_add_co_u32 v6, vcc_lo, s10, v6
	v_add_co_ci_u32_e32 v7, vcc_lo, s11, v7, vcc_lo
	s_set_inst_prefetch_distance 0x1
	s_branch .LBB1488_253
	.p2align	6
.LBB1488_252:                           ;   in Loop: Header=BB1488_253 Depth=1
	s_or_b32 exec_lo, exec_lo, s0
	s_delay_alu instid0(SALU_CYCLE_1) | instskip(NEXT) | instid1(SALU_CYCLE_1)
	s_and_b32 s0, exec_lo, s25
	s_or_b32 s23, s0, s23
	s_and_not1_b32 s0, s28, exec_lo
	s_and_b32 s28, s27, exec_lo
	s_and_not1_b32 s24, s24, exec_lo
	s_and_b32 s29, s26, exec_lo
	s_or_b32 s28, s0, s28
	s_or_b32 s24, s24, s29
	s_and_not1_b32 exec_lo, exec_lo, s23
	s_cbranch_execz .LBB1488_255
.LBB1488_253:                           ; =>This Inner Loop Header: Depth=1
	global_load_b32 v10, v[2:3], off
	global_load_b32 v11, v[6:7], off
	s_and_not1_b32 s26, s26, exec_lo
	s_and_not1_b32 s27, s27, exec_lo
	s_or_b32 s25, s25, exec_lo
	s_waitcnt vmcnt(0)
	v_cmp_le_u32_e32 vcc_lo, v10, v11
	v_cmp_lt_u32_e64 s0, v10, v11
	s_and_b32 s29, vcc_lo, s28
	s_delay_alu instid0(VALU_DEP_1) | instid1(SALU_CYCLE_1)
	s_or_b32 s29, s0, s29
	s_delay_alu instid0(SALU_CYCLE_1) | instskip(NEXT) | instid1(SALU_CYCLE_1)
	s_and_b32 s0, s29, exec_lo
	s_or_b32 s26, s26, s0
	s_mov_b32 s0, exec_lo
	v_cmpx_eq_u32_e64 v10, v11
	s_cbranch_execz .LBB1488_252
; %bb.254:                              ;   in Loop: Header=BB1488_253 Depth=1
	s_add_u32 s20, s20, -1
	s_addc_u32 s21, s21, -1
	v_add_co_u32 v2, vcc_lo, v2, 4
	s_cmp_eq_u64 s[20:21], 0
	v_add_co_ci_u32_e32 v3, vcc_lo, 0, v3, vcc_lo
	v_add_co_u32 v6, vcc_lo, v6, 4
	s_cselect_b32 s28, -1, 0
	v_add_co_ci_u32_e32 v7, vcc_lo, 0, v7, vcc_lo
	s_and_not1_b32 s27, s27, exec_lo
	s_and_b32 s29, s29, exec_lo
	s_and_not1_b32 s25, s25, exec_lo
	s_and_b32 s28, s28, exec_lo
	s_or_b32 s27, s27, s29
	s_and_not1_b32 s26, s26, exec_lo
	s_or_b32 s25, s25, s28
                                        ; implicit-def: $sgpr28
	s_branch .LBB1488_252
.LBB1488_255:
	s_set_inst_prefetch_distance 0x2
	s_or_b32 exec_lo, exec_lo, s23
	s_xor_b32 s0, s24, -1
	s_branch .LBB1488_257
.LBB1488_256:
	s_mov_b32 s0, -1
.LBB1488_257:
	s_and_not1_b32 s12, s12, exec_lo
	s_and_b32 s0, s0, exec_lo
	s_delay_alu instid0(SALU_CYCLE_1)
	s_or_b32 s12, s12, s0
.LBB1488_258:
	s_or_b32 exec_lo, exec_lo, s22
	v_cndmask_b32_e64 v2, v9, v8, s12
	v_cndmask_b32_e64 v3, v15, v14, s12
	s_mov_b32 s22, exec_lo
	s_delay_alu instid0(VALU_DEP_2) | instskip(NEXT) | instid1(VALU_DEP_2)
	v_add_nc_u32_e32 v6, 1, v2
	v_add_nc_u32_e32 v2, -1, v3
	s_delay_alu instid0(VALU_DEP_2) | instskip(NEXT) | instid1(VALU_DEP_2)
	v_cndmask_b32_e64 v9, v6, v9, s12
	v_min_u32_e32 v2, v6, v2
	v_cndmask_b32_e64 v8, v8, v6, s12
	s_delay_alu instid0(VALU_DEP_2)
	v_lshl_add_u32 v2, v2, 3, v16
	ds_load_b64 v[2:3], v2
	s_waitcnt lgkmcnt(0)
	v_cndmask_b32_e64 v10, v3, v5, s12
	v_cndmask_b32_e64 v11, v2, v4, s12
	;; [unrolled: 1-line block ×4, first 2 shown]
	v_cmpx_lt_u32_e64 v9, v15
	s_cbranch_execz .LBB1488_269
; %bb.259:
	s_mov_b32 s0, 0
	s_mov_b32 s19, exec_lo
	v_cmpx_lt_u32_e64 v8, v14
	s_cbranch_execz .LBB1488_268
; %bb.260:
	s_and_not1_b32 vcc_lo, exec_lo, s7
	s_cbranch_vccnz .LBB1488_266
; %bb.261:
	v_mul_lo_u32 v19, v10, s8
	v_mul_lo_u32 v20, v11, s9
	v_mad_u64_u32 v[2:3], null, v11, s8, 0
	v_mul_lo_u32 v21, v17, s8
	v_mul_lo_u32 v22, v18, s9
	v_mad_u64_u32 v[6:7], null, v18, s8, 0
	s_mov_b32 s23, 0
	s_mov_b64 s[20:21], s[8:9]
	s_delay_alu instid0(VALU_DEP_4) | instskip(NEXT) | instid1(VALU_DEP_2)
	v_add3_u32 v3, v3, v20, v19
                                        ; implicit-def: $sgpr24
                                        ; implicit-def: $sgpr25
                                        ; implicit-def: $sgpr26
                                        ; implicit-def: $sgpr27
                                        ; implicit-def: $sgpr28
	v_add3_u32 v7, v7, v22, v21
	s_delay_alu instid0(VALU_DEP_2) | instskip(NEXT) | instid1(VALU_DEP_2)
	v_lshlrev_b64 v[2:3], 2, v[2:3]
	v_lshlrev_b64 v[6:7], 2, v[6:7]
	s_delay_alu instid0(VALU_DEP_2) | instskip(NEXT) | instid1(VALU_DEP_3)
	v_add_co_u32 v2, vcc_lo, s10, v2
	v_add_co_ci_u32_e32 v3, vcc_lo, s11, v3, vcc_lo
	s_delay_alu instid0(VALU_DEP_3) | instskip(NEXT) | instid1(VALU_DEP_4)
	v_add_co_u32 v6, vcc_lo, s10, v6
	v_add_co_ci_u32_e32 v7, vcc_lo, s11, v7, vcc_lo
	s_set_inst_prefetch_distance 0x1
	s_branch .LBB1488_263
	.p2align	6
.LBB1488_262:                           ;   in Loop: Header=BB1488_263 Depth=1
	s_or_b32 exec_lo, exec_lo, s0
	s_delay_alu instid0(SALU_CYCLE_1) | instskip(NEXT) | instid1(SALU_CYCLE_1)
	s_and_b32 s0, exec_lo, s25
	s_or_b32 s23, s0, s23
	s_and_not1_b32 s0, s28, exec_lo
	s_and_b32 s28, s27, exec_lo
	s_and_not1_b32 s24, s24, exec_lo
	s_and_b32 s29, s26, exec_lo
	s_or_b32 s28, s0, s28
	s_or_b32 s24, s24, s29
	s_and_not1_b32 exec_lo, exec_lo, s23
	s_cbranch_execz .LBB1488_265
.LBB1488_263:                           ; =>This Inner Loop Header: Depth=1
	global_load_b32 v19, v[2:3], off
	global_load_b32 v20, v[6:7], off
	s_and_not1_b32 s26, s26, exec_lo
	s_and_not1_b32 s27, s27, exec_lo
	s_or_b32 s25, s25, exec_lo
	s_waitcnt vmcnt(0)
	v_cmp_le_u32_e32 vcc_lo, v19, v20
	v_cmp_lt_u32_e64 s0, v19, v20
	s_and_b32 s29, vcc_lo, s28
	s_delay_alu instid0(VALU_DEP_1) | instid1(SALU_CYCLE_1)
	s_or_b32 s29, s0, s29
	s_delay_alu instid0(SALU_CYCLE_1) | instskip(NEXT) | instid1(SALU_CYCLE_1)
	s_and_b32 s0, s29, exec_lo
	s_or_b32 s26, s26, s0
	s_mov_b32 s0, exec_lo
	v_cmpx_eq_u32_e64 v19, v20
	s_cbranch_execz .LBB1488_262
; %bb.264:                              ;   in Loop: Header=BB1488_263 Depth=1
	s_add_u32 s20, s20, -1
	s_addc_u32 s21, s21, -1
	v_add_co_u32 v2, vcc_lo, v2, 4
	s_cmp_eq_u64 s[20:21], 0
	v_add_co_ci_u32_e32 v3, vcc_lo, 0, v3, vcc_lo
	v_add_co_u32 v6, vcc_lo, v6, 4
	s_cselect_b32 s28, -1, 0
	v_add_co_ci_u32_e32 v7, vcc_lo, 0, v7, vcc_lo
	s_and_not1_b32 s27, s27, exec_lo
	s_and_b32 s29, s29, exec_lo
	s_and_not1_b32 s25, s25, exec_lo
	s_and_b32 s28, s28, exec_lo
	s_or_b32 s27, s27, s29
	s_and_not1_b32 s26, s26, exec_lo
	s_or_b32 s25, s25, s28
                                        ; implicit-def: $sgpr28
	s_branch .LBB1488_262
.LBB1488_265:
	s_set_inst_prefetch_distance 0x2
	s_or_b32 exec_lo, exec_lo, s23
	s_xor_b32 s0, s24, -1
	s_branch .LBB1488_267
.LBB1488_266:
	s_mov_b32 s0, -1
.LBB1488_267:
	s_delay_alu instid0(SALU_CYCLE_1)
	s_and_b32 s0, s0, exec_lo
.LBB1488_268:
	s_or_b32 exec_lo, exec_lo, s19
	s_delay_alu instid0(SALU_CYCLE_1)
	s_or_not1_b32 s19, s0, exec_lo
.LBB1488_269:
	s_or_b32 exec_lo, exec_lo, s22
	v_cndmask_b32_e64 v2, v9, v8, s19
	v_cndmask_b32_e64 v3, v15, v14, s19
	s_mov_b32 s0, -1
	s_mov_b32 s22, exec_lo
	s_delay_alu instid0(VALU_DEP_2) | instskip(NEXT) | instid1(VALU_DEP_2)
	v_add_nc_u32_e32 v6, 1, v2
	v_add_nc_u32_e32 v2, -1, v3
	s_delay_alu instid0(VALU_DEP_2) | instskip(NEXT) | instid1(VALU_DEP_2)
	v_cndmask_b32_e64 v22, v6, v9, s19
	v_min_u32_e32 v2, v6, v2
	v_cndmask_b32_e64 v19, v8, v6, s19
	s_delay_alu instid0(VALU_DEP_2)
	v_lshl_add_u32 v2, v2, 3, v16
	ds_load_b64 v[2:3], v2
	s_waitcnt lgkmcnt(0)
	v_cndmask_b32_e64 v20, v3, v10, s19
	v_cndmask_b32_e64 v21, v2, v11, s19
	v_cndmask_b32_e64 v23, v17, v3, s19
	v_cndmask_b32_e64 v24, v18, v2, s19
	v_cmpx_lt_u32_e64 v22, v15
	s_cbranch_execz .LBB1488_280
; %bb.270:
	s_mov_b32 s0, 0
	s_mov_b32 s23, exec_lo
	v_cmpx_lt_u32_e64 v19, v14
	s_cbranch_execz .LBB1488_279
; %bb.271:
	s_and_not1_b32 vcc_lo, exec_lo, s7
	s_cbranch_vccnz .LBB1488_277
; %bb.272:
	v_mul_lo_u32 v8, v20, s8
	v_mul_lo_u32 v9, v21, s9
	v_mad_u64_u32 v[2:3], null, v21, s8, 0
	v_mul_lo_u32 v25, v23, s8
	v_mul_lo_u32 v40, v24, s9
	v_mad_u64_u32 v[6:7], null, v24, s8, 0
	s_mov_b32 s24, 0
	s_mov_b64 s[20:21], s[8:9]
	s_delay_alu instid0(VALU_DEP_4) | instskip(NEXT) | instid1(VALU_DEP_2)
	v_add3_u32 v3, v3, v9, v8
                                        ; implicit-def: $sgpr25
                                        ; implicit-def: $sgpr26
                                        ; implicit-def: $sgpr27
                                        ; implicit-def: $sgpr28
                                        ; implicit-def: $sgpr29
	v_add3_u32 v7, v7, v40, v25
	s_delay_alu instid0(VALU_DEP_2) | instskip(NEXT) | instid1(VALU_DEP_2)
	v_lshlrev_b64 v[2:3], 2, v[2:3]
	v_lshlrev_b64 v[6:7], 2, v[6:7]
	s_delay_alu instid0(VALU_DEP_2) | instskip(NEXT) | instid1(VALU_DEP_3)
	v_add_co_u32 v2, vcc_lo, s10, v2
	v_add_co_ci_u32_e32 v3, vcc_lo, s11, v3, vcc_lo
	s_delay_alu instid0(VALU_DEP_3) | instskip(NEXT) | instid1(VALU_DEP_4)
	v_add_co_u32 v6, vcc_lo, s10, v6
	v_add_co_ci_u32_e32 v7, vcc_lo, s11, v7, vcc_lo
	s_set_inst_prefetch_distance 0x1
	s_branch .LBB1488_274
	.p2align	6
.LBB1488_273:                           ;   in Loop: Header=BB1488_274 Depth=1
	s_or_b32 exec_lo, exec_lo, s0
	s_delay_alu instid0(SALU_CYCLE_1) | instskip(NEXT) | instid1(SALU_CYCLE_1)
	s_and_b32 s0, exec_lo, s26
	s_or_b32 s24, s0, s24
	s_and_not1_b32 s0, s29, exec_lo
	s_and_b32 s29, s28, exec_lo
	s_and_not1_b32 s25, s25, exec_lo
	s_and_b32 s30, s27, exec_lo
	s_or_b32 s29, s0, s29
	s_or_b32 s25, s25, s30
	s_and_not1_b32 exec_lo, exec_lo, s24
	s_cbranch_execz .LBB1488_276
.LBB1488_274:                           ; =>This Inner Loop Header: Depth=1
	global_load_b32 v8, v[2:3], off
	global_load_b32 v9, v[6:7], off
	s_and_not1_b32 s27, s27, exec_lo
	s_and_not1_b32 s28, s28, exec_lo
	s_or_b32 s26, s26, exec_lo
	s_waitcnt vmcnt(0)
	v_cmp_le_u32_e32 vcc_lo, v8, v9
	v_cmp_lt_u32_e64 s0, v8, v9
	s_and_b32 s30, vcc_lo, s29
	s_delay_alu instid0(VALU_DEP_1) | instid1(SALU_CYCLE_1)
	s_or_b32 s30, s0, s30
	s_delay_alu instid0(SALU_CYCLE_1) | instskip(NEXT) | instid1(SALU_CYCLE_1)
	s_and_b32 s0, s30, exec_lo
	s_or_b32 s27, s27, s0
	s_mov_b32 s0, exec_lo
	v_cmpx_eq_u32_e64 v8, v9
	s_cbranch_execz .LBB1488_273
; %bb.275:                              ;   in Loop: Header=BB1488_274 Depth=1
	s_add_u32 s20, s20, -1
	s_addc_u32 s21, s21, -1
	v_add_co_u32 v2, vcc_lo, v2, 4
	s_cmp_eq_u64 s[20:21], 0
	v_add_co_ci_u32_e32 v3, vcc_lo, 0, v3, vcc_lo
	v_add_co_u32 v6, vcc_lo, v6, 4
	s_cselect_b32 s29, -1, 0
	v_add_co_ci_u32_e32 v7, vcc_lo, 0, v7, vcc_lo
	s_and_not1_b32 s28, s28, exec_lo
	s_and_b32 s30, s30, exec_lo
	s_and_not1_b32 s26, s26, exec_lo
	s_and_b32 s29, s29, exec_lo
	s_or_b32 s28, s28, s30
	s_and_not1_b32 s27, s27, exec_lo
	s_or_b32 s26, s26, s29
                                        ; implicit-def: $sgpr29
	s_branch .LBB1488_273
.LBB1488_276:
	s_set_inst_prefetch_distance 0x2
	s_or_b32 exec_lo, exec_lo, s24
	s_xor_b32 s0, s25, -1
	s_branch .LBB1488_278
.LBB1488_277:
	s_mov_b32 s0, -1
.LBB1488_278:
	s_delay_alu instid0(SALU_CYCLE_1)
	s_and_b32 s0, s0, exec_lo
.LBB1488_279:
	s_or_b32 exec_lo, exec_lo, s23
	s_delay_alu instid0(SALU_CYCLE_1)
	s_or_not1_b32 s0, s0, exec_lo
.LBB1488_280:
	s_or_b32 exec_lo, exec_lo, s22
	v_cndmask_b32_e64 v2, v22, v19, s0
	v_cndmask_b32_e64 v3, v15, v14, s0
	;; [unrolled: 1-line block ×5, first 2 shown]
	v_add_nc_u32_e32 v25, 1, v2
	v_add_nc_u32_e32 v2, -1, v3
	v_cndmask_b32_e64 v3, v10, v17, s19
	v_cndmask_b32_e64 v4, v21, v24, s0
	s_mov_b32 s12, exec_lo
	v_cndmask_b32_e64 v10, v25, v22, s0
	v_min_u32_e32 v2, v25, v2
	s_delay_alu instid0(VALU_DEP_1)
	v_lshl_add_u32 v2, v2, 3, v16
	ds_load_b64 v[8:9], v2
	v_cndmask_b32_e64 v2, v11, v18, s19
	s_waitcnt lgkmcnt(0)
	v_cndmask_b32_e64 v7, v23, v9, s0
	v_cndmask_b32_e64 v6, v24, v8, s0
	v_cmpx_lt_u32_e64 v10, v15
	s_cbranch_execz .LBB1488_290
; %bb.281:
	v_cndmask_b32_e64 v10, v19, v25, s0
	v_cndmask_b32_e64 v9, v9, v20, s0
	;; [unrolled: 1-line block ×3, first 2 shown]
	s_mov_b32 s19, exec_lo
	s_delay_alu instid0(VALU_DEP_3)
	v_cmpx_lt_u32_e64 v10, v14
	s_cbranch_execz .LBB1488_289
; %bb.282:
	s_and_not1_b32 vcc_lo, exec_lo, s7
	s_cbranch_vccnz .LBB1488_288
; %bb.283:
	v_mul_lo_u32 v16, v9, s8
	v_mul_lo_u32 v17, v8, s9
	v_mad_u64_u32 v[10:11], null, v8, s8, 0
	v_mul_lo_u32 v18, v7, s8
	v_mul_lo_u32 v19, v6, s9
	v_mad_u64_u32 v[14:15], null, v6, s8, 0
	s_mov_b32 s22, 0
	s_mov_b64 s[20:21], s[8:9]
	s_delay_alu instid0(VALU_DEP_4) | instskip(NEXT) | instid1(VALU_DEP_2)
	v_add3_u32 v11, v11, v17, v16
                                        ; implicit-def: $sgpr23
                                        ; implicit-def: $sgpr24
                                        ; implicit-def: $sgpr25
                                        ; implicit-def: $sgpr26
                                        ; implicit-def: $sgpr27
	v_add3_u32 v15, v15, v19, v18
	s_delay_alu instid0(VALU_DEP_2) | instskip(NEXT) | instid1(VALU_DEP_2)
	v_lshlrev_b64 v[10:11], 2, v[10:11]
	v_lshlrev_b64 v[14:15], 2, v[14:15]
	s_delay_alu instid0(VALU_DEP_2) | instskip(NEXT) | instid1(VALU_DEP_3)
	v_add_co_u32 v10, vcc_lo, s10, v10
	v_add_co_ci_u32_e32 v11, vcc_lo, s11, v11, vcc_lo
	s_delay_alu instid0(VALU_DEP_3) | instskip(NEXT) | instid1(VALU_DEP_4)
	v_add_co_u32 v14, vcc_lo, s10, v14
	v_add_co_ci_u32_e32 v15, vcc_lo, s11, v15, vcc_lo
	s_set_inst_prefetch_distance 0x1
	s_branch .LBB1488_285
	.p2align	6
.LBB1488_284:                           ;   in Loop: Header=BB1488_285 Depth=1
	s_or_b32 exec_lo, exec_lo, s0
	s_delay_alu instid0(SALU_CYCLE_1) | instskip(NEXT) | instid1(SALU_CYCLE_1)
	s_and_b32 s0, exec_lo, s24
	s_or_b32 s22, s0, s22
	s_and_not1_b32 s0, s27, exec_lo
	s_and_b32 s27, s26, exec_lo
	s_and_not1_b32 s23, s23, exec_lo
	s_and_b32 s28, s25, exec_lo
	s_or_b32 s27, s0, s27
	s_or_b32 s23, s23, s28
	s_and_not1_b32 exec_lo, exec_lo, s22
	s_cbranch_execz .LBB1488_287
.LBB1488_285:                           ; =>This Inner Loop Header: Depth=1
	global_load_b32 v16, v[10:11], off
	global_load_b32 v17, v[14:15], off
	s_and_not1_b32 s25, s25, exec_lo
	s_and_not1_b32 s26, s26, exec_lo
	s_or_b32 s24, s24, exec_lo
	s_waitcnt vmcnt(0)
	v_cmp_le_u32_e32 vcc_lo, v16, v17
	v_cmp_lt_u32_e64 s0, v16, v17
	s_and_b32 s28, vcc_lo, s27
	s_delay_alu instid0(VALU_DEP_1) | instid1(SALU_CYCLE_1)
	s_or_b32 s28, s0, s28
	s_delay_alu instid0(SALU_CYCLE_1) | instskip(NEXT) | instid1(SALU_CYCLE_1)
	s_and_b32 s0, s28, exec_lo
	s_or_b32 s25, s25, s0
	s_mov_b32 s0, exec_lo
	v_cmpx_eq_u32_e64 v16, v17
	s_cbranch_execz .LBB1488_284
; %bb.286:                              ;   in Loop: Header=BB1488_285 Depth=1
	s_add_u32 s20, s20, -1
	s_addc_u32 s21, s21, -1
	v_add_co_u32 v10, vcc_lo, v10, 4
	s_cmp_eq_u64 s[20:21], 0
	v_add_co_ci_u32_e32 v11, vcc_lo, 0, v11, vcc_lo
	v_add_co_u32 v14, vcc_lo, v14, 4
	s_cselect_b32 s27, -1, 0
	v_add_co_ci_u32_e32 v15, vcc_lo, 0, v15, vcc_lo
	s_and_not1_b32 s26, s26, exec_lo
	s_and_b32 s28, s28, exec_lo
	s_and_not1_b32 s24, s24, exec_lo
	s_and_b32 s27, s27, exec_lo
	s_or_b32 s26, s26, s28
	s_and_not1_b32 s25, s25, exec_lo
	s_or_b32 s24, s24, s27
                                        ; implicit-def: $sgpr27
	s_branch .LBB1488_284
.LBB1488_287:
	s_set_inst_prefetch_distance 0x2
	s_or_b32 exec_lo, exec_lo, s22
	v_cndmask_b32_e64 v7, v7, v9, s23
	v_cndmask_b32_e64 v6, v6, v8, s23
.LBB1488_288:
	s_delay_alu instid0(VALU_DEP_1)
	v_dual_mov_b32 v9, v7 :: v_dual_mov_b32 v8, v6
.LBB1488_289:
	s_or_b32 exec_lo, exec_lo, s19
	s_delay_alu instid0(VALU_DEP_1)
	v_dual_mov_b32 v6, v8 :: v_dual_mov_b32 v7, v9
.LBB1488_290:
	s_or_b32 exec_lo, exec_lo, s12
.LBB1488_291:
	s_delay_alu instid0(SALU_CYCLE_1) | instskip(SKIP_4) | instid1(VALU_DEP_3)
	s_or_b32 exec_lo, exec_lo, s1
	v_and_b32_e32 v19, 0xf80, v27
	v_and_b32_e32 v20, 0x7c, v27
	v_lshlrev_b32_e32 v16, 3, v27
	s_mov_b32 s1, exec_lo
	v_or_b32_e32 v8, 64, v19
	v_lshlrev_b32_e32 v18, 3, v19
	; wave barrier
	s_waitcnt lgkmcnt(0)
	s_barrier
	s_delay_alu instid0(VALU_DEP_2)
	v_min_u32_e32 v9, 0x3c0, v8
	v_min_u32_e32 v14, 0x400, v8
	buffer_gl0_inv
	ds_store_b128 v16, v[0:3]
	ds_store_b128 v16, v[4:7] offset:16
	s_waitcnt lgkmcnt(0)
	v_add_nc_u32_e32 v15, 64, v9
	v_sub_nc_u32_e32 v8, v14, v19
	s_barrier
	buffer_gl0_inv
	v_sub_nc_u32_e32 v9, v15, v14
	v_min_u32_e32 v21, v20, v8
	s_delay_alu instid0(VALU_DEP_2) | instskip(NEXT) | instid1(VALU_DEP_1)
	v_sub_nc_u32_e64 v17, v20, v9 clamp
	v_cmpx_lt_u32_e64 v17, v21
	s_cbranch_execz .LBB1488_301
; %bb.292:
	v_lshlrev_b32_e32 v8, 3, v20
	s_lshl_b64 s[20:21], s[8:9], 2
	s_mov_b32 s12, 0
	s_delay_alu instid0(VALU_DEP_1)
	v_lshl_add_u32 v22, v14, 3, v8
	s_branch .LBB1488_295
.LBB1488_293:                           ;   in Loop: Header=BB1488_295 Depth=1
	s_set_inst_prefetch_distance 0x2
	s_or_b32 exec_lo, exec_lo, s19
.LBB1488_294:                           ;   in Loop: Header=BB1488_295 Depth=1
	s_delay_alu instid0(VALU_DEP_1) | instskip(SKIP_1) | instid1(VALU_DEP_2)
	v_add_nc_u32_e32 v8, 1, v23
	v_cndmask_b32_e64 v21, v21, v23, s24
	v_cndmask_b32_e64 v17, v8, v17, s24
	s_delay_alu instid0(VALU_DEP_1) | instskip(SKIP_1) | instid1(SALU_CYCLE_1)
	v_cmp_ge_u32_e32 vcc_lo, v17, v21
	s_or_b32 s12, vcc_lo, s12
	s_and_not1_b32 exec_lo, exec_lo, s12
	s_cbranch_execz .LBB1488_300
.LBB1488_295:                           ; =>This Loop Header: Depth=1
                                        ;     Child Loop BB1488_298 Depth 2
	v_add_nc_u32_e32 v8, v21, v17
	s_and_not1_b32 vcc_lo, exec_lo, s7
	s_mov_b32 s24, 0
	s_delay_alu instid0(VALU_DEP_1)
	v_lshrrev_b32_e32 v23, 1, v8
	s_cbranch_vccnz .LBB1488_294
; %bb.296:                              ;   in Loop: Header=BB1488_295 Depth=1
	s_delay_alu instid0(VALU_DEP_1) | instskip(SKIP_3) | instid1(VALU_DEP_2)
	v_not_b32_e32 v8, v23
	v_lshl_add_u32 v9, v23, 3, v18
	s_mov_b32 s19, 0
	s_mov_b64 s[22:23], s[8:9]
                                        ; implicit-def: $sgpr24
                                        ; implicit-def: $sgpr25
                                        ; implicit-def: $sgpr26
                                        ; implicit-def: $sgpr27
                                        ; implicit-def: $sgpr28
	v_lshl_add_u32 v8, v8, 3, v22
	ds_load_b64 v[10:11], v8
	ds_load_b64 v[24:25], v9
	s_waitcnt lgkmcnt(1)
	v_mul_lo_u32 v40, s20, v11
	v_mul_lo_u32 v41, s21, v10
	v_mad_u64_u32 v[8:9], null, s20, v10, s[10:11]
	s_waitcnt lgkmcnt(0)
	v_mul_lo_u32 v25, s20, v25
	v_mul_lo_u32 v42, s21, v24
	v_mad_u64_u32 v[10:11], null, s20, v24, s[10:11]
	s_delay_alu instid0(VALU_DEP_4) | instskip(NEXT) | instid1(VALU_DEP_2)
	v_add3_u32 v9, v41, v9, v40
	v_add3_u32 v11, v42, v11, v25
	s_set_inst_prefetch_distance 0x1
	s_branch .LBB1488_298
	.p2align	6
.LBB1488_297:                           ;   in Loop: Header=BB1488_298 Depth=2
	s_or_b32 exec_lo, exec_lo, s0
	s_delay_alu instid0(SALU_CYCLE_1) | instskip(NEXT) | instid1(SALU_CYCLE_1)
	s_and_b32 s0, exec_lo, s25
	s_or_b32 s19, s0, s19
	s_and_not1_b32 s0, s28, exec_lo
	s_and_b32 s28, s26, exec_lo
	s_and_not1_b32 s24, s24, exec_lo
	s_and_b32 s29, s27, exec_lo
	s_or_b32 s28, s0, s28
	s_or_b32 s24, s24, s29
	s_and_not1_b32 exec_lo, exec_lo, s19
	s_cbranch_execz .LBB1488_293
.LBB1488_298:                           ;   Parent Loop BB1488_295 Depth=1
                                        ; =>  This Inner Loop Header: Depth=2
	global_load_b32 v24, v[8:9], off
	global_load_b32 v25, v[10:11], off
	s_and_not1_b32 s27, s27, exec_lo
	s_and_not1_b32 s26, s26, exec_lo
	s_or_b32 s25, s25, exec_lo
	s_waitcnt vmcnt(0)
	v_cmp_le_u32_e32 vcc_lo, v24, v25
	v_cmp_lt_u32_e64 s0, v24, v25
	s_and_b32 s29, vcc_lo, s28
	s_delay_alu instid0(VALU_DEP_1) | instid1(SALU_CYCLE_1)
	s_or_b32 s29, s0, s29
	s_delay_alu instid0(SALU_CYCLE_1) | instskip(NEXT) | instid1(SALU_CYCLE_1)
	s_and_b32 s0, s29, exec_lo
	s_or_b32 s27, s27, s0
	s_mov_b32 s0, exec_lo
	v_cmpx_eq_u32_e64 v24, v25
	s_cbranch_execz .LBB1488_297
; %bb.299:                              ;   in Loop: Header=BB1488_298 Depth=2
	s_add_u32 s22, s22, -1
	s_addc_u32 s23, s23, -1
	v_add_co_u32 v8, vcc_lo, v8, 4
	v_add_co_ci_u32_e32 v9, vcc_lo, 0, v9, vcc_lo
	s_cmp_eq_u64 s[22:23], 0
	v_add_co_u32 v10, vcc_lo, v10, 4
	s_cselect_b32 s28, -1, 0
	v_add_co_ci_u32_e32 v11, vcc_lo, 0, v11, vcc_lo
	s_and_not1_b32 s26, s26, exec_lo
	s_and_b32 s29, s29, exec_lo
	s_and_not1_b32 s25, s25, exec_lo
	s_and_b32 s28, s28, exec_lo
	s_and_not1_b32 s27, s27, exec_lo
	s_or_b32 s26, s26, s29
	s_or_b32 s25, s25, s28
                                        ; implicit-def: $sgpr28
	s_branch .LBB1488_297
.LBB1488_300:
	s_or_b32 exec_lo, exec_lo, s12
.LBB1488_301:
	s_delay_alu instid0(SALU_CYCLE_1) | instskip(SKIP_2) | instid1(VALU_DEP_2)
	s_or_b32 exec_lo, exec_lo, s1
	v_sub_nc_u32_e32 v9, v20, v17
	v_add_nc_u32_e32 v8, v17, v19
	v_add_nc_u32_e32 v9, v9, v14
	s_delay_alu instid0(VALU_DEP_2) | instskip(NEXT) | instid1(VALU_DEP_2)
	v_cmp_le_u32_e32 vcc_lo, v8, v14
	v_cmp_le_u32_e64 s0, v9, v15
	s_delay_alu instid0(VALU_DEP_1) | instskip(NEXT) | instid1(SALU_CYCLE_1)
	s_or_b32 s0, vcc_lo, s0
	s_and_saveexec_b32 s1, s0
	s_cbranch_execz .LBB1488_348
; %bb.302:
	v_cmp_ge_u32_e32 vcc_lo, v8, v14
	s_mov_b32 s12, exec_lo
                                        ; implicit-def: $vgpr0_vgpr1
	v_cmpx_lt_u32_e64 v8, v14
	s_cbranch_execz .LBB1488_304
; %bb.303:
	v_lshl_add_u32 v0, v17, 3, v18
	ds_load_b64 v[0:1], v0
.LBB1488_304:
	s_or_b32 exec_lo, exec_lo, s12
	v_cmp_ge_u32_e64 s12, v9, v15
	s_mov_b32 s19, exec_lo
                                        ; implicit-def: $vgpr4_vgpr5
	v_cmpx_lt_u32_e64 v9, v15
	s_cbranch_execz .LBB1488_306
; %bb.305:
	v_lshlrev_b32_e32 v2, 3, v9
	ds_load_b64 v[4:5], v2
.LBB1488_306:
	s_or_b32 exec_lo, exec_lo, s19
	s_or_b32 s0, vcc_lo, s12
	s_mov_b32 s19, -1
	s_xor_b32 s0, s0, -1
	s_delay_alu instid0(SALU_CYCLE_1)
	s_and_saveexec_b32 s22, s0
	s_cbranch_execz .LBB1488_315
; %bb.307:
	s_and_not1_b32 vcc_lo, exec_lo, s7
	s_cbranch_vccnz .LBB1488_313
; %bb.308:
	s_waitcnt lgkmcnt(0)
	v_mul_lo_u32 v10, v5, s8
	v_mul_lo_u32 v11, v4, s9
	v_mad_u64_u32 v[2:3], null, v4, s8, 0
	v_mul_lo_u32 v17, v1, s8
	v_mul_lo_u32 v18, v0, s9
	v_mad_u64_u32 v[6:7], null, v0, s8, 0
	s_mov_b32 s23, 0
	s_mov_b64 s[20:21], s[8:9]
	s_delay_alu instid0(VALU_DEP_4) | instskip(NEXT) | instid1(VALU_DEP_2)
	v_add3_u32 v3, v3, v11, v10
                                        ; implicit-def: $sgpr24
                                        ; implicit-def: $sgpr25
                                        ; implicit-def: $sgpr26
                                        ; implicit-def: $sgpr27
                                        ; implicit-def: $sgpr28
	v_add3_u32 v7, v7, v18, v17
	s_delay_alu instid0(VALU_DEP_2) | instskip(NEXT) | instid1(VALU_DEP_2)
	v_lshlrev_b64 v[2:3], 2, v[2:3]
	v_lshlrev_b64 v[6:7], 2, v[6:7]
	s_delay_alu instid0(VALU_DEP_2) | instskip(NEXT) | instid1(VALU_DEP_3)
	v_add_co_u32 v2, vcc_lo, s10, v2
	v_add_co_ci_u32_e32 v3, vcc_lo, s11, v3, vcc_lo
	s_delay_alu instid0(VALU_DEP_3) | instskip(NEXT) | instid1(VALU_DEP_4)
	v_add_co_u32 v6, vcc_lo, s10, v6
	v_add_co_ci_u32_e32 v7, vcc_lo, s11, v7, vcc_lo
	s_set_inst_prefetch_distance 0x1
	s_branch .LBB1488_310
	.p2align	6
.LBB1488_309:                           ;   in Loop: Header=BB1488_310 Depth=1
	s_or_b32 exec_lo, exec_lo, s0
	s_delay_alu instid0(SALU_CYCLE_1) | instskip(NEXT) | instid1(SALU_CYCLE_1)
	s_and_b32 s0, exec_lo, s25
	s_or_b32 s23, s0, s23
	s_and_not1_b32 s0, s28, exec_lo
	s_and_b32 s28, s27, exec_lo
	s_and_not1_b32 s24, s24, exec_lo
	s_and_b32 s29, s26, exec_lo
	s_or_b32 s28, s0, s28
	s_or_b32 s24, s24, s29
	s_and_not1_b32 exec_lo, exec_lo, s23
	s_cbranch_execz .LBB1488_312
.LBB1488_310:                           ; =>This Inner Loop Header: Depth=1
	global_load_b32 v10, v[2:3], off
	global_load_b32 v11, v[6:7], off
	s_and_not1_b32 s26, s26, exec_lo
	s_and_not1_b32 s27, s27, exec_lo
	s_or_b32 s25, s25, exec_lo
	s_waitcnt vmcnt(0)
	v_cmp_le_u32_e32 vcc_lo, v10, v11
	v_cmp_lt_u32_e64 s0, v10, v11
	s_and_b32 s29, vcc_lo, s28
	s_delay_alu instid0(VALU_DEP_1) | instid1(SALU_CYCLE_1)
	s_or_b32 s29, s0, s29
	s_delay_alu instid0(SALU_CYCLE_1) | instskip(NEXT) | instid1(SALU_CYCLE_1)
	s_and_b32 s0, s29, exec_lo
	s_or_b32 s26, s26, s0
	s_mov_b32 s0, exec_lo
	v_cmpx_eq_u32_e64 v10, v11
	s_cbranch_execz .LBB1488_309
; %bb.311:                              ;   in Loop: Header=BB1488_310 Depth=1
	s_add_u32 s20, s20, -1
	s_addc_u32 s21, s21, -1
	v_add_co_u32 v2, vcc_lo, v2, 4
	s_cmp_eq_u64 s[20:21], 0
	v_add_co_ci_u32_e32 v3, vcc_lo, 0, v3, vcc_lo
	s_cselect_b32 s28, -1, 0
	s_and_not1_b32 s27, s27, exec_lo
	s_and_b32 s29, s29, exec_lo
	v_add_co_u32 v6, vcc_lo, v6, 4
	s_and_not1_b32 s25, s25, exec_lo
	s_and_b32 s28, s28, exec_lo
	v_add_co_ci_u32_e32 v7, vcc_lo, 0, v7, vcc_lo
	s_or_b32 s27, s27, s29
	s_and_not1_b32 s26, s26, exec_lo
	s_or_b32 s25, s25, s28
                                        ; implicit-def: $sgpr28
	s_branch .LBB1488_309
.LBB1488_312:
	s_set_inst_prefetch_distance 0x2
	s_or_b32 exec_lo, exec_lo, s23
	s_xor_b32 s0, s24, -1
	s_branch .LBB1488_314
.LBB1488_313:
	s_mov_b32 s0, -1
.LBB1488_314:
	s_and_not1_b32 s12, s12, exec_lo
	s_and_b32 s0, s0, exec_lo
	s_delay_alu instid0(SALU_CYCLE_1)
	s_or_b32 s12, s12, s0
.LBB1488_315:
	s_or_b32 exec_lo, exec_lo, s22
	v_cndmask_b32_e64 v2, v9, v8, s12
	v_cndmask_b32_e64 v3, v15, v14, s12
	s_mov_b32 s22, exec_lo
	s_delay_alu instid0(VALU_DEP_2) | instskip(NEXT) | instid1(VALU_DEP_2)
	v_add_nc_u32_e32 v6, 1, v2
	v_add_nc_u32_e32 v2, -1, v3
	s_delay_alu instid0(VALU_DEP_2) | instskip(NEXT) | instid1(VALU_DEP_2)
	v_cndmask_b32_e64 v9, v6, v9, s12
	v_min_u32_e32 v2, v6, v2
	v_cndmask_b32_e64 v8, v8, v6, s12
	s_delay_alu instid0(VALU_DEP_2)
	v_lshlrev_b32_e32 v2, 3, v2
	ds_load_b64 v[2:3], v2
	s_waitcnt lgkmcnt(0)
	v_cndmask_b32_e64 v10, v3, v5, s12
	v_cndmask_b32_e64 v11, v2, v4, s12
	;; [unrolled: 1-line block ×4, first 2 shown]
	v_cmpx_lt_u32_e64 v9, v15
	s_cbranch_execz .LBB1488_326
; %bb.316:
	s_mov_b32 s0, 0
	s_mov_b32 s19, exec_lo
	v_cmpx_lt_u32_e64 v8, v14
	s_cbranch_execz .LBB1488_325
; %bb.317:
	s_and_not1_b32 vcc_lo, exec_lo, s7
	s_cbranch_vccnz .LBB1488_323
; %bb.318:
	v_mul_lo_u32 v19, v10, s8
	v_mul_lo_u32 v20, v11, s9
	v_mad_u64_u32 v[2:3], null, v11, s8, 0
	v_mul_lo_u32 v21, v17, s8
	v_mul_lo_u32 v22, v18, s9
	v_mad_u64_u32 v[6:7], null, v18, s8, 0
	s_mov_b32 s23, 0
	s_mov_b64 s[20:21], s[8:9]
	s_delay_alu instid0(VALU_DEP_4) | instskip(NEXT) | instid1(VALU_DEP_2)
	v_add3_u32 v3, v3, v20, v19
                                        ; implicit-def: $sgpr24
                                        ; implicit-def: $sgpr25
                                        ; implicit-def: $sgpr26
                                        ; implicit-def: $sgpr27
                                        ; implicit-def: $sgpr28
	v_add3_u32 v7, v7, v22, v21
	s_delay_alu instid0(VALU_DEP_2) | instskip(NEXT) | instid1(VALU_DEP_2)
	v_lshlrev_b64 v[2:3], 2, v[2:3]
	v_lshlrev_b64 v[6:7], 2, v[6:7]
	s_delay_alu instid0(VALU_DEP_2) | instskip(NEXT) | instid1(VALU_DEP_3)
	v_add_co_u32 v2, vcc_lo, s10, v2
	v_add_co_ci_u32_e32 v3, vcc_lo, s11, v3, vcc_lo
	s_delay_alu instid0(VALU_DEP_3) | instskip(NEXT) | instid1(VALU_DEP_4)
	v_add_co_u32 v6, vcc_lo, s10, v6
	v_add_co_ci_u32_e32 v7, vcc_lo, s11, v7, vcc_lo
	s_set_inst_prefetch_distance 0x1
	s_branch .LBB1488_320
	.p2align	6
.LBB1488_319:                           ;   in Loop: Header=BB1488_320 Depth=1
	s_or_b32 exec_lo, exec_lo, s0
	s_delay_alu instid0(SALU_CYCLE_1) | instskip(NEXT) | instid1(SALU_CYCLE_1)
	s_and_b32 s0, exec_lo, s25
	s_or_b32 s23, s0, s23
	s_and_not1_b32 s0, s28, exec_lo
	s_and_b32 s28, s27, exec_lo
	s_and_not1_b32 s24, s24, exec_lo
	s_and_b32 s29, s26, exec_lo
	s_or_b32 s28, s0, s28
	s_or_b32 s24, s24, s29
	s_and_not1_b32 exec_lo, exec_lo, s23
	s_cbranch_execz .LBB1488_322
.LBB1488_320:                           ; =>This Inner Loop Header: Depth=1
	global_load_b32 v19, v[2:3], off
	global_load_b32 v20, v[6:7], off
	s_and_not1_b32 s26, s26, exec_lo
	s_and_not1_b32 s27, s27, exec_lo
	s_or_b32 s25, s25, exec_lo
	s_waitcnt vmcnt(0)
	v_cmp_le_u32_e32 vcc_lo, v19, v20
	v_cmp_lt_u32_e64 s0, v19, v20
	s_and_b32 s29, vcc_lo, s28
	s_delay_alu instid0(VALU_DEP_1) | instid1(SALU_CYCLE_1)
	s_or_b32 s29, s0, s29
	s_delay_alu instid0(SALU_CYCLE_1) | instskip(NEXT) | instid1(SALU_CYCLE_1)
	s_and_b32 s0, s29, exec_lo
	s_or_b32 s26, s26, s0
	s_mov_b32 s0, exec_lo
	v_cmpx_eq_u32_e64 v19, v20
	s_cbranch_execz .LBB1488_319
; %bb.321:                              ;   in Loop: Header=BB1488_320 Depth=1
	s_add_u32 s20, s20, -1
	s_addc_u32 s21, s21, -1
	v_add_co_u32 v2, vcc_lo, v2, 4
	s_cmp_eq_u64 s[20:21], 0
	v_add_co_ci_u32_e32 v3, vcc_lo, 0, v3, vcc_lo
	v_add_co_u32 v6, vcc_lo, v6, 4
	s_cselect_b32 s28, -1, 0
	v_add_co_ci_u32_e32 v7, vcc_lo, 0, v7, vcc_lo
	s_and_not1_b32 s27, s27, exec_lo
	s_and_b32 s29, s29, exec_lo
	s_and_not1_b32 s25, s25, exec_lo
	s_and_b32 s28, s28, exec_lo
	s_or_b32 s27, s27, s29
	s_and_not1_b32 s26, s26, exec_lo
	s_or_b32 s25, s25, s28
                                        ; implicit-def: $sgpr28
	s_branch .LBB1488_319
.LBB1488_322:
	s_set_inst_prefetch_distance 0x2
	s_or_b32 exec_lo, exec_lo, s23
	s_xor_b32 s0, s24, -1
	s_branch .LBB1488_324
.LBB1488_323:
	s_mov_b32 s0, -1
.LBB1488_324:
	s_delay_alu instid0(SALU_CYCLE_1)
	s_and_b32 s0, s0, exec_lo
.LBB1488_325:
	s_or_b32 exec_lo, exec_lo, s19
	s_delay_alu instid0(SALU_CYCLE_1)
	s_or_not1_b32 s19, s0, exec_lo
.LBB1488_326:
	s_or_b32 exec_lo, exec_lo, s22
	v_cndmask_b32_e64 v2, v9, v8, s19
	v_cndmask_b32_e64 v3, v15, v14, s19
	s_mov_b32 s0, -1
	s_mov_b32 s22, exec_lo
	s_delay_alu instid0(VALU_DEP_2) | instskip(NEXT) | instid1(VALU_DEP_2)
	v_add_nc_u32_e32 v6, 1, v2
	v_add_nc_u32_e32 v2, -1, v3
	s_delay_alu instid0(VALU_DEP_2) | instskip(NEXT) | instid1(VALU_DEP_2)
	v_cndmask_b32_e64 v22, v6, v9, s19
	v_min_u32_e32 v2, v6, v2
	v_cndmask_b32_e64 v19, v8, v6, s19
	s_delay_alu instid0(VALU_DEP_2)
	v_lshlrev_b32_e32 v2, 3, v2
	ds_load_b64 v[2:3], v2
	s_waitcnt lgkmcnt(0)
	v_cndmask_b32_e64 v20, v3, v10, s19
	v_cndmask_b32_e64 v21, v2, v11, s19
	;; [unrolled: 1-line block ×4, first 2 shown]
	v_cmpx_lt_u32_e64 v22, v15
	s_cbranch_execz .LBB1488_337
; %bb.327:
	s_mov_b32 s0, 0
	s_mov_b32 s23, exec_lo
	v_cmpx_lt_u32_e64 v19, v14
	s_cbranch_execz .LBB1488_336
; %bb.328:
	s_and_not1_b32 vcc_lo, exec_lo, s7
	s_cbranch_vccnz .LBB1488_334
; %bb.329:
	v_mul_lo_u32 v8, v20, s8
	v_mul_lo_u32 v9, v21, s9
	v_mad_u64_u32 v[2:3], null, v21, s8, 0
	v_mul_lo_u32 v25, v23, s8
	v_mul_lo_u32 v40, v24, s9
	v_mad_u64_u32 v[6:7], null, v24, s8, 0
	s_mov_b32 s24, 0
	s_mov_b64 s[20:21], s[8:9]
	s_delay_alu instid0(VALU_DEP_4) | instskip(NEXT) | instid1(VALU_DEP_2)
	v_add3_u32 v3, v3, v9, v8
                                        ; implicit-def: $sgpr25
                                        ; implicit-def: $sgpr26
                                        ; implicit-def: $sgpr27
                                        ; implicit-def: $sgpr28
                                        ; implicit-def: $sgpr29
	v_add3_u32 v7, v7, v40, v25
	s_delay_alu instid0(VALU_DEP_2) | instskip(NEXT) | instid1(VALU_DEP_2)
	v_lshlrev_b64 v[2:3], 2, v[2:3]
	v_lshlrev_b64 v[6:7], 2, v[6:7]
	s_delay_alu instid0(VALU_DEP_2) | instskip(NEXT) | instid1(VALU_DEP_3)
	v_add_co_u32 v2, vcc_lo, s10, v2
	v_add_co_ci_u32_e32 v3, vcc_lo, s11, v3, vcc_lo
	s_delay_alu instid0(VALU_DEP_3) | instskip(NEXT) | instid1(VALU_DEP_4)
	v_add_co_u32 v6, vcc_lo, s10, v6
	v_add_co_ci_u32_e32 v7, vcc_lo, s11, v7, vcc_lo
	s_set_inst_prefetch_distance 0x1
	s_branch .LBB1488_331
	.p2align	6
.LBB1488_330:                           ;   in Loop: Header=BB1488_331 Depth=1
	s_or_b32 exec_lo, exec_lo, s0
	s_delay_alu instid0(SALU_CYCLE_1) | instskip(NEXT) | instid1(SALU_CYCLE_1)
	s_and_b32 s0, exec_lo, s26
	s_or_b32 s24, s0, s24
	s_and_not1_b32 s0, s29, exec_lo
	s_and_b32 s29, s28, exec_lo
	s_and_not1_b32 s25, s25, exec_lo
	s_and_b32 s30, s27, exec_lo
	s_or_b32 s29, s0, s29
	s_or_b32 s25, s25, s30
	s_and_not1_b32 exec_lo, exec_lo, s24
	s_cbranch_execz .LBB1488_333
.LBB1488_331:                           ; =>This Inner Loop Header: Depth=1
	global_load_b32 v8, v[2:3], off
	global_load_b32 v9, v[6:7], off
	s_and_not1_b32 s27, s27, exec_lo
	s_and_not1_b32 s28, s28, exec_lo
	s_or_b32 s26, s26, exec_lo
	s_waitcnt vmcnt(0)
	v_cmp_le_u32_e32 vcc_lo, v8, v9
	v_cmp_lt_u32_e64 s0, v8, v9
	s_and_b32 s30, vcc_lo, s29
	s_delay_alu instid0(VALU_DEP_1) | instid1(SALU_CYCLE_1)
	s_or_b32 s30, s0, s30
	s_delay_alu instid0(SALU_CYCLE_1) | instskip(NEXT) | instid1(SALU_CYCLE_1)
	s_and_b32 s0, s30, exec_lo
	s_or_b32 s27, s27, s0
	s_mov_b32 s0, exec_lo
	v_cmpx_eq_u32_e64 v8, v9
	s_cbranch_execz .LBB1488_330
; %bb.332:                              ;   in Loop: Header=BB1488_331 Depth=1
	s_add_u32 s20, s20, -1
	s_addc_u32 s21, s21, -1
	v_add_co_u32 v2, vcc_lo, v2, 4
	s_cmp_eq_u64 s[20:21], 0
	v_add_co_ci_u32_e32 v3, vcc_lo, 0, v3, vcc_lo
	v_add_co_u32 v6, vcc_lo, v6, 4
	s_cselect_b32 s29, -1, 0
	v_add_co_ci_u32_e32 v7, vcc_lo, 0, v7, vcc_lo
	s_and_not1_b32 s28, s28, exec_lo
	s_and_b32 s30, s30, exec_lo
	s_and_not1_b32 s26, s26, exec_lo
	s_and_b32 s29, s29, exec_lo
	s_or_b32 s28, s28, s30
	s_and_not1_b32 s27, s27, exec_lo
	s_or_b32 s26, s26, s29
                                        ; implicit-def: $sgpr29
	s_branch .LBB1488_330
.LBB1488_333:
	s_set_inst_prefetch_distance 0x2
	s_or_b32 exec_lo, exec_lo, s24
	s_xor_b32 s0, s25, -1
	s_branch .LBB1488_335
.LBB1488_334:
	s_mov_b32 s0, -1
.LBB1488_335:
	s_delay_alu instid0(SALU_CYCLE_1)
	s_and_b32 s0, s0, exec_lo
.LBB1488_336:
	s_or_b32 exec_lo, exec_lo, s23
	s_delay_alu instid0(SALU_CYCLE_1)
	s_or_not1_b32 s0, s0, exec_lo
.LBB1488_337:
	s_or_b32 exec_lo, exec_lo, s22
	v_cndmask_b32_e64 v2, v22, v19, s0
	v_cndmask_b32_e64 v3, v15, v14, s0
	;; [unrolled: 1-line block ×5, first 2 shown]
	v_add_nc_u32_e32 v25, 1, v2
	v_add_nc_u32_e32 v2, -1, v3
	v_cndmask_b32_e64 v3, v10, v17, s19
	v_cndmask_b32_e64 v4, v21, v24, s0
	s_mov_b32 s12, exec_lo
	v_cndmask_b32_e64 v10, v25, v22, s0
	v_min_u32_e32 v2, v25, v2
	s_delay_alu instid0(VALU_DEP_1)
	v_lshlrev_b32_e32 v2, 3, v2
	ds_load_b64 v[8:9], v2
	v_cndmask_b32_e64 v2, v11, v18, s19
	s_waitcnt lgkmcnt(0)
	v_cndmask_b32_e64 v7, v23, v9, s0
	v_cndmask_b32_e64 v6, v24, v8, s0
	v_cmpx_lt_u32_e64 v10, v15
	s_cbranch_execz .LBB1488_347
; %bb.338:
	v_cndmask_b32_e64 v10, v19, v25, s0
	v_cndmask_b32_e64 v9, v9, v20, s0
	;; [unrolled: 1-line block ×3, first 2 shown]
	s_mov_b32 s19, exec_lo
	s_delay_alu instid0(VALU_DEP_3)
	v_cmpx_lt_u32_e64 v10, v14
	s_cbranch_execz .LBB1488_346
; %bb.339:
	s_and_not1_b32 vcc_lo, exec_lo, s7
	s_cbranch_vccnz .LBB1488_345
; %bb.340:
	v_mul_lo_u32 v17, v9, s8
	v_mul_lo_u32 v18, v8, s9
	v_mad_u64_u32 v[10:11], null, v8, s8, 0
	v_mul_lo_u32 v19, v7, s8
	v_mul_lo_u32 v20, v6, s9
	v_mad_u64_u32 v[14:15], null, v6, s8, 0
	s_mov_b32 s22, 0
	s_mov_b64 s[20:21], s[8:9]
	s_delay_alu instid0(VALU_DEP_4) | instskip(NEXT) | instid1(VALU_DEP_2)
	v_add3_u32 v11, v11, v18, v17
                                        ; implicit-def: $sgpr23
                                        ; implicit-def: $sgpr24
                                        ; implicit-def: $sgpr25
                                        ; implicit-def: $sgpr26
                                        ; implicit-def: $sgpr27
	v_add3_u32 v15, v15, v20, v19
	s_delay_alu instid0(VALU_DEP_2) | instskip(NEXT) | instid1(VALU_DEP_2)
	v_lshlrev_b64 v[10:11], 2, v[10:11]
	v_lshlrev_b64 v[14:15], 2, v[14:15]
	s_delay_alu instid0(VALU_DEP_2) | instskip(NEXT) | instid1(VALU_DEP_3)
	v_add_co_u32 v10, vcc_lo, s10, v10
	v_add_co_ci_u32_e32 v11, vcc_lo, s11, v11, vcc_lo
	s_delay_alu instid0(VALU_DEP_3) | instskip(NEXT) | instid1(VALU_DEP_4)
	v_add_co_u32 v14, vcc_lo, s10, v14
	v_add_co_ci_u32_e32 v15, vcc_lo, s11, v15, vcc_lo
	s_set_inst_prefetch_distance 0x1
	s_branch .LBB1488_342
	.p2align	6
.LBB1488_341:                           ;   in Loop: Header=BB1488_342 Depth=1
	s_or_b32 exec_lo, exec_lo, s0
	s_delay_alu instid0(SALU_CYCLE_1) | instskip(NEXT) | instid1(SALU_CYCLE_1)
	s_and_b32 s0, exec_lo, s24
	s_or_b32 s22, s0, s22
	s_and_not1_b32 s0, s27, exec_lo
	s_and_b32 s27, s26, exec_lo
	s_and_not1_b32 s23, s23, exec_lo
	s_and_b32 s28, s25, exec_lo
	s_or_b32 s27, s0, s27
	s_or_b32 s23, s23, s28
	s_and_not1_b32 exec_lo, exec_lo, s22
	s_cbranch_execz .LBB1488_344
.LBB1488_342:                           ; =>This Inner Loop Header: Depth=1
	global_load_b32 v17, v[10:11], off
	global_load_b32 v18, v[14:15], off
	s_and_not1_b32 s25, s25, exec_lo
	s_and_not1_b32 s26, s26, exec_lo
	s_or_b32 s24, s24, exec_lo
	s_waitcnt vmcnt(0)
	v_cmp_le_u32_e32 vcc_lo, v17, v18
	v_cmp_lt_u32_e64 s0, v17, v18
	s_and_b32 s28, vcc_lo, s27
	s_delay_alu instid0(VALU_DEP_1) | instid1(SALU_CYCLE_1)
	s_or_b32 s28, s0, s28
	s_delay_alu instid0(SALU_CYCLE_1) | instskip(NEXT) | instid1(SALU_CYCLE_1)
	s_and_b32 s0, s28, exec_lo
	s_or_b32 s25, s25, s0
	s_mov_b32 s0, exec_lo
	v_cmpx_eq_u32_e64 v17, v18
	s_cbranch_execz .LBB1488_341
; %bb.343:                              ;   in Loop: Header=BB1488_342 Depth=1
	s_add_u32 s20, s20, -1
	s_addc_u32 s21, s21, -1
	v_add_co_u32 v10, vcc_lo, v10, 4
	s_cmp_eq_u64 s[20:21], 0
	v_add_co_ci_u32_e32 v11, vcc_lo, 0, v11, vcc_lo
	v_add_co_u32 v14, vcc_lo, v14, 4
	s_cselect_b32 s27, -1, 0
	v_add_co_ci_u32_e32 v15, vcc_lo, 0, v15, vcc_lo
	s_and_not1_b32 s26, s26, exec_lo
	s_and_b32 s28, s28, exec_lo
	s_and_not1_b32 s24, s24, exec_lo
	s_and_b32 s27, s27, exec_lo
	s_or_b32 s26, s26, s28
	s_and_not1_b32 s25, s25, exec_lo
	s_or_b32 s24, s24, s27
                                        ; implicit-def: $sgpr27
	s_branch .LBB1488_341
.LBB1488_344:
	s_set_inst_prefetch_distance 0x2
	s_or_b32 exec_lo, exec_lo, s22
	v_cndmask_b32_e64 v7, v7, v9, s23
	v_cndmask_b32_e64 v6, v6, v8, s23
.LBB1488_345:
	s_delay_alu instid0(VALU_DEP_1)
	v_dual_mov_b32 v9, v7 :: v_dual_mov_b32 v8, v6
.LBB1488_346:
	s_or_b32 exec_lo, exec_lo, s19
	s_delay_alu instid0(VALU_DEP_1)
	v_dual_mov_b32 v6, v8 :: v_dual_mov_b32 v7, v9
.LBB1488_347:
	s_or_b32 exec_lo, exec_lo, s12
.LBB1488_348:
	s_delay_alu instid0(SALU_CYCLE_1) | instskip(SKIP_4) | instid1(VALU_DEP_2)
	s_or_b32 exec_lo, exec_lo, s1
	v_and_b32_e32 v19, 0xf00, v27
	v_and_b32_e32 v20, 0xfc, v27
	s_mov_b32 s1, exec_lo
	s_barrier
	v_or_b32_e32 v8, 0x80, v19
	v_lshlrev_b32_e32 v18, 3, v19
	buffer_gl0_inv
	ds_store_b128 v16, v[0:3]
	ds_store_b128 v16, v[4:7] offset:16
	s_waitcnt lgkmcnt(0)
	v_min_u32_e32 v9, 0x380, v8
	v_min_u32_e32 v14, 0x400, v8
	s_barrier
	buffer_gl0_inv
	v_add_nc_u32_e32 v15, 0x80, v9
	v_sub_nc_u32_e32 v8, v14, v19
	s_delay_alu instid0(VALU_DEP_2) | instskip(NEXT) | instid1(VALU_DEP_2)
	v_sub_nc_u32_e32 v9, v15, v14
	v_min_u32_e32 v21, v20, v8
	s_delay_alu instid0(VALU_DEP_2) | instskip(NEXT) | instid1(VALU_DEP_1)
	v_sub_nc_u32_e64 v17, v20, v9 clamp
	v_cmpx_lt_u32_e64 v17, v21
	s_cbranch_execz .LBB1488_358
; %bb.349:
	v_lshlrev_b32_e32 v8, 3, v20
	s_lshl_b64 s[20:21], s[8:9], 2
	s_mov_b32 s12, 0
	s_delay_alu instid0(VALU_DEP_1)
	v_lshl_add_u32 v22, v14, 3, v8
	s_branch .LBB1488_352
.LBB1488_350:                           ;   in Loop: Header=BB1488_352 Depth=1
	s_set_inst_prefetch_distance 0x2
	s_or_b32 exec_lo, exec_lo, s19
.LBB1488_351:                           ;   in Loop: Header=BB1488_352 Depth=1
	s_delay_alu instid0(VALU_DEP_1) | instskip(SKIP_1) | instid1(VALU_DEP_2)
	v_add_nc_u32_e32 v8, 1, v23
	v_cndmask_b32_e64 v21, v21, v23, s24
	v_cndmask_b32_e64 v17, v8, v17, s24
	s_delay_alu instid0(VALU_DEP_1) | instskip(SKIP_1) | instid1(SALU_CYCLE_1)
	v_cmp_ge_u32_e32 vcc_lo, v17, v21
	s_or_b32 s12, vcc_lo, s12
	s_and_not1_b32 exec_lo, exec_lo, s12
	s_cbranch_execz .LBB1488_357
.LBB1488_352:                           ; =>This Loop Header: Depth=1
                                        ;     Child Loop BB1488_355 Depth 2
	v_add_nc_u32_e32 v8, v21, v17
	s_and_not1_b32 vcc_lo, exec_lo, s7
	s_mov_b32 s24, 0
	s_delay_alu instid0(VALU_DEP_1)
	v_lshrrev_b32_e32 v23, 1, v8
	s_cbranch_vccnz .LBB1488_351
; %bb.353:                              ;   in Loop: Header=BB1488_352 Depth=1
	s_delay_alu instid0(VALU_DEP_1) | instskip(SKIP_3) | instid1(VALU_DEP_2)
	v_not_b32_e32 v8, v23
	v_lshl_add_u32 v9, v23, 3, v18
	s_mov_b32 s19, 0
	s_mov_b64 s[22:23], s[8:9]
                                        ; implicit-def: $sgpr24
                                        ; implicit-def: $sgpr25
                                        ; implicit-def: $sgpr26
                                        ; implicit-def: $sgpr27
                                        ; implicit-def: $sgpr28
	v_lshl_add_u32 v8, v8, 3, v22
	ds_load_b64 v[10:11], v8
	ds_load_b64 v[24:25], v9
	s_waitcnt lgkmcnt(1)
	v_mul_lo_u32 v40, s20, v11
	v_mul_lo_u32 v41, s21, v10
	v_mad_u64_u32 v[8:9], null, s20, v10, s[10:11]
	s_waitcnt lgkmcnt(0)
	v_mul_lo_u32 v25, s20, v25
	v_mul_lo_u32 v42, s21, v24
	v_mad_u64_u32 v[10:11], null, s20, v24, s[10:11]
	s_delay_alu instid0(VALU_DEP_4) | instskip(NEXT) | instid1(VALU_DEP_2)
	v_add3_u32 v9, v41, v9, v40
	v_add3_u32 v11, v42, v11, v25
	s_set_inst_prefetch_distance 0x1
	s_branch .LBB1488_355
	.p2align	6
.LBB1488_354:                           ;   in Loop: Header=BB1488_355 Depth=2
	s_or_b32 exec_lo, exec_lo, s29
	s_delay_alu instid0(SALU_CYCLE_1) | instskip(NEXT) | instid1(SALU_CYCLE_1)
	s_and_b32 s0, exec_lo, s25
	s_or_b32 s19, s0, s19
	s_and_not1_b32 s0, s28, exec_lo
	s_and_b32 s28, s26, exec_lo
	s_and_not1_b32 s24, s24, exec_lo
	s_and_b32 s29, s27, exec_lo
	s_or_b32 s28, s0, s28
	s_or_b32 s24, s24, s29
	s_and_not1_b32 exec_lo, exec_lo, s19
	s_cbranch_execz .LBB1488_350
.LBB1488_355:                           ;   Parent Loop BB1488_352 Depth=1
                                        ; =>  This Inner Loop Header: Depth=2
	global_load_b32 v24, v[8:9], off
	global_load_b32 v25, v[10:11], off
	s_and_not1_b32 s27, s27, exec_lo
	s_and_not1_b32 s26, s26, exec_lo
	s_or_b32 s25, s25, exec_lo
	s_waitcnt vmcnt(0)
	v_cmp_le_u32_e32 vcc_lo, v24, v25
	v_cmp_lt_u32_e64 s0, v24, v25
	s_and_b32 s29, vcc_lo, s28
	s_delay_alu instid0(VALU_DEP_1) | instid1(SALU_CYCLE_1)
	s_or_b32 s0, s0, s29
	s_delay_alu instid0(SALU_CYCLE_1) | instskip(NEXT) | instid1(SALU_CYCLE_1)
	s_and_b32 s29, s0, exec_lo
	s_or_b32 s27, s27, s29
	s_mov_b32 s29, exec_lo
	v_cmpx_eq_u32_e64 v24, v25
	s_cbranch_execz .LBB1488_354
; %bb.356:                              ;   in Loop: Header=BB1488_355 Depth=2
	s_add_u32 s22, s22, -1
	s_addc_u32 s23, s23, -1
	v_add_co_u32 v8, vcc_lo, v8, 4
	v_add_co_ci_u32_e32 v9, vcc_lo, 0, v9, vcc_lo
	s_cmp_eq_u64 s[22:23], 0
	v_add_co_u32 v10, vcc_lo, v10, 4
	s_cselect_b32 s28, -1, 0
	v_add_co_ci_u32_e32 v11, vcc_lo, 0, v11, vcc_lo
	s_and_not1_b32 s26, s26, exec_lo
	s_and_b32 s0, s0, exec_lo
	s_and_not1_b32 s25, s25, exec_lo
	s_and_b32 s28, s28, exec_lo
	s_and_not1_b32 s27, s27, exec_lo
	s_or_b32 s26, s26, s0
	s_or_b32 s25, s25, s28
                                        ; implicit-def: $sgpr28
	s_branch .LBB1488_354
.LBB1488_357:
	s_or_b32 exec_lo, exec_lo, s12
.LBB1488_358:
	s_delay_alu instid0(SALU_CYCLE_1) | instskip(SKIP_2) | instid1(VALU_DEP_2)
	s_or_b32 exec_lo, exec_lo, s1
	v_sub_nc_u32_e32 v9, v20, v17
	v_add_nc_u32_e32 v8, v17, v19
	v_add_nc_u32_e32 v9, v9, v14
	s_delay_alu instid0(VALU_DEP_2) | instskip(NEXT) | instid1(VALU_DEP_2)
	v_cmp_le_u32_e32 vcc_lo, v8, v14
	v_cmp_le_u32_e64 s0, v9, v15
	s_delay_alu instid0(VALU_DEP_1) | instskip(NEXT) | instid1(SALU_CYCLE_1)
	s_or_b32 s0, vcc_lo, s0
	s_and_saveexec_b32 s1, s0
	s_cbranch_execz .LBB1488_405
; %bb.359:
	v_cmp_ge_u32_e32 vcc_lo, v8, v14
	s_mov_b32 s12, exec_lo
                                        ; implicit-def: $vgpr0_vgpr1
	v_cmpx_lt_u32_e64 v8, v14
	s_cbranch_execz .LBB1488_361
; %bb.360:
	v_lshl_add_u32 v0, v17, 3, v18
	ds_load_b64 v[0:1], v0
.LBB1488_361:
	s_or_b32 exec_lo, exec_lo, s12
	v_cmp_ge_u32_e64 s12, v9, v15
	s_mov_b32 s19, exec_lo
                                        ; implicit-def: $vgpr4_vgpr5
	v_cmpx_lt_u32_e64 v9, v15
	s_cbranch_execz .LBB1488_363
; %bb.362:
	v_lshlrev_b32_e32 v2, 3, v9
	ds_load_b64 v[4:5], v2
.LBB1488_363:
	s_or_b32 exec_lo, exec_lo, s19
	s_or_b32 s0, vcc_lo, s12
	s_mov_b32 s19, -1
	s_xor_b32 s0, s0, -1
	s_delay_alu instid0(SALU_CYCLE_1)
	s_and_saveexec_b32 s22, s0
	s_cbranch_execz .LBB1488_372
; %bb.364:
	s_and_not1_b32 vcc_lo, exec_lo, s7
	s_cbranch_vccnz .LBB1488_370
; %bb.365:
	s_waitcnt lgkmcnt(0)
	v_mul_lo_u32 v10, v5, s8
	v_mul_lo_u32 v11, v4, s9
	v_mad_u64_u32 v[2:3], null, v4, s8, 0
	v_mul_lo_u32 v17, v1, s8
	v_mul_lo_u32 v18, v0, s9
	v_mad_u64_u32 v[6:7], null, v0, s8, 0
	s_mov_b32 s23, 0
	s_mov_b64 s[20:21], s[8:9]
	s_delay_alu instid0(VALU_DEP_4) | instskip(NEXT) | instid1(VALU_DEP_2)
	v_add3_u32 v3, v3, v11, v10
                                        ; implicit-def: $sgpr24
                                        ; implicit-def: $sgpr25
                                        ; implicit-def: $sgpr26
                                        ; implicit-def: $sgpr27
                                        ; implicit-def: $sgpr28
	v_add3_u32 v7, v7, v18, v17
	s_delay_alu instid0(VALU_DEP_2) | instskip(NEXT) | instid1(VALU_DEP_2)
	v_lshlrev_b64 v[2:3], 2, v[2:3]
	v_lshlrev_b64 v[6:7], 2, v[6:7]
	s_delay_alu instid0(VALU_DEP_2) | instskip(NEXT) | instid1(VALU_DEP_3)
	v_add_co_u32 v2, vcc_lo, s10, v2
	v_add_co_ci_u32_e32 v3, vcc_lo, s11, v3, vcc_lo
	s_delay_alu instid0(VALU_DEP_3) | instskip(NEXT) | instid1(VALU_DEP_4)
	v_add_co_u32 v6, vcc_lo, s10, v6
	v_add_co_ci_u32_e32 v7, vcc_lo, s11, v7, vcc_lo
	s_set_inst_prefetch_distance 0x1
	s_branch .LBB1488_367
	.p2align	6
.LBB1488_366:                           ;   in Loop: Header=BB1488_367 Depth=1
	s_or_b32 exec_lo, exec_lo, s0
	s_delay_alu instid0(SALU_CYCLE_1) | instskip(NEXT) | instid1(SALU_CYCLE_1)
	s_and_b32 s0, exec_lo, s25
	s_or_b32 s23, s0, s23
	s_and_not1_b32 s0, s28, exec_lo
	s_and_b32 s28, s27, exec_lo
	s_and_not1_b32 s24, s24, exec_lo
	s_and_b32 s29, s26, exec_lo
	s_or_b32 s28, s0, s28
	s_or_b32 s24, s24, s29
	s_and_not1_b32 exec_lo, exec_lo, s23
	s_cbranch_execz .LBB1488_369
.LBB1488_367:                           ; =>This Inner Loop Header: Depth=1
	global_load_b32 v10, v[2:3], off
	global_load_b32 v11, v[6:7], off
	s_and_not1_b32 s26, s26, exec_lo
	s_and_not1_b32 s27, s27, exec_lo
	s_or_b32 s25, s25, exec_lo
	s_waitcnt vmcnt(0)
	v_cmp_le_u32_e32 vcc_lo, v10, v11
	v_cmp_lt_u32_e64 s0, v10, v11
	s_and_b32 s29, vcc_lo, s28
	s_delay_alu instid0(VALU_DEP_1) | instid1(SALU_CYCLE_1)
	s_or_b32 s29, s0, s29
	s_delay_alu instid0(SALU_CYCLE_1) | instskip(NEXT) | instid1(SALU_CYCLE_1)
	s_and_b32 s0, s29, exec_lo
	s_or_b32 s26, s26, s0
	s_mov_b32 s0, exec_lo
	v_cmpx_eq_u32_e64 v10, v11
	s_cbranch_execz .LBB1488_366
; %bb.368:                              ;   in Loop: Header=BB1488_367 Depth=1
	s_add_u32 s20, s20, -1
	s_addc_u32 s21, s21, -1
	v_add_co_u32 v2, vcc_lo, v2, 4
	s_cmp_eq_u64 s[20:21], 0
	v_add_co_ci_u32_e32 v3, vcc_lo, 0, v3, vcc_lo
	v_add_co_u32 v6, vcc_lo, v6, 4
	s_cselect_b32 s28, -1, 0
	v_add_co_ci_u32_e32 v7, vcc_lo, 0, v7, vcc_lo
	s_and_not1_b32 s27, s27, exec_lo
	s_and_b32 s29, s29, exec_lo
	s_and_not1_b32 s25, s25, exec_lo
	s_and_b32 s28, s28, exec_lo
	s_or_b32 s27, s27, s29
	s_and_not1_b32 s26, s26, exec_lo
	s_or_b32 s25, s25, s28
                                        ; implicit-def: $sgpr28
	s_branch .LBB1488_366
.LBB1488_369:
	s_set_inst_prefetch_distance 0x2
	s_or_b32 exec_lo, exec_lo, s23
	s_xor_b32 s0, s24, -1
	s_branch .LBB1488_371
.LBB1488_370:
	s_mov_b32 s0, -1
.LBB1488_371:
	s_and_not1_b32 s12, s12, exec_lo
	s_and_b32 s0, s0, exec_lo
	s_delay_alu instid0(SALU_CYCLE_1)
	s_or_b32 s12, s12, s0
.LBB1488_372:
	s_or_b32 exec_lo, exec_lo, s22
	v_cndmask_b32_e64 v2, v9, v8, s12
	v_cndmask_b32_e64 v3, v15, v14, s12
	s_mov_b32 s22, exec_lo
	s_delay_alu instid0(VALU_DEP_2) | instskip(NEXT) | instid1(VALU_DEP_2)
	v_add_nc_u32_e32 v6, 1, v2
	v_add_nc_u32_e32 v2, -1, v3
	s_delay_alu instid0(VALU_DEP_2) | instskip(NEXT) | instid1(VALU_DEP_2)
	v_cndmask_b32_e64 v9, v6, v9, s12
	v_min_u32_e32 v2, v6, v2
	v_cndmask_b32_e64 v8, v8, v6, s12
	s_delay_alu instid0(VALU_DEP_2)
	v_lshlrev_b32_e32 v2, 3, v2
	ds_load_b64 v[2:3], v2
	s_waitcnt lgkmcnt(0)
	v_cndmask_b32_e64 v10, v3, v5, s12
	v_cndmask_b32_e64 v11, v2, v4, s12
	;; [unrolled: 1-line block ×4, first 2 shown]
	v_cmpx_lt_u32_e64 v9, v15
	s_cbranch_execz .LBB1488_383
; %bb.373:
	s_mov_b32 s0, 0
	s_mov_b32 s19, exec_lo
	v_cmpx_lt_u32_e64 v8, v14
	s_cbranch_execz .LBB1488_382
; %bb.374:
	s_and_not1_b32 vcc_lo, exec_lo, s7
	s_cbranch_vccnz .LBB1488_380
; %bb.375:
	v_mul_lo_u32 v19, v10, s8
	v_mul_lo_u32 v20, v11, s9
	v_mad_u64_u32 v[2:3], null, v11, s8, 0
	v_mul_lo_u32 v21, v17, s8
	v_mul_lo_u32 v22, v18, s9
	v_mad_u64_u32 v[6:7], null, v18, s8, 0
	s_mov_b32 s23, 0
	s_mov_b64 s[20:21], s[8:9]
	s_delay_alu instid0(VALU_DEP_4) | instskip(NEXT) | instid1(VALU_DEP_2)
	v_add3_u32 v3, v3, v20, v19
                                        ; implicit-def: $sgpr24
                                        ; implicit-def: $sgpr25
                                        ; implicit-def: $sgpr26
                                        ; implicit-def: $sgpr27
                                        ; implicit-def: $sgpr28
	v_add3_u32 v7, v7, v22, v21
	s_delay_alu instid0(VALU_DEP_2) | instskip(NEXT) | instid1(VALU_DEP_2)
	v_lshlrev_b64 v[2:3], 2, v[2:3]
	v_lshlrev_b64 v[6:7], 2, v[6:7]
	s_delay_alu instid0(VALU_DEP_2) | instskip(NEXT) | instid1(VALU_DEP_3)
	v_add_co_u32 v2, vcc_lo, s10, v2
	v_add_co_ci_u32_e32 v3, vcc_lo, s11, v3, vcc_lo
	s_delay_alu instid0(VALU_DEP_3) | instskip(NEXT) | instid1(VALU_DEP_4)
	v_add_co_u32 v6, vcc_lo, s10, v6
	v_add_co_ci_u32_e32 v7, vcc_lo, s11, v7, vcc_lo
	s_set_inst_prefetch_distance 0x1
	s_branch .LBB1488_377
	.p2align	6
.LBB1488_376:                           ;   in Loop: Header=BB1488_377 Depth=1
	s_or_b32 exec_lo, exec_lo, s0
	s_delay_alu instid0(SALU_CYCLE_1) | instskip(NEXT) | instid1(SALU_CYCLE_1)
	s_and_b32 s0, exec_lo, s25
	s_or_b32 s23, s0, s23
	s_and_not1_b32 s0, s28, exec_lo
	s_and_b32 s28, s27, exec_lo
	s_and_not1_b32 s24, s24, exec_lo
	s_and_b32 s29, s26, exec_lo
	s_or_b32 s28, s0, s28
	s_or_b32 s24, s24, s29
	s_and_not1_b32 exec_lo, exec_lo, s23
	s_cbranch_execz .LBB1488_379
.LBB1488_377:                           ; =>This Inner Loop Header: Depth=1
	global_load_b32 v19, v[2:3], off
	global_load_b32 v20, v[6:7], off
	s_and_not1_b32 s26, s26, exec_lo
	s_and_not1_b32 s27, s27, exec_lo
	s_or_b32 s25, s25, exec_lo
	s_waitcnt vmcnt(0)
	v_cmp_le_u32_e32 vcc_lo, v19, v20
	v_cmp_lt_u32_e64 s0, v19, v20
	s_and_b32 s29, vcc_lo, s28
	s_delay_alu instid0(VALU_DEP_1) | instid1(SALU_CYCLE_1)
	s_or_b32 s29, s0, s29
	s_delay_alu instid0(SALU_CYCLE_1) | instskip(NEXT) | instid1(SALU_CYCLE_1)
	s_and_b32 s0, s29, exec_lo
	s_or_b32 s26, s26, s0
	s_mov_b32 s0, exec_lo
	v_cmpx_eq_u32_e64 v19, v20
	s_cbranch_execz .LBB1488_376
; %bb.378:                              ;   in Loop: Header=BB1488_377 Depth=1
	s_add_u32 s20, s20, -1
	s_addc_u32 s21, s21, -1
	v_add_co_u32 v2, vcc_lo, v2, 4
	s_cmp_eq_u64 s[20:21], 0
	v_add_co_ci_u32_e32 v3, vcc_lo, 0, v3, vcc_lo
	v_add_co_u32 v6, vcc_lo, v6, 4
	s_cselect_b32 s28, -1, 0
	v_add_co_ci_u32_e32 v7, vcc_lo, 0, v7, vcc_lo
	s_and_not1_b32 s27, s27, exec_lo
	s_and_b32 s29, s29, exec_lo
	s_and_not1_b32 s25, s25, exec_lo
	s_and_b32 s28, s28, exec_lo
	s_or_b32 s27, s27, s29
	s_and_not1_b32 s26, s26, exec_lo
	s_or_b32 s25, s25, s28
                                        ; implicit-def: $sgpr28
	s_branch .LBB1488_376
.LBB1488_379:
	s_set_inst_prefetch_distance 0x2
	s_or_b32 exec_lo, exec_lo, s23
	s_xor_b32 s0, s24, -1
	s_branch .LBB1488_381
.LBB1488_380:
	s_mov_b32 s0, -1
.LBB1488_381:
	s_delay_alu instid0(SALU_CYCLE_1)
	s_and_b32 s0, s0, exec_lo
.LBB1488_382:
	s_or_b32 exec_lo, exec_lo, s19
	s_delay_alu instid0(SALU_CYCLE_1)
	s_or_not1_b32 s19, s0, exec_lo
.LBB1488_383:
	s_or_b32 exec_lo, exec_lo, s22
	v_cndmask_b32_e64 v2, v9, v8, s19
	v_cndmask_b32_e64 v3, v15, v14, s19
	s_mov_b32 s0, -1
	s_mov_b32 s22, exec_lo
	s_delay_alu instid0(VALU_DEP_2) | instskip(NEXT) | instid1(VALU_DEP_2)
	v_add_nc_u32_e32 v6, 1, v2
	v_add_nc_u32_e32 v2, -1, v3
	s_delay_alu instid0(VALU_DEP_2) | instskip(NEXT) | instid1(VALU_DEP_2)
	v_cndmask_b32_e64 v22, v6, v9, s19
	v_min_u32_e32 v2, v6, v2
	v_cndmask_b32_e64 v19, v8, v6, s19
	s_delay_alu instid0(VALU_DEP_2)
	v_lshlrev_b32_e32 v2, 3, v2
	ds_load_b64 v[2:3], v2
	s_waitcnt lgkmcnt(0)
	v_cndmask_b32_e64 v20, v3, v10, s19
	v_cndmask_b32_e64 v21, v2, v11, s19
	;; [unrolled: 1-line block ×4, first 2 shown]
	v_cmpx_lt_u32_e64 v22, v15
	s_cbranch_execz .LBB1488_394
; %bb.384:
	s_mov_b32 s0, 0
	s_mov_b32 s23, exec_lo
	v_cmpx_lt_u32_e64 v19, v14
	s_cbranch_execz .LBB1488_393
; %bb.385:
	s_and_not1_b32 vcc_lo, exec_lo, s7
	s_cbranch_vccnz .LBB1488_391
; %bb.386:
	v_mul_lo_u32 v8, v20, s8
	v_mul_lo_u32 v9, v21, s9
	v_mad_u64_u32 v[2:3], null, v21, s8, 0
	v_mul_lo_u32 v25, v23, s8
	v_mul_lo_u32 v40, v24, s9
	v_mad_u64_u32 v[6:7], null, v24, s8, 0
	s_mov_b32 s24, 0
	s_mov_b64 s[20:21], s[8:9]
	s_delay_alu instid0(VALU_DEP_4) | instskip(NEXT) | instid1(VALU_DEP_2)
	v_add3_u32 v3, v3, v9, v8
                                        ; implicit-def: $sgpr25
                                        ; implicit-def: $sgpr26
                                        ; implicit-def: $sgpr27
                                        ; implicit-def: $sgpr28
                                        ; implicit-def: $sgpr29
	v_add3_u32 v7, v7, v40, v25
	s_delay_alu instid0(VALU_DEP_2) | instskip(NEXT) | instid1(VALU_DEP_2)
	v_lshlrev_b64 v[2:3], 2, v[2:3]
	v_lshlrev_b64 v[6:7], 2, v[6:7]
	s_delay_alu instid0(VALU_DEP_2) | instskip(NEXT) | instid1(VALU_DEP_3)
	v_add_co_u32 v2, vcc_lo, s10, v2
	v_add_co_ci_u32_e32 v3, vcc_lo, s11, v3, vcc_lo
	s_delay_alu instid0(VALU_DEP_3) | instskip(NEXT) | instid1(VALU_DEP_4)
	v_add_co_u32 v6, vcc_lo, s10, v6
	v_add_co_ci_u32_e32 v7, vcc_lo, s11, v7, vcc_lo
	s_set_inst_prefetch_distance 0x1
	s_branch .LBB1488_388
	.p2align	6
.LBB1488_387:                           ;   in Loop: Header=BB1488_388 Depth=1
	s_or_b32 exec_lo, exec_lo, s0
	s_delay_alu instid0(SALU_CYCLE_1) | instskip(NEXT) | instid1(SALU_CYCLE_1)
	s_and_b32 s0, exec_lo, s26
	s_or_b32 s24, s0, s24
	s_and_not1_b32 s0, s29, exec_lo
	s_and_b32 s29, s28, exec_lo
	s_and_not1_b32 s25, s25, exec_lo
	s_and_b32 s30, s27, exec_lo
	s_or_b32 s29, s0, s29
	s_or_b32 s25, s25, s30
	s_and_not1_b32 exec_lo, exec_lo, s24
	s_cbranch_execz .LBB1488_390
.LBB1488_388:                           ; =>This Inner Loop Header: Depth=1
	global_load_b32 v8, v[2:3], off
	global_load_b32 v9, v[6:7], off
	s_and_not1_b32 s27, s27, exec_lo
	s_and_not1_b32 s28, s28, exec_lo
	s_or_b32 s26, s26, exec_lo
	s_waitcnt vmcnt(0)
	v_cmp_le_u32_e32 vcc_lo, v8, v9
	v_cmp_lt_u32_e64 s0, v8, v9
	s_and_b32 s30, vcc_lo, s29
	s_delay_alu instid0(VALU_DEP_1) | instid1(SALU_CYCLE_1)
	s_or_b32 s30, s0, s30
	s_delay_alu instid0(SALU_CYCLE_1) | instskip(NEXT) | instid1(SALU_CYCLE_1)
	s_and_b32 s0, s30, exec_lo
	s_or_b32 s27, s27, s0
	s_mov_b32 s0, exec_lo
	v_cmpx_eq_u32_e64 v8, v9
	s_cbranch_execz .LBB1488_387
; %bb.389:                              ;   in Loop: Header=BB1488_388 Depth=1
	s_add_u32 s20, s20, -1
	s_addc_u32 s21, s21, -1
	v_add_co_u32 v2, vcc_lo, v2, 4
	s_cmp_eq_u64 s[20:21], 0
	v_add_co_ci_u32_e32 v3, vcc_lo, 0, v3, vcc_lo
	v_add_co_u32 v6, vcc_lo, v6, 4
	s_cselect_b32 s29, -1, 0
	v_add_co_ci_u32_e32 v7, vcc_lo, 0, v7, vcc_lo
	s_and_not1_b32 s28, s28, exec_lo
	s_and_b32 s30, s30, exec_lo
	s_and_not1_b32 s26, s26, exec_lo
	s_and_b32 s29, s29, exec_lo
	s_or_b32 s28, s28, s30
	s_and_not1_b32 s27, s27, exec_lo
	s_or_b32 s26, s26, s29
                                        ; implicit-def: $sgpr29
	s_branch .LBB1488_387
.LBB1488_390:
	s_set_inst_prefetch_distance 0x2
	s_or_b32 exec_lo, exec_lo, s24
	s_xor_b32 s0, s25, -1
	s_branch .LBB1488_392
.LBB1488_391:
	s_mov_b32 s0, -1
.LBB1488_392:
	s_delay_alu instid0(SALU_CYCLE_1)
	s_and_b32 s0, s0, exec_lo
.LBB1488_393:
	s_or_b32 exec_lo, exec_lo, s23
	s_delay_alu instid0(SALU_CYCLE_1)
	s_or_not1_b32 s0, s0, exec_lo
.LBB1488_394:
	s_or_b32 exec_lo, exec_lo, s22
	v_cndmask_b32_e64 v2, v22, v19, s0
	v_cndmask_b32_e64 v3, v15, v14, s0
	v_cndmask_b32_e64 v1, v5, v1, s12
	v_cndmask_b32_e64 v0, v4, v0, s12
	v_cndmask_b32_e64 v5, v20, v23, s0
	v_add_nc_u32_e32 v25, 1, v2
	v_add_nc_u32_e32 v2, -1, v3
	v_cndmask_b32_e64 v3, v10, v17, s19
	v_cndmask_b32_e64 v4, v21, v24, s0
	s_mov_b32 s12, exec_lo
	v_cndmask_b32_e64 v10, v25, v22, s0
	v_min_u32_e32 v2, v25, v2
	s_delay_alu instid0(VALU_DEP_1)
	v_lshlrev_b32_e32 v2, 3, v2
	ds_load_b64 v[8:9], v2
	v_cndmask_b32_e64 v2, v11, v18, s19
	s_waitcnt lgkmcnt(0)
	v_cndmask_b32_e64 v7, v23, v9, s0
	v_cndmask_b32_e64 v6, v24, v8, s0
	v_cmpx_lt_u32_e64 v10, v15
	s_cbranch_execz .LBB1488_404
; %bb.395:
	v_cndmask_b32_e64 v10, v19, v25, s0
	v_cndmask_b32_e64 v9, v9, v20, s0
	;; [unrolled: 1-line block ×3, first 2 shown]
	s_mov_b32 s19, exec_lo
	s_delay_alu instid0(VALU_DEP_3)
	v_cmpx_lt_u32_e64 v10, v14
	s_cbranch_execz .LBB1488_403
; %bb.396:
	s_and_not1_b32 vcc_lo, exec_lo, s7
	s_cbranch_vccnz .LBB1488_402
; %bb.397:
	v_mul_lo_u32 v17, v9, s8
	v_mul_lo_u32 v18, v8, s9
	v_mad_u64_u32 v[10:11], null, v8, s8, 0
	v_mul_lo_u32 v19, v7, s8
	v_mul_lo_u32 v20, v6, s9
	v_mad_u64_u32 v[14:15], null, v6, s8, 0
	s_mov_b32 s22, 0
	s_mov_b64 s[20:21], s[8:9]
	s_delay_alu instid0(VALU_DEP_4) | instskip(NEXT) | instid1(VALU_DEP_2)
	v_add3_u32 v11, v11, v18, v17
                                        ; implicit-def: $sgpr23
                                        ; implicit-def: $sgpr24
                                        ; implicit-def: $sgpr25
                                        ; implicit-def: $sgpr26
                                        ; implicit-def: $sgpr27
	v_add3_u32 v15, v15, v20, v19
	s_delay_alu instid0(VALU_DEP_2) | instskip(NEXT) | instid1(VALU_DEP_2)
	v_lshlrev_b64 v[10:11], 2, v[10:11]
	v_lshlrev_b64 v[14:15], 2, v[14:15]
	s_delay_alu instid0(VALU_DEP_2) | instskip(NEXT) | instid1(VALU_DEP_3)
	v_add_co_u32 v10, vcc_lo, s10, v10
	v_add_co_ci_u32_e32 v11, vcc_lo, s11, v11, vcc_lo
	s_delay_alu instid0(VALU_DEP_3) | instskip(NEXT) | instid1(VALU_DEP_4)
	v_add_co_u32 v14, vcc_lo, s10, v14
	v_add_co_ci_u32_e32 v15, vcc_lo, s11, v15, vcc_lo
	s_set_inst_prefetch_distance 0x1
	s_branch .LBB1488_399
	.p2align	6
.LBB1488_398:                           ;   in Loop: Header=BB1488_399 Depth=1
	s_or_b32 exec_lo, exec_lo, s0
	s_delay_alu instid0(SALU_CYCLE_1) | instskip(NEXT) | instid1(SALU_CYCLE_1)
	s_and_b32 s0, exec_lo, s24
	s_or_b32 s22, s0, s22
	s_and_not1_b32 s0, s27, exec_lo
	s_and_b32 s27, s26, exec_lo
	s_and_not1_b32 s23, s23, exec_lo
	s_and_b32 s28, s25, exec_lo
	s_or_b32 s27, s0, s27
	s_or_b32 s23, s23, s28
	s_and_not1_b32 exec_lo, exec_lo, s22
	s_cbranch_execz .LBB1488_401
.LBB1488_399:                           ; =>This Inner Loop Header: Depth=1
	global_load_b32 v17, v[10:11], off
	global_load_b32 v18, v[14:15], off
	s_and_not1_b32 s25, s25, exec_lo
	s_and_not1_b32 s26, s26, exec_lo
	s_or_b32 s24, s24, exec_lo
	s_waitcnt vmcnt(0)
	v_cmp_le_u32_e32 vcc_lo, v17, v18
	v_cmp_lt_u32_e64 s0, v17, v18
	s_and_b32 s28, vcc_lo, s27
	s_delay_alu instid0(VALU_DEP_1) | instid1(SALU_CYCLE_1)
	s_or_b32 s28, s0, s28
	s_delay_alu instid0(SALU_CYCLE_1) | instskip(NEXT) | instid1(SALU_CYCLE_1)
	s_and_b32 s0, s28, exec_lo
	s_or_b32 s25, s25, s0
	s_mov_b32 s0, exec_lo
	v_cmpx_eq_u32_e64 v17, v18
	s_cbranch_execz .LBB1488_398
; %bb.400:                              ;   in Loop: Header=BB1488_399 Depth=1
	s_add_u32 s20, s20, -1
	s_addc_u32 s21, s21, -1
	v_add_co_u32 v10, vcc_lo, v10, 4
	s_cmp_eq_u64 s[20:21], 0
	v_add_co_ci_u32_e32 v11, vcc_lo, 0, v11, vcc_lo
	v_add_co_u32 v14, vcc_lo, v14, 4
	s_cselect_b32 s27, -1, 0
	v_add_co_ci_u32_e32 v15, vcc_lo, 0, v15, vcc_lo
	s_and_not1_b32 s26, s26, exec_lo
	s_and_b32 s28, s28, exec_lo
	s_and_not1_b32 s24, s24, exec_lo
	s_and_b32 s27, s27, exec_lo
	s_or_b32 s26, s26, s28
	s_and_not1_b32 s25, s25, exec_lo
	s_or_b32 s24, s24, s27
                                        ; implicit-def: $sgpr27
	s_branch .LBB1488_398
.LBB1488_401:
	s_set_inst_prefetch_distance 0x2
	s_or_b32 exec_lo, exec_lo, s22
	v_cndmask_b32_e64 v7, v7, v9, s23
	v_cndmask_b32_e64 v6, v6, v8, s23
.LBB1488_402:
	s_delay_alu instid0(VALU_DEP_1)
	v_dual_mov_b32 v9, v7 :: v_dual_mov_b32 v8, v6
.LBB1488_403:
	s_or_b32 exec_lo, exec_lo, s19
	s_delay_alu instid0(VALU_DEP_1)
	v_dual_mov_b32 v6, v8 :: v_dual_mov_b32 v7, v9
.LBB1488_404:
	s_or_b32 exec_lo, exec_lo, s12
.LBB1488_405:
	s_delay_alu instid0(SALU_CYCLE_1) | instskip(SKIP_4) | instid1(VALU_DEP_2)
	s_or_b32 exec_lo, exec_lo, s1
	v_and_b32_e32 v19, 0xe00, v27
	v_and_b32_e32 v20, 0x1fc, v27
	s_mov_b32 s1, exec_lo
	s_barrier
	v_or_b32_e32 v8, 0x100, v19
	v_lshlrev_b32_e32 v18, 3, v19
	buffer_gl0_inv
	ds_store_b128 v16, v[0:3]
	ds_store_b128 v16, v[4:7] offset:16
	s_waitcnt lgkmcnt(0)
	v_min_u32_e32 v9, 0x300, v8
	v_min_u32_e32 v14, 0x400, v8
	s_barrier
	buffer_gl0_inv
	v_add_nc_u32_e32 v15, 0x100, v9
	v_sub_nc_u32_e32 v8, v14, v19
	s_delay_alu instid0(VALU_DEP_2) | instskip(NEXT) | instid1(VALU_DEP_2)
	v_sub_nc_u32_e32 v9, v15, v14
	v_min_u32_e32 v21, v20, v8
	s_delay_alu instid0(VALU_DEP_2) | instskip(NEXT) | instid1(VALU_DEP_1)
	v_sub_nc_u32_e64 v17, v20, v9 clamp
	v_cmpx_lt_u32_e64 v17, v21
	s_cbranch_execz .LBB1488_415
; %bb.406:
	v_lshlrev_b32_e32 v8, 3, v20
	s_lshl_b64 s[20:21], s[8:9], 2
	s_mov_b32 s12, 0
	s_delay_alu instid0(VALU_DEP_1)
	v_lshl_add_u32 v22, v14, 3, v8
	s_branch .LBB1488_409
.LBB1488_407:                           ;   in Loop: Header=BB1488_409 Depth=1
	s_set_inst_prefetch_distance 0x2
	s_or_b32 exec_lo, exec_lo, s19
.LBB1488_408:                           ;   in Loop: Header=BB1488_409 Depth=1
	s_delay_alu instid0(VALU_DEP_1) | instskip(SKIP_1) | instid1(VALU_DEP_2)
	v_add_nc_u32_e32 v8, 1, v23
	v_cndmask_b32_e64 v21, v21, v23, s24
	v_cndmask_b32_e64 v17, v8, v17, s24
	s_delay_alu instid0(VALU_DEP_1) | instskip(SKIP_1) | instid1(SALU_CYCLE_1)
	v_cmp_ge_u32_e32 vcc_lo, v17, v21
	s_or_b32 s12, vcc_lo, s12
	s_and_not1_b32 exec_lo, exec_lo, s12
	s_cbranch_execz .LBB1488_414
.LBB1488_409:                           ; =>This Loop Header: Depth=1
                                        ;     Child Loop BB1488_412 Depth 2
	v_add_nc_u32_e32 v8, v21, v17
	s_and_not1_b32 vcc_lo, exec_lo, s7
	s_mov_b32 s24, 0
	s_delay_alu instid0(VALU_DEP_1)
	v_lshrrev_b32_e32 v23, 1, v8
	s_cbranch_vccnz .LBB1488_408
; %bb.410:                              ;   in Loop: Header=BB1488_409 Depth=1
	s_delay_alu instid0(VALU_DEP_1) | instskip(SKIP_3) | instid1(VALU_DEP_2)
	v_not_b32_e32 v8, v23
	v_lshl_add_u32 v9, v23, 3, v18
	s_mov_b32 s19, 0
	s_mov_b64 s[22:23], s[8:9]
                                        ; implicit-def: $sgpr24
                                        ; implicit-def: $sgpr25
                                        ; implicit-def: $sgpr26
                                        ; implicit-def: $sgpr27
                                        ; implicit-def: $sgpr28
	v_lshl_add_u32 v8, v8, 3, v22
	ds_load_b64 v[10:11], v8
	ds_load_b64 v[24:25], v9
	s_waitcnt lgkmcnt(1)
	v_mul_lo_u32 v40, s20, v11
	v_mul_lo_u32 v41, s21, v10
	v_mad_u64_u32 v[8:9], null, s20, v10, s[10:11]
	s_waitcnt lgkmcnt(0)
	v_mul_lo_u32 v25, s20, v25
	v_mul_lo_u32 v42, s21, v24
	v_mad_u64_u32 v[10:11], null, s20, v24, s[10:11]
	s_delay_alu instid0(VALU_DEP_4) | instskip(NEXT) | instid1(VALU_DEP_2)
	v_add3_u32 v9, v41, v9, v40
	v_add3_u32 v11, v42, v11, v25
	s_set_inst_prefetch_distance 0x1
	s_branch .LBB1488_412
	.p2align	6
.LBB1488_411:                           ;   in Loop: Header=BB1488_412 Depth=2
	s_or_b32 exec_lo, exec_lo, s29
	s_delay_alu instid0(SALU_CYCLE_1) | instskip(NEXT) | instid1(SALU_CYCLE_1)
	s_and_b32 s0, exec_lo, s25
	s_or_b32 s19, s0, s19
	s_and_not1_b32 s0, s28, exec_lo
	s_and_b32 s28, s26, exec_lo
	s_and_not1_b32 s24, s24, exec_lo
	s_and_b32 s29, s27, exec_lo
	s_or_b32 s28, s0, s28
	s_or_b32 s24, s24, s29
	s_and_not1_b32 exec_lo, exec_lo, s19
	s_cbranch_execz .LBB1488_407
.LBB1488_412:                           ;   Parent Loop BB1488_409 Depth=1
                                        ; =>  This Inner Loop Header: Depth=2
	global_load_b32 v24, v[8:9], off
	global_load_b32 v25, v[10:11], off
	s_and_not1_b32 s27, s27, exec_lo
	s_and_not1_b32 s26, s26, exec_lo
	s_or_b32 s25, s25, exec_lo
	s_waitcnt vmcnt(0)
	v_cmp_le_u32_e32 vcc_lo, v24, v25
	v_cmp_lt_u32_e64 s0, v24, v25
	s_and_b32 s29, vcc_lo, s28
	s_delay_alu instid0(VALU_DEP_1) | instid1(SALU_CYCLE_1)
	s_or_b32 s0, s0, s29
	s_delay_alu instid0(SALU_CYCLE_1) | instskip(NEXT) | instid1(SALU_CYCLE_1)
	s_and_b32 s29, s0, exec_lo
	s_or_b32 s27, s27, s29
	s_mov_b32 s29, exec_lo
	v_cmpx_eq_u32_e64 v24, v25
	s_cbranch_execz .LBB1488_411
; %bb.413:                              ;   in Loop: Header=BB1488_412 Depth=2
	s_add_u32 s22, s22, -1
	s_addc_u32 s23, s23, -1
	v_add_co_u32 v8, vcc_lo, v8, 4
	v_add_co_ci_u32_e32 v9, vcc_lo, 0, v9, vcc_lo
	s_cmp_eq_u64 s[22:23], 0
	v_add_co_u32 v10, vcc_lo, v10, 4
	s_cselect_b32 s28, -1, 0
	v_add_co_ci_u32_e32 v11, vcc_lo, 0, v11, vcc_lo
	s_and_not1_b32 s26, s26, exec_lo
	s_and_b32 s0, s0, exec_lo
	s_and_not1_b32 s25, s25, exec_lo
	s_and_b32 s28, s28, exec_lo
	s_and_not1_b32 s27, s27, exec_lo
	s_or_b32 s26, s26, s0
	s_or_b32 s25, s25, s28
                                        ; implicit-def: $sgpr28
	s_branch .LBB1488_411
.LBB1488_414:
	s_or_b32 exec_lo, exec_lo, s12
.LBB1488_415:
	s_delay_alu instid0(SALU_CYCLE_1) | instskip(SKIP_2) | instid1(VALU_DEP_2)
	s_or_b32 exec_lo, exec_lo, s1
	v_sub_nc_u32_e32 v9, v20, v17
	v_add_nc_u32_e32 v8, v17, v19
	v_add_nc_u32_e32 v9, v9, v14
	s_delay_alu instid0(VALU_DEP_2) | instskip(NEXT) | instid1(VALU_DEP_2)
	v_cmp_le_u32_e32 vcc_lo, v8, v14
	v_cmp_le_u32_e64 s0, v9, v15
	s_delay_alu instid0(VALU_DEP_1) | instskip(NEXT) | instid1(SALU_CYCLE_1)
	s_or_b32 s0, vcc_lo, s0
	s_and_saveexec_b32 s1, s0
	s_cbranch_execz .LBB1488_462
; %bb.416:
	v_cmp_ge_u32_e32 vcc_lo, v8, v14
	s_mov_b32 s12, exec_lo
                                        ; implicit-def: $vgpr0_vgpr1
	v_cmpx_lt_u32_e64 v8, v14
	s_cbranch_execz .LBB1488_418
; %bb.417:
	v_lshl_add_u32 v0, v17, 3, v18
	ds_load_b64 v[0:1], v0
.LBB1488_418:
	s_or_b32 exec_lo, exec_lo, s12
	v_cmp_ge_u32_e64 s12, v9, v15
	s_mov_b32 s19, exec_lo
                                        ; implicit-def: $vgpr4_vgpr5
	v_cmpx_lt_u32_e64 v9, v15
	s_cbranch_execz .LBB1488_420
; %bb.419:
	v_lshlrev_b32_e32 v2, 3, v9
	ds_load_b64 v[4:5], v2
.LBB1488_420:
	s_or_b32 exec_lo, exec_lo, s19
	s_or_b32 s0, vcc_lo, s12
	s_mov_b32 s19, -1
	s_xor_b32 s0, s0, -1
	s_delay_alu instid0(SALU_CYCLE_1)
	s_and_saveexec_b32 s22, s0
	s_cbranch_execz .LBB1488_429
; %bb.421:
	s_and_not1_b32 vcc_lo, exec_lo, s7
	s_cbranch_vccnz .LBB1488_427
; %bb.422:
	s_waitcnt lgkmcnt(0)
	v_mul_lo_u32 v10, v5, s8
	v_mul_lo_u32 v11, v4, s9
	v_mad_u64_u32 v[2:3], null, v4, s8, 0
	v_mul_lo_u32 v17, v1, s8
	v_mul_lo_u32 v18, v0, s9
	v_mad_u64_u32 v[6:7], null, v0, s8, 0
	s_mov_b32 s23, 0
	s_mov_b64 s[20:21], s[8:9]
	s_delay_alu instid0(VALU_DEP_4) | instskip(NEXT) | instid1(VALU_DEP_2)
	v_add3_u32 v3, v3, v11, v10
                                        ; implicit-def: $sgpr24
                                        ; implicit-def: $sgpr25
                                        ; implicit-def: $sgpr26
                                        ; implicit-def: $sgpr27
                                        ; implicit-def: $sgpr28
	v_add3_u32 v7, v7, v18, v17
	s_delay_alu instid0(VALU_DEP_2) | instskip(NEXT) | instid1(VALU_DEP_2)
	v_lshlrev_b64 v[2:3], 2, v[2:3]
	v_lshlrev_b64 v[6:7], 2, v[6:7]
	s_delay_alu instid0(VALU_DEP_2) | instskip(NEXT) | instid1(VALU_DEP_3)
	v_add_co_u32 v2, vcc_lo, s10, v2
	v_add_co_ci_u32_e32 v3, vcc_lo, s11, v3, vcc_lo
	s_delay_alu instid0(VALU_DEP_3) | instskip(NEXT) | instid1(VALU_DEP_4)
	v_add_co_u32 v6, vcc_lo, s10, v6
	v_add_co_ci_u32_e32 v7, vcc_lo, s11, v7, vcc_lo
	s_set_inst_prefetch_distance 0x1
	s_branch .LBB1488_424
	.p2align	6
.LBB1488_423:                           ;   in Loop: Header=BB1488_424 Depth=1
	s_or_b32 exec_lo, exec_lo, s0
	s_delay_alu instid0(SALU_CYCLE_1) | instskip(NEXT) | instid1(SALU_CYCLE_1)
	s_and_b32 s0, exec_lo, s25
	s_or_b32 s23, s0, s23
	s_and_not1_b32 s0, s28, exec_lo
	s_and_b32 s28, s27, exec_lo
	s_and_not1_b32 s24, s24, exec_lo
	s_and_b32 s29, s26, exec_lo
	s_or_b32 s28, s0, s28
	s_or_b32 s24, s24, s29
	s_and_not1_b32 exec_lo, exec_lo, s23
	s_cbranch_execz .LBB1488_426
.LBB1488_424:                           ; =>This Inner Loop Header: Depth=1
	global_load_b32 v10, v[2:3], off
	global_load_b32 v11, v[6:7], off
	s_and_not1_b32 s26, s26, exec_lo
	s_and_not1_b32 s27, s27, exec_lo
	s_or_b32 s25, s25, exec_lo
	s_waitcnt vmcnt(0)
	v_cmp_le_u32_e32 vcc_lo, v10, v11
	v_cmp_lt_u32_e64 s0, v10, v11
	s_and_b32 s29, vcc_lo, s28
	s_delay_alu instid0(VALU_DEP_1) | instid1(SALU_CYCLE_1)
	s_or_b32 s29, s0, s29
	s_delay_alu instid0(SALU_CYCLE_1) | instskip(NEXT) | instid1(SALU_CYCLE_1)
	s_and_b32 s0, s29, exec_lo
	s_or_b32 s26, s26, s0
	s_mov_b32 s0, exec_lo
	v_cmpx_eq_u32_e64 v10, v11
	s_cbranch_execz .LBB1488_423
; %bb.425:                              ;   in Loop: Header=BB1488_424 Depth=1
	s_add_u32 s20, s20, -1
	s_addc_u32 s21, s21, -1
	v_add_co_u32 v2, vcc_lo, v2, 4
	s_cmp_eq_u64 s[20:21], 0
	v_add_co_ci_u32_e32 v3, vcc_lo, 0, v3, vcc_lo
	v_add_co_u32 v6, vcc_lo, v6, 4
	s_cselect_b32 s28, -1, 0
	v_add_co_ci_u32_e32 v7, vcc_lo, 0, v7, vcc_lo
	s_and_not1_b32 s27, s27, exec_lo
	s_and_b32 s29, s29, exec_lo
	s_and_not1_b32 s25, s25, exec_lo
	s_and_b32 s28, s28, exec_lo
	s_or_b32 s27, s27, s29
	s_and_not1_b32 s26, s26, exec_lo
	s_or_b32 s25, s25, s28
                                        ; implicit-def: $sgpr28
	s_branch .LBB1488_423
.LBB1488_426:
	s_set_inst_prefetch_distance 0x2
	s_or_b32 exec_lo, exec_lo, s23
	s_xor_b32 s0, s24, -1
	s_branch .LBB1488_428
.LBB1488_427:
	s_mov_b32 s0, -1
.LBB1488_428:
	s_and_not1_b32 s12, s12, exec_lo
	s_and_b32 s0, s0, exec_lo
	s_delay_alu instid0(SALU_CYCLE_1)
	s_or_b32 s12, s12, s0
.LBB1488_429:
	s_or_b32 exec_lo, exec_lo, s22
	v_cndmask_b32_e64 v2, v9, v8, s12
	v_cndmask_b32_e64 v3, v15, v14, s12
	s_mov_b32 s22, exec_lo
	s_delay_alu instid0(VALU_DEP_2) | instskip(NEXT) | instid1(VALU_DEP_2)
	v_add_nc_u32_e32 v6, 1, v2
	v_add_nc_u32_e32 v2, -1, v3
	s_delay_alu instid0(VALU_DEP_2) | instskip(NEXT) | instid1(VALU_DEP_2)
	v_cndmask_b32_e64 v9, v6, v9, s12
	v_min_u32_e32 v2, v6, v2
	v_cndmask_b32_e64 v8, v8, v6, s12
	s_delay_alu instid0(VALU_DEP_2)
	v_lshlrev_b32_e32 v2, 3, v2
	ds_load_b64 v[2:3], v2
	s_waitcnt lgkmcnt(0)
	v_cndmask_b32_e64 v10, v3, v5, s12
	v_cndmask_b32_e64 v11, v2, v4, s12
	;; [unrolled: 1-line block ×4, first 2 shown]
	v_cmpx_lt_u32_e64 v9, v15
	s_cbranch_execz .LBB1488_440
; %bb.430:
	s_mov_b32 s0, 0
	s_mov_b32 s19, exec_lo
	v_cmpx_lt_u32_e64 v8, v14
	s_cbranch_execz .LBB1488_439
; %bb.431:
	s_and_not1_b32 vcc_lo, exec_lo, s7
	s_cbranch_vccnz .LBB1488_437
; %bb.432:
	v_mul_lo_u32 v19, v10, s8
	v_mul_lo_u32 v20, v11, s9
	v_mad_u64_u32 v[2:3], null, v11, s8, 0
	v_mul_lo_u32 v21, v17, s8
	v_mul_lo_u32 v22, v18, s9
	v_mad_u64_u32 v[6:7], null, v18, s8, 0
	s_mov_b32 s23, 0
	s_mov_b64 s[20:21], s[8:9]
	s_delay_alu instid0(VALU_DEP_4) | instskip(NEXT) | instid1(VALU_DEP_2)
	v_add3_u32 v3, v3, v20, v19
                                        ; implicit-def: $sgpr24
                                        ; implicit-def: $sgpr25
                                        ; implicit-def: $sgpr26
                                        ; implicit-def: $sgpr27
                                        ; implicit-def: $sgpr28
	v_add3_u32 v7, v7, v22, v21
	s_delay_alu instid0(VALU_DEP_2) | instskip(NEXT) | instid1(VALU_DEP_2)
	v_lshlrev_b64 v[2:3], 2, v[2:3]
	v_lshlrev_b64 v[6:7], 2, v[6:7]
	s_delay_alu instid0(VALU_DEP_2) | instskip(NEXT) | instid1(VALU_DEP_3)
	v_add_co_u32 v2, vcc_lo, s10, v2
	v_add_co_ci_u32_e32 v3, vcc_lo, s11, v3, vcc_lo
	s_delay_alu instid0(VALU_DEP_3) | instskip(NEXT) | instid1(VALU_DEP_4)
	v_add_co_u32 v6, vcc_lo, s10, v6
	v_add_co_ci_u32_e32 v7, vcc_lo, s11, v7, vcc_lo
	s_set_inst_prefetch_distance 0x1
	s_branch .LBB1488_434
	.p2align	6
.LBB1488_433:                           ;   in Loop: Header=BB1488_434 Depth=1
	s_or_b32 exec_lo, exec_lo, s0
	s_delay_alu instid0(SALU_CYCLE_1) | instskip(NEXT) | instid1(SALU_CYCLE_1)
	s_and_b32 s0, exec_lo, s25
	s_or_b32 s23, s0, s23
	s_and_not1_b32 s0, s28, exec_lo
	s_and_b32 s28, s27, exec_lo
	s_and_not1_b32 s24, s24, exec_lo
	s_and_b32 s29, s26, exec_lo
	s_or_b32 s28, s0, s28
	s_or_b32 s24, s24, s29
	s_and_not1_b32 exec_lo, exec_lo, s23
	s_cbranch_execz .LBB1488_436
.LBB1488_434:                           ; =>This Inner Loop Header: Depth=1
	global_load_b32 v19, v[2:3], off
	global_load_b32 v20, v[6:7], off
	s_and_not1_b32 s26, s26, exec_lo
	s_and_not1_b32 s27, s27, exec_lo
	s_or_b32 s25, s25, exec_lo
	s_waitcnt vmcnt(0)
	v_cmp_le_u32_e32 vcc_lo, v19, v20
	v_cmp_lt_u32_e64 s0, v19, v20
	s_and_b32 s29, vcc_lo, s28
	s_delay_alu instid0(VALU_DEP_1) | instid1(SALU_CYCLE_1)
	s_or_b32 s29, s0, s29
	s_delay_alu instid0(SALU_CYCLE_1) | instskip(NEXT) | instid1(SALU_CYCLE_1)
	s_and_b32 s0, s29, exec_lo
	s_or_b32 s26, s26, s0
	s_mov_b32 s0, exec_lo
	v_cmpx_eq_u32_e64 v19, v20
	s_cbranch_execz .LBB1488_433
; %bb.435:                              ;   in Loop: Header=BB1488_434 Depth=1
	s_add_u32 s20, s20, -1
	s_addc_u32 s21, s21, -1
	v_add_co_u32 v2, vcc_lo, v2, 4
	s_cmp_eq_u64 s[20:21], 0
	v_add_co_ci_u32_e32 v3, vcc_lo, 0, v3, vcc_lo
	v_add_co_u32 v6, vcc_lo, v6, 4
	s_cselect_b32 s28, -1, 0
	v_add_co_ci_u32_e32 v7, vcc_lo, 0, v7, vcc_lo
	s_and_not1_b32 s27, s27, exec_lo
	s_and_b32 s29, s29, exec_lo
	s_and_not1_b32 s25, s25, exec_lo
	s_and_b32 s28, s28, exec_lo
	s_or_b32 s27, s27, s29
	s_and_not1_b32 s26, s26, exec_lo
	s_or_b32 s25, s25, s28
                                        ; implicit-def: $sgpr28
	s_branch .LBB1488_433
.LBB1488_436:
	s_set_inst_prefetch_distance 0x2
	s_or_b32 exec_lo, exec_lo, s23
	s_xor_b32 s0, s24, -1
	s_branch .LBB1488_438
.LBB1488_437:
	s_mov_b32 s0, -1
.LBB1488_438:
	s_delay_alu instid0(SALU_CYCLE_1)
	s_and_b32 s0, s0, exec_lo
.LBB1488_439:
	s_or_b32 exec_lo, exec_lo, s19
	s_delay_alu instid0(SALU_CYCLE_1)
	s_or_not1_b32 s19, s0, exec_lo
.LBB1488_440:
	s_or_b32 exec_lo, exec_lo, s22
	v_cndmask_b32_e64 v2, v9, v8, s19
	v_cndmask_b32_e64 v3, v15, v14, s19
	s_mov_b32 s0, -1
	s_mov_b32 s22, exec_lo
	s_delay_alu instid0(VALU_DEP_2) | instskip(NEXT) | instid1(VALU_DEP_2)
	v_add_nc_u32_e32 v6, 1, v2
	v_add_nc_u32_e32 v2, -1, v3
	s_delay_alu instid0(VALU_DEP_2) | instskip(NEXT) | instid1(VALU_DEP_2)
	v_cndmask_b32_e64 v22, v6, v9, s19
	v_min_u32_e32 v2, v6, v2
	v_cndmask_b32_e64 v19, v8, v6, s19
	s_delay_alu instid0(VALU_DEP_2)
	v_lshlrev_b32_e32 v2, 3, v2
	ds_load_b64 v[2:3], v2
	s_waitcnt lgkmcnt(0)
	v_cndmask_b32_e64 v20, v3, v10, s19
	v_cndmask_b32_e64 v21, v2, v11, s19
	;; [unrolled: 1-line block ×4, first 2 shown]
	v_cmpx_lt_u32_e64 v22, v15
	s_cbranch_execz .LBB1488_451
; %bb.441:
	s_mov_b32 s0, 0
	s_mov_b32 s23, exec_lo
	v_cmpx_lt_u32_e64 v19, v14
	s_cbranch_execz .LBB1488_450
; %bb.442:
	s_and_not1_b32 vcc_lo, exec_lo, s7
	s_cbranch_vccnz .LBB1488_448
; %bb.443:
	v_mul_lo_u32 v8, v20, s8
	v_mul_lo_u32 v9, v21, s9
	v_mad_u64_u32 v[2:3], null, v21, s8, 0
	v_mul_lo_u32 v25, v23, s8
	v_mul_lo_u32 v40, v24, s9
	v_mad_u64_u32 v[6:7], null, v24, s8, 0
	s_mov_b32 s24, 0
	s_mov_b64 s[20:21], s[8:9]
	s_delay_alu instid0(VALU_DEP_4) | instskip(NEXT) | instid1(VALU_DEP_2)
	v_add3_u32 v3, v3, v9, v8
                                        ; implicit-def: $sgpr25
                                        ; implicit-def: $sgpr26
                                        ; implicit-def: $sgpr27
                                        ; implicit-def: $sgpr28
                                        ; implicit-def: $sgpr29
	v_add3_u32 v7, v7, v40, v25
	s_delay_alu instid0(VALU_DEP_2) | instskip(NEXT) | instid1(VALU_DEP_2)
	v_lshlrev_b64 v[2:3], 2, v[2:3]
	v_lshlrev_b64 v[6:7], 2, v[6:7]
	s_delay_alu instid0(VALU_DEP_2) | instskip(NEXT) | instid1(VALU_DEP_3)
	v_add_co_u32 v2, vcc_lo, s10, v2
	v_add_co_ci_u32_e32 v3, vcc_lo, s11, v3, vcc_lo
	s_delay_alu instid0(VALU_DEP_3) | instskip(NEXT) | instid1(VALU_DEP_4)
	v_add_co_u32 v6, vcc_lo, s10, v6
	v_add_co_ci_u32_e32 v7, vcc_lo, s11, v7, vcc_lo
	s_set_inst_prefetch_distance 0x1
	s_branch .LBB1488_445
	.p2align	6
.LBB1488_444:                           ;   in Loop: Header=BB1488_445 Depth=1
	s_or_b32 exec_lo, exec_lo, s0
	s_delay_alu instid0(SALU_CYCLE_1) | instskip(NEXT) | instid1(SALU_CYCLE_1)
	s_and_b32 s0, exec_lo, s26
	s_or_b32 s24, s0, s24
	s_and_not1_b32 s0, s29, exec_lo
	s_and_b32 s29, s28, exec_lo
	s_and_not1_b32 s25, s25, exec_lo
	s_and_b32 s30, s27, exec_lo
	s_or_b32 s29, s0, s29
	s_or_b32 s25, s25, s30
	s_and_not1_b32 exec_lo, exec_lo, s24
	s_cbranch_execz .LBB1488_447
.LBB1488_445:                           ; =>This Inner Loop Header: Depth=1
	global_load_b32 v8, v[2:3], off
	global_load_b32 v9, v[6:7], off
	s_and_not1_b32 s27, s27, exec_lo
	s_and_not1_b32 s28, s28, exec_lo
	s_or_b32 s26, s26, exec_lo
	s_waitcnt vmcnt(0)
	v_cmp_le_u32_e32 vcc_lo, v8, v9
	v_cmp_lt_u32_e64 s0, v8, v9
	s_and_b32 s30, vcc_lo, s29
	s_delay_alu instid0(VALU_DEP_1) | instid1(SALU_CYCLE_1)
	s_or_b32 s30, s0, s30
	s_delay_alu instid0(SALU_CYCLE_1) | instskip(NEXT) | instid1(SALU_CYCLE_1)
	s_and_b32 s0, s30, exec_lo
	s_or_b32 s27, s27, s0
	s_mov_b32 s0, exec_lo
	v_cmpx_eq_u32_e64 v8, v9
	s_cbranch_execz .LBB1488_444
; %bb.446:                              ;   in Loop: Header=BB1488_445 Depth=1
	s_add_u32 s20, s20, -1
	s_addc_u32 s21, s21, -1
	v_add_co_u32 v2, vcc_lo, v2, 4
	s_cmp_eq_u64 s[20:21], 0
	v_add_co_ci_u32_e32 v3, vcc_lo, 0, v3, vcc_lo
	v_add_co_u32 v6, vcc_lo, v6, 4
	s_cselect_b32 s29, -1, 0
	v_add_co_ci_u32_e32 v7, vcc_lo, 0, v7, vcc_lo
	s_and_not1_b32 s28, s28, exec_lo
	s_and_b32 s30, s30, exec_lo
	s_and_not1_b32 s26, s26, exec_lo
	s_and_b32 s29, s29, exec_lo
	s_or_b32 s28, s28, s30
	s_and_not1_b32 s27, s27, exec_lo
	s_or_b32 s26, s26, s29
                                        ; implicit-def: $sgpr29
	s_branch .LBB1488_444
.LBB1488_447:
	s_set_inst_prefetch_distance 0x2
	s_or_b32 exec_lo, exec_lo, s24
	s_xor_b32 s0, s25, -1
	s_branch .LBB1488_449
.LBB1488_448:
	s_mov_b32 s0, -1
.LBB1488_449:
	s_delay_alu instid0(SALU_CYCLE_1)
	s_and_b32 s0, s0, exec_lo
.LBB1488_450:
	s_or_b32 exec_lo, exec_lo, s23
	s_delay_alu instid0(SALU_CYCLE_1)
	s_or_not1_b32 s0, s0, exec_lo
.LBB1488_451:
	s_or_b32 exec_lo, exec_lo, s22
	v_cndmask_b32_e64 v2, v22, v19, s0
	v_cndmask_b32_e64 v3, v15, v14, s0
	;; [unrolled: 1-line block ×5, first 2 shown]
	v_add_nc_u32_e32 v25, 1, v2
	v_add_nc_u32_e32 v2, -1, v3
	v_cndmask_b32_e64 v3, v10, v17, s19
	v_cndmask_b32_e64 v4, v21, v24, s0
	s_mov_b32 s12, exec_lo
	v_cndmask_b32_e64 v10, v25, v22, s0
	v_min_u32_e32 v2, v25, v2
	s_delay_alu instid0(VALU_DEP_1)
	v_lshlrev_b32_e32 v2, 3, v2
	ds_load_b64 v[8:9], v2
	v_cndmask_b32_e64 v2, v11, v18, s19
	s_waitcnt lgkmcnt(0)
	v_cndmask_b32_e64 v7, v23, v9, s0
	v_cndmask_b32_e64 v6, v24, v8, s0
	v_cmpx_lt_u32_e64 v10, v15
	s_cbranch_execz .LBB1488_461
; %bb.452:
	v_cndmask_b32_e64 v10, v19, v25, s0
	v_cndmask_b32_e64 v9, v9, v20, s0
	;; [unrolled: 1-line block ×3, first 2 shown]
	s_mov_b32 s19, exec_lo
	s_delay_alu instid0(VALU_DEP_3)
	v_cmpx_lt_u32_e64 v10, v14
	s_cbranch_execz .LBB1488_460
; %bb.453:
	s_and_not1_b32 vcc_lo, exec_lo, s7
	s_cbranch_vccnz .LBB1488_459
; %bb.454:
	v_mul_lo_u32 v17, v9, s8
	v_mul_lo_u32 v18, v8, s9
	v_mad_u64_u32 v[10:11], null, v8, s8, 0
	v_mul_lo_u32 v19, v7, s8
	v_mul_lo_u32 v20, v6, s9
	v_mad_u64_u32 v[14:15], null, v6, s8, 0
	s_mov_b32 s22, 0
	s_mov_b64 s[20:21], s[8:9]
	s_delay_alu instid0(VALU_DEP_4) | instskip(NEXT) | instid1(VALU_DEP_2)
	v_add3_u32 v11, v11, v18, v17
                                        ; implicit-def: $sgpr23
                                        ; implicit-def: $sgpr24
                                        ; implicit-def: $sgpr25
                                        ; implicit-def: $sgpr26
                                        ; implicit-def: $sgpr27
	v_add3_u32 v15, v15, v20, v19
	s_delay_alu instid0(VALU_DEP_2) | instskip(NEXT) | instid1(VALU_DEP_2)
	v_lshlrev_b64 v[10:11], 2, v[10:11]
	v_lshlrev_b64 v[14:15], 2, v[14:15]
	s_delay_alu instid0(VALU_DEP_2) | instskip(NEXT) | instid1(VALU_DEP_3)
	v_add_co_u32 v10, vcc_lo, s10, v10
	v_add_co_ci_u32_e32 v11, vcc_lo, s11, v11, vcc_lo
	s_delay_alu instid0(VALU_DEP_3) | instskip(NEXT) | instid1(VALU_DEP_4)
	v_add_co_u32 v14, vcc_lo, s10, v14
	v_add_co_ci_u32_e32 v15, vcc_lo, s11, v15, vcc_lo
	s_set_inst_prefetch_distance 0x1
	s_branch .LBB1488_456
	.p2align	6
.LBB1488_455:                           ;   in Loop: Header=BB1488_456 Depth=1
	s_or_b32 exec_lo, exec_lo, s0
	s_delay_alu instid0(SALU_CYCLE_1) | instskip(NEXT) | instid1(SALU_CYCLE_1)
	s_and_b32 s0, exec_lo, s24
	s_or_b32 s22, s0, s22
	s_and_not1_b32 s0, s27, exec_lo
	s_and_b32 s27, s26, exec_lo
	s_and_not1_b32 s23, s23, exec_lo
	s_and_b32 s28, s25, exec_lo
	s_or_b32 s27, s0, s27
	s_or_b32 s23, s23, s28
	s_and_not1_b32 exec_lo, exec_lo, s22
	s_cbranch_execz .LBB1488_458
.LBB1488_456:                           ; =>This Inner Loop Header: Depth=1
	global_load_b32 v17, v[10:11], off
	global_load_b32 v18, v[14:15], off
	s_and_not1_b32 s25, s25, exec_lo
	s_and_not1_b32 s26, s26, exec_lo
	s_or_b32 s24, s24, exec_lo
	s_waitcnt vmcnt(0)
	v_cmp_le_u32_e32 vcc_lo, v17, v18
	v_cmp_lt_u32_e64 s0, v17, v18
	s_and_b32 s28, vcc_lo, s27
	s_delay_alu instid0(VALU_DEP_1) | instid1(SALU_CYCLE_1)
	s_or_b32 s28, s0, s28
	s_delay_alu instid0(SALU_CYCLE_1) | instskip(NEXT) | instid1(SALU_CYCLE_1)
	s_and_b32 s0, s28, exec_lo
	s_or_b32 s25, s25, s0
	s_mov_b32 s0, exec_lo
	v_cmpx_eq_u32_e64 v17, v18
	s_cbranch_execz .LBB1488_455
; %bb.457:                              ;   in Loop: Header=BB1488_456 Depth=1
	s_add_u32 s20, s20, -1
	s_addc_u32 s21, s21, -1
	v_add_co_u32 v10, vcc_lo, v10, 4
	s_cmp_eq_u64 s[20:21], 0
	v_add_co_ci_u32_e32 v11, vcc_lo, 0, v11, vcc_lo
	v_add_co_u32 v14, vcc_lo, v14, 4
	s_cselect_b32 s27, -1, 0
	v_add_co_ci_u32_e32 v15, vcc_lo, 0, v15, vcc_lo
	s_and_not1_b32 s26, s26, exec_lo
	s_and_b32 s28, s28, exec_lo
	s_and_not1_b32 s24, s24, exec_lo
	s_and_b32 s27, s27, exec_lo
	s_or_b32 s26, s26, s28
	s_and_not1_b32 s25, s25, exec_lo
	s_or_b32 s24, s24, s27
                                        ; implicit-def: $sgpr27
	s_branch .LBB1488_455
.LBB1488_458:
	s_set_inst_prefetch_distance 0x2
	s_or_b32 exec_lo, exec_lo, s22
	v_cndmask_b32_e64 v7, v7, v9, s23
	v_cndmask_b32_e64 v6, v6, v8, s23
.LBB1488_459:
	s_delay_alu instid0(VALU_DEP_1)
	v_dual_mov_b32 v9, v7 :: v_dual_mov_b32 v8, v6
.LBB1488_460:
	s_or_b32 exec_lo, exec_lo, s19
	s_delay_alu instid0(VALU_DEP_1)
	v_dual_mov_b32 v6, v8 :: v_dual_mov_b32 v7, v9
.LBB1488_461:
	s_or_b32 exec_lo, exec_lo, s12
.LBB1488_462:
	s_delay_alu instid0(SALU_CYCLE_1) | instskip(SKIP_4) | instid1(VALU_DEP_2)
	s_or_b32 exec_lo, exec_lo, s1
	v_and_b32_e32 v18, 0xc00, v27
	v_and_b32_e32 v19, 0x3fc, v27
	s_mov_b32 s1, exec_lo
	s_barrier
	v_or_b32_e32 v8, 0x200, v18
	v_lshlrev_b32_e32 v17, 3, v18
	buffer_gl0_inv
	ds_store_b128 v16, v[0:3]
	ds_store_b128 v16, v[4:7] offset:16
	s_waitcnt lgkmcnt(0)
	v_min_u32_e32 v14, 0x400, v8
	s_barrier
	buffer_gl0_inv
	v_sub_nc_u32_e32 v8, 0x400, v14
	v_sub_nc_u32_e32 v9, v14, v18
	s_delay_alu instid0(VALU_DEP_2) | instskip(NEXT) | instid1(VALU_DEP_2)
	v_sub_nc_u32_e64 v15, v19, v8 clamp
	v_min_u32_e32 v20, v19, v9
	s_delay_alu instid0(VALU_DEP_1)
	v_cmpx_lt_u32_e64 v15, v20
	s_cbranch_execz .LBB1488_472
; %bb.463:
	v_lshlrev_b32_e32 v8, 3, v19
	s_lshl_b64 s[20:21], s[8:9], 2
	s_mov_b32 s12, 0
	s_delay_alu instid0(VALU_DEP_1)
	v_lshl_add_u32 v16, v14, 3, v8
	s_branch .LBB1488_466
.LBB1488_464:                           ;   in Loop: Header=BB1488_466 Depth=1
	s_set_inst_prefetch_distance 0x2
	s_or_b32 exec_lo, exec_lo, s19
.LBB1488_465:                           ;   in Loop: Header=BB1488_466 Depth=1
	s_delay_alu instid0(VALU_DEP_1) | instskip(SKIP_1) | instid1(VALU_DEP_2)
	v_add_nc_u32_e32 v8, 1, v21
	v_cndmask_b32_e64 v20, v20, v21, s24
	v_cndmask_b32_e64 v15, v8, v15, s24
	s_delay_alu instid0(VALU_DEP_1) | instskip(SKIP_1) | instid1(SALU_CYCLE_1)
	v_cmp_ge_u32_e32 vcc_lo, v15, v20
	s_or_b32 s12, vcc_lo, s12
	s_and_not1_b32 exec_lo, exec_lo, s12
	s_cbranch_execz .LBB1488_471
.LBB1488_466:                           ; =>This Loop Header: Depth=1
                                        ;     Child Loop BB1488_469 Depth 2
	v_add_nc_u32_e32 v8, v20, v15
	s_and_not1_b32 vcc_lo, exec_lo, s7
	s_mov_b32 s24, 0
	s_delay_alu instid0(VALU_DEP_1)
	v_lshrrev_b32_e32 v21, 1, v8
	s_cbranch_vccnz .LBB1488_465
; %bb.467:                              ;   in Loop: Header=BB1488_466 Depth=1
	s_delay_alu instid0(VALU_DEP_1) | instskip(SKIP_3) | instid1(VALU_DEP_2)
	v_not_b32_e32 v8, v21
	v_lshl_add_u32 v9, v21, 3, v17
	s_mov_b32 s19, 0
	s_mov_b64 s[22:23], s[8:9]
                                        ; implicit-def: $sgpr24
                                        ; implicit-def: $sgpr25
                                        ; implicit-def: $sgpr26
                                        ; implicit-def: $sgpr27
                                        ; implicit-def: $sgpr28
	v_lshl_add_u32 v8, v8, 3, v16
	ds_load_b64 v[10:11], v8
	ds_load_b64 v[22:23], v9
	s_waitcnt lgkmcnt(1)
	v_mul_lo_u32 v24, s20, v11
	v_mul_lo_u32 v25, s21, v10
	v_mad_u64_u32 v[8:9], null, s20, v10, s[10:11]
	s_waitcnt lgkmcnt(0)
	v_mul_lo_u32 v23, s20, v23
	v_mul_lo_u32 v40, s21, v22
	v_mad_u64_u32 v[10:11], null, s20, v22, s[10:11]
	s_delay_alu instid0(VALU_DEP_4) | instskip(NEXT) | instid1(VALU_DEP_2)
	v_add3_u32 v9, v25, v9, v24
	v_add3_u32 v11, v40, v11, v23
	s_set_inst_prefetch_distance 0x1
	s_branch .LBB1488_469
	.p2align	6
.LBB1488_468:                           ;   in Loop: Header=BB1488_469 Depth=2
	s_or_b32 exec_lo, exec_lo, s29
	s_delay_alu instid0(SALU_CYCLE_1) | instskip(NEXT) | instid1(SALU_CYCLE_1)
	s_and_b32 s0, exec_lo, s25
	s_or_b32 s19, s0, s19
	s_and_not1_b32 s0, s28, exec_lo
	s_and_b32 s28, s26, exec_lo
	s_and_not1_b32 s24, s24, exec_lo
	s_and_b32 s29, s27, exec_lo
	s_or_b32 s28, s0, s28
	s_or_b32 s24, s24, s29
	s_and_not1_b32 exec_lo, exec_lo, s19
	s_cbranch_execz .LBB1488_464
.LBB1488_469:                           ;   Parent Loop BB1488_466 Depth=1
                                        ; =>  This Inner Loop Header: Depth=2
	global_load_b32 v22, v[8:9], off
	global_load_b32 v23, v[10:11], off
	s_and_not1_b32 s27, s27, exec_lo
	s_and_not1_b32 s26, s26, exec_lo
	s_or_b32 s25, s25, exec_lo
	s_waitcnt vmcnt(0)
	v_cmp_le_u32_e32 vcc_lo, v22, v23
	v_cmp_lt_u32_e64 s0, v22, v23
	s_and_b32 s29, vcc_lo, s28
	s_delay_alu instid0(VALU_DEP_1) | instid1(SALU_CYCLE_1)
	s_or_b32 s0, s0, s29
	s_delay_alu instid0(SALU_CYCLE_1) | instskip(NEXT) | instid1(SALU_CYCLE_1)
	s_and_b32 s29, s0, exec_lo
	s_or_b32 s27, s27, s29
	s_mov_b32 s29, exec_lo
	v_cmpx_eq_u32_e64 v22, v23
	s_cbranch_execz .LBB1488_468
; %bb.470:                              ;   in Loop: Header=BB1488_469 Depth=2
	s_add_u32 s22, s22, -1
	s_addc_u32 s23, s23, -1
	v_add_co_u32 v8, vcc_lo, v8, 4
	v_add_co_ci_u32_e32 v9, vcc_lo, 0, v9, vcc_lo
	s_cmp_eq_u64 s[22:23], 0
	v_add_co_u32 v10, vcc_lo, v10, 4
	s_cselect_b32 s28, -1, 0
	v_add_co_ci_u32_e32 v11, vcc_lo, 0, v11, vcc_lo
	s_and_not1_b32 s26, s26, exec_lo
	s_and_b32 s0, s0, exec_lo
	s_and_not1_b32 s25, s25, exec_lo
	s_and_b32 s28, s28, exec_lo
	s_and_not1_b32 s27, s27, exec_lo
	s_or_b32 s26, s26, s0
	s_or_b32 s25, s25, s28
                                        ; implicit-def: $sgpr28
	s_branch .LBB1488_468
.LBB1488_471:
	s_or_b32 exec_lo, exec_lo, s12
.LBB1488_472:
	s_delay_alu instid0(SALU_CYCLE_1) | instskip(SKIP_2) | instid1(VALU_DEP_2)
	s_or_b32 exec_lo, exec_lo, s1
	v_sub_nc_u32_e32 v8, v19, v15
	v_add_nc_u32_e32 v9, v15, v18
	v_add_nc_u32_e32 v10, v8, v14
	s_delay_alu instid0(VALU_DEP_2) | instskip(NEXT) | instid1(VALU_DEP_2)
	v_cmp_le_u32_e32 vcc_lo, v9, v14
	v_cmp_gt_u32_e64 s0, 0x401, v10
	s_delay_alu instid0(VALU_DEP_1) | instskip(NEXT) | instid1(SALU_CYCLE_1)
	s_or_b32 s0, vcc_lo, s0
	s_and_saveexec_b32 s1, s0
	s_cbranch_execz .LBB1488_519
; %bb.473:
	v_cmp_ge_u32_e32 vcc_lo, v9, v14
	s_mov_b32 s12, exec_lo
                                        ; implicit-def: $vgpr0_vgpr1
	v_cmpx_lt_u32_e64 v9, v14
	s_cbranch_execz .LBB1488_475
; %bb.474:
	v_lshl_add_u32 v0, v15, 3, v17
	ds_load_b64 v[0:1], v0
.LBB1488_475:
	s_or_b32 exec_lo, exec_lo, s12
	v_cmp_lt_u32_e64 s12, 0x3ff, v10
	s_mov_b32 s19, exec_lo
                                        ; implicit-def: $vgpr4_vgpr5
	v_cmpx_gt_u32_e32 0x400, v10
	s_cbranch_execz .LBB1488_477
; %bb.476:
	v_lshlrev_b32_e32 v2, 3, v10
	ds_load_b64 v[4:5], v2
.LBB1488_477:
	s_or_b32 exec_lo, exec_lo, s19
	s_or_b32 s0, vcc_lo, s12
	s_mov_b32 s19, -1
	s_xor_b32 s0, s0, -1
	s_delay_alu instid0(SALU_CYCLE_1)
	s_and_saveexec_b32 s22, s0
	s_cbranch_execz .LBB1488_486
; %bb.478:
	s_and_not1_b32 vcc_lo, exec_lo, s7
	s_cbranch_vccnz .LBB1488_484
; %bb.479:
	s_waitcnt lgkmcnt(0)
	v_mul_lo_u32 v8, v5, s8
	v_mul_lo_u32 v11, v4, s9
	v_mad_u64_u32 v[2:3], null, v4, s8, 0
	v_mul_lo_u32 v15, v1, s8
	v_mul_lo_u32 v16, v0, s9
	v_mad_u64_u32 v[6:7], null, v0, s8, 0
	s_mov_b32 s23, 0
	s_mov_b64 s[20:21], s[8:9]
	s_delay_alu instid0(VALU_DEP_4) | instskip(NEXT) | instid1(VALU_DEP_2)
	v_add3_u32 v3, v3, v11, v8
                                        ; implicit-def: $sgpr24
                                        ; implicit-def: $sgpr25
                                        ; implicit-def: $sgpr26
                                        ; implicit-def: $sgpr27
                                        ; implicit-def: $sgpr28
	v_add3_u32 v7, v7, v16, v15
	s_delay_alu instid0(VALU_DEP_2) | instskip(NEXT) | instid1(VALU_DEP_2)
	v_lshlrev_b64 v[2:3], 2, v[2:3]
	v_lshlrev_b64 v[6:7], 2, v[6:7]
	s_delay_alu instid0(VALU_DEP_2) | instskip(NEXT) | instid1(VALU_DEP_3)
	v_add_co_u32 v2, vcc_lo, s10, v2
	v_add_co_ci_u32_e32 v3, vcc_lo, s11, v3, vcc_lo
	s_delay_alu instid0(VALU_DEP_3) | instskip(NEXT) | instid1(VALU_DEP_4)
	v_add_co_u32 v6, vcc_lo, s10, v6
	v_add_co_ci_u32_e32 v7, vcc_lo, s11, v7, vcc_lo
	s_set_inst_prefetch_distance 0x1
	s_branch .LBB1488_481
	.p2align	6
.LBB1488_480:                           ;   in Loop: Header=BB1488_481 Depth=1
	s_or_b32 exec_lo, exec_lo, s0
	s_delay_alu instid0(SALU_CYCLE_1) | instskip(NEXT) | instid1(SALU_CYCLE_1)
	s_and_b32 s0, exec_lo, s25
	s_or_b32 s23, s0, s23
	s_and_not1_b32 s0, s28, exec_lo
	s_and_b32 s28, s27, exec_lo
	s_and_not1_b32 s24, s24, exec_lo
	s_and_b32 s29, s26, exec_lo
	s_or_b32 s28, s0, s28
	s_or_b32 s24, s24, s29
	s_and_not1_b32 exec_lo, exec_lo, s23
	s_cbranch_execz .LBB1488_483
.LBB1488_481:                           ; =>This Inner Loop Header: Depth=1
	global_load_b32 v8, v[2:3], off
	global_load_b32 v11, v[6:7], off
	s_and_not1_b32 s26, s26, exec_lo
	s_and_not1_b32 s27, s27, exec_lo
	s_or_b32 s25, s25, exec_lo
	s_waitcnt vmcnt(0)
	v_cmp_le_u32_e32 vcc_lo, v8, v11
	v_cmp_lt_u32_e64 s0, v8, v11
	s_and_b32 s29, vcc_lo, s28
	s_delay_alu instid0(VALU_DEP_1) | instid1(SALU_CYCLE_1)
	s_or_b32 s29, s0, s29
	s_delay_alu instid0(SALU_CYCLE_1) | instskip(NEXT) | instid1(SALU_CYCLE_1)
	s_and_b32 s0, s29, exec_lo
	s_or_b32 s26, s26, s0
	s_mov_b32 s0, exec_lo
	v_cmpx_eq_u32_e64 v8, v11
	s_cbranch_execz .LBB1488_480
; %bb.482:                              ;   in Loop: Header=BB1488_481 Depth=1
	s_add_u32 s20, s20, -1
	s_addc_u32 s21, s21, -1
	v_add_co_u32 v2, vcc_lo, v2, 4
	s_cmp_eq_u64 s[20:21], 0
	v_add_co_ci_u32_e32 v3, vcc_lo, 0, v3, vcc_lo
	v_add_co_u32 v6, vcc_lo, v6, 4
	s_cselect_b32 s28, -1, 0
	v_add_co_ci_u32_e32 v7, vcc_lo, 0, v7, vcc_lo
	s_and_not1_b32 s27, s27, exec_lo
	s_and_b32 s29, s29, exec_lo
	s_and_not1_b32 s25, s25, exec_lo
	s_and_b32 s28, s28, exec_lo
	s_or_b32 s27, s27, s29
	s_and_not1_b32 s26, s26, exec_lo
	s_or_b32 s25, s25, s28
                                        ; implicit-def: $sgpr28
	s_branch .LBB1488_480
.LBB1488_483:
	s_set_inst_prefetch_distance 0x2
	s_or_b32 exec_lo, exec_lo, s23
	s_xor_b32 s0, s24, -1
	s_branch .LBB1488_485
.LBB1488_484:
	s_mov_b32 s0, -1
.LBB1488_485:
	s_and_not1_b32 s12, s12, exec_lo
	s_and_b32 s0, s0, exec_lo
	s_delay_alu instid0(SALU_CYCLE_1)
	s_or_b32 s12, s12, s0
.LBB1488_486:
	s_or_b32 exec_lo, exec_lo, s22
	v_cndmask_b32_e64 v2, v10, v9, s12
	v_add_nc_u32_e32 v8, -1, v14
	s_mov_b32 s22, exec_lo
	s_delay_alu instid0(VALU_DEP_2) | instskip(NEXT) | instid1(VALU_DEP_2)
	v_add_nc_u32_e32 v6, 1, v2
	v_cndmask_b32_e64 v2, 0x3ff, v8, s12
	s_delay_alu instid0(VALU_DEP_2) | instskip(NEXT) | instid1(VALU_DEP_2)
	v_cndmask_b32_e64 v17, v6, v10, s12
	v_min_u32_e32 v2, v6, v2
	v_cndmask_b32_e64 v9, v9, v6, s12
	s_delay_alu instid0(VALU_DEP_2)
	v_lshlrev_b32_e32 v2, 3, v2
	ds_load_b64 v[2:3], v2
	s_waitcnt lgkmcnt(0)
	v_cndmask_b32_e64 v10, v3, v5, s12
	v_cndmask_b32_e64 v11, v2, v4, s12
	v_cndmask_b32_e64 v15, v1, v3, s12
	v_cndmask_b32_e64 v16, v0, v2, s12
	v_cmpx_gt_u32_e32 0x400, v17
	s_cbranch_execz .LBB1488_497
; %bb.487:
	s_mov_b32 s0, 0
	s_mov_b32 s19, exec_lo
	v_cmpx_lt_u32_e64 v9, v14
	s_cbranch_execz .LBB1488_496
; %bb.488:
	s_and_not1_b32 vcc_lo, exec_lo, s7
	s_cbranch_vccnz .LBB1488_494
; %bb.489:
	v_mul_lo_u32 v18, v10, s8
	v_mul_lo_u32 v19, v11, s9
	v_mad_u64_u32 v[2:3], null, v11, s8, 0
	v_mul_lo_u32 v20, v15, s8
	v_mul_lo_u32 v21, v16, s9
	v_mad_u64_u32 v[6:7], null, v16, s8, 0
	s_mov_b32 s23, 0
	s_mov_b64 s[20:21], s[8:9]
	s_delay_alu instid0(VALU_DEP_4) | instskip(NEXT) | instid1(VALU_DEP_2)
	v_add3_u32 v3, v3, v19, v18
                                        ; implicit-def: $sgpr24
                                        ; implicit-def: $sgpr25
                                        ; implicit-def: $sgpr26
                                        ; implicit-def: $sgpr27
                                        ; implicit-def: $sgpr28
	v_add3_u32 v7, v7, v21, v20
	s_delay_alu instid0(VALU_DEP_2) | instskip(NEXT) | instid1(VALU_DEP_2)
	v_lshlrev_b64 v[2:3], 2, v[2:3]
	v_lshlrev_b64 v[6:7], 2, v[6:7]
	s_delay_alu instid0(VALU_DEP_2) | instskip(NEXT) | instid1(VALU_DEP_3)
	v_add_co_u32 v2, vcc_lo, s10, v2
	v_add_co_ci_u32_e32 v3, vcc_lo, s11, v3, vcc_lo
	s_delay_alu instid0(VALU_DEP_3) | instskip(NEXT) | instid1(VALU_DEP_4)
	v_add_co_u32 v6, vcc_lo, s10, v6
	v_add_co_ci_u32_e32 v7, vcc_lo, s11, v7, vcc_lo
	s_set_inst_prefetch_distance 0x1
	s_branch .LBB1488_491
	.p2align	6
.LBB1488_490:                           ;   in Loop: Header=BB1488_491 Depth=1
	s_or_b32 exec_lo, exec_lo, s0
	s_delay_alu instid0(SALU_CYCLE_1) | instskip(NEXT) | instid1(SALU_CYCLE_1)
	s_and_b32 s0, exec_lo, s25
	s_or_b32 s23, s0, s23
	s_and_not1_b32 s0, s28, exec_lo
	s_and_b32 s28, s27, exec_lo
	s_and_not1_b32 s24, s24, exec_lo
	s_and_b32 s29, s26, exec_lo
	s_or_b32 s28, s0, s28
	s_or_b32 s24, s24, s29
	s_and_not1_b32 exec_lo, exec_lo, s23
	s_cbranch_execz .LBB1488_493
.LBB1488_491:                           ; =>This Inner Loop Header: Depth=1
	global_load_b32 v18, v[2:3], off
	global_load_b32 v19, v[6:7], off
	s_and_not1_b32 s26, s26, exec_lo
	s_and_not1_b32 s27, s27, exec_lo
	s_or_b32 s25, s25, exec_lo
	s_waitcnt vmcnt(0)
	v_cmp_le_u32_e32 vcc_lo, v18, v19
	v_cmp_lt_u32_e64 s0, v18, v19
	s_and_b32 s29, vcc_lo, s28
	s_delay_alu instid0(VALU_DEP_1) | instid1(SALU_CYCLE_1)
	s_or_b32 s29, s0, s29
	s_delay_alu instid0(SALU_CYCLE_1) | instskip(NEXT) | instid1(SALU_CYCLE_1)
	s_and_b32 s0, s29, exec_lo
	s_or_b32 s26, s26, s0
	s_mov_b32 s0, exec_lo
	v_cmpx_eq_u32_e64 v18, v19
	s_cbranch_execz .LBB1488_490
; %bb.492:                              ;   in Loop: Header=BB1488_491 Depth=1
	s_add_u32 s20, s20, -1
	s_addc_u32 s21, s21, -1
	v_add_co_u32 v2, vcc_lo, v2, 4
	s_cmp_eq_u64 s[20:21], 0
	v_add_co_ci_u32_e32 v3, vcc_lo, 0, v3, vcc_lo
	v_add_co_u32 v6, vcc_lo, v6, 4
	s_cselect_b32 s28, -1, 0
	v_add_co_ci_u32_e32 v7, vcc_lo, 0, v7, vcc_lo
	s_and_not1_b32 s27, s27, exec_lo
	s_and_b32 s29, s29, exec_lo
	s_and_not1_b32 s25, s25, exec_lo
	s_and_b32 s28, s28, exec_lo
	s_or_b32 s27, s27, s29
	s_and_not1_b32 s26, s26, exec_lo
	s_or_b32 s25, s25, s28
                                        ; implicit-def: $sgpr28
	s_branch .LBB1488_490
.LBB1488_493:
	s_set_inst_prefetch_distance 0x2
	s_or_b32 exec_lo, exec_lo, s23
	s_xor_b32 s0, s24, -1
	s_branch .LBB1488_495
.LBB1488_494:
	s_mov_b32 s0, -1
.LBB1488_495:
	s_delay_alu instid0(SALU_CYCLE_1)
	s_and_b32 s0, s0, exec_lo
.LBB1488_496:
	s_or_b32 exec_lo, exec_lo, s19
	s_delay_alu instid0(SALU_CYCLE_1)
	s_or_not1_b32 s19, s0, exec_lo
.LBB1488_497:
	s_or_b32 exec_lo, exec_lo, s22
	v_cndmask_b32_e64 v2, v17, v9, s19
	v_cndmask_b32_e64 v3, 0x3ff, v8, s19
	s_mov_b32 s0, -1
	s_mov_b32 s22, exec_lo
	s_delay_alu instid0(VALU_DEP_2) | instskip(NEXT) | instid1(VALU_DEP_1)
	v_add_nc_u32_e32 v6, 1, v2
	v_min_u32_e32 v2, v6, v3
	v_cndmask_b32_e64 v20, v6, v17, s19
	v_cndmask_b32_e64 v17, v9, v6, s19
	s_delay_alu instid0(VALU_DEP_3)
	v_lshlrev_b32_e32 v2, 3, v2
	ds_load_b64 v[2:3], v2
	s_waitcnt lgkmcnt(0)
	v_cndmask_b32_e64 v18, v3, v10, s19
	v_cndmask_b32_e64 v19, v2, v11, s19
	;; [unrolled: 1-line block ×4, first 2 shown]
	v_cmpx_gt_u32_e32 0x400, v20
	s_cbranch_execz .LBB1488_508
; %bb.498:
	s_mov_b32 s0, 0
	s_mov_b32 s23, exec_lo
	v_cmpx_lt_u32_e64 v17, v14
	s_cbranch_execz .LBB1488_507
; %bb.499:
	s_and_not1_b32 vcc_lo, exec_lo, s7
	s_cbranch_vccnz .LBB1488_505
; %bb.500:
	v_mul_lo_u32 v9, v18, s8
	v_mul_lo_u32 v23, v19, s9
	v_mad_u64_u32 v[2:3], null, v19, s8, 0
	v_mul_lo_u32 v24, v21, s8
	v_mul_lo_u32 v25, v22, s9
	v_mad_u64_u32 v[6:7], null, v22, s8, 0
	s_mov_b32 s24, 0
	s_mov_b64 s[20:21], s[8:9]
	s_delay_alu instid0(VALU_DEP_4) | instskip(NEXT) | instid1(VALU_DEP_2)
	v_add3_u32 v3, v3, v23, v9
                                        ; implicit-def: $sgpr25
                                        ; implicit-def: $sgpr26
                                        ; implicit-def: $sgpr27
                                        ; implicit-def: $sgpr28
                                        ; implicit-def: $sgpr29
	v_add3_u32 v7, v7, v25, v24
	s_delay_alu instid0(VALU_DEP_2) | instskip(NEXT) | instid1(VALU_DEP_2)
	v_lshlrev_b64 v[2:3], 2, v[2:3]
	v_lshlrev_b64 v[6:7], 2, v[6:7]
	s_delay_alu instid0(VALU_DEP_2) | instskip(NEXT) | instid1(VALU_DEP_3)
	v_add_co_u32 v2, vcc_lo, s10, v2
	v_add_co_ci_u32_e32 v3, vcc_lo, s11, v3, vcc_lo
	s_delay_alu instid0(VALU_DEP_3) | instskip(NEXT) | instid1(VALU_DEP_4)
	v_add_co_u32 v6, vcc_lo, s10, v6
	v_add_co_ci_u32_e32 v7, vcc_lo, s11, v7, vcc_lo
	s_set_inst_prefetch_distance 0x1
	s_branch .LBB1488_502
	.p2align	6
.LBB1488_501:                           ;   in Loop: Header=BB1488_502 Depth=1
	s_or_b32 exec_lo, exec_lo, s0
	s_delay_alu instid0(SALU_CYCLE_1) | instskip(NEXT) | instid1(SALU_CYCLE_1)
	s_and_b32 s0, exec_lo, s26
	s_or_b32 s24, s0, s24
	s_and_not1_b32 s0, s29, exec_lo
	s_and_b32 s29, s28, exec_lo
	s_and_not1_b32 s25, s25, exec_lo
	s_and_b32 s30, s27, exec_lo
	s_or_b32 s29, s0, s29
	s_or_b32 s25, s25, s30
	s_and_not1_b32 exec_lo, exec_lo, s24
	s_cbranch_execz .LBB1488_504
.LBB1488_502:                           ; =>This Inner Loop Header: Depth=1
	global_load_b32 v9, v[2:3], off
	global_load_b32 v23, v[6:7], off
	s_and_not1_b32 s27, s27, exec_lo
	s_and_not1_b32 s28, s28, exec_lo
	s_or_b32 s26, s26, exec_lo
	s_waitcnt vmcnt(0)
	v_cmp_le_u32_e32 vcc_lo, v9, v23
	v_cmp_lt_u32_e64 s0, v9, v23
	s_and_b32 s30, vcc_lo, s29
	s_delay_alu instid0(VALU_DEP_1) | instid1(SALU_CYCLE_1)
	s_or_b32 s30, s0, s30
	s_delay_alu instid0(SALU_CYCLE_1) | instskip(NEXT) | instid1(SALU_CYCLE_1)
	s_and_b32 s0, s30, exec_lo
	s_or_b32 s27, s27, s0
	s_mov_b32 s0, exec_lo
	v_cmpx_eq_u32_e64 v9, v23
	s_cbranch_execz .LBB1488_501
; %bb.503:                              ;   in Loop: Header=BB1488_502 Depth=1
	s_add_u32 s20, s20, -1
	s_addc_u32 s21, s21, -1
	v_add_co_u32 v2, vcc_lo, v2, 4
	s_cmp_eq_u64 s[20:21], 0
	v_add_co_ci_u32_e32 v3, vcc_lo, 0, v3, vcc_lo
	v_add_co_u32 v6, vcc_lo, v6, 4
	s_cselect_b32 s29, -1, 0
	v_add_co_ci_u32_e32 v7, vcc_lo, 0, v7, vcc_lo
	s_and_not1_b32 s28, s28, exec_lo
	s_and_b32 s30, s30, exec_lo
	s_and_not1_b32 s26, s26, exec_lo
	s_and_b32 s29, s29, exec_lo
	s_or_b32 s28, s28, s30
	s_and_not1_b32 s27, s27, exec_lo
	s_or_b32 s26, s26, s29
                                        ; implicit-def: $sgpr29
	s_branch .LBB1488_501
.LBB1488_504:
	s_set_inst_prefetch_distance 0x2
	s_or_b32 exec_lo, exec_lo, s24
	s_xor_b32 s0, s25, -1
	s_branch .LBB1488_506
.LBB1488_505:
	s_mov_b32 s0, -1
.LBB1488_506:
	s_delay_alu instid0(SALU_CYCLE_1)
	s_and_b32 s0, s0, exec_lo
.LBB1488_507:
	s_or_b32 exec_lo, exec_lo, s23
	s_delay_alu instid0(SALU_CYCLE_1)
	s_or_not1_b32 s0, s0, exec_lo
.LBB1488_508:
	s_or_b32 exec_lo, exec_lo, s22
	v_cndmask_b32_e64 v2, v20, v17, s0
	v_cndmask_b32_e64 v3, 0x3ff, v8, s0
	;; [unrolled: 1-line block ×5, first 2 shown]
	v_add_nc_u32_e32 v23, 1, v2
	v_cndmask_b32_e64 v4, v19, v22, s0
	s_mov_b32 s12, exec_lo
	s_delay_alu instid0(VALU_DEP_2) | instskip(SKIP_2) | instid1(VALU_DEP_3)
	v_min_u32_e32 v2, v23, v3
	v_cndmask_b32_e64 v3, v10, v15, s19
	v_cndmask_b32_e64 v10, v23, v20, s0
	v_lshlrev_b32_e32 v2, 3, v2
	ds_load_b64 v[8:9], v2
	v_cndmask_b32_e64 v2, v11, v16, s19
	s_waitcnt lgkmcnt(0)
	v_cndmask_b32_e64 v7, v21, v9, s0
	v_cndmask_b32_e64 v6, v22, v8, s0
	v_cmpx_gt_u32_e32 0x400, v10
	s_cbranch_execz .LBB1488_518
; %bb.509:
	v_cndmask_b32_e64 v10, v17, v23, s0
	v_cndmask_b32_e64 v9, v9, v18, s0
	;; [unrolled: 1-line block ×3, first 2 shown]
	s_mov_b32 s19, exec_lo
	s_delay_alu instid0(VALU_DEP_3)
	v_cmpx_lt_u32_e64 v10, v14
	s_cbranch_execz .LBB1488_517
; %bb.510:
	s_and_not1_b32 vcc_lo, exec_lo, s7
	s_cbranch_vccnz .LBB1488_516
; %bb.511:
	v_mul_lo_u32 v16, v9, s8
	v_mul_lo_u32 v17, v8, s9
	v_mad_u64_u32 v[10:11], null, v8, s8, 0
	v_mul_lo_u32 v18, v7, s8
	v_mul_lo_u32 v19, v6, s9
	v_mad_u64_u32 v[14:15], null, v6, s8, 0
	s_mov_b32 s7, 0
	s_mov_b64 s[20:21], s[8:9]
	s_delay_alu instid0(VALU_DEP_4) | instskip(NEXT) | instid1(VALU_DEP_2)
	v_add3_u32 v11, v11, v17, v16
                                        ; implicit-def: $sgpr22
                                        ; implicit-def: $sgpr23
                                        ; implicit-def: $sgpr24
                                        ; implicit-def: $sgpr25
                                        ; implicit-def: $sgpr26
	v_add3_u32 v15, v15, v19, v18
	s_delay_alu instid0(VALU_DEP_2) | instskip(NEXT) | instid1(VALU_DEP_2)
	v_lshlrev_b64 v[10:11], 2, v[10:11]
	v_lshlrev_b64 v[14:15], 2, v[14:15]
	s_delay_alu instid0(VALU_DEP_2) | instskip(NEXT) | instid1(VALU_DEP_3)
	v_add_co_u32 v10, vcc_lo, s10, v10
	v_add_co_ci_u32_e32 v11, vcc_lo, s11, v11, vcc_lo
	s_delay_alu instid0(VALU_DEP_3) | instskip(NEXT) | instid1(VALU_DEP_4)
	v_add_co_u32 v14, vcc_lo, s10, v14
	v_add_co_ci_u32_e32 v15, vcc_lo, s11, v15, vcc_lo
	s_set_inst_prefetch_distance 0x1
	s_branch .LBB1488_513
	.p2align	6
.LBB1488_512:                           ;   in Loop: Header=BB1488_513 Depth=1
	s_or_b32 exec_lo, exec_lo, s0
	s_delay_alu instid0(SALU_CYCLE_1) | instskip(NEXT) | instid1(SALU_CYCLE_1)
	s_and_b32 s0, exec_lo, s23
	s_or_b32 s7, s0, s7
	s_and_not1_b32 s0, s26, exec_lo
	s_and_b32 s26, s25, exec_lo
	s_and_not1_b32 s22, s22, exec_lo
	s_and_b32 s27, s24, exec_lo
	s_or_b32 s26, s0, s26
	s_or_b32 s22, s22, s27
	s_and_not1_b32 exec_lo, exec_lo, s7
	s_cbranch_execz .LBB1488_515
.LBB1488_513:                           ; =>This Inner Loop Header: Depth=1
	global_load_b32 v16, v[10:11], off
	global_load_b32 v17, v[14:15], off
	s_and_not1_b32 s24, s24, exec_lo
	s_and_not1_b32 s25, s25, exec_lo
	s_or_b32 s23, s23, exec_lo
	s_waitcnt vmcnt(0)
	v_cmp_le_u32_e32 vcc_lo, v16, v17
	v_cmp_lt_u32_e64 s0, v16, v17
	s_and_b32 s27, vcc_lo, s26
	s_delay_alu instid0(VALU_DEP_1) | instid1(SALU_CYCLE_1)
	s_or_b32 s27, s0, s27
	s_delay_alu instid0(SALU_CYCLE_1) | instskip(NEXT) | instid1(SALU_CYCLE_1)
	s_and_b32 s0, s27, exec_lo
	s_or_b32 s24, s24, s0
	s_mov_b32 s0, exec_lo
	v_cmpx_eq_u32_e64 v16, v17
	s_cbranch_execz .LBB1488_512
; %bb.514:                              ;   in Loop: Header=BB1488_513 Depth=1
	s_add_u32 s20, s20, -1
	s_addc_u32 s21, s21, -1
	v_add_co_u32 v10, vcc_lo, v10, 4
	s_cmp_eq_u64 s[20:21], 0
	v_add_co_ci_u32_e32 v11, vcc_lo, 0, v11, vcc_lo
	v_add_co_u32 v14, vcc_lo, v14, 4
	s_cselect_b32 s26, -1, 0
	v_add_co_ci_u32_e32 v15, vcc_lo, 0, v15, vcc_lo
	s_and_not1_b32 s25, s25, exec_lo
	s_and_b32 s27, s27, exec_lo
	s_and_not1_b32 s23, s23, exec_lo
	s_and_b32 s26, s26, exec_lo
	s_or_b32 s25, s25, s27
	s_and_not1_b32 s24, s24, exec_lo
	s_or_b32 s23, s23, s26
                                        ; implicit-def: $sgpr26
	s_branch .LBB1488_512
.LBB1488_515:
	s_set_inst_prefetch_distance 0x2
	s_or_b32 exec_lo, exec_lo, s7
	v_cndmask_b32_e64 v7, v7, v9, s22
	v_cndmask_b32_e64 v6, v6, v8, s22
.LBB1488_516:
	s_delay_alu instid0(VALU_DEP_1)
	v_dual_mov_b32 v9, v7 :: v_dual_mov_b32 v8, v6
.LBB1488_517:
	s_or_b32 exec_lo, exec_lo, s19
	s_delay_alu instid0(VALU_DEP_1)
	v_dual_mov_b32 v6, v8 :: v_dual_mov_b32 v7, v9
.LBB1488_518:
	s_or_b32 exec_lo, exec_lo, s12
.LBB1488_519:
	s_delay_alu instid0(SALU_CYCLE_1)
	s_or_b32 exec_lo, exec_lo, s1
	s_barrier
	buffer_gl0_inv
	s_barrier
	buffer_gl0_inv
	ds_store_2addr_b64 v39, v[0:1], v[2:3] offset1:1
	ds_store_2addr_b64 v39, v[4:5], v[6:7] offset0:2 offset1:3
	s_waitcnt lgkmcnt(0)
	s_barrier
	buffer_gl0_inv
	ds_load_b64 v[2:3], v38 offset:2048
	ds_load_b64 v[4:5], v35
	ds_load_b64 v[6:7], v36 offset:4096
	ds_load_b64 v[0:1], v37 offset:6144
	v_add_co_u32 v8, s0, s14, v26
	s_delay_alu instid0(VALU_DEP_1) | instskip(NEXT) | instid1(VALU_DEP_2)
	v_add_co_ci_u32_e64 v9, null, s15, 0, s0
	v_add_co_u32 v8, vcc_lo, 0x1000, v8
	s_delay_alu instid0(VALU_DEP_2)
	v_add_co_ci_u32_e32 v9, vcc_lo, 0, v9, vcc_lo
	s_mov_b32 s19, -1
	s_waitcnt lgkmcnt(3)
	global_store_b64 v26, v[2:3], s[14:15] offset:2048
	s_waitcnt lgkmcnt(2)
	global_store_b64 v26, v[4:5], s[14:15]
	s_waitcnt lgkmcnt(1)
	global_store_b64 v[8:9], v[6:7], off
	s_branch .LBB1488_876
.LBB1488_520:
	s_lshl_b64 s[0:1], s[2:3], 10
                                        ; implicit-def: $vgpr0_vgpr1_vgpr2_vgpr3_vgpr4_vgpr5_vgpr6_vgpr7
	s_delay_alu instid0(SALU_CYCLE_1) | instskip(NEXT) | instid1(SALU_CYCLE_1)
	s_sub_i32 s18, s18, s0
	v_cmp_gt_u32_e64 s0, s18, v12
	s_delay_alu instid0(VALU_DEP_1)
	s_and_saveexec_b32 s1, s0
	s_cbranch_execnz .LBB1488_531
; %bb.521:
	s_or_b32 exec_lo, exec_lo, s1
	v_cmp_gt_u32_e64 s1, s18, v34
	s_delay_alu instid0(VALU_DEP_1)
	s_and_saveexec_b32 s2, s1
	s_cbranch_execnz .LBB1488_532
.LBB1488_522:
	s_or_b32 exec_lo, exec_lo, s2
	v_cmp_gt_u32_e64 s2, s18, v33
	s_delay_alu instid0(VALU_DEP_1)
	s_and_saveexec_b32 s3, s2
	s_cbranch_execnz .LBB1488_533
.LBB1488_523:
	s_or_b32 exec_lo, exec_lo, s3
	v_cmp_gt_u32_e64 s19, s18, v32
	s_delay_alu instid0(VALU_DEP_1)
	s_and_saveexec_b32 s3, s19
	s_cbranch_execz .LBB1488_525
.LBB1488_524:
	v_lshlrev_b32_e32 v6, 3, v32
	global_load_b64 v[6:7], v6, s[16:17]
.LBB1488_525:
	s_or_b32 exec_lo, exec_lo, s3
	v_lshrrev_b32_e32 v8, 2, v34
	v_lshrrev_b32_e32 v9, 2, v33
	v_lshrrev_b32_e32 v10, 2, v32
	v_and_b32_e32 v11, 0xf8, v31
	v_add_lshl_u32 v17, v30, v27, 3
	v_and_b32_e32 v8, 0x1f8, v8
	v_and_b32_e32 v9, 0x1f8, v9
	;; [unrolled: 1-line block ×3, first 2 shown]
	v_cmp_gt_i64_e64 s16, s[8:9], 0
	s_delay_alu instid0(VALU_DEP_4)
	v_dual_mov_b32 v8, 0 :: v_dual_add_nc_u32 v13, v8, v26
	v_add_nc_u32_e32 v14, v11, v26
	v_add_nc_u32_e32 v15, v9, v26
	;; [unrolled: 1-line block ×3, first 2 shown]
	s_waitcnt vmcnt(0) lgkmcnt(0)
	ds_store_b64 v14, v[0:1]
	ds_store_b64 v13, v[2:3] offset:2048
	ds_store_b64 v15, v[4:5] offset:4096
	;; [unrolled: 1-line block ×3, first 2 shown]
	s_waitcnt lgkmcnt(0)
	s_waitcnt_vscnt null, 0x0
	s_barrier
	buffer_gl0_inv
	ds_load_2addr_b64 v[0:3], v17 offset1:1
	ds_load_2addr_b64 v[4:7], v17 offset0:2 offset1:3
	s_waitcnt lgkmcnt(0)
	s_barrier
	buffer_gl0_inv
	s_load_b32 s3, s[4:5], 0xc
	s_waitcnt lgkmcnt(0)
	s_lshr_b32 s3, s3, 16
	s_cmp_lt_u32 s13, s6
	v_mad_u32_u24 v9, v29, s3, v28
	s_cselect_b32 s6, 12, 18
	s_delay_alu instid0(SALU_CYCLE_1) | instskip(SKIP_4) | instid1(VALU_DEP_1)
	s_add_u32 s4, s4, s6
	s_addc_u32 s5, s5, 0
	global_load_u16 v8, v8, s[4:5]
	s_waitcnt vmcnt(0)
	v_mul_lo_u32 v8, v9, v8
	v_add_lshl_u32 v18, v8, v12, 2
	s_delay_alu instid0(VALU_DEP_1) | instskip(NEXT) | instid1(VALU_DEP_1)
	v_sub_nc_u32_e64 v19, s18, v18 clamp
	v_cmp_lt_u32_e64 s3, 1, v19
	s_delay_alu instid0(VALU_DEP_1)
	s_and_saveexec_b32 s12, s3
	s_cbranch_execz .LBB1488_537
; %bb.526:
	s_and_not1_b32 vcc_lo, exec_lo, s16
	s_cbranch_vccnz .LBB1488_537
; %bb.527:
	v_mul_lo_u32 v20, v3, s8
	v_mul_lo_u32 v21, v2, s9
	v_mad_u64_u32 v[8:9], null, v2, s8, 0
	v_mul_lo_u32 v22, v1, s8
	v_mul_lo_u32 v23, v0, s9
	v_mad_u64_u32 v[10:11], null, v0, s8, 0
	s_mov_b32 s13, 0
	s_mov_b64 s[6:7], s[8:9]
	s_delay_alu instid0(VALU_DEP_4) | instskip(NEXT) | instid1(VALU_DEP_2)
	v_add3_u32 v9, v9, v21, v20
                                        ; implicit-def: $sgpr17
                                        ; implicit-def: $sgpr20
                                        ; implicit-def: $sgpr22
                                        ; implicit-def: $sgpr21
                                        ; implicit-def: $sgpr23
                                        ; implicit-def: $sgpr24
	v_add3_u32 v11, v11, v23, v22
	s_delay_alu instid0(VALU_DEP_2) | instskip(NEXT) | instid1(VALU_DEP_2)
	v_lshlrev_b64 v[8:9], 2, v[8:9]
	v_lshlrev_b64 v[10:11], 2, v[10:11]
	s_delay_alu instid0(VALU_DEP_2) | instskip(NEXT) | instid1(VALU_DEP_3)
	v_add_co_u32 v8, vcc_lo, s10, v8
	v_add_co_ci_u32_e32 v9, vcc_lo, s11, v9, vcc_lo
	s_delay_alu instid0(VALU_DEP_3) | instskip(NEXT) | instid1(VALU_DEP_4)
	v_add_co_u32 v10, vcc_lo, s10, v10
	v_add_co_ci_u32_e32 v11, vcc_lo, s11, v11, vcc_lo
	s_set_inst_prefetch_distance 0x1
	s_branch .LBB1488_529
	.p2align	6
.LBB1488_528:                           ;   in Loop: Header=BB1488_529 Depth=1
	s_or_b32 exec_lo, exec_lo, s25
	s_delay_alu instid0(SALU_CYCLE_1) | instskip(NEXT) | instid1(SALU_CYCLE_1)
	s_and_b32 s5, exec_lo, s22
	s_or_b32 s13, s5, s13
	s_and_not1_b32 s5, s24, exec_lo
	s_and_b32 s24, s23, exec_lo
	s_and_not1_b32 s20, s20, exec_lo
	s_or_b32 s24, s5, s24
	s_and_b32 s5, s21, exec_lo
	s_and_not1_b32 s17, s17, exec_lo
	s_and_b32 s4, s4, exec_lo
	s_or_b32 s20, s20, s5
	s_or_b32 s17, s17, s4
	s_and_not1_b32 exec_lo, exec_lo, s13
	s_cbranch_execz .LBB1488_534
.LBB1488_529:                           ; =>This Inner Loop Header: Depth=1
	global_load_b32 v20, v[8:9], off
	global_load_b32 v21, v[10:11], off
	s_and_not1_b32 s23, s23, exec_lo
	s_or_b32 s21, s21, exec_lo
	s_or_b32 s22, s22, exec_lo
	s_waitcnt vmcnt(0)
	v_cmp_le_u32_e32 vcc_lo, v20, v21
	v_cmp_lt_u32_e64 s4, v20, v21
	s_and_b32 s25, vcc_lo, s24
	s_delay_alu instid0(VALU_DEP_1) | instid1(SALU_CYCLE_1)
	s_or_b32 s4, s4, s25
	s_mov_b32 s25, exec_lo
	v_cmpx_eq_u32_e64 v20, v21
	s_cbranch_execz .LBB1488_528
; %bb.530:                              ;   in Loop: Header=BB1488_529 Depth=1
	s_add_u32 s6, s6, -1
	s_addc_u32 s7, s7, -1
	v_add_co_u32 v8, vcc_lo, v8, 4
	s_cmp_eq_u64 s[6:7], 0
	v_add_co_ci_u32_e32 v9, vcc_lo, 0, v9, vcc_lo
	v_add_co_u32 v10, vcc_lo, v10, 4
	s_cselect_b32 s5, -1, 0
	v_add_co_ci_u32_e32 v11, vcc_lo, 0, v11, vcc_lo
	s_and_not1_b32 s23, s23, exec_lo
	s_and_b32 s24, s4, exec_lo
	s_and_not1_b32 s22, s22, exec_lo
	s_and_b32 s5, s5, exec_lo
	s_or_b32 s23, s23, s24
	s_and_not1_b32 s21, s21, exec_lo
	s_or_b32 s22, s22, s5
                                        ; implicit-def: $sgpr24
	s_branch .LBB1488_528
.LBB1488_531:
	s_waitcnt lgkmcnt(0)
	global_load_b64 v[0:1], v26, s[16:17]
	s_or_b32 exec_lo, exec_lo, s1
	v_cmp_gt_u32_e64 s1, s18, v34
	s_delay_alu instid0(VALU_DEP_1)
	s_and_saveexec_b32 s2, s1
	s_cbranch_execz .LBB1488_522
.LBB1488_532:
	global_load_b64 v[2:3], v26, s[16:17] offset:2048
	s_or_b32 exec_lo, exec_lo, s2
	v_cmp_gt_u32_e64 s2, s18, v33
	s_delay_alu instid0(VALU_DEP_1)
	s_and_saveexec_b32 s3, s2
	s_cbranch_execz .LBB1488_523
.LBB1488_533:
	v_lshlrev_b32_e32 v4, 3, v33
	global_load_b64 v[4:5], v4, s[16:17]
	s_or_b32 exec_lo, exec_lo, s3
	v_cmp_gt_u32_e64 s19, s18, v32
	s_delay_alu instid0(VALU_DEP_1)
	s_and_saveexec_b32 s3, s19
	s_cbranch_execnz .LBB1488_524
	s_branch .LBB1488_525
.LBB1488_534:
	s_set_inst_prefetch_distance 0x2
	s_or_b32 exec_lo, exec_lo, s13
	s_and_saveexec_b32 s4, s20
	s_delay_alu instid0(SALU_CYCLE_1)
	s_xor_b32 s4, exec_lo, s4
; %bb.535:
	v_cndmask_b32_e64 v28, v0, v2, s17
	v_cndmask_b32_e64 v31, v3, v1, s17
	;; [unrolled: 1-line block ×4, first 2 shown]
	v_dual_mov_b32 v32, v4 :: v_dual_mov_b32 v33, v5
	v_dual_mov_b32 v34, v6 :: v_dual_mov_b32 v35, v7
	s_delay_alu instid0(VALU_DEP_3) | instskip(SKIP_1) | instid1(VALU_DEP_4)
	v_dual_mov_b32 v0, v28 :: v_dual_mov_b32 v1, v29
	v_dual_mov_b32 v2, v30 :: v_dual_mov_b32 v3, v31
	;; [unrolled: 1-line block ×3, first 2 shown]
	s_delay_alu instid0(VALU_DEP_4)
	v_dual_mov_b32 v6, v34 :: v_dual_mov_b32 v7, v35
; %bb.536:
	s_or_b32 exec_lo, exec_lo, s4
.LBB1488_537:
	s_delay_alu instid0(SALU_CYCLE_1) | instskip(SKIP_1) | instid1(VALU_DEP_1)
	s_or_b32 exec_lo, exec_lo, s12
	v_cmp_lt_u32_e64 s4, 3, v19
	s_and_saveexec_b32 s7, s4
	s_cbranch_execz .LBB1488_546
; %bb.538:
	s_and_not1_b32 vcc_lo, exec_lo, s16
	s_cbranch_vccnz .LBB1488_546
; %bb.539:
	v_mul_lo_u32 v20, v7, s8
	v_mul_lo_u32 v21, v6, s9
	v_mad_u64_u32 v[8:9], null, v6, s8, 0
	v_mul_lo_u32 v22, v5, s8
	v_mul_lo_u32 v23, v4, s9
	v_mad_u64_u32 v[10:11], null, v4, s8, 0
	s_mov_b32 s20, 0
	s_mov_b64 s[12:13], s[8:9]
	s_delay_alu instid0(VALU_DEP_4) | instskip(NEXT) | instid1(VALU_DEP_2)
	v_add3_u32 v9, v9, v21, v20
                                        ; implicit-def: $sgpr17
                                        ; implicit-def: $sgpr21
                                        ; implicit-def: $sgpr23
                                        ; implicit-def: $sgpr22
                                        ; implicit-def: $sgpr24
                                        ; implicit-def: $sgpr25
	v_add3_u32 v11, v11, v23, v22
	s_delay_alu instid0(VALU_DEP_2) | instskip(NEXT) | instid1(VALU_DEP_2)
	v_lshlrev_b64 v[8:9], 2, v[8:9]
	v_lshlrev_b64 v[10:11], 2, v[10:11]
	s_delay_alu instid0(VALU_DEP_2) | instskip(NEXT) | instid1(VALU_DEP_3)
	v_add_co_u32 v8, vcc_lo, s10, v8
	v_add_co_ci_u32_e32 v9, vcc_lo, s11, v9, vcc_lo
	s_delay_alu instid0(VALU_DEP_3) | instskip(NEXT) | instid1(VALU_DEP_4)
	v_add_co_u32 v10, vcc_lo, s10, v10
	v_add_co_ci_u32_e32 v11, vcc_lo, s11, v11, vcc_lo
	s_set_inst_prefetch_distance 0x1
	s_branch .LBB1488_541
	.p2align	6
.LBB1488_540:                           ;   in Loop: Header=BB1488_541 Depth=1
	s_or_b32 exec_lo, exec_lo, s26
	s_delay_alu instid0(SALU_CYCLE_1) | instskip(NEXT) | instid1(SALU_CYCLE_1)
	s_and_b32 s6, exec_lo, s23
	s_or_b32 s20, s6, s20
	s_and_not1_b32 s6, s25, exec_lo
	s_and_b32 s25, s24, exec_lo
	s_and_not1_b32 s21, s21, exec_lo
	s_or_b32 s25, s6, s25
	s_and_b32 s6, s22, exec_lo
	s_and_not1_b32 s17, s17, exec_lo
	s_and_b32 s5, s5, exec_lo
	s_or_b32 s21, s21, s6
	s_or_b32 s17, s17, s5
	s_and_not1_b32 exec_lo, exec_lo, s20
	s_cbranch_execz .LBB1488_543
.LBB1488_541:                           ; =>This Inner Loop Header: Depth=1
	global_load_b32 v20, v[8:9], off
	global_load_b32 v21, v[10:11], off
	s_and_not1_b32 s24, s24, exec_lo
	s_or_b32 s22, s22, exec_lo
	s_or_b32 s23, s23, exec_lo
	s_waitcnt vmcnt(0)
	v_cmp_le_u32_e32 vcc_lo, v20, v21
	v_cmp_lt_u32_e64 s5, v20, v21
	s_and_b32 s26, vcc_lo, s25
	s_delay_alu instid0(VALU_DEP_1) | instid1(SALU_CYCLE_1)
	s_or_b32 s5, s5, s26
	s_mov_b32 s26, exec_lo
	v_cmpx_eq_u32_e64 v20, v21
	s_cbranch_execz .LBB1488_540
; %bb.542:                              ;   in Loop: Header=BB1488_541 Depth=1
	s_add_u32 s12, s12, -1
	s_addc_u32 s13, s13, -1
	v_add_co_u32 v8, vcc_lo, v8, 4
	s_cmp_eq_u64 s[12:13], 0
	v_add_co_ci_u32_e32 v9, vcc_lo, 0, v9, vcc_lo
	v_add_co_u32 v10, vcc_lo, v10, 4
	s_cselect_b32 s6, -1, 0
	v_add_co_ci_u32_e32 v11, vcc_lo, 0, v11, vcc_lo
	s_and_not1_b32 s24, s24, exec_lo
	s_and_b32 s25, s5, exec_lo
	s_and_not1_b32 s23, s23, exec_lo
	s_and_b32 s6, s6, exec_lo
	s_or_b32 s24, s24, s25
	s_and_not1_b32 s22, s22, exec_lo
	s_or_b32 s23, s23, s6
                                        ; implicit-def: $sgpr25
	s_branch .LBB1488_540
.LBB1488_543:
	s_set_inst_prefetch_distance 0x2
	s_or_b32 exec_lo, exec_lo, s20
	s_and_saveexec_b32 s5, s21
	s_delay_alu instid0(SALU_CYCLE_1)
	s_xor_b32 s5, exec_lo, s5
; %bb.544:
	v_cndmask_b32_e64 v8, v6, v4, s17
	v_cndmask_b32_e64 v9, v7, v5, s17
	;; [unrolled: 1-line block ×4, first 2 shown]
	s_delay_alu instid0(VALU_DEP_3)
	v_dual_mov_b32 v6, v8 :: v_dual_mov_b32 v7, v9
; %bb.545:
	s_or_b32 exec_lo, exec_lo, s5
.LBB1488_546:
	s_delay_alu instid0(SALU_CYCLE_1) | instskip(SKIP_1) | instid1(VALU_DEP_1)
	s_or_b32 exec_lo, exec_lo, s7
	v_cmp_lt_u32_e64 s5, 2, v19
	s_and_saveexec_b32 s6, s5
	s_delay_alu instid0(SALU_CYCLE_1)
	s_xor_b32 s17, exec_lo, s6
	s_cbranch_execz .LBB1488_555
; %bb.547:
	s_and_not1_b32 vcc_lo, exec_lo, s16
	s_cbranch_vccnz .LBB1488_555
; %bb.548:
	v_mul_lo_u32 v19, v5, s8
	v_mul_lo_u32 v20, v4, s9
	v_mad_u64_u32 v[8:9], null, v4, s8, 0
	v_mul_lo_u32 v21, v3, s8
	v_mul_lo_u32 v22, v2, s9
	v_mad_u64_u32 v[10:11], null, v2, s8, 0
	s_mov_b32 s21, 0
	s_mov_b64 s[12:13], s[8:9]
	s_delay_alu instid0(VALU_DEP_4) | instskip(NEXT) | instid1(VALU_DEP_2)
	v_add3_u32 v9, v9, v20, v19
                                        ; implicit-def: $sgpr20
                                        ; implicit-def: $sgpr22
                                        ; implicit-def: $sgpr24
                                        ; implicit-def: $sgpr23
                                        ; implicit-def: $sgpr25
                                        ; implicit-def: $sgpr26
	v_add3_u32 v11, v11, v22, v21
	s_delay_alu instid0(VALU_DEP_2) | instskip(NEXT) | instid1(VALU_DEP_2)
	v_lshlrev_b64 v[8:9], 2, v[8:9]
	v_lshlrev_b64 v[10:11], 2, v[10:11]
	s_delay_alu instid0(VALU_DEP_2) | instskip(NEXT) | instid1(VALU_DEP_3)
	v_add_co_u32 v8, vcc_lo, s10, v8
	v_add_co_ci_u32_e32 v9, vcc_lo, s11, v9, vcc_lo
	s_delay_alu instid0(VALU_DEP_3) | instskip(NEXT) | instid1(VALU_DEP_4)
	v_add_co_u32 v10, vcc_lo, s10, v10
	v_add_co_ci_u32_e32 v11, vcc_lo, s11, v11, vcc_lo
	s_set_inst_prefetch_distance 0x1
	s_branch .LBB1488_550
	.p2align	6
.LBB1488_549:                           ;   in Loop: Header=BB1488_550 Depth=1
	s_or_b32 exec_lo, exec_lo, s27
	s_delay_alu instid0(SALU_CYCLE_1) | instskip(NEXT) | instid1(SALU_CYCLE_1)
	s_and_b32 s7, exec_lo, s24
	s_or_b32 s21, s7, s21
	s_and_not1_b32 s7, s26, exec_lo
	s_and_b32 s26, s25, exec_lo
	s_and_not1_b32 s22, s22, exec_lo
	s_or_b32 s26, s7, s26
	s_and_b32 s7, s23, exec_lo
	s_and_not1_b32 s20, s20, exec_lo
	s_and_b32 s6, s6, exec_lo
	s_or_b32 s22, s22, s7
	s_or_b32 s20, s20, s6
	s_and_not1_b32 exec_lo, exec_lo, s21
	s_cbranch_execz .LBB1488_552
.LBB1488_550:                           ; =>This Inner Loop Header: Depth=1
	global_load_b32 v19, v[8:9], off
	global_load_b32 v20, v[10:11], off
	s_and_not1_b32 s25, s25, exec_lo
	s_or_b32 s23, s23, exec_lo
	s_or_b32 s24, s24, exec_lo
	s_waitcnt vmcnt(0)
	v_cmp_le_u32_e32 vcc_lo, v19, v20
	v_cmp_lt_u32_e64 s6, v19, v20
	s_and_b32 s27, vcc_lo, s26
	s_delay_alu instid0(VALU_DEP_1) | instid1(SALU_CYCLE_1)
	s_or_b32 s6, s6, s27
	s_mov_b32 s27, exec_lo
	v_cmpx_eq_u32_e64 v19, v20
	s_cbranch_execz .LBB1488_549
; %bb.551:                              ;   in Loop: Header=BB1488_550 Depth=1
	s_add_u32 s12, s12, -1
	s_addc_u32 s13, s13, -1
	v_add_co_u32 v8, vcc_lo, v8, 4
	s_cmp_eq_u64 s[12:13], 0
	v_add_co_ci_u32_e32 v9, vcc_lo, 0, v9, vcc_lo
	v_add_co_u32 v10, vcc_lo, v10, 4
	s_cselect_b32 s7, -1, 0
	v_add_co_ci_u32_e32 v11, vcc_lo, 0, v11, vcc_lo
	s_and_not1_b32 s25, s25, exec_lo
	s_and_b32 s26, s6, exec_lo
	s_and_not1_b32 s24, s24, exec_lo
	s_and_b32 s7, s7, exec_lo
	s_or_b32 s25, s25, s26
	s_and_not1_b32 s23, s23, exec_lo
	s_or_b32 s24, s24, s7
                                        ; implicit-def: $sgpr26
	s_branch .LBB1488_549
.LBB1488_552:
	s_set_inst_prefetch_distance 0x2
	s_or_b32 exec_lo, exec_lo, s21
	s_and_saveexec_b32 s6, s22
	s_delay_alu instid0(SALU_CYCLE_1)
	s_xor_b32 s6, exec_lo, s6
; %bb.553:
	v_cndmask_b32_e64 v8, v4, v2, s20
	v_cndmask_b32_e64 v9, v5, v3, s20
	;; [unrolled: 1-line block ×4, first 2 shown]
	s_delay_alu instid0(VALU_DEP_3)
	v_dual_mov_b32 v4, v8 :: v_dual_mov_b32 v5, v9
; %bb.554:
	s_or_b32 exec_lo, exec_lo, s6
.LBB1488_555:
	s_delay_alu instid0(SALU_CYCLE_1)
	s_or_b32 exec_lo, exec_lo, s17
	s_and_saveexec_b32 s7, s3
	s_cbranch_execz .LBB1488_564
; %bb.556:
	s_and_not1_b32 vcc_lo, exec_lo, s16
	s_cbranch_vccnz .LBB1488_564
; %bb.557:
	v_mul_lo_u32 v19, v3, s8
	v_mul_lo_u32 v20, v2, s9
	v_mad_u64_u32 v[8:9], null, v2, s8, 0
	v_mul_lo_u32 v21, v1, s8
	v_mul_lo_u32 v22, v0, s9
	v_mad_u64_u32 v[10:11], null, v0, s8, 0
	s_mov_b32 s17, 0
	s_mov_b64 s[12:13], s[8:9]
	s_delay_alu instid0(VALU_DEP_4) | instskip(NEXT) | instid1(VALU_DEP_2)
	v_add3_u32 v9, v9, v20, v19
                                        ; implicit-def: $sgpr20
                                        ; implicit-def: $sgpr21
                                        ; implicit-def: $sgpr23
                                        ; implicit-def: $sgpr22
                                        ; implicit-def: $sgpr24
                                        ; implicit-def: $sgpr25
	v_add3_u32 v11, v11, v22, v21
	s_delay_alu instid0(VALU_DEP_2) | instskip(NEXT) | instid1(VALU_DEP_2)
	v_lshlrev_b64 v[8:9], 2, v[8:9]
	v_lshlrev_b64 v[10:11], 2, v[10:11]
	s_delay_alu instid0(VALU_DEP_2) | instskip(NEXT) | instid1(VALU_DEP_3)
	v_add_co_u32 v8, vcc_lo, s10, v8
	v_add_co_ci_u32_e32 v9, vcc_lo, s11, v9, vcc_lo
	s_delay_alu instid0(VALU_DEP_3) | instskip(NEXT) | instid1(VALU_DEP_4)
	v_add_co_u32 v10, vcc_lo, s10, v10
	v_add_co_ci_u32_e32 v11, vcc_lo, s11, v11, vcc_lo
	s_set_inst_prefetch_distance 0x1
	s_branch .LBB1488_559
	.p2align	6
.LBB1488_558:                           ;   in Loop: Header=BB1488_559 Depth=1
	s_or_b32 exec_lo, exec_lo, s26
	s_delay_alu instid0(SALU_CYCLE_1) | instskip(NEXT) | instid1(SALU_CYCLE_1)
	s_and_b32 s6, exec_lo, s23
	s_or_b32 s17, s6, s17
	s_and_not1_b32 s6, s25, exec_lo
	s_and_b32 s25, s24, exec_lo
	s_and_not1_b32 s21, s21, exec_lo
	s_or_b32 s25, s6, s25
	s_and_b32 s6, s22, exec_lo
	s_and_not1_b32 s20, s20, exec_lo
	s_and_b32 s3, s3, exec_lo
	s_or_b32 s21, s21, s6
	s_or_b32 s20, s20, s3
	s_and_not1_b32 exec_lo, exec_lo, s17
	s_cbranch_execz .LBB1488_561
.LBB1488_559:                           ; =>This Inner Loop Header: Depth=1
	global_load_b32 v19, v[8:9], off
	global_load_b32 v20, v[10:11], off
	s_and_not1_b32 s24, s24, exec_lo
	s_or_b32 s22, s22, exec_lo
	s_or_b32 s23, s23, exec_lo
	s_waitcnt vmcnt(0)
	v_cmp_le_u32_e32 vcc_lo, v19, v20
	v_cmp_lt_u32_e64 s3, v19, v20
	s_and_b32 s26, vcc_lo, s25
	s_delay_alu instid0(VALU_DEP_1) | instid1(SALU_CYCLE_1)
	s_or_b32 s3, s3, s26
	s_mov_b32 s26, exec_lo
	v_cmpx_eq_u32_e64 v19, v20
	s_cbranch_execz .LBB1488_558
; %bb.560:                              ;   in Loop: Header=BB1488_559 Depth=1
	s_add_u32 s12, s12, -1
	s_addc_u32 s13, s13, -1
	v_add_co_u32 v8, vcc_lo, v8, 4
	s_cmp_eq_u64 s[12:13], 0
	v_add_co_ci_u32_e32 v9, vcc_lo, 0, v9, vcc_lo
	v_add_co_u32 v10, vcc_lo, v10, 4
	s_cselect_b32 s6, -1, 0
	v_add_co_ci_u32_e32 v11, vcc_lo, 0, v11, vcc_lo
	s_and_not1_b32 s24, s24, exec_lo
	s_and_b32 s25, s3, exec_lo
	s_and_not1_b32 s23, s23, exec_lo
	s_and_b32 s6, s6, exec_lo
	s_or_b32 s24, s24, s25
	s_and_not1_b32 s22, s22, exec_lo
	s_or_b32 s23, s23, s6
                                        ; implicit-def: $sgpr25
	s_branch .LBB1488_558
.LBB1488_561:
	s_set_inst_prefetch_distance 0x2
	s_or_b32 exec_lo, exec_lo, s17
	s_and_saveexec_b32 s3, s21
	s_delay_alu instid0(SALU_CYCLE_1)
	s_xor_b32 s3, exec_lo, s3
; %bb.562:
	v_cndmask_b32_e64 v28, v0, v2, s20
	v_cndmask_b32_e64 v31, v3, v1, s20
	;; [unrolled: 1-line block ×4, first 2 shown]
	v_dual_mov_b32 v32, v4 :: v_dual_mov_b32 v33, v5
	v_dual_mov_b32 v34, v6 :: v_dual_mov_b32 v35, v7
	s_delay_alu instid0(VALU_DEP_3) | instskip(SKIP_1) | instid1(VALU_DEP_4)
	v_dual_mov_b32 v0, v28 :: v_dual_mov_b32 v1, v29
	v_dual_mov_b32 v2, v30 :: v_dual_mov_b32 v3, v31
	;; [unrolled: 1-line block ×3, first 2 shown]
	s_delay_alu instid0(VALU_DEP_4)
	v_dual_mov_b32 v6, v34 :: v_dual_mov_b32 v7, v35
; %bb.563:
	s_or_b32 exec_lo, exec_lo, s3
.LBB1488_564:
	s_delay_alu instid0(SALU_CYCLE_1)
	s_or_b32 exec_lo, exec_lo, s7
	s_and_saveexec_b32 s12, s4
	s_cbranch_execz .LBB1488_573
; %bb.565:
	s_and_not1_b32 vcc_lo, exec_lo, s16
	s_cbranch_vccnz .LBB1488_573
; %bb.566:
	v_mul_lo_u32 v19, v7, s8
	v_mul_lo_u32 v20, v6, s9
	v_mad_u64_u32 v[8:9], null, v6, s8, 0
	v_mul_lo_u32 v21, v5, s8
	v_mul_lo_u32 v22, v4, s9
	v_mad_u64_u32 v[10:11], null, v4, s8, 0
	s_mov_b32 s17, 0
	s_mov_b64 s[6:7], s[8:9]
	s_delay_alu instid0(VALU_DEP_4) | instskip(NEXT) | instid1(VALU_DEP_2)
	v_add3_u32 v9, v9, v20, v19
                                        ; implicit-def: $sgpr13
                                        ; implicit-def: $sgpr20
                                        ; implicit-def: $sgpr22
                                        ; implicit-def: $sgpr21
                                        ; implicit-def: $sgpr23
                                        ; implicit-def: $sgpr24
	v_add3_u32 v11, v11, v22, v21
	s_delay_alu instid0(VALU_DEP_2) | instskip(NEXT) | instid1(VALU_DEP_2)
	v_lshlrev_b64 v[8:9], 2, v[8:9]
	v_lshlrev_b64 v[10:11], 2, v[10:11]
	s_delay_alu instid0(VALU_DEP_2) | instskip(NEXT) | instid1(VALU_DEP_3)
	v_add_co_u32 v8, vcc_lo, s10, v8
	v_add_co_ci_u32_e32 v9, vcc_lo, s11, v9, vcc_lo
	s_delay_alu instid0(VALU_DEP_3) | instskip(NEXT) | instid1(VALU_DEP_4)
	v_add_co_u32 v10, vcc_lo, s10, v10
	v_add_co_ci_u32_e32 v11, vcc_lo, s11, v11, vcc_lo
	s_set_inst_prefetch_distance 0x1
	s_branch .LBB1488_568
	.p2align	6
.LBB1488_567:                           ;   in Loop: Header=BB1488_568 Depth=1
	s_or_b32 exec_lo, exec_lo, s25
	s_delay_alu instid0(SALU_CYCLE_1) | instskip(NEXT) | instid1(SALU_CYCLE_1)
	s_and_b32 s4, exec_lo, s22
	s_or_b32 s17, s4, s17
	s_and_not1_b32 s4, s24, exec_lo
	s_and_b32 s24, s23, exec_lo
	s_and_not1_b32 s20, s20, exec_lo
	s_or_b32 s24, s4, s24
	s_and_b32 s4, s21, exec_lo
	s_and_not1_b32 s13, s13, exec_lo
	s_and_b32 s3, s3, exec_lo
	s_or_b32 s20, s20, s4
	s_or_b32 s13, s13, s3
	s_and_not1_b32 exec_lo, exec_lo, s17
	s_cbranch_execz .LBB1488_570
.LBB1488_568:                           ; =>This Inner Loop Header: Depth=1
	global_load_b32 v19, v[8:9], off
	global_load_b32 v20, v[10:11], off
	s_and_not1_b32 s23, s23, exec_lo
	s_or_b32 s21, s21, exec_lo
	s_or_b32 s22, s22, exec_lo
	s_waitcnt vmcnt(0)
	v_cmp_le_u32_e32 vcc_lo, v19, v20
	v_cmp_lt_u32_e64 s3, v19, v20
	s_and_b32 s25, vcc_lo, s24
	s_delay_alu instid0(VALU_DEP_1) | instid1(SALU_CYCLE_1)
	s_or_b32 s3, s3, s25
	s_mov_b32 s25, exec_lo
	v_cmpx_eq_u32_e64 v19, v20
	s_cbranch_execz .LBB1488_567
; %bb.569:                              ;   in Loop: Header=BB1488_568 Depth=1
	s_add_u32 s6, s6, -1
	s_addc_u32 s7, s7, -1
	v_add_co_u32 v8, vcc_lo, v8, 4
	s_cmp_eq_u64 s[6:7], 0
	v_add_co_ci_u32_e32 v9, vcc_lo, 0, v9, vcc_lo
	v_add_co_u32 v10, vcc_lo, v10, 4
	s_cselect_b32 s4, -1, 0
	v_add_co_ci_u32_e32 v11, vcc_lo, 0, v11, vcc_lo
	s_and_not1_b32 s23, s23, exec_lo
	s_and_b32 s24, s3, exec_lo
	s_and_not1_b32 s22, s22, exec_lo
	s_and_b32 s4, s4, exec_lo
	s_or_b32 s23, s23, s24
	s_and_not1_b32 s21, s21, exec_lo
	s_or_b32 s22, s22, s4
                                        ; implicit-def: $sgpr24
	s_branch .LBB1488_567
.LBB1488_570:
	s_set_inst_prefetch_distance 0x2
	s_or_b32 exec_lo, exec_lo, s17
	s_and_saveexec_b32 s3, s20
	s_delay_alu instid0(SALU_CYCLE_1)
	s_xor_b32 s3, exec_lo, s3
; %bb.571:
	v_cndmask_b32_e64 v8, v6, v4, s13
	v_cndmask_b32_e64 v9, v7, v5, s13
	;; [unrolled: 1-line block ×4, first 2 shown]
	s_delay_alu instid0(VALU_DEP_3)
	v_dual_mov_b32 v6, v8 :: v_dual_mov_b32 v7, v9
; %bb.572:
	s_or_b32 exec_lo, exec_lo, s3
.LBB1488_573:
	s_delay_alu instid0(SALU_CYCLE_1)
	s_or_b32 exec_lo, exec_lo, s12
	s_and_saveexec_b32 s12, s5
	s_cbranch_execz .LBB1488_582
; %bb.574:
	s_and_not1_b32 vcc_lo, exec_lo, s16
	s_cbranch_vccnz .LBB1488_582
; %bb.575:
	v_mul_lo_u32 v19, v5, s8
	v_mul_lo_u32 v20, v4, s9
	v_mad_u64_u32 v[8:9], null, v4, s8, 0
	v_mul_lo_u32 v21, v3, s8
	v_mul_lo_u32 v22, v2, s9
	v_mad_u64_u32 v[10:11], null, v2, s8, 0
	s_mov_b32 s13, 0
	s_mov_b64 s[6:7], s[8:9]
	s_delay_alu instid0(VALU_DEP_4) | instskip(NEXT) | instid1(VALU_DEP_2)
	v_add3_u32 v9, v9, v20, v19
                                        ; implicit-def: $sgpr5
                                        ; implicit-def: $sgpr17
                                        ; implicit-def: $sgpr21
                                        ; implicit-def: $sgpr20
                                        ; implicit-def: $sgpr22
                                        ; implicit-def: $sgpr23
	v_add3_u32 v11, v11, v22, v21
	s_delay_alu instid0(VALU_DEP_2) | instskip(NEXT) | instid1(VALU_DEP_2)
	v_lshlrev_b64 v[8:9], 2, v[8:9]
	v_lshlrev_b64 v[10:11], 2, v[10:11]
	s_delay_alu instid0(VALU_DEP_2) | instskip(NEXT) | instid1(VALU_DEP_3)
	v_add_co_u32 v8, vcc_lo, s10, v8
	v_add_co_ci_u32_e32 v9, vcc_lo, s11, v9, vcc_lo
	s_delay_alu instid0(VALU_DEP_3) | instskip(NEXT) | instid1(VALU_DEP_4)
	v_add_co_u32 v10, vcc_lo, s10, v10
	v_add_co_ci_u32_e32 v11, vcc_lo, s11, v11, vcc_lo
	s_set_inst_prefetch_distance 0x1
	s_branch .LBB1488_577
	.p2align	6
.LBB1488_576:                           ;   in Loop: Header=BB1488_577 Depth=1
	s_or_b32 exec_lo, exec_lo, s24
	s_delay_alu instid0(SALU_CYCLE_1) | instskip(NEXT) | instid1(SALU_CYCLE_1)
	s_and_b32 s4, exec_lo, s21
	s_or_b32 s13, s4, s13
	s_and_not1_b32 s4, s23, exec_lo
	s_and_b32 s23, s22, exec_lo
	s_and_not1_b32 s17, s17, exec_lo
	s_or_b32 s23, s4, s23
	s_and_b32 s4, s20, exec_lo
	s_and_not1_b32 s5, s5, exec_lo
	s_and_b32 s3, s3, exec_lo
	s_or_b32 s17, s17, s4
	s_or_b32 s5, s5, s3
	s_and_not1_b32 exec_lo, exec_lo, s13
	s_cbranch_execz .LBB1488_579
.LBB1488_577:                           ; =>This Inner Loop Header: Depth=1
	global_load_b32 v19, v[8:9], off
	global_load_b32 v20, v[10:11], off
	s_and_not1_b32 s22, s22, exec_lo
	s_or_b32 s20, s20, exec_lo
	s_or_b32 s21, s21, exec_lo
	s_waitcnt vmcnt(0)
	v_cmp_le_u32_e32 vcc_lo, v19, v20
	v_cmp_lt_u32_e64 s3, v19, v20
	s_and_b32 s24, vcc_lo, s23
	s_delay_alu instid0(VALU_DEP_1) | instid1(SALU_CYCLE_1)
	s_or_b32 s3, s3, s24
	s_mov_b32 s24, exec_lo
	v_cmpx_eq_u32_e64 v19, v20
	s_cbranch_execz .LBB1488_576
; %bb.578:                              ;   in Loop: Header=BB1488_577 Depth=1
	s_add_u32 s6, s6, -1
	s_addc_u32 s7, s7, -1
	v_add_co_u32 v8, vcc_lo, v8, 4
	s_cmp_eq_u64 s[6:7], 0
	v_add_co_ci_u32_e32 v9, vcc_lo, 0, v9, vcc_lo
	v_add_co_u32 v10, vcc_lo, v10, 4
	s_cselect_b32 s4, -1, 0
	v_add_co_ci_u32_e32 v11, vcc_lo, 0, v11, vcc_lo
	s_and_not1_b32 s22, s22, exec_lo
	s_and_b32 s23, s3, exec_lo
	s_and_not1_b32 s21, s21, exec_lo
	s_and_b32 s4, s4, exec_lo
	s_or_b32 s22, s22, s23
	s_and_not1_b32 s20, s20, exec_lo
	s_or_b32 s21, s21, s4
                                        ; implicit-def: $sgpr23
	s_branch .LBB1488_576
.LBB1488_579:
	s_set_inst_prefetch_distance 0x2
	s_or_b32 exec_lo, exec_lo, s13
	s_and_saveexec_b32 s3, s17
	s_delay_alu instid0(SALU_CYCLE_1)
	s_xor_b32 s3, exec_lo, s3
; %bb.580:
	v_cndmask_b32_e64 v8, v4, v2, s5
	v_cndmask_b32_e64 v9, v5, v3, s5
	;; [unrolled: 1-line block ×4, first 2 shown]
	s_delay_alu instid0(VALU_DEP_3)
	v_dual_mov_b32 v4, v8 :: v_dual_mov_b32 v5, v9
; %bb.581:
	s_or_b32 exec_lo, exec_lo, s3
.LBB1488_582:
	s_delay_alu instid0(SALU_CYCLE_1) | instskip(SKIP_4) | instid1(VALU_DEP_2)
	s_or_b32 exec_lo, exec_lo, s12
	v_mbcnt_lo_u32_b32 v8, -1, 0
	v_and_b32_e32 v9, 0xffffff80, v18
	s_mov_b32 s12, 0
	s_mov_b32 s13, exec_lo
	v_lshlrev_b32_e32 v20, 2, v8
	s_delay_alu instid0(VALU_DEP_2) | instskip(SKIP_1) | instid1(VALU_DEP_3)
	v_sub_nc_u32_e64 v19, s18, v9 clamp
	v_lshlrev_b32_e32 v18, 3, v9
	v_or_b32_e32 v10, 4, v20
	v_and_b32_e32 v11, 4, v20
	v_and_b32_e32 v28, 0x78, v20
	s_delay_alu instid0(VALU_DEP_4)
	v_lshl_or_b32 v21, v8, 5, v18
	ds_store_b128 v21, v[0:3]
	ds_store_b128 v21, v[4:7] offset:16
	v_min_u32_e32 v22, v19, v10
	v_min_u32_e32 v29, v19, v11
	v_lshl_or_b32 v25, v28, 3, v18
	; wave barrier
	s_delay_alu instid0(VALU_DEP_3) | instskip(SKIP_1) | instid1(VALU_DEP_2)
	v_add_nc_u32_e32 v10, 4, v22
	v_sub_nc_u32_e32 v11, v22, v28
	v_min_u32_e32 v23, v19, v10
	s_delay_alu instid0(VALU_DEP_2) | instskip(NEXT) | instid1(VALU_DEP_2)
	v_min_u32_e32 v30, v29, v11
	v_sub_nc_u32_e32 v10, v23, v22
	s_delay_alu instid0(VALU_DEP_1) | instskip(NEXT) | instid1(VALU_DEP_1)
	v_sub_nc_u32_e64 v24, v29, v10 clamp
	v_cmpx_lt_u32_e64 v24, v30
	s_cbranch_execz .LBB1488_593
; %bb.583:
	v_lshlrev_b32_e32 v8, 3, v22
	v_lshlrev_b32_e32 v9, 3, v29
	s_lshl_b64 s[4:5], s[8:9], 2
	s_delay_alu instid0(VALU_DEP_1)
	v_add3_u32 v31, v18, v8, v9
	s_branch .LBB1488_586
.LBB1488_584:                           ;   in Loop: Header=BB1488_586 Depth=1
	s_set_inst_prefetch_distance 0x2
	s_or_b32 exec_lo, exec_lo, s17
.LBB1488_585:                           ;   in Loop: Header=BB1488_586 Depth=1
	s_delay_alu instid0(VALU_DEP_1) | instskip(SKIP_1) | instid1(VALU_DEP_2)
	v_add_nc_u32_e32 v8, 1, v32
	v_cndmask_b32_e64 v30, v30, v32, s20
	v_cndmask_b32_e64 v24, v8, v24, s20
	s_delay_alu instid0(VALU_DEP_1) | instskip(SKIP_1) | instid1(SALU_CYCLE_1)
	v_cmp_ge_u32_e32 vcc_lo, v24, v30
	s_or_b32 s12, vcc_lo, s12
	s_and_not1_b32 exec_lo, exec_lo, s12
	s_cbranch_execz .LBB1488_592
.LBB1488_586:                           ; =>This Loop Header: Depth=1
                                        ;     Child Loop BB1488_589 Depth 2
	v_add_nc_u32_e32 v8, v30, v24
	s_and_not1_b32 vcc_lo, exec_lo, s16
	s_delay_alu instid0(VALU_DEP_1)
	v_lshrrev_b32_e32 v32, 1, v8
	s_cbranch_vccnz .LBB1488_591
; %bb.587:                              ;   in Loop: Header=BB1488_586 Depth=1
	s_delay_alu instid0(VALU_DEP_1) | instskip(SKIP_3) | instid1(VALU_DEP_2)
	v_not_b32_e32 v8, v32
	v_lshl_add_u32 v9, v32, 3, v25
	s_mov_b32 s17, 0
	s_mov_b64 s[6:7], s[8:9]
                                        ; implicit-def: $sgpr20
                                        ; implicit-def: $sgpr21
                                        ; implicit-def: $sgpr22
                                        ; implicit-def: $sgpr23
                                        ; implicit-def: $sgpr24
	v_lshl_add_u32 v8, v8, 3, v31
	ds_load_b64 v[10:11], v8
	ds_load_b64 v[33:34], v9
	s_waitcnt lgkmcnt(1)
	v_mul_lo_u32 v35, s4, v11
	v_mul_lo_u32 v36, s5, v10
	v_mad_u64_u32 v[8:9], null, s4, v10, s[10:11]
	s_waitcnt lgkmcnt(0)
	v_mul_lo_u32 v34, s4, v34
	v_mul_lo_u32 v37, s5, v33
	v_mad_u64_u32 v[10:11], null, s4, v33, s[10:11]
	s_delay_alu instid0(VALU_DEP_4) | instskip(NEXT) | instid1(VALU_DEP_2)
	v_add3_u32 v9, v36, v9, v35
	v_add3_u32 v11, v37, v11, v34
	s_set_inst_prefetch_distance 0x1
	s_branch .LBB1488_589
	.p2align	6
.LBB1488_588:                           ;   in Loop: Header=BB1488_589 Depth=2
	s_or_b32 exec_lo, exec_lo, s3
	s_delay_alu instid0(SALU_CYCLE_1) | instskip(NEXT) | instid1(SALU_CYCLE_1)
	s_and_b32 s3, exec_lo, s21
	s_or_b32 s17, s3, s17
	s_and_not1_b32 s3, s24, exec_lo
	s_and_b32 s24, s22, exec_lo
	s_and_not1_b32 s20, s20, exec_lo
	s_and_b32 s25, s23, exec_lo
	s_or_b32 s24, s3, s24
	s_or_b32 s20, s20, s25
	s_and_not1_b32 exec_lo, exec_lo, s17
	s_cbranch_execz .LBB1488_584
.LBB1488_589:                           ;   Parent Loop BB1488_586 Depth=1
                                        ; =>  This Inner Loop Header: Depth=2
	global_load_b32 v33, v[8:9], off
	global_load_b32 v34, v[10:11], off
	s_and_not1_b32 s23, s23, exec_lo
	s_and_not1_b32 s22, s22, exec_lo
	s_or_b32 s21, s21, exec_lo
	s_waitcnt vmcnt(0)
	v_cmp_le_u32_e32 vcc_lo, v33, v34
	v_cmp_lt_u32_e64 s3, v33, v34
	s_and_b32 s25, vcc_lo, s24
	s_delay_alu instid0(VALU_DEP_1) | instid1(SALU_CYCLE_1)
	s_or_b32 s25, s3, s25
	s_delay_alu instid0(SALU_CYCLE_1) | instskip(NEXT) | instid1(SALU_CYCLE_1)
	s_and_b32 s3, s25, exec_lo
	s_or_b32 s23, s23, s3
	s_mov_b32 s3, exec_lo
	v_cmpx_eq_u32_e64 v33, v34
	s_cbranch_execz .LBB1488_588
; %bb.590:                              ;   in Loop: Header=BB1488_589 Depth=2
	s_add_u32 s6, s6, -1
	s_addc_u32 s7, s7, -1
	v_add_co_u32 v8, vcc_lo, v8, 4
	s_cmp_eq_u64 s[6:7], 0
	v_add_co_ci_u32_e32 v9, vcc_lo, 0, v9, vcc_lo
	s_cselect_b32 s24, -1, 0
	v_add_co_u32 v10, vcc_lo, v10, 4
	s_and_not1_b32 s22, s22, exec_lo
	s_and_b32 s25, s25, exec_lo
	s_and_not1_b32 s21, s21, exec_lo
	s_and_b32 s24, s24, exec_lo
	v_add_co_ci_u32_e32 v11, vcc_lo, 0, v11, vcc_lo
	s_and_not1_b32 s23, s23, exec_lo
	s_or_b32 s22, s22, s25
	s_or_b32 s21, s21, s24
                                        ; implicit-def: $sgpr24
	s_branch .LBB1488_588
.LBB1488_591:                           ;   in Loop: Header=BB1488_586 Depth=1
	s_mov_b32 s20, 0
	s_branch .LBB1488_585
.LBB1488_592:
	s_or_b32 exec_lo, exec_lo, s12
.LBB1488_593:
	s_delay_alu instid0(SALU_CYCLE_1) | instskip(SKIP_2) | instid1(VALU_DEP_2)
	s_or_b32 exec_lo, exec_lo, s13
	v_add_nc_u32_e32 v9, v22, v29
	v_add_nc_u32_e32 v8, v24, v28
	v_sub_nc_u32_e32 v9, v9, v24
	s_delay_alu instid0(VALU_DEP_2) | instskip(NEXT) | instid1(VALU_DEP_2)
	v_cmp_le_u32_e32 vcc_lo, v8, v22
	v_cmp_le_u32_e64 s3, v9, v23
	s_delay_alu instid0(VALU_DEP_1) | instskip(NEXT) | instid1(SALU_CYCLE_1)
	s_or_b32 s3, vcc_lo, s3
	s_and_saveexec_b32 s6, s3
	s_cbranch_execz .LBB1488_640
; %bb.594:
	v_cmp_ge_u32_e32 vcc_lo, v8, v22
	s_mov_b32 s4, exec_lo
                                        ; implicit-def: $vgpr0_vgpr1
	v_cmpx_lt_u32_e64 v8, v22
	s_cbranch_execz .LBB1488_596
; %bb.595:
	v_lshl_add_u32 v0, v24, 3, v25
	ds_load_b64 v[0:1], v0
.LBB1488_596:
	s_or_b32 exec_lo, exec_lo, s4
	v_cmp_ge_u32_e64 s7, v9, v23
	s_mov_b32 s4, exec_lo
                                        ; implicit-def: $vgpr2_vgpr3
	v_cmpx_lt_u32_e64 v9, v23
	s_cbranch_execz .LBB1488_598
; %bb.597:
	v_lshl_add_u32 v2, v9, 3, v18
	ds_load_b64 v[2:3], v2
.LBB1488_598:
	s_or_b32 exec_lo, exec_lo, s4
	s_or_b32 s3, vcc_lo, s7
	s_mov_b32 s12, -1
	s_xor_b32 s3, s3, -1
	s_delay_alu instid0(SALU_CYCLE_1)
	s_and_saveexec_b32 s13, s3
	s_cbranch_execz .LBB1488_607
; %bb.599:
	s_and_not1_b32 vcc_lo, exec_lo, s16
	s_cbranch_vccnz .LBB1488_605
; %bb.600:
	s_waitcnt lgkmcnt(0)
	v_mul_lo_u32 v10, v3, s8
	v_mul_lo_u32 v11, v2, s9
	v_mad_u64_u32 v[4:5], null, v2, s8, 0
	v_mul_lo_u32 v24, v1, s8
	v_mul_lo_u32 v25, v0, s9
	v_mad_u64_u32 v[6:7], null, v0, s8, 0
	s_mov_b32 s17, 0
	s_mov_b64 s[4:5], s[8:9]
	s_delay_alu instid0(VALU_DEP_4) | instskip(NEXT) | instid1(VALU_DEP_2)
	v_add3_u32 v5, v5, v11, v10
                                        ; implicit-def: $sgpr20
                                        ; implicit-def: $sgpr21
                                        ; implicit-def: $sgpr22
                                        ; implicit-def: $sgpr23
                                        ; implicit-def: $sgpr24
	v_add3_u32 v7, v7, v25, v24
	s_delay_alu instid0(VALU_DEP_2) | instskip(NEXT) | instid1(VALU_DEP_2)
	v_lshlrev_b64 v[4:5], 2, v[4:5]
	v_lshlrev_b64 v[6:7], 2, v[6:7]
	s_delay_alu instid0(VALU_DEP_2) | instskip(NEXT) | instid1(VALU_DEP_3)
	v_add_co_u32 v4, vcc_lo, s10, v4
	v_add_co_ci_u32_e32 v5, vcc_lo, s11, v5, vcc_lo
	s_delay_alu instid0(VALU_DEP_3) | instskip(NEXT) | instid1(VALU_DEP_4)
	v_add_co_u32 v6, vcc_lo, s10, v6
	v_add_co_ci_u32_e32 v7, vcc_lo, s11, v7, vcc_lo
	s_set_inst_prefetch_distance 0x1
	s_branch .LBB1488_602
	.p2align	6
.LBB1488_601:                           ;   in Loop: Header=BB1488_602 Depth=1
	s_or_b32 exec_lo, exec_lo, s3
	s_delay_alu instid0(SALU_CYCLE_1) | instskip(NEXT) | instid1(SALU_CYCLE_1)
	s_and_b32 s3, exec_lo, s21
	s_or_b32 s17, s3, s17
	s_and_not1_b32 s3, s24, exec_lo
	s_and_b32 s24, s23, exec_lo
	s_and_not1_b32 s20, s20, exec_lo
	s_and_b32 s25, s22, exec_lo
	s_or_b32 s24, s3, s24
	s_or_b32 s20, s20, s25
	s_and_not1_b32 exec_lo, exec_lo, s17
	s_cbranch_execz .LBB1488_604
.LBB1488_602:                           ; =>This Inner Loop Header: Depth=1
	global_load_b32 v10, v[4:5], off
	global_load_b32 v11, v[6:7], off
	s_and_not1_b32 s22, s22, exec_lo
	s_and_not1_b32 s23, s23, exec_lo
	s_or_b32 s21, s21, exec_lo
	s_waitcnt vmcnt(0)
	v_cmp_le_u32_e32 vcc_lo, v10, v11
	v_cmp_lt_u32_e64 s3, v10, v11
	s_and_b32 s25, vcc_lo, s24
	s_delay_alu instid0(VALU_DEP_1) | instid1(SALU_CYCLE_1)
	s_or_b32 s25, s3, s25
	s_delay_alu instid0(SALU_CYCLE_1) | instskip(NEXT) | instid1(SALU_CYCLE_1)
	s_and_b32 s3, s25, exec_lo
	s_or_b32 s22, s22, s3
	s_mov_b32 s3, exec_lo
	v_cmpx_eq_u32_e64 v10, v11
	s_cbranch_execz .LBB1488_601
; %bb.603:                              ;   in Loop: Header=BB1488_602 Depth=1
	s_add_u32 s4, s4, -1
	s_addc_u32 s5, s5, -1
	v_add_co_u32 v4, vcc_lo, v4, 4
	s_cmp_eq_u64 s[4:5], 0
	v_add_co_ci_u32_e32 v5, vcc_lo, 0, v5, vcc_lo
	s_cselect_b32 s24, -1, 0
	s_and_not1_b32 s23, s23, exec_lo
	s_and_b32 s25, s25, exec_lo
	v_add_co_u32 v6, vcc_lo, v6, 4
	s_and_not1_b32 s21, s21, exec_lo
	s_and_b32 s24, s24, exec_lo
	v_add_co_ci_u32_e32 v7, vcc_lo, 0, v7, vcc_lo
	s_or_b32 s23, s23, s25
	s_and_not1_b32 s22, s22, exec_lo
	s_or_b32 s21, s21, s24
                                        ; implicit-def: $sgpr24
	s_branch .LBB1488_601
.LBB1488_604:
	s_set_inst_prefetch_distance 0x2
	s_or_b32 exec_lo, exec_lo, s17
	s_xor_b32 s3, s20, -1
	s_branch .LBB1488_606
.LBB1488_605:
	s_mov_b32 s3, -1
.LBB1488_606:
	s_and_not1_b32 s4, s7, exec_lo
	s_and_b32 s3, s3, exec_lo
	s_delay_alu instid0(SALU_CYCLE_1)
	s_or_b32 s7, s4, s3
.LBB1488_607:
	s_or_b32 exec_lo, exec_lo, s13
	v_cndmask_b32_e64 v4, v9, v8, s7
	v_cndmask_b32_e64 v5, v23, v22, s7
	s_mov_b32 s13, exec_lo
	s_delay_alu instid0(VALU_DEP_2) | instskip(NEXT) | instid1(VALU_DEP_2)
	v_add_nc_u32_e32 v6, 1, v4
	v_add_nc_u32_e32 v4, -1, v5
	s_delay_alu instid0(VALU_DEP_2) | instskip(NEXT) | instid1(VALU_DEP_2)
	v_cndmask_b32_e64 v9, v6, v9, s7
	v_min_u32_e32 v4, v6, v4
	v_cndmask_b32_e64 v8, v8, v6, s7
	s_delay_alu instid0(VALU_DEP_2)
	v_lshl_add_u32 v4, v4, 3, v18
	ds_load_b64 v[4:5], v4
	s_waitcnt lgkmcnt(0)
	v_cndmask_b32_e64 v24, v5, v3, s7
	v_cndmask_b32_e64 v25, v4, v2, s7
	;; [unrolled: 1-line block ×4, first 2 shown]
	v_cmpx_lt_u32_e64 v9, v23
	s_cbranch_execz .LBB1488_618
; %bb.608:
	s_mov_b32 s3, 0
	s_mov_b32 s12, exec_lo
	v_cmpx_lt_u32_e64 v8, v22
	s_cbranch_execz .LBB1488_617
; %bb.609:
	s_and_not1_b32 vcc_lo, exec_lo, s16
	s_cbranch_vccnz .LBB1488_615
; %bb.610:
	v_mul_lo_u32 v10, v24, s8
	v_mul_lo_u32 v11, v25, s9
	v_mad_u64_u32 v[4:5], null, v25, s8, 0
	v_mul_lo_u32 v30, v28, s8
	v_mul_lo_u32 v31, v29, s9
	v_mad_u64_u32 v[6:7], null, v29, s8, 0
	s_mov_b32 s17, 0
	s_mov_b64 s[4:5], s[8:9]
	s_delay_alu instid0(VALU_DEP_4) | instskip(NEXT) | instid1(VALU_DEP_2)
	v_add3_u32 v5, v5, v11, v10
                                        ; implicit-def: $sgpr20
                                        ; implicit-def: $sgpr21
                                        ; implicit-def: $sgpr22
                                        ; implicit-def: $sgpr23
                                        ; implicit-def: $sgpr24
	v_add3_u32 v7, v7, v31, v30
	s_delay_alu instid0(VALU_DEP_2) | instskip(NEXT) | instid1(VALU_DEP_2)
	v_lshlrev_b64 v[4:5], 2, v[4:5]
	v_lshlrev_b64 v[6:7], 2, v[6:7]
	s_delay_alu instid0(VALU_DEP_2) | instskip(NEXT) | instid1(VALU_DEP_3)
	v_add_co_u32 v4, vcc_lo, s10, v4
	v_add_co_ci_u32_e32 v5, vcc_lo, s11, v5, vcc_lo
	s_delay_alu instid0(VALU_DEP_3) | instskip(NEXT) | instid1(VALU_DEP_4)
	v_add_co_u32 v6, vcc_lo, s10, v6
	v_add_co_ci_u32_e32 v7, vcc_lo, s11, v7, vcc_lo
	s_set_inst_prefetch_distance 0x1
	s_branch .LBB1488_612
	.p2align	6
.LBB1488_611:                           ;   in Loop: Header=BB1488_612 Depth=1
	s_or_b32 exec_lo, exec_lo, s3
	s_delay_alu instid0(SALU_CYCLE_1) | instskip(NEXT) | instid1(SALU_CYCLE_1)
	s_and_b32 s3, exec_lo, s21
	s_or_b32 s17, s3, s17
	s_and_not1_b32 s3, s24, exec_lo
	s_and_b32 s24, s23, exec_lo
	s_and_not1_b32 s20, s20, exec_lo
	s_and_b32 s25, s22, exec_lo
	s_or_b32 s24, s3, s24
	s_or_b32 s20, s20, s25
	s_and_not1_b32 exec_lo, exec_lo, s17
	s_cbranch_execz .LBB1488_614
.LBB1488_612:                           ; =>This Inner Loop Header: Depth=1
	global_load_b32 v10, v[4:5], off
	global_load_b32 v11, v[6:7], off
	s_and_not1_b32 s22, s22, exec_lo
	s_and_not1_b32 s23, s23, exec_lo
	s_or_b32 s21, s21, exec_lo
	s_waitcnt vmcnt(0)
	v_cmp_le_u32_e32 vcc_lo, v10, v11
	v_cmp_lt_u32_e64 s3, v10, v11
	s_and_b32 s25, vcc_lo, s24
	s_delay_alu instid0(VALU_DEP_1) | instid1(SALU_CYCLE_1)
	s_or_b32 s25, s3, s25
	s_delay_alu instid0(SALU_CYCLE_1) | instskip(NEXT) | instid1(SALU_CYCLE_1)
	s_and_b32 s3, s25, exec_lo
	s_or_b32 s22, s22, s3
	s_mov_b32 s3, exec_lo
	v_cmpx_eq_u32_e64 v10, v11
	s_cbranch_execz .LBB1488_611
; %bb.613:                              ;   in Loop: Header=BB1488_612 Depth=1
	s_add_u32 s4, s4, -1
	s_addc_u32 s5, s5, -1
	v_add_co_u32 v4, vcc_lo, v4, 4
	s_cmp_eq_u64 s[4:5], 0
	v_add_co_ci_u32_e32 v5, vcc_lo, 0, v5, vcc_lo
	v_add_co_u32 v6, vcc_lo, v6, 4
	s_cselect_b32 s24, -1, 0
	v_add_co_ci_u32_e32 v7, vcc_lo, 0, v7, vcc_lo
	s_and_not1_b32 s23, s23, exec_lo
	s_and_b32 s25, s25, exec_lo
	s_and_not1_b32 s21, s21, exec_lo
	s_and_b32 s24, s24, exec_lo
	s_or_b32 s23, s23, s25
	s_and_not1_b32 s22, s22, exec_lo
	s_or_b32 s21, s21, s24
                                        ; implicit-def: $sgpr24
	s_branch .LBB1488_611
.LBB1488_614:
	s_set_inst_prefetch_distance 0x2
	s_or_b32 exec_lo, exec_lo, s17
	s_xor_b32 s3, s20, -1
	s_branch .LBB1488_616
.LBB1488_615:
	s_mov_b32 s3, -1
.LBB1488_616:
	s_delay_alu instid0(SALU_CYCLE_1)
	s_and_b32 s3, s3, exec_lo
.LBB1488_617:
	s_or_b32 exec_lo, exec_lo, s12
	s_delay_alu instid0(SALU_CYCLE_1)
	s_or_not1_b32 s12, s3, exec_lo
.LBB1488_618:
	s_or_b32 exec_lo, exec_lo, s13
	v_cndmask_b32_e64 v4, v9, v8, s12
	v_cndmask_b32_e64 v5, v23, v22, s12
	s_mov_b32 s13, -1
	s_mov_b32 s17, exec_lo
	s_delay_alu instid0(VALU_DEP_2) | instskip(NEXT) | instid1(VALU_DEP_2)
	v_add_nc_u32_e32 v6, 1, v4
	v_add_nc_u32_e32 v4, -1, v5
	s_delay_alu instid0(VALU_DEP_2) | instskip(NEXT) | instid1(VALU_DEP_2)
	v_cndmask_b32_e64 v9, v6, v9, s12
	v_min_u32_e32 v4, v6, v4
	v_cndmask_b32_e64 v8, v8, v6, s12
	s_delay_alu instid0(VALU_DEP_2)
	v_lshl_add_u32 v4, v4, 3, v18
	ds_load_b64 v[4:5], v4
	s_waitcnt lgkmcnt(0)
	v_cndmask_b32_e64 v30, v5, v24, s12
	v_cndmask_b32_e64 v31, v4, v25, s12
	v_cndmask_b32_e64 v32, v28, v5, s12
	v_cndmask_b32_e64 v33, v29, v4, s12
	v_cmpx_lt_u32_e64 v9, v23
	s_cbranch_execz .LBB1488_629
; %bb.619:
	s_mov_b32 s3, 0
	s_mov_b32 s13, exec_lo
	v_cmpx_lt_u32_e64 v8, v22
	s_cbranch_execz .LBB1488_628
; %bb.620:
	s_and_not1_b32 vcc_lo, exec_lo, s16
	s_cbranch_vccnz .LBB1488_626
; %bb.621:
	v_mul_lo_u32 v10, v30, s8
	v_mul_lo_u32 v11, v31, s9
	v_mad_u64_u32 v[4:5], null, v31, s8, 0
	v_mul_lo_u32 v34, v32, s8
	v_mul_lo_u32 v35, v33, s9
	v_mad_u64_u32 v[6:7], null, v33, s8, 0
	s_mov_b32 s20, 0
	s_mov_b64 s[4:5], s[8:9]
	s_delay_alu instid0(VALU_DEP_4) | instskip(NEXT) | instid1(VALU_DEP_2)
	v_add3_u32 v5, v5, v11, v10
                                        ; implicit-def: $sgpr21
                                        ; implicit-def: $sgpr22
                                        ; implicit-def: $sgpr23
                                        ; implicit-def: $sgpr24
                                        ; implicit-def: $sgpr25
	v_add3_u32 v7, v7, v35, v34
	s_delay_alu instid0(VALU_DEP_2) | instskip(NEXT) | instid1(VALU_DEP_2)
	v_lshlrev_b64 v[4:5], 2, v[4:5]
	v_lshlrev_b64 v[6:7], 2, v[6:7]
	s_delay_alu instid0(VALU_DEP_2) | instskip(NEXT) | instid1(VALU_DEP_3)
	v_add_co_u32 v4, vcc_lo, s10, v4
	v_add_co_ci_u32_e32 v5, vcc_lo, s11, v5, vcc_lo
	s_delay_alu instid0(VALU_DEP_3) | instskip(NEXT) | instid1(VALU_DEP_4)
	v_add_co_u32 v6, vcc_lo, s10, v6
	v_add_co_ci_u32_e32 v7, vcc_lo, s11, v7, vcc_lo
	s_set_inst_prefetch_distance 0x1
	s_branch .LBB1488_623
	.p2align	6
.LBB1488_622:                           ;   in Loop: Header=BB1488_623 Depth=1
	s_or_b32 exec_lo, exec_lo, s3
	s_delay_alu instid0(SALU_CYCLE_1) | instskip(NEXT) | instid1(SALU_CYCLE_1)
	s_and_b32 s3, exec_lo, s22
	s_or_b32 s20, s3, s20
	s_and_not1_b32 s3, s25, exec_lo
	s_and_b32 s25, s24, exec_lo
	s_and_not1_b32 s21, s21, exec_lo
	s_and_b32 s26, s23, exec_lo
	s_or_b32 s25, s3, s25
	s_or_b32 s21, s21, s26
	s_and_not1_b32 exec_lo, exec_lo, s20
	s_cbranch_execz .LBB1488_625
.LBB1488_623:                           ; =>This Inner Loop Header: Depth=1
	global_load_b32 v10, v[4:5], off
	global_load_b32 v11, v[6:7], off
	s_and_not1_b32 s23, s23, exec_lo
	s_and_not1_b32 s24, s24, exec_lo
	s_or_b32 s22, s22, exec_lo
	s_waitcnt vmcnt(0)
	v_cmp_le_u32_e32 vcc_lo, v10, v11
	v_cmp_lt_u32_e64 s3, v10, v11
	s_and_b32 s26, vcc_lo, s25
	s_delay_alu instid0(VALU_DEP_1) | instid1(SALU_CYCLE_1)
	s_or_b32 s26, s3, s26
	s_delay_alu instid0(SALU_CYCLE_1) | instskip(NEXT) | instid1(SALU_CYCLE_1)
	s_and_b32 s3, s26, exec_lo
	s_or_b32 s23, s23, s3
	s_mov_b32 s3, exec_lo
	v_cmpx_eq_u32_e64 v10, v11
	s_cbranch_execz .LBB1488_622
; %bb.624:                              ;   in Loop: Header=BB1488_623 Depth=1
	s_add_u32 s4, s4, -1
	s_addc_u32 s5, s5, -1
	v_add_co_u32 v4, vcc_lo, v4, 4
	s_cmp_eq_u64 s[4:5], 0
	v_add_co_ci_u32_e32 v5, vcc_lo, 0, v5, vcc_lo
	v_add_co_u32 v6, vcc_lo, v6, 4
	s_cselect_b32 s25, -1, 0
	v_add_co_ci_u32_e32 v7, vcc_lo, 0, v7, vcc_lo
	s_and_not1_b32 s24, s24, exec_lo
	s_and_b32 s26, s26, exec_lo
	s_and_not1_b32 s22, s22, exec_lo
	s_and_b32 s25, s25, exec_lo
	s_or_b32 s24, s24, s26
	s_and_not1_b32 s23, s23, exec_lo
	s_or_b32 s22, s22, s25
                                        ; implicit-def: $sgpr25
	s_branch .LBB1488_622
.LBB1488_625:
	s_set_inst_prefetch_distance 0x2
	s_or_b32 exec_lo, exec_lo, s20
	s_xor_b32 s3, s21, -1
	s_branch .LBB1488_627
.LBB1488_626:
	s_mov_b32 s3, -1
.LBB1488_627:
	s_delay_alu instid0(SALU_CYCLE_1)
	s_and_b32 s3, s3, exec_lo
.LBB1488_628:
	s_or_b32 exec_lo, exec_lo, s13
	s_delay_alu instid0(SALU_CYCLE_1)
	s_or_not1_b32 s13, s3, exec_lo
.LBB1488_629:
	s_or_b32 exec_lo, exec_lo, s17
	v_cndmask_b32_e64 v4, v9, v8, s13
	v_cndmask_b32_e64 v5, v23, v22, s13
	s_mov_b32 s17, exec_lo
	s_delay_alu instid0(VALU_DEP_2) | instskip(NEXT) | instid1(VALU_DEP_2)
	v_add_nc_u32_e32 v10, 1, v4
	v_add_nc_u32_e32 v4, -1, v5
	s_delay_alu instid0(VALU_DEP_2) | instskip(NEXT) | instid1(VALU_DEP_2)
	v_cndmask_b32_e64 v9, v10, v9, s13
	v_min_u32_e32 v4, v10, v4
	s_delay_alu instid0(VALU_DEP_1)
	v_lshl_add_u32 v4, v4, 3, v18
	ds_load_b64 v[4:5], v4
	s_waitcnt lgkmcnt(0)
	v_cndmask_b32_e64 v7, v32, v5, s13
	v_cndmask_b32_e64 v6, v33, v4, s13
	v_cmpx_lt_u32_e64 v9, v23
	s_cbranch_execz .LBB1488_639
; %bb.630:
	v_cndmask_b32_e64 v8, v8, v10, s13
	v_cndmask_b32_e64 v5, v5, v30, s13
	;; [unrolled: 1-line block ×3, first 2 shown]
	s_mov_b32 s20, exec_lo
	s_delay_alu instid0(VALU_DEP_3)
	v_cmpx_lt_u32_e64 v8, v22
	s_cbranch_execz .LBB1488_638
; %bb.631:
	s_and_not1_b32 vcc_lo, exec_lo, s16
	s_cbranch_vccnz .LBB1488_637
; %bb.632:
	v_mul_lo_u32 v22, v5, s8
	v_mul_lo_u32 v23, v4, s9
	v_mad_u64_u32 v[8:9], null, v4, s8, 0
	v_mul_lo_u32 v34, v7, s8
	v_mul_lo_u32 v35, v6, s9
	v_mad_u64_u32 v[10:11], null, v6, s8, 0
	s_mov_b32 s21, 0
	s_mov_b64 s[4:5], s[8:9]
	s_delay_alu instid0(VALU_DEP_4) | instskip(NEXT) | instid1(VALU_DEP_2)
	v_add3_u32 v9, v9, v23, v22
                                        ; implicit-def: $sgpr22
                                        ; implicit-def: $sgpr23
                                        ; implicit-def: $sgpr24
                                        ; implicit-def: $sgpr25
                                        ; implicit-def: $sgpr26
	v_add3_u32 v11, v11, v35, v34
	s_delay_alu instid0(VALU_DEP_2) | instskip(NEXT) | instid1(VALU_DEP_2)
	v_lshlrev_b64 v[8:9], 2, v[8:9]
	v_lshlrev_b64 v[10:11], 2, v[10:11]
	s_delay_alu instid0(VALU_DEP_2) | instskip(NEXT) | instid1(VALU_DEP_3)
	v_add_co_u32 v8, vcc_lo, s10, v8
	v_add_co_ci_u32_e32 v9, vcc_lo, s11, v9, vcc_lo
	s_delay_alu instid0(VALU_DEP_3) | instskip(NEXT) | instid1(VALU_DEP_4)
	v_add_co_u32 v10, vcc_lo, s10, v10
	v_add_co_ci_u32_e32 v11, vcc_lo, s11, v11, vcc_lo
	s_set_inst_prefetch_distance 0x1
	s_branch .LBB1488_634
	.p2align	6
.LBB1488_633:                           ;   in Loop: Header=BB1488_634 Depth=1
	s_or_b32 exec_lo, exec_lo, s3
	s_delay_alu instid0(SALU_CYCLE_1) | instskip(NEXT) | instid1(SALU_CYCLE_1)
	s_and_b32 s3, exec_lo, s23
	s_or_b32 s21, s3, s21
	s_and_not1_b32 s3, s26, exec_lo
	s_and_b32 s26, s25, exec_lo
	s_and_not1_b32 s22, s22, exec_lo
	s_and_b32 s27, s24, exec_lo
	s_or_b32 s26, s3, s26
	s_or_b32 s22, s22, s27
	s_and_not1_b32 exec_lo, exec_lo, s21
	s_cbranch_execz .LBB1488_636
.LBB1488_634:                           ; =>This Inner Loop Header: Depth=1
	global_load_b32 v22, v[8:9], off
	global_load_b32 v23, v[10:11], off
	s_and_not1_b32 s24, s24, exec_lo
	s_and_not1_b32 s25, s25, exec_lo
	s_or_b32 s23, s23, exec_lo
	s_waitcnt vmcnt(0)
	v_cmp_le_u32_e32 vcc_lo, v22, v23
	v_cmp_lt_u32_e64 s3, v22, v23
	s_and_b32 s27, vcc_lo, s26
	s_delay_alu instid0(VALU_DEP_1) | instid1(SALU_CYCLE_1)
	s_or_b32 s27, s3, s27
	s_delay_alu instid0(SALU_CYCLE_1) | instskip(NEXT) | instid1(SALU_CYCLE_1)
	s_and_b32 s3, s27, exec_lo
	s_or_b32 s24, s24, s3
	s_mov_b32 s3, exec_lo
	v_cmpx_eq_u32_e64 v22, v23
	s_cbranch_execz .LBB1488_633
; %bb.635:                              ;   in Loop: Header=BB1488_634 Depth=1
	s_add_u32 s4, s4, -1
	s_addc_u32 s5, s5, -1
	v_add_co_u32 v8, vcc_lo, v8, 4
	s_cmp_eq_u64 s[4:5], 0
	v_add_co_ci_u32_e32 v9, vcc_lo, 0, v9, vcc_lo
	v_add_co_u32 v10, vcc_lo, v10, 4
	s_cselect_b32 s26, -1, 0
	v_add_co_ci_u32_e32 v11, vcc_lo, 0, v11, vcc_lo
	s_and_not1_b32 s25, s25, exec_lo
	s_and_b32 s27, s27, exec_lo
	s_and_not1_b32 s23, s23, exec_lo
	s_and_b32 s26, s26, exec_lo
	s_or_b32 s25, s25, s27
	s_and_not1_b32 s24, s24, exec_lo
	s_or_b32 s23, s23, s26
                                        ; implicit-def: $sgpr26
	s_branch .LBB1488_633
.LBB1488_636:
	s_set_inst_prefetch_distance 0x2
	s_or_b32 exec_lo, exec_lo, s21
	v_cndmask_b32_e64 v7, v7, v5, s22
	v_cndmask_b32_e64 v6, v6, v4, s22
.LBB1488_637:
	s_delay_alu instid0(VALU_DEP_1)
	v_dual_mov_b32 v4, v6 :: v_dual_mov_b32 v5, v7
.LBB1488_638:
	s_or_b32 exec_lo, exec_lo, s20
	s_delay_alu instid0(VALU_DEP_1)
	v_dual_mov_b32 v7, v5 :: v_dual_mov_b32 v6, v4
.LBB1488_639:
	s_or_b32 exec_lo, exec_lo, s17
	v_cndmask_b32_e64 v1, v3, v1, s7
	v_cndmask_b32_e64 v0, v2, v0, s7
	;; [unrolled: 1-line block ×6, first 2 shown]
.LBB1488_640:
	s_or_b32 exec_lo, exec_lo, s6
	v_and_b32_e32 v28, 0x70, v20
	v_and_b32_e32 v9, 12, v20
	s_mov_b32 s12, exec_lo
	; wave barrier
	s_delay_alu instid0(VALU_DEP_2) | instskip(NEXT) | instid1(VALU_DEP_2)
	v_or_b32_e32 v8, 8, v28
	v_min_u32_e32 v29, v19, v9
	v_lshl_add_u32 v25, v28, 3, v18
	ds_store_b128 v21, v[0:3]
	ds_store_b128 v21, v[4:7] offset:16
	v_min_u32_e32 v22, v19, v8
	; wave barrier
	s_delay_alu instid0(VALU_DEP_1) | instskip(SKIP_1) | instid1(VALU_DEP_2)
	v_add_nc_u32_e32 v8, 8, v22
	v_sub_nc_u32_e32 v9, v22, v28
	v_min_u32_e32 v23, v19, v8
	s_delay_alu instid0(VALU_DEP_2) | instskip(NEXT) | instid1(VALU_DEP_2)
	v_min_u32_e32 v30, v29, v9
	v_sub_nc_u32_e32 v8, v23, v22
	s_delay_alu instid0(VALU_DEP_1) | instskip(NEXT) | instid1(VALU_DEP_1)
	v_sub_nc_u32_e64 v24, v29, v8 clamp
	v_cmpx_lt_u32_e64 v24, v30
	s_cbranch_execz .LBB1488_650
; %bb.641:
	v_lshlrev_b32_e32 v8, 3, v22
	v_lshlrev_b32_e32 v9, 3, v29
	s_lshl_b64 s[4:5], s[8:9], 2
	s_mov_b32 s13, 0
	s_delay_alu instid0(VALU_DEP_1)
	v_add3_u32 v31, v18, v8, v9
	s_branch .LBB1488_644
.LBB1488_642:                           ;   in Loop: Header=BB1488_644 Depth=1
	s_set_inst_prefetch_distance 0x2
	s_or_b32 exec_lo, exec_lo, s17
.LBB1488_643:                           ;   in Loop: Header=BB1488_644 Depth=1
	s_delay_alu instid0(VALU_DEP_1) | instskip(SKIP_1) | instid1(VALU_DEP_2)
	v_add_nc_u32_e32 v8, 1, v32
	v_cndmask_b32_e64 v30, v30, v32, s20
	v_cndmask_b32_e64 v24, v8, v24, s20
	s_delay_alu instid0(VALU_DEP_1) | instskip(SKIP_1) | instid1(SALU_CYCLE_1)
	v_cmp_ge_u32_e32 vcc_lo, v24, v30
	s_or_b32 s13, vcc_lo, s13
	s_and_not1_b32 exec_lo, exec_lo, s13
	s_cbranch_execz .LBB1488_649
.LBB1488_644:                           ; =>This Loop Header: Depth=1
                                        ;     Child Loop BB1488_647 Depth 2
	v_add_nc_u32_e32 v8, v30, v24
	s_and_not1_b32 vcc_lo, exec_lo, s16
	s_mov_b32 s20, 0
	s_delay_alu instid0(VALU_DEP_1)
	v_lshrrev_b32_e32 v32, 1, v8
	s_cbranch_vccnz .LBB1488_643
; %bb.645:                              ;   in Loop: Header=BB1488_644 Depth=1
	s_delay_alu instid0(VALU_DEP_1) | instskip(SKIP_3) | instid1(VALU_DEP_2)
	v_not_b32_e32 v8, v32
	v_lshl_add_u32 v9, v32, 3, v25
	s_mov_b32 s17, 0
	s_mov_b64 s[6:7], s[8:9]
                                        ; implicit-def: $sgpr20
                                        ; implicit-def: $sgpr21
                                        ; implicit-def: $sgpr22
                                        ; implicit-def: $sgpr23
                                        ; implicit-def: $sgpr24
	v_lshl_add_u32 v8, v8, 3, v31
	ds_load_b64 v[10:11], v8
	ds_load_b64 v[33:34], v9
	s_waitcnt lgkmcnt(1)
	v_mul_lo_u32 v35, s4, v11
	v_mul_lo_u32 v36, s5, v10
	v_mad_u64_u32 v[8:9], null, s4, v10, s[10:11]
	s_waitcnt lgkmcnt(0)
	v_mul_lo_u32 v34, s4, v34
	v_mul_lo_u32 v37, s5, v33
	v_mad_u64_u32 v[10:11], null, s4, v33, s[10:11]
	s_delay_alu instid0(VALU_DEP_4) | instskip(NEXT) | instid1(VALU_DEP_2)
	v_add3_u32 v9, v36, v9, v35
	v_add3_u32 v11, v37, v11, v34
	s_set_inst_prefetch_distance 0x1
	s_branch .LBB1488_647
	.p2align	6
.LBB1488_646:                           ;   in Loop: Header=BB1488_647 Depth=2
	s_or_b32 exec_lo, exec_lo, s25
	s_delay_alu instid0(SALU_CYCLE_1) | instskip(NEXT) | instid1(SALU_CYCLE_1)
	s_and_b32 s3, exec_lo, s21
	s_or_b32 s17, s3, s17
	s_and_not1_b32 s3, s24, exec_lo
	s_and_b32 s24, s22, exec_lo
	s_and_not1_b32 s20, s20, exec_lo
	s_and_b32 s25, s23, exec_lo
	s_or_b32 s24, s3, s24
	s_or_b32 s20, s20, s25
	s_and_not1_b32 exec_lo, exec_lo, s17
	s_cbranch_execz .LBB1488_642
.LBB1488_647:                           ;   Parent Loop BB1488_644 Depth=1
                                        ; =>  This Inner Loop Header: Depth=2
	global_load_b32 v33, v[8:9], off
	global_load_b32 v34, v[10:11], off
	s_and_not1_b32 s23, s23, exec_lo
	s_and_not1_b32 s22, s22, exec_lo
	s_or_b32 s21, s21, exec_lo
	s_waitcnt vmcnt(0)
	v_cmp_le_u32_e32 vcc_lo, v33, v34
	v_cmp_lt_u32_e64 s3, v33, v34
	s_and_b32 s25, vcc_lo, s24
	s_delay_alu instid0(VALU_DEP_1) | instid1(SALU_CYCLE_1)
	s_or_b32 s3, s3, s25
	s_delay_alu instid0(SALU_CYCLE_1) | instskip(NEXT) | instid1(SALU_CYCLE_1)
	s_and_b32 s25, s3, exec_lo
	s_or_b32 s23, s23, s25
	s_mov_b32 s25, exec_lo
	v_cmpx_eq_u32_e64 v33, v34
	s_cbranch_execz .LBB1488_646
; %bb.648:                              ;   in Loop: Header=BB1488_647 Depth=2
	s_add_u32 s6, s6, -1
	s_addc_u32 s7, s7, -1
	v_add_co_u32 v8, vcc_lo, v8, 4
	v_add_co_ci_u32_e32 v9, vcc_lo, 0, v9, vcc_lo
	s_cmp_eq_u64 s[6:7], 0
	v_add_co_u32 v10, vcc_lo, v10, 4
	s_cselect_b32 s24, -1, 0
	v_add_co_ci_u32_e32 v11, vcc_lo, 0, v11, vcc_lo
	s_and_not1_b32 s22, s22, exec_lo
	s_and_b32 s3, s3, exec_lo
	s_and_not1_b32 s21, s21, exec_lo
	s_and_b32 s24, s24, exec_lo
	s_and_not1_b32 s23, s23, exec_lo
	s_or_b32 s22, s22, s3
	s_or_b32 s21, s21, s24
                                        ; implicit-def: $sgpr24
	s_branch .LBB1488_646
.LBB1488_649:
	s_or_b32 exec_lo, exec_lo, s13
.LBB1488_650:
	s_delay_alu instid0(SALU_CYCLE_1) | instskip(SKIP_2) | instid1(VALU_DEP_2)
	s_or_b32 exec_lo, exec_lo, s12
	v_add_nc_u32_e32 v9, v22, v29
	v_add_nc_u32_e32 v8, v24, v28
	v_sub_nc_u32_e32 v9, v9, v24
	s_delay_alu instid0(VALU_DEP_2) | instskip(NEXT) | instid1(VALU_DEP_2)
	v_cmp_le_u32_e32 vcc_lo, v8, v22
	v_cmp_le_u32_e64 s3, v9, v23
	s_delay_alu instid0(VALU_DEP_1) | instskip(NEXT) | instid1(SALU_CYCLE_1)
	s_or_b32 s3, vcc_lo, s3
	s_and_saveexec_b32 s6, s3
	s_cbranch_execz .LBB1488_697
; %bb.651:
	v_cmp_ge_u32_e32 vcc_lo, v8, v22
	s_mov_b32 s4, exec_lo
                                        ; implicit-def: $vgpr0_vgpr1
	v_cmpx_lt_u32_e64 v8, v22
	s_cbranch_execz .LBB1488_653
; %bb.652:
	v_lshl_add_u32 v0, v24, 3, v25
	ds_load_b64 v[0:1], v0
.LBB1488_653:
	s_or_b32 exec_lo, exec_lo, s4
	v_cmp_ge_u32_e64 s7, v9, v23
	s_mov_b32 s4, exec_lo
                                        ; implicit-def: $vgpr2_vgpr3
	v_cmpx_lt_u32_e64 v9, v23
	s_cbranch_execz .LBB1488_655
; %bb.654:
	v_lshl_add_u32 v2, v9, 3, v18
	ds_load_b64 v[2:3], v2
.LBB1488_655:
	s_or_b32 exec_lo, exec_lo, s4
	s_or_b32 s3, vcc_lo, s7
	s_mov_b32 s12, -1
	s_xor_b32 s3, s3, -1
	s_delay_alu instid0(SALU_CYCLE_1)
	s_and_saveexec_b32 s13, s3
	s_cbranch_execz .LBB1488_664
; %bb.656:
	s_and_not1_b32 vcc_lo, exec_lo, s16
	s_cbranch_vccnz .LBB1488_662
; %bb.657:
	s_waitcnt lgkmcnt(0)
	v_mul_lo_u32 v10, v3, s8
	v_mul_lo_u32 v11, v2, s9
	v_mad_u64_u32 v[4:5], null, v2, s8, 0
	v_mul_lo_u32 v24, v1, s8
	v_mul_lo_u32 v25, v0, s9
	v_mad_u64_u32 v[6:7], null, v0, s8, 0
	s_mov_b32 s17, 0
	s_mov_b64 s[4:5], s[8:9]
	s_delay_alu instid0(VALU_DEP_4) | instskip(NEXT) | instid1(VALU_DEP_2)
	v_add3_u32 v5, v5, v11, v10
                                        ; implicit-def: $sgpr20
                                        ; implicit-def: $sgpr21
                                        ; implicit-def: $sgpr22
                                        ; implicit-def: $sgpr23
                                        ; implicit-def: $sgpr24
	v_add3_u32 v7, v7, v25, v24
	s_delay_alu instid0(VALU_DEP_2) | instskip(NEXT) | instid1(VALU_DEP_2)
	v_lshlrev_b64 v[4:5], 2, v[4:5]
	v_lshlrev_b64 v[6:7], 2, v[6:7]
	s_delay_alu instid0(VALU_DEP_2) | instskip(NEXT) | instid1(VALU_DEP_3)
	v_add_co_u32 v4, vcc_lo, s10, v4
	v_add_co_ci_u32_e32 v5, vcc_lo, s11, v5, vcc_lo
	s_delay_alu instid0(VALU_DEP_3) | instskip(NEXT) | instid1(VALU_DEP_4)
	v_add_co_u32 v6, vcc_lo, s10, v6
	v_add_co_ci_u32_e32 v7, vcc_lo, s11, v7, vcc_lo
	s_set_inst_prefetch_distance 0x1
	s_branch .LBB1488_659
	.p2align	6
.LBB1488_658:                           ;   in Loop: Header=BB1488_659 Depth=1
	s_or_b32 exec_lo, exec_lo, s3
	s_delay_alu instid0(SALU_CYCLE_1) | instskip(NEXT) | instid1(SALU_CYCLE_1)
	s_and_b32 s3, exec_lo, s21
	s_or_b32 s17, s3, s17
	s_and_not1_b32 s3, s24, exec_lo
	s_and_b32 s24, s23, exec_lo
	s_and_not1_b32 s20, s20, exec_lo
	s_and_b32 s25, s22, exec_lo
	s_or_b32 s24, s3, s24
	s_or_b32 s20, s20, s25
	s_and_not1_b32 exec_lo, exec_lo, s17
	s_cbranch_execz .LBB1488_661
.LBB1488_659:                           ; =>This Inner Loop Header: Depth=1
	global_load_b32 v10, v[4:5], off
	global_load_b32 v11, v[6:7], off
	s_and_not1_b32 s22, s22, exec_lo
	s_and_not1_b32 s23, s23, exec_lo
	s_or_b32 s21, s21, exec_lo
	s_waitcnt vmcnt(0)
	v_cmp_le_u32_e32 vcc_lo, v10, v11
	v_cmp_lt_u32_e64 s3, v10, v11
	s_and_b32 s25, vcc_lo, s24
	s_delay_alu instid0(VALU_DEP_1) | instid1(SALU_CYCLE_1)
	s_or_b32 s25, s3, s25
	s_delay_alu instid0(SALU_CYCLE_1) | instskip(NEXT) | instid1(SALU_CYCLE_1)
	s_and_b32 s3, s25, exec_lo
	s_or_b32 s22, s22, s3
	s_mov_b32 s3, exec_lo
	v_cmpx_eq_u32_e64 v10, v11
	s_cbranch_execz .LBB1488_658
; %bb.660:                              ;   in Loop: Header=BB1488_659 Depth=1
	s_add_u32 s4, s4, -1
	s_addc_u32 s5, s5, -1
	v_add_co_u32 v4, vcc_lo, v4, 4
	s_cmp_eq_u64 s[4:5], 0
	v_add_co_ci_u32_e32 v5, vcc_lo, 0, v5, vcc_lo
	v_add_co_u32 v6, vcc_lo, v6, 4
	s_cselect_b32 s24, -1, 0
	v_add_co_ci_u32_e32 v7, vcc_lo, 0, v7, vcc_lo
	s_and_not1_b32 s23, s23, exec_lo
	s_and_b32 s25, s25, exec_lo
	s_and_not1_b32 s21, s21, exec_lo
	s_and_b32 s24, s24, exec_lo
	s_or_b32 s23, s23, s25
	s_and_not1_b32 s22, s22, exec_lo
	s_or_b32 s21, s21, s24
                                        ; implicit-def: $sgpr24
	s_branch .LBB1488_658
.LBB1488_661:
	s_set_inst_prefetch_distance 0x2
	s_or_b32 exec_lo, exec_lo, s17
	s_xor_b32 s3, s20, -1
	s_branch .LBB1488_663
.LBB1488_662:
	s_mov_b32 s3, -1
.LBB1488_663:
	s_and_not1_b32 s4, s7, exec_lo
	s_and_b32 s3, s3, exec_lo
	s_delay_alu instid0(SALU_CYCLE_1)
	s_or_b32 s7, s4, s3
.LBB1488_664:
	s_or_b32 exec_lo, exec_lo, s13
	v_cndmask_b32_e64 v4, v9, v8, s7
	v_cndmask_b32_e64 v5, v23, v22, s7
	s_mov_b32 s13, exec_lo
	s_delay_alu instid0(VALU_DEP_2) | instskip(NEXT) | instid1(VALU_DEP_2)
	v_add_nc_u32_e32 v6, 1, v4
	v_add_nc_u32_e32 v4, -1, v5
	s_delay_alu instid0(VALU_DEP_2) | instskip(NEXT) | instid1(VALU_DEP_2)
	v_cndmask_b32_e64 v9, v6, v9, s7
	v_min_u32_e32 v4, v6, v4
	v_cndmask_b32_e64 v8, v8, v6, s7
	s_delay_alu instid0(VALU_DEP_2)
	v_lshl_add_u32 v4, v4, 3, v18
	ds_load_b64 v[4:5], v4
	s_waitcnt lgkmcnt(0)
	v_cndmask_b32_e64 v24, v5, v3, s7
	v_cndmask_b32_e64 v25, v4, v2, s7
	v_cndmask_b32_e64 v28, v1, v5, s7
	v_cndmask_b32_e64 v29, v0, v4, s7
	v_cmpx_lt_u32_e64 v9, v23
	s_cbranch_execz .LBB1488_675
; %bb.665:
	s_mov_b32 s3, 0
	s_mov_b32 s12, exec_lo
	v_cmpx_lt_u32_e64 v8, v22
	s_cbranch_execz .LBB1488_674
; %bb.666:
	s_and_not1_b32 vcc_lo, exec_lo, s16
	s_cbranch_vccnz .LBB1488_672
; %bb.667:
	v_mul_lo_u32 v10, v24, s8
	v_mul_lo_u32 v11, v25, s9
	v_mad_u64_u32 v[4:5], null, v25, s8, 0
	v_mul_lo_u32 v30, v28, s8
	v_mul_lo_u32 v31, v29, s9
	v_mad_u64_u32 v[6:7], null, v29, s8, 0
	s_mov_b32 s17, 0
	s_mov_b64 s[4:5], s[8:9]
	s_delay_alu instid0(VALU_DEP_4) | instskip(NEXT) | instid1(VALU_DEP_2)
	v_add3_u32 v5, v5, v11, v10
                                        ; implicit-def: $sgpr20
                                        ; implicit-def: $sgpr21
                                        ; implicit-def: $sgpr22
                                        ; implicit-def: $sgpr23
                                        ; implicit-def: $sgpr24
	v_add3_u32 v7, v7, v31, v30
	s_delay_alu instid0(VALU_DEP_2) | instskip(NEXT) | instid1(VALU_DEP_2)
	v_lshlrev_b64 v[4:5], 2, v[4:5]
	v_lshlrev_b64 v[6:7], 2, v[6:7]
	s_delay_alu instid0(VALU_DEP_2) | instskip(NEXT) | instid1(VALU_DEP_3)
	v_add_co_u32 v4, vcc_lo, s10, v4
	v_add_co_ci_u32_e32 v5, vcc_lo, s11, v5, vcc_lo
	s_delay_alu instid0(VALU_DEP_3) | instskip(NEXT) | instid1(VALU_DEP_4)
	v_add_co_u32 v6, vcc_lo, s10, v6
	v_add_co_ci_u32_e32 v7, vcc_lo, s11, v7, vcc_lo
	s_set_inst_prefetch_distance 0x1
	s_branch .LBB1488_669
	.p2align	6
.LBB1488_668:                           ;   in Loop: Header=BB1488_669 Depth=1
	s_or_b32 exec_lo, exec_lo, s3
	s_delay_alu instid0(SALU_CYCLE_1) | instskip(NEXT) | instid1(SALU_CYCLE_1)
	s_and_b32 s3, exec_lo, s21
	s_or_b32 s17, s3, s17
	s_and_not1_b32 s3, s24, exec_lo
	s_and_b32 s24, s23, exec_lo
	s_and_not1_b32 s20, s20, exec_lo
	s_and_b32 s25, s22, exec_lo
	s_or_b32 s24, s3, s24
	s_or_b32 s20, s20, s25
	s_and_not1_b32 exec_lo, exec_lo, s17
	s_cbranch_execz .LBB1488_671
.LBB1488_669:                           ; =>This Inner Loop Header: Depth=1
	global_load_b32 v10, v[4:5], off
	global_load_b32 v11, v[6:7], off
	s_and_not1_b32 s22, s22, exec_lo
	s_and_not1_b32 s23, s23, exec_lo
	s_or_b32 s21, s21, exec_lo
	s_waitcnt vmcnt(0)
	v_cmp_le_u32_e32 vcc_lo, v10, v11
	v_cmp_lt_u32_e64 s3, v10, v11
	s_and_b32 s25, vcc_lo, s24
	s_delay_alu instid0(VALU_DEP_1) | instid1(SALU_CYCLE_1)
	s_or_b32 s25, s3, s25
	s_delay_alu instid0(SALU_CYCLE_1) | instskip(NEXT) | instid1(SALU_CYCLE_1)
	s_and_b32 s3, s25, exec_lo
	s_or_b32 s22, s22, s3
	s_mov_b32 s3, exec_lo
	v_cmpx_eq_u32_e64 v10, v11
	s_cbranch_execz .LBB1488_668
; %bb.670:                              ;   in Loop: Header=BB1488_669 Depth=1
	s_add_u32 s4, s4, -1
	s_addc_u32 s5, s5, -1
	v_add_co_u32 v4, vcc_lo, v4, 4
	s_cmp_eq_u64 s[4:5], 0
	v_add_co_ci_u32_e32 v5, vcc_lo, 0, v5, vcc_lo
	v_add_co_u32 v6, vcc_lo, v6, 4
	s_cselect_b32 s24, -1, 0
	v_add_co_ci_u32_e32 v7, vcc_lo, 0, v7, vcc_lo
	s_and_not1_b32 s23, s23, exec_lo
	s_and_b32 s25, s25, exec_lo
	s_and_not1_b32 s21, s21, exec_lo
	s_and_b32 s24, s24, exec_lo
	s_or_b32 s23, s23, s25
	s_and_not1_b32 s22, s22, exec_lo
	s_or_b32 s21, s21, s24
                                        ; implicit-def: $sgpr24
	s_branch .LBB1488_668
.LBB1488_671:
	s_set_inst_prefetch_distance 0x2
	s_or_b32 exec_lo, exec_lo, s17
	s_xor_b32 s3, s20, -1
	s_branch .LBB1488_673
.LBB1488_672:
	s_mov_b32 s3, -1
.LBB1488_673:
	s_delay_alu instid0(SALU_CYCLE_1)
	s_and_b32 s3, s3, exec_lo
.LBB1488_674:
	s_or_b32 exec_lo, exec_lo, s12
	s_delay_alu instid0(SALU_CYCLE_1)
	s_or_not1_b32 s12, s3, exec_lo
.LBB1488_675:
	s_or_b32 exec_lo, exec_lo, s13
	v_cndmask_b32_e64 v4, v9, v8, s12
	v_cndmask_b32_e64 v5, v23, v22, s12
	s_mov_b32 s13, -1
	s_mov_b32 s17, exec_lo
	s_delay_alu instid0(VALU_DEP_2) | instskip(NEXT) | instid1(VALU_DEP_2)
	v_add_nc_u32_e32 v6, 1, v4
	v_add_nc_u32_e32 v4, -1, v5
	s_delay_alu instid0(VALU_DEP_2) | instskip(NEXT) | instid1(VALU_DEP_2)
	v_cndmask_b32_e64 v9, v6, v9, s12
	v_min_u32_e32 v4, v6, v4
	v_cndmask_b32_e64 v8, v8, v6, s12
	s_delay_alu instid0(VALU_DEP_2)
	v_lshl_add_u32 v4, v4, 3, v18
	ds_load_b64 v[4:5], v4
	s_waitcnt lgkmcnt(0)
	v_cndmask_b32_e64 v30, v5, v24, s12
	v_cndmask_b32_e64 v31, v4, v25, s12
	;; [unrolled: 1-line block ×4, first 2 shown]
	v_cmpx_lt_u32_e64 v9, v23
	s_cbranch_execz .LBB1488_686
; %bb.676:
	s_mov_b32 s3, 0
	s_mov_b32 s13, exec_lo
	v_cmpx_lt_u32_e64 v8, v22
	s_cbranch_execz .LBB1488_685
; %bb.677:
	s_and_not1_b32 vcc_lo, exec_lo, s16
	s_cbranch_vccnz .LBB1488_683
; %bb.678:
	v_mul_lo_u32 v10, v30, s8
	v_mul_lo_u32 v11, v31, s9
	v_mad_u64_u32 v[4:5], null, v31, s8, 0
	v_mul_lo_u32 v34, v32, s8
	v_mul_lo_u32 v35, v33, s9
	v_mad_u64_u32 v[6:7], null, v33, s8, 0
	s_mov_b32 s20, 0
	s_mov_b64 s[4:5], s[8:9]
	s_delay_alu instid0(VALU_DEP_4) | instskip(NEXT) | instid1(VALU_DEP_2)
	v_add3_u32 v5, v5, v11, v10
                                        ; implicit-def: $sgpr21
                                        ; implicit-def: $sgpr22
                                        ; implicit-def: $sgpr23
                                        ; implicit-def: $sgpr24
                                        ; implicit-def: $sgpr25
	v_add3_u32 v7, v7, v35, v34
	s_delay_alu instid0(VALU_DEP_2) | instskip(NEXT) | instid1(VALU_DEP_2)
	v_lshlrev_b64 v[4:5], 2, v[4:5]
	v_lshlrev_b64 v[6:7], 2, v[6:7]
	s_delay_alu instid0(VALU_DEP_2) | instskip(NEXT) | instid1(VALU_DEP_3)
	v_add_co_u32 v4, vcc_lo, s10, v4
	v_add_co_ci_u32_e32 v5, vcc_lo, s11, v5, vcc_lo
	s_delay_alu instid0(VALU_DEP_3) | instskip(NEXT) | instid1(VALU_DEP_4)
	v_add_co_u32 v6, vcc_lo, s10, v6
	v_add_co_ci_u32_e32 v7, vcc_lo, s11, v7, vcc_lo
	s_set_inst_prefetch_distance 0x1
	s_branch .LBB1488_680
	.p2align	6
.LBB1488_679:                           ;   in Loop: Header=BB1488_680 Depth=1
	s_or_b32 exec_lo, exec_lo, s3
	s_delay_alu instid0(SALU_CYCLE_1) | instskip(NEXT) | instid1(SALU_CYCLE_1)
	s_and_b32 s3, exec_lo, s22
	s_or_b32 s20, s3, s20
	s_and_not1_b32 s3, s25, exec_lo
	s_and_b32 s25, s24, exec_lo
	s_and_not1_b32 s21, s21, exec_lo
	s_and_b32 s26, s23, exec_lo
	s_or_b32 s25, s3, s25
	s_or_b32 s21, s21, s26
	s_and_not1_b32 exec_lo, exec_lo, s20
	s_cbranch_execz .LBB1488_682
.LBB1488_680:                           ; =>This Inner Loop Header: Depth=1
	global_load_b32 v10, v[4:5], off
	global_load_b32 v11, v[6:7], off
	s_and_not1_b32 s23, s23, exec_lo
	s_and_not1_b32 s24, s24, exec_lo
	s_or_b32 s22, s22, exec_lo
	s_waitcnt vmcnt(0)
	v_cmp_le_u32_e32 vcc_lo, v10, v11
	v_cmp_lt_u32_e64 s3, v10, v11
	s_and_b32 s26, vcc_lo, s25
	s_delay_alu instid0(VALU_DEP_1) | instid1(SALU_CYCLE_1)
	s_or_b32 s26, s3, s26
	s_delay_alu instid0(SALU_CYCLE_1) | instskip(NEXT) | instid1(SALU_CYCLE_1)
	s_and_b32 s3, s26, exec_lo
	s_or_b32 s23, s23, s3
	s_mov_b32 s3, exec_lo
	v_cmpx_eq_u32_e64 v10, v11
	s_cbranch_execz .LBB1488_679
; %bb.681:                              ;   in Loop: Header=BB1488_680 Depth=1
	s_add_u32 s4, s4, -1
	s_addc_u32 s5, s5, -1
	v_add_co_u32 v4, vcc_lo, v4, 4
	s_cmp_eq_u64 s[4:5], 0
	v_add_co_ci_u32_e32 v5, vcc_lo, 0, v5, vcc_lo
	v_add_co_u32 v6, vcc_lo, v6, 4
	s_cselect_b32 s25, -1, 0
	v_add_co_ci_u32_e32 v7, vcc_lo, 0, v7, vcc_lo
	s_and_not1_b32 s24, s24, exec_lo
	s_and_b32 s26, s26, exec_lo
	s_and_not1_b32 s22, s22, exec_lo
	s_and_b32 s25, s25, exec_lo
	s_or_b32 s24, s24, s26
	s_and_not1_b32 s23, s23, exec_lo
	s_or_b32 s22, s22, s25
                                        ; implicit-def: $sgpr25
	s_branch .LBB1488_679
.LBB1488_682:
	s_set_inst_prefetch_distance 0x2
	s_or_b32 exec_lo, exec_lo, s20
	s_xor_b32 s3, s21, -1
	s_branch .LBB1488_684
.LBB1488_683:
	s_mov_b32 s3, -1
.LBB1488_684:
	s_delay_alu instid0(SALU_CYCLE_1)
	s_and_b32 s3, s3, exec_lo
.LBB1488_685:
	s_or_b32 exec_lo, exec_lo, s13
	s_delay_alu instid0(SALU_CYCLE_1)
	s_or_not1_b32 s13, s3, exec_lo
.LBB1488_686:
	s_or_b32 exec_lo, exec_lo, s17
	v_cndmask_b32_e64 v4, v9, v8, s13
	v_cndmask_b32_e64 v5, v23, v22, s13
	s_mov_b32 s17, exec_lo
	s_delay_alu instid0(VALU_DEP_2) | instskip(NEXT) | instid1(VALU_DEP_2)
	v_add_nc_u32_e32 v10, 1, v4
	v_add_nc_u32_e32 v4, -1, v5
	s_delay_alu instid0(VALU_DEP_2) | instskip(NEXT) | instid1(VALU_DEP_2)
	v_cndmask_b32_e64 v9, v10, v9, s13
	v_min_u32_e32 v4, v10, v4
	s_delay_alu instid0(VALU_DEP_1)
	v_lshl_add_u32 v4, v4, 3, v18
	ds_load_b64 v[4:5], v4
	s_waitcnt lgkmcnt(0)
	v_cndmask_b32_e64 v7, v32, v5, s13
	v_cndmask_b32_e64 v6, v33, v4, s13
	v_cmpx_lt_u32_e64 v9, v23
	s_cbranch_execz .LBB1488_696
; %bb.687:
	v_cndmask_b32_e64 v8, v8, v10, s13
	v_cndmask_b32_e64 v5, v5, v30, s13
	;; [unrolled: 1-line block ×3, first 2 shown]
	s_mov_b32 s20, exec_lo
	s_delay_alu instid0(VALU_DEP_3)
	v_cmpx_lt_u32_e64 v8, v22
	s_cbranch_execz .LBB1488_695
; %bb.688:
	s_and_not1_b32 vcc_lo, exec_lo, s16
	s_cbranch_vccnz .LBB1488_694
; %bb.689:
	v_mul_lo_u32 v22, v5, s8
	v_mul_lo_u32 v23, v4, s9
	v_mad_u64_u32 v[8:9], null, v4, s8, 0
	v_mul_lo_u32 v34, v7, s8
	v_mul_lo_u32 v35, v6, s9
	v_mad_u64_u32 v[10:11], null, v6, s8, 0
	s_mov_b32 s21, 0
	s_mov_b64 s[4:5], s[8:9]
	s_delay_alu instid0(VALU_DEP_4) | instskip(NEXT) | instid1(VALU_DEP_2)
	v_add3_u32 v9, v9, v23, v22
                                        ; implicit-def: $sgpr22
                                        ; implicit-def: $sgpr23
                                        ; implicit-def: $sgpr24
                                        ; implicit-def: $sgpr25
                                        ; implicit-def: $sgpr26
	v_add3_u32 v11, v11, v35, v34
	s_delay_alu instid0(VALU_DEP_2) | instskip(NEXT) | instid1(VALU_DEP_2)
	v_lshlrev_b64 v[8:9], 2, v[8:9]
	v_lshlrev_b64 v[10:11], 2, v[10:11]
	s_delay_alu instid0(VALU_DEP_2) | instskip(NEXT) | instid1(VALU_DEP_3)
	v_add_co_u32 v8, vcc_lo, s10, v8
	v_add_co_ci_u32_e32 v9, vcc_lo, s11, v9, vcc_lo
	s_delay_alu instid0(VALU_DEP_3) | instskip(NEXT) | instid1(VALU_DEP_4)
	v_add_co_u32 v10, vcc_lo, s10, v10
	v_add_co_ci_u32_e32 v11, vcc_lo, s11, v11, vcc_lo
	s_set_inst_prefetch_distance 0x1
	s_branch .LBB1488_691
	.p2align	6
.LBB1488_690:                           ;   in Loop: Header=BB1488_691 Depth=1
	s_or_b32 exec_lo, exec_lo, s3
	s_delay_alu instid0(SALU_CYCLE_1) | instskip(NEXT) | instid1(SALU_CYCLE_1)
	s_and_b32 s3, exec_lo, s23
	s_or_b32 s21, s3, s21
	s_and_not1_b32 s3, s26, exec_lo
	s_and_b32 s26, s25, exec_lo
	s_and_not1_b32 s22, s22, exec_lo
	s_and_b32 s27, s24, exec_lo
	s_or_b32 s26, s3, s26
	s_or_b32 s22, s22, s27
	s_and_not1_b32 exec_lo, exec_lo, s21
	s_cbranch_execz .LBB1488_693
.LBB1488_691:                           ; =>This Inner Loop Header: Depth=1
	global_load_b32 v22, v[8:9], off
	global_load_b32 v23, v[10:11], off
	s_and_not1_b32 s24, s24, exec_lo
	s_and_not1_b32 s25, s25, exec_lo
	s_or_b32 s23, s23, exec_lo
	s_waitcnt vmcnt(0)
	v_cmp_le_u32_e32 vcc_lo, v22, v23
	v_cmp_lt_u32_e64 s3, v22, v23
	s_and_b32 s27, vcc_lo, s26
	s_delay_alu instid0(VALU_DEP_1) | instid1(SALU_CYCLE_1)
	s_or_b32 s27, s3, s27
	s_delay_alu instid0(SALU_CYCLE_1) | instskip(NEXT) | instid1(SALU_CYCLE_1)
	s_and_b32 s3, s27, exec_lo
	s_or_b32 s24, s24, s3
	s_mov_b32 s3, exec_lo
	v_cmpx_eq_u32_e64 v22, v23
	s_cbranch_execz .LBB1488_690
; %bb.692:                              ;   in Loop: Header=BB1488_691 Depth=1
	s_add_u32 s4, s4, -1
	s_addc_u32 s5, s5, -1
	v_add_co_u32 v8, vcc_lo, v8, 4
	s_cmp_eq_u64 s[4:5], 0
	v_add_co_ci_u32_e32 v9, vcc_lo, 0, v9, vcc_lo
	v_add_co_u32 v10, vcc_lo, v10, 4
	s_cselect_b32 s26, -1, 0
	v_add_co_ci_u32_e32 v11, vcc_lo, 0, v11, vcc_lo
	s_and_not1_b32 s25, s25, exec_lo
	s_and_b32 s27, s27, exec_lo
	s_and_not1_b32 s23, s23, exec_lo
	s_and_b32 s26, s26, exec_lo
	s_or_b32 s25, s25, s27
	s_and_not1_b32 s24, s24, exec_lo
	s_or_b32 s23, s23, s26
                                        ; implicit-def: $sgpr26
	s_branch .LBB1488_690
.LBB1488_693:
	s_set_inst_prefetch_distance 0x2
	s_or_b32 exec_lo, exec_lo, s21
	v_cndmask_b32_e64 v7, v7, v5, s22
	v_cndmask_b32_e64 v6, v6, v4, s22
.LBB1488_694:
	s_delay_alu instid0(VALU_DEP_1)
	v_dual_mov_b32 v4, v6 :: v_dual_mov_b32 v5, v7
.LBB1488_695:
	s_or_b32 exec_lo, exec_lo, s20
	s_delay_alu instid0(VALU_DEP_1)
	v_dual_mov_b32 v7, v5 :: v_dual_mov_b32 v6, v4
.LBB1488_696:
	s_or_b32 exec_lo, exec_lo, s17
	v_cndmask_b32_e64 v1, v3, v1, s7
	v_cndmask_b32_e64 v0, v2, v0, s7
	;; [unrolled: 1-line block ×6, first 2 shown]
.LBB1488_697:
	s_or_b32 exec_lo, exec_lo, s6
	v_and_b32_e32 v28, 0x60, v20
	v_and_b32_e32 v9, 28, v20
	s_mov_b32 s12, exec_lo
	; wave barrier
	s_delay_alu instid0(VALU_DEP_2) | instskip(NEXT) | instid1(VALU_DEP_2)
	v_or_b32_e32 v8, 16, v28
	v_min_u32_e32 v29, v19, v9
	v_lshl_add_u32 v25, v28, 3, v18
	ds_store_b128 v21, v[0:3]
	ds_store_b128 v21, v[4:7] offset:16
	v_min_u32_e32 v22, v19, v8
	; wave barrier
	s_delay_alu instid0(VALU_DEP_1) | instskip(SKIP_1) | instid1(VALU_DEP_2)
	v_add_nc_u32_e32 v8, 16, v22
	v_sub_nc_u32_e32 v9, v22, v28
	v_min_u32_e32 v23, v19, v8
	s_delay_alu instid0(VALU_DEP_2) | instskip(NEXT) | instid1(VALU_DEP_2)
	v_min_u32_e32 v30, v29, v9
	v_sub_nc_u32_e32 v8, v23, v22
	s_delay_alu instid0(VALU_DEP_1) | instskip(NEXT) | instid1(VALU_DEP_1)
	v_sub_nc_u32_e64 v24, v29, v8 clamp
	v_cmpx_lt_u32_e64 v24, v30
	s_cbranch_execz .LBB1488_707
; %bb.698:
	v_lshlrev_b32_e32 v8, 3, v22
	v_lshlrev_b32_e32 v9, 3, v29
	s_lshl_b64 s[4:5], s[8:9], 2
	s_mov_b32 s13, 0
	s_delay_alu instid0(VALU_DEP_1)
	v_add3_u32 v31, v18, v8, v9
	s_branch .LBB1488_701
.LBB1488_699:                           ;   in Loop: Header=BB1488_701 Depth=1
	s_set_inst_prefetch_distance 0x2
	s_or_b32 exec_lo, exec_lo, s17
.LBB1488_700:                           ;   in Loop: Header=BB1488_701 Depth=1
	s_delay_alu instid0(VALU_DEP_1) | instskip(SKIP_1) | instid1(VALU_DEP_2)
	v_add_nc_u32_e32 v8, 1, v32
	v_cndmask_b32_e64 v30, v30, v32, s20
	v_cndmask_b32_e64 v24, v8, v24, s20
	s_delay_alu instid0(VALU_DEP_1) | instskip(SKIP_1) | instid1(SALU_CYCLE_1)
	v_cmp_ge_u32_e32 vcc_lo, v24, v30
	s_or_b32 s13, vcc_lo, s13
	s_and_not1_b32 exec_lo, exec_lo, s13
	s_cbranch_execz .LBB1488_706
.LBB1488_701:                           ; =>This Loop Header: Depth=1
                                        ;     Child Loop BB1488_704 Depth 2
	v_add_nc_u32_e32 v8, v30, v24
	s_and_not1_b32 vcc_lo, exec_lo, s16
	s_mov_b32 s20, 0
	s_delay_alu instid0(VALU_DEP_1)
	v_lshrrev_b32_e32 v32, 1, v8
	s_cbranch_vccnz .LBB1488_700
; %bb.702:                              ;   in Loop: Header=BB1488_701 Depth=1
	s_delay_alu instid0(VALU_DEP_1) | instskip(SKIP_3) | instid1(VALU_DEP_2)
	v_not_b32_e32 v8, v32
	v_lshl_add_u32 v9, v32, 3, v25
	s_mov_b32 s17, 0
	s_mov_b64 s[6:7], s[8:9]
                                        ; implicit-def: $sgpr20
                                        ; implicit-def: $sgpr21
                                        ; implicit-def: $sgpr22
                                        ; implicit-def: $sgpr23
                                        ; implicit-def: $sgpr24
	v_lshl_add_u32 v8, v8, 3, v31
	ds_load_b64 v[10:11], v8
	ds_load_b64 v[33:34], v9
	s_waitcnt lgkmcnt(1)
	v_mul_lo_u32 v35, s4, v11
	v_mul_lo_u32 v36, s5, v10
	v_mad_u64_u32 v[8:9], null, s4, v10, s[10:11]
	s_waitcnt lgkmcnt(0)
	v_mul_lo_u32 v34, s4, v34
	v_mul_lo_u32 v37, s5, v33
	v_mad_u64_u32 v[10:11], null, s4, v33, s[10:11]
	s_delay_alu instid0(VALU_DEP_4) | instskip(NEXT) | instid1(VALU_DEP_2)
	v_add3_u32 v9, v36, v9, v35
	v_add3_u32 v11, v37, v11, v34
	s_set_inst_prefetch_distance 0x1
	s_branch .LBB1488_704
	.p2align	6
.LBB1488_703:                           ;   in Loop: Header=BB1488_704 Depth=2
	s_or_b32 exec_lo, exec_lo, s25
	s_delay_alu instid0(SALU_CYCLE_1) | instskip(NEXT) | instid1(SALU_CYCLE_1)
	s_and_b32 s3, exec_lo, s21
	s_or_b32 s17, s3, s17
	s_and_not1_b32 s3, s24, exec_lo
	s_and_b32 s24, s22, exec_lo
	s_and_not1_b32 s20, s20, exec_lo
	s_and_b32 s25, s23, exec_lo
	s_or_b32 s24, s3, s24
	s_or_b32 s20, s20, s25
	s_and_not1_b32 exec_lo, exec_lo, s17
	s_cbranch_execz .LBB1488_699
.LBB1488_704:                           ;   Parent Loop BB1488_701 Depth=1
                                        ; =>  This Inner Loop Header: Depth=2
	global_load_b32 v33, v[8:9], off
	global_load_b32 v34, v[10:11], off
	s_and_not1_b32 s23, s23, exec_lo
	s_and_not1_b32 s22, s22, exec_lo
	s_or_b32 s21, s21, exec_lo
	s_waitcnt vmcnt(0)
	v_cmp_le_u32_e32 vcc_lo, v33, v34
	v_cmp_lt_u32_e64 s3, v33, v34
	s_and_b32 s25, vcc_lo, s24
	s_delay_alu instid0(VALU_DEP_1) | instid1(SALU_CYCLE_1)
	s_or_b32 s3, s3, s25
	s_delay_alu instid0(SALU_CYCLE_1) | instskip(NEXT) | instid1(SALU_CYCLE_1)
	s_and_b32 s25, s3, exec_lo
	s_or_b32 s23, s23, s25
	s_mov_b32 s25, exec_lo
	v_cmpx_eq_u32_e64 v33, v34
	s_cbranch_execz .LBB1488_703
; %bb.705:                              ;   in Loop: Header=BB1488_704 Depth=2
	s_add_u32 s6, s6, -1
	s_addc_u32 s7, s7, -1
	v_add_co_u32 v8, vcc_lo, v8, 4
	v_add_co_ci_u32_e32 v9, vcc_lo, 0, v9, vcc_lo
	s_cmp_eq_u64 s[6:7], 0
	v_add_co_u32 v10, vcc_lo, v10, 4
	s_cselect_b32 s24, -1, 0
	v_add_co_ci_u32_e32 v11, vcc_lo, 0, v11, vcc_lo
	s_and_not1_b32 s22, s22, exec_lo
	s_and_b32 s3, s3, exec_lo
	s_and_not1_b32 s21, s21, exec_lo
	s_and_b32 s24, s24, exec_lo
	s_and_not1_b32 s23, s23, exec_lo
	s_or_b32 s22, s22, s3
	s_or_b32 s21, s21, s24
                                        ; implicit-def: $sgpr24
	s_branch .LBB1488_703
.LBB1488_706:
	s_or_b32 exec_lo, exec_lo, s13
.LBB1488_707:
	s_delay_alu instid0(SALU_CYCLE_1) | instskip(SKIP_2) | instid1(VALU_DEP_2)
	s_or_b32 exec_lo, exec_lo, s12
	v_add_nc_u32_e32 v9, v22, v29
	v_add_nc_u32_e32 v8, v24, v28
	v_sub_nc_u32_e32 v9, v9, v24
	s_delay_alu instid0(VALU_DEP_2) | instskip(NEXT) | instid1(VALU_DEP_2)
	v_cmp_le_u32_e32 vcc_lo, v8, v22
	v_cmp_le_u32_e64 s3, v9, v23
	s_delay_alu instid0(VALU_DEP_1) | instskip(NEXT) | instid1(SALU_CYCLE_1)
	s_or_b32 s3, vcc_lo, s3
	s_and_saveexec_b32 s6, s3
	s_cbranch_execz .LBB1488_754
; %bb.708:
	v_cmp_ge_u32_e32 vcc_lo, v8, v22
	s_mov_b32 s4, exec_lo
                                        ; implicit-def: $vgpr0_vgpr1
	v_cmpx_lt_u32_e64 v8, v22
	s_cbranch_execz .LBB1488_710
; %bb.709:
	v_lshl_add_u32 v0, v24, 3, v25
	ds_load_b64 v[0:1], v0
.LBB1488_710:
	s_or_b32 exec_lo, exec_lo, s4
	v_cmp_ge_u32_e64 s7, v9, v23
	s_mov_b32 s4, exec_lo
                                        ; implicit-def: $vgpr2_vgpr3
	v_cmpx_lt_u32_e64 v9, v23
	s_cbranch_execz .LBB1488_712
; %bb.711:
	v_lshl_add_u32 v2, v9, 3, v18
	ds_load_b64 v[2:3], v2
.LBB1488_712:
	s_or_b32 exec_lo, exec_lo, s4
	s_or_b32 s3, vcc_lo, s7
	s_mov_b32 s12, -1
	s_xor_b32 s3, s3, -1
	s_delay_alu instid0(SALU_CYCLE_1)
	s_and_saveexec_b32 s13, s3
	s_cbranch_execz .LBB1488_721
; %bb.713:
	s_and_not1_b32 vcc_lo, exec_lo, s16
	s_cbranch_vccnz .LBB1488_719
; %bb.714:
	s_waitcnt lgkmcnt(0)
	v_mul_lo_u32 v10, v3, s8
	v_mul_lo_u32 v11, v2, s9
	v_mad_u64_u32 v[4:5], null, v2, s8, 0
	v_mul_lo_u32 v24, v1, s8
	v_mul_lo_u32 v25, v0, s9
	v_mad_u64_u32 v[6:7], null, v0, s8, 0
	s_mov_b32 s17, 0
	s_mov_b64 s[4:5], s[8:9]
	s_delay_alu instid0(VALU_DEP_4) | instskip(NEXT) | instid1(VALU_DEP_2)
	v_add3_u32 v5, v5, v11, v10
                                        ; implicit-def: $sgpr20
                                        ; implicit-def: $sgpr21
                                        ; implicit-def: $sgpr22
                                        ; implicit-def: $sgpr23
                                        ; implicit-def: $sgpr24
	v_add3_u32 v7, v7, v25, v24
	s_delay_alu instid0(VALU_DEP_2) | instskip(NEXT) | instid1(VALU_DEP_2)
	v_lshlrev_b64 v[4:5], 2, v[4:5]
	v_lshlrev_b64 v[6:7], 2, v[6:7]
	s_delay_alu instid0(VALU_DEP_2) | instskip(NEXT) | instid1(VALU_DEP_3)
	v_add_co_u32 v4, vcc_lo, s10, v4
	v_add_co_ci_u32_e32 v5, vcc_lo, s11, v5, vcc_lo
	s_delay_alu instid0(VALU_DEP_3) | instskip(NEXT) | instid1(VALU_DEP_4)
	v_add_co_u32 v6, vcc_lo, s10, v6
	v_add_co_ci_u32_e32 v7, vcc_lo, s11, v7, vcc_lo
	s_set_inst_prefetch_distance 0x1
	s_branch .LBB1488_716
	.p2align	6
.LBB1488_715:                           ;   in Loop: Header=BB1488_716 Depth=1
	s_or_b32 exec_lo, exec_lo, s3
	s_delay_alu instid0(SALU_CYCLE_1) | instskip(NEXT) | instid1(SALU_CYCLE_1)
	s_and_b32 s3, exec_lo, s21
	s_or_b32 s17, s3, s17
	s_and_not1_b32 s3, s24, exec_lo
	s_and_b32 s24, s23, exec_lo
	s_and_not1_b32 s20, s20, exec_lo
	s_and_b32 s25, s22, exec_lo
	s_or_b32 s24, s3, s24
	s_or_b32 s20, s20, s25
	s_and_not1_b32 exec_lo, exec_lo, s17
	s_cbranch_execz .LBB1488_718
.LBB1488_716:                           ; =>This Inner Loop Header: Depth=1
	global_load_b32 v10, v[4:5], off
	global_load_b32 v11, v[6:7], off
	s_and_not1_b32 s22, s22, exec_lo
	s_and_not1_b32 s23, s23, exec_lo
	s_or_b32 s21, s21, exec_lo
	s_waitcnt vmcnt(0)
	v_cmp_le_u32_e32 vcc_lo, v10, v11
	v_cmp_lt_u32_e64 s3, v10, v11
	s_and_b32 s25, vcc_lo, s24
	s_delay_alu instid0(VALU_DEP_1) | instid1(SALU_CYCLE_1)
	s_or_b32 s25, s3, s25
	s_delay_alu instid0(SALU_CYCLE_1) | instskip(NEXT) | instid1(SALU_CYCLE_1)
	s_and_b32 s3, s25, exec_lo
	s_or_b32 s22, s22, s3
	s_mov_b32 s3, exec_lo
	v_cmpx_eq_u32_e64 v10, v11
	s_cbranch_execz .LBB1488_715
; %bb.717:                              ;   in Loop: Header=BB1488_716 Depth=1
	s_add_u32 s4, s4, -1
	s_addc_u32 s5, s5, -1
	v_add_co_u32 v4, vcc_lo, v4, 4
	s_cmp_eq_u64 s[4:5], 0
	v_add_co_ci_u32_e32 v5, vcc_lo, 0, v5, vcc_lo
	v_add_co_u32 v6, vcc_lo, v6, 4
	s_cselect_b32 s24, -1, 0
	v_add_co_ci_u32_e32 v7, vcc_lo, 0, v7, vcc_lo
	s_and_not1_b32 s23, s23, exec_lo
	s_and_b32 s25, s25, exec_lo
	s_and_not1_b32 s21, s21, exec_lo
	s_and_b32 s24, s24, exec_lo
	s_or_b32 s23, s23, s25
	s_and_not1_b32 s22, s22, exec_lo
	s_or_b32 s21, s21, s24
                                        ; implicit-def: $sgpr24
	s_branch .LBB1488_715
.LBB1488_718:
	s_set_inst_prefetch_distance 0x2
	s_or_b32 exec_lo, exec_lo, s17
	s_xor_b32 s3, s20, -1
	s_branch .LBB1488_720
.LBB1488_719:
	s_mov_b32 s3, -1
.LBB1488_720:
	s_and_not1_b32 s4, s7, exec_lo
	s_and_b32 s3, s3, exec_lo
	s_delay_alu instid0(SALU_CYCLE_1)
	s_or_b32 s7, s4, s3
.LBB1488_721:
	s_or_b32 exec_lo, exec_lo, s13
	v_cndmask_b32_e64 v4, v9, v8, s7
	v_cndmask_b32_e64 v5, v23, v22, s7
	s_mov_b32 s13, exec_lo
	s_delay_alu instid0(VALU_DEP_2) | instskip(NEXT) | instid1(VALU_DEP_2)
	v_add_nc_u32_e32 v6, 1, v4
	v_add_nc_u32_e32 v4, -1, v5
	s_delay_alu instid0(VALU_DEP_2) | instskip(NEXT) | instid1(VALU_DEP_2)
	v_cndmask_b32_e64 v9, v6, v9, s7
	v_min_u32_e32 v4, v6, v4
	v_cndmask_b32_e64 v8, v8, v6, s7
	s_delay_alu instid0(VALU_DEP_2)
	v_lshl_add_u32 v4, v4, 3, v18
	ds_load_b64 v[4:5], v4
	s_waitcnt lgkmcnt(0)
	v_cndmask_b32_e64 v24, v5, v3, s7
	v_cndmask_b32_e64 v25, v4, v2, s7
	v_cndmask_b32_e64 v28, v1, v5, s7
	v_cndmask_b32_e64 v29, v0, v4, s7
	v_cmpx_lt_u32_e64 v9, v23
	s_cbranch_execz .LBB1488_732
; %bb.722:
	s_mov_b32 s3, 0
	s_mov_b32 s12, exec_lo
	v_cmpx_lt_u32_e64 v8, v22
	s_cbranch_execz .LBB1488_731
; %bb.723:
	s_and_not1_b32 vcc_lo, exec_lo, s16
	s_cbranch_vccnz .LBB1488_729
; %bb.724:
	v_mul_lo_u32 v10, v24, s8
	v_mul_lo_u32 v11, v25, s9
	v_mad_u64_u32 v[4:5], null, v25, s8, 0
	v_mul_lo_u32 v30, v28, s8
	v_mul_lo_u32 v31, v29, s9
	v_mad_u64_u32 v[6:7], null, v29, s8, 0
	s_mov_b32 s17, 0
	s_mov_b64 s[4:5], s[8:9]
	s_delay_alu instid0(VALU_DEP_4) | instskip(NEXT) | instid1(VALU_DEP_2)
	v_add3_u32 v5, v5, v11, v10
                                        ; implicit-def: $sgpr20
                                        ; implicit-def: $sgpr21
                                        ; implicit-def: $sgpr22
                                        ; implicit-def: $sgpr23
                                        ; implicit-def: $sgpr24
	v_add3_u32 v7, v7, v31, v30
	s_delay_alu instid0(VALU_DEP_2) | instskip(NEXT) | instid1(VALU_DEP_2)
	v_lshlrev_b64 v[4:5], 2, v[4:5]
	v_lshlrev_b64 v[6:7], 2, v[6:7]
	s_delay_alu instid0(VALU_DEP_2) | instskip(NEXT) | instid1(VALU_DEP_3)
	v_add_co_u32 v4, vcc_lo, s10, v4
	v_add_co_ci_u32_e32 v5, vcc_lo, s11, v5, vcc_lo
	s_delay_alu instid0(VALU_DEP_3) | instskip(NEXT) | instid1(VALU_DEP_4)
	v_add_co_u32 v6, vcc_lo, s10, v6
	v_add_co_ci_u32_e32 v7, vcc_lo, s11, v7, vcc_lo
	s_set_inst_prefetch_distance 0x1
	s_branch .LBB1488_726
	.p2align	6
.LBB1488_725:                           ;   in Loop: Header=BB1488_726 Depth=1
	s_or_b32 exec_lo, exec_lo, s3
	s_delay_alu instid0(SALU_CYCLE_1) | instskip(NEXT) | instid1(SALU_CYCLE_1)
	s_and_b32 s3, exec_lo, s21
	s_or_b32 s17, s3, s17
	s_and_not1_b32 s3, s24, exec_lo
	s_and_b32 s24, s23, exec_lo
	s_and_not1_b32 s20, s20, exec_lo
	s_and_b32 s25, s22, exec_lo
	s_or_b32 s24, s3, s24
	s_or_b32 s20, s20, s25
	s_and_not1_b32 exec_lo, exec_lo, s17
	s_cbranch_execz .LBB1488_728
.LBB1488_726:                           ; =>This Inner Loop Header: Depth=1
	global_load_b32 v10, v[4:5], off
	global_load_b32 v11, v[6:7], off
	s_and_not1_b32 s22, s22, exec_lo
	s_and_not1_b32 s23, s23, exec_lo
	s_or_b32 s21, s21, exec_lo
	s_waitcnt vmcnt(0)
	v_cmp_le_u32_e32 vcc_lo, v10, v11
	v_cmp_lt_u32_e64 s3, v10, v11
	s_and_b32 s25, vcc_lo, s24
	s_delay_alu instid0(VALU_DEP_1) | instid1(SALU_CYCLE_1)
	s_or_b32 s25, s3, s25
	s_delay_alu instid0(SALU_CYCLE_1) | instskip(NEXT) | instid1(SALU_CYCLE_1)
	s_and_b32 s3, s25, exec_lo
	s_or_b32 s22, s22, s3
	s_mov_b32 s3, exec_lo
	v_cmpx_eq_u32_e64 v10, v11
	s_cbranch_execz .LBB1488_725
; %bb.727:                              ;   in Loop: Header=BB1488_726 Depth=1
	s_add_u32 s4, s4, -1
	s_addc_u32 s5, s5, -1
	v_add_co_u32 v4, vcc_lo, v4, 4
	s_cmp_eq_u64 s[4:5], 0
	v_add_co_ci_u32_e32 v5, vcc_lo, 0, v5, vcc_lo
	v_add_co_u32 v6, vcc_lo, v6, 4
	s_cselect_b32 s24, -1, 0
	v_add_co_ci_u32_e32 v7, vcc_lo, 0, v7, vcc_lo
	s_and_not1_b32 s23, s23, exec_lo
	s_and_b32 s25, s25, exec_lo
	s_and_not1_b32 s21, s21, exec_lo
	s_and_b32 s24, s24, exec_lo
	s_or_b32 s23, s23, s25
	s_and_not1_b32 s22, s22, exec_lo
	s_or_b32 s21, s21, s24
                                        ; implicit-def: $sgpr24
	s_branch .LBB1488_725
.LBB1488_728:
	s_set_inst_prefetch_distance 0x2
	s_or_b32 exec_lo, exec_lo, s17
	s_xor_b32 s3, s20, -1
	s_branch .LBB1488_730
.LBB1488_729:
	s_mov_b32 s3, -1
.LBB1488_730:
	s_delay_alu instid0(SALU_CYCLE_1)
	s_and_b32 s3, s3, exec_lo
.LBB1488_731:
	s_or_b32 exec_lo, exec_lo, s12
	s_delay_alu instid0(SALU_CYCLE_1)
	s_or_not1_b32 s12, s3, exec_lo
.LBB1488_732:
	s_or_b32 exec_lo, exec_lo, s13
	v_cndmask_b32_e64 v4, v9, v8, s12
	v_cndmask_b32_e64 v5, v23, v22, s12
	s_mov_b32 s13, -1
	s_mov_b32 s17, exec_lo
	s_delay_alu instid0(VALU_DEP_2) | instskip(NEXT) | instid1(VALU_DEP_2)
	v_add_nc_u32_e32 v6, 1, v4
	v_add_nc_u32_e32 v4, -1, v5
	s_delay_alu instid0(VALU_DEP_2) | instskip(NEXT) | instid1(VALU_DEP_2)
	v_cndmask_b32_e64 v9, v6, v9, s12
	v_min_u32_e32 v4, v6, v4
	v_cndmask_b32_e64 v8, v8, v6, s12
	s_delay_alu instid0(VALU_DEP_2)
	v_lshl_add_u32 v4, v4, 3, v18
	ds_load_b64 v[4:5], v4
	s_waitcnt lgkmcnt(0)
	v_cndmask_b32_e64 v30, v5, v24, s12
	v_cndmask_b32_e64 v31, v4, v25, s12
	;; [unrolled: 1-line block ×4, first 2 shown]
	v_cmpx_lt_u32_e64 v9, v23
	s_cbranch_execz .LBB1488_743
; %bb.733:
	s_mov_b32 s3, 0
	s_mov_b32 s13, exec_lo
	v_cmpx_lt_u32_e64 v8, v22
	s_cbranch_execz .LBB1488_742
; %bb.734:
	s_and_not1_b32 vcc_lo, exec_lo, s16
	s_cbranch_vccnz .LBB1488_740
; %bb.735:
	v_mul_lo_u32 v10, v30, s8
	v_mul_lo_u32 v11, v31, s9
	v_mad_u64_u32 v[4:5], null, v31, s8, 0
	v_mul_lo_u32 v34, v32, s8
	v_mul_lo_u32 v35, v33, s9
	v_mad_u64_u32 v[6:7], null, v33, s8, 0
	s_mov_b32 s20, 0
	s_mov_b64 s[4:5], s[8:9]
	s_delay_alu instid0(VALU_DEP_4) | instskip(NEXT) | instid1(VALU_DEP_2)
	v_add3_u32 v5, v5, v11, v10
                                        ; implicit-def: $sgpr21
                                        ; implicit-def: $sgpr22
                                        ; implicit-def: $sgpr23
                                        ; implicit-def: $sgpr24
                                        ; implicit-def: $sgpr25
	v_add3_u32 v7, v7, v35, v34
	s_delay_alu instid0(VALU_DEP_2) | instskip(NEXT) | instid1(VALU_DEP_2)
	v_lshlrev_b64 v[4:5], 2, v[4:5]
	v_lshlrev_b64 v[6:7], 2, v[6:7]
	s_delay_alu instid0(VALU_DEP_2) | instskip(NEXT) | instid1(VALU_DEP_3)
	v_add_co_u32 v4, vcc_lo, s10, v4
	v_add_co_ci_u32_e32 v5, vcc_lo, s11, v5, vcc_lo
	s_delay_alu instid0(VALU_DEP_3) | instskip(NEXT) | instid1(VALU_DEP_4)
	v_add_co_u32 v6, vcc_lo, s10, v6
	v_add_co_ci_u32_e32 v7, vcc_lo, s11, v7, vcc_lo
	s_set_inst_prefetch_distance 0x1
	s_branch .LBB1488_737
	.p2align	6
.LBB1488_736:                           ;   in Loop: Header=BB1488_737 Depth=1
	s_or_b32 exec_lo, exec_lo, s3
	s_delay_alu instid0(SALU_CYCLE_1) | instskip(NEXT) | instid1(SALU_CYCLE_1)
	s_and_b32 s3, exec_lo, s22
	s_or_b32 s20, s3, s20
	s_and_not1_b32 s3, s25, exec_lo
	s_and_b32 s25, s24, exec_lo
	s_and_not1_b32 s21, s21, exec_lo
	s_and_b32 s26, s23, exec_lo
	s_or_b32 s25, s3, s25
	s_or_b32 s21, s21, s26
	s_and_not1_b32 exec_lo, exec_lo, s20
	s_cbranch_execz .LBB1488_739
.LBB1488_737:                           ; =>This Inner Loop Header: Depth=1
	global_load_b32 v10, v[4:5], off
	global_load_b32 v11, v[6:7], off
	s_and_not1_b32 s23, s23, exec_lo
	s_and_not1_b32 s24, s24, exec_lo
	s_or_b32 s22, s22, exec_lo
	s_waitcnt vmcnt(0)
	v_cmp_le_u32_e32 vcc_lo, v10, v11
	v_cmp_lt_u32_e64 s3, v10, v11
	s_and_b32 s26, vcc_lo, s25
	s_delay_alu instid0(VALU_DEP_1) | instid1(SALU_CYCLE_1)
	s_or_b32 s26, s3, s26
	s_delay_alu instid0(SALU_CYCLE_1) | instskip(NEXT) | instid1(SALU_CYCLE_1)
	s_and_b32 s3, s26, exec_lo
	s_or_b32 s23, s23, s3
	s_mov_b32 s3, exec_lo
	v_cmpx_eq_u32_e64 v10, v11
	s_cbranch_execz .LBB1488_736
; %bb.738:                              ;   in Loop: Header=BB1488_737 Depth=1
	s_add_u32 s4, s4, -1
	s_addc_u32 s5, s5, -1
	v_add_co_u32 v4, vcc_lo, v4, 4
	s_cmp_eq_u64 s[4:5], 0
	v_add_co_ci_u32_e32 v5, vcc_lo, 0, v5, vcc_lo
	v_add_co_u32 v6, vcc_lo, v6, 4
	s_cselect_b32 s25, -1, 0
	v_add_co_ci_u32_e32 v7, vcc_lo, 0, v7, vcc_lo
	s_and_not1_b32 s24, s24, exec_lo
	s_and_b32 s26, s26, exec_lo
	s_and_not1_b32 s22, s22, exec_lo
	s_and_b32 s25, s25, exec_lo
	s_or_b32 s24, s24, s26
	s_and_not1_b32 s23, s23, exec_lo
	s_or_b32 s22, s22, s25
                                        ; implicit-def: $sgpr25
	s_branch .LBB1488_736
.LBB1488_739:
	s_set_inst_prefetch_distance 0x2
	s_or_b32 exec_lo, exec_lo, s20
	s_xor_b32 s3, s21, -1
	s_branch .LBB1488_741
.LBB1488_740:
	s_mov_b32 s3, -1
.LBB1488_741:
	s_delay_alu instid0(SALU_CYCLE_1)
	s_and_b32 s3, s3, exec_lo
.LBB1488_742:
	s_or_b32 exec_lo, exec_lo, s13
	s_delay_alu instid0(SALU_CYCLE_1)
	s_or_not1_b32 s13, s3, exec_lo
.LBB1488_743:
	s_or_b32 exec_lo, exec_lo, s17
	v_cndmask_b32_e64 v4, v9, v8, s13
	v_cndmask_b32_e64 v5, v23, v22, s13
	s_mov_b32 s17, exec_lo
	s_delay_alu instid0(VALU_DEP_2) | instskip(NEXT) | instid1(VALU_DEP_2)
	v_add_nc_u32_e32 v10, 1, v4
	v_add_nc_u32_e32 v4, -1, v5
	s_delay_alu instid0(VALU_DEP_2) | instskip(NEXT) | instid1(VALU_DEP_2)
	v_cndmask_b32_e64 v9, v10, v9, s13
	v_min_u32_e32 v4, v10, v4
	s_delay_alu instid0(VALU_DEP_1)
	v_lshl_add_u32 v4, v4, 3, v18
	ds_load_b64 v[4:5], v4
	s_waitcnt lgkmcnt(0)
	v_cndmask_b32_e64 v7, v32, v5, s13
	v_cndmask_b32_e64 v6, v33, v4, s13
	v_cmpx_lt_u32_e64 v9, v23
	s_cbranch_execz .LBB1488_753
; %bb.744:
	v_cndmask_b32_e64 v8, v8, v10, s13
	v_cndmask_b32_e64 v5, v5, v30, s13
	;; [unrolled: 1-line block ×3, first 2 shown]
	s_mov_b32 s20, exec_lo
	s_delay_alu instid0(VALU_DEP_3)
	v_cmpx_lt_u32_e64 v8, v22
	s_cbranch_execz .LBB1488_752
; %bb.745:
	s_and_not1_b32 vcc_lo, exec_lo, s16
	s_cbranch_vccnz .LBB1488_751
; %bb.746:
	v_mul_lo_u32 v22, v5, s8
	v_mul_lo_u32 v23, v4, s9
	v_mad_u64_u32 v[8:9], null, v4, s8, 0
	v_mul_lo_u32 v34, v7, s8
	v_mul_lo_u32 v35, v6, s9
	v_mad_u64_u32 v[10:11], null, v6, s8, 0
	s_mov_b32 s21, 0
	s_mov_b64 s[4:5], s[8:9]
	s_delay_alu instid0(VALU_DEP_4) | instskip(NEXT) | instid1(VALU_DEP_2)
	v_add3_u32 v9, v9, v23, v22
                                        ; implicit-def: $sgpr22
                                        ; implicit-def: $sgpr23
                                        ; implicit-def: $sgpr24
                                        ; implicit-def: $sgpr25
                                        ; implicit-def: $sgpr26
	v_add3_u32 v11, v11, v35, v34
	s_delay_alu instid0(VALU_DEP_2) | instskip(NEXT) | instid1(VALU_DEP_2)
	v_lshlrev_b64 v[8:9], 2, v[8:9]
	v_lshlrev_b64 v[10:11], 2, v[10:11]
	s_delay_alu instid0(VALU_DEP_2) | instskip(NEXT) | instid1(VALU_DEP_3)
	v_add_co_u32 v8, vcc_lo, s10, v8
	v_add_co_ci_u32_e32 v9, vcc_lo, s11, v9, vcc_lo
	s_delay_alu instid0(VALU_DEP_3) | instskip(NEXT) | instid1(VALU_DEP_4)
	v_add_co_u32 v10, vcc_lo, s10, v10
	v_add_co_ci_u32_e32 v11, vcc_lo, s11, v11, vcc_lo
	s_set_inst_prefetch_distance 0x1
	s_branch .LBB1488_748
	.p2align	6
.LBB1488_747:                           ;   in Loop: Header=BB1488_748 Depth=1
	s_or_b32 exec_lo, exec_lo, s3
	s_delay_alu instid0(SALU_CYCLE_1) | instskip(NEXT) | instid1(SALU_CYCLE_1)
	s_and_b32 s3, exec_lo, s23
	s_or_b32 s21, s3, s21
	s_and_not1_b32 s3, s26, exec_lo
	s_and_b32 s26, s25, exec_lo
	s_and_not1_b32 s22, s22, exec_lo
	s_and_b32 s27, s24, exec_lo
	s_or_b32 s26, s3, s26
	s_or_b32 s22, s22, s27
	s_and_not1_b32 exec_lo, exec_lo, s21
	s_cbranch_execz .LBB1488_750
.LBB1488_748:                           ; =>This Inner Loop Header: Depth=1
	global_load_b32 v22, v[8:9], off
	global_load_b32 v23, v[10:11], off
	s_and_not1_b32 s24, s24, exec_lo
	s_and_not1_b32 s25, s25, exec_lo
	s_or_b32 s23, s23, exec_lo
	s_waitcnt vmcnt(0)
	v_cmp_le_u32_e32 vcc_lo, v22, v23
	v_cmp_lt_u32_e64 s3, v22, v23
	s_and_b32 s27, vcc_lo, s26
	s_delay_alu instid0(VALU_DEP_1) | instid1(SALU_CYCLE_1)
	s_or_b32 s27, s3, s27
	s_delay_alu instid0(SALU_CYCLE_1) | instskip(NEXT) | instid1(SALU_CYCLE_1)
	s_and_b32 s3, s27, exec_lo
	s_or_b32 s24, s24, s3
	s_mov_b32 s3, exec_lo
	v_cmpx_eq_u32_e64 v22, v23
	s_cbranch_execz .LBB1488_747
; %bb.749:                              ;   in Loop: Header=BB1488_748 Depth=1
	s_add_u32 s4, s4, -1
	s_addc_u32 s5, s5, -1
	v_add_co_u32 v8, vcc_lo, v8, 4
	s_cmp_eq_u64 s[4:5], 0
	v_add_co_ci_u32_e32 v9, vcc_lo, 0, v9, vcc_lo
	v_add_co_u32 v10, vcc_lo, v10, 4
	s_cselect_b32 s26, -1, 0
	v_add_co_ci_u32_e32 v11, vcc_lo, 0, v11, vcc_lo
	s_and_not1_b32 s25, s25, exec_lo
	s_and_b32 s27, s27, exec_lo
	s_and_not1_b32 s23, s23, exec_lo
	s_and_b32 s26, s26, exec_lo
	s_or_b32 s25, s25, s27
	s_and_not1_b32 s24, s24, exec_lo
	s_or_b32 s23, s23, s26
                                        ; implicit-def: $sgpr26
	s_branch .LBB1488_747
.LBB1488_750:
	s_set_inst_prefetch_distance 0x2
	s_or_b32 exec_lo, exec_lo, s21
	v_cndmask_b32_e64 v7, v7, v5, s22
	v_cndmask_b32_e64 v6, v6, v4, s22
.LBB1488_751:
	s_delay_alu instid0(VALU_DEP_1)
	v_dual_mov_b32 v4, v6 :: v_dual_mov_b32 v5, v7
.LBB1488_752:
	s_or_b32 exec_lo, exec_lo, s20
	s_delay_alu instid0(VALU_DEP_1)
	v_dual_mov_b32 v7, v5 :: v_dual_mov_b32 v6, v4
.LBB1488_753:
	s_or_b32 exec_lo, exec_lo, s17
	v_cndmask_b32_e64 v1, v3, v1, s7
	v_cndmask_b32_e64 v0, v2, v0, s7
	v_cndmask_b32_e64 v3, v24, v28, s12
	v_cndmask_b32_e64 v2, v25, v29, s12
	v_cndmask_b32_e64 v5, v30, v32, s13
	v_cndmask_b32_e64 v4, v31, v33, s13
.LBB1488_754:
	s_or_b32 exec_lo, exec_lo, s6
	v_and_b32_e32 v24, 64, v20
	v_and_b32_e32 v9, 60, v20
	s_mov_b32 s12, exec_lo
	; wave barrier
	s_delay_alu instid0(VALU_DEP_2) | instskip(NEXT) | instid1(VALU_DEP_2)
	v_or_b32_e32 v8, 32, v24
	v_min_u32_e32 v25, v19, v9
	v_lshl_add_u32 v23, v24, 3, v18
	ds_store_b128 v21, v[0:3]
	ds_store_b128 v21, v[4:7] offset:16
	v_min_u32_e32 v22, v19, v8
	; wave barrier
	s_delay_alu instid0(VALU_DEP_1) | instskip(SKIP_1) | instid1(VALU_DEP_2)
	v_add_nc_u32_e32 v8, 32, v22
	v_sub_nc_u32_e32 v9, v22, v24
	v_min_u32_e32 v20, v19, v8
	s_delay_alu instid0(VALU_DEP_2) | instskip(NEXT) | instid1(VALU_DEP_2)
	v_min_u32_e32 v28, v25, v9
	v_sub_nc_u32_e32 v8, v20, v22
	s_delay_alu instid0(VALU_DEP_1) | instskip(NEXT) | instid1(VALU_DEP_1)
	v_sub_nc_u32_e64 v19, v25, v8 clamp
	v_cmpx_lt_u32_e64 v19, v28
	s_cbranch_execz .LBB1488_764
; %bb.755:
	v_lshlrev_b32_e32 v8, 3, v22
	v_lshlrev_b32_e32 v9, 3, v25
	s_lshl_b64 s[4:5], s[8:9], 2
	s_mov_b32 s13, 0
	s_delay_alu instid0(VALU_DEP_1)
	v_add3_u32 v21, v18, v8, v9
	s_branch .LBB1488_758
.LBB1488_756:                           ;   in Loop: Header=BB1488_758 Depth=1
	s_set_inst_prefetch_distance 0x2
	s_or_b32 exec_lo, exec_lo, s17
.LBB1488_757:                           ;   in Loop: Header=BB1488_758 Depth=1
	s_delay_alu instid0(VALU_DEP_1) | instskip(SKIP_1) | instid1(VALU_DEP_2)
	v_add_nc_u32_e32 v8, 1, v29
	v_cndmask_b32_e64 v28, v28, v29, s20
	v_cndmask_b32_e64 v19, v8, v19, s20
	s_delay_alu instid0(VALU_DEP_1) | instskip(SKIP_1) | instid1(SALU_CYCLE_1)
	v_cmp_ge_u32_e32 vcc_lo, v19, v28
	s_or_b32 s13, vcc_lo, s13
	s_and_not1_b32 exec_lo, exec_lo, s13
	s_cbranch_execz .LBB1488_763
.LBB1488_758:                           ; =>This Loop Header: Depth=1
                                        ;     Child Loop BB1488_761 Depth 2
	v_add_nc_u32_e32 v8, v28, v19
	s_and_not1_b32 vcc_lo, exec_lo, s16
	s_mov_b32 s20, 0
	s_delay_alu instid0(VALU_DEP_1)
	v_lshrrev_b32_e32 v29, 1, v8
	s_cbranch_vccnz .LBB1488_757
; %bb.759:                              ;   in Loop: Header=BB1488_758 Depth=1
	s_delay_alu instid0(VALU_DEP_1) | instskip(SKIP_3) | instid1(VALU_DEP_2)
	v_not_b32_e32 v8, v29
	v_lshl_add_u32 v9, v29, 3, v23
	s_mov_b32 s17, 0
	s_mov_b64 s[6:7], s[8:9]
                                        ; implicit-def: $sgpr20
                                        ; implicit-def: $sgpr21
                                        ; implicit-def: $sgpr22
                                        ; implicit-def: $sgpr23
                                        ; implicit-def: $sgpr24
	v_lshl_add_u32 v8, v8, 3, v21
	ds_load_b64 v[10:11], v8
	ds_load_b64 v[30:31], v9
	s_waitcnt lgkmcnt(1)
	v_mul_lo_u32 v32, s4, v11
	v_mul_lo_u32 v33, s5, v10
	v_mad_u64_u32 v[8:9], null, s4, v10, s[10:11]
	s_waitcnt lgkmcnt(0)
	v_mul_lo_u32 v31, s4, v31
	v_mul_lo_u32 v34, s5, v30
	v_mad_u64_u32 v[10:11], null, s4, v30, s[10:11]
	s_delay_alu instid0(VALU_DEP_4) | instskip(NEXT) | instid1(VALU_DEP_2)
	v_add3_u32 v9, v33, v9, v32
	v_add3_u32 v11, v34, v11, v31
	s_set_inst_prefetch_distance 0x1
	s_branch .LBB1488_761
	.p2align	6
.LBB1488_760:                           ;   in Loop: Header=BB1488_761 Depth=2
	s_or_b32 exec_lo, exec_lo, s25
	s_delay_alu instid0(SALU_CYCLE_1) | instskip(NEXT) | instid1(SALU_CYCLE_1)
	s_and_b32 s3, exec_lo, s21
	s_or_b32 s17, s3, s17
	s_and_not1_b32 s3, s24, exec_lo
	s_and_b32 s24, s22, exec_lo
	s_and_not1_b32 s20, s20, exec_lo
	s_and_b32 s25, s23, exec_lo
	s_or_b32 s24, s3, s24
	s_or_b32 s20, s20, s25
	s_and_not1_b32 exec_lo, exec_lo, s17
	s_cbranch_execz .LBB1488_756
.LBB1488_761:                           ;   Parent Loop BB1488_758 Depth=1
                                        ; =>  This Inner Loop Header: Depth=2
	global_load_b32 v30, v[8:9], off
	global_load_b32 v31, v[10:11], off
	s_and_not1_b32 s23, s23, exec_lo
	s_and_not1_b32 s22, s22, exec_lo
	s_or_b32 s21, s21, exec_lo
	s_waitcnt vmcnt(0)
	v_cmp_le_u32_e32 vcc_lo, v30, v31
	v_cmp_lt_u32_e64 s3, v30, v31
	s_and_b32 s25, vcc_lo, s24
	s_delay_alu instid0(VALU_DEP_1) | instid1(SALU_CYCLE_1)
	s_or_b32 s3, s3, s25
	s_delay_alu instid0(SALU_CYCLE_1) | instskip(NEXT) | instid1(SALU_CYCLE_1)
	s_and_b32 s25, s3, exec_lo
	s_or_b32 s23, s23, s25
	s_mov_b32 s25, exec_lo
	v_cmpx_eq_u32_e64 v30, v31
	s_cbranch_execz .LBB1488_760
; %bb.762:                              ;   in Loop: Header=BB1488_761 Depth=2
	s_add_u32 s6, s6, -1
	s_addc_u32 s7, s7, -1
	v_add_co_u32 v8, vcc_lo, v8, 4
	v_add_co_ci_u32_e32 v9, vcc_lo, 0, v9, vcc_lo
	s_cmp_eq_u64 s[6:7], 0
	v_add_co_u32 v10, vcc_lo, v10, 4
	s_cselect_b32 s24, -1, 0
	v_add_co_ci_u32_e32 v11, vcc_lo, 0, v11, vcc_lo
	s_and_not1_b32 s22, s22, exec_lo
	s_and_b32 s3, s3, exec_lo
	s_and_not1_b32 s21, s21, exec_lo
	s_and_b32 s24, s24, exec_lo
	s_and_not1_b32 s23, s23, exec_lo
	s_or_b32 s22, s22, s3
	s_or_b32 s21, s21, s24
                                        ; implicit-def: $sgpr24
	s_branch .LBB1488_760
.LBB1488_763:
	s_or_b32 exec_lo, exec_lo, s13
.LBB1488_764:
	s_delay_alu instid0(SALU_CYCLE_1) | instskip(SKIP_2) | instid1(VALU_DEP_2)
	s_or_b32 exec_lo, exec_lo, s12
	v_add_nc_u32_e32 v9, v22, v25
	v_add_nc_u32_e32 v8, v19, v24
	v_sub_nc_u32_e32 v9, v9, v19
	s_delay_alu instid0(VALU_DEP_2) | instskip(NEXT) | instid1(VALU_DEP_2)
	v_cmp_le_u32_e32 vcc_lo, v8, v22
	v_cmp_le_u32_e64 s3, v9, v20
	s_delay_alu instid0(VALU_DEP_1) | instskip(NEXT) | instid1(SALU_CYCLE_1)
	s_or_b32 s3, vcc_lo, s3
	s_and_saveexec_b32 s6, s3
	s_cbranch_execz .LBB1488_811
; %bb.765:
	v_cmp_ge_u32_e32 vcc_lo, v8, v22
	s_mov_b32 s4, exec_lo
                                        ; implicit-def: $vgpr0_vgpr1
	v_cmpx_lt_u32_e64 v8, v22
	s_cbranch_execz .LBB1488_767
; %bb.766:
	v_lshl_add_u32 v0, v19, 3, v23
	ds_load_b64 v[0:1], v0
.LBB1488_767:
	s_or_b32 exec_lo, exec_lo, s4
	v_cmp_ge_u32_e64 s7, v9, v20
	s_mov_b32 s4, exec_lo
                                        ; implicit-def: $vgpr2_vgpr3
	v_cmpx_lt_u32_e64 v9, v20
	s_cbranch_execz .LBB1488_769
; %bb.768:
	v_lshl_add_u32 v2, v9, 3, v18
	ds_load_b64 v[2:3], v2
.LBB1488_769:
	s_or_b32 exec_lo, exec_lo, s4
	s_or_b32 s3, vcc_lo, s7
	s_mov_b32 s12, -1
	s_xor_b32 s3, s3, -1
	s_delay_alu instid0(SALU_CYCLE_1)
	s_and_saveexec_b32 s13, s3
	s_cbranch_execz .LBB1488_778
; %bb.770:
	s_and_not1_b32 vcc_lo, exec_lo, s16
	s_cbranch_vccnz .LBB1488_776
; %bb.771:
	s_waitcnt lgkmcnt(0)
	v_mul_lo_u32 v10, v3, s8
	v_mul_lo_u32 v11, v2, s9
	v_mad_u64_u32 v[4:5], null, v2, s8, 0
	v_mul_lo_u32 v19, v1, s8
	v_mul_lo_u32 v21, v0, s9
	v_mad_u64_u32 v[6:7], null, v0, s8, 0
	s_mov_b32 s17, 0
	s_mov_b64 s[4:5], s[8:9]
	s_delay_alu instid0(VALU_DEP_4) | instskip(NEXT) | instid1(VALU_DEP_2)
	v_add3_u32 v5, v5, v11, v10
                                        ; implicit-def: $sgpr20
                                        ; implicit-def: $sgpr21
                                        ; implicit-def: $sgpr22
                                        ; implicit-def: $sgpr23
                                        ; implicit-def: $sgpr24
	v_add3_u32 v7, v7, v21, v19
	s_delay_alu instid0(VALU_DEP_2) | instskip(NEXT) | instid1(VALU_DEP_2)
	v_lshlrev_b64 v[4:5], 2, v[4:5]
	v_lshlrev_b64 v[6:7], 2, v[6:7]
	s_delay_alu instid0(VALU_DEP_2) | instskip(NEXT) | instid1(VALU_DEP_3)
	v_add_co_u32 v4, vcc_lo, s10, v4
	v_add_co_ci_u32_e32 v5, vcc_lo, s11, v5, vcc_lo
	s_delay_alu instid0(VALU_DEP_3) | instskip(NEXT) | instid1(VALU_DEP_4)
	v_add_co_u32 v6, vcc_lo, s10, v6
	v_add_co_ci_u32_e32 v7, vcc_lo, s11, v7, vcc_lo
	s_set_inst_prefetch_distance 0x1
	s_branch .LBB1488_773
	.p2align	6
.LBB1488_772:                           ;   in Loop: Header=BB1488_773 Depth=1
	s_or_b32 exec_lo, exec_lo, s3
	s_delay_alu instid0(SALU_CYCLE_1) | instskip(NEXT) | instid1(SALU_CYCLE_1)
	s_and_b32 s3, exec_lo, s21
	s_or_b32 s17, s3, s17
	s_and_not1_b32 s3, s24, exec_lo
	s_and_b32 s24, s23, exec_lo
	s_and_not1_b32 s20, s20, exec_lo
	s_and_b32 s25, s22, exec_lo
	s_or_b32 s24, s3, s24
	s_or_b32 s20, s20, s25
	s_and_not1_b32 exec_lo, exec_lo, s17
	s_cbranch_execz .LBB1488_775
.LBB1488_773:                           ; =>This Inner Loop Header: Depth=1
	global_load_b32 v10, v[4:5], off
	global_load_b32 v11, v[6:7], off
	s_and_not1_b32 s22, s22, exec_lo
	s_and_not1_b32 s23, s23, exec_lo
	s_or_b32 s21, s21, exec_lo
	s_waitcnt vmcnt(0)
	v_cmp_le_u32_e32 vcc_lo, v10, v11
	v_cmp_lt_u32_e64 s3, v10, v11
	s_and_b32 s25, vcc_lo, s24
	s_delay_alu instid0(VALU_DEP_1) | instid1(SALU_CYCLE_1)
	s_or_b32 s25, s3, s25
	s_delay_alu instid0(SALU_CYCLE_1) | instskip(NEXT) | instid1(SALU_CYCLE_1)
	s_and_b32 s3, s25, exec_lo
	s_or_b32 s22, s22, s3
	s_mov_b32 s3, exec_lo
	v_cmpx_eq_u32_e64 v10, v11
	s_cbranch_execz .LBB1488_772
; %bb.774:                              ;   in Loop: Header=BB1488_773 Depth=1
	s_add_u32 s4, s4, -1
	s_addc_u32 s5, s5, -1
	v_add_co_u32 v4, vcc_lo, v4, 4
	s_cmp_eq_u64 s[4:5], 0
	v_add_co_ci_u32_e32 v5, vcc_lo, 0, v5, vcc_lo
	v_add_co_u32 v6, vcc_lo, v6, 4
	s_cselect_b32 s24, -1, 0
	v_add_co_ci_u32_e32 v7, vcc_lo, 0, v7, vcc_lo
	s_and_not1_b32 s23, s23, exec_lo
	s_and_b32 s25, s25, exec_lo
	s_and_not1_b32 s21, s21, exec_lo
	s_and_b32 s24, s24, exec_lo
	s_or_b32 s23, s23, s25
	s_and_not1_b32 s22, s22, exec_lo
	s_or_b32 s21, s21, s24
                                        ; implicit-def: $sgpr24
	s_branch .LBB1488_772
.LBB1488_775:
	s_set_inst_prefetch_distance 0x2
	s_or_b32 exec_lo, exec_lo, s17
	s_xor_b32 s3, s20, -1
	s_branch .LBB1488_777
.LBB1488_776:
	s_mov_b32 s3, -1
.LBB1488_777:
	s_and_not1_b32 s4, s7, exec_lo
	s_and_b32 s3, s3, exec_lo
	s_delay_alu instid0(SALU_CYCLE_1)
	s_or_b32 s7, s4, s3
.LBB1488_778:
	s_or_b32 exec_lo, exec_lo, s13
	v_cndmask_b32_e64 v4, v9, v8, s7
	v_cndmask_b32_e64 v5, v20, v22, s7
	s_mov_b32 s13, exec_lo
	s_delay_alu instid0(VALU_DEP_2) | instskip(NEXT) | instid1(VALU_DEP_2)
	v_add_nc_u32_e32 v6, 1, v4
	v_add_nc_u32_e32 v4, -1, v5
	s_delay_alu instid0(VALU_DEP_2) | instskip(NEXT) | instid1(VALU_DEP_2)
	v_cndmask_b32_e64 v9, v6, v9, s7
	v_min_u32_e32 v4, v6, v4
	v_cndmask_b32_e64 v8, v8, v6, s7
	s_delay_alu instid0(VALU_DEP_2)
	v_lshl_add_u32 v4, v4, 3, v18
	ds_load_b64 v[4:5], v4
	s_waitcnt lgkmcnt(0)
	v_cndmask_b32_e64 v19, v5, v3, s7
	v_cndmask_b32_e64 v21, v4, v2, s7
	;; [unrolled: 1-line block ×4, first 2 shown]
	v_cmpx_lt_u32_e64 v9, v20
	s_cbranch_execz .LBB1488_789
; %bb.779:
	s_mov_b32 s3, 0
	s_mov_b32 s12, exec_lo
	v_cmpx_lt_u32_e64 v8, v22
	s_cbranch_execz .LBB1488_788
; %bb.780:
	s_and_not1_b32 vcc_lo, exec_lo, s16
	s_cbranch_vccnz .LBB1488_786
; %bb.781:
	v_mul_lo_u32 v10, v19, s8
	v_mul_lo_u32 v11, v21, s9
	v_mad_u64_u32 v[4:5], null, v21, s8, 0
	v_mul_lo_u32 v25, v23, s8
	v_mul_lo_u32 v28, v24, s9
	v_mad_u64_u32 v[6:7], null, v24, s8, 0
	s_mov_b32 s17, 0
	s_mov_b64 s[4:5], s[8:9]
	s_delay_alu instid0(VALU_DEP_4) | instskip(NEXT) | instid1(VALU_DEP_2)
	v_add3_u32 v5, v5, v11, v10
                                        ; implicit-def: $sgpr20
                                        ; implicit-def: $sgpr21
                                        ; implicit-def: $sgpr22
                                        ; implicit-def: $sgpr23
                                        ; implicit-def: $sgpr24
	v_add3_u32 v7, v7, v28, v25
	s_delay_alu instid0(VALU_DEP_2) | instskip(NEXT) | instid1(VALU_DEP_2)
	v_lshlrev_b64 v[4:5], 2, v[4:5]
	v_lshlrev_b64 v[6:7], 2, v[6:7]
	s_delay_alu instid0(VALU_DEP_2) | instskip(NEXT) | instid1(VALU_DEP_3)
	v_add_co_u32 v4, vcc_lo, s10, v4
	v_add_co_ci_u32_e32 v5, vcc_lo, s11, v5, vcc_lo
	s_delay_alu instid0(VALU_DEP_3) | instskip(NEXT) | instid1(VALU_DEP_4)
	v_add_co_u32 v6, vcc_lo, s10, v6
	v_add_co_ci_u32_e32 v7, vcc_lo, s11, v7, vcc_lo
	s_set_inst_prefetch_distance 0x1
	s_branch .LBB1488_783
	.p2align	6
.LBB1488_782:                           ;   in Loop: Header=BB1488_783 Depth=1
	s_or_b32 exec_lo, exec_lo, s3
	s_delay_alu instid0(SALU_CYCLE_1) | instskip(NEXT) | instid1(SALU_CYCLE_1)
	s_and_b32 s3, exec_lo, s21
	s_or_b32 s17, s3, s17
	s_and_not1_b32 s3, s24, exec_lo
	s_and_b32 s24, s23, exec_lo
	s_and_not1_b32 s20, s20, exec_lo
	s_and_b32 s25, s22, exec_lo
	s_or_b32 s24, s3, s24
	s_or_b32 s20, s20, s25
	s_and_not1_b32 exec_lo, exec_lo, s17
	s_cbranch_execz .LBB1488_785
.LBB1488_783:                           ; =>This Inner Loop Header: Depth=1
	global_load_b32 v10, v[4:5], off
	global_load_b32 v11, v[6:7], off
	s_and_not1_b32 s22, s22, exec_lo
	s_and_not1_b32 s23, s23, exec_lo
	s_or_b32 s21, s21, exec_lo
	s_waitcnt vmcnt(0)
	v_cmp_le_u32_e32 vcc_lo, v10, v11
	v_cmp_lt_u32_e64 s3, v10, v11
	s_and_b32 s25, vcc_lo, s24
	s_delay_alu instid0(VALU_DEP_1) | instid1(SALU_CYCLE_1)
	s_or_b32 s25, s3, s25
	s_delay_alu instid0(SALU_CYCLE_1) | instskip(NEXT) | instid1(SALU_CYCLE_1)
	s_and_b32 s3, s25, exec_lo
	s_or_b32 s22, s22, s3
	s_mov_b32 s3, exec_lo
	v_cmpx_eq_u32_e64 v10, v11
	s_cbranch_execz .LBB1488_782
; %bb.784:                              ;   in Loop: Header=BB1488_783 Depth=1
	s_add_u32 s4, s4, -1
	s_addc_u32 s5, s5, -1
	v_add_co_u32 v4, vcc_lo, v4, 4
	s_cmp_eq_u64 s[4:5], 0
	v_add_co_ci_u32_e32 v5, vcc_lo, 0, v5, vcc_lo
	v_add_co_u32 v6, vcc_lo, v6, 4
	s_cselect_b32 s24, -1, 0
	v_add_co_ci_u32_e32 v7, vcc_lo, 0, v7, vcc_lo
	s_and_not1_b32 s23, s23, exec_lo
	s_and_b32 s25, s25, exec_lo
	s_and_not1_b32 s21, s21, exec_lo
	s_and_b32 s24, s24, exec_lo
	s_or_b32 s23, s23, s25
	s_and_not1_b32 s22, s22, exec_lo
	s_or_b32 s21, s21, s24
                                        ; implicit-def: $sgpr24
	s_branch .LBB1488_782
.LBB1488_785:
	s_set_inst_prefetch_distance 0x2
	s_or_b32 exec_lo, exec_lo, s17
	s_xor_b32 s3, s20, -1
	s_branch .LBB1488_787
.LBB1488_786:
	s_mov_b32 s3, -1
.LBB1488_787:
	s_delay_alu instid0(SALU_CYCLE_1)
	s_and_b32 s3, s3, exec_lo
.LBB1488_788:
	s_or_b32 exec_lo, exec_lo, s12
	s_delay_alu instid0(SALU_CYCLE_1)
	s_or_not1_b32 s12, s3, exec_lo
.LBB1488_789:
	s_or_b32 exec_lo, exec_lo, s13
	v_cndmask_b32_e64 v4, v9, v8, s12
	v_cndmask_b32_e64 v5, v20, v22, s12
	s_mov_b32 s13, -1
	s_mov_b32 s17, exec_lo
	s_delay_alu instid0(VALU_DEP_2) | instskip(NEXT) | instid1(VALU_DEP_2)
	v_add_nc_u32_e32 v6, 1, v4
	v_add_nc_u32_e32 v4, -1, v5
	s_delay_alu instid0(VALU_DEP_2) | instskip(NEXT) | instid1(VALU_DEP_2)
	v_cndmask_b32_e64 v9, v6, v9, s12
	v_min_u32_e32 v4, v6, v4
	v_cndmask_b32_e64 v8, v8, v6, s12
	s_delay_alu instid0(VALU_DEP_2)
	v_lshl_add_u32 v4, v4, 3, v18
	ds_load_b64 v[4:5], v4
	s_waitcnt lgkmcnt(0)
	v_cndmask_b32_e64 v25, v5, v19, s12
	v_cndmask_b32_e64 v28, v4, v21, s12
	;; [unrolled: 1-line block ×4, first 2 shown]
	v_cmpx_lt_u32_e64 v9, v20
	s_cbranch_execz .LBB1488_800
; %bb.790:
	s_mov_b32 s3, 0
	s_mov_b32 s13, exec_lo
	v_cmpx_lt_u32_e64 v8, v22
	s_cbranch_execz .LBB1488_799
; %bb.791:
	s_and_not1_b32 vcc_lo, exec_lo, s16
	s_cbranch_vccnz .LBB1488_797
; %bb.792:
	v_mul_lo_u32 v10, v25, s8
	v_mul_lo_u32 v11, v28, s9
	v_mad_u64_u32 v[4:5], null, v28, s8, 0
	v_mul_lo_u32 v31, v29, s8
	v_mul_lo_u32 v32, v30, s9
	v_mad_u64_u32 v[6:7], null, v30, s8, 0
	s_mov_b32 s20, 0
	s_mov_b64 s[4:5], s[8:9]
	s_delay_alu instid0(VALU_DEP_4) | instskip(NEXT) | instid1(VALU_DEP_2)
	v_add3_u32 v5, v5, v11, v10
                                        ; implicit-def: $sgpr21
                                        ; implicit-def: $sgpr22
                                        ; implicit-def: $sgpr23
                                        ; implicit-def: $sgpr24
                                        ; implicit-def: $sgpr25
	v_add3_u32 v7, v7, v32, v31
	s_delay_alu instid0(VALU_DEP_2) | instskip(NEXT) | instid1(VALU_DEP_2)
	v_lshlrev_b64 v[4:5], 2, v[4:5]
	v_lshlrev_b64 v[6:7], 2, v[6:7]
	s_delay_alu instid0(VALU_DEP_2) | instskip(NEXT) | instid1(VALU_DEP_3)
	v_add_co_u32 v4, vcc_lo, s10, v4
	v_add_co_ci_u32_e32 v5, vcc_lo, s11, v5, vcc_lo
	s_delay_alu instid0(VALU_DEP_3) | instskip(NEXT) | instid1(VALU_DEP_4)
	v_add_co_u32 v6, vcc_lo, s10, v6
	v_add_co_ci_u32_e32 v7, vcc_lo, s11, v7, vcc_lo
	s_set_inst_prefetch_distance 0x1
	s_branch .LBB1488_794
	.p2align	6
.LBB1488_793:                           ;   in Loop: Header=BB1488_794 Depth=1
	s_or_b32 exec_lo, exec_lo, s3
	s_delay_alu instid0(SALU_CYCLE_1) | instskip(NEXT) | instid1(SALU_CYCLE_1)
	s_and_b32 s3, exec_lo, s22
	s_or_b32 s20, s3, s20
	s_and_not1_b32 s3, s25, exec_lo
	s_and_b32 s25, s24, exec_lo
	s_and_not1_b32 s21, s21, exec_lo
	s_and_b32 s26, s23, exec_lo
	s_or_b32 s25, s3, s25
	s_or_b32 s21, s21, s26
	s_and_not1_b32 exec_lo, exec_lo, s20
	s_cbranch_execz .LBB1488_796
.LBB1488_794:                           ; =>This Inner Loop Header: Depth=1
	global_load_b32 v10, v[4:5], off
	global_load_b32 v11, v[6:7], off
	s_and_not1_b32 s23, s23, exec_lo
	s_and_not1_b32 s24, s24, exec_lo
	s_or_b32 s22, s22, exec_lo
	s_waitcnt vmcnt(0)
	v_cmp_le_u32_e32 vcc_lo, v10, v11
	v_cmp_lt_u32_e64 s3, v10, v11
	s_and_b32 s26, vcc_lo, s25
	s_delay_alu instid0(VALU_DEP_1) | instid1(SALU_CYCLE_1)
	s_or_b32 s26, s3, s26
	s_delay_alu instid0(SALU_CYCLE_1) | instskip(NEXT) | instid1(SALU_CYCLE_1)
	s_and_b32 s3, s26, exec_lo
	s_or_b32 s23, s23, s3
	s_mov_b32 s3, exec_lo
	v_cmpx_eq_u32_e64 v10, v11
	s_cbranch_execz .LBB1488_793
; %bb.795:                              ;   in Loop: Header=BB1488_794 Depth=1
	s_add_u32 s4, s4, -1
	s_addc_u32 s5, s5, -1
	v_add_co_u32 v4, vcc_lo, v4, 4
	s_cmp_eq_u64 s[4:5], 0
	v_add_co_ci_u32_e32 v5, vcc_lo, 0, v5, vcc_lo
	v_add_co_u32 v6, vcc_lo, v6, 4
	s_cselect_b32 s25, -1, 0
	v_add_co_ci_u32_e32 v7, vcc_lo, 0, v7, vcc_lo
	s_and_not1_b32 s24, s24, exec_lo
	s_and_b32 s26, s26, exec_lo
	s_and_not1_b32 s22, s22, exec_lo
	s_and_b32 s25, s25, exec_lo
	s_or_b32 s24, s24, s26
	s_and_not1_b32 s23, s23, exec_lo
	s_or_b32 s22, s22, s25
                                        ; implicit-def: $sgpr25
	s_branch .LBB1488_793
.LBB1488_796:
	s_set_inst_prefetch_distance 0x2
	s_or_b32 exec_lo, exec_lo, s20
	s_xor_b32 s3, s21, -1
	s_branch .LBB1488_798
.LBB1488_797:
	s_mov_b32 s3, -1
.LBB1488_798:
	s_delay_alu instid0(SALU_CYCLE_1)
	s_and_b32 s3, s3, exec_lo
.LBB1488_799:
	s_or_b32 exec_lo, exec_lo, s13
	s_delay_alu instid0(SALU_CYCLE_1)
	s_or_not1_b32 s13, s3, exec_lo
.LBB1488_800:
	s_or_b32 exec_lo, exec_lo, s17
	v_cndmask_b32_e64 v4, v9, v8, s13
	v_cndmask_b32_e64 v5, v20, v22, s13
	s_mov_b32 s17, exec_lo
	s_delay_alu instid0(VALU_DEP_2) | instskip(NEXT) | instid1(VALU_DEP_2)
	v_add_nc_u32_e32 v10, 1, v4
	v_add_nc_u32_e32 v4, -1, v5
	s_delay_alu instid0(VALU_DEP_2) | instskip(NEXT) | instid1(VALU_DEP_2)
	v_cndmask_b32_e64 v9, v10, v9, s13
	v_min_u32_e32 v4, v10, v4
	s_delay_alu instid0(VALU_DEP_1)
	v_lshl_add_u32 v4, v4, 3, v18
	ds_load_b64 v[4:5], v4
	s_waitcnt lgkmcnt(0)
	v_cndmask_b32_e64 v7, v29, v5, s13
	v_cndmask_b32_e64 v6, v30, v4, s13
	v_cmpx_lt_u32_e64 v9, v20
	s_cbranch_execz .LBB1488_810
; %bb.801:
	v_cndmask_b32_e64 v8, v8, v10, s13
	v_cndmask_b32_e64 v5, v5, v25, s13
	;; [unrolled: 1-line block ×3, first 2 shown]
	s_mov_b32 s20, exec_lo
	s_delay_alu instid0(VALU_DEP_3)
	v_cmpx_lt_u32_e64 v8, v22
	s_cbranch_execz .LBB1488_809
; %bb.802:
	s_and_not1_b32 vcc_lo, exec_lo, s16
	s_cbranch_vccnz .LBB1488_808
; %bb.803:
	v_mul_lo_u32 v18, v5, s8
	v_mul_lo_u32 v20, v4, s9
	v_mad_u64_u32 v[8:9], null, v4, s8, 0
	v_mul_lo_u32 v22, v7, s8
	v_mul_lo_u32 v31, v6, s9
	v_mad_u64_u32 v[10:11], null, v6, s8, 0
	s_mov_b32 s21, 0
	s_mov_b64 s[4:5], s[8:9]
	s_delay_alu instid0(VALU_DEP_4) | instskip(NEXT) | instid1(VALU_DEP_2)
	v_add3_u32 v9, v9, v20, v18
                                        ; implicit-def: $sgpr22
                                        ; implicit-def: $sgpr23
                                        ; implicit-def: $sgpr24
                                        ; implicit-def: $sgpr25
                                        ; implicit-def: $sgpr26
	v_add3_u32 v11, v11, v31, v22
	s_delay_alu instid0(VALU_DEP_2) | instskip(NEXT) | instid1(VALU_DEP_2)
	v_lshlrev_b64 v[8:9], 2, v[8:9]
	v_lshlrev_b64 v[10:11], 2, v[10:11]
	s_delay_alu instid0(VALU_DEP_2) | instskip(NEXT) | instid1(VALU_DEP_3)
	v_add_co_u32 v8, vcc_lo, s10, v8
	v_add_co_ci_u32_e32 v9, vcc_lo, s11, v9, vcc_lo
	s_delay_alu instid0(VALU_DEP_3) | instskip(NEXT) | instid1(VALU_DEP_4)
	v_add_co_u32 v10, vcc_lo, s10, v10
	v_add_co_ci_u32_e32 v11, vcc_lo, s11, v11, vcc_lo
	s_set_inst_prefetch_distance 0x1
	s_branch .LBB1488_805
	.p2align	6
.LBB1488_804:                           ;   in Loop: Header=BB1488_805 Depth=1
	s_or_b32 exec_lo, exec_lo, s3
	s_delay_alu instid0(SALU_CYCLE_1) | instskip(NEXT) | instid1(SALU_CYCLE_1)
	s_and_b32 s3, exec_lo, s23
	s_or_b32 s21, s3, s21
	s_and_not1_b32 s3, s26, exec_lo
	s_and_b32 s26, s25, exec_lo
	s_and_not1_b32 s22, s22, exec_lo
	s_and_b32 s27, s24, exec_lo
	s_or_b32 s26, s3, s26
	s_or_b32 s22, s22, s27
	s_and_not1_b32 exec_lo, exec_lo, s21
	s_cbranch_execz .LBB1488_807
.LBB1488_805:                           ; =>This Inner Loop Header: Depth=1
	global_load_b32 v18, v[8:9], off
	global_load_b32 v20, v[10:11], off
	s_and_not1_b32 s24, s24, exec_lo
	s_and_not1_b32 s25, s25, exec_lo
	s_or_b32 s23, s23, exec_lo
	s_waitcnt vmcnt(0)
	v_cmp_le_u32_e32 vcc_lo, v18, v20
	v_cmp_lt_u32_e64 s3, v18, v20
	s_and_b32 s27, vcc_lo, s26
	s_delay_alu instid0(VALU_DEP_1) | instid1(SALU_CYCLE_1)
	s_or_b32 s27, s3, s27
	s_delay_alu instid0(SALU_CYCLE_1) | instskip(NEXT) | instid1(SALU_CYCLE_1)
	s_and_b32 s3, s27, exec_lo
	s_or_b32 s24, s24, s3
	s_mov_b32 s3, exec_lo
	v_cmpx_eq_u32_e64 v18, v20
	s_cbranch_execz .LBB1488_804
; %bb.806:                              ;   in Loop: Header=BB1488_805 Depth=1
	s_add_u32 s4, s4, -1
	s_addc_u32 s5, s5, -1
	v_add_co_u32 v8, vcc_lo, v8, 4
	s_cmp_eq_u64 s[4:5], 0
	v_add_co_ci_u32_e32 v9, vcc_lo, 0, v9, vcc_lo
	v_add_co_u32 v10, vcc_lo, v10, 4
	s_cselect_b32 s26, -1, 0
	v_add_co_ci_u32_e32 v11, vcc_lo, 0, v11, vcc_lo
	s_and_not1_b32 s25, s25, exec_lo
	s_and_b32 s27, s27, exec_lo
	s_and_not1_b32 s23, s23, exec_lo
	s_and_b32 s26, s26, exec_lo
	s_or_b32 s25, s25, s27
	s_and_not1_b32 s24, s24, exec_lo
	s_or_b32 s23, s23, s26
                                        ; implicit-def: $sgpr26
	s_branch .LBB1488_804
.LBB1488_807:
	s_set_inst_prefetch_distance 0x2
	s_or_b32 exec_lo, exec_lo, s21
	v_cndmask_b32_e64 v7, v7, v5, s22
	v_cndmask_b32_e64 v6, v6, v4, s22
.LBB1488_808:
	s_delay_alu instid0(VALU_DEP_1)
	v_dual_mov_b32 v4, v6 :: v_dual_mov_b32 v5, v7
.LBB1488_809:
	s_or_b32 exec_lo, exec_lo, s20
	s_delay_alu instid0(VALU_DEP_1)
	v_dual_mov_b32 v7, v5 :: v_dual_mov_b32 v6, v4
.LBB1488_810:
	s_or_b32 exec_lo, exec_lo, s17
	v_cndmask_b32_e64 v1, v3, v1, s7
	v_cndmask_b32_e64 v0, v2, v0, s7
	;; [unrolled: 1-line block ×6, first 2 shown]
.LBB1488_811:
	s_or_b32 exec_lo, exec_lo, s6
	s_cmpk_lt_u32 s18, 0x41
	; wave barrier
	s_waitcnt lgkmcnt(0)
	s_barrier
	buffer_gl0_inv
	s_cbranch_scc1 .LBB1488_871
; %bb.812:
	v_lshlrev_b32_e32 v18, 3, v27
	s_lshl_b64 s[4:5], s[8:9], 2
	s_mov_b32 s12, 64
	s_branch .LBB1488_818
.LBB1488_813:                           ;   in Loop: Header=BB1488_818 Depth=1
	s_set_inst_prefetch_distance 0x2
	s_or_b32 exec_lo, exec_lo, s24
	v_cndmask_b32_e64 v7, v7, v5, s25
	v_cndmask_b32_e64 v6, v6, v4, s25
.LBB1488_814:                           ;   in Loop: Header=BB1488_818 Depth=1
	s_delay_alu instid0(VALU_DEP_1)
	v_dual_mov_b32 v4, v6 :: v_dual_mov_b32 v5, v7
.LBB1488_815:                           ;   in Loop: Header=BB1488_818 Depth=1
	s_or_b32 exec_lo, exec_lo, s23
	s_delay_alu instid0(VALU_DEP_1)
	v_dual_mov_b32 v7, v5 :: v_dual_mov_b32 v6, v4
.LBB1488_816:                           ;   in Loop: Header=BB1488_818 Depth=1
	s_or_b32 exec_lo, exec_lo, s22
	v_cndmask_b32_e64 v1, v3, v1, s17
	v_cndmask_b32_e64 v0, v2, v0, s17
	;; [unrolled: 1-line block ×6, first 2 shown]
.LBB1488_817:                           ;   in Loop: Header=BB1488_818 Depth=1
	s_or_b32 exec_lo, exec_lo, s13
	s_cmp_lt_u32 s12, s18
	s_barrier
	buffer_gl0_inv
	s_cbranch_scc0 .LBB1488_871
.LBB1488_818:                           ; =>This Loop Header: Depth=1
                                        ;     Child Loop BB1488_822 Depth 2
                                        ;       Child Loop BB1488_825 Depth 3
                                        ;     Child Loop BB1488_837 Depth 2
                                        ;     Child Loop BB1488_847 Depth 2
	;; [unrolled: 1-line block ×4, first 2 shown]
	s_mov_b32 s3, s12
	s_lshl_b32 s12, s12, 1
	s_mov_b32 s13, exec_lo
	s_sub_i32 s6, 0, s12
	ds_store_b128 v18, v[0:3]
	ds_store_b128 v18, v[4:7] offset:16
	v_and_b32_e32 v23, s6, v27
	s_waitcnt lgkmcnt(0)
	s_barrier
	buffer_gl0_inv
	v_add_nc_u32_e32 v8, s3, v23
	v_lshlrev_b32_e32 v22, 3, v23
	s_delay_alu instid0(VALU_DEP_2) | instskip(NEXT) | instid1(VALU_DEP_1)
	v_min_u32_e32 v19, s18, v8
	v_add_nc_u32_e32 v8, s3, v19
	s_add_i32 s3, s12, -1
	s_delay_alu instid0(SALU_CYCLE_1) | instskip(NEXT) | instid1(VALU_DEP_2)
	v_and_b32_e32 v9, s3, v27
	v_min_u32_e32 v20, s18, v8
	v_sub_nc_u32_e32 v8, v19, v23
	s_delay_alu instid0(VALU_DEP_3) | instskip(NEXT) | instid1(VALU_DEP_3)
	v_min_u32_e32 v24, s18, v9
	v_sub_nc_u32_e32 v9, v20, v19
	s_delay_alu instid0(VALU_DEP_2) | instskip(NEXT) | instid1(VALU_DEP_2)
	v_min_u32_e32 v25, v24, v8
	v_sub_nc_u32_e64 v21, v24, v9 clamp
	s_delay_alu instid0(VALU_DEP_1)
	v_cmpx_lt_u32_e64 v21, v25
	s_cbranch_execz .LBB1488_828
; %bb.819:                              ;   in Loop: Header=BB1488_818 Depth=1
	v_lshlrev_b32_e32 v8, 3, v24
	s_mov_b32 s17, 0
	s_delay_alu instid0(VALU_DEP_1)
	v_lshl_add_u32 v28, v19, 3, v8
	s_branch .LBB1488_822
.LBB1488_820:                           ;   in Loop: Header=BB1488_822 Depth=2
	s_set_inst_prefetch_distance 0x2
	s_or_b32 exec_lo, exec_lo, s20
.LBB1488_821:                           ;   in Loop: Header=BB1488_822 Depth=2
	s_delay_alu instid0(VALU_DEP_1) | instskip(SKIP_1) | instid1(VALU_DEP_2)
	v_add_nc_u32_e32 v8, 1, v29
	v_cndmask_b32_e64 v25, v25, v29, s21
	v_cndmask_b32_e64 v21, v8, v21, s21
	s_delay_alu instid0(VALU_DEP_1) | instskip(SKIP_1) | instid1(SALU_CYCLE_1)
	v_cmp_ge_u32_e32 vcc_lo, v21, v25
	s_or_b32 s17, vcc_lo, s17
	s_and_not1_b32 exec_lo, exec_lo, s17
	s_cbranch_execz .LBB1488_827
.LBB1488_822:                           ;   Parent Loop BB1488_818 Depth=1
                                        ; =>  This Loop Header: Depth=2
                                        ;       Child Loop BB1488_825 Depth 3
	v_add_nc_u32_e32 v8, v25, v21
	s_and_not1_b32 vcc_lo, exec_lo, s16
	s_mov_b32 s21, 0
	s_delay_alu instid0(VALU_DEP_1)
	v_lshrrev_b32_e32 v29, 1, v8
	s_cbranch_vccnz .LBB1488_821
; %bb.823:                              ;   in Loop: Header=BB1488_822 Depth=2
	s_delay_alu instid0(VALU_DEP_1) | instskip(SKIP_3) | instid1(VALU_DEP_2)
	v_not_b32_e32 v8, v29
	v_lshl_add_u32 v9, v29, 3, v22
	s_mov_b32 s20, 0
	s_mov_b64 s[6:7], s[8:9]
                                        ; implicit-def: $sgpr21
                                        ; implicit-def: $sgpr22
                                        ; implicit-def: $sgpr23
                                        ; implicit-def: $sgpr24
                                        ; implicit-def: $sgpr25
	v_lshl_add_u32 v8, v8, 3, v28
	ds_load_b64 v[10:11], v8
	ds_load_b64 v[30:31], v9
	s_waitcnt lgkmcnt(1)
	v_mul_lo_u32 v32, s4, v11
	v_mul_lo_u32 v33, s5, v10
	v_mad_u64_u32 v[8:9], null, s4, v10, s[10:11]
	s_waitcnt lgkmcnt(0)
	v_mul_lo_u32 v31, s4, v31
	v_mul_lo_u32 v34, s5, v30
	v_mad_u64_u32 v[10:11], null, s4, v30, s[10:11]
	s_delay_alu instid0(VALU_DEP_4) | instskip(NEXT) | instid1(VALU_DEP_2)
	v_add3_u32 v9, v33, v9, v32
	v_add3_u32 v11, v34, v11, v31
	s_set_inst_prefetch_distance 0x1
	s_branch .LBB1488_825
	.p2align	6
.LBB1488_824:                           ;   in Loop: Header=BB1488_825 Depth=3
	s_or_b32 exec_lo, exec_lo, s3
	s_delay_alu instid0(SALU_CYCLE_1) | instskip(NEXT) | instid1(SALU_CYCLE_1)
	s_and_b32 s3, exec_lo, s22
	s_or_b32 s20, s3, s20
	s_and_not1_b32 s3, s25, exec_lo
	s_and_b32 s25, s23, exec_lo
	s_and_not1_b32 s21, s21, exec_lo
	s_and_b32 s26, s24, exec_lo
	s_or_b32 s25, s3, s25
	s_or_b32 s21, s21, s26
	s_and_not1_b32 exec_lo, exec_lo, s20
	s_cbranch_execz .LBB1488_820
.LBB1488_825:                           ;   Parent Loop BB1488_818 Depth=1
                                        ;     Parent Loop BB1488_822 Depth=2
                                        ; =>    This Inner Loop Header: Depth=3
	global_load_b32 v30, v[8:9], off
	global_load_b32 v31, v[10:11], off
	s_and_not1_b32 s24, s24, exec_lo
	s_and_not1_b32 s23, s23, exec_lo
	s_or_b32 s22, s22, exec_lo
	s_waitcnt vmcnt(0)
	v_cmp_le_u32_e32 vcc_lo, v30, v31
	v_cmp_lt_u32_e64 s3, v30, v31
	s_and_b32 s26, vcc_lo, s25
	s_delay_alu instid0(VALU_DEP_1) | instid1(SALU_CYCLE_1)
	s_or_b32 s26, s3, s26
	s_delay_alu instid0(SALU_CYCLE_1) | instskip(NEXT) | instid1(SALU_CYCLE_1)
	s_and_b32 s3, s26, exec_lo
	s_or_b32 s24, s24, s3
	s_mov_b32 s3, exec_lo
	v_cmpx_eq_u32_e64 v30, v31
	s_cbranch_execz .LBB1488_824
; %bb.826:                              ;   in Loop: Header=BB1488_825 Depth=3
	s_add_u32 s6, s6, -1
	s_addc_u32 s7, s7, -1
	v_add_co_u32 v8, vcc_lo, v8, 4
	v_add_co_ci_u32_e32 v9, vcc_lo, 0, v9, vcc_lo
	s_cmp_eq_u64 s[6:7], 0
	v_add_co_u32 v10, vcc_lo, v10, 4
	s_cselect_b32 s25, -1, 0
	v_add_co_ci_u32_e32 v11, vcc_lo, 0, v11, vcc_lo
	s_and_not1_b32 s23, s23, exec_lo
	s_and_b32 s26, s26, exec_lo
	s_and_not1_b32 s22, s22, exec_lo
	s_and_b32 s25, s25, exec_lo
	s_and_not1_b32 s24, s24, exec_lo
	s_or_b32 s23, s23, s26
	s_or_b32 s22, s22, s25
                                        ; implicit-def: $sgpr25
	s_branch .LBB1488_824
.LBB1488_827:                           ;   in Loop: Header=BB1488_818 Depth=1
	s_or_b32 exec_lo, exec_lo, s17
.LBB1488_828:                           ;   in Loop: Header=BB1488_818 Depth=1
	s_delay_alu instid0(SALU_CYCLE_1) | instskip(SKIP_2) | instid1(VALU_DEP_2)
	s_or_b32 exec_lo, exec_lo, s13
	v_sub_nc_u32_e32 v9, v24, v21
	v_add_nc_u32_e32 v8, v21, v23
	v_add_nc_u32_e32 v9, v9, v19
	s_delay_alu instid0(VALU_DEP_2) | instskip(NEXT) | instid1(VALU_DEP_2)
	v_cmp_le_u32_e32 vcc_lo, v8, v19
	v_cmp_le_u32_e64 s3, v9, v20
	s_delay_alu instid0(VALU_DEP_1) | instskip(NEXT) | instid1(SALU_CYCLE_1)
	s_or_b32 s3, vcc_lo, s3
	s_and_saveexec_b32 s13, s3
	s_cbranch_execz .LBB1488_817
; %bb.829:                              ;   in Loop: Header=BB1488_818 Depth=1
	v_cmp_ge_u32_e32 vcc_lo, v8, v19
	s_mov_b32 s6, exec_lo
                                        ; implicit-def: $vgpr0_vgpr1
	v_cmpx_lt_u32_e64 v8, v19
	s_cbranch_execz .LBB1488_831
; %bb.830:                              ;   in Loop: Header=BB1488_818 Depth=1
	v_lshl_add_u32 v0, v21, 3, v22
	ds_load_b64 v[0:1], v0
.LBB1488_831:                           ;   in Loop: Header=BB1488_818 Depth=1
	s_or_b32 exec_lo, exec_lo, s6
	v_cmp_ge_u32_e64 s17, v9, v20
	s_mov_b32 s6, exec_lo
                                        ; implicit-def: $vgpr2_vgpr3
	v_cmpx_lt_u32_e64 v9, v20
	s_cbranch_execz .LBB1488_833
; %bb.832:                              ;   in Loop: Header=BB1488_818 Depth=1
	v_lshlrev_b32_e32 v2, 3, v9
	ds_load_b64 v[2:3], v2
.LBB1488_833:                           ;   in Loop: Header=BB1488_818 Depth=1
	s_or_b32 exec_lo, exec_lo, s6
	s_or_b32 s3, vcc_lo, s17
	s_delay_alu instid0(SALU_CYCLE_1) | instskip(NEXT) | instid1(SALU_CYCLE_1)
	s_xor_b32 s3, s3, -1
	s_and_saveexec_b32 s20, s3
	s_cbranch_execz .LBB1488_842
; %bb.834:                              ;   in Loop: Header=BB1488_818 Depth=1
	s_and_not1_b32 vcc_lo, exec_lo, s16
	s_cbranch_vccnz .LBB1488_840
; %bb.835:                              ;   in Loop: Header=BB1488_818 Depth=1
	s_waitcnt lgkmcnt(0)
	v_mad_u64_u32 v[4:5], null, s4, v2, s[10:11]
	v_mul_lo_u32 v10, s4, v3
	v_mul_lo_u32 v11, s5, v2
	v_mad_u64_u32 v[6:7], null, s4, v0, s[10:11]
	v_mul_lo_u32 v21, s4, v1
	v_mul_lo_u32 v22, s5, v0
	s_mov_b32 s21, 0
	s_mov_b64 s[6:7], s[8:9]
                                        ; implicit-def: $sgpr22
                                        ; implicit-def: $sgpr23
                                        ; implicit-def: $sgpr24
                                        ; implicit-def: $sgpr25
                                        ; implicit-def: $sgpr26
	s_delay_alu instid0(VALU_DEP_4) | instskip(NEXT) | instid1(VALU_DEP_2)
	v_add3_u32 v5, v11, v5, v10
	v_add3_u32 v7, v22, v7, v21
	s_set_inst_prefetch_distance 0x1
	s_branch .LBB1488_837
	.p2align	6
.LBB1488_836:                           ;   in Loop: Header=BB1488_837 Depth=2
	s_or_b32 exec_lo, exec_lo, s3
	s_delay_alu instid0(SALU_CYCLE_1) | instskip(NEXT) | instid1(SALU_CYCLE_1)
	s_and_b32 s3, exec_lo, s23
	s_or_b32 s21, s3, s21
	s_and_not1_b32 s3, s26, exec_lo
	s_and_b32 s26, s25, exec_lo
	s_and_not1_b32 s22, s22, exec_lo
	s_and_b32 s27, s24, exec_lo
	s_or_b32 s26, s3, s26
	s_or_b32 s22, s22, s27
	s_and_not1_b32 exec_lo, exec_lo, s21
	s_cbranch_execz .LBB1488_839
.LBB1488_837:                           ;   Parent Loop BB1488_818 Depth=1
                                        ; =>  This Inner Loop Header: Depth=2
	global_load_b32 v10, v[4:5], off
	global_load_b32 v11, v[6:7], off
	s_and_not1_b32 s24, s24, exec_lo
	s_and_not1_b32 s25, s25, exec_lo
	s_or_b32 s23, s23, exec_lo
	s_waitcnt vmcnt(0)
	v_cmp_le_u32_e32 vcc_lo, v10, v11
	v_cmp_lt_u32_e64 s3, v10, v11
	s_and_b32 s27, vcc_lo, s26
	s_delay_alu instid0(VALU_DEP_1) | instid1(SALU_CYCLE_1)
	s_or_b32 s27, s3, s27
	s_delay_alu instid0(SALU_CYCLE_1) | instskip(NEXT) | instid1(SALU_CYCLE_1)
	s_and_b32 s3, s27, exec_lo
	s_or_b32 s24, s24, s3
	s_mov_b32 s3, exec_lo
	v_cmpx_eq_u32_e64 v10, v11
	s_cbranch_execz .LBB1488_836
; %bb.838:                              ;   in Loop: Header=BB1488_837 Depth=2
	s_add_u32 s6, s6, -1
	s_addc_u32 s7, s7, -1
	v_add_co_u32 v4, vcc_lo, v4, 4
	s_cmp_eq_u64 s[6:7], 0
	v_add_co_ci_u32_e32 v5, vcc_lo, 0, v5, vcc_lo
	s_cselect_b32 s26, -1, 0
	s_and_not1_b32 s25, s25, exec_lo
	s_and_b32 s27, s27, exec_lo
	v_add_co_u32 v6, vcc_lo, v6, 4
	s_and_not1_b32 s23, s23, exec_lo
	s_and_b32 s26, s26, exec_lo
	v_add_co_ci_u32_e32 v7, vcc_lo, 0, v7, vcc_lo
	s_or_b32 s25, s25, s27
	s_and_not1_b32 s24, s24, exec_lo
	s_or_b32 s23, s23, s26
                                        ; implicit-def: $sgpr26
	s_branch .LBB1488_836
.LBB1488_839:                           ;   in Loop: Header=BB1488_818 Depth=1
	s_set_inst_prefetch_distance 0x2
	s_or_b32 exec_lo, exec_lo, s21
	s_xor_b32 s3, s22, -1
	s_branch .LBB1488_841
.LBB1488_840:                           ;   in Loop: Header=BB1488_818 Depth=1
	s_mov_b32 s3, -1
.LBB1488_841:                           ;   in Loop: Header=BB1488_818 Depth=1
	s_and_not1_b32 s6, s17, exec_lo
	s_and_b32 s3, s3, exec_lo
	s_delay_alu instid0(SALU_CYCLE_1)
	s_or_b32 s17, s6, s3
.LBB1488_842:                           ;   in Loop: Header=BB1488_818 Depth=1
	s_or_b32 exec_lo, exec_lo, s20
	v_cndmask_b32_e64 v4, v9, v8, s17
	v_cndmask_b32_e64 v5, v20, v19, s17
	s_mov_b32 s20, -1
	s_mov_b32 s21, -1
	s_mov_b32 s22, exec_lo
	v_add_nc_u32_e32 v6, 1, v4
	v_add_nc_u32_e32 v4, -1, v5
	s_delay_alu instid0(VALU_DEP_2) | instskip(NEXT) | instid1(VALU_DEP_2)
	v_cndmask_b32_e64 v9, v6, v9, s17
	v_min_u32_e32 v4, v6, v4
	v_cndmask_b32_e64 v8, v8, v6, s17
	s_delay_alu instid0(VALU_DEP_2)
	v_lshlrev_b32_e32 v4, 3, v4
	ds_load_b64 v[4:5], v4
	s_waitcnt lgkmcnt(0)
	v_cndmask_b32_e64 v21, v5, v3, s17
	v_cndmask_b32_e64 v22, v4, v2, s17
	;; [unrolled: 1-line block ×4, first 2 shown]
	v_cmpx_lt_u32_e64 v9, v20
	s_cbranch_execz .LBB1488_853
; %bb.843:                              ;   in Loop: Header=BB1488_818 Depth=1
	s_mov_b32 s3, 0
	s_mov_b32 s21, exec_lo
	v_cmpx_lt_u32_e64 v8, v19
	s_cbranch_execz .LBB1488_852
; %bb.844:                              ;   in Loop: Header=BB1488_818 Depth=1
	s_and_not1_b32 vcc_lo, exec_lo, s16
	s_cbranch_vccnz .LBB1488_850
; %bb.845:                              ;   in Loop: Header=BB1488_818 Depth=1
	v_mad_u64_u32 v[4:5], null, s4, v22, s[10:11]
	v_mul_lo_u32 v10, s4, v21
	v_mul_lo_u32 v11, s5, v22
	v_mad_u64_u32 v[6:7], null, s4, v24, s[10:11]
	v_mul_lo_u32 v25, s4, v23
	v_mul_lo_u32 v28, s5, v24
	s_mov_b32 s23, 0
	s_mov_b64 s[6:7], s[8:9]
                                        ; implicit-def: $sgpr24
                                        ; implicit-def: $sgpr25
                                        ; implicit-def: $sgpr26
                                        ; implicit-def: $sgpr27
                                        ; implicit-def: $sgpr28
	s_delay_alu instid0(VALU_DEP_4) | instskip(NEXT) | instid1(VALU_DEP_2)
	v_add3_u32 v5, v11, v5, v10
	v_add3_u32 v7, v28, v7, v25
	s_set_inst_prefetch_distance 0x1
	s_branch .LBB1488_847
	.p2align	6
.LBB1488_846:                           ;   in Loop: Header=BB1488_847 Depth=2
	s_or_b32 exec_lo, exec_lo, s3
	s_delay_alu instid0(SALU_CYCLE_1) | instskip(NEXT) | instid1(SALU_CYCLE_1)
	s_and_b32 s3, exec_lo, s25
	s_or_b32 s23, s3, s23
	s_and_not1_b32 s3, s28, exec_lo
	s_and_b32 s28, s27, exec_lo
	s_and_not1_b32 s24, s24, exec_lo
	s_and_b32 s29, s26, exec_lo
	s_or_b32 s28, s3, s28
	s_or_b32 s24, s24, s29
	s_and_not1_b32 exec_lo, exec_lo, s23
	s_cbranch_execz .LBB1488_849
.LBB1488_847:                           ;   Parent Loop BB1488_818 Depth=1
                                        ; =>  This Inner Loop Header: Depth=2
	global_load_b32 v10, v[4:5], off
	global_load_b32 v11, v[6:7], off
	s_and_not1_b32 s26, s26, exec_lo
	s_and_not1_b32 s27, s27, exec_lo
	s_or_b32 s25, s25, exec_lo
	s_waitcnt vmcnt(0)
	v_cmp_le_u32_e32 vcc_lo, v10, v11
	v_cmp_lt_u32_e64 s3, v10, v11
	s_and_b32 s29, vcc_lo, s28
	s_delay_alu instid0(VALU_DEP_1) | instid1(SALU_CYCLE_1)
	s_or_b32 s29, s3, s29
	s_delay_alu instid0(SALU_CYCLE_1) | instskip(NEXT) | instid1(SALU_CYCLE_1)
	s_and_b32 s3, s29, exec_lo
	s_or_b32 s26, s26, s3
	s_mov_b32 s3, exec_lo
	v_cmpx_eq_u32_e64 v10, v11
	s_cbranch_execz .LBB1488_846
; %bb.848:                              ;   in Loop: Header=BB1488_847 Depth=2
	s_add_u32 s6, s6, -1
	s_addc_u32 s7, s7, -1
	v_add_co_u32 v4, vcc_lo, v4, 4
	s_cmp_eq_u64 s[6:7], 0
	v_add_co_ci_u32_e32 v5, vcc_lo, 0, v5, vcc_lo
	v_add_co_u32 v6, vcc_lo, v6, 4
	s_cselect_b32 s28, -1, 0
	v_add_co_ci_u32_e32 v7, vcc_lo, 0, v7, vcc_lo
	s_and_not1_b32 s27, s27, exec_lo
	s_and_b32 s29, s29, exec_lo
	s_and_not1_b32 s25, s25, exec_lo
	s_and_b32 s28, s28, exec_lo
	s_or_b32 s27, s27, s29
	s_and_not1_b32 s26, s26, exec_lo
	s_or_b32 s25, s25, s28
                                        ; implicit-def: $sgpr28
	s_branch .LBB1488_846
.LBB1488_849:                           ;   in Loop: Header=BB1488_818 Depth=1
	s_set_inst_prefetch_distance 0x2
	s_or_b32 exec_lo, exec_lo, s23
	s_xor_b32 s3, s24, -1
	s_branch .LBB1488_851
.LBB1488_850:                           ;   in Loop: Header=BB1488_818 Depth=1
	s_mov_b32 s3, -1
.LBB1488_851:                           ;   in Loop: Header=BB1488_818 Depth=1
	s_delay_alu instid0(SALU_CYCLE_1)
	s_and_b32 s3, s3, exec_lo
.LBB1488_852:                           ;   in Loop: Header=BB1488_818 Depth=1
	s_or_b32 exec_lo, exec_lo, s21
	s_delay_alu instid0(SALU_CYCLE_1)
	s_or_not1_b32 s21, s3, exec_lo
.LBB1488_853:                           ;   in Loop: Header=BB1488_818 Depth=1
	s_or_b32 exec_lo, exec_lo, s22
	v_cndmask_b32_e64 v4, v9, v8, s21
	v_cndmask_b32_e64 v5, v20, v19, s21
	s_mov_b32 s22, exec_lo
	s_delay_alu instid0(VALU_DEP_2) | instskip(NEXT) | instid1(VALU_DEP_2)
	v_add_nc_u32_e32 v6, 1, v4
	v_add_nc_u32_e32 v4, -1, v5
	s_delay_alu instid0(VALU_DEP_2) | instskip(NEXT) | instid1(VALU_DEP_2)
	v_cndmask_b32_e64 v9, v6, v9, s21
	v_min_u32_e32 v4, v6, v4
	v_cndmask_b32_e64 v8, v8, v6, s21
	s_delay_alu instid0(VALU_DEP_2)
	v_lshlrev_b32_e32 v4, 3, v4
	ds_load_b64 v[4:5], v4
	s_waitcnt lgkmcnt(0)
	v_cndmask_b32_e64 v25, v5, v21, s21
	v_cndmask_b32_e64 v28, v4, v22, s21
	;; [unrolled: 1-line block ×4, first 2 shown]
	v_cmpx_lt_u32_e64 v9, v20
	s_cbranch_execz .LBB1488_864
; %bb.854:                              ;   in Loop: Header=BB1488_818 Depth=1
	s_mov_b32 s3, 0
	s_mov_b32 s20, exec_lo
	v_cmpx_lt_u32_e64 v8, v19
	s_cbranch_execz .LBB1488_863
; %bb.855:                              ;   in Loop: Header=BB1488_818 Depth=1
	s_and_not1_b32 vcc_lo, exec_lo, s16
	s_cbranch_vccnz .LBB1488_861
; %bb.856:                              ;   in Loop: Header=BB1488_818 Depth=1
	v_mad_u64_u32 v[4:5], null, s4, v28, s[10:11]
	v_mul_lo_u32 v10, s4, v25
	v_mul_lo_u32 v11, s5, v28
	v_mad_u64_u32 v[6:7], null, s4, v30, s[10:11]
	v_mul_lo_u32 v31, s4, v29
	v_mul_lo_u32 v32, s5, v30
	s_mov_b32 s23, 0
	s_mov_b64 s[6:7], s[8:9]
                                        ; implicit-def: $sgpr24
                                        ; implicit-def: $sgpr25
                                        ; implicit-def: $sgpr26
                                        ; implicit-def: $sgpr27
                                        ; implicit-def: $sgpr28
	s_delay_alu instid0(VALU_DEP_4) | instskip(NEXT) | instid1(VALU_DEP_2)
	v_add3_u32 v5, v11, v5, v10
	v_add3_u32 v7, v32, v7, v31
	s_set_inst_prefetch_distance 0x1
	s_branch .LBB1488_858
	.p2align	6
.LBB1488_857:                           ;   in Loop: Header=BB1488_858 Depth=2
	s_or_b32 exec_lo, exec_lo, s3
	s_delay_alu instid0(SALU_CYCLE_1) | instskip(NEXT) | instid1(SALU_CYCLE_1)
	s_and_b32 s3, exec_lo, s25
	s_or_b32 s23, s3, s23
	s_and_not1_b32 s3, s28, exec_lo
	s_and_b32 s28, s27, exec_lo
	s_and_not1_b32 s24, s24, exec_lo
	s_and_b32 s29, s26, exec_lo
	s_or_b32 s28, s3, s28
	s_or_b32 s24, s24, s29
	s_and_not1_b32 exec_lo, exec_lo, s23
	s_cbranch_execz .LBB1488_860
.LBB1488_858:                           ;   Parent Loop BB1488_818 Depth=1
                                        ; =>  This Inner Loop Header: Depth=2
	global_load_b32 v10, v[4:5], off
	global_load_b32 v11, v[6:7], off
	s_and_not1_b32 s26, s26, exec_lo
	s_and_not1_b32 s27, s27, exec_lo
	s_or_b32 s25, s25, exec_lo
	s_waitcnt vmcnt(0)
	v_cmp_le_u32_e32 vcc_lo, v10, v11
	v_cmp_lt_u32_e64 s3, v10, v11
	s_and_b32 s29, vcc_lo, s28
	s_delay_alu instid0(VALU_DEP_1) | instid1(SALU_CYCLE_1)
	s_or_b32 s29, s3, s29
	s_delay_alu instid0(SALU_CYCLE_1) | instskip(NEXT) | instid1(SALU_CYCLE_1)
	s_and_b32 s3, s29, exec_lo
	s_or_b32 s26, s26, s3
	s_mov_b32 s3, exec_lo
	v_cmpx_eq_u32_e64 v10, v11
	s_cbranch_execz .LBB1488_857
; %bb.859:                              ;   in Loop: Header=BB1488_858 Depth=2
	s_add_u32 s6, s6, -1
	s_addc_u32 s7, s7, -1
	v_add_co_u32 v4, vcc_lo, v4, 4
	s_cmp_eq_u64 s[6:7], 0
	v_add_co_ci_u32_e32 v5, vcc_lo, 0, v5, vcc_lo
	v_add_co_u32 v6, vcc_lo, v6, 4
	s_cselect_b32 s28, -1, 0
	v_add_co_ci_u32_e32 v7, vcc_lo, 0, v7, vcc_lo
	s_and_not1_b32 s27, s27, exec_lo
	s_and_b32 s29, s29, exec_lo
	s_and_not1_b32 s25, s25, exec_lo
	s_and_b32 s28, s28, exec_lo
	s_or_b32 s27, s27, s29
	s_and_not1_b32 s26, s26, exec_lo
	s_or_b32 s25, s25, s28
                                        ; implicit-def: $sgpr28
	s_branch .LBB1488_857
.LBB1488_860:                           ;   in Loop: Header=BB1488_818 Depth=1
	s_set_inst_prefetch_distance 0x2
	s_or_b32 exec_lo, exec_lo, s23
	s_xor_b32 s3, s24, -1
	s_branch .LBB1488_862
.LBB1488_861:                           ;   in Loop: Header=BB1488_818 Depth=1
	s_mov_b32 s3, -1
.LBB1488_862:                           ;   in Loop: Header=BB1488_818 Depth=1
	s_delay_alu instid0(SALU_CYCLE_1)
	s_and_b32 s3, s3, exec_lo
.LBB1488_863:                           ;   in Loop: Header=BB1488_818 Depth=1
	s_or_b32 exec_lo, exec_lo, s20
	s_delay_alu instid0(SALU_CYCLE_1)
	s_or_not1_b32 s20, s3, exec_lo
.LBB1488_864:                           ;   in Loop: Header=BB1488_818 Depth=1
	s_or_b32 exec_lo, exec_lo, s22
	v_cndmask_b32_e64 v4, v9, v8, s20
	v_cndmask_b32_e64 v5, v20, v19, s20
	s_mov_b32 s22, exec_lo
	s_delay_alu instid0(VALU_DEP_2) | instskip(NEXT) | instid1(VALU_DEP_2)
	v_add_nc_u32_e32 v10, 1, v4
	v_add_nc_u32_e32 v4, -1, v5
	s_delay_alu instid0(VALU_DEP_2) | instskip(NEXT) | instid1(VALU_DEP_2)
	v_cndmask_b32_e64 v9, v10, v9, s20
	v_min_u32_e32 v4, v10, v4
	s_delay_alu instid0(VALU_DEP_1)
	v_lshlrev_b32_e32 v4, 3, v4
	ds_load_b64 v[4:5], v4
	s_waitcnt lgkmcnt(0)
	v_cndmask_b32_e64 v7, v29, v5, s20
	v_cndmask_b32_e64 v6, v30, v4, s20
	v_cmpx_lt_u32_e64 v9, v20
	s_cbranch_execz .LBB1488_816
; %bb.865:                              ;   in Loop: Header=BB1488_818 Depth=1
	v_cndmask_b32_e64 v8, v8, v10, s20
	v_cndmask_b32_e64 v5, v5, v25, s20
	;; [unrolled: 1-line block ×3, first 2 shown]
	s_mov_b32 s23, exec_lo
	s_delay_alu instid0(VALU_DEP_3)
	v_cmpx_lt_u32_e64 v8, v19
	s_cbranch_execz .LBB1488_815
; %bb.866:                              ;   in Loop: Header=BB1488_818 Depth=1
	s_and_not1_b32 vcc_lo, exec_lo, s16
	s_cbranch_vccnz .LBB1488_814
; %bb.867:                              ;   in Loop: Header=BB1488_818 Depth=1
	v_mad_u64_u32 v[8:9], null, s4, v4, s[10:11]
	v_mul_lo_u32 v19, s4, v5
	v_mul_lo_u32 v20, s5, v4
	v_mad_u64_u32 v[10:11], null, s4, v6, s[10:11]
	v_mul_lo_u32 v31, s4, v7
	v_mul_lo_u32 v32, s5, v6
	s_mov_b32 s24, 0
	s_mov_b64 s[6:7], s[8:9]
                                        ; implicit-def: $sgpr25
                                        ; implicit-def: $sgpr26
                                        ; implicit-def: $sgpr27
                                        ; implicit-def: $sgpr28
                                        ; implicit-def: $sgpr29
	s_delay_alu instid0(VALU_DEP_4) | instskip(NEXT) | instid1(VALU_DEP_2)
	v_add3_u32 v9, v20, v9, v19
	v_add3_u32 v11, v32, v11, v31
	s_set_inst_prefetch_distance 0x1
	s_branch .LBB1488_869
	.p2align	6
.LBB1488_868:                           ;   in Loop: Header=BB1488_869 Depth=2
	s_or_b32 exec_lo, exec_lo, s3
	s_delay_alu instid0(SALU_CYCLE_1) | instskip(NEXT) | instid1(SALU_CYCLE_1)
	s_and_b32 s3, exec_lo, s26
	s_or_b32 s24, s3, s24
	s_and_not1_b32 s3, s29, exec_lo
	s_and_b32 s29, s28, exec_lo
	s_and_not1_b32 s25, s25, exec_lo
	s_and_b32 s30, s27, exec_lo
	s_or_b32 s29, s3, s29
	s_or_b32 s25, s25, s30
	s_and_not1_b32 exec_lo, exec_lo, s24
	s_cbranch_execz .LBB1488_813
.LBB1488_869:                           ;   Parent Loop BB1488_818 Depth=1
                                        ; =>  This Inner Loop Header: Depth=2
	global_load_b32 v19, v[8:9], off
	global_load_b32 v20, v[10:11], off
	s_and_not1_b32 s27, s27, exec_lo
	s_and_not1_b32 s28, s28, exec_lo
	s_or_b32 s26, s26, exec_lo
	s_waitcnt vmcnt(0)
	v_cmp_le_u32_e32 vcc_lo, v19, v20
	v_cmp_lt_u32_e64 s3, v19, v20
	s_and_b32 s30, vcc_lo, s29
	s_delay_alu instid0(VALU_DEP_1) | instid1(SALU_CYCLE_1)
	s_or_b32 s30, s3, s30
	s_delay_alu instid0(SALU_CYCLE_1) | instskip(NEXT) | instid1(SALU_CYCLE_1)
	s_and_b32 s3, s30, exec_lo
	s_or_b32 s27, s27, s3
	s_mov_b32 s3, exec_lo
	v_cmpx_eq_u32_e64 v19, v20
	s_cbranch_execz .LBB1488_868
; %bb.870:                              ;   in Loop: Header=BB1488_869 Depth=2
	s_add_u32 s6, s6, -1
	s_addc_u32 s7, s7, -1
	v_add_co_u32 v8, vcc_lo, v8, 4
	s_cmp_eq_u64 s[6:7], 0
	v_add_co_ci_u32_e32 v9, vcc_lo, 0, v9, vcc_lo
	v_add_co_u32 v10, vcc_lo, v10, 4
	s_cselect_b32 s29, -1, 0
	v_add_co_ci_u32_e32 v11, vcc_lo, 0, v11, vcc_lo
	s_and_not1_b32 s28, s28, exec_lo
	s_and_b32 s30, s30, exec_lo
	s_and_not1_b32 s26, s26, exec_lo
	s_and_b32 s29, s29, exec_lo
	s_or_b32 s28, s28, s30
	s_and_not1_b32 s27, s27, exec_lo
	s_or_b32 s26, s26, s29
                                        ; implicit-def: $sgpr29
	s_branch .LBB1488_868
.LBB1488_871:
	s_barrier
	buffer_gl0_inv
	ds_store_2addr_b64 v17, v[0:1], v[2:3] offset1:1
	ds_store_2addr_b64 v17, v[4:5], v[6:7] offset0:2 offset1:3
	s_waitcnt lgkmcnt(0)
	s_barrier
	buffer_gl0_inv
	ds_load_b64 v[6:7], v13 offset:2048
	ds_load_b64 v[2:3], v15 offset:4096
	;; [unrolled: 1-line block ×3, first 2 shown]
	v_add_co_u32 v4, s3, s14, v26
	v_mov_b32_e32 v13, 0
	v_add_co_ci_u32_e64 v5, null, s15, 0, s3
	s_and_saveexec_b32 s3, s0
	s_cbranch_execnz .LBB1488_879
; %bb.872:
	s_or_b32 exec_lo, exec_lo, s3
	s_and_saveexec_b32 s0, s1
	s_cbranch_execnz .LBB1488_880
.LBB1488_873:
	s_or_b32 exec_lo, exec_lo, s0
	s_and_saveexec_b32 s0, s2
	s_cbranch_execz .LBB1488_875
.LBB1488_874:
	v_add_co_u32 v4, vcc_lo, 0x1000, v4
	v_add_co_ci_u32_e32 v5, vcc_lo, 0, v5, vcc_lo
	s_waitcnt lgkmcnt(1)
	global_store_b64 v[4:5], v[2:3], off
.LBB1488_875:
	s_or_b32 exec_lo, exec_lo, s0
.LBB1488_876:
	s_and_saveexec_b32 s0, s19
	s_cbranch_execz .LBB1488_878
; %bb.877:
	s_waitcnt lgkmcnt(1)
	v_lshlrev_b64 v[2:3], 3, v[12:13]
	s_delay_alu instid0(VALU_DEP_1) | instskip(NEXT) | instid1(VALU_DEP_2)
	v_add_co_u32 v2, vcc_lo, s14, v2
	v_add_co_ci_u32_e32 v3, vcc_lo, s15, v3, vcc_lo
	s_delay_alu instid0(VALU_DEP_2) | instskip(NEXT) | instid1(VALU_DEP_2)
	v_add_co_u32 v2, vcc_lo, 0x1000, v2
	v_add_co_ci_u32_e32 v3, vcc_lo, 0, v3, vcc_lo
	s_waitcnt lgkmcnt(0)
	global_store_b64 v[2:3], v[0:1], off offset:2048
.LBB1488_878:
	s_nop 0
	s_sendmsg sendmsg(MSG_DEALLOC_VGPRS)
	s_endpgm
.LBB1488_879:
	ds_load_b64 v[8:9], v14
	s_waitcnt lgkmcnt(0)
	global_store_b64 v[4:5], v[8:9], off
	s_or_b32 exec_lo, exec_lo, s3
	s_and_saveexec_b32 s0, s1
	s_cbranch_execz .LBB1488_873
.LBB1488_880:
	s_waitcnt lgkmcnt(2)
	global_store_b64 v[4:5], v[6:7], off offset:2048
	s_or_b32 exec_lo, exec_lo, s0
	s_and_saveexec_b32 s0, s2
	s_cbranch_execnz .LBB1488_874
	s_branch .LBB1488_875
	.section	.rodata,"a",@progbits
	.p2align	6, 0x0
	.amdhsa_kernel _ZN7rocprim17ROCPRIM_400000_NS6detail17trampoline_kernelINS0_14default_configENS1_37merge_sort_block_sort_config_selectorIlNS0_10empty_typeEEEZNS1_21merge_sort_block_sortIS3_PlS8_PS5_S9_ZN2at6native12_GLOBAL__N_124unique_dim_cuda_templateIjEESt5tupleIJNSA_6TensorESF_SF_EERKSF_lbbbEUlllE_EE10hipError_tT0_T1_T2_T3_mRjT4_P12ihipStream_tbNS1_7vsmem_tEEUlT_E_NS1_11comp_targetILNS1_3genE9ELNS1_11target_archE1100ELNS1_3gpuE3ELNS1_3repE0EEENS1_30default_config_static_selectorELNS0_4arch9wavefront6targetE0EEEvSM_
		.amdhsa_group_segment_fixed_size 8448
		.amdhsa_private_segment_fixed_size 0
		.amdhsa_kernarg_size 328
		.amdhsa_user_sgpr_count 13
		.amdhsa_user_sgpr_dispatch_ptr 0
		.amdhsa_user_sgpr_queue_ptr 0
		.amdhsa_user_sgpr_kernarg_segment_ptr 1
		.amdhsa_user_sgpr_dispatch_id 0
		.amdhsa_user_sgpr_private_segment_size 0
		.amdhsa_wavefront_size32 1
		.amdhsa_uses_dynamic_stack 0
		.amdhsa_enable_private_segment 0
		.amdhsa_system_sgpr_workgroup_id_x 1
		.amdhsa_system_sgpr_workgroup_id_y 1
		.amdhsa_system_sgpr_workgroup_id_z 1
		.amdhsa_system_sgpr_workgroup_info 0
		.amdhsa_system_vgpr_workitem_id 2
		.amdhsa_next_free_vgpr 49
		.amdhsa_next_free_sgpr 32
		.amdhsa_reserve_vcc 1
		.amdhsa_float_round_mode_32 0
		.amdhsa_float_round_mode_16_64 0
		.amdhsa_float_denorm_mode_32 3
		.amdhsa_float_denorm_mode_16_64 3
		.amdhsa_dx10_clamp 1
		.amdhsa_ieee_mode 1
		.amdhsa_fp16_overflow 0
		.amdhsa_workgroup_processor_mode 1
		.amdhsa_memory_ordered 1
		.amdhsa_forward_progress 0
		.amdhsa_shared_vgpr_count 0
		.amdhsa_exception_fp_ieee_invalid_op 0
		.amdhsa_exception_fp_denorm_src 0
		.amdhsa_exception_fp_ieee_div_zero 0
		.amdhsa_exception_fp_ieee_overflow 0
		.amdhsa_exception_fp_ieee_underflow 0
		.amdhsa_exception_fp_ieee_inexact 0
		.amdhsa_exception_int_div_zero 0
	.end_amdhsa_kernel
	.section	.text._ZN7rocprim17ROCPRIM_400000_NS6detail17trampoline_kernelINS0_14default_configENS1_37merge_sort_block_sort_config_selectorIlNS0_10empty_typeEEEZNS1_21merge_sort_block_sortIS3_PlS8_PS5_S9_ZN2at6native12_GLOBAL__N_124unique_dim_cuda_templateIjEESt5tupleIJNSA_6TensorESF_SF_EERKSF_lbbbEUlllE_EE10hipError_tT0_T1_T2_T3_mRjT4_P12ihipStream_tbNS1_7vsmem_tEEUlT_E_NS1_11comp_targetILNS1_3genE9ELNS1_11target_archE1100ELNS1_3gpuE3ELNS1_3repE0EEENS1_30default_config_static_selectorELNS0_4arch9wavefront6targetE0EEEvSM_,"axG",@progbits,_ZN7rocprim17ROCPRIM_400000_NS6detail17trampoline_kernelINS0_14default_configENS1_37merge_sort_block_sort_config_selectorIlNS0_10empty_typeEEEZNS1_21merge_sort_block_sortIS3_PlS8_PS5_S9_ZN2at6native12_GLOBAL__N_124unique_dim_cuda_templateIjEESt5tupleIJNSA_6TensorESF_SF_EERKSF_lbbbEUlllE_EE10hipError_tT0_T1_T2_T3_mRjT4_P12ihipStream_tbNS1_7vsmem_tEEUlT_E_NS1_11comp_targetILNS1_3genE9ELNS1_11target_archE1100ELNS1_3gpuE3ELNS1_3repE0EEENS1_30default_config_static_selectorELNS0_4arch9wavefront6targetE0EEEvSM_,comdat
.Lfunc_end1488:
	.size	_ZN7rocprim17ROCPRIM_400000_NS6detail17trampoline_kernelINS0_14default_configENS1_37merge_sort_block_sort_config_selectorIlNS0_10empty_typeEEEZNS1_21merge_sort_block_sortIS3_PlS8_PS5_S9_ZN2at6native12_GLOBAL__N_124unique_dim_cuda_templateIjEESt5tupleIJNSA_6TensorESF_SF_EERKSF_lbbbEUlllE_EE10hipError_tT0_T1_T2_T3_mRjT4_P12ihipStream_tbNS1_7vsmem_tEEUlT_E_NS1_11comp_targetILNS1_3genE9ELNS1_11target_archE1100ELNS1_3gpuE3ELNS1_3repE0EEENS1_30default_config_static_selectorELNS0_4arch9wavefront6targetE0EEEvSM_, .Lfunc_end1488-_ZN7rocprim17ROCPRIM_400000_NS6detail17trampoline_kernelINS0_14default_configENS1_37merge_sort_block_sort_config_selectorIlNS0_10empty_typeEEEZNS1_21merge_sort_block_sortIS3_PlS8_PS5_S9_ZN2at6native12_GLOBAL__N_124unique_dim_cuda_templateIjEESt5tupleIJNSA_6TensorESF_SF_EERKSF_lbbbEUlllE_EE10hipError_tT0_T1_T2_T3_mRjT4_P12ihipStream_tbNS1_7vsmem_tEEUlT_E_NS1_11comp_targetILNS1_3genE9ELNS1_11target_archE1100ELNS1_3gpuE3ELNS1_3repE0EEENS1_30default_config_static_selectorELNS0_4arch9wavefront6targetE0EEEvSM_
                                        ; -- End function
	.section	.AMDGPU.csdata,"",@progbits
; Kernel info:
; codeLenInByte = 42940
; NumSgprs: 34
; NumVgprs: 49
; ScratchSize: 0
; MemoryBound: 0
; FloatMode: 240
; IeeeMode: 1
; LDSByteSize: 8448 bytes/workgroup (compile time only)
; SGPRBlocks: 4
; VGPRBlocks: 6
; NumSGPRsForWavesPerEU: 34
; NumVGPRsForWavesPerEU: 49
; Occupancy: 16
; WaveLimiterHint : 1
; COMPUTE_PGM_RSRC2:SCRATCH_EN: 0
; COMPUTE_PGM_RSRC2:USER_SGPR: 13
; COMPUTE_PGM_RSRC2:TRAP_HANDLER: 0
; COMPUTE_PGM_RSRC2:TGID_X_EN: 1
; COMPUTE_PGM_RSRC2:TGID_Y_EN: 1
; COMPUTE_PGM_RSRC2:TGID_Z_EN: 1
; COMPUTE_PGM_RSRC2:TIDIG_COMP_CNT: 2
	.section	.text._ZN7rocprim17ROCPRIM_400000_NS6detail17trampoline_kernelINS0_14default_configENS1_37merge_sort_block_sort_config_selectorIlNS0_10empty_typeEEEZNS1_21merge_sort_block_sortIS3_PlS8_PS5_S9_ZN2at6native12_GLOBAL__N_124unique_dim_cuda_templateIjEESt5tupleIJNSA_6TensorESF_SF_EERKSF_lbbbEUlllE_EE10hipError_tT0_T1_T2_T3_mRjT4_P12ihipStream_tbNS1_7vsmem_tEEUlT_E_NS1_11comp_targetILNS1_3genE8ELNS1_11target_archE1030ELNS1_3gpuE2ELNS1_3repE0EEENS1_30default_config_static_selectorELNS0_4arch9wavefront6targetE0EEEvSM_,"axG",@progbits,_ZN7rocprim17ROCPRIM_400000_NS6detail17trampoline_kernelINS0_14default_configENS1_37merge_sort_block_sort_config_selectorIlNS0_10empty_typeEEEZNS1_21merge_sort_block_sortIS3_PlS8_PS5_S9_ZN2at6native12_GLOBAL__N_124unique_dim_cuda_templateIjEESt5tupleIJNSA_6TensorESF_SF_EERKSF_lbbbEUlllE_EE10hipError_tT0_T1_T2_T3_mRjT4_P12ihipStream_tbNS1_7vsmem_tEEUlT_E_NS1_11comp_targetILNS1_3genE8ELNS1_11target_archE1030ELNS1_3gpuE2ELNS1_3repE0EEENS1_30default_config_static_selectorELNS0_4arch9wavefront6targetE0EEEvSM_,comdat
	.globl	_ZN7rocprim17ROCPRIM_400000_NS6detail17trampoline_kernelINS0_14default_configENS1_37merge_sort_block_sort_config_selectorIlNS0_10empty_typeEEEZNS1_21merge_sort_block_sortIS3_PlS8_PS5_S9_ZN2at6native12_GLOBAL__N_124unique_dim_cuda_templateIjEESt5tupleIJNSA_6TensorESF_SF_EERKSF_lbbbEUlllE_EE10hipError_tT0_T1_T2_T3_mRjT4_P12ihipStream_tbNS1_7vsmem_tEEUlT_E_NS1_11comp_targetILNS1_3genE8ELNS1_11target_archE1030ELNS1_3gpuE2ELNS1_3repE0EEENS1_30default_config_static_selectorELNS0_4arch9wavefront6targetE0EEEvSM_ ; -- Begin function _ZN7rocprim17ROCPRIM_400000_NS6detail17trampoline_kernelINS0_14default_configENS1_37merge_sort_block_sort_config_selectorIlNS0_10empty_typeEEEZNS1_21merge_sort_block_sortIS3_PlS8_PS5_S9_ZN2at6native12_GLOBAL__N_124unique_dim_cuda_templateIjEESt5tupleIJNSA_6TensorESF_SF_EERKSF_lbbbEUlllE_EE10hipError_tT0_T1_T2_T3_mRjT4_P12ihipStream_tbNS1_7vsmem_tEEUlT_E_NS1_11comp_targetILNS1_3genE8ELNS1_11target_archE1030ELNS1_3gpuE2ELNS1_3repE0EEENS1_30default_config_static_selectorELNS0_4arch9wavefront6targetE0EEEvSM_
	.p2align	8
	.type	_ZN7rocprim17ROCPRIM_400000_NS6detail17trampoline_kernelINS0_14default_configENS1_37merge_sort_block_sort_config_selectorIlNS0_10empty_typeEEEZNS1_21merge_sort_block_sortIS3_PlS8_PS5_S9_ZN2at6native12_GLOBAL__N_124unique_dim_cuda_templateIjEESt5tupleIJNSA_6TensorESF_SF_EERKSF_lbbbEUlllE_EE10hipError_tT0_T1_T2_T3_mRjT4_P12ihipStream_tbNS1_7vsmem_tEEUlT_E_NS1_11comp_targetILNS1_3genE8ELNS1_11target_archE1030ELNS1_3gpuE2ELNS1_3repE0EEENS1_30default_config_static_selectorELNS0_4arch9wavefront6targetE0EEEvSM_,@function
_ZN7rocprim17ROCPRIM_400000_NS6detail17trampoline_kernelINS0_14default_configENS1_37merge_sort_block_sort_config_selectorIlNS0_10empty_typeEEEZNS1_21merge_sort_block_sortIS3_PlS8_PS5_S9_ZN2at6native12_GLOBAL__N_124unique_dim_cuda_templateIjEESt5tupleIJNSA_6TensorESF_SF_EERKSF_lbbbEUlllE_EE10hipError_tT0_T1_T2_T3_mRjT4_P12ihipStream_tbNS1_7vsmem_tEEUlT_E_NS1_11comp_targetILNS1_3genE8ELNS1_11target_archE1030ELNS1_3gpuE2ELNS1_3repE0EEENS1_30default_config_static_selectorELNS0_4arch9wavefront6targetE0EEEvSM_: ; @_ZN7rocprim17ROCPRIM_400000_NS6detail17trampoline_kernelINS0_14default_configENS1_37merge_sort_block_sort_config_selectorIlNS0_10empty_typeEEEZNS1_21merge_sort_block_sortIS3_PlS8_PS5_S9_ZN2at6native12_GLOBAL__N_124unique_dim_cuda_templateIjEESt5tupleIJNSA_6TensorESF_SF_EERKSF_lbbbEUlllE_EE10hipError_tT0_T1_T2_T3_mRjT4_P12ihipStream_tbNS1_7vsmem_tEEUlT_E_NS1_11comp_targetILNS1_3genE8ELNS1_11target_archE1030ELNS1_3gpuE2ELNS1_3repE0EEENS1_30default_config_static_selectorELNS0_4arch9wavefront6targetE0EEEvSM_
; %bb.0:
	.section	.rodata,"a",@progbits
	.p2align	6, 0x0
	.amdhsa_kernel _ZN7rocprim17ROCPRIM_400000_NS6detail17trampoline_kernelINS0_14default_configENS1_37merge_sort_block_sort_config_selectorIlNS0_10empty_typeEEEZNS1_21merge_sort_block_sortIS3_PlS8_PS5_S9_ZN2at6native12_GLOBAL__N_124unique_dim_cuda_templateIjEESt5tupleIJNSA_6TensorESF_SF_EERKSF_lbbbEUlllE_EE10hipError_tT0_T1_T2_T3_mRjT4_P12ihipStream_tbNS1_7vsmem_tEEUlT_E_NS1_11comp_targetILNS1_3genE8ELNS1_11target_archE1030ELNS1_3gpuE2ELNS1_3repE0EEENS1_30default_config_static_selectorELNS0_4arch9wavefront6targetE0EEEvSM_
		.amdhsa_group_segment_fixed_size 0
		.amdhsa_private_segment_fixed_size 0
		.amdhsa_kernarg_size 72
		.amdhsa_user_sgpr_count 15
		.amdhsa_user_sgpr_dispatch_ptr 0
		.amdhsa_user_sgpr_queue_ptr 0
		.amdhsa_user_sgpr_kernarg_segment_ptr 1
		.amdhsa_user_sgpr_dispatch_id 0
		.amdhsa_user_sgpr_private_segment_size 0
		.amdhsa_wavefront_size32 1
		.amdhsa_uses_dynamic_stack 0
		.amdhsa_enable_private_segment 0
		.amdhsa_system_sgpr_workgroup_id_x 1
		.amdhsa_system_sgpr_workgroup_id_y 0
		.amdhsa_system_sgpr_workgroup_id_z 0
		.amdhsa_system_sgpr_workgroup_info 0
		.amdhsa_system_vgpr_workitem_id 0
		.amdhsa_next_free_vgpr 1
		.amdhsa_next_free_sgpr 1
		.amdhsa_reserve_vcc 0
		.amdhsa_float_round_mode_32 0
		.amdhsa_float_round_mode_16_64 0
		.amdhsa_float_denorm_mode_32 3
		.amdhsa_float_denorm_mode_16_64 3
		.amdhsa_dx10_clamp 1
		.amdhsa_ieee_mode 1
		.amdhsa_fp16_overflow 0
		.amdhsa_workgroup_processor_mode 1
		.amdhsa_memory_ordered 1
		.amdhsa_forward_progress 0
		.amdhsa_shared_vgpr_count 0
		.amdhsa_exception_fp_ieee_invalid_op 0
		.amdhsa_exception_fp_denorm_src 0
		.amdhsa_exception_fp_ieee_div_zero 0
		.amdhsa_exception_fp_ieee_overflow 0
		.amdhsa_exception_fp_ieee_underflow 0
		.amdhsa_exception_fp_ieee_inexact 0
		.amdhsa_exception_int_div_zero 0
	.end_amdhsa_kernel
	.section	.text._ZN7rocprim17ROCPRIM_400000_NS6detail17trampoline_kernelINS0_14default_configENS1_37merge_sort_block_sort_config_selectorIlNS0_10empty_typeEEEZNS1_21merge_sort_block_sortIS3_PlS8_PS5_S9_ZN2at6native12_GLOBAL__N_124unique_dim_cuda_templateIjEESt5tupleIJNSA_6TensorESF_SF_EERKSF_lbbbEUlllE_EE10hipError_tT0_T1_T2_T3_mRjT4_P12ihipStream_tbNS1_7vsmem_tEEUlT_E_NS1_11comp_targetILNS1_3genE8ELNS1_11target_archE1030ELNS1_3gpuE2ELNS1_3repE0EEENS1_30default_config_static_selectorELNS0_4arch9wavefront6targetE0EEEvSM_,"axG",@progbits,_ZN7rocprim17ROCPRIM_400000_NS6detail17trampoline_kernelINS0_14default_configENS1_37merge_sort_block_sort_config_selectorIlNS0_10empty_typeEEEZNS1_21merge_sort_block_sortIS3_PlS8_PS5_S9_ZN2at6native12_GLOBAL__N_124unique_dim_cuda_templateIjEESt5tupleIJNSA_6TensorESF_SF_EERKSF_lbbbEUlllE_EE10hipError_tT0_T1_T2_T3_mRjT4_P12ihipStream_tbNS1_7vsmem_tEEUlT_E_NS1_11comp_targetILNS1_3genE8ELNS1_11target_archE1030ELNS1_3gpuE2ELNS1_3repE0EEENS1_30default_config_static_selectorELNS0_4arch9wavefront6targetE0EEEvSM_,comdat
.Lfunc_end1489:
	.size	_ZN7rocprim17ROCPRIM_400000_NS6detail17trampoline_kernelINS0_14default_configENS1_37merge_sort_block_sort_config_selectorIlNS0_10empty_typeEEEZNS1_21merge_sort_block_sortIS3_PlS8_PS5_S9_ZN2at6native12_GLOBAL__N_124unique_dim_cuda_templateIjEESt5tupleIJNSA_6TensorESF_SF_EERKSF_lbbbEUlllE_EE10hipError_tT0_T1_T2_T3_mRjT4_P12ihipStream_tbNS1_7vsmem_tEEUlT_E_NS1_11comp_targetILNS1_3genE8ELNS1_11target_archE1030ELNS1_3gpuE2ELNS1_3repE0EEENS1_30default_config_static_selectorELNS0_4arch9wavefront6targetE0EEEvSM_, .Lfunc_end1489-_ZN7rocprim17ROCPRIM_400000_NS6detail17trampoline_kernelINS0_14default_configENS1_37merge_sort_block_sort_config_selectorIlNS0_10empty_typeEEEZNS1_21merge_sort_block_sortIS3_PlS8_PS5_S9_ZN2at6native12_GLOBAL__N_124unique_dim_cuda_templateIjEESt5tupleIJNSA_6TensorESF_SF_EERKSF_lbbbEUlllE_EE10hipError_tT0_T1_T2_T3_mRjT4_P12ihipStream_tbNS1_7vsmem_tEEUlT_E_NS1_11comp_targetILNS1_3genE8ELNS1_11target_archE1030ELNS1_3gpuE2ELNS1_3repE0EEENS1_30default_config_static_selectorELNS0_4arch9wavefront6targetE0EEEvSM_
                                        ; -- End function
	.section	.AMDGPU.csdata,"",@progbits
; Kernel info:
; codeLenInByte = 0
; NumSgprs: 0
; NumVgprs: 0
; ScratchSize: 0
; MemoryBound: 0
; FloatMode: 240
; IeeeMode: 1
; LDSByteSize: 0 bytes/workgroup (compile time only)
; SGPRBlocks: 0
; VGPRBlocks: 0
; NumSGPRsForWavesPerEU: 1
; NumVGPRsForWavesPerEU: 1
; Occupancy: 16
; WaveLimiterHint : 0
; COMPUTE_PGM_RSRC2:SCRATCH_EN: 0
; COMPUTE_PGM_RSRC2:USER_SGPR: 15
; COMPUTE_PGM_RSRC2:TRAP_HANDLER: 0
; COMPUTE_PGM_RSRC2:TGID_X_EN: 1
; COMPUTE_PGM_RSRC2:TGID_Y_EN: 0
; COMPUTE_PGM_RSRC2:TGID_Z_EN: 0
; COMPUTE_PGM_RSRC2:TIDIG_COMP_CNT: 0
	.section	.text._ZN7rocprim17ROCPRIM_400000_NS6detail17trampoline_kernelINS0_14default_configENS1_38merge_sort_block_merge_config_selectorIlNS0_10empty_typeEEEZZNS1_27merge_sort_block_merge_implIS3_PlPS5_mZN2at6native12_GLOBAL__N_124unique_dim_cuda_templateIjEESt5tupleIJNSA_6TensorESF_SF_EERKSF_lbbbEUlllE_EE10hipError_tT0_T1_T2_jT3_P12ihipStream_tbPNSt15iterator_traitsISL_E10value_typeEPNSR_ISM_E10value_typeEPSN_NS1_7vsmem_tEENKUlT_SL_SM_SN_E_clIS8_S8_S9_S9_EESK_S10_SL_SM_SN_EUlS10_E_NS1_11comp_targetILNS1_3genE0ELNS1_11target_archE4294967295ELNS1_3gpuE0ELNS1_3repE0EEENS1_48merge_mergepath_partition_config_static_selectorELNS0_4arch9wavefront6targetE0EEEvSM_,"axG",@progbits,_ZN7rocprim17ROCPRIM_400000_NS6detail17trampoline_kernelINS0_14default_configENS1_38merge_sort_block_merge_config_selectorIlNS0_10empty_typeEEEZZNS1_27merge_sort_block_merge_implIS3_PlPS5_mZN2at6native12_GLOBAL__N_124unique_dim_cuda_templateIjEESt5tupleIJNSA_6TensorESF_SF_EERKSF_lbbbEUlllE_EE10hipError_tT0_T1_T2_jT3_P12ihipStream_tbPNSt15iterator_traitsISL_E10value_typeEPNSR_ISM_E10value_typeEPSN_NS1_7vsmem_tEENKUlT_SL_SM_SN_E_clIS8_S8_S9_S9_EESK_S10_SL_SM_SN_EUlS10_E_NS1_11comp_targetILNS1_3genE0ELNS1_11target_archE4294967295ELNS1_3gpuE0ELNS1_3repE0EEENS1_48merge_mergepath_partition_config_static_selectorELNS0_4arch9wavefront6targetE0EEEvSM_,comdat
	.globl	_ZN7rocprim17ROCPRIM_400000_NS6detail17trampoline_kernelINS0_14default_configENS1_38merge_sort_block_merge_config_selectorIlNS0_10empty_typeEEEZZNS1_27merge_sort_block_merge_implIS3_PlPS5_mZN2at6native12_GLOBAL__N_124unique_dim_cuda_templateIjEESt5tupleIJNSA_6TensorESF_SF_EERKSF_lbbbEUlllE_EE10hipError_tT0_T1_T2_jT3_P12ihipStream_tbPNSt15iterator_traitsISL_E10value_typeEPNSR_ISM_E10value_typeEPSN_NS1_7vsmem_tEENKUlT_SL_SM_SN_E_clIS8_S8_S9_S9_EESK_S10_SL_SM_SN_EUlS10_E_NS1_11comp_targetILNS1_3genE0ELNS1_11target_archE4294967295ELNS1_3gpuE0ELNS1_3repE0EEENS1_48merge_mergepath_partition_config_static_selectorELNS0_4arch9wavefront6targetE0EEEvSM_ ; -- Begin function _ZN7rocprim17ROCPRIM_400000_NS6detail17trampoline_kernelINS0_14default_configENS1_38merge_sort_block_merge_config_selectorIlNS0_10empty_typeEEEZZNS1_27merge_sort_block_merge_implIS3_PlPS5_mZN2at6native12_GLOBAL__N_124unique_dim_cuda_templateIjEESt5tupleIJNSA_6TensorESF_SF_EERKSF_lbbbEUlllE_EE10hipError_tT0_T1_T2_jT3_P12ihipStream_tbPNSt15iterator_traitsISL_E10value_typeEPNSR_ISM_E10value_typeEPSN_NS1_7vsmem_tEENKUlT_SL_SM_SN_E_clIS8_S8_S9_S9_EESK_S10_SL_SM_SN_EUlS10_E_NS1_11comp_targetILNS1_3genE0ELNS1_11target_archE4294967295ELNS1_3gpuE0ELNS1_3repE0EEENS1_48merge_mergepath_partition_config_static_selectorELNS0_4arch9wavefront6targetE0EEEvSM_
	.p2align	8
	.type	_ZN7rocprim17ROCPRIM_400000_NS6detail17trampoline_kernelINS0_14default_configENS1_38merge_sort_block_merge_config_selectorIlNS0_10empty_typeEEEZZNS1_27merge_sort_block_merge_implIS3_PlPS5_mZN2at6native12_GLOBAL__N_124unique_dim_cuda_templateIjEESt5tupleIJNSA_6TensorESF_SF_EERKSF_lbbbEUlllE_EE10hipError_tT0_T1_T2_jT3_P12ihipStream_tbPNSt15iterator_traitsISL_E10value_typeEPNSR_ISM_E10value_typeEPSN_NS1_7vsmem_tEENKUlT_SL_SM_SN_E_clIS8_S8_S9_S9_EESK_S10_SL_SM_SN_EUlS10_E_NS1_11comp_targetILNS1_3genE0ELNS1_11target_archE4294967295ELNS1_3gpuE0ELNS1_3repE0EEENS1_48merge_mergepath_partition_config_static_selectorELNS0_4arch9wavefront6targetE0EEEvSM_,@function
_ZN7rocprim17ROCPRIM_400000_NS6detail17trampoline_kernelINS0_14default_configENS1_38merge_sort_block_merge_config_selectorIlNS0_10empty_typeEEEZZNS1_27merge_sort_block_merge_implIS3_PlPS5_mZN2at6native12_GLOBAL__N_124unique_dim_cuda_templateIjEESt5tupleIJNSA_6TensorESF_SF_EERKSF_lbbbEUlllE_EE10hipError_tT0_T1_T2_jT3_P12ihipStream_tbPNSt15iterator_traitsISL_E10value_typeEPNSR_ISM_E10value_typeEPSN_NS1_7vsmem_tEENKUlT_SL_SM_SN_E_clIS8_S8_S9_S9_EESK_S10_SL_SM_SN_EUlS10_E_NS1_11comp_targetILNS1_3genE0ELNS1_11target_archE4294967295ELNS1_3gpuE0ELNS1_3repE0EEENS1_48merge_mergepath_partition_config_static_selectorELNS0_4arch9wavefront6targetE0EEEvSM_: ; @_ZN7rocprim17ROCPRIM_400000_NS6detail17trampoline_kernelINS0_14default_configENS1_38merge_sort_block_merge_config_selectorIlNS0_10empty_typeEEEZZNS1_27merge_sort_block_merge_implIS3_PlPS5_mZN2at6native12_GLOBAL__N_124unique_dim_cuda_templateIjEESt5tupleIJNSA_6TensorESF_SF_EERKSF_lbbbEUlllE_EE10hipError_tT0_T1_T2_jT3_P12ihipStream_tbPNSt15iterator_traitsISL_E10value_typeEPNSR_ISM_E10value_typeEPSN_NS1_7vsmem_tEENKUlT_SL_SM_SN_E_clIS8_S8_S9_S9_EESK_S10_SL_SM_SN_EUlS10_E_NS1_11comp_targetILNS1_3genE0ELNS1_11target_archE4294967295ELNS1_3gpuE0ELNS1_3repE0EEENS1_48merge_mergepath_partition_config_static_selectorELNS0_4arch9wavefront6targetE0EEEvSM_
; %bb.0:
	.section	.rodata,"a",@progbits
	.p2align	6, 0x0
	.amdhsa_kernel _ZN7rocprim17ROCPRIM_400000_NS6detail17trampoline_kernelINS0_14default_configENS1_38merge_sort_block_merge_config_selectorIlNS0_10empty_typeEEEZZNS1_27merge_sort_block_merge_implIS3_PlPS5_mZN2at6native12_GLOBAL__N_124unique_dim_cuda_templateIjEESt5tupleIJNSA_6TensorESF_SF_EERKSF_lbbbEUlllE_EE10hipError_tT0_T1_T2_jT3_P12ihipStream_tbPNSt15iterator_traitsISL_E10value_typeEPNSR_ISM_E10value_typeEPSN_NS1_7vsmem_tEENKUlT_SL_SM_SN_E_clIS8_S8_S9_S9_EESK_S10_SL_SM_SN_EUlS10_E_NS1_11comp_targetILNS1_3genE0ELNS1_11target_archE4294967295ELNS1_3gpuE0ELNS1_3repE0EEENS1_48merge_mergepath_partition_config_static_selectorELNS0_4arch9wavefront6targetE0EEEvSM_
		.amdhsa_group_segment_fixed_size 0
		.amdhsa_private_segment_fixed_size 0
		.amdhsa_kernarg_size 56
		.amdhsa_user_sgpr_count 15
		.amdhsa_user_sgpr_dispatch_ptr 0
		.amdhsa_user_sgpr_queue_ptr 0
		.amdhsa_user_sgpr_kernarg_segment_ptr 1
		.amdhsa_user_sgpr_dispatch_id 0
		.amdhsa_user_sgpr_private_segment_size 0
		.amdhsa_wavefront_size32 1
		.amdhsa_uses_dynamic_stack 0
		.amdhsa_enable_private_segment 0
		.amdhsa_system_sgpr_workgroup_id_x 1
		.amdhsa_system_sgpr_workgroup_id_y 0
		.amdhsa_system_sgpr_workgroup_id_z 0
		.amdhsa_system_sgpr_workgroup_info 0
		.amdhsa_system_vgpr_workitem_id 0
		.amdhsa_next_free_vgpr 1
		.amdhsa_next_free_sgpr 1
		.amdhsa_reserve_vcc 0
		.amdhsa_float_round_mode_32 0
		.amdhsa_float_round_mode_16_64 0
		.amdhsa_float_denorm_mode_32 3
		.amdhsa_float_denorm_mode_16_64 3
		.amdhsa_dx10_clamp 1
		.amdhsa_ieee_mode 1
		.amdhsa_fp16_overflow 0
		.amdhsa_workgroup_processor_mode 1
		.amdhsa_memory_ordered 1
		.amdhsa_forward_progress 0
		.amdhsa_shared_vgpr_count 0
		.amdhsa_exception_fp_ieee_invalid_op 0
		.amdhsa_exception_fp_denorm_src 0
		.amdhsa_exception_fp_ieee_div_zero 0
		.amdhsa_exception_fp_ieee_overflow 0
		.amdhsa_exception_fp_ieee_underflow 0
		.amdhsa_exception_fp_ieee_inexact 0
		.amdhsa_exception_int_div_zero 0
	.end_amdhsa_kernel
	.section	.text._ZN7rocprim17ROCPRIM_400000_NS6detail17trampoline_kernelINS0_14default_configENS1_38merge_sort_block_merge_config_selectorIlNS0_10empty_typeEEEZZNS1_27merge_sort_block_merge_implIS3_PlPS5_mZN2at6native12_GLOBAL__N_124unique_dim_cuda_templateIjEESt5tupleIJNSA_6TensorESF_SF_EERKSF_lbbbEUlllE_EE10hipError_tT0_T1_T2_jT3_P12ihipStream_tbPNSt15iterator_traitsISL_E10value_typeEPNSR_ISM_E10value_typeEPSN_NS1_7vsmem_tEENKUlT_SL_SM_SN_E_clIS8_S8_S9_S9_EESK_S10_SL_SM_SN_EUlS10_E_NS1_11comp_targetILNS1_3genE0ELNS1_11target_archE4294967295ELNS1_3gpuE0ELNS1_3repE0EEENS1_48merge_mergepath_partition_config_static_selectorELNS0_4arch9wavefront6targetE0EEEvSM_,"axG",@progbits,_ZN7rocprim17ROCPRIM_400000_NS6detail17trampoline_kernelINS0_14default_configENS1_38merge_sort_block_merge_config_selectorIlNS0_10empty_typeEEEZZNS1_27merge_sort_block_merge_implIS3_PlPS5_mZN2at6native12_GLOBAL__N_124unique_dim_cuda_templateIjEESt5tupleIJNSA_6TensorESF_SF_EERKSF_lbbbEUlllE_EE10hipError_tT0_T1_T2_jT3_P12ihipStream_tbPNSt15iterator_traitsISL_E10value_typeEPNSR_ISM_E10value_typeEPSN_NS1_7vsmem_tEENKUlT_SL_SM_SN_E_clIS8_S8_S9_S9_EESK_S10_SL_SM_SN_EUlS10_E_NS1_11comp_targetILNS1_3genE0ELNS1_11target_archE4294967295ELNS1_3gpuE0ELNS1_3repE0EEENS1_48merge_mergepath_partition_config_static_selectorELNS0_4arch9wavefront6targetE0EEEvSM_,comdat
.Lfunc_end1490:
	.size	_ZN7rocprim17ROCPRIM_400000_NS6detail17trampoline_kernelINS0_14default_configENS1_38merge_sort_block_merge_config_selectorIlNS0_10empty_typeEEEZZNS1_27merge_sort_block_merge_implIS3_PlPS5_mZN2at6native12_GLOBAL__N_124unique_dim_cuda_templateIjEESt5tupleIJNSA_6TensorESF_SF_EERKSF_lbbbEUlllE_EE10hipError_tT0_T1_T2_jT3_P12ihipStream_tbPNSt15iterator_traitsISL_E10value_typeEPNSR_ISM_E10value_typeEPSN_NS1_7vsmem_tEENKUlT_SL_SM_SN_E_clIS8_S8_S9_S9_EESK_S10_SL_SM_SN_EUlS10_E_NS1_11comp_targetILNS1_3genE0ELNS1_11target_archE4294967295ELNS1_3gpuE0ELNS1_3repE0EEENS1_48merge_mergepath_partition_config_static_selectorELNS0_4arch9wavefront6targetE0EEEvSM_, .Lfunc_end1490-_ZN7rocprim17ROCPRIM_400000_NS6detail17trampoline_kernelINS0_14default_configENS1_38merge_sort_block_merge_config_selectorIlNS0_10empty_typeEEEZZNS1_27merge_sort_block_merge_implIS3_PlPS5_mZN2at6native12_GLOBAL__N_124unique_dim_cuda_templateIjEESt5tupleIJNSA_6TensorESF_SF_EERKSF_lbbbEUlllE_EE10hipError_tT0_T1_T2_jT3_P12ihipStream_tbPNSt15iterator_traitsISL_E10value_typeEPNSR_ISM_E10value_typeEPSN_NS1_7vsmem_tEENKUlT_SL_SM_SN_E_clIS8_S8_S9_S9_EESK_S10_SL_SM_SN_EUlS10_E_NS1_11comp_targetILNS1_3genE0ELNS1_11target_archE4294967295ELNS1_3gpuE0ELNS1_3repE0EEENS1_48merge_mergepath_partition_config_static_selectorELNS0_4arch9wavefront6targetE0EEEvSM_
                                        ; -- End function
	.section	.AMDGPU.csdata,"",@progbits
; Kernel info:
; codeLenInByte = 0
; NumSgprs: 0
; NumVgprs: 0
; ScratchSize: 0
; MemoryBound: 0
; FloatMode: 240
; IeeeMode: 1
; LDSByteSize: 0 bytes/workgroup (compile time only)
; SGPRBlocks: 0
; VGPRBlocks: 0
; NumSGPRsForWavesPerEU: 1
; NumVGPRsForWavesPerEU: 1
; Occupancy: 16
; WaveLimiterHint : 0
; COMPUTE_PGM_RSRC2:SCRATCH_EN: 0
; COMPUTE_PGM_RSRC2:USER_SGPR: 15
; COMPUTE_PGM_RSRC2:TRAP_HANDLER: 0
; COMPUTE_PGM_RSRC2:TGID_X_EN: 1
; COMPUTE_PGM_RSRC2:TGID_Y_EN: 0
; COMPUTE_PGM_RSRC2:TGID_Z_EN: 0
; COMPUTE_PGM_RSRC2:TIDIG_COMP_CNT: 0
	.section	.text._ZN7rocprim17ROCPRIM_400000_NS6detail17trampoline_kernelINS0_14default_configENS1_38merge_sort_block_merge_config_selectorIlNS0_10empty_typeEEEZZNS1_27merge_sort_block_merge_implIS3_PlPS5_mZN2at6native12_GLOBAL__N_124unique_dim_cuda_templateIjEESt5tupleIJNSA_6TensorESF_SF_EERKSF_lbbbEUlllE_EE10hipError_tT0_T1_T2_jT3_P12ihipStream_tbPNSt15iterator_traitsISL_E10value_typeEPNSR_ISM_E10value_typeEPSN_NS1_7vsmem_tEENKUlT_SL_SM_SN_E_clIS8_S8_S9_S9_EESK_S10_SL_SM_SN_EUlS10_E_NS1_11comp_targetILNS1_3genE10ELNS1_11target_archE1201ELNS1_3gpuE5ELNS1_3repE0EEENS1_48merge_mergepath_partition_config_static_selectorELNS0_4arch9wavefront6targetE0EEEvSM_,"axG",@progbits,_ZN7rocprim17ROCPRIM_400000_NS6detail17trampoline_kernelINS0_14default_configENS1_38merge_sort_block_merge_config_selectorIlNS0_10empty_typeEEEZZNS1_27merge_sort_block_merge_implIS3_PlPS5_mZN2at6native12_GLOBAL__N_124unique_dim_cuda_templateIjEESt5tupleIJNSA_6TensorESF_SF_EERKSF_lbbbEUlllE_EE10hipError_tT0_T1_T2_jT3_P12ihipStream_tbPNSt15iterator_traitsISL_E10value_typeEPNSR_ISM_E10value_typeEPSN_NS1_7vsmem_tEENKUlT_SL_SM_SN_E_clIS8_S8_S9_S9_EESK_S10_SL_SM_SN_EUlS10_E_NS1_11comp_targetILNS1_3genE10ELNS1_11target_archE1201ELNS1_3gpuE5ELNS1_3repE0EEENS1_48merge_mergepath_partition_config_static_selectorELNS0_4arch9wavefront6targetE0EEEvSM_,comdat
	.globl	_ZN7rocprim17ROCPRIM_400000_NS6detail17trampoline_kernelINS0_14default_configENS1_38merge_sort_block_merge_config_selectorIlNS0_10empty_typeEEEZZNS1_27merge_sort_block_merge_implIS3_PlPS5_mZN2at6native12_GLOBAL__N_124unique_dim_cuda_templateIjEESt5tupleIJNSA_6TensorESF_SF_EERKSF_lbbbEUlllE_EE10hipError_tT0_T1_T2_jT3_P12ihipStream_tbPNSt15iterator_traitsISL_E10value_typeEPNSR_ISM_E10value_typeEPSN_NS1_7vsmem_tEENKUlT_SL_SM_SN_E_clIS8_S8_S9_S9_EESK_S10_SL_SM_SN_EUlS10_E_NS1_11comp_targetILNS1_3genE10ELNS1_11target_archE1201ELNS1_3gpuE5ELNS1_3repE0EEENS1_48merge_mergepath_partition_config_static_selectorELNS0_4arch9wavefront6targetE0EEEvSM_ ; -- Begin function _ZN7rocprim17ROCPRIM_400000_NS6detail17trampoline_kernelINS0_14default_configENS1_38merge_sort_block_merge_config_selectorIlNS0_10empty_typeEEEZZNS1_27merge_sort_block_merge_implIS3_PlPS5_mZN2at6native12_GLOBAL__N_124unique_dim_cuda_templateIjEESt5tupleIJNSA_6TensorESF_SF_EERKSF_lbbbEUlllE_EE10hipError_tT0_T1_T2_jT3_P12ihipStream_tbPNSt15iterator_traitsISL_E10value_typeEPNSR_ISM_E10value_typeEPSN_NS1_7vsmem_tEENKUlT_SL_SM_SN_E_clIS8_S8_S9_S9_EESK_S10_SL_SM_SN_EUlS10_E_NS1_11comp_targetILNS1_3genE10ELNS1_11target_archE1201ELNS1_3gpuE5ELNS1_3repE0EEENS1_48merge_mergepath_partition_config_static_selectorELNS0_4arch9wavefront6targetE0EEEvSM_
	.p2align	8
	.type	_ZN7rocprim17ROCPRIM_400000_NS6detail17trampoline_kernelINS0_14default_configENS1_38merge_sort_block_merge_config_selectorIlNS0_10empty_typeEEEZZNS1_27merge_sort_block_merge_implIS3_PlPS5_mZN2at6native12_GLOBAL__N_124unique_dim_cuda_templateIjEESt5tupleIJNSA_6TensorESF_SF_EERKSF_lbbbEUlllE_EE10hipError_tT0_T1_T2_jT3_P12ihipStream_tbPNSt15iterator_traitsISL_E10value_typeEPNSR_ISM_E10value_typeEPSN_NS1_7vsmem_tEENKUlT_SL_SM_SN_E_clIS8_S8_S9_S9_EESK_S10_SL_SM_SN_EUlS10_E_NS1_11comp_targetILNS1_3genE10ELNS1_11target_archE1201ELNS1_3gpuE5ELNS1_3repE0EEENS1_48merge_mergepath_partition_config_static_selectorELNS0_4arch9wavefront6targetE0EEEvSM_,@function
_ZN7rocprim17ROCPRIM_400000_NS6detail17trampoline_kernelINS0_14default_configENS1_38merge_sort_block_merge_config_selectorIlNS0_10empty_typeEEEZZNS1_27merge_sort_block_merge_implIS3_PlPS5_mZN2at6native12_GLOBAL__N_124unique_dim_cuda_templateIjEESt5tupleIJNSA_6TensorESF_SF_EERKSF_lbbbEUlllE_EE10hipError_tT0_T1_T2_jT3_P12ihipStream_tbPNSt15iterator_traitsISL_E10value_typeEPNSR_ISM_E10value_typeEPSN_NS1_7vsmem_tEENKUlT_SL_SM_SN_E_clIS8_S8_S9_S9_EESK_S10_SL_SM_SN_EUlS10_E_NS1_11comp_targetILNS1_3genE10ELNS1_11target_archE1201ELNS1_3gpuE5ELNS1_3repE0EEENS1_48merge_mergepath_partition_config_static_selectorELNS0_4arch9wavefront6targetE0EEEvSM_: ; @_ZN7rocprim17ROCPRIM_400000_NS6detail17trampoline_kernelINS0_14default_configENS1_38merge_sort_block_merge_config_selectorIlNS0_10empty_typeEEEZZNS1_27merge_sort_block_merge_implIS3_PlPS5_mZN2at6native12_GLOBAL__N_124unique_dim_cuda_templateIjEESt5tupleIJNSA_6TensorESF_SF_EERKSF_lbbbEUlllE_EE10hipError_tT0_T1_T2_jT3_P12ihipStream_tbPNSt15iterator_traitsISL_E10value_typeEPNSR_ISM_E10value_typeEPSN_NS1_7vsmem_tEENKUlT_SL_SM_SN_E_clIS8_S8_S9_S9_EESK_S10_SL_SM_SN_EUlS10_E_NS1_11comp_targetILNS1_3genE10ELNS1_11target_archE1201ELNS1_3gpuE5ELNS1_3repE0EEENS1_48merge_mergepath_partition_config_static_selectorELNS0_4arch9wavefront6targetE0EEEvSM_
; %bb.0:
	.section	.rodata,"a",@progbits
	.p2align	6, 0x0
	.amdhsa_kernel _ZN7rocprim17ROCPRIM_400000_NS6detail17trampoline_kernelINS0_14default_configENS1_38merge_sort_block_merge_config_selectorIlNS0_10empty_typeEEEZZNS1_27merge_sort_block_merge_implIS3_PlPS5_mZN2at6native12_GLOBAL__N_124unique_dim_cuda_templateIjEESt5tupleIJNSA_6TensorESF_SF_EERKSF_lbbbEUlllE_EE10hipError_tT0_T1_T2_jT3_P12ihipStream_tbPNSt15iterator_traitsISL_E10value_typeEPNSR_ISM_E10value_typeEPSN_NS1_7vsmem_tEENKUlT_SL_SM_SN_E_clIS8_S8_S9_S9_EESK_S10_SL_SM_SN_EUlS10_E_NS1_11comp_targetILNS1_3genE10ELNS1_11target_archE1201ELNS1_3gpuE5ELNS1_3repE0EEENS1_48merge_mergepath_partition_config_static_selectorELNS0_4arch9wavefront6targetE0EEEvSM_
		.amdhsa_group_segment_fixed_size 0
		.amdhsa_private_segment_fixed_size 0
		.amdhsa_kernarg_size 56
		.amdhsa_user_sgpr_count 15
		.amdhsa_user_sgpr_dispatch_ptr 0
		.amdhsa_user_sgpr_queue_ptr 0
		.amdhsa_user_sgpr_kernarg_segment_ptr 1
		.amdhsa_user_sgpr_dispatch_id 0
		.amdhsa_user_sgpr_private_segment_size 0
		.amdhsa_wavefront_size32 1
		.amdhsa_uses_dynamic_stack 0
		.amdhsa_enable_private_segment 0
		.amdhsa_system_sgpr_workgroup_id_x 1
		.amdhsa_system_sgpr_workgroup_id_y 0
		.amdhsa_system_sgpr_workgroup_id_z 0
		.amdhsa_system_sgpr_workgroup_info 0
		.amdhsa_system_vgpr_workitem_id 0
		.amdhsa_next_free_vgpr 1
		.amdhsa_next_free_sgpr 1
		.amdhsa_reserve_vcc 0
		.amdhsa_float_round_mode_32 0
		.amdhsa_float_round_mode_16_64 0
		.amdhsa_float_denorm_mode_32 3
		.amdhsa_float_denorm_mode_16_64 3
		.amdhsa_dx10_clamp 1
		.amdhsa_ieee_mode 1
		.amdhsa_fp16_overflow 0
		.amdhsa_workgroup_processor_mode 1
		.amdhsa_memory_ordered 1
		.amdhsa_forward_progress 0
		.amdhsa_shared_vgpr_count 0
		.amdhsa_exception_fp_ieee_invalid_op 0
		.amdhsa_exception_fp_denorm_src 0
		.amdhsa_exception_fp_ieee_div_zero 0
		.amdhsa_exception_fp_ieee_overflow 0
		.amdhsa_exception_fp_ieee_underflow 0
		.amdhsa_exception_fp_ieee_inexact 0
		.amdhsa_exception_int_div_zero 0
	.end_amdhsa_kernel
	.section	.text._ZN7rocprim17ROCPRIM_400000_NS6detail17trampoline_kernelINS0_14default_configENS1_38merge_sort_block_merge_config_selectorIlNS0_10empty_typeEEEZZNS1_27merge_sort_block_merge_implIS3_PlPS5_mZN2at6native12_GLOBAL__N_124unique_dim_cuda_templateIjEESt5tupleIJNSA_6TensorESF_SF_EERKSF_lbbbEUlllE_EE10hipError_tT0_T1_T2_jT3_P12ihipStream_tbPNSt15iterator_traitsISL_E10value_typeEPNSR_ISM_E10value_typeEPSN_NS1_7vsmem_tEENKUlT_SL_SM_SN_E_clIS8_S8_S9_S9_EESK_S10_SL_SM_SN_EUlS10_E_NS1_11comp_targetILNS1_3genE10ELNS1_11target_archE1201ELNS1_3gpuE5ELNS1_3repE0EEENS1_48merge_mergepath_partition_config_static_selectorELNS0_4arch9wavefront6targetE0EEEvSM_,"axG",@progbits,_ZN7rocprim17ROCPRIM_400000_NS6detail17trampoline_kernelINS0_14default_configENS1_38merge_sort_block_merge_config_selectorIlNS0_10empty_typeEEEZZNS1_27merge_sort_block_merge_implIS3_PlPS5_mZN2at6native12_GLOBAL__N_124unique_dim_cuda_templateIjEESt5tupleIJNSA_6TensorESF_SF_EERKSF_lbbbEUlllE_EE10hipError_tT0_T1_T2_jT3_P12ihipStream_tbPNSt15iterator_traitsISL_E10value_typeEPNSR_ISM_E10value_typeEPSN_NS1_7vsmem_tEENKUlT_SL_SM_SN_E_clIS8_S8_S9_S9_EESK_S10_SL_SM_SN_EUlS10_E_NS1_11comp_targetILNS1_3genE10ELNS1_11target_archE1201ELNS1_3gpuE5ELNS1_3repE0EEENS1_48merge_mergepath_partition_config_static_selectorELNS0_4arch9wavefront6targetE0EEEvSM_,comdat
.Lfunc_end1491:
	.size	_ZN7rocprim17ROCPRIM_400000_NS6detail17trampoline_kernelINS0_14default_configENS1_38merge_sort_block_merge_config_selectorIlNS0_10empty_typeEEEZZNS1_27merge_sort_block_merge_implIS3_PlPS5_mZN2at6native12_GLOBAL__N_124unique_dim_cuda_templateIjEESt5tupleIJNSA_6TensorESF_SF_EERKSF_lbbbEUlllE_EE10hipError_tT0_T1_T2_jT3_P12ihipStream_tbPNSt15iterator_traitsISL_E10value_typeEPNSR_ISM_E10value_typeEPSN_NS1_7vsmem_tEENKUlT_SL_SM_SN_E_clIS8_S8_S9_S9_EESK_S10_SL_SM_SN_EUlS10_E_NS1_11comp_targetILNS1_3genE10ELNS1_11target_archE1201ELNS1_3gpuE5ELNS1_3repE0EEENS1_48merge_mergepath_partition_config_static_selectorELNS0_4arch9wavefront6targetE0EEEvSM_, .Lfunc_end1491-_ZN7rocprim17ROCPRIM_400000_NS6detail17trampoline_kernelINS0_14default_configENS1_38merge_sort_block_merge_config_selectorIlNS0_10empty_typeEEEZZNS1_27merge_sort_block_merge_implIS3_PlPS5_mZN2at6native12_GLOBAL__N_124unique_dim_cuda_templateIjEESt5tupleIJNSA_6TensorESF_SF_EERKSF_lbbbEUlllE_EE10hipError_tT0_T1_T2_jT3_P12ihipStream_tbPNSt15iterator_traitsISL_E10value_typeEPNSR_ISM_E10value_typeEPSN_NS1_7vsmem_tEENKUlT_SL_SM_SN_E_clIS8_S8_S9_S9_EESK_S10_SL_SM_SN_EUlS10_E_NS1_11comp_targetILNS1_3genE10ELNS1_11target_archE1201ELNS1_3gpuE5ELNS1_3repE0EEENS1_48merge_mergepath_partition_config_static_selectorELNS0_4arch9wavefront6targetE0EEEvSM_
                                        ; -- End function
	.section	.AMDGPU.csdata,"",@progbits
; Kernel info:
; codeLenInByte = 0
; NumSgprs: 0
; NumVgprs: 0
; ScratchSize: 0
; MemoryBound: 0
; FloatMode: 240
; IeeeMode: 1
; LDSByteSize: 0 bytes/workgroup (compile time only)
; SGPRBlocks: 0
; VGPRBlocks: 0
; NumSGPRsForWavesPerEU: 1
; NumVGPRsForWavesPerEU: 1
; Occupancy: 16
; WaveLimiterHint : 0
; COMPUTE_PGM_RSRC2:SCRATCH_EN: 0
; COMPUTE_PGM_RSRC2:USER_SGPR: 15
; COMPUTE_PGM_RSRC2:TRAP_HANDLER: 0
; COMPUTE_PGM_RSRC2:TGID_X_EN: 1
; COMPUTE_PGM_RSRC2:TGID_Y_EN: 0
; COMPUTE_PGM_RSRC2:TGID_Z_EN: 0
; COMPUTE_PGM_RSRC2:TIDIG_COMP_CNT: 0
	.section	.text._ZN7rocprim17ROCPRIM_400000_NS6detail17trampoline_kernelINS0_14default_configENS1_38merge_sort_block_merge_config_selectorIlNS0_10empty_typeEEEZZNS1_27merge_sort_block_merge_implIS3_PlPS5_mZN2at6native12_GLOBAL__N_124unique_dim_cuda_templateIjEESt5tupleIJNSA_6TensorESF_SF_EERKSF_lbbbEUlllE_EE10hipError_tT0_T1_T2_jT3_P12ihipStream_tbPNSt15iterator_traitsISL_E10value_typeEPNSR_ISM_E10value_typeEPSN_NS1_7vsmem_tEENKUlT_SL_SM_SN_E_clIS8_S8_S9_S9_EESK_S10_SL_SM_SN_EUlS10_E_NS1_11comp_targetILNS1_3genE5ELNS1_11target_archE942ELNS1_3gpuE9ELNS1_3repE0EEENS1_48merge_mergepath_partition_config_static_selectorELNS0_4arch9wavefront6targetE0EEEvSM_,"axG",@progbits,_ZN7rocprim17ROCPRIM_400000_NS6detail17trampoline_kernelINS0_14default_configENS1_38merge_sort_block_merge_config_selectorIlNS0_10empty_typeEEEZZNS1_27merge_sort_block_merge_implIS3_PlPS5_mZN2at6native12_GLOBAL__N_124unique_dim_cuda_templateIjEESt5tupleIJNSA_6TensorESF_SF_EERKSF_lbbbEUlllE_EE10hipError_tT0_T1_T2_jT3_P12ihipStream_tbPNSt15iterator_traitsISL_E10value_typeEPNSR_ISM_E10value_typeEPSN_NS1_7vsmem_tEENKUlT_SL_SM_SN_E_clIS8_S8_S9_S9_EESK_S10_SL_SM_SN_EUlS10_E_NS1_11comp_targetILNS1_3genE5ELNS1_11target_archE942ELNS1_3gpuE9ELNS1_3repE0EEENS1_48merge_mergepath_partition_config_static_selectorELNS0_4arch9wavefront6targetE0EEEvSM_,comdat
	.globl	_ZN7rocprim17ROCPRIM_400000_NS6detail17trampoline_kernelINS0_14default_configENS1_38merge_sort_block_merge_config_selectorIlNS0_10empty_typeEEEZZNS1_27merge_sort_block_merge_implIS3_PlPS5_mZN2at6native12_GLOBAL__N_124unique_dim_cuda_templateIjEESt5tupleIJNSA_6TensorESF_SF_EERKSF_lbbbEUlllE_EE10hipError_tT0_T1_T2_jT3_P12ihipStream_tbPNSt15iterator_traitsISL_E10value_typeEPNSR_ISM_E10value_typeEPSN_NS1_7vsmem_tEENKUlT_SL_SM_SN_E_clIS8_S8_S9_S9_EESK_S10_SL_SM_SN_EUlS10_E_NS1_11comp_targetILNS1_3genE5ELNS1_11target_archE942ELNS1_3gpuE9ELNS1_3repE0EEENS1_48merge_mergepath_partition_config_static_selectorELNS0_4arch9wavefront6targetE0EEEvSM_ ; -- Begin function _ZN7rocprim17ROCPRIM_400000_NS6detail17trampoline_kernelINS0_14default_configENS1_38merge_sort_block_merge_config_selectorIlNS0_10empty_typeEEEZZNS1_27merge_sort_block_merge_implIS3_PlPS5_mZN2at6native12_GLOBAL__N_124unique_dim_cuda_templateIjEESt5tupleIJNSA_6TensorESF_SF_EERKSF_lbbbEUlllE_EE10hipError_tT0_T1_T2_jT3_P12ihipStream_tbPNSt15iterator_traitsISL_E10value_typeEPNSR_ISM_E10value_typeEPSN_NS1_7vsmem_tEENKUlT_SL_SM_SN_E_clIS8_S8_S9_S9_EESK_S10_SL_SM_SN_EUlS10_E_NS1_11comp_targetILNS1_3genE5ELNS1_11target_archE942ELNS1_3gpuE9ELNS1_3repE0EEENS1_48merge_mergepath_partition_config_static_selectorELNS0_4arch9wavefront6targetE0EEEvSM_
	.p2align	8
	.type	_ZN7rocprim17ROCPRIM_400000_NS6detail17trampoline_kernelINS0_14default_configENS1_38merge_sort_block_merge_config_selectorIlNS0_10empty_typeEEEZZNS1_27merge_sort_block_merge_implIS3_PlPS5_mZN2at6native12_GLOBAL__N_124unique_dim_cuda_templateIjEESt5tupleIJNSA_6TensorESF_SF_EERKSF_lbbbEUlllE_EE10hipError_tT0_T1_T2_jT3_P12ihipStream_tbPNSt15iterator_traitsISL_E10value_typeEPNSR_ISM_E10value_typeEPSN_NS1_7vsmem_tEENKUlT_SL_SM_SN_E_clIS8_S8_S9_S9_EESK_S10_SL_SM_SN_EUlS10_E_NS1_11comp_targetILNS1_3genE5ELNS1_11target_archE942ELNS1_3gpuE9ELNS1_3repE0EEENS1_48merge_mergepath_partition_config_static_selectorELNS0_4arch9wavefront6targetE0EEEvSM_,@function
_ZN7rocprim17ROCPRIM_400000_NS6detail17trampoline_kernelINS0_14default_configENS1_38merge_sort_block_merge_config_selectorIlNS0_10empty_typeEEEZZNS1_27merge_sort_block_merge_implIS3_PlPS5_mZN2at6native12_GLOBAL__N_124unique_dim_cuda_templateIjEESt5tupleIJNSA_6TensorESF_SF_EERKSF_lbbbEUlllE_EE10hipError_tT0_T1_T2_jT3_P12ihipStream_tbPNSt15iterator_traitsISL_E10value_typeEPNSR_ISM_E10value_typeEPSN_NS1_7vsmem_tEENKUlT_SL_SM_SN_E_clIS8_S8_S9_S9_EESK_S10_SL_SM_SN_EUlS10_E_NS1_11comp_targetILNS1_3genE5ELNS1_11target_archE942ELNS1_3gpuE9ELNS1_3repE0EEENS1_48merge_mergepath_partition_config_static_selectorELNS0_4arch9wavefront6targetE0EEEvSM_: ; @_ZN7rocprim17ROCPRIM_400000_NS6detail17trampoline_kernelINS0_14default_configENS1_38merge_sort_block_merge_config_selectorIlNS0_10empty_typeEEEZZNS1_27merge_sort_block_merge_implIS3_PlPS5_mZN2at6native12_GLOBAL__N_124unique_dim_cuda_templateIjEESt5tupleIJNSA_6TensorESF_SF_EERKSF_lbbbEUlllE_EE10hipError_tT0_T1_T2_jT3_P12ihipStream_tbPNSt15iterator_traitsISL_E10value_typeEPNSR_ISM_E10value_typeEPSN_NS1_7vsmem_tEENKUlT_SL_SM_SN_E_clIS8_S8_S9_S9_EESK_S10_SL_SM_SN_EUlS10_E_NS1_11comp_targetILNS1_3genE5ELNS1_11target_archE942ELNS1_3gpuE9ELNS1_3repE0EEENS1_48merge_mergepath_partition_config_static_selectorELNS0_4arch9wavefront6targetE0EEEvSM_
; %bb.0:
	.section	.rodata,"a",@progbits
	.p2align	6, 0x0
	.amdhsa_kernel _ZN7rocprim17ROCPRIM_400000_NS6detail17trampoline_kernelINS0_14default_configENS1_38merge_sort_block_merge_config_selectorIlNS0_10empty_typeEEEZZNS1_27merge_sort_block_merge_implIS3_PlPS5_mZN2at6native12_GLOBAL__N_124unique_dim_cuda_templateIjEESt5tupleIJNSA_6TensorESF_SF_EERKSF_lbbbEUlllE_EE10hipError_tT0_T1_T2_jT3_P12ihipStream_tbPNSt15iterator_traitsISL_E10value_typeEPNSR_ISM_E10value_typeEPSN_NS1_7vsmem_tEENKUlT_SL_SM_SN_E_clIS8_S8_S9_S9_EESK_S10_SL_SM_SN_EUlS10_E_NS1_11comp_targetILNS1_3genE5ELNS1_11target_archE942ELNS1_3gpuE9ELNS1_3repE0EEENS1_48merge_mergepath_partition_config_static_selectorELNS0_4arch9wavefront6targetE0EEEvSM_
		.amdhsa_group_segment_fixed_size 0
		.amdhsa_private_segment_fixed_size 0
		.amdhsa_kernarg_size 56
		.amdhsa_user_sgpr_count 15
		.amdhsa_user_sgpr_dispatch_ptr 0
		.amdhsa_user_sgpr_queue_ptr 0
		.amdhsa_user_sgpr_kernarg_segment_ptr 1
		.amdhsa_user_sgpr_dispatch_id 0
		.amdhsa_user_sgpr_private_segment_size 0
		.amdhsa_wavefront_size32 1
		.amdhsa_uses_dynamic_stack 0
		.amdhsa_enable_private_segment 0
		.amdhsa_system_sgpr_workgroup_id_x 1
		.amdhsa_system_sgpr_workgroup_id_y 0
		.amdhsa_system_sgpr_workgroup_id_z 0
		.amdhsa_system_sgpr_workgroup_info 0
		.amdhsa_system_vgpr_workitem_id 0
		.amdhsa_next_free_vgpr 1
		.amdhsa_next_free_sgpr 1
		.amdhsa_reserve_vcc 0
		.amdhsa_float_round_mode_32 0
		.amdhsa_float_round_mode_16_64 0
		.amdhsa_float_denorm_mode_32 3
		.amdhsa_float_denorm_mode_16_64 3
		.amdhsa_dx10_clamp 1
		.amdhsa_ieee_mode 1
		.amdhsa_fp16_overflow 0
		.amdhsa_workgroup_processor_mode 1
		.amdhsa_memory_ordered 1
		.amdhsa_forward_progress 0
		.amdhsa_shared_vgpr_count 0
		.amdhsa_exception_fp_ieee_invalid_op 0
		.amdhsa_exception_fp_denorm_src 0
		.amdhsa_exception_fp_ieee_div_zero 0
		.amdhsa_exception_fp_ieee_overflow 0
		.amdhsa_exception_fp_ieee_underflow 0
		.amdhsa_exception_fp_ieee_inexact 0
		.amdhsa_exception_int_div_zero 0
	.end_amdhsa_kernel
	.section	.text._ZN7rocprim17ROCPRIM_400000_NS6detail17trampoline_kernelINS0_14default_configENS1_38merge_sort_block_merge_config_selectorIlNS0_10empty_typeEEEZZNS1_27merge_sort_block_merge_implIS3_PlPS5_mZN2at6native12_GLOBAL__N_124unique_dim_cuda_templateIjEESt5tupleIJNSA_6TensorESF_SF_EERKSF_lbbbEUlllE_EE10hipError_tT0_T1_T2_jT3_P12ihipStream_tbPNSt15iterator_traitsISL_E10value_typeEPNSR_ISM_E10value_typeEPSN_NS1_7vsmem_tEENKUlT_SL_SM_SN_E_clIS8_S8_S9_S9_EESK_S10_SL_SM_SN_EUlS10_E_NS1_11comp_targetILNS1_3genE5ELNS1_11target_archE942ELNS1_3gpuE9ELNS1_3repE0EEENS1_48merge_mergepath_partition_config_static_selectorELNS0_4arch9wavefront6targetE0EEEvSM_,"axG",@progbits,_ZN7rocprim17ROCPRIM_400000_NS6detail17trampoline_kernelINS0_14default_configENS1_38merge_sort_block_merge_config_selectorIlNS0_10empty_typeEEEZZNS1_27merge_sort_block_merge_implIS3_PlPS5_mZN2at6native12_GLOBAL__N_124unique_dim_cuda_templateIjEESt5tupleIJNSA_6TensorESF_SF_EERKSF_lbbbEUlllE_EE10hipError_tT0_T1_T2_jT3_P12ihipStream_tbPNSt15iterator_traitsISL_E10value_typeEPNSR_ISM_E10value_typeEPSN_NS1_7vsmem_tEENKUlT_SL_SM_SN_E_clIS8_S8_S9_S9_EESK_S10_SL_SM_SN_EUlS10_E_NS1_11comp_targetILNS1_3genE5ELNS1_11target_archE942ELNS1_3gpuE9ELNS1_3repE0EEENS1_48merge_mergepath_partition_config_static_selectorELNS0_4arch9wavefront6targetE0EEEvSM_,comdat
.Lfunc_end1492:
	.size	_ZN7rocprim17ROCPRIM_400000_NS6detail17trampoline_kernelINS0_14default_configENS1_38merge_sort_block_merge_config_selectorIlNS0_10empty_typeEEEZZNS1_27merge_sort_block_merge_implIS3_PlPS5_mZN2at6native12_GLOBAL__N_124unique_dim_cuda_templateIjEESt5tupleIJNSA_6TensorESF_SF_EERKSF_lbbbEUlllE_EE10hipError_tT0_T1_T2_jT3_P12ihipStream_tbPNSt15iterator_traitsISL_E10value_typeEPNSR_ISM_E10value_typeEPSN_NS1_7vsmem_tEENKUlT_SL_SM_SN_E_clIS8_S8_S9_S9_EESK_S10_SL_SM_SN_EUlS10_E_NS1_11comp_targetILNS1_3genE5ELNS1_11target_archE942ELNS1_3gpuE9ELNS1_3repE0EEENS1_48merge_mergepath_partition_config_static_selectorELNS0_4arch9wavefront6targetE0EEEvSM_, .Lfunc_end1492-_ZN7rocprim17ROCPRIM_400000_NS6detail17trampoline_kernelINS0_14default_configENS1_38merge_sort_block_merge_config_selectorIlNS0_10empty_typeEEEZZNS1_27merge_sort_block_merge_implIS3_PlPS5_mZN2at6native12_GLOBAL__N_124unique_dim_cuda_templateIjEESt5tupleIJNSA_6TensorESF_SF_EERKSF_lbbbEUlllE_EE10hipError_tT0_T1_T2_jT3_P12ihipStream_tbPNSt15iterator_traitsISL_E10value_typeEPNSR_ISM_E10value_typeEPSN_NS1_7vsmem_tEENKUlT_SL_SM_SN_E_clIS8_S8_S9_S9_EESK_S10_SL_SM_SN_EUlS10_E_NS1_11comp_targetILNS1_3genE5ELNS1_11target_archE942ELNS1_3gpuE9ELNS1_3repE0EEENS1_48merge_mergepath_partition_config_static_selectorELNS0_4arch9wavefront6targetE0EEEvSM_
                                        ; -- End function
	.section	.AMDGPU.csdata,"",@progbits
; Kernel info:
; codeLenInByte = 0
; NumSgprs: 0
; NumVgprs: 0
; ScratchSize: 0
; MemoryBound: 0
; FloatMode: 240
; IeeeMode: 1
; LDSByteSize: 0 bytes/workgroup (compile time only)
; SGPRBlocks: 0
; VGPRBlocks: 0
; NumSGPRsForWavesPerEU: 1
; NumVGPRsForWavesPerEU: 1
; Occupancy: 16
; WaveLimiterHint : 0
; COMPUTE_PGM_RSRC2:SCRATCH_EN: 0
; COMPUTE_PGM_RSRC2:USER_SGPR: 15
; COMPUTE_PGM_RSRC2:TRAP_HANDLER: 0
; COMPUTE_PGM_RSRC2:TGID_X_EN: 1
; COMPUTE_PGM_RSRC2:TGID_Y_EN: 0
; COMPUTE_PGM_RSRC2:TGID_Z_EN: 0
; COMPUTE_PGM_RSRC2:TIDIG_COMP_CNT: 0
	.section	.text._ZN7rocprim17ROCPRIM_400000_NS6detail17trampoline_kernelINS0_14default_configENS1_38merge_sort_block_merge_config_selectorIlNS0_10empty_typeEEEZZNS1_27merge_sort_block_merge_implIS3_PlPS5_mZN2at6native12_GLOBAL__N_124unique_dim_cuda_templateIjEESt5tupleIJNSA_6TensorESF_SF_EERKSF_lbbbEUlllE_EE10hipError_tT0_T1_T2_jT3_P12ihipStream_tbPNSt15iterator_traitsISL_E10value_typeEPNSR_ISM_E10value_typeEPSN_NS1_7vsmem_tEENKUlT_SL_SM_SN_E_clIS8_S8_S9_S9_EESK_S10_SL_SM_SN_EUlS10_E_NS1_11comp_targetILNS1_3genE4ELNS1_11target_archE910ELNS1_3gpuE8ELNS1_3repE0EEENS1_48merge_mergepath_partition_config_static_selectorELNS0_4arch9wavefront6targetE0EEEvSM_,"axG",@progbits,_ZN7rocprim17ROCPRIM_400000_NS6detail17trampoline_kernelINS0_14default_configENS1_38merge_sort_block_merge_config_selectorIlNS0_10empty_typeEEEZZNS1_27merge_sort_block_merge_implIS3_PlPS5_mZN2at6native12_GLOBAL__N_124unique_dim_cuda_templateIjEESt5tupleIJNSA_6TensorESF_SF_EERKSF_lbbbEUlllE_EE10hipError_tT0_T1_T2_jT3_P12ihipStream_tbPNSt15iterator_traitsISL_E10value_typeEPNSR_ISM_E10value_typeEPSN_NS1_7vsmem_tEENKUlT_SL_SM_SN_E_clIS8_S8_S9_S9_EESK_S10_SL_SM_SN_EUlS10_E_NS1_11comp_targetILNS1_3genE4ELNS1_11target_archE910ELNS1_3gpuE8ELNS1_3repE0EEENS1_48merge_mergepath_partition_config_static_selectorELNS0_4arch9wavefront6targetE0EEEvSM_,comdat
	.globl	_ZN7rocprim17ROCPRIM_400000_NS6detail17trampoline_kernelINS0_14default_configENS1_38merge_sort_block_merge_config_selectorIlNS0_10empty_typeEEEZZNS1_27merge_sort_block_merge_implIS3_PlPS5_mZN2at6native12_GLOBAL__N_124unique_dim_cuda_templateIjEESt5tupleIJNSA_6TensorESF_SF_EERKSF_lbbbEUlllE_EE10hipError_tT0_T1_T2_jT3_P12ihipStream_tbPNSt15iterator_traitsISL_E10value_typeEPNSR_ISM_E10value_typeEPSN_NS1_7vsmem_tEENKUlT_SL_SM_SN_E_clIS8_S8_S9_S9_EESK_S10_SL_SM_SN_EUlS10_E_NS1_11comp_targetILNS1_3genE4ELNS1_11target_archE910ELNS1_3gpuE8ELNS1_3repE0EEENS1_48merge_mergepath_partition_config_static_selectorELNS0_4arch9wavefront6targetE0EEEvSM_ ; -- Begin function _ZN7rocprim17ROCPRIM_400000_NS6detail17trampoline_kernelINS0_14default_configENS1_38merge_sort_block_merge_config_selectorIlNS0_10empty_typeEEEZZNS1_27merge_sort_block_merge_implIS3_PlPS5_mZN2at6native12_GLOBAL__N_124unique_dim_cuda_templateIjEESt5tupleIJNSA_6TensorESF_SF_EERKSF_lbbbEUlllE_EE10hipError_tT0_T1_T2_jT3_P12ihipStream_tbPNSt15iterator_traitsISL_E10value_typeEPNSR_ISM_E10value_typeEPSN_NS1_7vsmem_tEENKUlT_SL_SM_SN_E_clIS8_S8_S9_S9_EESK_S10_SL_SM_SN_EUlS10_E_NS1_11comp_targetILNS1_3genE4ELNS1_11target_archE910ELNS1_3gpuE8ELNS1_3repE0EEENS1_48merge_mergepath_partition_config_static_selectorELNS0_4arch9wavefront6targetE0EEEvSM_
	.p2align	8
	.type	_ZN7rocprim17ROCPRIM_400000_NS6detail17trampoline_kernelINS0_14default_configENS1_38merge_sort_block_merge_config_selectorIlNS0_10empty_typeEEEZZNS1_27merge_sort_block_merge_implIS3_PlPS5_mZN2at6native12_GLOBAL__N_124unique_dim_cuda_templateIjEESt5tupleIJNSA_6TensorESF_SF_EERKSF_lbbbEUlllE_EE10hipError_tT0_T1_T2_jT3_P12ihipStream_tbPNSt15iterator_traitsISL_E10value_typeEPNSR_ISM_E10value_typeEPSN_NS1_7vsmem_tEENKUlT_SL_SM_SN_E_clIS8_S8_S9_S9_EESK_S10_SL_SM_SN_EUlS10_E_NS1_11comp_targetILNS1_3genE4ELNS1_11target_archE910ELNS1_3gpuE8ELNS1_3repE0EEENS1_48merge_mergepath_partition_config_static_selectorELNS0_4arch9wavefront6targetE0EEEvSM_,@function
_ZN7rocprim17ROCPRIM_400000_NS6detail17trampoline_kernelINS0_14default_configENS1_38merge_sort_block_merge_config_selectorIlNS0_10empty_typeEEEZZNS1_27merge_sort_block_merge_implIS3_PlPS5_mZN2at6native12_GLOBAL__N_124unique_dim_cuda_templateIjEESt5tupleIJNSA_6TensorESF_SF_EERKSF_lbbbEUlllE_EE10hipError_tT0_T1_T2_jT3_P12ihipStream_tbPNSt15iterator_traitsISL_E10value_typeEPNSR_ISM_E10value_typeEPSN_NS1_7vsmem_tEENKUlT_SL_SM_SN_E_clIS8_S8_S9_S9_EESK_S10_SL_SM_SN_EUlS10_E_NS1_11comp_targetILNS1_3genE4ELNS1_11target_archE910ELNS1_3gpuE8ELNS1_3repE0EEENS1_48merge_mergepath_partition_config_static_selectorELNS0_4arch9wavefront6targetE0EEEvSM_: ; @_ZN7rocprim17ROCPRIM_400000_NS6detail17trampoline_kernelINS0_14default_configENS1_38merge_sort_block_merge_config_selectorIlNS0_10empty_typeEEEZZNS1_27merge_sort_block_merge_implIS3_PlPS5_mZN2at6native12_GLOBAL__N_124unique_dim_cuda_templateIjEESt5tupleIJNSA_6TensorESF_SF_EERKSF_lbbbEUlllE_EE10hipError_tT0_T1_T2_jT3_P12ihipStream_tbPNSt15iterator_traitsISL_E10value_typeEPNSR_ISM_E10value_typeEPSN_NS1_7vsmem_tEENKUlT_SL_SM_SN_E_clIS8_S8_S9_S9_EESK_S10_SL_SM_SN_EUlS10_E_NS1_11comp_targetILNS1_3genE4ELNS1_11target_archE910ELNS1_3gpuE8ELNS1_3repE0EEENS1_48merge_mergepath_partition_config_static_selectorELNS0_4arch9wavefront6targetE0EEEvSM_
; %bb.0:
	.section	.rodata,"a",@progbits
	.p2align	6, 0x0
	.amdhsa_kernel _ZN7rocprim17ROCPRIM_400000_NS6detail17trampoline_kernelINS0_14default_configENS1_38merge_sort_block_merge_config_selectorIlNS0_10empty_typeEEEZZNS1_27merge_sort_block_merge_implIS3_PlPS5_mZN2at6native12_GLOBAL__N_124unique_dim_cuda_templateIjEESt5tupleIJNSA_6TensorESF_SF_EERKSF_lbbbEUlllE_EE10hipError_tT0_T1_T2_jT3_P12ihipStream_tbPNSt15iterator_traitsISL_E10value_typeEPNSR_ISM_E10value_typeEPSN_NS1_7vsmem_tEENKUlT_SL_SM_SN_E_clIS8_S8_S9_S9_EESK_S10_SL_SM_SN_EUlS10_E_NS1_11comp_targetILNS1_3genE4ELNS1_11target_archE910ELNS1_3gpuE8ELNS1_3repE0EEENS1_48merge_mergepath_partition_config_static_selectorELNS0_4arch9wavefront6targetE0EEEvSM_
		.amdhsa_group_segment_fixed_size 0
		.amdhsa_private_segment_fixed_size 0
		.amdhsa_kernarg_size 56
		.amdhsa_user_sgpr_count 15
		.amdhsa_user_sgpr_dispatch_ptr 0
		.amdhsa_user_sgpr_queue_ptr 0
		.amdhsa_user_sgpr_kernarg_segment_ptr 1
		.amdhsa_user_sgpr_dispatch_id 0
		.amdhsa_user_sgpr_private_segment_size 0
		.amdhsa_wavefront_size32 1
		.amdhsa_uses_dynamic_stack 0
		.amdhsa_enable_private_segment 0
		.amdhsa_system_sgpr_workgroup_id_x 1
		.amdhsa_system_sgpr_workgroup_id_y 0
		.amdhsa_system_sgpr_workgroup_id_z 0
		.amdhsa_system_sgpr_workgroup_info 0
		.amdhsa_system_vgpr_workitem_id 0
		.amdhsa_next_free_vgpr 1
		.amdhsa_next_free_sgpr 1
		.amdhsa_reserve_vcc 0
		.amdhsa_float_round_mode_32 0
		.amdhsa_float_round_mode_16_64 0
		.amdhsa_float_denorm_mode_32 3
		.amdhsa_float_denorm_mode_16_64 3
		.amdhsa_dx10_clamp 1
		.amdhsa_ieee_mode 1
		.amdhsa_fp16_overflow 0
		.amdhsa_workgroup_processor_mode 1
		.amdhsa_memory_ordered 1
		.amdhsa_forward_progress 0
		.amdhsa_shared_vgpr_count 0
		.amdhsa_exception_fp_ieee_invalid_op 0
		.amdhsa_exception_fp_denorm_src 0
		.amdhsa_exception_fp_ieee_div_zero 0
		.amdhsa_exception_fp_ieee_overflow 0
		.amdhsa_exception_fp_ieee_underflow 0
		.amdhsa_exception_fp_ieee_inexact 0
		.amdhsa_exception_int_div_zero 0
	.end_amdhsa_kernel
	.section	.text._ZN7rocprim17ROCPRIM_400000_NS6detail17trampoline_kernelINS0_14default_configENS1_38merge_sort_block_merge_config_selectorIlNS0_10empty_typeEEEZZNS1_27merge_sort_block_merge_implIS3_PlPS5_mZN2at6native12_GLOBAL__N_124unique_dim_cuda_templateIjEESt5tupleIJNSA_6TensorESF_SF_EERKSF_lbbbEUlllE_EE10hipError_tT0_T1_T2_jT3_P12ihipStream_tbPNSt15iterator_traitsISL_E10value_typeEPNSR_ISM_E10value_typeEPSN_NS1_7vsmem_tEENKUlT_SL_SM_SN_E_clIS8_S8_S9_S9_EESK_S10_SL_SM_SN_EUlS10_E_NS1_11comp_targetILNS1_3genE4ELNS1_11target_archE910ELNS1_3gpuE8ELNS1_3repE0EEENS1_48merge_mergepath_partition_config_static_selectorELNS0_4arch9wavefront6targetE0EEEvSM_,"axG",@progbits,_ZN7rocprim17ROCPRIM_400000_NS6detail17trampoline_kernelINS0_14default_configENS1_38merge_sort_block_merge_config_selectorIlNS0_10empty_typeEEEZZNS1_27merge_sort_block_merge_implIS3_PlPS5_mZN2at6native12_GLOBAL__N_124unique_dim_cuda_templateIjEESt5tupleIJNSA_6TensorESF_SF_EERKSF_lbbbEUlllE_EE10hipError_tT0_T1_T2_jT3_P12ihipStream_tbPNSt15iterator_traitsISL_E10value_typeEPNSR_ISM_E10value_typeEPSN_NS1_7vsmem_tEENKUlT_SL_SM_SN_E_clIS8_S8_S9_S9_EESK_S10_SL_SM_SN_EUlS10_E_NS1_11comp_targetILNS1_3genE4ELNS1_11target_archE910ELNS1_3gpuE8ELNS1_3repE0EEENS1_48merge_mergepath_partition_config_static_selectorELNS0_4arch9wavefront6targetE0EEEvSM_,comdat
.Lfunc_end1493:
	.size	_ZN7rocprim17ROCPRIM_400000_NS6detail17trampoline_kernelINS0_14default_configENS1_38merge_sort_block_merge_config_selectorIlNS0_10empty_typeEEEZZNS1_27merge_sort_block_merge_implIS3_PlPS5_mZN2at6native12_GLOBAL__N_124unique_dim_cuda_templateIjEESt5tupleIJNSA_6TensorESF_SF_EERKSF_lbbbEUlllE_EE10hipError_tT0_T1_T2_jT3_P12ihipStream_tbPNSt15iterator_traitsISL_E10value_typeEPNSR_ISM_E10value_typeEPSN_NS1_7vsmem_tEENKUlT_SL_SM_SN_E_clIS8_S8_S9_S9_EESK_S10_SL_SM_SN_EUlS10_E_NS1_11comp_targetILNS1_3genE4ELNS1_11target_archE910ELNS1_3gpuE8ELNS1_3repE0EEENS1_48merge_mergepath_partition_config_static_selectorELNS0_4arch9wavefront6targetE0EEEvSM_, .Lfunc_end1493-_ZN7rocprim17ROCPRIM_400000_NS6detail17trampoline_kernelINS0_14default_configENS1_38merge_sort_block_merge_config_selectorIlNS0_10empty_typeEEEZZNS1_27merge_sort_block_merge_implIS3_PlPS5_mZN2at6native12_GLOBAL__N_124unique_dim_cuda_templateIjEESt5tupleIJNSA_6TensorESF_SF_EERKSF_lbbbEUlllE_EE10hipError_tT0_T1_T2_jT3_P12ihipStream_tbPNSt15iterator_traitsISL_E10value_typeEPNSR_ISM_E10value_typeEPSN_NS1_7vsmem_tEENKUlT_SL_SM_SN_E_clIS8_S8_S9_S9_EESK_S10_SL_SM_SN_EUlS10_E_NS1_11comp_targetILNS1_3genE4ELNS1_11target_archE910ELNS1_3gpuE8ELNS1_3repE0EEENS1_48merge_mergepath_partition_config_static_selectorELNS0_4arch9wavefront6targetE0EEEvSM_
                                        ; -- End function
	.section	.AMDGPU.csdata,"",@progbits
; Kernel info:
; codeLenInByte = 0
; NumSgprs: 0
; NumVgprs: 0
; ScratchSize: 0
; MemoryBound: 0
; FloatMode: 240
; IeeeMode: 1
; LDSByteSize: 0 bytes/workgroup (compile time only)
; SGPRBlocks: 0
; VGPRBlocks: 0
; NumSGPRsForWavesPerEU: 1
; NumVGPRsForWavesPerEU: 1
; Occupancy: 16
; WaveLimiterHint : 0
; COMPUTE_PGM_RSRC2:SCRATCH_EN: 0
; COMPUTE_PGM_RSRC2:USER_SGPR: 15
; COMPUTE_PGM_RSRC2:TRAP_HANDLER: 0
; COMPUTE_PGM_RSRC2:TGID_X_EN: 1
; COMPUTE_PGM_RSRC2:TGID_Y_EN: 0
; COMPUTE_PGM_RSRC2:TGID_Z_EN: 0
; COMPUTE_PGM_RSRC2:TIDIG_COMP_CNT: 0
	.section	.text._ZN7rocprim17ROCPRIM_400000_NS6detail17trampoline_kernelINS0_14default_configENS1_38merge_sort_block_merge_config_selectorIlNS0_10empty_typeEEEZZNS1_27merge_sort_block_merge_implIS3_PlPS5_mZN2at6native12_GLOBAL__N_124unique_dim_cuda_templateIjEESt5tupleIJNSA_6TensorESF_SF_EERKSF_lbbbEUlllE_EE10hipError_tT0_T1_T2_jT3_P12ihipStream_tbPNSt15iterator_traitsISL_E10value_typeEPNSR_ISM_E10value_typeEPSN_NS1_7vsmem_tEENKUlT_SL_SM_SN_E_clIS8_S8_S9_S9_EESK_S10_SL_SM_SN_EUlS10_E_NS1_11comp_targetILNS1_3genE3ELNS1_11target_archE908ELNS1_3gpuE7ELNS1_3repE0EEENS1_48merge_mergepath_partition_config_static_selectorELNS0_4arch9wavefront6targetE0EEEvSM_,"axG",@progbits,_ZN7rocprim17ROCPRIM_400000_NS6detail17trampoline_kernelINS0_14default_configENS1_38merge_sort_block_merge_config_selectorIlNS0_10empty_typeEEEZZNS1_27merge_sort_block_merge_implIS3_PlPS5_mZN2at6native12_GLOBAL__N_124unique_dim_cuda_templateIjEESt5tupleIJNSA_6TensorESF_SF_EERKSF_lbbbEUlllE_EE10hipError_tT0_T1_T2_jT3_P12ihipStream_tbPNSt15iterator_traitsISL_E10value_typeEPNSR_ISM_E10value_typeEPSN_NS1_7vsmem_tEENKUlT_SL_SM_SN_E_clIS8_S8_S9_S9_EESK_S10_SL_SM_SN_EUlS10_E_NS1_11comp_targetILNS1_3genE3ELNS1_11target_archE908ELNS1_3gpuE7ELNS1_3repE0EEENS1_48merge_mergepath_partition_config_static_selectorELNS0_4arch9wavefront6targetE0EEEvSM_,comdat
	.globl	_ZN7rocprim17ROCPRIM_400000_NS6detail17trampoline_kernelINS0_14default_configENS1_38merge_sort_block_merge_config_selectorIlNS0_10empty_typeEEEZZNS1_27merge_sort_block_merge_implIS3_PlPS5_mZN2at6native12_GLOBAL__N_124unique_dim_cuda_templateIjEESt5tupleIJNSA_6TensorESF_SF_EERKSF_lbbbEUlllE_EE10hipError_tT0_T1_T2_jT3_P12ihipStream_tbPNSt15iterator_traitsISL_E10value_typeEPNSR_ISM_E10value_typeEPSN_NS1_7vsmem_tEENKUlT_SL_SM_SN_E_clIS8_S8_S9_S9_EESK_S10_SL_SM_SN_EUlS10_E_NS1_11comp_targetILNS1_3genE3ELNS1_11target_archE908ELNS1_3gpuE7ELNS1_3repE0EEENS1_48merge_mergepath_partition_config_static_selectorELNS0_4arch9wavefront6targetE0EEEvSM_ ; -- Begin function _ZN7rocprim17ROCPRIM_400000_NS6detail17trampoline_kernelINS0_14default_configENS1_38merge_sort_block_merge_config_selectorIlNS0_10empty_typeEEEZZNS1_27merge_sort_block_merge_implIS3_PlPS5_mZN2at6native12_GLOBAL__N_124unique_dim_cuda_templateIjEESt5tupleIJNSA_6TensorESF_SF_EERKSF_lbbbEUlllE_EE10hipError_tT0_T1_T2_jT3_P12ihipStream_tbPNSt15iterator_traitsISL_E10value_typeEPNSR_ISM_E10value_typeEPSN_NS1_7vsmem_tEENKUlT_SL_SM_SN_E_clIS8_S8_S9_S9_EESK_S10_SL_SM_SN_EUlS10_E_NS1_11comp_targetILNS1_3genE3ELNS1_11target_archE908ELNS1_3gpuE7ELNS1_3repE0EEENS1_48merge_mergepath_partition_config_static_selectorELNS0_4arch9wavefront6targetE0EEEvSM_
	.p2align	8
	.type	_ZN7rocprim17ROCPRIM_400000_NS6detail17trampoline_kernelINS0_14default_configENS1_38merge_sort_block_merge_config_selectorIlNS0_10empty_typeEEEZZNS1_27merge_sort_block_merge_implIS3_PlPS5_mZN2at6native12_GLOBAL__N_124unique_dim_cuda_templateIjEESt5tupleIJNSA_6TensorESF_SF_EERKSF_lbbbEUlllE_EE10hipError_tT0_T1_T2_jT3_P12ihipStream_tbPNSt15iterator_traitsISL_E10value_typeEPNSR_ISM_E10value_typeEPSN_NS1_7vsmem_tEENKUlT_SL_SM_SN_E_clIS8_S8_S9_S9_EESK_S10_SL_SM_SN_EUlS10_E_NS1_11comp_targetILNS1_3genE3ELNS1_11target_archE908ELNS1_3gpuE7ELNS1_3repE0EEENS1_48merge_mergepath_partition_config_static_selectorELNS0_4arch9wavefront6targetE0EEEvSM_,@function
_ZN7rocprim17ROCPRIM_400000_NS6detail17trampoline_kernelINS0_14default_configENS1_38merge_sort_block_merge_config_selectorIlNS0_10empty_typeEEEZZNS1_27merge_sort_block_merge_implIS3_PlPS5_mZN2at6native12_GLOBAL__N_124unique_dim_cuda_templateIjEESt5tupleIJNSA_6TensorESF_SF_EERKSF_lbbbEUlllE_EE10hipError_tT0_T1_T2_jT3_P12ihipStream_tbPNSt15iterator_traitsISL_E10value_typeEPNSR_ISM_E10value_typeEPSN_NS1_7vsmem_tEENKUlT_SL_SM_SN_E_clIS8_S8_S9_S9_EESK_S10_SL_SM_SN_EUlS10_E_NS1_11comp_targetILNS1_3genE3ELNS1_11target_archE908ELNS1_3gpuE7ELNS1_3repE0EEENS1_48merge_mergepath_partition_config_static_selectorELNS0_4arch9wavefront6targetE0EEEvSM_: ; @_ZN7rocprim17ROCPRIM_400000_NS6detail17trampoline_kernelINS0_14default_configENS1_38merge_sort_block_merge_config_selectorIlNS0_10empty_typeEEEZZNS1_27merge_sort_block_merge_implIS3_PlPS5_mZN2at6native12_GLOBAL__N_124unique_dim_cuda_templateIjEESt5tupleIJNSA_6TensorESF_SF_EERKSF_lbbbEUlllE_EE10hipError_tT0_T1_T2_jT3_P12ihipStream_tbPNSt15iterator_traitsISL_E10value_typeEPNSR_ISM_E10value_typeEPSN_NS1_7vsmem_tEENKUlT_SL_SM_SN_E_clIS8_S8_S9_S9_EESK_S10_SL_SM_SN_EUlS10_E_NS1_11comp_targetILNS1_3genE3ELNS1_11target_archE908ELNS1_3gpuE7ELNS1_3repE0EEENS1_48merge_mergepath_partition_config_static_selectorELNS0_4arch9wavefront6targetE0EEEvSM_
; %bb.0:
	.section	.rodata,"a",@progbits
	.p2align	6, 0x0
	.amdhsa_kernel _ZN7rocprim17ROCPRIM_400000_NS6detail17trampoline_kernelINS0_14default_configENS1_38merge_sort_block_merge_config_selectorIlNS0_10empty_typeEEEZZNS1_27merge_sort_block_merge_implIS3_PlPS5_mZN2at6native12_GLOBAL__N_124unique_dim_cuda_templateIjEESt5tupleIJNSA_6TensorESF_SF_EERKSF_lbbbEUlllE_EE10hipError_tT0_T1_T2_jT3_P12ihipStream_tbPNSt15iterator_traitsISL_E10value_typeEPNSR_ISM_E10value_typeEPSN_NS1_7vsmem_tEENKUlT_SL_SM_SN_E_clIS8_S8_S9_S9_EESK_S10_SL_SM_SN_EUlS10_E_NS1_11comp_targetILNS1_3genE3ELNS1_11target_archE908ELNS1_3gpuE7ELNS1_3repE0EEENS1_48merge_mergepath_partition_config_static_selectorELNS0_4arch9wavefront6targetE0EEEvSM_
		.amdhsa_group_segment_fixed_size 0
		.amdhsa_private_segment_fixed_size 0
		.amdhsa_kernarg_size 56
		.amdhsa_user_sgpr_count 15
		.amdhsa_user_sgpr_dispatch_ptr 0
		.amdhsa_user_sgpr_queue_ptr 0
		.amdhsa_user_sgpr_kernarg_segment_ptr 1
		.amdhsa_user_sgpr_dispatch_id 0
		.amdhsa_user_sgpr_private_segment_size 0
		.amdhsa_wavefront_size32 1
		.amdhsa_uses_dynamic_stack 0
		.amdhsa_enable_private_segment 0
		.amdhsa_system_sgpr_workgroup_id_x 1
		.amdhsa_system_sgpr_workgroup_id_y 0
		.amdhsa_system_sgpr_workgroup_id_z 0
		.amdhsa_system_sgpr_workgroup_info 0
		.amdhsa_system_vgpr_workitem_id 0
		.amdhsa_next_free_vgpr 1
		.amdhsa_next_free_sgpr 1
		.amdhsa_reserve_vcc 0
		.amdhsa_float_round_mode_32 0
		.amdhsa_float_round_mode_16_64 0
		.amdhsa_float_denorm_mode_32 3
		.amdhsa_float_denorm_mode_16_64 3
		.amdhsa_dx10_clamp 1
		.amdhsa_ieee_mode 1
		.amdhsa_fp16_overflow 0
		.amdhsa_workgroup_processor_mode 1
		.amdhsa_memory_ordered 1
		.amdhsa_forward_progress 0
		.amdhsa_shared_vgpr_count 0
		.amdhsa_exception_fp_ieee_invalid_op 0
		.amdhsa_exception_fp_denorm_src 0
		.amdhsa_exception_fp_ieee_div_zero 0
		.amdhsa_exception_fp_ieee_overflow 0
		.amdhsa_exception_fp_ieee_underflow 0
		.amdhsa_exception_fp_ieee_inexact 0
		.amdhsa_exception_int_div_zero 0
	.end_amdhsa_kernel
	.section	.text._ZN7rocprim17ROCPRIM_400000_NS6detail17trampoline_kernelINS0_14default_configENS1_38merge_sort_block_merge_config_selectorIlNS0_10empty_typeEEEZZNS1_27merge_sort_block_merge_implIS3_PlPS5_mZN2at6native12_GLOBAL__N_124unique_dim_cuda_templateIjEESt5tupleIJNSA_6TensorESF_SF_EERKSF_lbbbEUlllE_EE10hipError_tT0_T1_T2_jT3_P12ihipStream_tbPNSt15iterator_traitsISL_E10value_typeEPNSR_ISM_E10value_typeEPSN_NS1_7vsmem_tEENKUlT_SL_SM_SN_E_clIS8_S8_S9_S9_EESK_S10_SL_SM_SN_EUlS10_E_NS1_11comp_targetILNS1_3genE3ELNS1_11target_archE908ELNS1_3gpuE7ELNS1_3repE0EEENS1_48merge_mergepath_partition_config_static_selectorELNS0_4arch9wavefront6targetE0EEEvSM_,"axG",@progbits,_ZN7rocprim17ROCPRIM_400000_NS6detail17trampoline_kernelINS0_14default_configENS1_38merge_sort_block_merge_config_selectorIlNS0_10empty_typeEEEZZNS1_27merge_sort_block_merge_implIS3_PlPS5_mZN2at6native12_GLOBAL__N_124unique_dim_cuda_templateIjEESt5tupleIJNSA_6TensorESF_SF_EERKSF_lbbbEUlllE_EE10hipError_tT0_T1_T2_jT3_P12ihipStream_tbPNSt15iterator_traitsISL_E10value_typeEPNSR_ISM_E10value_typeEPSN_NS1_7vsmem_tEENKUlT_SL_SM_SN_E_clIS8_S8_S9_S9_EESK_S10_SL_SM_SN_EUlS10_E_NS1_11comp_targetILNS1_3genE3ELNS1_11target_archE908ELNS1_3gpuE7ELNS1_3repE0EEENS1_48merge_mergepath_partition_config_static_selectorELNS0_4arch9wavefront6targetE0EEEvSM_,comdat
.Lfunc_end1494:
	.size	_ZN7rocprim17ROCPRIM_400000_NS6detail17trampoline_kernelINS0_14default_configENS1_38merge_sort_block_merge_config_selectorIlNS0_10empty_typeEEEZZNS1_27merge_sort_block_merge_implIS3_PlPS5_mZN2at6native12_GLOBAL__N_124unique_dim_cuda_templateIjEESt5tupleIJNSA_6TensorESF_SF_EERKSF_lbbbEUlllE_EE10hipError_tT0_T1_T2_jT3_P12ihipStream_tbPNSt15iterator_traitsISL_E10value_typeEPNSR_ISM_E10value_typeEPSN_NS1_7vsmem_tEENKUlT_SL_SM_SN_E_clIS8_S8_S9_S9_EESK_S10_SL_SM_SN_EUlS10_E_NS1_11comp_targetILNS1_3genE3ELNS1_11target_archE908ELNS1_3gpuE7ELNS1_3repE0EEENS1_48merge_mergepath_partition_config_static_selectorELNS0_4arch9wavefront6targetE0EEEvSM_, .Lfunc_end1494-_ZN7rocprim17ROCPRIM_400000_NS6detail17trampoline_kernelINS0_14default_configENS1_38merge_sort_block_merge_config_selectorIlNS0_10empty_typeEEEZZNS1_27merge_sort_block_merge_implIS3_PlPS5_mZN2at6native12_GLOBAL__N_124unique_dim_cuda_templateIjEESt5tupleIJNSA_6TensorESF_SF_EERKSF_lbbbEUlllE_EE10hipError_tT0_T1_T2_jT3_P12ihipStream_tbPNSt15iterator_traitsISL_E10value_typeEPNSR_ISM_E10value_typeEPSN_NS1_7vsmem_tEENKUlT_SL_SM_SN_E_clIS8_S8_S9_S9_EESK_S10_SL_SM_SN_EUlS10_E_NS1_11comp_targetILNS1_3genE3ELNS1_11target_archE908ELNS1_3gpuE7ELNS1_3repE0EEENS1_48merge_mergepath_partition_config_static_selectorELNS0_4arch9wavefront6targetE0EEEvSM_
                                        ; -- End function
	.section	.AMDGPU.csdata,"",@progbits
; Kernel info:
; codeLenInByte = 0
; NumSgprs: 0
; NumVgprs: 0
; ScratchSize: 0
; MemoryBound: 0
; FloatMode: 240
; IeeeMode: 1
; LDSByteSize: 0 bytes/workgroup (compile time only)
; SGPRBlocks: 0
; VGPRBlocks: 0
; NumSGPRsForWavesPerEU: 1
; NumVGPRsForWavesPerEU: 1
; Occupancy: 16
; WaveLimiterHint : 0
; COMPUTE_PGM_RSRC2:SCRATCH_EN: 0
; COMPUTE_PGM_RSRC2:USER_SGPR: 15
; COMPUTE_PGM_RSRC2:TRAP_HANDLER: 0
; COMPUTE_PGM_RSRC2:TGID_X_EN: 1
; COMPUTE_PGM_RSRC2:TGID_Y_EN: 0
; COMPUTE_PGM_RSRC2:TGID_Z_EN: 0
; COMPUTE_PGM_RSRC2:TIDIG_COMP_CNT: 0
	.section	.text._ZN7rocprim17ROCPRIM_400000_NS6detail17trampoline_kernelINS0_14default_configENS1_38merge_sort_block_merge_config_selectorIlNS0_10empty_typeEEEZZNS1_27merge_sort_block_merge_implIS3_PlPS5_mZN2at6native12_GLOBAL__N_124unique_dim_cuda_templateIjEESt5tupleIJNSA_6TensorESF_SF_EERKSF_lbbbEUlllE_EE10hipError_tT0_T1_T2_jT3_P12ihipStream_tbPNSt15iterator_traitsISL_E10value_typeEPNSR_ISM_E10value_typeEPSN_NS1_7vsmem_tEENKUlT_SL_SM_SN_E_clIS8_S8_S9_S9_EESK_S10_SL_SM_SN_EUlS10_E_NS1_11comp_targetILNS1_3genE2ELNS1_11target_archE906ELNS1_3gpuE6ELNS1_3repE0EEENS1_48merge_mergepath_partition_config_static_selectorELNS0_4arch9wavefront6targetE0EEEvSM_,"axG",@progbits,_ZN7rocprim17ROCPRIM_400000_NS6detail17trampoline_kernelINS0_14default_configENS1_38merge_sort_block_merge_config_selectorIlNS0_10empty_typeEEEZZNS1_27merge_sort_block_merge_implIS3_PlPS5_mZN2at6native12_GLOBAL__N_124unique_dim_cuda_templateIjEESt5tupleIJNSA_6TensorESF_SF_EERKSF_lbbbEUlllE_EE10hipError_tT0_T1_T2_jT3_P12ihipStream_tbPNSt15iterator_traitsISL_E10value_typeEPNSR_ISM_E10value_typeEPSN_NS1_7vsmem_tEENKUlT_SL_SM_SN_E_clIS8_S8_S9_S9_EESK_S10_SL_SM_SN_EUlS10_E_NS1_11comp_targetILNS1_3genE2ELNS1_11target_archE906ELNS1_3gpuE6ELNS1_3repE0EEENS1_48merge_mergepath_partition_config_static_selectorELNS0_4arch9wavefront6targetE0EEEvSM_,comdat
	.globl	_ZN7rocprim17ROCPRIM_400000_NS6detail17trampoline_kernelINS0_14default_configENS1_38merge_sort_block_merge_config_selectorIlNS0_10empty_typeEEEZZNS1_27merge_sort_block_merge_implIS3_PlPS5_mZN2at6native12_GLOBAL__N_124unique_dim_cuda_templateIjEESt5tupleIJNSA_6TensorESF_SF_EERKSF_lbbbEUlllE_EE10hipError_tT0_T1_T2_jT3_P12ihipStream_tbPNSt15iterator_traitsISL_E10value_typeEPNSR_ISM_E10value_typeEPSN_NS1_7vsmem_tEENKUlT_SL_SM_SN_E_clIS8_S8_S9_S9_EESK_S10_SL_SM_SN_EUlS10_E_NS1_11comp_targetILNS1_3genE2ELNS1_11target_archE906ELNS1_3gpuE6ELNS1_3repE0EEENS1_48merge_mergepath_partition_config_static_selectorELNS0_4arch9wavefront6targetE0EEEvSM_ ; -- Begin function _ZN7rocprim17ROCPRIM_400000_NS6detail17trampoline_kernelINS0_14default_configENS1_38merge_sort_block_merge_config_selectorIlNS0_10empty_typeEEEZZNS1_27merge_sort_block_merge_implIS3_PlPS5_mZN2at6native12_GLOBAL__N_124unique_dim_cuda_templateIjEESt5tupleIJNSA_6TensorESF_SF_EERKSF_lbbbEUlllE_EE10hipError_tT0_T1_T2_jT3_P12ihipStream_tbPNSt15iterator_traitsISL_E10value_typeEPNSR_ISM_E10value_typeEPSN_NS1_7vsmem_tEENKUlT_SL_SM_SN_E_clIS8_S8_S9_S9_EESK_S10_SL_SM_SN_EUlS10_E_NS1_11comp_targetILNS1_3genE2ELNS1_11target_archE906ELNS1_3gpuE6ELNS1_3repE0EEENS1_48merge_mergepath_partition_config_static_selectorELNS0_4arch9wavefront6targetE0EEEvSM_
	.p2align	8
	.type	_ZN7rocprim17ROCPRIM_400000_NS6detail17trampoline_kernelINS0_14default_configENS1_38merge_sort_block_merge_config_selectorIlNS0_10empty_typeEEEZZNS1_27merge_sort_block_merge_implIS3_PlPS5_mZN2at6native12_GLOBAL__N_124unique_dim_cuda_templateIjEESt5tupleIJNSA_6TensorESF_SF_EERKSF_lbbbEUlllE_EE10hipError_tT0_T1_T2_jT3_P12ihipStream_tbPNSt15iterator_traitsISL_E10value_typeEPNSR_ISM_E10value_typeEPSN_NS1_7vsmem_tEENKUlT_SL_SM_SN_E_clIS8_S8_S9_S9_EESK_S10_SL_SM_SN_EUlS10_E_NS1_11comp_targetILNS1_3genE2ELNS1_11target_archE906ELNS1_3gpuE6ELNS1_3repE0EEENS1_48merge_mergepath_partition_config_static_selectorELNS0_4arch9wavefront6targetE0EEEvSM_,@function
_ZN7rocprim17ROCPRIM_400000_NS6detail17trampoline_kernelINS0_14default_configENS1_38merge_sort_block_merge_config_selectorIlNS0_10empty_typeEEEZZNS1_27merge_sort_block_merge_implIS3_PlPS5_mZN2at6native12_GLOBAL__N_124unique_dim_cuda_templateIjEESt5tupleIJNSA_6TensorESF_SF_EERKSF_lbbbEUlllE_EE10hipError_tT0_T1_T2_jT3_P12ihipStream_tbPNSt15iterator_traitsISL_E10value_typeEPNSR_ISM_E10value_typeEPSN_NS1_7vsmem_tEENKUlT_SL_SM_SN_E_clIS8_S8_S9_S9_EESK_S10_SL_SM_SN_EUlS10_E_NS1_11comp_targetILNS1_3genE2ELNS1_11target_archE906ELNS1_3gpuE6ELNS1_3repE0EEENS1_48merge_mergepath_partition_config_static_selectorELNS0_4arch9wavefront6targetE0EEEvSM_: ; @_ZN7rocprim17ROCPRIM_400000_NS6detail17trampoline_kernelINS0_14default_configENS1_38merge_sort_block_merge_config_selectorIlNS0_10empty_typeEEEZZNS1_27merge_sort_block_merge_implIS3_PlPS5_mZN2at6native12_GLOBAL__N_124unique_dim_cuda_templateIjEESt5tupleIJNSA_6TensorESF_SF_EERKSF_lbbbEUlllE_EE10hipError_tT0_T1_T2_jT3_P12ihipStream_tbPNSt15iterator_traitsISL_E10value_typeEPNSR_ISM_E10value_typeEPSN_NS1_7vsmem_tEENKUlT_SL_SM_SN_E_clIS8_S8_S9_S9_EESK_S10_SL_SM_SN_EUlS10_E_NS1_11comp_targetILNS1_3genE2ELNS1_11target_archE906ELNS1_3gpuE6ELNS1_3repE0EEENS1_48merge_mergepath_partition_config_static_selectorELNS0_4arch9wavefront6targetE0EEEvSM_
; %bb.0:
	.section	.rodata,"a",@progbits
	.p2align	6, 0x0
	.amdhsa_kernel _ZN7rocprim17ROCPRIM_400000_NS6detail17trampoline_kernelINS0_14default_configENS1_38merge_sort_block_merge_config_selectorIlNS0_10empty_typeEEEZZNS1_27merge_sort_block_merge_implIS3_PlPS5_mZN2at6native12_GLOBAL__N_124unique_dim_cuda_templateIjEESt5tupleIJNSA_6TensorESF_SF_EERKSF_lbbbEUlllE_EE10hipError_tT0_T1_T2_jT3_P12ihipStream_tbPNSt15iterator_traitsISL_E10value_typeEPNSR_ISM_E10value_typeEPSN_NS1_7vsmem_tEENKUlT_SL_SM_SN_E_clIS8_S8_S9_S9_EESK_S10_SL_SM_SN_EUlS10_E_NS1_11comp_targetILNS1_3genE2ELNS1_11target_archE906ELNS1_3gpuE6ELNS1_3repE0EEENS1_48merge_mergepath_partition_config_static_selectorELNS0_4arch9wavefront6targetE0EEEvSM_
		.amdhsa_group_segment_fixed_size 0
		.amdhsa_private_segment_fixed_size 0
		.amdhsa_kernarg_size 56
		.amdhsa_user_sgpr_count 15
		.amdhsa_user_sgpr_dispatch_ptr 0
		.amdhsa_user_sgpr_queue_ptr 0
		.amdhsa_user_sgpr_kernarg_segment_ptr 1
		.amdhsa_user_sgpr_dispatch_id 0
		.amdhsa_user_sgpr_private_segment_size 0
		.amdhsa_wavefront_size32 1
		.amdhsa_uses_dynamic_stack 0
		.amdhsa_enable_private_segment 0
		.amdhsa_system_sgpr_workgroup_id_x 1
		.amdhsa_system_sgpr_workgroup_id_y 0
		.amdhsa_system_sgpr_workgroup_id_z 0
		.amdhsa_system_sgpr_workgroup_info 0
		.amdhsa_system_vgpr_workitem_id 0
		.amdhsa_next_free_vgpr 1
		.amdhsa_next_free_sgpr 1
		.amdhsa_reserve_vcc 0
		.amdhsa_float_round_mode_32 0
		.amdhsa_float_round_mode_16_64 0
		.amdhsa_float_denorm_mode_32 3
		.amdhsa_float_denorm_mode_16_64 3
		.amdhsa_dx10_clamp 1
		.amdhsa_ieee_mode 1
		.amdhsa_fp16_overflow 0
		.amdhsa_workgroup_processor_mode 1
		.amdhsa_memory_ordered 1
		.amdhsa_forward_progress 0
		.amdhsa_shared_vgpr_count 0
		.amdhsa_exception_fp_ieee_invalid_op 0
		.amdhsa_exception_fp_denorm_src 0
		.amdhsa_exception_fp_ieee_div_zero 0
		.amdhsa_exception_fp_ieee_overflow 0
		.amdhsa_exception_fp_ieee_underflow 0
		.amdhsa_exception_fp_ieee_inexact 0
		.amdhsa_exception_int_div_zero 0
	.end_amdhsa_kernel
	.section	.text._ZN7rocprim17ROCPRIM_400000_NS6detail17trampoline_kernelINS0_14default_configENS1_38merge_sort_block_merge_config_selectorIlNS0_10empty_typeEEEZZNS1_27merge_sort_block_merge_implIS3_PlPS5_mZN2at6native12_GLOBAL__N_124unique_dim_cuda_templateIjEESt5tupleIJNSA_6TensorESF_SF_EERKSF_lbbbEUlllE_EE10hipError_tT0_T1_T2_jT3_P12ihipStream_tbPNSt15iterator_traitsISL_E10value_typeEPNSR_ISM_E10value_typeEPSN_NS1_7vsmem_tEENKUlT_SL_SM_SN_E_clIS8_S8_S9_S9_EESK_S10_SL_SM_SN_EUlS10_E_NS1_11comp_targetILNS1_3genE2ELNS1_11target_archE906ELNS1_3gpuE6ELNS1_3repE0EEENS1_48merge_mergepath_partition_config_static_selectorELNS0_4arch9wavefront6targetE0EEEvSM_,"axG",@progbits,_ZN7rocprim17ROCPRIM_400000_NS6detail17trampoline_kernelINS0_14default_configENS1_38merge_sort_block_merge_config_selectorIlNS0_10empty_typeEEEZZNS1_27merge_sort_block_merge_implIS3_PlPS5_mZN2at6native12_GLOBAL__N_124unique_dim_cuda_templateIjEESt5tupleIJNSA_6TensorESF_SF_EERKSF_lbbbEUlllE_EE10hipError_tT0_T1_T2_jT3_P12ihipStream_tbPNSt15iterator_traitsISL_E10value_typeEPNSR_ISM_E10value_typeEPSN_NS1_7vsmem_tEENKUlT_SL_SM_SN_E_clIS8_S8_S9_S9_EESK_S10_SL_SM_SN_EUlS10_E_NS1_11comp_targetILNS1_3genE2ELNS1_11target_archE906ELNS1_3gpuE6ELNS1_3repE0EEENS1_48merge_mergepath_partition_config_static_selectorELNS0_4arch9wavefront6targetE0EEEvSM_,comdat
.Lfunc_end1495:
	.size	_ZN7rocprim17ROCPRIM_400000_NS6detail17trampoline_kernelINS0_14default_configENS1_38merge_sort_block_merge_config_selectorIlNS0_10empty_typeEEEZZNS1_27merge_sort_block_merge_implIS3_PlPS5_mZN2at6native12_GLOBAL__N_124unique_dim_cuda_templateIjEESt5tupleIJNSA_6TensorESF_SF_EERKSF_lbbbEUlllE_EE10hipError_tT0_T1_T2_jT3_P12ihipStream_tbPNSt15iterator_traitsISL_E10value_typeEPNSR_ISM_E10value_typeEPSN_NS1_7vsmem_tEENKUlT_SL_SM_SN_E_clIS8_S8_S9_S9_EESK_S10_SL_SM_SN_EUlS10_E_NS1_11comp_targetILNS1_3genE2ELNS1_11target_archE906ELNS1_3gpuE6ELNS1_3repE0EEENS1_48merge_mergepath_partition_config_static_selectorELNS0_4arch9wavefront6targetE0EEEvSM_, .Lfunc_end1495-_ZN7rocprim17ROCPRIM_400000_NS6detail17trampoline_kernelINS0_14default_configENS1_38merge_sort_block_merge_config_selectorIlNS0_10empty_typeEEEZZNS1_27merge_sort_block_merge_implIS3_PlPS5_mZN2at6native12_GLOBAL__N_124unique_dim_cuda_templateIjEESt5tupleIJNSA_6TensorESF_SF_EERKSF_lbbbEUlllE_EE10hipError_tT0_T1_T2_jT3_P12ihipStream_tbPNSt15iterator_traitsISL_E10value_typeEPNSR_ISM_E10value_typeEPSN_NS1_7vsmem_tEENKUlT_SL_SM_SN_E_clIS8_S8_S9_S9_EESK_S10_SL_SM_SN_EUlS10_E_NS1_11comp_targetILNS1_3genE2ELNS1_11target_archE906ELNS1_3gpuE6ELNS1_3repE0EEENS1_48merge_mergepath_partition_config_static_selectorELNS0_4arch9wavefront6targetE0EEEvSM_
                                        ; -- End function
	.section	.AMDGPU.csdata,"",@progbits
; Kernel info:
; codeLenInByte = 0
; NumSgprs: 0
; NumVgprs: 0
; ScratchSize: 0
; MemoryBound: 0
; FloatMode: 240
; IeeeMode: 1
; LDSByteSize: 0 bytes/workgroup (compile time only)
; SGPRBlocks: 0
; VGPRBlocks: 0
; NumSGPRsForWavesPerEU: 1
; NumVGPRsForWavesPerEU: 1
; Occupancy: 16
; WaveLimiterHint : 0
; COMPUTE_PGM_RSRC2:SCRATCH_EN: 0
; COMPUTE_PGM_RSRC2:USER_SGPR: 15
; COMPUTE_PGM_RSRC2:TRAP_HANDLER: 0
; COMPUTE_PGM_RSRC2:TGID_X_EN: 1
; COMPUTE_PGM_RSRC2:TGID_Y_EN: 0
; COMPUTE_PGM_RSRC2:TGID_Z_EN: 0
; COMPUTE_PGM_RSRC2:TIDIG_COMP_CNT: 0
	.section	.text._ZN7rocprim17ROCPRIM_400000_NS6detail17trampoline_kernelINS0_14default_configENS1_38merge_sort_block_merge_config_selectorIlNS0_10empty_typeEEEZZNS1_27merge_sort_block_merge_implIS3_PlPS5_mZN2at6native12_GLOBAL__N_124unique_dim_cuda_templateIjEESt5tupleIJNSA_6TensorESF_SF_EERKSF_lbbbEUlllE_EE10hipError_tT0_T1_T2_jT3_P12ihipStream_tbPNSt15iterator_traitsISL_E10value_typeEPNSR_ISM_E10value_typeEPSN_NS1_7vsmem_tEENKUlT_SL_SM_SN_E_clIS8_S8_S9_S9_EESK_S10_SL_SM_SN_EUlS10_E_NS1_11comp_targetILNS1_3genE9ELNS1_11target_archE1100ELNS1_3gpuE3ELNS1_3repE0EEENS1_48merge_mergepath_partition_config_static_selectorELNS0_4arch9wavefront6targetE0EEEvSM_,"axG",@progbits,_ZN7rocprim17ROCPRIM_400000_NS6detail17trampoline_kernelINS0_14default_configENS1_38merge_sort_block_merge_config_selectorIlNS0_10empty_typeEEEZZNS1_27merge_sort_block_merge_implIS3_PlPS5_mZN2at6native12_GLOBAL__N_124unique_dim_cuda_templateIjEESt5tupleIJNSA_6TensorESF_SF_EERKSF_lbbbEUlllE_EE10hipError_tT0_T1_T2_jT3_P12ihipStream_tbPNSt15iterator_traitsISL_E10value_typeEPNSR_ISM_E10value_typeEPSN_NS1_7vsmem_tEENKUlT_SL_SM_SN_E_clIS8_S8_S9_S9_EESK_S10_SL_SM_SN_EUlS10_E_NS1_11comp_targetILNS1_3genE9ELNS1_11target_archE1100ELNS1_3gpuE3ELNS1_3repE0EEENS1_48merge_mergepath_partition_config_static_selectorELNS0_4arch9wavefront6targetE0EEEvSM_,comdat
	.globl	_ZN7rocprim17ROCPRIM_400000_NS6detail17trampoline_kernelINS0_14default_configENS1_38merge_sort_block_merge_config_selectorIlNS0_10empty_typeEEEZZNS1_27merge_sort_block_merge_implIS3_PlPS5_mZN2at6native12_GLOBAL__N_124unique_dim_cuda_templateIjEESt5tupleIJNSA_6TensorESF_SF_EERKSF_lbbbEUlllE_EE10hipError_tT0_T1_T2_jT3_P12ihipStream_tbPNSt15iterator_traitsISL_E10value_typeEPNSR_ISM_E10value_typeEPSN_NS1_7vsmem_tEENKUlT_SL_SM_SN_E_clIS8_S8_S9_S9_EESK_S10_SL_SM_SN_EUlS10_E_NS1_11comp_targetILNS1_3genE9ELNS1_11target_archE1100ELNS1_3gpuE3ELNS1_3repE0EEENS1_48merge_mergepath_partition_config_static_selectorELNS0_4arch9wavefront6targetE0EEEvSM_ ; -- Begin function _ZN7rocprim17ROCPRIM_400000_NS6detail17trampoline_kernelINS0_14default_configENS1_38merge_sort_block_merge_config_selectorIlNS0_10empty_typeEEEZZNS1_27merge_sort_block_merge_implIS3_PlPS5_mZN2at6native12_GLOBAL__N_124unique_dim_cuda_templateIjEESt5tupleIJNSA_6TensorESF_SF_EERKSF_lbbbEUlllE_EE10hipError_tT0_T1_T2_jT3_P12ihipStream_tbPNSt15iterator_traitsISL_E10value_typeEPNSR_ISM_E10value_typeEPSN_NS1_7vsmem_tEENKUlT_SL_SM_SN_E_clIS8_S8_S9_S9_EESK_S10_SL_SM_SN_EUlS10_E_NS1_11comp_targetILNS1_3genE9ELNS1_11target_archE1100ELNS1_3gpuE3ELNS1_3repE0EEENS1_48merge_mergepath_partition_config_static_selectorELNS0_4arch9wavefront6targetE0EEEvSM_
	.p2align	8
	.type	_ZN7rocprim17ROCPRIM_400000_NS6detail17trampoline_kernelINS0_14default_configENS1_38merge_sort_block_merge_config_selectorIlNS0_10empty_typeEEEZZNS1_27merge_sort_block_merge_implIS3_PlPS5_mZN2at6native12_GLOBAL__N_124unique_dim_cuda_templateIjEESt5tupleIJNSA_6TensorESF_SF_EERKSF_lbbbEUlllE_EE10hipError_tT0_T1_T2_jT3_P12ihipStream_tbPNSt15iterator_traitsISL_E10value_typeEPNSR_ISM_E10value_typeEPSN_NS1_7vsmem_tEENKUlT_SL_SM_SN_E_clIS8_S8_S9_S9_EESK_S10_SL_SM_SN_EUlS10_E_NS1_11comp_targetILNS1_3genE9ELNS1_11target_archE1100ELNS1_3gpuE3ELNS1_3repE0EEENS1_48merge_mergepath_partition_config_static_selectorELNS0_4arch9wavefront6targetE0EEEvSM_,@function
_ZN7rocprim17ROCPRIM_400000_NS6detail17trampoline_kernelINS0_14default_configENS1_38merge_sort_block_merge_config_selectorIlNS0_10empty_typeEEEZZNS1_27merge_sort_block_merge_implIS3_PlPS5_mZN2at6native12_GLOBAL__N_124unique_dim_cuda_templateIjEESt5tupleIJNSA_6TensorESF_SF_EERKSF_lbbbEUlllE_EE10hipError_tT0_T1_T2_jT3_P12ihipStream_tbPNSt15iterator_traitsISL_E10value_typeEPNSR_ISM_E10value_typeEPSN_NS1_7vsmem_tEENKUlT_SL_SM_SN_E_clIS8_S8_S9_S9_EESK_S10_SL_SM_SN_EUlS10_E_NS1_11comp_targetILNS1_3genE9ELNS1_11target_archE1100ELNS1_3gpuE3ELNS1_3repE0EEENS1_48merge_mergepath_partition_config_static_selectorELNS0_4arch9wavefront6targetE0EEEvSM_: ; @_ZN7rocprim17ROCPRIM_400000_NS6detail17trampoline_kernelINS0_14default_configENS1_38merge_sort_block_merge_config_selectorIlNS0_10empty_typeEEEZZNS1_27merge_sort_block_merge_implIS3_PlPS5_mZN2at6native12_GLOBAL__N_124unique_dim_cuda_templateIjEESt5tupleIJNSA_6TensorESF_SF_EERKSF_lbbbEUlllE_EE10hipError_tT0_T1_T2_jT3_P12ihipStream_tbPNSt15iterator_traitsISL_E10value_typeEPNSR_ISM_E10value_typeEPSN_NS1_7vsmem_tEENKUlT_SL_SM_SN_E_clIS8_S8_S9_S9_EESK_S10_SL_SM_SN_EUlS10_E_NS1_11comp_targetILNS1_3genE9ELNS1_11target_archE1100ELNS1_3gpuE3ELNS1_3repE0EEENS1_48merge_mergepath_partition_config_static_selectorELNS0_4arch9wavefront6targetE0EEEvSM_
; %bb.0:
	s_load_b32 s2, s[0:1], 0x0
	v_lshl_or_b32 v0, s15, 7, v0
	s_waitcnt lgkmcnt(0)
	s_delay_alu instid0(VALU_DEP_1)
	v_cmp_gt_u32_e32 vcc_lo, s2, v0
	s_and_saveexec_b32 s2, vcc_lo
	s_cbranch_execz .LBB1496_13
; %bb.1:
	s_load_b128 s[4:7], s[0:1], 0x8
	s_mov_b32 s12, 0
	v_mov_b32_e32 v2, 0
	s_waitcnt lgkmcnt(0)
	v_alignbit_b32 v1, s5, s4, 9
	s_delay_alu instid0(VALU_DEP_1) | instskip(NEXT) | instid1(VALU_DEP_1)
	v_and_b32_e32 v3, -2, v1
	v_sub_nc_u32_e32 v1, 0, v3
	s_delay_alu instid0(VALU_DEP_1) | instskip(NEXT) | instid1(VALU_DEP_1)
	v_and_b32_e32 v1, v0, v1
	v_lshlrev_b64 v[4:5], 10, v[1:2]
	v_add_nc_u32_e32 v1, -1, v3
	s_delay_alu instid0(VALU_DEP_1) | instskip(NEXT) | instid1(VALU_DEP_3)
	v_dual_mov_b32 v11, v2 :: v_dual_and_b32 v10, v1, v0
	v_add_co_u32 v6, vcc_lo, v4, s4
	s_delay_alu instid0(VALU_DEP_4) | instskip(NEXT) | instid1(VALU_DEP_1)
	v_add_co_ci_u32_e32 v7, vcc_lo, s5, v5, vcc_lo
	v_cmp_lt_u64_e32 vcc_lo, s[6:7], v[6:7]
	v_cndmask_b32_e64 v8, v6, s6, vcc_lo
	v_cndmask_b32_e64 v9, v7, s7, vcc_lo
	s_delay_alu instid0(VALU_DEP_2) | instskip(NEXT) | instid1(VALU_DEP_2)
	v_add_co_u32 v6, vcc_lo, v8, s4
	v_add_co_ci_u32_e32 v7, vcc_lo, s5, v9, vcc_lo
	v_cmp_lt_u64_e32 vcc_lo, s[6:7], v[4:5]
	s_delay_alu instid0(VALU_DEP_2) | instskip(SKIP_3) | instid1(VALU_DEP_4)
	v_cmp_lt_u64_e64 s2, s[6:7], v[6:7]
	v_cndmask_b32_e64 v2, v4, s6, vcc_lo
	v_cndmask_b32_e64 v3, v5, s7, vcc_lo
	v_lshlrev_b64 v[4:5], 10, v[10:11]
	v_cndmask_b32_e64 v12, v6, s6, s2
	v_cndmask_b32_e64 v1, v7, s7, s2
	s_load_b256 s[4:11], s[0:1], 0x18
	s_mov_b32 s1, exec_lo
	s_delay_alu instid0(VALU_DEP_2) | instskip(NEXT) | instid1(VALU_DEP_2)
	v_sub_co_u32 v6, vcc_lo, v12, v2
	v_sub_co_ci_u32_e32 v7, vcc_lo, v1, v3, vcc_lo
	s_delay_alu instid0(VALU_DEP_1) | instskip(SKIP_3) | instid1(VALU_DEP_2)
	v_cmp_lt_u64_e32 vcc_lo, v[6:7], v[4:5]
	v_dual_cndmask_b32 v11, v5, v7 :: v_dual_cndmask_b32 v10, v4, v6
	v_sub_co_u32 v4, vcc_lo, v8, v12
	v_sub_co_ci_u32_e32 v1, vcc_lo, v9, v1, vcc_lo
	v_add_co_u32 v4, vcc_lo, v10, v4
	s_delay_alu instid0(VALU_DEP_2) | instskip(SKIP_2) | instid1(VALU_DEP_3)
	v_add_co_ci_u32_e32 v5, vcc_lo, v11, v1, vcc_lo
	v_sub_co_u32 v6, vcc_lo, v8, v2
	v_sub_co_ci_u32_e32 v7, vcc_lo, v9, v3, vcc_lo
	v_cmp_gt_u64_e32 vcc_lo, v[4:5], v[10:11]
	s_delay_alu instid0(VALU_DEP_2) | instskip(SKIP_2) | instid1(VALU_DEP_3)
	v_cmp_lt_u64_e64 s0, v[10:11], v[6:7]
	v_cndmask_b32_e64 v5, v5, 0, vcc_lo
	v_cndmask_b32_e64 v4, v4, 0, vcc_lo
	v_cndmask_b32_e64 v7, v7, v11, s0
	v_cndmask_b32_e64 v6, v6, v10, s0
	s_delay_alu instid0(VALU_DEP_1)
	v_cmpx_lt_u64_e64 v[4:5], v[6:7]
	s_cbranch_execz .LBB1496_12
; %bb.2:
	v_lshlrev_b64 v[8:9], 3, v[8:9]
	v_lshlrev_b64 v[12:13], 3, v[2:3]
	;; [unrolled: 1-line block ×3, first 2 shown]
	s_waitcnt lgkmcnt(0)
	v_cmp_gt_i64_e64 s13, s[6:7], 0
	s_lshl_b64 s[2:3], s[6:7], 2
	v_add_co_u32 v8, vcc_lo, s4, v8
	v_add_co_ci_u32_e32 v9, vcc_lo, s5, v9, vcc_lo
	v_add_co_u32 v1, vcc_lo, s4, v12
	v_add_co_ci_u32_e32 v14, vcc_lo, s5, v13, vcc_lo
	s_delay_alu instid0(VALU_DEP_4) | instskip(NEXT) | instid1(VALU_DEP_4)
	v_add_co_u32 v15, vcc_lo, v8, v10
	v_add_co_ci_u32_e32 v16, vcc_lo, v9, v11, vcc_lo
	s_branch .LBB1496_5
.LBB1496_3:                             ;   in Loop: Header=BB1496_5 Depth=1
	s_set_inst_prefetch_distance 0x2
	s_or_b32 exec_lo, exec_lo, s15
.LBB1496_4:                             ;   in Loop: Header=BB1496_5 Depth=1
	s_delay_alu instid0(VALU_DEP_1) | instskip(NEXT) | instid1(VALU_DEP_2)
	v_add_co_u32 v10, vcc_lo, v8, 1
	v_add_co_ci_u32_e32 v11, vcc_lo, 0, v9, vcc_lo
	v_cndmask_b32_e64 v7, v7, v9, s14
	v_cndmask_b32_e64 v6, v6, v8, s14
	s_delay_alu instid0(VALU_DEP_4) | instskip(NEXT) | instid1(VALU_DEP_4)
	v_cndmask_b32_e64 v4, v10, v4, s14
	v_cndmask_b32_e64 v5, v11, v5, s14
	s_delay_alu instid0(VALU_DEP_1) | instskip(SKIP_1) | instid1(SALU_CYCLE_1)
	v_cmp_ge_u64_e32 vcc_lo, v[4:5], v[6:7]
	s_or_b32 s12, vcc_lo, s12
	s_and_not1_b32 exec_lo, exec_lo, s12
	s_cbranch_execz .LBB1496_11
.LBB1496_5:                             ; =>This Loop Header: Depth=1
                                        ;     Child Loop BB1496_8 Depth 2
	v_add_co_u32 v8, vcc_lo, v6, v4
	v_add_co_ci_u32_e32 v9, vcc_lo, v7, v5, vcc_lo
	s_and_not1_b32 vcc_lo, exec_lo, s13
	s_delay_alu instid0(VALU_DEP_1)
	v_lshrrev_b64 v[8:9], 1, v[8:9]
	s_cbranch_vccnz .LBB1496_10
; %bb.6:                                ;   in Loop: Header=BB1496_5 Depth=1
	s_delay_alu instid0(VALU_DEP_1) | instskip(NEXT) | instid1(VALU_DEP_2)
	v_not_b32_e32 v11, v9
	v_not_b32_e32 v10, v8
	v_lshlrev_b64 v[12:13], 3, v[8:9]
	s_mov_b32 s15, 0
	s_mov_b64 s[4:5], s[6:7]
                                        ; implicit-def: $sgpr14
                                        ; implicit-def: $sgpr16
                                        ; implicit-def: $sgpr17
                                        ; implicit-def: $sgpr18
                                        ; implicit-def: $sgpr19
	s_delay_alu instid0(VALU_DEP_2) | instskip(NEXT) | instid1(VALU_DEP_1)
	v_lshlrev_b64 v[10:11], 3, v[10:11]
	v_add_co_u32 v10, vcc_lo, v15, v10
	s_delay_alu instid0(VALU_DEP_2)
	v_add_co_ci_u32_e32 v11, vcc_lo, v16, v11, vcc_lo
	v_add_co_u32 v12, vcc_lo, v1, v12
	v_add_co_ci_u32_e32 v13, vcc_lo, v14, v13, vcc_lo
	s_clause 0x1
	global_load_b64 v[17:18], v[10:11], off
	global_load_b64 v[19:20], v[12:13], off
	s_waitcnt vmcnt(1)
	v_mul_lo_u32 v18, s2, v18
	v_mul_lo_u32 v21, s3, v17
	v_mad_u64_u32 v[10:11], null, s2, v17, s[8:9]
	s_waitcnt vmcnt(0)
	v_mul_lo_u32 v17, s2, v20
	v_mul_lo_u32 v20, s3, v19
	v_mad_u64_u32 v[12:13], null, s2, v19, s[8:9]
	s_delay_alu instid0(VALU_DEP_4) | instskip(NEXT) | instid1(VALU_DEP_2)
	v_add3_u32 v11, v21, v11, v18
	v_add3_u32 v13, v20, v13, v17
	s_set_inst_prefetch_distance 0x1
	s_branch .LBB1496_8
	.p2align	6
.LBB1496_7:                             ;   in Loop: Header=BB1496_8 Depth=2
	s_or_b32 exec_lo, exec_lo, s0
	s_delay_alu instid0(SALU_CYCLE_1) | instskip(NEXT) | instid1(SALU_CYCLE_1)
	s_and_b32 s0, exec_lo, s16
	s_or_b32 s15, s0, s15
	s_and_not1_b32 s0, s19, exec_lo
	s_and_b32 s19, s17, exec_lo
	s_and_not1_b32 s14, s14, exec_lo
	s_and_b32 s20, s18, exec_lo
	s_or_b32 s19, s0, s19
	s_or_b32 s14, s14, s20
	s_and_not1_b32 exec_lo, exec_lo, s15
	s_cbranch_execz .LBB1496_3
.LBB1496_8:                             ;   Parent Loop BB1496_5 Depth=1
                                        ; =>  This Inner Loop Header: Depth=2
	global_load_b32 v17, v[10:11], off
	global_load_b32 v18, v[12:13], off
	s_and_not1_b32 s18, s18, exec_lo
	s_and_not1_b32 s17, s17, exec_lo
	s_or_b32 s16, s16, exec_lo
	s_waitcnt vmcnt(0)
	v_cmp_le_u32_e32 vcc_lo, v17, v18
	v_cmp_lt_u32_e64 s0, v17, v18
	s_and_b32 s20, vcc_lo, s19
	s_delay_alu instid0(VALU_DEP_1) | instid1(SALU_CYCLE_1)
	s_or_b32 s20, s0, s20
	s_delay_alu instid0(SALU_CYCLE_1) | instskip(NEXT) | instid1(SALU_CYCLE_1)
	s_and_b32 s0, s20, exec_lo
	s_or_b32 s18, s18, s0
	s_mov_b32 s0, exec_lo
	v_cmpx_eq_u32_e64 v17, v18
	s_cbranch_execz .LBB1496_7
; %bb.9:                                ;   in Loop: Header=BB1496_8 Depth=2
	s_add_u32 s4, s4, -1
	s_addc_u32 s5, s5, -1
	v_add_co_u32 v10, vcc_lo, v10, 4
	s_cmp_eq_u64 s[4:5], 0
	v_add_co_ci_u32_e32 v11, vcc_lo, 0, v11, vcc_lo
	s_cselect_b32 s19, -1, 0
	v_add_co_u32 v12, vcc_lo, v12, 4
	s_and_not1_b32 s17, s17, exec_lo
	s_and_b32 s20, s20, exec_lo
	s_and_not1_b32 s16, s16, exec_lo
	s_and_b32 s19, s19, exec_lo
	v_add_co_ci_u32_e32 v13, vcc_lo, 0, v13, vcc_lo
	s_and_not1_b32 s18, s18, exec_lo
	s_or_b32 s17, s17, s20
	s_or_b32 s16, s16, s19
                                        ; implicit-def: $sgpr19
	s_branch .LBB1496_7
.LBB1496_10:                            ;   in Loop: Header=BB1496_5 Depth=1
	s_mov_b32 s14, 0
	s_branch .LBB1496_4
.LBB1496_11:
	s_or_b32 exec_lo, exec_lo, s12
.LBB1496_12:
	s_delay_alu instid0(SALU_CYCLE_1) | instskip(SKIP_3) | instid1(VALU_DEP_3)
	s_or_b32 exec_lo, exec_lo, s1
	v_mov_b32_e32 v1, 0
	v_add_co_u32 v2, vcc_lo, v4, v2
	v_add_co_ci_u32_e32 v3, vcc_lo, v5, v3, vcc_lo
	v_lshlrev_b64 v[0:1], 3, v[0:1]
	s_waitcnt lgkmcnt(0)
	s_delay_alu instid0(VALU_DEP_1) | instskip(NEXT) | instid1(VALU_DEP_2)
	v_add_co_u32 v0, vcc_lo, s10, v0
	v_add_co_ci_u32_e32 v1, vcc_lo, s11, v1, vcc_lo
	global_store_b64 v[0:1], v[2:3], off
.LBB1496_13:
	s_nop 0
	s_sendmsg sendmsg(MSG_DEALLOC_VGPRS)
	s_endpgm
	.section	.rodata,"a",@progbits
	.p2align	6, 0x0
	.amdhsa_kernel _ZN7rocprim17ROCPRIM_400000_NS6detail17trampoline_kernelINS0_14default_configENS1_38merge_sort_block_merge_config_selectorIlNS0_10empty_typeEEEZZNS1_27merge_sort_block_merge_implIS3_PlPS5_mZN2at6native12_GLOBAL__N_124unique_dim_cuda_templateIjEESt5tupleIJNSA_6TensorESF_SF_EERKSF_lbbbEUlllE_EE10hipError_tT0_T1_T2_jT3_P12ihipStream_tbPNSt15iterator_traitsISL_E10value_typeEPNSR_ISM_E10value_typeEPSN_NS1_7vsmem_tEENKUlT_SL_SM_SN_E_clIS8_S8_S9_S9_EESK_S10_SL_SM_SN_EUlS10_E_NS1_11comp_targetILNS1_3genE9ELNS1_11target_archE1100ELNS1_3gpuE3ELNS1_3repE0EEENS1_48merge_mergepath_partition_config_static_selectorELNS0_4arch9wavefront6targetE0EEEvSM_
		.amdhsa_group_segment_fixed_size 0
		.amdhsa_private_segment_fixed_size 0
		.amdhsa_kernarg_size 56
		.amdhsa_user_sgpr_count 15
		.amdhsa_user_sgpr_dispatch_ptr 0
		.amdhsa_user_sgpr_queue_ptr 0
		.amdhsa_user_sgpr_kernarg_segment_ptr 1
		.amdhsa_user_sgpr_dispatch_id 0
		.amdhsa_user_sgpr_private_segment_size 0
		.amdhsa_wavefront_size32 1
		.amdhsa_uses_dynamic_stack 0
		.amdhsa_enable_private_segment 0
		.amdhsa_system_sgpr_workgroup_id_x 1
		.amdhsa_system_sgpr_workgroup_id_y 0
		.amdhsa_system_sgpr_workgroup_id_z 0
		.amdhsa_system_sgpr_workgroup_info 0
		.amdhsa_system_vgpr_workitem_id 0
		.amdhsa_next_free_vgpr 22
		.amdhsa_next_free_sgpr 21
		.amdhsa_reserve_vcc 1
		.amdhsa_float_round_mode_32 0
		.amdhsa_float_round_mode_16_64 0
		.amdhsa_float_denorm_mode_32 3
		.amdhsa_float_denorm_mode_16_64 3
		.amdhsa_dx10_clamp 1
		.amdhsa_ieee_mode 1
		.amdhsa_fp16_overflow 0
		.amdhsa_workgroup_processor_mode 1
		.amdhsa_memory_ordered 1
		.amdhsa_forward_progress 0
		.amdhsa_shared_vgpr_count 0
		.amdhsa_exception_fp_ieee_invalid_op 0
		.amdhsa_exception_fp_denorm_src 0
		.amdhsa_exception_fp_ieee_div_zero 0
		.amdhsa_exception_fp_ieee_overflow 0
		.amdhsa_exception_fp_ieee_underflow 0
		.amdhsa_exception_fp_ieee_inexact 0
		.amdhsa_exception_int_div_zero 0
	.end_amdhsa_kernel
	.section	.text._ZN7rocprim17ROCPRIM_400000_NS6detail17trampoline_kernelINS0_14default_configENS1_38merge_sort_block_merge_config_selectorIlNS0_10empty_typeEEEZZNS1_27merge_sort_block_merge_implIS3_PlPS5_mZN2at6native12_GLOBAL__N_124unique_dim_cuda_templateIjEESt5tupleIJNSA_6TensorESF_SF_EERKSF_lbbbEUlllE_EE10hipError_tT0_T1_T2_jT3_P12ihipStream_tbPNSt15iterator_traitsISL_E10value_typeEPNSR_ISM_E10value_typeEPSN_NS1_7vsmem_tEENKUlT_SL_SM_SN_E_clIS8_S8_S9_S9_EESK_S10_SL_SM_SN_EUlS10_E_NS1_11comp_targetILNS1_3genE9ELNS1_11target_archE1100ELNS1_3gpuE3ELNS1_3repE0EEENS1_48merge_mergepath_partition_config_static_selectorELNS0_4arch9wavefront6targetE0EEEvSM_,"axG",@progbits,_ZN7rocprim17ROCPRIM_400000_NS6detail17trampoline_kernelINS0_14default_configENS1_38merge_sort_block_merge_config_selectorIlNS0_10empty_typeEEEZZNS1_27merge_sort_block_merge_implIS3_PlPS5_mZN2at6native12_GLOBAL__N_124unique_dim_cuda_templateIjEESt5tupleIJNSA_6TensorESF_SF_EERKSF_lbbbEUlllE_EE10hipError_tT0_T1_T2_jT3_P12ihipStream_tbPNSt15iterator_traitsISL_E10value_typeEPNSR_ISM_E10value_typeEPSN_NS1_7vsmem_tEENKUlT_SL_SM_SN_E_clIS8_S8_S9_S9_EESK_S10_SL_SM_SN_EUlS10_E_NS1_11comp_targetILNS1_3genE9ELNS1_11target_archE1100ELNS1_3gpuE3ELNS1_3repE0EEENS1_48merge_mergepath_partition_config_static_selectorELNS0_4arch9wavefront6targetE0EEEvSM_,comdat
.Lfunc_end1496:
	.size	_ZN7rocprim17ROCPRIM_400000_NS6detail17trampoline_kernelINS0_14default_configENS1_38merge_sort_block_merge_config_selectorIlNS0_10empty_typeEEEZZNS1_27merge_sort_block_merge_implIS3_PlPS5_mZN2at6native12_GLOBAL__N_124unique_dim_cuda_templateIjEESt5tupleIJNSA_6TensorESF_SF_EERKSF_lbbbEUlllE_EE10hipError_tT0_T1_T2_jT3_P12ihipStream_tbPNSt15iterator_traitsISL_E10value_typeEPNSR_ISM_E10value_typeEPSN_NS1_7vsmem_tEENKUlT_SL_SM_SN_E_clIS8_S8_S9_S9_EESK_S10_SL_SM_SN_EUlS10_E_NS1_11comp_targetILNS1_3genE9ELNS1_11target_archE1100ELNS1_3gpuE3ELNS1_3repE0EEENS1_48merge_mergepath_partition_config_static_selectorELNS0_4arch9wavefront6targetE0EEEvSM_, .Lfunc_end1496-_ZN7rocprim17ROCPRIM_400000_NS6detail17trampoline_kernelINS0_14default_configENS1_38merge_sort_block_merge_config_selectorIlNS0_10empty_typeEEEZZNS1_27merge_sort_block_merge_implIS3_PlPS5_mZN2at6native12_GLOBAL__N_124unique_dim_cuda_templateIjEESt5tupleIJNSA_6TensorESF_SF_EERKSF_lbbbEUlllE_EE10hipError_tT0_T1_T2_jT3_P12ihipStream_tbPNSt15iterator_traitsISL_E10value_typeEPNSR_ISM_E10value_typeEPSN_NS1_7vsmem_tEENKUlT_SL_SM_SN_E_clIS8_S8_S9_S9_EESK_S10_SL_SM_SN_EUlS10_E_NS1_11comp_targetILNS1_3genE9ELNS1_11target_archE1100ELNS1_3gpuE3ELNS1_3repE0EEENS1_48merge_mergepath_partition_config_static_selectorELNS0_4arch9wavefront6targetE0EEEvSM_
                                        ; -- End function
	.section	.AMDGPU.csdata,"",@progbits
; Kernel info:
; codeLenInByte = 1020
; NumSgprs: 23
; NumVgprs: 22
; ScratchSize: 0
; MemoryBound: 0
; FloatMode: 240
; IeeeMode: 1
; LDSByteSize: 0 bytes/workgroup (compile time only)
; SGPRBlocks: 2
; VGPRBlocks: 2
; NumSGPRsForWavesPerEU: 23
; NumVGPRsForWavesPerEU: 22
; Occupancy: 16
; WaveLimiterHint : 0
; COMPUTE_PGM_RSRC2:SCRATCH_EN: 0
; COMPUTE_PGM_RSRC2:USER_SGPR: 15
; COMPUTE_PGM_RSRC2:TRAP_HANDLER: 0
; COMPUTE_PGM_RSRC2:TGID_X_EN: 1
; COMPUTE_PGM_RSRC2:TGID_Y_EN: 0
; COMPUTE_PGM_RSRC2:TGID_Z_EN: 0
; COMPUTE_PGM_RSRC2:TIDIG_COMP_CNT: 0
	.section	.text._ZN7rocprim17ROCPRIM_400000_NS6detail17trampoline_kernelINS0_14default_configENS1_38merge_sort_block_merge_config_selectorIlNS0_10empty_typeEEEZZNS1_27merge_sort_block_merge_implIS3_PlPS5_mZN2at6native12_GLOBAL__N_124unique_dim_cuda_templateIjEESt5tupleIJNSA_6TensorESF_SF_EERKSF_lbbbEUlllE_EE10hipError_tT0_T1_T2_jT3_P12ihipStream_tbPNSt15iterator_traitsISL_E10value_typeEPNSR_ISM_E10value_typeEPSN_NS1_7vsmem_tEENKUlT_SL_SM_SN_E_clIS8_S8_S9_S9_EESK_S10_SL_SM_SN_EUlS10_E_NS1_11comp_targetILNS1_3genE8ELNS1_11target_archE1030ELNS1_3gpuE2ELNS1_3repE0EEENS1_48merge_mergepath_partition_config_static_selectorELNS0_4arch9wavefront6targetE0EEEvSM_,"axG",@progbits,_ZN7rocprim17ROCPRIM_400000_NS6detail17trampoline_kernelINS0_14default_configENS1_38merge_sort_block_merge_config_selectorIlNS0_10empty_typeEEEZZNS1_27merge_sort_block_merge_implIS3_PlPS5_mZN2at6native12_GLOBAL__N_124unique_dim_cuda_templateIjEESt5tupleIJNSA_6TensorESF_SF_EERKSF_lbbbEUlllE_EE10hipError_tT0_T1_T2_jT3_P12ihipStream_tbPNSt15iterator_traitsISL_E10value_typeEPNSR_ISM_E10value_typeEPSN_NS1_7vsmem_tEENKUlT_SL_SM_SN_E_clIS8_S8_S9_S9_EESK_S10_SL_SM_SN_EUlS10_E_NS1_11comp_targetILNS1_3genE8ELNS1_11target_archE1030ELNS1_3gpuE2ELNS1_3repE0EEENS1_48merge_mergepath_partition_config_static_selectorELNS0_4arch9wavefront6targetE0EEEvSM_,comdat
	.globl	_ZN7rocprim17ROCPRIM_400000_NS6detail17trampoline_kernelINS0_14default_configENS1_38merge_sort_block_merge_config_selectorIlNS0_10empty_typeEEEZZNS1_27merge_sort_block_merge_implIS3_PlPS5_mZN2at6native12_GLOBAL__N_124unique_dim_cuda_templateIjEESt5tupleIJNSA_6TensorESF_SF_EERKSF_lbbbEUlllE_EE10hipError_tT0_T1_T2_jT3_P12ihipStream_tbPNSt15iterator_traitsISL_E10value_typeEPNSR_ISM_E10value_typeEPSN_NS1_7vsmem_tEENKUlT_SL_SM_SN_E_clIS8_S8_S9_S9_EESK_S10_SL_SM_SN_EUlS10_E_NS1_11comp_targetILNS1_3genE8ELNS1_11target_archE1030ELNS1_3gpuE2ELNS1_3repE0EEENS1_48merge_mergepath_partition_config_static_selectorELNS0_4arch9wavefront6targetE0EEEvSM_ ; -- Begin function _ZN7rocprim17ROCPRIM_400000_NS6detail17trampoline_kernelINS0_14default_configENS1_38merge_sort_block_merge_config_selectorIlNS0_10empty_typeEEEZZNS1_27merge_sort_block_merge_implIS3_PlPS5_mZN2at6native12_GLOBAL__N_124unique_dim_cuda_templateIjEESt5tupleIJNSA_6TensorESF_SF_EERKSF_lbbbEUlllE_EE10hipError_tT0_T1_T2_jT3_P12ihipStream_tbPNSt15iterator_traitsISL_E10value_typeEPNSR_ISM_E10value_typeEPSN_NS1_7vsmem_tEENKUlT_SL_SM_SN_E_clIS8_S8_S9_S9_EESK_S10_SL_SM_SN_EUlS10_E_NS1_11comp_targetILNS1_3genE8ELNS1_11target_archE1030ELNS1_3gpuE2ELNS1_3repE0EEENS1_48merge_mergepath_partition_config_static_selectorELNS0_4arch9wavefront6targetE0EEEvSM_
	.p2align	8
	.type	_ZN7rocprim17ROCPRIM_400000_NS6detail17trampoline_kernelINS0_14default_configENS1_38merge_sort_block_merge_config_selectorIlNS0_10empty_typeEEEZZNS1_27merge_sort_block_merge_implIS3_PlPS5_mZN2at6native12_GLOBAL__N_124unique_dim_cuda_templateIjEESt5tupleIJNSA_6TensorESF_SF_EERKSF_lbbbEUlllE_EE10hipError_tT0_T1_T2_jT3_P12ihipStream_tbPNSt15iterator_traitsISL_E10value_typeEPNSR_ISM_E10value_typeEPSN_NS1_7vsmem_tEENKUlT_SL_SM_SN_E_clIS8_S8_S9_S9_EESK_S10_SL_SM_SN_EUlS10_E_NS1_11comp_targetILNS1_3genE8ELNS1_11target_archE1030ELNS1_3gpuE2ELNS1_3repE0EEENS1_48merge_mergepath_partition_config_static_selectorELNS0_4arch9wavefront6targetE0EEEvSM_,@function
_ZN7rocprim17ROCPRIM_400000_NS6detail17trampoline_kernelINS0_14default_configENS1_38merge_sort_block_merge_config_selectorIlNS0_10empty_typeEEEZZNS1_27merge_sort_block_merge_implIS3_PlPS5_mZN2at6native12_GLOBAL__N_124unique_dim_cuda_templateIjEESt5tupleIJNSA_6TensorESF_SF_EERKSF_lbbbEUlllE_EE10hipError_tT0_T1_T2_jT3_P12ihipStream_tbPNSt15iterator_traitsISL_E10value_typeEPNSR_ISM_E10value_typeEPSN_NS1_7vsmem_tEENKUlT_SL_SM_SN_E_clIS8_S8_S9_S9_EESK_S10_SL_SM_SN_EUlS10_E_NS1_11comp_targetILNS1_3genE8ELNS1_11target_archE1030ELNS1_3gpuE2ELNS1_3repE0EEENS1_48merge_mergepath_partition_config_static_selectorELNS0_4arch9wavefront6targetE0EEEvSM_: ; @_ZN7rocprim17ROCPRIM_400000_NS6detail17trampoline_kernelINS0_14default_configENS1_38merge_sort_block_merge_config_selectorIlNS0_10empty_typeEEEZZNS1_27merge_sort_block_merge_implIS3_PlPS5_mZN2at6native12_GLOBAL__N_124unique_dim_cuda_templateIjEESt5tupleIJNSA_6TensorESF_SF_EERKSF_lbbbEUlllE_EE10hipError_tT0_T1_T2_jT3_P12ihipStream_tbPNSt15iterator_traitsISL_E10value_typeEPNSR_ISM_E10value_typeEPSN_NS1_7vsmem_tEENKUlT_SL_SM_SN_E_clIS8_S8_S9_S9_EESK_S10_SL_SM_SN_EUlS10_E_NS1_11comp_targetILNS1_3genE8ELNS1_11target_archE1030ELNS1_3gpuE2ELNS1_3repE0EEENS1_48merge_mergepath_partition_config_static_selectorELNS0_4arch9wavefront6targetE0EEEvSM_
; %bb.0:
	.section	.rodata,"a",@progbits
	.p2align	6, 0x0
	.amdhsa_kernel _ZN7rocprim17ROCPRIM_400000_NS6detail17trampoline_kernelINS0_14default_configENS1_38merge_sort_block_merge_config_selectorIlNS0_10empty_typeEEEZZNS1_27merge_sort_block_merge_implIS3_PlPS5_mZN2at6native12_GLOBAL__N_124unique_dim_cuda_templateIjEESt5tupleIJNSA_6TensorESF_SF_EERKSF_lbbbEUlllE_EE10hipError_tT0_T1_T2_jT3_P12ihipStream_tbPNSt15iterator_traitsISL_E10value_typeEPNSR_ISM_E10value_typeEPSN_NS1_7vsmem_tEENKUlT_SL_SM_SN_E_clIS8_S8_S9_S9_EESK_S10_SL_SM_SN_EUlS10_E_NS1_11comp_targetILNS1_3genE8ELNS1_11target_archE1030ELNS1_3gpuE2ELNS1_3repE0EEENS1_48merge_mergepath_partition_config_static_selectorELNS0_4arch9wavefront6targetE0EEEvSM_
		.amdhsa_group_segment_fixed_size 0
		.amdhsa_private_segment_fixed_size 0
		.amdhsa_kernarg_size 56
		.amdhsa_user_sgpr_count 15
		.amdhsa_user_sgpr_dispatch_ptr 0
		.amdhsa_user_sgpr_queue_ptr 0
		.amdhsa_user_sgpr_kernarg_segment_ptr 1
		.amdhsa_user_sgpr_dispatch_id 0
		.amdhsa_user_sgpr_private_segment_size 0
		.amdhsa_wavefront_size32 1
		.amdhsa_uses_dynamic_stack 0
		.amdhsa_enable_private_segment 0
		.amdhsa_system_sgpr_workgroup_id_x 1
		.amdhsa_system_sgpr_workgroup_id_y 0
		.amdhsa_system_sgpr_workgroup_id_z 0
		.amdhsa_system_sgpr_workgroup_info 0
		.amdhsa_system_vgpr_workitem_id 0
		.amdhsa_next_free_vgpr 1
		.amdhsa_next_free_sgpr 1
		.amdhsa_reserve_vcc 0
		.amdhsa_float_round_mode_32 0
		.amdhsa_float_round_mode_16_64 0
		.amdhsa_float_denorm_mode_32 3
		.amdhsa_float_denorm_mode_16_64 3
		.amdhsa_dx10_clamp 1
		.amdhsa_ieee_mode 1
		.amdhsa_fp16_overflow 0
		.amdhsa_workgroup_processor_mode 1
		.amdhsa_memory_ordered 1
		.amdhsa_forward_progress 0
		.amdhsa_shared_vgpr_count 0
		.amdhsa_exception_fp_ieee_invalid_op 0
		.amdhsa_exception_fp_denorm_src 0
		.amdhsa_exception_fp_ieee_div_zero 0
		.amdhsa_exception_fp_ieee_overflow 0
		.amdhsa_exception_fp_ieee_underflow 0
		.amdhsa_exception_fp_ieee_inexact 0
		.amdhsa_exception_int_div_zero 0
	.end_amdhsa_kernel
	.section	.text._ZN7rocprim17ROCPRIM_400000_NS6detail17trampoline_kernelINS0_14default_configENS1_38merge_sort_block_merge_config_selectorIlNS0_10empty_typeEEEZZNS1_27merge_sort_block_merge_implIS3_PlPS5_mZN2at6native12_GLOBAL__N_124unique_dim_cuda_templateIjEESt5tupleIJNSA_6TensorESF_SF_EERKSF_lbbbEUlllE_EE10hipError_tT0_T1_T2_jT3_P12ihipStream_tbPNSt15iterator_traitsISL_E10value_typeEPNSR_ISM_E10value_typeEPSN_NS1_7vsmem_tEENKUlT_SL_SM_SN_E_clIS8_S8_S9_S9_EESK_S10_SL_SM_SN_EUlS10_E_NS1_11comp_targetILNS1_3genE8ELNS1_11target_archE1030ELNS1_3gpuE2ELNS1_3repE0EEENS1_48merge_mergepath_partition_config_static_selectorELNS0_4arch9wavefront6targetE0EEEvSM_,"axG",@progbits,_ZN7rocprim17ROCPRIM_400000_NS6detail17trampoline_kernelINS0_14default_configENS1_38merge_sort_block_merge_config_selectorIlNS0_10empty_typeEEEZZNS1_27merge_sort_block_merge_implIS3_PlPS5_mZN2at6native12_GLOBAL__N_124unique_dim_cuda_templateIjEESt5tupleIJNSA_6TensorESF_SF_EERKSF_lbbbEUlllE_EE10hipError_tT0_T1_T2_jT3_P12ihipStream_tbPNSt15iterator_traitsISL_E10value_typeEPNSR_ISM_E10value_typeEPSN_NS1_7vsmem_tEENKUlT_SL_SM_SN_E_clIS8_S8_S9_S9_EESK_S10_SL_SM_SN_EUlS10_E_NS1_11comp_targetILNS1_3genE8ELNS1_11target_archE1030ELNS1_3gpuE2ELNS1_3repE0EEENS1_48merge_mergepath_partition_config_static_selectorELNS0_4arch9wavefront6targetE0EEEvSM_,comdat
.Lfunc_end1497:
	.size	_ZN7rocprim17ROCPRIM_400000_NS6detail17trampoline_kernelINS0_14default_configENS1_38merge_sort_block_merge_config_selectorIlNS0_10empty_typeEEEZZNS1_27merge_sort_block_merge_implIS3_PlPS5_mZN2at6native12_GLOBAL__N_124unique_dim_cuda_templateIjEESt5tupleIJNSA_6TensorESF_SF_EERKSF_lbbbEUlllE_EE10hipError_tT0_T1_T2_jT3_P12ihipStream_tbPNSt15iterator_traitsISL_E10value_typeEPNSR_ISM_E10value_typeEPSN_NS1_7vsmem_tEENKUlT_SL_SM_SN_E_clIS8_S8_S9_S9_EESK_S10_SL_SM_SN_EUlS10_E_NS1_11comp_targetILNS1_3genE8ELNS1_11target_archE1030ELNS1_3gpuE2ELNS1_3repE0EEENS1_48merge_mergepath_partition_config_static_selectorELNS0_4arch9wavefront6targetE0EEEvSM_, .Lfunc_end1497-_ZN7rocprim17ROCPRIM_400000_NS6detail17trampoline_kernelINS0_14default_configENS1_38merge_sort_block_merge_config_selectorIlNS0_10empty_typeEEEZZNS1_27merge_sort_block_merge_implIS3_PlPS5_mZN2at6native12_GLOBAL__N_124unique_dim_cuda_templateIjEESt5tupleIJNSA_6TensorESF_SF_EERKSF_lbbbEUlllE_EE10hipError_tT0_T1_T2_jT3_P12ihipStream_tbPNSt15iterator_traitsISL_E10value_typeEPNSR_ISM_E10value_typeEPSN_NS1_7vsmem_tEENKUlT_SL_SM_SN_E_clIS8_S8_S9_S9_EESK_S10_SL_SM_SN_EUlS10_E_NS1_11comp_targetILNS1_3genE8ELNS1_11target_archE1030ELNS1_3gpuE2ELNS1_3repE0EEENS1_48merge_mergepath_partition_config_static_selectorELNS0_4arch9wavefront6targetE0EEEvSM_
                                        ; -- End function
	.section	.AMDGPU.csdata,"",@progbits
; Kernel info:
; codeLenInByte = 0
; NumSgprs: 0
; NumVgprs: 0
; ScratchSize: 0
; MemoryBound: 0
; FloatMode: 240
; IeeeMode: 1
; LDSByteSize: 0 bytes/workgroup (compile time only)
; SGPRBlocks: 0
; VGPRBlocks: 0
; NumSGPRsForWavesPerEU: 1
; NumVGPRsForWavesPerEU: 1
; Occupancy: 16
; WaveLimiterHint : 0
; COMPUTE_PGM_RSRC2:SCRATCH_EN: 0
; COMPUTE_PGM_RSRC2:USER_SGPR: 15
; COMPUTE_PGM_RSRC2:TRAP_HANDLER: 0
; COMPUTE_PGM_RSRC2:TGID_X_EN: 1
; COMPUTE_PGM_RSRC2:TGID_Y_EN: 0
; COMPUTE_PGM_RSRC2:TGID_Z_EN: 0
; COMPUTE_PGM_RSRC2:TIDIG_COMP_CNT: 0
	.section	.text._ZN7rocprim17ROCPRIM_400000_NS6detail17trampoline_kernelINS0_14default_configENS1_38merge_sort_block_merge_config_selectorIlNS0_10empty_typeEEEZZNS1_27merge_sort_block_merge_implIS3_PlPS5_mZN2at6native12_GLOBAL__N_124unique_dim_cuda_templateIjEESt5tupleIJNSA_6TensorESF_SF_EERKSF_lbbbEUlllE_EE10hipError_tT0_T1_T2_jT3_P12ihipStream_tbPNSt15iterator_traitsISL_E10value_typeEPNSR_ISM_E10value_typeEPSN_NS1_7vsmem_tEENKUlT_SL_SM_SN_E_clIS8_S8_S9_S9_EESK_S10_SL_SM_SN_EUlS10_E0_NS1_11comp_targetILNS1_3genE0ELNS1_11target_archE4294967295ELNS1_3gpuE0ELNS1_3repE0EEENS1_38merge_mergepath_config_static_selectorELNS0_4arch9wavefront6targetE0EEEvSM_,"axG",@progbits,_ZN7rocprim17ROCPRIM_400000_NS6detail17trampoline_kernelINS0_14default_configENS1_38merge_sort_block_merge_config_selectorIlNS0_10empty_typeEEEZZNS1_27merge_sort_block_merge_implIS3_PlPS5_mZN2at6native12_GLOBAL__N_124unique_dim_cuda_templateIjEESt5tupleIJNSA_6TensorESF_SF_EERKSF_lbbbEUlllE_EE10hipError_tT0_T1_T2_jT3_P12ihipStream_tbPNSt15iterator_traitsISL_E10value_typeEPNSR_ISM_E10value_typeEPSN_NS1_7vsmem_tEENKUlT_SL_SM_SN_E_clIS8_S8_S9_S9_EESK_S10_SL_SM_SN_EUlS10_E0_NS1_11comp_targetILNS1_3genE0ELNS1_11target_archE4294967295ELNS1_3gpuE0ELNS1_3repE0EEENS1_38merge_mergepath_config_static_selectorELNS0_4arch9wavefront6targetE0EEEvSM_,comdat
	.globl	_ZN7rocprim17ROCPRIM_400000_NS6detail17trampoline_kernelINS0_14default_configENS1_38merge_sort_block_merge_config_selectorIlNS0_10empty_typeEEEZZNS1_27merge_sort_block_merge_implIS3_PlPS5_mZN2at6native12_GLOBAL__N_124unique_dim_cuda_templateIjEESt5tupleIJNSA_6TensorESF_SF_EERKSF_lbbbEUlllE_EE10hipError_tT0_T1_T2_jT3_P12ihipStream_tbPNSt15iterator_traitsISL_E10value_typeEPNSR_ISM_E10value_typeEPSN_NS1_7vsmem_tEENKUlT_SL_SM_SN_E_clIS8_S8_S9_S9_EESK_S10_SL_SM_SN_EUlS10_E0_NS1_11comp_targetILNS1_3genE0ELNS1_11target_archE4294967295ELNS1_3gpuE0ELNS1_3repE0EEENS1_38merge_mergepath_config_static_selectorELNS0_4arch9wavefront6targetE0EEEvSM_ ; -- Begin function _ZN7rocprim17ROCPRIM_400000_NS6detail17trampoline_kernelINS0_14default_configENS1_38merge_sort_block_merge_config_selectorIlNS0_10empty_typeEEEZZNS1_27merge_sort_block_merge_implIS3_PlPS5_mZN2at6native12_GLOBAL__N_124unique_dim_cuda_templateIjEESt5tupleIJNSA_6TensorESF_SF_EERKSF_lbbbEUlllE_EE10hipError_tT0_T1_T2_jT3_P12ihipStream_tbPNSt15iterator_traitsISL_E10value_typeEPNSR_ISM_E10value_typeEPSN_NS1_7vsmem_tEENKUlT_SL_SM_SN_E_clIS8_S8_S9_S9_EESK_S10_SL_SM_SN_EUlS10_E0_NS1_11comp_targetILNS1_3genE0ELNS1_11target_archE4294967295ELNS1_3gpuE0ELNS1_3repE0EEENS1_38merge_mergepath_config_static_selectorELNS0_4arch9wavefront6targetE0EEEvSM_
	.p2align	8
	.type	_ZN7rocprim17ROCPRIM_400000_NS6detail17trampoline_kernelINS0_14default_configENS1_38merge_sort_block_merge_config_selectorIlNS0_10empty_typeEEEZZNS1_27merge_sort_block_merge_implIS3_PlPS5_mZN2at6native12_GLOBAL__N_124unique_dim_cuda_templateIjEESt5tupleIJNSA_6TensorESF_SF_EERKSF_lbbbEUlllE_EE10hipError_tT0_T1_T2_jT3_P12ihipStream_tbPNSt15iterator_traitsISL_E10value_typeEPNSR_ISM_E10value_typeEPSN_NS1_7vsmem_tEENKUlT_SL_SM_SN_E_clIS8_S8_S9_S9_EESK_S10_SL_SM_SN_EUlS10_E0_NS1_11comp_targetILNS1_3genE0ELNS1_11target_archE4294967295ELNS1_3gpuE0ELNS1_3repE0EEENS1_38merge_mergepath_config_static_selectorELNS0_4arch9wavefront6targetE0EEEvSM_,@function
_ZN7rocprim17ROCPRIM_400000_NS6detail17trampoline_kernelINS0_14default_configENS1_38merge_sort_block_merge_config_selectorIlNS0_10empty_typeEEEZZNS1_27merge_sort_block_merge_implIS3_PlPS5_mZN2at6native12_GLOBAL__N_124unique_dim_cuda_templateIjEESt5tupleIJNSA_6TensorESF_SF_EERKSF_lbbbEUlllE_EE10hipError_tT0_T1_T2_jT3_P12ihipStream_tbPNSt15iterator_traitsISL_E10value_typeEPNSR_ISM_E10value_typeEPSN_NS1_7vsmem_tEENKUlT_SL_SM_SN_E_clIS8_S8_S9_S9_EESK_S10_SL_SM_SN_EUlS10_E0_NS1_11comp_targetILNS1_3genE0ELNS1_11target_archE4294967295ELNS1_3gpuE0ELNS1_3repE0EEENS1_38merge_mergepath_config_static_selectorELNS0_4arch9wavefront6targetE0EEEvSM_: ; @_ZN7rocprim17ROCPRIM_400000_NS6detail17trampoline_kernelINS0_14default_configENS1_38merge_sort_block_merge_config_selectorIlNS0_10empty_typeEEEZZNS1_27merge_sort_block_merge_implIS3_PlPS5_mZN2at6native12_GLOBAL__N_124unique_dim_cuda_templateIjEESt5tupleIJNSA_6TensorESF_SF_EERKSF_lbbbEUlllE_EE10hipError_tT0_T1_T2_jT3_P12ihipStream_tbPNSt15iterator_traitsISL_E10value_typeEPNSR_ISM_E10value_typeEPSN_NS1_7vsmem_tEENKUlT_SL_SM_SN_E_clIS8_S8_S9_S9_EESK_S10_SL_SM_SN_EUlS10_E0_NS1_11comp_targetILNS1_3genE0ELNS1_11target_archE4294967295ELNS1_3gpuE0ELNS1_3repE0EEENS1_38merge_mergepath_config_static_selectorELNS0_4arch9wavefront6targetE0EEEvSM_
; %bb.0:
	.section	.rodata,"a",@progbits
	.p2align	6, 0x0
	.amdhsa_kernel _ZN7rocprim17ROCPRIM_400000_NS6detail17trampoline_kernelINS0_14default_configENS1_38merge_sort_block_merge_config_selectorIlNS0_10empty_typeEEEZZNS1_27merge_sort_block_merge_implIS3_PlPS5_mZN2at6native12_GLOBAL__N_124unique_dim_cuda_templateIjEESt5tupleIJNSA_6TensorESF_SF_EERKSF_lbbbEUlllE_EE10hipError_tT0_T1_T2_jT3_P12ihipStream_tbPNSt15iterator_traitsISL_E10value_typeEPNSR_ISM_E10value_typeEPSN_NS1_7vsmem_tEENKUlT_SL_SM_SN_E_clIS8_S8_S9_S9_EESK_S10_SL_SM_SN_EUlS10_E0_NS1_11comp_targetILNS1_3genE0ELNS1_11target_archE4294967295ELNS1_3gpuE0ELNS1_3repE0EEENS1_38merge_mergepath_config_static_selectorELNS0_4arch9wavefront6targetE0EEEvSM_
		.amdhsa_group_segment_fixed_size 0
		.amdhsa_private_segment_fixed_size 0
		.amdhsa_kernarg_size 88
		.amdhsa_user_sgpr_count 15
		.amdhsa_user_sgpr_dispatch_ptr 0
		.amdhsa_user_sgpr_queue_ptr 0
		.amdhsa_user_sgpr_kernarg_segment_ptr 1
		.amdhsa_user_sgpr_dispatch_id 0
		.amdhsa_user_sgpr_private_segment_size 0
		.amdhsa_wavefront_size32 1
		.amdhsa_uses_dynamic_stack 0
		.amdhsa_enable_private_segment 0
		.amdhsa_system_sgpr_workgroup_id_x 1
		.amdhsa_system_sgpr_workgroup_id_y 0
		.amdhsa_system_sgpr_workgroup_id_z 0
		.amdhsa_system_sgpr_workgroup_info 0
		.amdhsa_system_vgpr_workitem_id 0
		.amdhsa_next_free_vgpr 1
		.amdhsa_next_free_sgpr 1
		.amdhsa_reserve_vcc 0
		.amdhsa_float_round_mode_32 0
		.amdhsa_float_round_mode_16_64 0
		.amdhsa_float_denorm_mode_32 3
		.amdhsa_float_denorm_mode_16_64 3
		.amdhsa_dx10_clamp 1
		.amdhsa_ieee_mode 1
		.amdhsa_fp16_overflow 0
		.amdhsa_workgroup_processor_mode 1
		.amdhsa_memory_ordered 1
		.amdhsa_forward_progress 0
		.amdhsa_shared_vgpr_count 0
		.amdhsa_exception_fp_ieee_invalid_op 0
		.amdhsa_exception_fp_denorm_src 0
		.amdhsa_exception_fp_ieee_div_zero 0
		.amdhsa_exception_fp_ieee_overflow 0
		.amdhsa_exception_fp_ieee_underflow 0
		.amdhsa_exception_fp_ieee_inexact 0
		.amdhsa_exception_int_div_zero 0
	.end_amdhsa_kernel
	.section	.text._ZN7rocprim17ROCPRIM_400000_NS6detail17trampoline_kernelINS0_14default_configENS1_38merge_sort_block_merge_config_selectorIlNS0_10empty_typeEEEZZNS1_27merge_sort_block_merge_implIS3_PlPS5_mZN2at6native12_GLOBAL__N_124unique_dim_cuda_templateIjEESt5tupleIJNSA_6TensorESF_SF_EERKSF_lbbbEUlllE_EE10hipError_tT0_T1_T2_jT3_P12ihipStream_tbPNSt15iterator_traitsISL_E10value_typeEPNSR_ISM_E10value_typeEPSN_NS1_7vsmem_tEENKUlT_SL_SM_SN_E_clIS8_S8_S9_S9_EESK_S10_SL_SM_SN_EUlS10_E0_NS1_11comp_targetILNS1_3genE0ELNS1_11target_archE4294967295ELNS1_3gpuE0ELNS1_3repE0EEENS1_38merge_mergepath_config_static_selectorELNS0_4arch9wavefront6targetE0EEEvSM_,"axG",@progbits,_ZN7rocprim17ROCPRIM_400000_NS6detail17trampoline_kernelINS0_14default_configENS1_38merge_sort_block_merge_config_selectorIlNS0_10empty_typeEEEZZNS1_27merge_sort_block_merge_implIS3_PlPS5_mZN2at6native12_GLOBAL__N_124unique_dim_cuda_templateIjEESt5tupleIJNSA_6TensorESF_SF_EERKSF_lbbbEUlllE_EE10hipError_tT0_T1_T2_jT3_P12ihipStream_tbPNSt15iterator_traitsISL_E10value_typeEPNSR_ISM_E10value_typeEPSN_NS1_7vsmem_tEENKUlT_SL_SM_SN_E_clIS8_S8_S9_S9_EESK_S10_SL_SM_SN_EUlS10_E0_NS1_11comp_targetILNS1_3genE0ELNS1_11target_archE4294967295ELNS1_3gpuE0ELNS1_3repE0EEENS1_38merge_mergepath_config_static_selectorELNS0_4arch9wavefront6targetE0EEEvSM_,comdat
.Lfunc_end1498:
	.size	_ZN7rocprim17ROCPRIM_400000_NS6detail17trampoline_kernelINS0_14default_configENS1_38merge_sort_block_merge_config_selectorIlNS0_10empty_typeEEEZZNS1_27merge_sort_block_merge_implIS3_PlPS5_mZN2at6native12_GLOBAL__N_124unique_dim_cuda_templateIjEESt5tupleIJNSA_6TensorESF_SF_EERKSF_lbbbEUlllE_EE10hipError_tT0_T1_T2_jT3_P12ihipStream_tbPNSt15iterator_traitsISL_E10value_typeEPNSR_ISM_E10value_typeEPSN_NS1_7vsmem_tEENKUlT_SL_SM_SN_E_clIS8_S8_S9_S9_EESK_S10_SL_SM_SN_EUlS10_E0_NS1_11comp_targetILNS1_3genE0ELNS1_11target_archE4294967295ELNS1_3gpuE0ELNS1_3repE0EEENS1_38merge_mergepath_config_static_selectorELNS0_4arch9wavefront6targetE0EEEvSM_, .Lfunc_end1498-_ZN7rocprim17ROCPRIM_400000_NS6detail17trampoline_kernelINS0_14default_configENS1_38merge_sort_block_merge_config_selectorIlNS0_10empty_typeEEEZZNS1_27merge_sort_block_merge_implIS3_PlPS5_mZN2at6native12_GLOBAL__N_124unique_dim_cuda_templateIjEESt5tupleIJNSA_6TensorESF_SF_EERKSF_lbbbEUlllE_EE10hipError_tT0_T1_T2_jT3_P12ihipStream_tbPNSt15iterator_traitsISL_E10value_typeEPNSR_ISM_E10value_typeEPSN_NS1_7vsmem_tEENKUlT_SL_SM_SN_E_clIS8_S8_S9_S9_EESK_S10_SL_SM_SN_EUlS10_E0_NS1_11comp_targetILNS1_3genE0ELNS1_11target_archE4294967295ELNS1_3gpuE0ELNS1_3repE0EEENS1_38merge_mergepath_config_static_selectorELNS0_4arch9wavefront6targetE0EEEvSM_
                                        ; -- End function
	.section	.AMDGPU.csdata,"",@progbits
; Kernel info:
; codeLenInByte = 0
; NumSgprs: 0
; NumVgprs: 0
; ScratchSize: 0
; MemoryBound: 0
; FloatMode: 240
; IeeeMode: 1
; LDSByteSize: 0 bytes/workgroup (compile time only)
; SGPRBlocks: 0
; VGPRBlocks: 0
; NumSGPRsForWavesPerEU: 1
; NumVGPRsForWavesPerEU: 1
; Occupancy: 16
; WaveLimiterHint : 0
; COMPUTE_PGM_RSRC2:SCRATCH_EN: 0
; COMPUTE_PGM_RSRC2:USER_SGPR: 15
; COMPUTE_PGM_RSRC2:TRAP_HANDLER: 0
; COMPUTE_PGM_RSRC2:TGID_X_EN: 1
; COMPUTE_PGM_RSRC2:TGID_Y_EN: 0
; COMPUTE_PGM_RSRC2:TGID_Z_EN: 0
; COMPUTE_PGM_RSRC2:TIDIG_COMP_CNT: 0
	.section	.text._ZN7rocprim17ROCPRIM_400000_NS6detail17trampoline_kernelINS0_14default_configENS1_38merge_sort_block_merge_config_selectorIlNS0_10empty_typeEEEZZNS1_27merge_sort_block_merge_implIS3_PlPS5_mZN2at6native12_GLOBAL__N_124unique_dim_cuda_templateIjEESt5tupleIJNSA_6TensorESF_SF_EERKSF_lbbbEUlllE_EE10hipError_tT0_T1_T2_jT3_P12ihipStream_tbPNSt15iterator_traitsISL_E10value_typeEPNSR_ISM_E10value_typeEPSN_NS1_7vsmem_tEENKUlT_SL_SM_SN_E_clIS8_S8_S9_S9_EESK_S10_SL_SM_SN_EUlS10_E0_NS1_11comp_targetILNS1_3genE10ELNS1_11target_archE1201ELNS1_3gpuE5ELNS1_3repE0EEENS1_38merge_mergepath_config_static_selectorELNS0_4arch9wavefront6targetE0EEEvSM_,"axG",@progbits,_ZN7rocprim17ROCPRIM_400000_NS6detail17trampoline_kernelINS0_14default_configENS1_38merge_sort_block_merge_config_selectorIlNS0_10empty_typeEEEZZNS1_27merge_sort_block_merge_implIS3_PlPS5_mZN2at6native12_GLOBAL__N_124unique_dim_cuda_templateIjEESt5tupleIJNSA_6TensorESF_SF_EERKSF_lbbbEUlllE_EE10hipError_tT0_T1_T2_jT3_P12ihipStream_tbPNSt15iterator_traitsISL_E10value_typeEPNSR_ISM_E10value_typeEPSN_NS1_7vsmem_tEENKUlT_SL_SM_SN_E_clIS8_S8_S9_S9_EESK_S10_SL_SM_SN_EUlS10_E0_NS1_11comp_targetILNS1_3genE10ELNS1_11target_archE1201ELNS1_3gpuE5ELNS1_3repE0EEENS1_38merge_mergepath_config_static_selectorELNS0_4arch9wavefront6targetE0EEEvSM_,comdat
	.globl	_ZN7rocprim17ROCPRIM_400000_NS6detail17trampoline_kernelINS0_14default_configENS1_38merge_sort_block_merge_config_selectorIlNS0_10empty_typeEEEZZNS1_27merge_sort_block_merge_implIS3_PlPS5_mZN2at6native12_GLOBAL__N_124unique_dim_cuda_templateIjEESt5tupleIJNSA_6TensorESF_SF_EERKSF_lbbbEUlllE_EE10hipError_tT0_T1_T2_jT3_P12ihipStream_tbPNSt15iterator_traitsISL_E10value_typeEPNSR_ISM_E10value_typeEPSN_NS1_7vsmem_tEENKUlT_SL_SM_SN_E_clIS8_S8_S9_S9_EESK_S10_SL_SM_SN_EUlS10_E0_NS1_11comp_targetILNS1_3genE10ELNS1_11target_archE1201ELNS1_3gpuE5ELNS1_3repE0EEENS1_38merge_mergepath_config_static_selectorELNS0_4arch9wavefront6targetE0EEEvSM_ ; -- Begin function _ZN7rocprim17ROCPRIM_400000_NS6detail17trampoline_kernelINS0_14default_configENS1_38merge_sort_block_merge_config_selectorIlNS0_10empty_typeEEEZZNS1_27merge_sort_block_merge_implIS3_PlPS5_mZN2at6native12_GLOBAL__N_124unique_dim_cuda_templateIjEESt5tupleIJNSA_6TensorESF_SF_EERKSF_lbbbEUlllE_EE10hipError_tT0_T1_T2_jT3_P12ihipStream_tbPNSt15iterator_traitsISL_E10value_typeEPNSR_ISM_E10value_typeEPSN_NS1_7vsmem_tEENKUlT_SL_SM_SN_E_clIS8_S8_S9_S9_EESK_S10_SL_SM_SN_EUlS10_E0_NS1_11comp_targetILNS1_3genE10ELNS1_11target_archE1201ELNS1_3gpuE5ELNS1_3repE0EEENS1_38merge_mergepath_config_static_selectorELNS0_4arch9wavefront6targetE0EEEvSM_
	.p2align	8
	.type	_ZN7rocprim17ROCPRIM_400000_NS6detail17trampoline_kernelINS0_14default_configENS1_38merge_sort_block_merge_config_selectorIlNS0_10empty_typeEEEZZNS1_27merge_sort_block_merge_implIS3_PlPS5_mZN2at6native12_GLOBAL__N_124unique_dim_cuda_templateIjEESt5tupleIJNSA_6TensorESF_SF_EERKSF_lbbbEUlllE_EE10hipError_tT0_T1_T2_jT3_P12ihipStream_tbPNSt15iterator_traitsISL_E10value_typeEPNSR_ISM_E10value_typeEPSN_NS1_7vsmem_tEENKUlT_SL_SM_SN_E_clIS8_S8_S9_S9_EESK_S10_SL_SM_SN_EUlS10_E0_NS1_11comp_targetILNS1_3genE10ELNS1_11target_archE1201ELNS1_3gpuE5ELNS1_3repE0EEENS1_38merge_mergepath_config_static_selectorELNS0_4arch9wavefront6targetE0EEEvSM_,@function
_ZN7rocprim17ROCPRIM_400000_NS6detail17trampoline_kernelINS0_14default_configENS1_38merge_sort_block_merge_config_selectorIlNS0_10empty_typeEEEZZNS1_27merge_sort_block_merge_implIS3_PlPS5_mZN2at6native12_GLOBAL__N_124unique_dim_cuda_templateIjEESt5tupleIJNSA_6TensorESF_SF_EERKSF_lbbbEUlllE_EE10hipError_tT0_T1_T2_jT3_P12ihipStream_tbPNSt15iterator_traitsISL_E10value_typeEPNSR_ISM_E10value_typeEPSN_NS1_7vsmem_tEENKUlT_SL_SM_SN_E_clIS8_S8_S9_S9_EESK_S10_SL_SM_SN_EUlS10_E0_NS1_11comp_targetILNS1_3genE10ELNS1_11target_archE1201ELNS1_3gpuE5ELNS1_3repE0EEENS1_38merge_mergepath_config_static_selectorELNS0_4arch9wavefront6targetE0EEEvSM_: ; @_ZN7rocprim17ROCPRIM_400000_NS6detail17trampoline_kernelINS0_14default_configENS1_38merge_sort_block_merge_config_selectorIlNS0_10empty_typeEEEZZNS1_27merge_sort_block_merge_implIS3_PlPS5_mZN2at6native12_GLOBAL__N_124unique_dim_cuda_templateIjEESt5tupleIJNSA_6TensorESF_SF_EERKSF_lbbbEUlllE_EE10hipError_tT0_T1_T2_jT3_P12ihipStream_tbPNSt15iterator_traitsISL_E10value_typeEPNSR_ISM_E10value_typeEPSN_NS1_7vsmem_tEENKUlT_SL_SM_SN_E_clIS8_S8_S9_S9_EESK_S10_SL_SM_SN_EUlS10_E0_NS1_11comp_targetILNS1_3genE10ELNS1_11target_archE1201ELNS1_3gpuE5ELNS1_3repE0EEENS1_38merge_mergepath_config_static_selectorELNS0_4arch9wavefront6targetE0EEEvSM_
; %bb.0:
	.section	.rodata,"a",@progbits
	.p2align	6, 0x0
	.amdhsa_kernel _ZN7rocprim17ROCPRIM_400000_NS6detail17trampoline_kernelINS0_14default_configENS1_38merge_sort_block_merge_config_selectorIlNS0_10empty_typeEEEZZNS1_27merge_sort_block_merge_implIS3_PlPS5_mZN2at6native12_GLOBAL__N_124unique_dim_cuda_templateIjEESt5tupleIJNSA_6TensorESF_SF_EERKSF_lbbbEUlllE_EE10hipError_tT0_T1_T2_jT3_P12ihipStream_tbPNSt15iterator_traitsISL_E10value_typeEPNSR_ISM_E10value_typeEPSN_NS1_7vsmem_tEENKUlT_SL_SM_SN_E_clIS8_S8_S9_S9_EESK_S10_SL_SM_SN_EUlS10_E0_NS1_11comp_targetILNS1_3genE10ELNS1_11target_archE1201ELNS1_3gpuE5ELNS1_3repE0EEENS1_38merge_mergepath_config_static_selectorELNS0_4arch9wavefront6targetE0EEEvSM_
		.amdhsa_group_segment_fixed_size 0
		.amdhsa_private_segment_fixed_size 0
		.amdhsa_kernarg_size 88
		.amdhsa_user_sgpr_count 15
		.amdhsa_user_sgpr_dispatch_ptr 0
		.amdhsa_user_sgpr_queue_ptr 0
		.amdhsa_user_sgpr_kernarg_segment_ptr 1
		.amdhsa_user_sgpr_dispatch_id 0
		.amdhsa_user_sgpr_private_segment_size 0
		.amdhsa_wavefront_size32 1
		.amdhsa_uses_dynamic_stack 0
		.amdhsa_enable_private_segment 0
		.amdhsa_system_sgpr_workgroup_id_x 1
		.amdhsa_system_sgpr_workgroup_id_y 0
		.amdhsa_system_sgpr_workgroup_id_z 0
		.amdhsa_system_sgpr_workgroup_info 0
		.amdhsa_system_vgpr_workitem_id 0
		.amdhsa_next_free_vgpr 1
		.amdhsa_next_free_sgpr 1
		.amdhsa_reserve_vcc 0
		.amdhsa_float_round_mode_32 0
		.amdhsa_float_round_mode_16_64 0
		.amdhsa_float_denorm_mode_32 3
		.amdhsa_float_denorm_mode_16_64 3
		.amdhsa_dx10_clamp 1
		.amdhsa_ieee_mode 1
		.amdhsa_fp16_overflow 0
		.amdhsa_workgroup_processor_mode 1
		.amdhsa_memory_ordered 1
		.amdhsa_forward_progress 0
		.amdhsa_shared_vgpr_count 0
		.amdhsa_exception_fp_ieee_invalid_op 0
		.amdhsa_exception_fp_denorm_src 0
		.amdhsa_exception_fp_ieee_div_zero 0
		.amdhsa_exception_fp_ieee_overflow 0
		.amdhsa_exception_fp_ieee_underflow 0
		.amdhsa_exception_fp_ieee_inexact 0
		.amdhsa_exception_int_div_zero 0
	.end_amdhsa_kernel
	.section	.text._ZN7rocprim17ROCPRIM_400000_NS6detail17trampoline_kernelINS0_14default_configENS1_38merge_sort_block_merge_config_selectorIlNS0_10empty_typeEEEZZNS1_27merge_sort_block_merge_implIS3_PlPS5_mZN2at6native12_GLOBAL__N_124unique_dim_cuda_templateIjEESt5tupleIJNSA_6TensorESF_SF_EERKSF_lbbbEUlllE_EE10hipError_tT0_T1_T2_jT3_P12ihipStream_tbPNSt15iterator_traitsISL_E10value_typeEPNSR_ISM_E10value_typeEPSN_NS1_7vsmem_tEENKUlT_SL_SM_SN_E_clIS8_S8_S9_S9_EESK_S10_SL_SM_SN_EUlS10_E0_NS1_11comp_targetILNS1_3genE10ELNS1_11target_archE1201ELNS1_3gpuE5ELNS1_3repE0EEENS1_38merge_mergepath_config_static_selectorELNS0_4arch9wavefront6targetE0EEEvSM_,"axG",@progbits,_ZN7rocprim17ROCPRIM_400000_NS6detail17trampoline_kernelINS0_14default_configENS1_38merge_sort_block_merge_config_selectorIlNS0_10empty_typeEEEZZNS1_27merge_sort_block_merge_implIS3_PlPS5_mZN2at6native12_GLOBAL__N_124unique_dim_cuda_templateIjEESt5tupleIJNSA_6TensorESF_SF_EERKSF_lbbbEUlllE_EE10hipError_tT0_T1_T2_jT3_P12ihipStream_tbPNSt15iterator_traitsISL_E10value_typeEPNSR_ISM_E10value_typeEPSN_NS1_7vsmem_tEENKUlT_SL_SM_SN_E_clIS8_S8_S9_S9_EESK_S10_SL_SM_SN_EUlS10_E0_NS1_11comp_targetILNS1_3genE10ELNS1_11target_archE1201ELNS1_3gpuE5ELNS1_3repE0EEENS1_38merge_mergepath_config_static_selectorELNS0_4arch9wavefront6targetE0EEEvSM_,comdat
.Lfunc_end1499:
	.size	_ZN7rocprim17ROCPRIM_400000_NS6detail17trampoline_kernelINS0_14default_configENS1_38merge_sort_block_merge_config_selectorIlNS0_10empty_typeEEEZZNS1_27merge_sort_block_merge_implIS3_PlPS5_mZN2at6native12_GLOBAL__N_124unique_dim_cuda_templateIjEESt5tupleIJNSA_6TensorESF_SF_EERKSF_lbbbEUlllE_EE10hipError_tT0_T1_T2_jT3_P12ihipStream_tbPNSt15iterator_traitsISL_E10value_typeEPNSR_ISM_E10value_typeEPSN_NS1_7vsmem_tEENKUlT_SL_SM_SN_E_clIS8_S8_S9_S9_EESK_S10_SL_SM_SN_EUlS10_E0_NS1_11comp_targetILNS1_3genE10ELNS1_11target_archE1201ELNS1_3gpuE5ELNS1_3repE0EEENS1_38merge_mergepath_config_static_selectorELNS0_4arch9wavefront6targetE0EEEvSM_, .Lfunc_end1499-_ZN7rocprim17ROCPRIM_400000_NS6detail17trampoline_kernelINS0_14default_configENS1_38merge_sort_block_merge_config_selectorIlNS0_10empty_typeEEEZZNS1_27merge_sort_block_merge_implIS3_PlPS5_mZN2at6native12_GLOBAL__N_124unique_dim_cuda_templateIjEESt5tupleIJNSA_6TensorESF_SF_EERKSF_lbbbEUlllE_EE10hipError_tT0_T1_T2_jT3_P12ihipStream_tbPNSt15iterator_traitsISL_E10value_typeEPNSR_ISM_E10value_typeEPSN_NS1_7vsmem_tEENKUlT_SL_SM_SN_E_clIS8_S8_S9_S9_EESK_S10_SL_SM_SN_EUlS10_E0_NS1_11comp_targetILNS1_3genE10ELNS1_11target_archE1201ELNS1_3gpuE5ELNS1_3repE0EEENS1_38merge_mergepath_config_static_selectorELNS0_4arch9wavefront6targetE0EEEvSM_
                                        ; -- End function
	.section	.AMDGPU.csdata,"",@progbits
; Kernel info:
; codeLenInByte = 0
; NumSgprs: 0
; NumVgprs: 0
; ScratchSize: 0
; MemoryBound: 0
; FloatMode: 240
; IeeeMode: 1
; LDSByteSize: 0 bytes/workgroup (compile time only)
; SGPRBlocks: 0
; VGPRBlocks: 0
; NumSGPRsForWavesPerEU: 1
; NumVGPRsForWavesPerEU: 1
; Occupancy: 16
; WaveLimiterHint : 0
; COMPUTE_PGM_RSRC2:SCRATCH_EN: 0
; COMPUTE_PGM_RSRC2:USER_SGPR: 15
; COMPUTE_PGM_RSRC2:TRAP_HANDLER: 0
; COMPUTE_PGM_RSRC2:TGID_X_EN: 1
; COMPUTE_PGM_RSRC2:TGID_Y_EN: 0
; COMPUTE_PGM_RSRC2:TGID_Z_EN: 0
; COMPUTE_PGM_RSRC2:TIDIG_COMP_CNT: 0
	.section	.text._ZN7rocprim17ROCPRIM_400000_NS6detail17trampoline_kernelINS0_14default_configENS1_38merge_sort_block_merge_config_selectorIlNS0_10empty_typeEEEZZNS1_27merge_sort_block_merge_implIS3_PlPS5_mZN2at6native12_GLOBAL__N_124unique_dim_cuda_templateIjEESt5tupleIJNSA_6TensorESF_SF_EERKSF_lbbbEUlllE_EE10hipError_tT0_T1_T2_jT3_P12ihipStream_tbPNSt15iterator_traitsISL_E10value_typeEPNSR_ISM_E10value_typeEPSN_NS1_7vsmem_tEENKUlT_SL_SM_SN_E_clIS8_S8_S9_S9_EESK_S10_SL_SM_SN_EUlS10_E0_NS1_11comp_targetILNS1_3genE5ELNS1_11target_archE942ELNS1_3gpuE9ELNS1_3repE0EEENS1_38merge_mergepath_config_static_selectorELNS0_4arch9wavefront6targetE0EEEvSM_,"axG",@progbits,_ZN7rocprim17ROCPRIM_400000_NS6detail17trampoline_kernelINS0_14default_configENS1_38merge_sort_block_merge_config_selectorIlNS0_10empty_typeEEEZZNS1_27merge_sort_block_merge_implIS3_PlPS5_mZN2at6native12_GLOBAL__N_124unique_dim_cuda_templateIjEESt5tupleIJNSA_6TensorESF_SF_EERKSF_lbbbEUlllE_EE10hipError_tT0_T1_T2_jT3_P12ihipStream_tbPNSt15iterator_traitsISL_E10value_typeEPNSR_ISM_E10value_typeEPSN_NS1_7vsmem_tEENKUlT_SL_SM_SN_E_clIS8_S8_S9_S9_EESK_S10_SL_SM_SN_EUlS10_E0_NS1_11comp_targetILNS1_3genE5ELNS1_11target_archE942ELNS1_3gpuE9ELNS1_3repE0EEENS1_38merge_mergepath_config_static_selectorELNS0_4arch9wavefront6targetE0EEEvSM_,comdat
	.globl	_ZN7rocprim17ROCPRIM_400000_NS6detail17trampoline_kernelINS0_14default_configENS1_38merge_sort_block_merge_config_selectorIlNS0_10empty_typeEEEZZNS1_27merge_sort_block_merge_implIS3_PlPS5_mZN2at6native12_GLOBAL__N_124unique_dim_cuda_templateIjEESt5tupleIJNSA_6TensorESF_SF_EERKSF_lbbbEUlllE_EE10hipError_tT0_T1_T2_jT3_P12ihipStream_tbPNSt15iterator_traitsISL_E10value_typeEPNSR_ISM_E10value_typeEPSN_NS1_7vsmem_tEENKUlT_SL_SM_SN_E_clIS8_S8_S9_S9_EESK_S10_SL_SM_SN_EUlS10_E0_NS1_11comp_targetILNS1_3genE5ELNS1_11target_archE942ELNS1_3gpuE9ELNS1_3repE0EEENS1_38merge_mergepath_config_static_selectorELNS0_4arch9wavefront6targetE0EEEvSM_ ; -- Begin function _ZN7rocprim17ROCPRIM_400000_NS6detail17trampoline_kernelINS0_14default_configENS1_38merge_sort_block_merge_config_selectorIlNS0_10empty_typeEEEZZNS1_27merge_sort_block_merge_implIS3_PlPS5_mZN2at6native12_GLOBAL__N_124unique_dim_cuda_templateIjEESt5tupleIJNSA_6TensorESF_SF_EERKSF_lbbbEUlllE_EE10hipError_tT0_T1_T2_jT3_P12ihipStream_tbPNSt15iterator_traitsISL_E10value_typeEPNSR_ISM_E10value_typeEPSN_NS1_7vsmem_tEENKUlT_SL_SM_SN_E_clIS8_S8_S9_S9_EESK_S10_SL_SM_SN_EUlS10_E0_NS1_11comp_targetILNS1_3genE5ELNS1_11target_archE942ELNS1_3gpuE9ELNS1_3repE0EEENS1_38merge_mergepath_config_static_selectorELNS0_4arch9wavefront6targetE0EEEvSM_
	.p2align	8
	.type	_ZN7rocprim17ROCPRIM_400000_NS6detail17trampoline_kernelINS0_14default_configENS1_38merge_sort_block_merge_config_selectorIlNS0_10empty_typeEEEZZNS1_27merge_sort_block_merge_implIS3_PlPS5_mZN2at6native12_GLOBAL__N_124unique_dim_cuda_templateIjEESt5tupleIJNSA_6TensorESF_SF_EERKSF_lbbbEUlllE_EE10hipError_tT0_T1_T2_jT3_P12ihipStream_tbPNSt15iterator_traitsISL_E10value_typeEPNSR_ISM_E10value_typeEPSN_NS1_7vsmem_tEENKUlT_SL_SM_SN_E_clIS8_S8_S9_S9_EESK_S10_SL_SM_SN_EUlS10_E0_NS1_11comp_targetILNS1_3genE5ELNS1_11target_archE942ELNS1_3gpuE9ELNS1_3repE0EEENS1_38merge_mergepath_config_static_selectorELNS0_4arch9wavefront6targetE0EEEvSM_,@function
_ZN7rocprim17ROCPRIM_400000_NS6detail17trampoline_kernelINS0_14default_configENS1_38merge_sort_block_merge_config_selectorIlNS0_10empty_typeEEEZZNS1_27merge_sort_block_merge_implIS3_PlPS5_mZN2at6native12_GLOBAL__N_124unique_dim_cuda_templateIjEESt5tupleIJNSA_6TensorESF_SF_EERKSF_lbbbEUlllE_EE10hipError_tT0_T1_T2_jT3_P12ihipStream_tbPNSt15iterator_traitsISL_E10value_typeEPNSR_ISM_E10value_typeEPSN_NS1_7vsmem_tEENKUlT_SL_SM_SN_E_clIS8_S8_S9_S9_EESK_S10_SL_SM_SN_EUlS10_E0_NS1_11comp_targetILNS1_3genE5ELNS1_11target_archE942ELNS1_3gpuE9ELNS1_3repE0EEENS1_38merge_mergepath_config_static_selectorELNS0_4arch9wavefront6targetE0EEEvSM_: ; @_ZN7rocprim17ROCPRIM_400000_NS6detail17trampoline_kernelINS0_14default_configENS1_38merge_sort_block_merge_config_selectorIlNS0_10empty_typeEEEZZNS1_27merge_sort_block_merge_implIS3_PlPS5_mZN2at6native12_GLOBAL__N_124unique_dim_cuda_templateIjEESt5tupleIJNSA_6TensorESF_SF_EERKSF_lbbbEUlllE_EE10hipError_tT0_T1_T2_jT3_P12ihipStream_tbPNSt15iterator_traitsISL_E10value_typeEPNSR_ISM_E10value_typeEPSN_NS1_7vsmem_tEENKUlT_SL_SM_SN_E_clIS8_S8_S9_S9_EESK_S10_SL_SM_SN_EUlS10_E0_NS1_11comp_targetILNS1_3genE5ELNS1_11target_archE942ELNS1_3gpuE9ELNS1_3repE0EEENS1_38merge_mergepath_config_static_selectorELNS0_4arch9wavefront6targetE0EEEvSM_
; %bb.0:
	.section	.rodata,"a",@progbits
	.p2align	6, 0x0
	.amdhsa_kernel _ZN7rocprim17ROCPRIM_400000_NS6detail17trampoline_kernelINS0_14default_configENS1_38merge_sort_block_merge_config_selectorIlNS0_10empty_typeEEEZZNS1_27merge_sort_block_merge_implIS3_PlPS5_mZN2at6native12_GLOBAL__N_124unique_dim_cuda_templateIjEESt5tupleIJNSA_6TensorESF_SF_EERKSF_lbbbEUlllE_EE10hipError_tT0_T1_T2_jT3_P12ihipStream_tbPNSt15iterator_traitsISL_E10value_typeEPNSR_ISM_E10value_typeEPSN_NS1_7vsmem_tEENKUlT_SL_SM_SN_E_clIS8_S8_S9_S9_EESK_S10_SL_SM_SN_EUlS10_E0_NS1_11comp_targetILNS1_3genE5ELNS1_11target_archE942ELNS1_3gpuE9ELNS1_3repE0EEENS1_38merge_mergepath_config_static_selectorELNS0_4arch9wavefront6targetE0EEEvSM_
		.amdhsa_group_segment_fixed_size 0
		.amdhsa_private_segment_fixed_size 0
		.amdhsa_kernarg_size 88
		.amdhsa_user_sgpr_count 15
		.amdhsa_user_sgpr_dispatch_ptr 0
		.amdhsa_user_sgpr_queue_ptr 0
		.amdhsa_user_sgpr_kernarg_segment_ptr 1
		.amdhsa_user_sgpr_dispatch_id 0
		.amdhsa_user_sgpr_private_segment_size 0
		.amdhsa_wavefront_size32 1
		.amdhsa_uses_dynamic_stack 0
		.amdhsa_enable_private_segment 0
		.amdhsa_system_sgpr_workgroup_id_x 1
		.amdhsa_system_sgpr_workgroup_id_y 0
		.amdhsa_system_sgpr_workgroup_id_z 0
		.amdhsa_system_sgpr_workgroup_info 0
		.amdhsa_system_vgpr_workitem_id 0
		.amdhsa_next_free_vgpr 1
		.amdhsa_next_free_sgpr 1
		.amdhsa_reserve_vcc 0
		.amdhsa_float_round_mode_32 0
		.amdhsa_float_round_mode_16_64 0
		.amdhsa_float_denorm_mode_32 3
		.amdhsa_float_denorm_mode_16_64 3
		.amdhsa_dx10_clamp 1
		.amdhsa_ieee_mode 1
		.amdhsa_fp16_overflow 0
		.amdhsa_workgroup_processor_mode 1
		.amdhsa_memory_ordered 1
		.amdhsa_forward_progress 0
		.amdhsa_shared_vgpr_count 0
		.amdhsa_exception_fp_ieee_invalid_op 0
		.amdhsa_exception_fp_denorm_src 0
		.amdhsa_exception_fp_ieee_div_zero 0
		.amdhsa_exception_fp_ieee_overflow 0
		.amdhsa_exception_fp_ieee_underflow 0
		.amdhsa_exception_fp_ieee_inexact 0
		.amdhsa_exception_int_div_zero 0
	.end_amdhsa_kernel
	.section	.text._ZN7rocprim17ROCPRIM_400000_NS6detail17trampoline_kernelINS0_14default_configENS1_38merge_sort_block_merge_config_selectorIlNS0_10empty_typeEEEZZNS1_27merge_sort_block_merge_implIS3_PlPS5_mZN2at6native12_GLOBAL__N_124unique_dim_cuda_templateIjEESt5tupleIJNSA_6TensorESF_SF_EERKSF_lbbbEUlllE_EE10hipError_tT0_T1_T2_jT3_P12ihipStream_tbPNSt15iterator_traitsISL_E10value_typeEPNSR_ISM_E10value_typeEPSN_NS1_7vsmem_tEENKUlT_SL_SM_SN_E_clIS8_S8_S9_S9_EESK_S10_SL_SM_SN_EUlS10_E0_NS1_11comp_targetILNS1_3genE5ELNS1_11target_archE942ELNS1_3gpuE9ELNS1_3repE0EEENS1_38merge_mergepath_config_static_selectorELNS0_4arch9wavefront6targetE0EEEvSM_,"axG",@progbits,_ZN7rocprim17ROCPRIM_400000_NS6detail17trampoline_kernelINS0_14default_configENS1_38merge_sort_block_merge_config_selectorIlNS0_10empty_typeEEEZZNS1_27merge_sort_block_merge_implIS3_PlPS5_mZN2at6native12_GLOBAL__N_124unique_dim_cuda_templateIjEESt5tupleIJNSA_6TensorESF_SF_EERKSF_lbbbEUlllE_EE10hipError_tT0_T1_T2_jT3_P12ihipStream_tbPNSt15iterator_traitsISL_E10value_typeEPNSR_ISM_E10value_typeEPSN_NS1_7vsmem_tEENKUlT_SL_SM_SN_E_clIS8_S8_S9_S9_EESK_S10_SL_SM_SN_EUlS10_E0_NS1_11comp_targetILNS1_3genE5ELNS1_11target_archE942ELNS1_3gpuE9ELNS1_3repE0EEENS1_38merge_mergepath_config_static_selectorELNS0_4arch9wavefront6targetE0EEEvSM_,comdat
.Lfunc_end1500:
	.size	_ZN7rocprim17ROCPRIM_400000_NS6detail17trampoline_kernelINS0_14default_configENS1_38merge_sort_block_merge_config_selectorIlNS0_10empty_typeEEEZZNS1_27merge_sort_block_merge_implIS3_PlPS5_mZN2at6native12_GLOBAL__N_124unique_dim_cuda_templateIjEESt5tupleIJNSA_6TensorESF_SF_EERKSF_lbbbEUlllE_EE10hipError_tT0_T1_T2_jT3_P12ihipStream_tbPNSt15iterator_traitsISL_E10value_typeEPNSR_ISM_E10value_typeEPSN_NS1_7vsmem_tEENKUlT_SL_SM_SN_E_clIS8_S8_S9_S9_EESK_S10_SL_SM_SN_EUlS10_E0_NS1_11comp_targetILNS1_3genE5ELNS1_11target_archE942ELNS1_3gpuE9ELNS1_3repE0EEENS1_38merge_mergepath_config_static_selectorELNS0_4arch9wavefront6targetE0EEEvSM_, .Lfunc_end1500-_ZN7rocprim17ROCPRIM_400000_NS6detail17trampoline_kernelINS0_14default_configENS1_38merge_sort_block_merge_config_selectorIlNS0_10empty_typeEEEZZNS1_27merge_sort_block_merge_implIS3_PlPS5_mZN2at6native12_GLOBAL__N_124unique_dim_cuda_templateIjEESt5tupleIJNSA_6TensorESF_SF_EERKSF_lbbbEUlllE_EE10hipError_tT0_T1_T2_jT3_P12ihipStream_tbPNSt15iterator_traitsISL_E10value_typeEPNSR_ISM_E10value_typeEPSN_NS1_7vsmem_tEENKUlT_SL_SM_SN_E_clIS8_S8_S9_S9_EESK_S10_SL_SM_SN_EUlS10_E0_NS1_11comp_targetILNS1_3genE5ELNS1_11target_archE942ELNS1_3gpuE9ELNS1_3repE0EEENS1_38merge_mergepath_config_static_selectorELNS0_4arch9wavefront6targetE0EEEvSM_
                                        ; -- End function
	.section	.AMDGPU.csdata,"",@progbits
; Kernel info:
; codeLenInByte = 0
; NumSgprs: 0
; NumVgprs: 0
; ScratchSize: 0
; MemoryBound: 0
; FloatMode: 240
; IeeeMode: 1
; LDSByteSize: 0 bytes/workgroup (compile time only)
; SGPRBlocks: 0
; VGPRBlocks: 0
; NumSGPRsForWavesPerEU: 1
; NumVGPRsForWavesPerEU: 1
; Occupancy: 16
; WaveLimiterHint : 0
; COMPUTE_PGM_RSRC2:SCRATCH_EN: 0
; COMPUTE_PGM_RSRC2:USER_SGPR: 15
; COMPUTE_PGM_RSRC2:TRAP_HANDLER: 0
; COMPUTE_PGM_RSRC2:TGID_X_EN: 1
; COMPUTE_PGM_RSRC2:TGID_Y_EN: 0
; COMPUTE_PGM_RSRC2:TGID_Z_EN: 0
; COMPUTE_PGM_RSRC2:TIDIG_COMP_CNT: 0
	.section	.text._ZN7rocprim17ROCPRIM_400000_NS6detail17trampoline_kernelINS0_14default_configENS1_38merge_sort_block_merge_config_selectorIlNS0_10empty_typeEEEZZNS1_27merge_sort_block_merge_implIS3_PlPS5_mZN2at6native12_GLOBAL__N_124unique_dim_cuda_templateIjEESt5tupleIJNSA_6TensorESF_SF_EERKSF_lbbbEUlllE_EE10hipError_tT0_T1_T2_jT3_P12ihipStream_tbPNSt15iterator_traitsISL_E10value_typeEPNSR_ISM_E10value_typeEPSN_NS1_7vsmem_tEENKUlT_SL_SM_SN_E_clIS8_S8_S9_S9_EESK_S10_SL_SM_SN_EUlS10_E0_NS1_11comp_targetILNS1_3genE4ELNS1_11target_archE910ELNS1_3gpuE8ELNS1_3repE0EEENS1_38merge_mergepath_config_static_selectorELNS0_4arch9wavefront6targetE0EEEvSM_,"axG",@progbits,_ZN7rocprim17ROCPRIM_400000_NS6detail17trampoline_kernelINS0_14default_configENS1_38merge_sort_block_merge_config_selectorIlNS0_10empty_typeEEEZZNS1_27merge_sort_block_merge_implIS3_PlPS5_mZN2at6native12_GLOBAL__N_124unique_dim_cuda_templateIjEESt5tupleIJNSA_6TensorESF_SF_EERKSF_lbbbEUlllE_EE10hipError_tT0_T1_T2_jT3_P12ihipStream_tbPNSt15iterator_traitsISL_E10value_typeEPNSR_ISM_E10value_typeEPSN_NS1_7vsmem_tEENKUlT_SL_SM_SN_E_clIS8_S8_S9_S9_EESK_S10_SL_SM_SN_EUlS10_E0_NS1_11comp_targetILNS1_3genE4ELNS1_11target_archE910ELNS1_3gpuE8ELNS1_3repE0EEENS1_38merge_mergepath_config_static_selectorELNS0_4arch9wavefront6targetE0EEEvSM_,comdat
	.globl	_ZN7rocprim17ROCPRIM_400000_NS6detail17trampoline_kernelINS0_14default_configENS1_38merge_sort_block_merge_config_selectorIlNS0_10empty_typeEEEZZNS1_27merge_sort_block_merge_implIS3_PlPS5_mZN2at6native12_GLOBAL__N_124unique_dim_cuda_templateIjEESt5tupleIJNSA_6TensorESF_SF_EERKSF_lbbbEUlllE_EE10hipError_tT0_T1_T2_jT3_P12ihipStream_tbPNSt15iterator_traitsISL_E10value_typeEPNSR_ISM_E10value_typeEPSN_NS1_7vsmem_tEENKUlT_SL_SM_SN_E_clIS8_S8_S9_S9_EESK_S10_SL_SM_SN_EUlS10_E0_NS1_11comp_targetILNS1_3genE4ELNS1_11target_archE910ELNS1_3gpuE8ELNS1_3repE0EEENS1_38merge_mergepath_config_static_selectorELNS0_4arch9wavefront6targetE0EEEvSM_ ; -- Begin function _ZN7rocprim17ROCPRIM_400000_NS6detail17trampoline_kernelINS0_14default_configENS1_38merge_sort_block_merge_config_selectorIlNS0_10empty_typeEEEZZNS1_27merge_sort_block_merge_implIS3_PlPS5_mZN2at6native12_GLOBAL__N_124unique_dim_cuda_templateIjEESt5tupleIJNSA_6TensorESF_SF_EERKSF_lbbbEUlllE_EE10hipError_tT0_T1_T2_jT3_P12ihipStream_tbPNSt15iterator_traitsISL_E10value_typeEPNSR_ISM_E10value_typeEPSN_NS1_7vsmem_tEENKUlT_SL_SM_SN_E_clIS8_S8_S9_S9_EESK_S10_SL_SM_SN_EUlS10_E0_NS1_11comp_targetILNS1_3genE4ELNS1_11target_archE910ELNS1_3gpuE8ELNS1_3repE0EEENS1_38merge_mergepath_config_static_selectorELNS0_4arch9wavefront6targetE0EEEvSM_
	.p2align	8
	.type	_ZN7rocprim17ROCPRIM_400000_NS6detail17trampoline_kernelINS0_14default_configENS1_38merge_sort_block_merge_config_selectorIlNS0_10empty_typeEEEZZNS1_27merge_sort_block_merge_implIS3_PlPS5_mZN2at6native12_GLOBAL__N_124unique_dim_cuda_templateIjEESt5tupleIJNSA_6TensorESF_SF_EERKSF_lbbbEUlllE_EE10hipError_tT0_T1_T2_jT3_P12ihipStream_tbPNSt15iterator_traitsISL_E10value_typeEPNSR_ISM_E10value_typeEPSN_NS1_7vsmem_tEENKUlT_SL_SM_SN_E_clIS8_S8_S9_S9_EESK_S10_SL_SM_SN_EUlS10_E0_NS1_11comp_targetILNS1_3genE4ELNS1_11target_archE910ELNS1_3gpuE8ELNS1_3repE0EEENS1_38merge_mergepath_config_static_selectorELNS0_4arch9wavefront6targetE0EEEvSM_,@function
_ZN7rocprim17ROCPRIM_400000_NS6detail17trampoline_kernelINS0_14default_configENS1_38merge_sort_block_merge_config_selectorIlNS0_10empty_typeEEEZZNS1_27merge_sort_block_merge_implIS3_PlPS5_mZN2at6native12_GLOBAL__N_124unique_dim_cuda_templateIjEESt5tupleIJNSA_6TensorESF_SF_EERKSF_lbbbEUlllE_EE10hipError_tT0_T1_T2_jT3_P12ihipStream_tbPNSt15iterator_traitsISL_E10value_typeEPNSR_ISM_E10value_typeEPSN_NS1_7vsmem_tEENKUlT_SL_SM_SN_E_clIS8_S8_S9_S9_EESK_S10_SL_SM_SN_EUlS10_E0_NS1_11comp_targetILNS1_3genE4ELNS1_11target_archE910ELNS1_3gpuE8ELNS1_3repE0EEENS1_38merge_mergepath_config_static_selectorELNS0_4arch9wavefront6targetE0EEEvSM_: ; @_ZN7rocprim17ROCPRIM_400000_NS6detail17trampoline_kernelINS0_14default_configENS1_38merge_sort_block_merge_config_selectorIlNS0_10empty_typeEEEZZNS1_27merge_sort_block_merge_implIS3_PlPS5_mZN2at6native12_GLOBAL__N_124unique_dim_cuda_templateIjEESt5tupleIJNSA_6TensorESF_SF_EERKSF_lbbbEUlllE_EE10hipError_tT0_T1_T2_jT3_P12ihipStream_tbPNSt15iterator_traitsISL_E10value_typeEPNSR_ISM_E10value_typeEPSN_NS1_7vsmem_tEENKUlT_SL_SM_SN_E_clIS8_S8_S9_S9_EESK_S10_SL_SM_SN_EUlS10_E0_NS1_11comp_targetILNS1_3genE4ELNS1_11target_archE910ELNS1_3gpuE8ELNS1_3repE0EEENS1_38merge_mergepath_config_static_selectorELNS0_4arch9wavefront6targetE0EEEvSM_
; %bb.0:
	.section	.rodata,"a",@progbits
	.p2align	6, 0x0
	.amdhsa_kernel _ZN7rocprim17ROCPRIM_400000_NS6detail17trampoline_kernelINS0_14default_configENS1_38merge_sort_block_merge_config_selectorIlNS0_10empty_typeEEEZZNS1_27merge_sort_block_merge_implIS3_PlPS5_mZN2at6native12_GLOBAL__N_124unique_dim_cuda_templateIjEESt5tupleIJNSA_6TensorESF_SF_EERKSF_lbbbEUlllE_EE10hipError_tT0_T1_T2_jT3_P12ihipStream_tbPNSt15iterator_traitsISL_E10value_typeEPNSR_ISM_E10value_typeEPSN_NS1_7vsmem_tEENKUlT_SL_SM_SN_E_clIS8_S8_S9_S9_EESK_S10_SL_SM_SN_EUlS10_E0_NS1_11comp_targetILNS1_3genE4ELNS1_11target_archE910ELNS1_3gpuE8ELNS1_3repE0EEENS1_38merge_mergepath_config_static_selectorELNS0_4arch9wavefront6targetE0EEEvSM_
		.amdhsa_group_segment_fixed_size 0
		.amdhsa_private_segment_fixed_size 0
		.amdhsa_kernarg_size 88
		.amdhsa_user_sgpr_count 15
		.amdhsa_user_sgpr_dispatch_ptr 0
		.amdhsa_user_sgpr_queue_ptr 0
		.amdhsa_user_sgpr_kernarg_segment_ptr 1
		.amdhsa_user_sgpr_dispatch_id 0
		.amdhsa_user_sgpr_private_segment_size 0
		.amdhsa_wavefront_size32 1
		.amdhsa_uses_dynamic_stack 0
		.amdhsa_enable_private_segment 0
		.amdhsa_system_sgpr_workgroup_id_x 1
		.amdhsa_system_sgpr_workgroup_id_y 0
		.amdhsa_system_sgpr_workgroup_id_z 0
		.amdhsa_system_sgpr_workgroup_info 0
		.amdhsa_system_vgpr_workitem_id 0
		.amdhsa_next_free_vgpr 1
		.amdhsa_next_free_sgpr 1
		.amdhsa_reserve_vcc 0
		.amdhsa_float_round_mode_32 0
		.amdhsa_float_round_mode_16_64 0
		.amdhsa_float_denorm_mode_32 3
		.amdhsa_float_denorm_mode_16_64 3
		.amdhsa_dx10_clamp 1
		.amdhsa_ieee_mode 1
		.amdhsa_fp16_overflow 0
		.amdhsa_workgroup_processor_mode 1
		.amdhsa_memory_ordered 1
		.amdhsa_forward_progress 0
		.amdhsa_shared_vgpr_count 0
		.amdhsa_exception_fp_ieee_invalid_op 0
		.amdhsa_exception_fp_denorm_src 0
		.amdhsa_exception_fp_ieee_div_zero 0
		.amdhsa_exception_fp_ieee_overflow 0
		.amdhsa_exception_fp_ieee_underflow 0
		.amdhsa_exception_fp_ieee_inexact 0
		.amdhsa_exception_int_div_zero 0
	.end_amdhsa_kernel
	.section	.text._ZN7rocprim17ROCPRIM_400000_NS6detail17trampoline_kernelINS0_14default_configENS1_38merge_sort_block_merge_config_selectorIlNS0_10empty_typeEEEZZNS1_27merge_sort_block_merge_implIS3_PlPS5_mZN2at6native12_GLOBAL__N_124unique_dim_cuda_templateIjEESt5tupleIJNSA_6TensorESF_SF_EERKSF_lbbbEUlllE_EE10hipError_tT0_T1_T2_jT3_P12ihipStream_tbPNSt15iterator_traitsISL_E10value_typeEPNSR_ISM_E10value_typeEPSN_NS1_7vsmem_tEENKUlT_SL_SM_SN_E_clIS8_S8_S9_S9_EESK_S10_SL_SM_SN_EUlS10_E0_NS1_11comp_targetILNS1_3genE4ELNS1_11target_archE910ELNS1_3gpuE8ELNS1_3repE0EEENS1_38merge_mergepath_config_static_selectorELNS0_4arch9wavefront6targetE0EEEvSM_,"axG",@progbits,_ZN7rocprim17ROCPRIM_400000_NS6detail17trampoline_kernelINS0_14default_configENS1_38merge_sort_block_merge_config_selectorIlNS0_10empty_typeEEEZZNS1_27merge_sort_block_merge_implIS3_PlPS5_mZN2at6native12_GLOBAL__N_124unique_dim_cuda_templateIjEESt5tupleIJNSA_6TensorESF_SF_EERKSF_lbbbEUlllE_EE10hipError_tT0_T1_T2_jT3_P12ihipStream_tbPNSt15iterator_traitsISL_E10value_typeEPNSR_ISM_E10value_typeEPSN_NS1_7vsmem_tEENKUlT_SL_SM_SN_E_clIS8_S8_S9_S9_EESK_S10_SL_SM_SN_EUlS10_E0_NS1_11comp_targetILNS1_3genE4ELNS1_11target_archE910ELNS1_3gpuE8ELNS1_3repE0EEENS1_38merge_mergepath_config_static_selectorELNS0_4arch9wavefront6targetE0EEEvSM_,comdat
.Lfunc_end1501:
	.size	_ZN7rocprim17ROCPRIM_400000_NS6detail17trampoline_kernelINS0_14default_configENS1_38merge_sort_block_merge_config_selectorIlNS0_10empty_typeEEEZZNS1_27merge_sort_block_merge_implIS3_PlPS5_mZN2at6native12_GLOBAL__N_124unique_dim_cuda_templateIjEESt5tupleIJNSA_6TensorESF_SF_EERKSF_lbbbEUlllE_EE10hipError_tT0_T1_T2_jT3_P12ihipStream_tbPNSt15iterator_traitsISL_E10value_typeEPNSR_ISM_E10value_typeEPSN_NS1_7vsmem_tEENKUlT_SL_SM_SN_E_clIS8_S8_S9_S9_EESK_S10_SL_SM_SN_EUlS10_E0_NS1_11comp_targetILNS1_3genE4ELNS1_11target_archE910ELNS1_3gpuE8ELNS1_3repE0EEENS1_38merge_mergepath_config_static_selectorELNS0_4arch9wavefront6targetE0EEEvSM_, .Lfunc_end1501-_ZN7rocprim17ROCPRIM_400000_NS6detail17trampoline_kernelINS0_14default_configENS1_38merge_sort_block_merge_config_selectorIlNS0_10empty_typeEEEZZNS1_27merge_sort_block_merge_implIS3_PlPS5_mZN2at6native12_GLOBAL__N_124unique_dim_cuda_templateIjEESt5tupleIJNSA_6TensorESF_SF_EERKSF_lbbbEUlllE_EE10hipError_tT0_T1_T2_jT3_P12ihipStream_tbPNSt15iterator_traitsISL_E10value_typeEPNSR_ISM_E10value_typeEPSN_NS1_7vsmem_tEENKUlT_SL_SM_SN_E_clIS8_S8_S9_S9_EESK_S10_SL_SM_SN_EUlS10_E0_NS1_11comp_targetILNS1_3genE4ELNS1_11target_archE910ELNS1_3gpuE8ELNS1_3repE0EEENS1_38merge_mergepath_config_static_selectorELNS0_4arch9wavefront6targetE0EEEvSM_
                                        ; -- End function
	.section	.AMDGPU.csdata,"",@progbits
; Kernel info:
; codeLenInByte = 0
; NumSgprs: 0
; NumVgprs: 0
; ScratchSize: 0
; MemoryBound: 0
; FloatMode: 240
; IeeeMode: 1
; LDSByteSize: 0 bytes/workgroup (compile time only)
; SGPRBlocks: 0
; VGPRBlocks: 0
; NumSGPRsForWavesPerEU: 1
; NumVGPRsForWavesPerEU: 1
; Occupancy: 16
; WaveLimiterHint : 0
; COMPUTE_PGM_RSRC2:SCRATCH_EN: 0
; COMPUTE_PGM_RSRC2:USER_SGPR: 15
; COMPUTE_PGM_RSRC2:TRAP_HANDLER: 0
; COMPUTE_PGM_RSRC2:TGID_X_EN: 1
; COMPUTE_PGM_RSRC2:TGID_Y_EN: 0
; COMPUTE_PGM_RSRC2:TGID_Z_EN: 0
; COMPUTE_PGM_RSRC2:TIDIG_COMP_CNT: 0
	.section	.text._ZN7rocprim17ROCPRIM_400000_NS6detail17trampoline_kernelINS0_14default_configENS1_38merge_sort_block_merge_config_selectorIlNS0_10empty_typeEEEZZNS1_27merge_sort_block_merge_implIS3_PlPS5_mZN2at6native12_GLOBAL__N_124unique_dim_cuda_templateIjEESt5tupleIJNSA_6TensorESF_SF_EERKSF_lbbbEUlllE_EE10hipError_tT0_T1_T2_jT3_P12ihipStream_tbPNSt15iterator_traitsISL_E10value_typeEPNSR_ISM_E10value_typeEPSN_NS1_7vsmem_tEENKUlT_SL_SM_SN_E_clIS8_S8_S9_S9_EESK_S10_SL_SM_SN_EUlS10_E0_NS1_11comp_targetILNS1_3genE3ELNS1_11target_archE908ELNS1_3gpuE7ELNS1_3repE0EEENS1_38merge_mergepath_config_static_selectorELNS0_4arch9wavefront6targetE0EEEvSM_,"axG",@progbits,_ZN7rocprim17ROCPRIM_400000_NS6detail17trampoline_kernelINS0_14default_configENS1_38merge_sort_block_merge_config_selectorIlNS0_10empty_typeEEEZZNS1_27merge_sort_block_merge_implIS3_PlPS5_mZN2at6native12_GLOBAL__N_124unique_dim_cuda_templateIjEESt5tupleIJNSA_6TensorESF_SF_EERKSF_lbbbEUlllE_EE10hipError_tT0_T1_T2_jT3_P12ihipStream_tbPNSt15iterator_traitsISL_E10value_typeEPNSR_ISM_E10value_typeEPSN_NS1_7vsmem_tEENKUlT_SL_SM_SN_E_clIS8_S8_S9_S9_EESK_S10_SL_SM_SN_EUlS10_E0_NS1_11comp_targetILNS1_3genE3ELNS1_11target_archE908ELNS1_3gpuE7ELNS1_3repE0EEENS1_38merge_mergepath_config_static_selectorELNS0_4arch9wavefront6targetE0EEEvSM_,comdat
	.globl	_ZN7rocprim17ROCPRIM_400000_NS6detail17trampoline_kernelINS0_14default_configENS1_38merge_sort_block_merge_config_selectorIlNS0_10empty_typeEEEZZNS1_27merge_sort_block_merge_implIS3_PlPS5_mZN2at6native12_GLOBAL__N_124unique_dim_cuda_templateIjEESt5tupleIJNSA_6TensorESF_SF_EERKSF_lbbbEUlllE_EE10hipError_tT0_T1_T2_jT3_P12ihipStream_tbPNSt15iterator_traitsISL_E10value_typeEPNSR_ISM_E10value_typeEPSN_NS1_7vsmem_tEENKUlT_SL_SM_SN_E_clIS8_S8_S9_S9_EESK_S10_SL_SM_SN_EUlS10_E0_NS1_11comp_targetILNS1_3genE3ELNS1_11target_archE908ELNS1_3gpuE7ELNS1_3repE0EEENS1_38merge_mergepath_config_static_selectorELNS0_4arch9wavefront6targetE0EEEvSM_ ; -- Begin function _ZN7rocprim17ROCPRIM_400000_NS6detail17trampoline_kernelINS0_14default_configENS1_38merge_sort_block_merge_config_selectorIlNS0_10empty_typeEEEZZNS1_27merge_sort_block_merge_implIS3_PlPS5_mZN2at6native12_GLOBAL__N_124unique_dim_cuda_templateIjEESt5tupleIJNSA_6TensorESF_SF_EERKSF_lbbbEUlllE_EE10hipError_tT0_T1_T2_jT3_P12ihipStream_tbPNSt15iterator_traitsISL_E10value_typeEPNSR_ISM_E10value_typeEPSN_NS1_7vsmem_tEENKUlT_SL_SM_SN_E_clIS8_S8_S9_S9_EESK_S10_SL_SM_SN_EUlS10_E0_NS1_11comp_targetILNS1_3genE3ELNS1_11target_archE908ELNS1_3gpuE7ELNS1_3repE0EEENS1_38merge_mergepath_config_static_selectorELNS0_4arch9wavefront6targetE0EEEvSM_
	.p2align	8
	.type	_ZN7rocprim17ROCPRIM_400000_NS6detail17trampoline_kernelINS0_14default_configENS1_38merge_sort_block_merge_config_selectorIlNS0_10empty_typeEEEZZNS1_27merge_sort_block_merge_implIS3_PlPS5_mZN2at6native12_GLOBAL__N_124unique_dim_cuda_templateIjEESt5tupleIJNSA_6TensorESF_SF_EERKSF_lbbbEUlllE_EE10hipError_tT0_T1_T2_jT3_P12ihipStream_tbPNSt15iterator_traitsISL_E10value_typeEPNSR_ISM_E10value_typeEPSN_NS1_7vsmem_tEENKUlT_SL_SM_SN_E_clIS8_S8_S9_S9_EESK_S10_SL_SM_SN_EUlS10_E0_NS1_11comp_targetILNS1_3genE3ELNS1_11target_archE908ELNS1_3gpuE7ELNS1_3repE0EEENS1_38merge_mergepath_config_static_selectorELNS0_4arch9wavefront6targetE0EEEvSM_,@function
_ZN7rocprim17ROCPRIM_400000_NS6detail17trampoline_kernelINS0_14default_configENS1_38merge_sort_block_merge_config_selectorIlNS0_10empty_typeEEEZZNS1_27merge_sort_block_merge_implIS3_PlPS5_mZN2at6native12_GLOBAL__N_124unique_dim_cuda_templateIjEESt5tupleIJNSA_6TensorESF_SF_EERKSF_lbbbEUlllE_EE10hipError_tT0_T1_T2_jT3_P12ihipStream_tbPNSt15iterator_traitsISL_E10value_typeEPNSR_ISM_E10value_typeEPSN_NS1_7vsmem_tEENKUlT_SL_SM_SN_E_clIS8_S8_S9_S9_EESK_S10_SL_SM_SN_EUlS10_E0_NS1_11comp_targetILNS1_3genE3ELNS1_11target_archE908ELNS1_3gpuE7ELNS1_3repE0EEENS1_38merge_mergepath_config_static_selectorELNS0_4arch9wavefront6targetE0EEEvSM_: ; @_ZN7rocprim17ROCPRIM_400000_NS6detail17trampoline_kernelINS0_14default_configENS1_38merge_sort_block_merge_config_selectorIlNS0_10empty_typeEEEZZNS1_27merge_sort_block_merge_implIS3_PlPS5_mZN2at6native12_GLOBAL__N_124unique_dim_cuda_templateIjEESt5tupleIJNSA_6TensorESF_SF_EERKSF_lbbbEUlllE_EE10hipError_tT0_T1_T2_jT3_P12ihipStream_tbPNSt15iterator_traitsISL_E10value_typeEPNSR_ISM_E10value_typeEPSN_NS1_7vsmem_tEENKUlT_SL_SM_SN_E_clIS8_S8_S9_S9_EESK_S10_SL_SM_SN_EUlS10_E0_NS1_11comp_targetILNS1_3genE3ELNS1_11target_archE908ELNS1_3gpuE7ELNS1_3repE0EEENS1_38merge_mergepath_config_static_selectorELNS0_4arch9wavefront6targetE0EEEvSM_
; %bb.0:
	.section	.rodata,"a",@progbits
	.p2align	6, 0x0
	.amdhsa_kernel _ZN7rocprim17ROCPRIM_400000_NS6detail17trampoline_kernelINS0_14default_configENS1_38merge_sort_block_merge_config_selectorIlNS0_10empty_typeEEEZZNS1_27merge_sort_block_merge_implIS3_PlPS5_mZN2at6native12_GLOBAL__N_124unique_dim_cuda_templateIjEESt5tupleIJNSA_6TensorESF_SF_EERKSF_lbbbEUlllE_EE10hipError_tT0_T1_T2_jT3_P12ihipStream_tbPNSt15iterator_traitsISL_E10value_typeEPNSR_ISM_E10value_typeEPSN_NS1_7vsmem_tEENKUlT_SL_SM_SN_E_clIS8_S8_S9_S9_EESK_S10_SL_SM_SN_EUlS10_E0_NS1_11comp_targetILNS1_3genE3ELNS1_11target_archE908ELNS1_3gpuE7ELNS1_3repE0EEENS1_38merge_mergepath_config_static_selectorELNS0_4arch9wavefront6targetE0EEEvSM_
		.amdhsa_group_segment_fixed_size 0
		.amdhsa_private_segment_fixed_size 0
		.amdhsa_kernarg_size 88
		.amdhsa_user_sgpr_count 15
		.amdhsa_user_sgpr_dispatch_ptr 0
		.amdhsa_user_sgpr_queue_ptr 0
		.amdhsa_user_sgpr_kernarg_segment_ptr 1
		.amdhsa_user_sgpr_dispatch_id 0
		.amdhsa_user_sgpr_private_segment_size 0
		.amdhsa_wavefront_size32 1
		.amdhsa_uses_dynamic_stack 0
		.amdhsa_enable_private_segment 0
		.amdhsa_system_sgpr_workgroup_id_x 1
		.amdhsa_system_sgpr_workgroup_id_y 0
		.amdhsa_system_sgpr_workgroup_id_z 0
		.amdhsa_system_sgpr_workgroup_info 0
		.amdhsa_system_vgpr_workitem_id 0
		.amdhsa_next_free_vgpr 1
		.amdhsa_next_free_sgpr 1
		.amdhsa_reserve_vcc 0
		.amdhsa_float_round_mode_32 0
		.amdhsa_float_round_mode_16_64 0
		.amdhsa_float_denorm_mode_32 3
		.amdhsa_float_denorm_mode_16_64 3
		.amdhsa_dx10_clamp 1
		.amdhsa_ieee_mode 1
		.amdhsa_fp16_overflow 0
		.amdhsa_workgroup_processor_mode 1
		.amdhsa_memory_ordered 1
		.amdhsa_forward_progress 0
		.amdhsa_shared_vgpr_count 0
		.amdhsa_exception_fp_ieee_invalid_op 0
		.amdhsa_exception_fp_denorm_src 0
		.amdhsa_exception_fp_ieee_div_zero 0
		.amdhsa_exception_fp_ieee_overflow 0
		.amdhsa_exception_fp_ieee_underflow 0
		.amdhsa_exception_fp_ieee_inexact 0
		.amdhsa_exception_int_div_zero 0
	.end_amdhsa_kernel
	.section	.text._ZN7rocprim17ROCPRIM_400000_NS6detail17trampoline_kernelINS0_14default_configENS1_38merge_sort_block_merge_config_selectorIlNS0_10empty_typeEEEZZNS1_27merge_sort_block_merge_implIS3_PlPS5_mZN2at6native12_GLOBAL__N_124unique_dim_cuda_templateIjEESt5tupleIJNSA_6TensorESF_SF_EERKSF_lbbbEUlllE_EE10hipError_tT0_T1_T2_jT3_P12ihipStream_tbPNSt15iterator_traitsISL_E10value_typeEPNSR_ISM_E10value_typeEPSN_NS1_7vsmem_tEENKUlT_SL_SM_SN_E_clIS8_S8_S9_S9_EESK_S10_SL_SM_SN_EUlS10_E0_NS1_11comp_targetILNS1_3genE3ELNS1_11target_archE908ELNS1_3gpuE7ELNS1_3repE0EEENS1_38merge_mergepath_config_static_selectorELNS0_4arch9wavefront6targetE0EEEvSM_,"axG",@progbits,_ZN7rocprim17ROCPRIM_400000_NS6detail17trampoline_kernelINS0_14default_configENS1_38merge_sort_block_merge_config_selectorIlNS0_10empty_typeEEEZZNS1_27merge_sort_block_merge_implIS3_PlPS5_mZN2at6native12_GLOBAL__N_124unique_dim_cuda_templateIjEESt5tupleIJNSA_6TensorESF_SF_EERKSF_lbbbEUlllE_EE10hipError_tT0_T1_T2_jT3_P12ihipStream_tbPNSt15iterator_traitsISL_E10value_typeEPNSR_ISM_E10value_typeEPSN_NS1_7vsmem_tEENKUlT_SL_SM_SN_E_clIS8_S8_S9_S9_EESK_S10_SL_SM_SN_EUlS10_E0_NS1_11comp_targetILNS1_3genE3ELNS1_11target_archE908ELNS1_3gpuE7ELNS1_3repE0EEENS1_38merge_mergepath_config_static_selectorELNS0_4arch9wavefront6targetE0EEEvSM_,comdat
.Lfunc_end1502:
	.size	_ZN7rocprim17ROCPRIM_400000_NS6detail17trampoline_kernelINS0_14default_configENS1_38merge_sort_block_merge_config_selectorIlNS0_10empty_typeEEEZZNS1_27merge_sort_block_merge_implIS3_PlPS5_mZN2at6native12_GLOBAL__N_124unique_dim_cuda_templateIjEESt5tupleIJNSA_6TensorESF_SF_EERKSF_lbbbEUlllE_EE10hipError_tT0_T1_T2_jT3_P12ihipStream_tbPNSt15iterator_traitsISL_E10value_typeEPNSR_ISM_E10value_typeEPSN_NS1_7vsmem_tEENKUlT_SL_SM_SN_E_clIS8_S8_S9_S9_EESK_S10_SL_SM_SN_EUlS10_E0_NS1_11comp_targetILNS1_3genE3ELNS1_11target_archE908ELNS1_3gpuE7ELNS1_3repE0EEENS1_38merge_mergepath_config_static_selectorELNS0_4arch9wavefront6targetE0EEEvSM_, .Lfunc_end1502-_ZN7rocprim17ROCPRIM_400000_NS6detail17trampoline_kernelINS0_14default_configENS1_38merge_sort_block_merge_config_selectorIlNS0_10empty_typeEEEZZNS1_27merge_sort_block_merge_implIS3_PlPS5_mZN2at6native12_GLOBAL__N_124unique_dim_cuda_templateIjEESt5tupleIJNSA_6TensorESF_SF_EERKSF_lbbbEUlllE_EE10hipError_tT0_T1_T2_jT3_P12ihipStream_tbPNSt15iterator_traitsISL_E10value_typeEPNSR_ISM_E10value_typeEPSN_NS1_7vsmem_tEENKUlT_SL_SM_SN_E_clIS8_S8_S9_S9_EESK_S10_SL_SM_SN_EUlS10_E0_NS1_11comp_targetILNS1_3genE3ELNS1_11target_archE908ELNS1_3gpuE7ELNS1_3repE0EEENS1_38merge_mergepath_config_static_selectorELNS0_4arch9wavefront6targetE0EEEvSM_
                                        ; -- End function
	.section	.AMDGPU.csdata,"",@progbits
; Kernel info:
; codeLenInByte = 0
; NumSgprs: 0
; NumVgprs: 0
; ScratchSize: 0
; MemoryBound: 0
; FloatMode: 240
; IeeeMode: 1
; LDSByteSize: 0 bytes/workgroup (compile time only)
; SGPRBlocks: 0
; VGPRBlocks: 0
; NumSGPRsForWavesPerEU: 1
; NumVGPRsForWavesPerEU: 1
; Occupancy: 16
; WaveLimiterHint : 0
; COMPUTE_PGM_RSRC2:SCRATCH_EN: 0
; COMPUTE_PGM_RSRC2:USER_SGPR: 15
; COMPUTE_PGM_RSRC2:TRAP_HANDLER: 0
; COMPUTE_PGM_RSRC2:TGID_X_EN: 1
; COMPUTE_PGM_RSRC2:TGID_Y_EN: 0
; COMPUTE_PGM_RSRC2:TGID_Z_EN: 0
; COMPUTE_PGM_RSRC2:TIDIG_COMP_CNT: 0
	.section	.text._ZN7rocprim17ROCPRIM_400000_NS6detail17trampoline_kernelINS0_14default_configENS1_38merge_sort_block_merge_config_selectorIlNS0_10empty_typeEEEZZNS1_27merge_sort_block_merge_implIS3_PlPS5_mZN2at6native12_GLOBAL__N_124unique_dim_cuda_templateIjEESt5tupleIJNSA_6TensorESF_SF_EERKSF_lbbbEUlllE_EE10hipError_tT0_T1_T2_jT3_P12ihipStream_tbPNSt15iterator_traitsISL_E10value_typeEPNSR_ISM_E10value_typeEPSN_NS1_7vsmem_tEENKUlT_SL_SM_SN_E_clIS8_S8_S9_S9_EESK_S10_SL_SM_SN_EUlS10_E0_NS1_11comp_targetILNS1_3genE2ELNS1_11target_archE906ELNS1_3gpuE6ELNS1_3repE0EEENS1_38merge_mergepath_config_static_selectorELNS0_4arch9wavefront6targetE0EEEvSM_,"axG",@progbits,_ZN7rocprim17ROCPRIM_400000_NS6detail17trampoline_kernelINS0_14default_configENS1_38merge_sort_block_merge_config_selectorIlNS0_10empty_typeEEEZZNS1_27merge_sort_block_merge_implIS3_PlPS5_mZN2at6native12_GLOBAL__N_124unique_dim_cuda_templateIjEESt5tupleIJNSA_6TensorESF_SF_EERKSF_lbbbEUlllE_EE10hipError_tT0_T1_T2_jT3_P12ihipStream_tbPNSt15iterator_traitsISL_E10value_typeEPNSR_ISM_E10value_typeEPSN_NS1_7vsmem_tEENKUlT_SL_SM_SN_E_clIS8_S8_S9_S9_EESK_S10_SL_SM_SN_EUlS10_E0_NS1_11comp_targetILNS1_3genE2ELNS1_11target_archE906ELNS1_3gpuE6ELNS1_3repE0EEENS1_38merge_mergepath_config_static_selectorELNS0_4arch9wavefront6targetE0EEEvSM_,comdat
	.globl	_ZN7rocprim17ROCPRIM_400000_NS6detail17trampoline_kernelINS0_14default_configENS1_38merge_sort_block_merge_config_selectorIlNS0_10empty_typeEEEZZNS1_27merge_sort_block_merge_implIS3_PlPS5_mZN2at6native12_GLOBAL__N_124unique_dim_cuda_templateIjEESt5tupleIJNSA_6TensorESF_SF_EERKSF_lbbbEUlllE_EE10hipError_tT0_T1_T2_jT3_P12ihipStream_tbPNSt15iterator_traitsISL_E10value_typeEPNSR_ISM_E10value_typeEPSN_NS1_7vsmem_tEENKUlT_SL_SM_SN_E_clIS8_S8_S9_S9_EESK_S10_SL_SM_SN_EUlS10_E0_NS1_11comp_targetILNS1_3genE2ELNS1_11target_archE906ELNS1_3gpuE6ELNS1_3repE0EEENS1_38merge_mergepath_config_static_selectorELNS0_4arch9wavefront6targetE0EEEvSM_ ; -- Begin function _ZN7rocprim17ROCPRIM_400000_NS6detail17trampoline_kernelINS0_14default_configENS1_38merge_sort_block_merge_config_selectorIlNS0_10empty_typeEEEZZNS1_27merge_sort_block_merge_implIS3_PlPS5_mZN2at6native12_GLOBAL__N_124unique_dim_cuda_templateIjEESt5tupleIJNSA_6TensorESF_SF_EERKSF_lbbbEUlllE_EE10hipError_tT0_T1_T2_jT3_P12ihipStream_tbPNSt15iterator_traitsISL_E10value_typeEPNSR_ISM_E10value_typeEPSN_NS1_7vsmem_tEENKUlT_SL_SM_SN_E_clIS8_S8_S9_S9_EESK_S10_SL_SM_SN_EUlS10_E0_NS1_11comp_targetILNS1_3genE2ELNS1_11target_archE906ELNS1_3gpuE6ELNS1_3repE0EEENS1_38merge_mergepath_config_static_selectorELNS0_4arch9wavefront6targetE0EEEvSM_
	.p2align	8
	.type	_ZN7rocprim17ROCPRIM_400000_NS6detail17trampoline_kernelINS0_14default_configENS1_38merge_sort_block_merge_config_selectorIlNS0_10empty_typeEEEZZNS1_27merge_sort_block_merge_implIS3_PlPS5_mZN2at6native12_GLOBAL__N_124unique_dim_cuda_templateIjEESt5tupleIJNSA_6TensorESF_SF_EERKSF_lbbbEUlllE_EE10hipError_tT0_T1_T2_jT3_P12ihipStream_tbPNSt15iterator_traitsISL_E10value_typeEPNSR_ISM_E10value_typeEPSN_NS1_7vsmem_tEENKUlT_SL_SM_SN_E_clIS8_S8_S9_S9_EESK_S10_SL_SM_SN_EUlS10_E0_NS1_11comp_targetILNS1_3genE2ELNS1_11target_archE906ELNS1_3gpuE6ELNS1_3repE0EEENS1_38merge_mergepath_config_static_selectorELNS0_4arch9wavefront6targetE0EEEvSM_,@function
_ZN7rocprim17ROCPRIM_400000_NS6detail17trampoline_kernelINS0_14default_configENS1_38merge_sort_block_merge_config_selectorIlNS0_10empty_typeEEEZZNS1_27merge_sort_block_merge_implIS3_PlPS5_mZN2at6native12_GLOBAL__N_124unique_dim_cuda_templateIjEESt5tupleIJNSA_6TensorESF_SF_EERKSF_lbbbEUlllE_EE10hipError_tT0_T1_T2_jT3_P12ihipStream_tbPNSt15iterator_traitsISL_E10value_typeEPNSR_ISM_E10value_typeEPSN_NS1_7vsmem_tEENKUlT_SL_SM_SN_E_clIS8_S8_S9_S9_EESK_S10_SL_SM_SN_EUlS10_E0_NS1_11comp_targetILNS1_3genE2ELNS1_11target_archE906ELNS1_3gpuE6ELNS1_3repE0EEENS1_38merge_mergepath_config_static_selectorELNS0_4arch9wavefront6targetE0EEEvSM_: ; @_ZN7rocprim17ROCPRIM_400000_NS6detail17trampoline_kernelINS0_14default_configENS1_38merge_sort_block_merge_config_selectorIlNS0_10empty_typeEEEZZNS1_27merge_sort_block_merge_implIS3_PlPS5_mZN2at6native12_GLOBAL__N_124unique_dim_cuda_templateIjEESt5tupleIJNSA_6TensorESF_SF_EERKSF_lbbbEUlllE_EE10hipError_tT0_T1_T2_jT3_P12ihipStream_tbPNSt15iterator_traitsISL_E10value_typeEPNSR_ISM_E10value_typeEPSN_NS1_7vsmem_tEENKUlT_SL_SM_SN_E_clIS8_S8_S9_S9_EESK_S10_SL_SM_SN_EUlS10_E0_NS1_11comp_targetILNS1_3genE2ELNS1_11target_archE906ELNS1_3gpuE6ELNS1_3repE0EEENS1_38merge_mergepath_config_static_selectorELNS0_4arch9wavefront6targetE0EEEvSM_
; %bb.0:
	.section	.rodata,"a",@progbits
	.p2align	6, 0x0
	.amdhsa_kernel _ZN7rocprim17ROCPRIM_400000_NS6detail17trampoline_kernelINS0_14default_configENS1_38merge_sort_block_merge_config_selectorIlNS0_10empty_typeEEEZZNS1_27merge_sort_block_merge_implIS3_PlPS5_mZN2at6native12_GLOBAL__N_124unique_dim_cuda_templateIjEESt5tupleIJNSA_6TensorESF_SF_EERKSF_lbbbEUlllE_EE10hipError_tT0_T1_T2_jT3_P12ihipStream_tbPNSt15iterator_traitsISL_E10value_typeEPNSR_ISM_E10value_typeEPSN_NS1_7vsmem_tEENKUlT_SL_SM_SN_E_clIS8_S8_S9_S9_EESK_S10_SL_SM_SN_EUlS10_E0_NS1_11comp_targetILNS1_3genE2ELNS1_11target_archE906ELNS1_3gpuE6ELNS1_3repE0EEENS1_38merge_mergepath_config_static_selectorELNS0_4arch9wavefront6targetE0EEEvSM_
		.amdhsa_group_segment_fixed_size 0
		.amdhsa_private_segment_fixed_size 0
		.amdhsa_kernarg_size 88
		.amdhsa_user_sgpr_count 15
		.amdhsa_user_sgpr_dispatch_ptr 0
		.amdhsa_user_sgpr_queue_ptr 0
		.amdhsa_user_sgpr_kernarg_segment_ptr 1
		.amdhsa_user_sgpr_dispatch_id 0
		.amdhsa_user_sgpr_private_segment_size 0
		.amdhsa_wavefront_size32 1
		.amdhsa_uses_dynamic_stack 0
		.amdhsa_enable_private_segment 0
		.amdhsa_system_sgpr_workgroup_id_x 1
		.amdhsa_system_sgpr_workgroup_id_y 0
		.amdhsa_system_sgpr_workgroup_id_z 0
		.amdhsa_system_sgpr_workgroup_info 0
		.amdhsa_system_vgpr_workitem_id 0
		.amdhsa_next_free_vgpr 1
		.amdhsa_next_free_sgpr 1
		.amdhsa_reserve_vcc 0
		.amdhsa_float_round_mode_32 0
		.amdhsa_float_round_mode_16_64 0
		.amdhsa_float_denorm_mode_32 3
		.amdhsa_float_denorm_mode_16_64 3
		.amdhsa_dx10_clamp 1
		.amdhsa_ieee_mode 1
		.amdhsa_fp16_overflow 0
		.amdhsa_workgroup_processor_mode 1
		.amdhsa_memory_ordered 1
		.amdhsa_forward_progress 0
		.amdhsa_shared_vgpr_count 0
		.amdhsa_exception_fp_ieee_invalid_op 0
		.amdhsa_exception_fp_denorm_src 0
		.amdhsa_exception_fp_ieee_div_zero 0
		.amdhsa_exception_fp_ieee_overflow 0
		.amdhsa_exception_fp_ieee_underflow 0
		.amdhsa_exception_fp_ieee_inexact 0
		.amdhsa_exception_int_div_zero 0
	.end_amdhsa_kernel
	.section	.text._ZN7rocprim17ROCPRIM_400000_NS6detail17trampoline_kernelINS0_14default_configENS1_38merge_sort_block_merge_config_selectorIlNS0_10empty_typeEEEZZNS1_27merge_sort_block_merge_implIS3_PlPS5_mZN2at6native12_GLOBAL__N_124unique_dim_cuda_templateIjEESt5tupleIJNSA_6TensorESF_SF_EERKSF_lbbbEUlllE_EE10hipError_tT0_T1_T2_jT3_P12ihipStream_tbPNSt15iterator_traitsISL_E10value_typeEPNSR_ISM_E10value_typeEPSN_NS1_7vsmem_tEENKUlT_SL_SM_SN_E_clIS8_S8_S9_S9_EESK_S10_SL_SM_SN_EUlS10_E0_NS1_11comp_targetILNS1_3genE2ELNS1_11target_archE906ELNS1_3gpuE6ELNS1_3repE0EEENS1_38merge_mergepath_config_static_selectorELNS0_4arch9wavefront6targetE0EEEvSM_,"axG",@progbits,_ZN7rocprim17ROCPRIM_400000_NS6detail17trampoline_kernelINS0_14default_configENS1_38merge_sort_block_merge_config_selectorIlNS0_10empty_typeEEEZZNS1_27merge_sort_block_merge_implIS3_PlPS5_mZN2at6native12_GLOBAL__N_124unique_dim_cuda_templateIjEESt5tupleIJNSA_6TensorESF_SF_EERKSF_lbbbEUlllE_EE10hipError_tT0_T1_T2_jT3_P12ihipStream_tbPNSt15iterator_traitsISL_E10value_typeEPNSR_ISM_E10value_typeEPSN_NS1_7vsmem_tEENKUlT_SL_SM_SN_E_clIS8_S8_S9_S9_EESK_S10_SL_SM_SN_EUlS10_E0_NS1_11comp_targetILNS1_3genE2ELNS1_11target_archE906ELNS1_3gpuE6ELNS1_3repE0EEENS1_38merge_mergepath_config_static_selectorELNS0_4arch9wavefront6targetE0EEEvSM_,comdat
.Lfunc_end1503:
	.size	_ZN7rocprim17ROCPRIM_400000_NS6detail17trampoline_kernelINS0_14default_configENS1_38merge_sort_block_merge_config_selectorIlNS0_10empty_typeEEEZZNS1_27merge_sort_block_merge_implIS3_PlPS5_mZN2at6native12_GLOBAL__N_124unique_dim_cuda_templateIjEESt5tupleIJNSA_6TensorESF_SF_EERKSF_lbbbEUlllE_EE10hipError_tT0_T1_T2_jT3_P12ihipStream_tbPNSt15iterator_traitsISL_E10value_typeEPNSR_ISM_E10value_typeEPSN_NS1_7vsmem_tEENKUlT_SL_SM_SN_E_clIS8_S8_S9_S9_EESK_S10_SL_SM_SN_EUlS10_E0_NS1_11comp_targetILNS1_3genE2ELNS1_11target_archE906ELNS1_3gpuE6ELNS1_3repE0EEENS1_38merge_mergepath_config_static_selectorELNS0_4arch9wavefront6targetE0EEEvSM_, .Lfunc_end1503-_ZN7rocprim17ROCPRIM_400000_NS6detail17trampoline_kernelINS0_14default_configENS1_38merge_sort_block_merge_config_selectorIlNS0_10empty_typeEEEZZNS1_27merge_sort_block_merge_implIS3_PlPS5_mZN2at6native12_GLOBAL__N_124unique_dim_cuda_templateIjEESt5tupleIJNSA_6TensorESF_SF_EERKSF_lbbbEUlllE_EE10hipError_tT0_T1_T2_jT3_P12ihipStream_tbPNSt15iterator_traitsISL_E10value_typeEPNSR_ISM_E10value_typeEPSN_NS1_7vsmem_tEENKUlT_SL_SM_SN_E_clIS8_S8_S9_S9_EESK_S10_SL_SM_SN_EUlS10_E0_NS1_11comp_targetILNS1_3genE2ELNS1_11target_archE906ELNS1_3gpuE6ELNS1_3repE0EEENS1_38merge_mergepath_config_static_selectorELNS0_4arch9wavefront6targetE0EEEvSM_
                                        ; -- End function
	.section	.AMDGPU.csdata,"",@progbits
; Kernel info:
; codeLenInByte = 0
; NumSgprs: 0
; NumVgprs: 0
; ScratchSize: 0
; MemoryBound: 0
; FloatMode: 240
; IeeeMode: 1
; LDSByteSize: 0 bytes/workgroup (compile time only)
; SGPRBlocks: 0
; VGPRBlocks: 0
; NumSGPRsForWavesPerEU: 1
; NumVGPRsForWavesPerEU: 1
; Occupancy: 16
; WaveLimiterHint : 0
; COMPUTE_PGM_RSRC2:SCRATCH_EN: 0
; COMPUTE_PGM_RSRC2:USER_SGPR: 15
; COMPUTE_PGM_RSRC2:TRAP_HANDLER: 0
; COMPUTE_PGM_RSRC2:TGID_X_EN: 1
; COMPUTE_PGM_RSRC2:TGID_Y_EN: 0
; COMPUTE_PGM_RSRC2:TGID_Z_EN: 0
; COMPUTE_PGM_RSRC2:TIDIG_COMP_CNT: 0
	.section	.text._ZN7rocprim17ROCPRIM_400000_NS6detail17trampoline_kernelINS0_14default_configENS1_38merge_sort_block_merge_config_selectorIlNS0_10empty_typeEEEZZNS1_27merge_sort_block_merge_implIS3_PlPS5_mZN2at6native12_GLOBAL__N_124unique_dim_cuda_templateIjEESt5tupleIJNSA_6TensorESF_SF_EERKSF_lbbbEUlllE_EE10hipError_tT0_T1_T2_jT3_P12ihipStream_tbPNSt15iterator_traitsISL_E10value_typeEPNSR_ISM_E10value_typeEPSN_NS1_7vsmem_tEENKUlT_SL_SM_SN_E_clIS8_S8_S9_S9_EESK_S10_SL_SM_SN_EUlS10_E0_NS1_11comp_targetILNS1_3genE9ELNS1_11target_archE1100ELNS1_3gpuE3ELNS1_3repE0EEENS1_38merge_mergepath_config_static_selectorELNS0_4arch9wavefront6targetE0EEEvSM_,"axG",@progbits,_ZN7rocprim17ROCPRIM_400000_NS6detail17trampoline_kernelINS0_14default_configENS1_38merge_sort_block_merge_config_selectorIlNS0_10empty_typeEEEZZNS1_27merge_sort_block_merge_implIS3_PlPS5_mZN2at6native12_GLOBAL__N_124unique_dim_cuda_templateIjEESt5tupleIJNSA_6TensorESF_SF_EERKSF_lbbbEUlllE_EE10hipError_tT0_T1_T2_jT3_P12ihipStream_tbPNSt15iterator_traitsISL_E10value_typeEPNSR_ISM_E10value_typeEPSN_NS1_7vsmem_tEENKUlT_SL_SM_SN_E_clIS8_S8_S9_S9_EESK_S10_SL_SM_SN_EUlS10_E0_NS1_11comp_targetILNS1_3genE9ELNS1_11target_archE1100ELNS1_3gpuE3ELNS1_3repE0EEENS1_38merge_mergepath_config_static_selectorELNS0_4arch9wavefront6targetE0EEEvSM_,comdat
	.globl	_ZN7rocprim17ROCPRIM_400000_NS6detail17trampoline_kernelINS0_14default_configENS1_38merge_sort_block_merge_config_selectorIlNS0_10empty_typeEEEZZNS1_27merge_sort_block_merge_implIS3_PlPS5_mZN2at6native12_GLOBAL__N_124unique_dim_cuda_templateIjEESt5tupleIJNSA_6TensorESF_SF_EERKSF_lbbbEUlllE_EE10hipError_tT0_T1_T2_jT3_P12ihipStream_tbPNSt15iterator_traitsISL_E10value_typeEPNSR_ISM_E10value_typeEPSN_NS1_7vsmem_tEENKUlT_SL_SM_SN_E_clIS8_S8_S9_S9_EESK_S10_SL_SM_SN_EUlS10_E0_NS1_11comp_targetILNS1_3genE9ELNS1_11target_archE1100ELNS1_3gpuE3ELNS1_3repE0EEENS1_38merge_mergepath_config_static_selectorELNS0_4arch9wavefront6targetE0EEEvSM_ ; -- Begin function _ZN7rocprim17ROCPRIM_400000_NS6detail17trampoline_kernelINS0_14default_configENS1_38merge_sort_block_merge_config_selectorIlNS0_10empty_typeEEEZZNS1_27merge_sort_block_merge_implIS3_PlPS5_mZN2at6native12_GLOBAL__N_124unique_dim_cuda_templateIjEESt5tupleIJNSA_6TensorESF_SF_EERKSF_lbbbEUlllE_EE10hipError_tT0_T1_T2_jT3_P12ihipStream_tbPNSt15iterator_traitsISL_E10value_typeEPNSR_ISM_E10value_typeEPSN_NS1_7vsmem_tEENKUlT_SL_SM_SN_E_clIS8_S8_S9_S9_EESK_S10_SL_SM_SN_EUlS10_E0_NS1_11comp_targetILNS1_3genE9ELNS1_11target_archE1100ELNS1_3gpuE3ELNS1_3repE0EEENS1_38merge_mergepath_config_static_selectorELNS0_4arch9wavefront6targetE0EEEvSM_
	.p2align	8
	.type	_ZN7rocprim17ROCPRIM_400000_NS6detail17trampoline_kernelINS0_14default_configENS1_38merge_sort_block_merge_config_selectorIlNS0_10empty_typeEEEZZNS1_27merge_sort_block_merge_implIS3_PlPS5_mZN2at6native12_GLOBAL__N_124unique_dim_cuda_templateIjEESt5tupleIJNSA_6TensorESF_SF_EERKSF_lbbbEUlllE_EE10hipError_tT0_T1_T2_jT3_P12ihipStream_tbPNSt15iterator_traitsISL_E10value_typeEPNSR_ISM_E10value_typeEPSN_NS1_7vsmem_tEENKUlT_SL_SM_SN_E_clIS8_S8_S9_S9_EESK_S10_SL_SM_SN_EUlS10_E0_NS1_11comp_targetILNS1_3genE9ELNS1_11target_archE1100ELNS1_3gpuE3ELNS1_3repE0EEENS1_38merge_mergepath_config_static_selectorELNS0_4arch9wavefront6targetE0EEEvSM_,@function
_ZN7rocprim17ROCPRIM_400000_NS6detail17trampoline_kernelINS0_14default_configENS1_38merge_sort_block_merge_config_selectorIlNS0_10empty_typeEEEZZNS1_27merge_sort_block_merge_implIS3_PlPS5_mZN2at6native12_GLOBAL__N_124unique_dim_cuda_templateIjEESt5tupleIJNSA_6TensorESF_SF_EERKSF_lbbbEUlllE_EE10hipError_tT0_T1_T2_jT3_P12ihipStream_tbPNSt15iterator_traitsISL_E10value_typeEPNSR_ISM_E10value_typeEPSN_NS1_7vsmem_tEENKUlT_SL_SM_SN_E_clIS8_S8_S9_S9_EESK_S10_SL_SM_SN_EUlS10_E0_NS1_11comp_targetILNS1_3genE9ELNS1_11target_archE1100ELNS1_3gpuE3ELNS1_3repE0EEENS1_38merge_mergepath_config_static_selectorELNS0_4arch9wavefront6targetE0EEEvSM_: ; @_ZN7rocprim17ROCPRIM_400000_NS6detail17trampoline_kernelINS0_14default_configENS1_38merge_sort_block_merge_config_selectorIlNS0_10empty_typeEEEZZNS1_27merge_sort_block_merge_implIS3_PlPS5_mZN2at6native12_GLOBAL__N_124unique_dim_cuda_templateIjEESt5tupleIJNSA_6TensorESF_SF_EERKSF_lbbbEUlllE_EE10hipError_tT0_T1_T2_jT3_P12ihipStream_tbPNSt15iterator_traitsISL_E10value_typeEPNSR_ISM_E10value_typeEPSN_NS1_7vsmem_tEENKUlT_SL_SM_SN_E_clIS8_S8_S9_S9_EESK_S10_SL_SM_SN_EUlS10_E0_NS1_11comp_targetILNS1_3genE9ELNS1_11target_archE1100ELNS1_3gpuE3ELNS1_3repE0EEENS1_38merge_mergepath_config_static_selectorELNS0_4arch9wavefront6targetE0EEEvSM_
; %bb.0:
	s_clause 0x1
	s_load_b64 s[24:25], s[0:1], 0x58
	s_load_b32 s3, s[0:1], 0x38
	s_add_u32 s22, s0, 0x58
	s_addc_u32 s23, s1, 0
	s_waitcnt lgkmcnt(0)
	s_mul_i32 s2, s25, s15
	s_delay_alu instid0(SALU_CYCLE_1) | instskip(NEXT) | instid1(SALU_CYCLE_1)
	s_add_i32 s2, s2, s14
	s_mul_i32 s2, s2, s24
	s_delay_alu instid0(SALU_CYCLE_1) | instskip(NEXT) | instid1(SALU_CYCLE_1)
	s_add_i32 s2, s2, s13
	s_cmp_ge_u32 s2, s3
	s_cbranch_scc1 .LBB1504_53
; %bb.1:
	s_clause 0x1
	s_load_b128 s[4:7], s[0:1], 0x28
	s_load_b64 s[8:9], s[0:1], 0x50
	s_mov_b32 s3, 0
	s_delay_alu instid0(SALU_CYCLE_1)
	s_lshl_b64 s[10:11], s[2:3], 3
	s_waitcnt lgkmcnt(0)
	v_alignbit_b32 v1, s7, s6, 9
	s_add_u32 s8, s8, s10
	s_addc_u32 s9, s9, s11
	s_lshl_b64 s[20:21], s[2:3], 10
	s_load_b128 s[16:19], s[8:9], 0x0
	v_readfirstlane_b32 s10, v1
	s_mov_b32 s9, s3
	s_delay_alu instid0(VALU_DEP_1) | instskip(NEXT) | instid1(SALU_CYCLE_1)
	s_and_b32 s8, s10, -2
	s_sub_i32 s25, 0, s8
	s_delay_alu instid0(SALU_CYCLE_1) | instskip(NEXT) | instid1(SALU_CYCLE_1)
	s_and_b32 s8, s2, s25
	s_lshl_b64 s[14:15], s[8:9], 10
	s_delay_alu instid0(SALU_CYCLE_1)
	s_sub_u32 s12, s20, s14
	s_subb_u32 s30, s21, s15
	s_lshl_b64 s[26:27], s[8:9], 11
	s_load_b128 s[8:11], s[0:1], 0x8
	s_add_u32 s28, s26, s6
	s_addc_u32 s29, s27, s7
	s_add_u32 s12, s28, s12
	s_addc_u32 s26, s29, s30
	s_waitcnt lgkmcnt(0)
	s_sub_u32 s27, s12, s18
	s_subb_u32 s19, s26, s19
	s_add_u32 s30, s27, 0x400
	s_addc_u32 s31, s19, 0
	s_delay_alu instid0(SALU_CYCLE_1) | instskip(NEXT) | instid1(VALU_DEP_1)
	v_cmp_lt_u64_e64 s19, s[4:5], s[30:31]
	s_and_b32 s19, s19, exec_lo
	s_cselect_b32 s27, s4, s30
	s_or_b32 s19, s2, s25
	s_mov_b32 s25, -1
	s_cmp_lg_u32 s19, -1
	s_cbranch_scc1 .LBB1504_3
; %bb.2:
	s_sub_u32 s14, s28, s14
	s_subb_u32 s15, s29, s15
	s_delay_alu instid0(SALU_CYCLE_1) | instskip(NEXT) | instid1(VALU_DEP_1)
	v_cmp_lt_u64_e64 s18, s[4:5], s[14:15]
	s_and_b32 s18, s18, exec_lo
	s_cselect_b32 s18, s4, s14
	s_add_u32 s6, s14, s6
	s_addc_u32 s7, s15, s7
	s_delay_alu instid0(SALU_CYCLE_1) | instskip(NEXT) | instid1(VALU_DEP_1)
	v_cmp_lt_u64_e64 s7, s[4:5], s[6:7]
	s_and_b32 s7, s7, exec_lo
	s_cselect_b32 s27, s4, s6
.LBB1504_3:
	s_lshr_b64 s[28:29], s[4:5], 10
	v_mov_b32_e32 v2, 0
	s_cmp_lg_u64 s[28:29], s[2:3]
	v_lshlrev_b32_e32 v11, 3, v0
	s_cselect_b32 s19, -1, 0
	s_sub_u32 s6, s12, s16
	s_subb_u32 s7, s26, s17
	global_load_b32 v1, v2, s[22:23] offset:14
	v_cmp_lt_u64_e64 s12, s[4:5], s[6:7]
	s_delay_alu instid0(VALU_DEP_1)
	s_and_b32 s12, s12, exec_lo
	s_cselect_b32 s30, s4, s6
	s_cselect_b32 s31, s5, s7
	s_lshl_b64 s[14:15], s[16:17], 3
	s_sub_i32 s5, s18, s16
	s_sub_i32 s6, s27, s30
	s_add_u32 s12, s8, s14
	s_addc_u32 s14, s9, s15
	s_lshl_b64 s[16:17], s[30:31], 3
	s_delay_alu instid0(SALU_CYCLE_1) | instskip(SKIP_3) | instid1(SALU_CYCLE_1)
	s_add_u32 s7, s8, s16
	s_addc_u32 s9, s9, s17
	s_cmp_lt_u32 s13, s24
	s_cselect_b32 s8, 12, 18
	s_add_u32 s16, s22, s8
	s_addc_u32 s17, s23, 0
	s_cmp_eq_u64 s[28:29], s[2:3]
	global_load_u16 v3, v2, s[16:17]
	s_waitcnt vmcnt(1)
	v_lshrrev_b32_e32 v4, 16, v1
	v_and_b32_e32 v1, 0xffff, v1
	s_delay_alu instid0(VALU_DEP_1) | instskip(SKIP_1) | instid1(VALU_DEP_1)
	v_mul_lo_u32 v1, v1, v4
	s_waitcnt vmcnt(0)
	v_mul_lo_u32 v7, v1, v3
	s_cbranch_scc1 .LBB1504_5
; %bb.4:
	v_subrev_nc_u32_e32 v1, s5, v0
	v_add_co_u32 v8, s2, s12, v11
	s_delay_alu instid0(VALU_DEP_1) | instskip(NEXT) | instid1(VALU_DEP_3)
	v_add_co_ci_u32_e64 v9, null, s14, 0, s2
	v_lshlrev_b64 v[3:4], 3, v[1:2]
	v_add_nc_u32_e32 v1, v7, v0
	s_add_i32 s8, s5, s6
	s_delay_alu instid0(VALU_DEP_1) | instskip(NEXT) | instid1(VALU_DEP_3)
	v_lshlrev_b64 v[5:6], 3, v[1:2]
	v_add_co_u32 v3, s2, s7, v3
	s_delay_alu instid0(VALU_DEP_1) | instskip(SKIP_1) | instid1(VALU_DEP_4)
	v_add_co_ci_u32_e64 v4, s2, s9, v4, s2
	v_cmp_gt_u32_e64 s2, s5, v0
	v_add_co_u32 v5, vcc_lo, s12, v5
	v_add_co_ci_u32_e32 v6, vcc_lo, s14, v6, vcc_lo
	v_cmp_gt_u32_e32 vcc_lo, s5, v1
	v_subrev_nc_u32_e32 v1, s5, v1
	s_delay_alu instid0(VALU_DEP_1) | instskip(NEXT) | instid1(VALU_DEP_1)
	v_lshlrev_b64 v[1:2], 3, v[1:2]
	v_add_co_u32 v10, s3, s7, v1
	s_delay_alu instid0(VALU_DEP_1) | instskip(SKIP_2) | instid1(VALU_DEP_3)
	v_add_co_ci_u32_e64 v12, s3, s9, v2, s3
	v_cndmask_b32_e64 v2, v4, v9, s2
	v_cndmask_b32_e64 v1, v3, v8, s2
	v_dual_cndmask_b32 v3, v10, v5 :: v_dual_cndmask_b32 v4, v12, v6
	global_load_b64 v[1:2], v[1:2], off
	global_load_b64 v[5:6], v[3:4], off
	s_cbranch_execz .LBB1504_6
	s_branch .LBB1504_11
.LBB1504_5:
                                        ; implicit-def: $vgpr5_vgpr6
                                        ; implicit-def: $sgpr8
                                        ; implicit-def: $vgpr1_vgpr2_vgpr3_vgpr4
	s_and_not1_b32 vcc_lo, exec_lo, s25
	s_cbranch_vccnz .LBB1504_11
.LBB1504_6:
	s_add_i32 s8, s5, s6
	s_mov_b32 s2, exec_lo
                                        ; implicit-def: $vgpr1_vgpr2
	v_cmpx_gt_u32_e64 s8, v0
	s_cbranch_execz .LBB1504_8
; %bb.7:
	s_waitcnt vmcnt(1)
	v_subrev_nc_u32_e32 v1, s5, v0
	v_add_co_u32 v3, s3, s12, v11
	v_mov_b32_e32 v2, 0
	v_add_co_ci_u32_e64 v4, null, s14, 0, s3
	s_delay_alu instid0(VALU_DEP_2) | instskip(NEXT) | instid1(VALU_DEP_1)
	v_lshlrev_b64 v[1:2], 3, v[1:2]
	v_add_co_u32 v1, vcc_lo, s7, v1
	s_delay_alu instid0(VALU_DEP_2) | instskip(SKIP_1) | instid1(VALU_DEP_2)
	v_add_co_ci_u32_e32 v2, vcc_lo, s9, v2, vcc_lo
	v_cmp_gt_u32_e32 vcc_lo, s5, v0
	v_dual_cndmask_b32 v1, v1, v3 :: v_dual_cndmask_b32 v2, v2, v4
	global_load_b64 v[1:2], v[1:2], off
.LBB1504_8:
	s_or_b32 exec_lo, exec_lo, s2
	v_add_nc_u32_e32 v7, v7, v0
	s_mov_b32 s3, exec_lo
	s_delay_alu instid0(VALU_DEP_1)
	v_cmpx_gt_u32_e64 s8, v7
                                        ; implicit-def: $vgpr3_vgpr4_vgpr5_vgpr6
	s_cbranch_execz .LBB1504_10
; %bb.9:
	v_mov_b32_e32 v8, 0
	s_delay_alu instid0(VALU_DEP_1) | instskip(SKIP_1) | instid1(VALU_DEP_1)
	v_lshlrev_b64 v[3:4], 3, v[7:8]
	s_waitcnt vmcnt(0)
	v_add_co_u32 v5, vcc_lo, s12, v3
	s_delay_alu instid0(VALU_DEP_2) | instskip(SKIP_2) | instid1(VALU_DEP_1)
	v_add_co_ci_u32_e32 v6, vcc_lo, s14, v4, vcc_lo
	v_cmp_gt_u32_e32 vcc_lo, s5, v7
	v_subrev_nc_u32_e32 v7, s5, v7
	v_lshlrev_b64 v[3:4], 3, v[7:8]
	s_delay_alu instid0(VALU_DEP_1) | instskip(NEXT) | instid1(VALU_DEP_1)
	v_add_co_u32 v3, s2, s7, v3
	v_add_co_ci_u32_e64 v4, s2, s9, v4, s2
	s_delay_alu instid0(VALU_DEP_1)
	v_dual_cndmask_b32 v3, v3, v5 :: v_dual_cndmask_b32 v4, v4, v6
	global_load_b64 v[5:6], v[3:4], off
.LBB1504_10:
	s_or_b32 exec_lo, exec_lo, s3
.LBB1504_11:
	s_load_b128 s[12:15], s[0:1], 0x40
	v_lshlrev_b32_e32 v12, 1, v0
	s_mov_b32 s1, exec_lo
	s_waitcnt vmcnt(0)
	ds_store_2addr_stride64_b64 v11, v[1:2], v[5:6] offset1:8
	s_waitcnt lgkmcnt(0)
	s_barrier
	v_min_u32_e32 v9, s8, v12
	buffer_gl0_inv
	v_sub_nc_u32_e64 v13, v9, s6 clamp
	v_min_u32_e32 v10, s5, v9
	s_delay_alu instid0(VALU_DEP_1)
	v_cmpx_lt_u32_e64 v13, v10
	s_cbranch_execz .LBB1504_21
; %bb.12:
	v_lshlrev_b32_e32 v3, 3, v9
	v_cmp_gt_i64_e64 s9, s[12:13], 0
	s_lshl_b64 s[2:3], s[12:13], 2
	s_mov_b32 s16, 0
	s_delay_alu instid0(VALU_DEP_2)
	v_lshl_add_u32 v14, s5, 3, v3
	s_branch .LBB1504_15
.LBB1504_13:                            ;   in Loop: Header=BB1504_15 Depth=1
	s_set_inst_prefetch_distance 0x2
	s_or_b32 exec_lo, exec_lo, s17
.LBB1504_14:                            ;   in Loop: Header=BB1504_15 Depth=1
	s_delay_alu instid0(VALU_DEP_1) | instskip(SKIP_1) | instid1(VALU_DEP_2)
	v_add_nc_u32_e32 v3, 1, v15
	v_cndmask_b32_e64 v10, v10, v15, s18
	v_cndmask_b32_e64 v13, v3, v13, s18
	s_delay_alu instid0(VALU_DEP_1) | instskip(SKIP_1) | instid1(SALU_CYCLE_1)
	v_cmp_ge_u32_e32 vcc_lo, v13, v10
	s_or_b32 s16, vcc_lo, s16
	s_and_not1_b32 exec_lo, exec_lo, s16
	s_cbranch_execz .LBB1504_20
.LBB1504_15:                            ; =>This Loop Header: Depth=1
                                        ;     Child Loop BB1504_18 Depth 2
	v_add_nc_u32_e32 v3, v10, v13
	s_and_not1_b32 vcc_lo, exec_lo, s9
	s_mov_b32 s18, 0
	s_delay_alu instid0(VALU_DEP_1)
	v_lshrrev_b32_e32 v15, 1, v3
	s_cbranch_vccnz .LBB1504_14
; %bb.16:                               ;   in Loop: Header=BB1504_15 Depth=1
	s_delay_alu instid0(VALU_DEP_1) | instskip(SKIP_3) | instid1(VALU_DEP_2)
	v_not_b32_e32 v3, v15
	v_lshlrev_b32_e32 v4, 3, v15
	s_mov_b32 s17, 0
	s_mov_b64 s[6:7], s[12:13]
                                        ; implicit-def: $sgpr18
                                        ; implicit-def: $sgpr22
                                        ; implicit-def: $sgpr23
                                        ; implicit-def: $sgpr24
                                        ; implicit-def: $sgpr25
	v_lshl_add_u32 v3, v3, 3, v14
	ds_load_b64 v[7:8], v3
	ds_load_b64 v[16:17], v4
	s_waitcnt lgkmcnt(1)
	v_mul_lo_u32 v18, s2, v8
	v_mul_lo_u32 v19, s3, v7
	v_mad_u64_u32 v[3:4], null, s2, v7, s[14:15]
	s_waitcnt lgkmcnt(0)
	v_mul_lo_u32 v17, s2, v17
	v_mul_lo_u32 v20, s3, v16
	v_mad_u64_u32 v[7:8], null, s2, v16, s[14:15]
	s_delay_alu instid0(VALU_DEP_4) | instskip(NEXT) | instid1(VALU_DEP_2)
	v_add3_u32 v4, v19, v4, v18
	v_add3_u32 v8, v20, v8, v17
	s_set_inst_prefetch_distance 0x1
	s_branch .LBB1504_18
	.p2align	6
.LBB1504_17:                            ;   in Loop: Header=BB1504_18 Depth=2
	s_or_b32 exec_lo, exec_lo, s0
	s_delay_alu instid0(SALU_CYCLE_1) | instskip(NEXT) | instid1(SALU_CYCLE_1)
	s_and_b32 s0, exec_lo, s22
	s_or_b32 s17, s0, s17
	s_and_not1_b32 s0, s25, exec_lo
	s_and_b32 s25, s23, exec_lo
	s_and_not1_b32 s18, s18, exec_lo
	s_and_b32 s26, s24, exec_lo
	s_or_b32 s25, s0, s25
	s_or_b32 s18, s18, s26
	s_and_not1_b32 exec_lo, exec_lo, s17
	s_cbranch_execz .LBB1504_13
.LBB1504_18:                            ;   Parent Loop BB1504_15 Depth=1
                                        ; =>  This Inner Loop Header: Depth=2
	global_load_b32 v16, v[3:4], off
	global_load_b32 v17, v[7:8], off
	s_and_not1_b32 s24, s24, exec_lo
	s_and_not1_b32 s23, s23, exec_lo
	s_or_b32 s22, s22, exec_lo
	s_waitcnt vmcnt(0)
	v_cmp_le_u32_e32 vcc_lo, v16, v17
	v_cmp_lt_u32_e64 s0, v16, v17
	s_and_b32 s26, vcc_lo, s25
	s_delay_alu instid0(VALU_DEP_1) | instid1(SALU_CYCLE_1)
	s_or_b32 s26, s0, s26
	s_delay_alu instid0(SALU_CYCLE_1) | instskip(NEXT) | instid1(SALU_CYCLE_1)
	s_and_b32 s0, s26, exec_lo
	s_or_b32 s24, s24, s0
	s_mov_b32 s0, exec_lo
	v_cmpx_eq_u32_e64 v16, v17
	s_cbranch_execz .LBB1504_17
; %bb.19:                               ;   in Loop: Header=BB1504_18 Depth=2
	s_add_u32 s6, s6, -1
	s_addc_u32 s7, s7, -1
	v_add_co_u32 v3, vcc_lo, v3, 4
	v_add_co_ci_u32_e32 v4, vcc_lo, 0, v4, vcc_lo
	s_cmp_eq_u64 s[6:7], 0
	v_add_co_u32 v7, vcc_lo, v7, 4
	s_cselect_b32 s25, -1, 0
	v_add_co_ci_u32_e32 v8, vcc_lo, 0, v8, vcc_lo
	s_and_not1_b32 s23, s23, exec_lo
	s_and_b32 s26, s26, exec_lo
	s_and_not1_b32 s22, s22, exec_lo
	s_and_b32 s25, s25, exec_lo
	s_and_not1_b32 s24, s24, exec_lo
	s_or_b32 s23, s23, s26
	s_or_b32 s22, s22, s25
                                        ; implicit-def: $sgpr25
	s_branch .LBB1504_17
.LBB1504_20:
	s_or_b32 exec_lo, exec_lo, s16
.LBB1504_21:
	s_delay_alu instid0(SALU_CYCLE_1) | instskip(SKIP_2) | instid1(VALU_DEP_2)
	s_or_b32 exec_lo, exec_lo, s1
	v_sub_nc_u32_e32 v3, v9, v13
	v_cmp_ge_u32_e32 vcc_lo, s5, v13
	v_add_nc_u32_e32 v14, s5, v3
	s_delay_alu instid0(VALU_DEP_1) | instskip(NEXT) | instid1(VALU_DEP_1)
	v_cmp_ge_u32_e64 s0, s8, v14
	s_or_b32 s0, vcc_lo, s0
	s_delay_alu instid0(SALU_CYCLE_1)
	s_and_saveexec_b32 s1, s0
	s_cbranch_execz .LBB1504_45
; %bb.22:
	v_cmp_le_u32_e32 vcc_lo, s5, v13
	s_mov_b32 s2, exec_lo
                                        ; implicit-def: $vgpr3_vgpr4
	v_cmpx_gt_u32_e64 s5, v13
	s_cbranch_execz .LBB1504_24
; %bb.23:
	v_lshlrev_b32_e32 v1, 3, v13
	ds_load_b64 v[3:4], v1
.LBB1504_24:
	s_or_b32 exec_lo, exec_lo, s2
	v_cmp_le_u32_e64 s6, s8, v14
	s_mov_b32 s2, exec_lo
                                        ; implicit-def: $vgpr7_vgpr8
	v_cmpx_gt_u32_e64 s8, v14
	s_cbranch_execz .LBB1504_26
; %bb.25:
	v_lshlrev_b32_e32 v1, 3, v14
	ds_load_b64 v[7:8], v1
.LBB1504_26:
	s_or_b32 exec_lo, exec_lo, s2
	v_cmp_gt_i64_e64 s7, s[12:13], 0
	s_or_b32 s2, vcc_lo, s6
	s_mov_b32 s0, -1
	s_xor_b32 s2, s2, -1
	s_delay_alu instid0(SALU_CYCLE_1)
	s_and_saveexec_b32 s9, s2
	s_cbranch_execz .LBB1504_34
; %bb.27:
	s_and_not1_b32 vcc_lo, exec_lo, s7
	s_cbranch_vccnz .LBB1504_33
; %bb.28:
	s_waitcnt lgkmcnt(0)
	v_mul_lo_u32 v9, v8, s12
	v_mul_lo_u32 v10, v7, s13
	v_mad_u64_u32 v[1:2], null, v7, s12, 0
	v_mul_lo_u32 v15, v4, s12
	v_mul_lo_u32 v16, v3, s13
	v_mad_u64_u32 v[5:6], null, v3, s12, 0
	s_mov_b32 s16, 0
	s_mov_b64 s[2:3], s[12:13]
	s_delay_alu instid0(VALU_DEP_4) | instskip(NEXT) | instid1(VALU_DEP_2)
	v_add3_u32 v2, v2, v10, v9
                                        ; implicit-def: $sgpr17
                                        ; implicit-def: $sgpr18
                                        ; implicit-def: $sgpr22
                                        ; implicit-def: $sgpr23
                                        ; implicit-def: $sgpr24
	v_add3_u32 v6, v6, v16, v15
	s_delay_alu instid0(VALU_DEP_2) | instskip(NEXT) | instid1(VALU_DEP_2)
	v_lshlrev_b64 v[1:2], 2, v[1:2]
	v_lshlrev_b64 v[5:6], 2, v[5:6]
	s_delay_alu instid0(VALU_DEP_2) | instskip(NEXT) | instid1(VALU_DEP_3)
	v_add_co_u32 v1, vcc_lo, s14, v1
	v_add_co_ci_u32_e32 v2, vcc_lo, s15, v2, vcc_lo
	s_delay_alu instid0(VALU_DEP_3) | instskip(NEXT) | instid1(VALU_DEP_4)
	v_add_co_u32 v5, vcc_lo, s14, v5
	v_add_co_ci_u32_e32 v6, vcc_lo, s15, v6, vcc_lo
	s_set_inst_prefetch_distance 0x1
	s_branch .LBB1504_30
	.p2align	6
.LBB1504_29:                            ;   in Loop: Header=BB1504_30 Depth=1
	s_or_b32 exec_lo, exec_lo, s0
	s_delay_alu instid0(SALU_CYCLE_1) | instskip(NEXT) | instid1(SALU_CYCLE_1)
	s_and_b32 s0, exec_lo, s18
	s_or_b32 s16, s0, s16
	s_and_not1_b32 s0, s24, exec_lo
	s_and_b32 s24, s23, exec_lo
	s_and_not1_b32 s17, s17, exec_lo
	s_and_b32 s25, s22, exec_lo
	s_or_b32 s24, s0, s24
	s_or_b32 s17, s17, s25
	s_and_not1_b32 exec_lo, exec_lo, s16
	s_cbranch_execz .LBB1504_32
.LBB1504_30:                            ; =>This Inner Loop Header: Depth=1
	global_load_b32 v9, v[1:2], off
	global_load_b32 v10, v[5:6], off
	s_and_not1_b32 s22, s22, exec_lo
	s_and_not1_b32 s23, s23, exec_lo
	s_or_b32 s18, s18, exec_lo
	s_waitcnt vmcnt(0)
	v_cmp_le_u32_e32 vcc_lo, v9, v10
	v_cmp_lt_u32_e64 s0, v9, v10
	s_and_b32 s25, vcc_lo, s24
	s_delay_alu instid0(VALU_DEP_1) | instid1(SALU_CYCLE_1)
	s_or_b32 s25, s0, s25
	s_delay_alu instid0(SALU_CYCLE_1) | instskip(NEXT) | instid1(SALU_CYCLE_1)
	s_and_b32 s0, s25, exec_lo
	s_or_b32 s22, s22, s0
	s_mov_b32 s0, exec_lo
	v_cmpx_eq_u32_e64 v9, v10
	s_cbranch_execz .LBB1504_29
; %bb.31:                               ;   in Loop: Header=BB1504_30 Depth=1
	s_add_u32 s2, s2, -1
	s_addc_u32 s3, s3, -1
	v_add_co_u32 v1, vcc_lo, v1, 4
	s_cmp_eq_u64 s[2:3], 0
	v_add_co_ci_u32_e32 v2, vcc_lo, 0, v2, vcc_lo
	v_add_co_u32 v5, vcc_lo, v5, 4
	s_cselect_b32 s24, -1, 0
	v_add_co_ci_u32_e32 v6, vcc_lo, 0, v6, vcc_lo
	s_and_not1_b32 s23, s23, exec_lo
	s_and_b32 s25, s25, exec_lo
	s_and_not1_b32 s18, s18, exec_lo
	s_and_b32 s24, s24, exec_lo
	s_or_b32 s23, s23, s25
	s_and_not1_b32 s22, s22, exec_lo
	s_or_b32 s18, s18, s24
                                        ; implicit-def: $sgpr24
	s_branch .LBB1504_29
.LBB1504_32:
	s_set_inst_prefetch_distance 0x2
	s_or_b32 exec_lo, exec_lo, s16
	s_xor_b32 s0, s17, -1
.LBB1504_33:
	s_and_not1_b32 s2, s6, exec_lo
	s_and_b32 s0, s0, exec_lo
	s_delay_alu instid0(SALU_CYCLE_1)
	s_or_b32 s6, s2, s0
.LBB1504_34:
	s_or_b32 exec_lo, exec_lo, s9
	v_mov_b32_e32 v1, s5
	v_cndmask_b32_e64 v2, v14, v13, s6
	s_mov_b32 s2, exec_lo
	s_delay_alu instid0(VALU_DEP_2) | instskip(NEXT) | instid1(VALU_DEP_2)
	v_cndmask_b32_e64 v1, s8, v1, s6
	v_add_nc_u32_e32 v15, 1, v2
	s_waitcnt lgkmcnt(0)
	v_cndmask_b32_e64 v2, v8, v4, s6
	s_delay_alu instid0(VALU_DEP_3) | instskip(NEXT) | instid1(VALU_DEP_3)
	v_add_nc_u32_e32 v1, -1, v1
	v_cndmask_b32_e64 v14, v15, v14, s6
	s_delay_alu instid0(VALU_DEP_2) | instskip(NEXT) | instid1(VALU_DEP_1)
	v_min_u32_e32 v1, v15, v1
	v_lshlrev_b32_e32 v1, 3, v1
	ds_load_b64 v[9:10], v1
	v_cndmask_b32_e64 v1, v7, v3, s6
	s_waitcnt lgkmcnt(0)
	v_cndmask_b32_e64 v6, v4, v10, s6
	v_cndmask_b32_e64 v5, v3, v9, s6
	v_cmpx_gt_u32_e64 s8, v14
	s_cbranch_execz .LBB1504_44
; %bb.35:
	v_cndmask_b32_e64 v13, v13, v15, s6
	v_cndmask_b32_e64 v4, v10, v8, s6
	;; [unrolled: 1-line block ×3, first 2 shown]
	s_mov_b32 s3, exec_lo
	s_delay_alu instid0(VALU_DEP_3)
	v_cmpx_gt_u32_e64 s5, v13
	s_cbranch_execz .LBB1504_43
; %bb.36:
	s_and_not1_b32 vcc_lo, exec_lo, s7
	s_cbranch_vccnz .LBB1504_42
; %bb.37:
	v_mul_lo_u32 v13, v4, s12
	v_mul_lo_u32 v14, v3, s13
	v_mad_u64_u32 v[7:8], null, v3, s12, 0
	v_mul_lo_u32 v15, v6, s12
	v_mul_lo_u32 v16, v5, s13
	v_mad_u64_u32 v[9:10], null, v5, s12, 0
	s_mov_b32 s5, 0
                                        ; implicit-def: $sgpr6
                                        ; implicit-def: $sgpr7
                                        ; implicit-def: $sgpr8
                                        ; implicit-def: $sgpr9
	s_delay_alu instid0(VALU_DEP_4) | instskip(NEXT) | instid1(VALU_DEP_2)
	v_add3_u32 v8, v8, v14, v13
	v_add3_u32 v10, v10, v16, v15
	s_delay_alu instid0(VALU_DEP_2) | instskip(NEXT) | instid1(VALU_DEP_2)
	v_lshlrev_b64 v[7:8], 2, v[7:8]
	v_lshlrev_b64 v[9:10], 2, v[9:10]
	s_delay_alu instid0(VALU_DEP_2) | instskip(NEXT) | instid1(VALU_DEP_3)
	v_add_co_u32 v7, vcc_lo, s14, v7
	v_add_co_ci_u32_e32 v8, vcc_lo, s15, v8, vcc_lo
	s_delay_alu instid0(VALU_DEP_3) | instskip(NEXT) | instid1(VALU_DEP_4)
	v_add_co_u32 v9, vcc_lo, s14, v9
	v_add_co_ci_u32_e32 v10, vcc_lo, s15, v10, vcc_lo
                                        ; implicit-def: $sgpr14
	s_set_inst_prefetch_distance 0x1
	s_branch .LBB1504_39
	.p2align	6
.LBB1504_38:                            ;   in Loop: Header=BB1504_39 Depth=1
	s_or_b32 exec_lo, exec_lo, s0
	s_delay_alu instid0(SALU_CYCLE_1) | instskip(NEXT) | instid1(SALU_CYCLE_1)
	s_and_b32 s0, exec_lo, s7
	s_or_b32 s5, s0, s5
	s_and_not1_b32 s0, s14, exec_lo
	s_and_b32 s14, s9, exec_lo
	s_and_not1_b32 s6, s6, exec_lo
	s_and_b32 s15, s8, exec_lo
	s_or_b32 s14, s0, s14
	s_or_b32 s6, s6, s15
	s_and_not1_b32 exec_lo, exec_lo, s5
	s_cbranch_execz .LBB1504_41
.LBB1504_39:                            ; =>This Inner Loop Header: Depth=1
	global_load_b32 v13, v[7:8], off
	global_load_b32 v14, v[9:10], off
	s_and_not1_b32 s8, s8, exec_lo
	s_and_not1_b32 s9, s9, exec_lo
	s_or_b32 s7, s7, exec_lo
	s_waitcnt vmcnt(0)
	v_cmp_le_u32_e32 vcc_lo, v13, v14
	v_cmp_lt_u32_e64 s0, v13, v14
	s_and_b32 s15, vcc_lo, s14
	s_delay_alu instid0(VALU_DEP_1) | instid1(SALU_CYCLE_1)
	s_or_b32 s15, s0, s15
	s_delay_alu instid0(SALU_CYCLE_1) | instskip(NEXT) | instid1(SALU_CYCLE_1)
	s_and_b32 s0, s15, exec_lo
	s_or_b32 s8, s8, s0
	s_mov_b32 s0, exec_lo
	v_cmpx_eq_u32_e64 v13, v14
	s_cbranch_execz .LBB1504_38
; %bb.40:                               ;   in Loop: Header=BB1504_39 Depth=1
	s_add_u32 s12, s12, -1
	s_addc_u32 s13, s13, -1
	v_add_co_u32 v7, vcc_lo, v7, 4
	s_cmp_eq_u64 s[12:13], 0
	v_add_co_ci_u32_e32 v8, vcc_lo, 0, v8, vcc_lo
	v_add_co_u32 v9, vcc_lo, v9, 4
	s_cselect_b32 s14, -1, 0
	v_add_co_ci_u32_e32 v10, vcc_lo, 0, v10, vcc_lo
	s_and_not1_b32 s9, s9, exec_lo
	s_and_b32 s15, s15, exec_lo
	s_and_not1_b32 s7, s7, exec_lo
	s_and_b32 s14, s14, exec_lo
	s_or_b32 s9, s9, s15
	s_and_not1_b32 s8, s8, exec_lo
	s_or_b32 s7, s7, s14
                                        ; implicit-def: $sgpr14
	s_branch .LBB1504_38
.LBB1504_41:
	s_set_inst_prefetch_distance 0x2
	s_or_b32 exec_lo, exec_lo, s5
	v_cndmask_b32_e64 v6, v6, v4, s6
	v_cndmask_b32_e64 v5, v5, v3, s6
.LBB1504_42:
	s_delay_alu instid0(VALU_DEP_1)
	v_dual_mov_b32 v3, v5 :: v_dual_mov_b32 v4, v6
.LBB1504_43:
	s_or_b32 exec_lo, exec_lo, s3
	s_delay_alu instid0(VALU_DEP_1)
	v_dual_mov_b32 v6, v4 :: v_dual_mov_b32 v5, v3
.LBB1504_44:
	s_or_b32 exec_lo, exec_lo, s2
.LBB1504_45:
	s_delay_alu instid0(SALU_CYCLE_1) | instskip(SKIP_4) | instid1(VALU_DEP_3)
	s_or_b32 exec_lo, exec_lo, s1
	v_lshrrev_b32_e32 v3, 1, v0
	v_or_b32_e32 v7, 0x200, v0
	v_lshrrev_b32_e32 v4, 2, v0
	s_lshl_b64 s[0:1], s[20:21], 3
	v_and_b32_e32 v3, 0xf8, v3
	s_delay_alu instid0(VALU_DEP_3) | instskip(NEXT) | instid1(VALU_DEP_3)
	v_lshrrev_b32_e32 v8, 2, v7
	v_and_b32_e32 v4, 0x78, v4
	s_add_u32 s0, s10, s0
	s_barrier
	v_lshl_add_u32 v3, v12, 3, v3
	v_and_b32_e32 v8, 0xf8, v8
	buffer_gl0_inv
	s_barrier
	buffer_gl0_inv
	s_addc_u32 s1, s11, s1
	ds_store_2addr_b64 v3, v[1:2], v[5:6] offset1:1
	v_add_co_u32 v1, s0, s0, v11
	v_add_nc_u32_e32 v5, v11, v4
	v_add_nc_u32_e32 v6, v11, v8
	v_add_co_ci_u32_e64 v2, null, s1, 0, s0
	s_and_b32 vcc_lo, exec_lo, s19
	s_mov_b32 s0, 0
	s_waitcnt lgkmcnt(0)
	s_cbranch_vccz .LBB1504_47
; %bb.46:
	s_barrier
	buffer_gl0_inv
	ds_load_b64 v[8:9], v5
	ds_load_b64 v[3:4], v6 offset:4096
	s_mov_b32 s0, -1
	s_waitcnt lgkmcnt(1)
	global_store_b64 v[1:2], v[8:9], off
	s_cbranch_execz .LBB1504_48
	s_branch .LBB1504_51
.LBB1504_47:
                                        ; implicit-def: $vgpr3_vgpr4
.LBB1504_48:
	s_waitcnt lgkmcnt(0)
	s_waitcnt_vscnt null, 0x0
	s_barrier
	buffer_gl0_inv
	ds_load_b64 v[3:4], v6 offset:4096
	s_sub_i32 s0, s4, s20
	s_mov_b32 s1, exec_lo
	v_cmpx_gt_u32_e64 s0, v0
	s_cbranch_execz .LBB1504_50
; %bb.49:
	ds_load_b64 v[5:6], v5
	s_waitcnt lgkmcnt(0)
	global_store_b64 v[1:2], v[5:6], off
.LBB1504_50:
	s_or_b32 exec_lo, exec_lo, s1
	v_cmp_gt_u32_e64 s0, s0, v7
.LBB1504_51:
	s_delay_alu instid0(VALU_DEP_1)
	s_and_saveexec_b32 s1, s0
	s_cbranch_execz .LBB1504_53
; %bb.52:
	v_add_co_u32 v0, vcc_lo, 0x1000, v1
	v_add_co_ci_u32_e32 v1, vcc_lo, 0, v2, vcc_lo
	s_waitcnt lgkmcnt(0)
	global_store_b64 v[0:1], v[3:4], off
.LBB1504_53:
	s_nop 0
	s_sendmsg sendmsg(MSG_DEALLOC_VGPRS)
	s_endpgm
	.section	.rodata,"a",@progbits
	.p2align	6, 0x0
	.amdhsa_kernel _ZN7rocprim17ROCPRIM_400000_NS6detail17trampoline_kernelINS0_14default_configENS1_38merge_sort_block_merge_config_selectorIlNS0_10empty_typeEEEZZNS1_27merge_sort_block_merge_implIS3_PlPS5_mZN2at6native12_GLOBAL__N_124unique_dim_cuda_templateIjEESt5tupleIJNSA_6TensorESF_SF_EERKSF_lbbbEUlllE_EE10hipError_tT0_T1_T2_jT3_P12ihipStream_tbPNSt15iterator_traitsISL_E10value_typeEPNSR_ISM_E10value_typeEPSN_NS1_7vsmem_tEENKUlT_SL_SM_SN_E_clIS8_S8_S9_S9_EESK_S10_SL_SM_SN_EUlS10_E0_NS1_11comp_targetILNS1_3genE9ELNS1_11target_archE1100ELNS1_3gpuE3ELNS1_3repE0EEENS1_38merge_mergepath_config_static_selectorELNS0_4arch9wavefront6targetE0EEEvSM_
		.amdhsa_group_segment_fixed_size 8448
		.amdhsa_private_segment_fixed_size 0
		.amdhsa_kernarg_size 344
		.amdhsa_user_sgpr_count 13
		.amdhsa_user_sgpr_dispatch_ptr 0
		.amdhsa_user_sgpr_queue_ptr 0
		.amdhsa_user_sgpr_kernarg_segment_ptr 1
		.amdhsa_user_sgpr_dispatch_id 0
		.amdhsa_user_sgpr_private_segment_size 0
		.amdhsa_wavefront_size32 1
		.amdhsa_uses_dynamic_stack 0
		.amdhsa_enable_private_segment 0
		.amdhsa_system_sgpr_workgroup_id_x 1
		.amdhsa_system_sgpr_workgroup_id_y 1
		.amdhsa_system_sgpr_workgroup_id_z 1
		.amdhsa_system_sgpr_workgroup_info 0
		.amdhsa_system_vgpr_workitem_id 0
		.amdhsa_next_free_vgpr 21
		.amdhsa_next_free_sgpr 32
		.amdhsa_reserve_vcc 1
		.amdhsa_float_round_mode_32 0
		.amdhsa_float_round_mode_16_64 0
		.amdhsa_float_denorm_mode_32 3
		.amdhsa_float_denorm_mode_16_64 3
		.amdhsa_dx10_clamp 1
		.amdhsa_ieee_mode 1
		.amdhsa_fp16_overflow 0
		.amdhsa_workgroup_processor_mode 1
		.amdhsa_memory_ordered 1
		.amdhsa_forward_progress 0
		.amdhsa_shared_vgpr_count 0
		.amdhsa_exception_fp_ieee_invalid_op 0
		.amdhsa_exception_fp_denorm_src 0
		.amdhsa_exception_fp_ieee_div_zero 0
		.amdhsa_exception_fp_ieee_overflow 0
		.amdhsa_exception_fp_ieee_underflow 0
		.amdhsa_exception_fp_ieee_inexact 0
		.amdhsa_exception_int_div_zero 0
	.end_amdhsa_kernel
	.section	.text._ZN7rocprim17ROCPRIM_400000_NS6detail17trampoline_kernelINS0_14default_configENS1_38merge_sort_block_merge_config_selectorIlNS0_10empty_typeEEEZZNS1_27merge_sort_block_merge_implIS3_PlPS5_mZN2at6native12_GLOBAL__N_124unique_dim_cuda_templateIjEESt5tupleIJNSA_6TensorESF_SF_EERKSF_lbbbEUlllE_EE10hipError_tT0_T1_T2_jT3_P12ihipStream_tbPNSt15iterator_traitsISL_E10value_typeEPNSR_ISM_E10value_typeEPSN_NS1_7vsmem_tEENKUlT_SL_SM_SN_E_clIS8_S8_S9_S9_EESK_S10_SL_SM_SN_EUlS10_E0_NS1_11comp_targetILNS1_3genE9ELNS1_11target_archE1100ELNS1_3gpuE3ELNS1_3repE0EEENS1_38merge_mergepath_config_static_selectorELNS0_4arch9wavefront6targetE0EEEvSM_,"axG",@progbits,_ZN7rocprim17ROCPRIM_400000_NS6detail17trampoline_kernelINS0_14default_configENS1_38merge_sort_block_merge_config_selectorIlNS0_10empty_typeEEEZZNS1_27merge_sort_block_merge_implIS3_PlPS5_mZN2at6native12_GLOBAL__N_124unique_dim_cuda_templateIjEESt5tupleIJNSA_6TensorESF_SF_EERKSF_lbbbEUlllE_EE10hipError_tT0_T1_T2_jT3_P12ihipStream_tbPNSt15iterator_traitsISL_E10value_typeEPNSR_ISM_E10value_typeEPSN_NS1_7vsmem_tEENKUlT_SL_SM_SN_E_clIS8_S8_S9_S9_EESK_S10_SL_SM_SN_EUlS10_E0_NS1_11comp_targetILNS1_3genE9ELNS1_11target_archE1100ELNS1_3gpuE3ELNS1_3repE0EEENS1_38merge_mergepath_config_static_selectorELNS0_4arch9wavefront6targetE0EEEvSM_,comdat
.Lfunc_end1504:
	.size	_ZN7rocprim17ROCPRIM_400000_NS6detail17trampoline_kernelINS0_14default_configENS1_38merge_sort_block_merge_config_selectorIlNS0_10empty_typeEEEZZNS1_27merge_sort_block_merge_implIS3_PlPS5_mZN2at6native12_GLOBAL__N_124unique_dim_cuda_templateIjEESt5tupleIJNSA_6TensorESF_SF_EERKSF_lbbbEUlllE_EE10hipError_tT0_T1_T2_jT3_P12ihipStream_tbPNSt15iterator_traitsISL_E10value_typeEPNSR_ISM_E10value_typeEPSN_NS1_7vsmem_tEENKUlT_SL_SM_SN_E_clIS8_S8_S9_S9_EESK_S10_SL_SM_SN_EUlS10_E0_NS1_11comp_targetILNS1_3genE9ELNS1_11target_archE1100ELNS1_3gpuE3ELNS1_3repE0EEENS1_38merge_mergepath_config_static_selectorELNS0_4arch9wavefront6targetE0EEEvSM_, .Lfunc_end1504-_ZN7rocprim17ROCPRIM_400000_NS6detail17trampoline_kernelINS0_14default_configENS1_38merge_sort_block_merge_config_selectorIlNS0_10empty_typeEEEZZNS1_27merge_sort_block_merge_implIS3_PlPS5_mZN2at6native12_GLOBAL__N_124unique_dim_cuda_templateIjEESt5tupleIJNSA_6TensorESF_SF_EERKSF_lbbbEUlllE_EE10hipError_tT0_T1_T2_jT3_P12ihipStream_tbPNSt15iterator_traitsISL_E10value_typeEPNSR_ISM_E10value_typeEPSN_NS1_7vsmem_tEENKUlT_SL_SM_SN_E_clIS8_S8_S9_S9_EESK_S10_SL_SM_SN_EUlS10_E0_NS1_11comp_targetILNS1_3genE9ELNS1_11target_archE1100ELNS1_3gpuE3ELNS1_3repE0EEENS1_38merge_mergepath_config_static_selectorELNS0_4arch9wavefront6targetE0EEEvSM_
                                        ; -- End function
	.section	.AMDGPU.csdata,"",@progbits
; Kernel info:
; codeLenInByte = 2856
; NumSgprs: 34
; NumVgprs: 21
; ScratchSize: 0
; MemoryBound: 0
; FloatMode: 240
; IeeeMode: 1
; LDSByteSize: 8448 bytes/workgroup (compile time only)
; SGPRBlocks: 4
; VGPRBlocks: 2
; NumSGPRsForWavesPerEU: 34
; NumVGPRsForWavesPerEU: 21
; Occupancy: 16
; WaveLimiterHint : 1
; COMPUTE_PGM_RSRC2:SCRATCH_EN: 0
; COMPUTE_PGM_RSRC2:USER_SGPR: 13
; COMPUTE_PGM_RSRC2:TRAP_HANDLER: 0
; COMPUTE_PGM_RSRC2:TGID_X_EN: 1
; COMPUTE_PGM_RSRC2:TGID_Y_EN: 1
; COMPUTE_PGM_RSRC2:TGID_Z_EN: 1
; COMPUTE_PGM_RSRC2:TIDIG_COMP_CNT: 0
	.section	.text._ZN7rocprim17ROCPRIM_400000_NS6detail17trampoline_kernelINS0_14default_configENS1_38merge_sort_block_merge_config_selectorIlNS0_10empty_typeEEEZZNS1_27merge_sort_block_merge_implIS3_PlPS5_mZN2at6native12_GLOBAL__N_124unique_dim_cuda_templateIjEESt5tupleIJNSA_6TensorESF_SF_EERKSF_lbbbEUlllE_EE10hipError_tT0_T1_T2_jT3_P12ihipStream_tbPNSt15iterator_traitsISL_E10value_typeEPNSR_ISM_E10value_typeEPSN_NS1_7vsmem_tEENKUlT_SL_SM_SN_E_clIS8_S8_S9_S9_EESK_S10_SL_SM_SN_EUlS10_E0_NS1_11comp_targetILNS1_3genE8ELNS1_11target_archE1030ELNS1_3gpuE2ELNS1_3repE0EEENS1_38merge_mergepath_config_static_selectorELNS0_4arch9wavefront6targetE0EEEvSM_,"axG",@progbits,_ZN7rocprim17ROCPRIM_400000_NS6detail17trampoline_kernelINS0_14default_configENS1_38merge_sort_block_merge_config_selectorIlNS0_10empty_typeEEEZZNS1_27merge_sort_block_merge_implIS3_PlPS5_mZN2at6native12_GLOBAL__N_124unique_dim_cuda_templateIjEESt5tupleIJNSA_6TensorESF_SF_EERKSF_lbbbEUlllE_EE10hipError_tT0_T1_T2_jT3_P12ihipStream_tbPNSt15iterator_traitsISL_E10value_typeEPNSR_ISM_E10value_typeEPSN_NS1_7vsmem_tEENKUlT_SL_SM_SN_E_clIS8_S8_S9_S9_EESK_S10_SL_SM_SN_EUlS10_E0_NS1_11comp_targetILNS1_3genE8ELNS1_11target_archE1030ELNS1_3gpuE2ELNS1_3repE0EEENS1_38merge_mergepath_config_static_selectorELNS0_4arch9wavefront6targetE0EEEvSM_,comdat
	.globl	_ZN7rocprim17ROCPRIM_400000_NS6detail17trampoline_kernelINS0_14default_configENS1_38merge_sort_block_merge_config_selectorIlNS0_10empty_typeEEEZZNS1_27merge_sort_block_merge_implIS3_PlPS5_mZN2at6native12_GLOBAL__N_124unique_dim_cuda_templateIjEESt5tupleIJNSA_6TensorESF_SF_EERKSF_lbbbEUlllE_EE10hipError_tT0_T1_T2_jT3_P12ihipStream_tbPNSt15iterator_traitsISL_E10value_typeEPNSR_ISM_E10value_typeEPSN_NS1_7vsmem_tEENKUlT_SL_SM_SN_E_clIS8_S8_S9_S9_EESK_S10_SL_SM_SN_EUlS10_E0_NS1_11comp_targetILNS1_3genE8ELNS1_11target_archE1030ELNS1_3gpuE2ELNS1_3repE0EEENS1_38merge_mergepath_config_static_selectorELNS0_4arch9wavefront6targetE0EEEvSM_ ; -- Begin function _ZN7rocprim17ROCPRIM_400000_NS6detail17trampoline_kernelINS0_14default_configENS1_38merge_sort_block_merge_config_selectorIlNS0_10empty_typeEEEZZNS1_27merge_sort_block_merge_implIS3_PlPS5_mZN2at6native12_GLOBAL__N_124unique_dim_cuda_templateIjEESt5tupleIJNSA_6TensorESF_SF_EERKSF_lbbbEUlllE_EE10hipError_tT0_T1_T2_jT3_P12ihipStream_tbPNSt15iterator_traitsISL_E10value_typeEPNSR_ISM_E10value_typeEPSN_NS1_7vsmem_tEENKUlT_SL_SM_SN_E_clIS8_S8_S9_S9_EESK_S10_SL_SM_SN_EUlS10_E0_NS1_11comp_targetILNS1_3genE8ELNS1_11target_archE1030ELNS1_3gpuE2ELNS1_3repE0EEENS1_38merge_mergepath_config_static_selectorELNS0_4arch9wavefront6targetE0EEEvSM_
	.p2align	8
	.type	_ZN7rocprim17ROCPRIM_400000_NS6detail17trampoline_kernelINS0_14default_configENS1_38merge_sort_block_merge_config_selectorIlNS0_10empty_typeEEEZZNS1_27merge_sort_block_merge_implIS3_PlPS5_mZN2at6native12_GLOBAL__N_124unique_dim_cuda_templateIjEESt5tupleIJNSA_6TensorESF_SF_EERKSF_lbbbEUlllE_EE10hipError_tT0_T1_T2_jT3_P12ihipStream_tbPNSt15iterator_traitsISL_E10value_typeEPNSR_ISM_E10value_typeEPSN_NS1_7vsmem_tEENKUlT_SL_SM_SN_E_clIS8_S8_S9_S9_EESK_S10_SL_SM_SN_EUlS10_E0_NS1_11comp_targetILNS1_3genE8ELNS1_11target_archE1030ELNS1_3gpuE2ELNS1_3repE0EEENS1_38merge_mergepath_config_static_selectorELNS0_4arch9wavefront6targetE0EEEvSM_,@function
_ZN7rocprim17ROCPRIM_400000_NS6detail17trampoline_kernelINS0_14default_configENS1_38merge_sort_block_merge_config_selectorIlNS0_10empty_typeEEEZZNS1_27merge_sort_block_merge_implIS3_PlPS5_mZN2at6native12_GLOBAL__N_124unique_dim_cuda_templateIjEESt5tupleIJNSA_6TensorESF_SF_EERKSF_lbbbEUlllE_EE10hipError_tT0_T1_T2_jT3_P12ihipStream_tbPNSt15iterator_traitsISL_E10value_typeEPNSR_ISM_E10value_typeEPSN_NS1_7vsmem_tEENKUlT_SL_SM_SN_E_clIS8_S8_S9_S9_EESK_S10_SL_SM_SN_EUlS10_E0_NS1_11comp_targetILNS1_3genE8ELNS1_11target_archE1030ELNS1_3gpuE2ELNS1_3repE0EEENS1_38merge_mergepath_config_static_selectorELNS0_4arch9wavefront6targetE0EEEvSM_: ; @_ZN7rocprim17ROCPRIM_400000_NS6detail17trampoline_kernelINS0_14default_configENS1_38merge_sort_block_merge_config_selectorIlNS0_10empty_typeEEEZZNS1_27merge_sort_block_merge_implIS3_PlPS5_mZN2at6native12_GLOBAL__N_124unique_dim_cuda_templateIjEESt5tupleIJNSA_6TensorESF_SF_EERKSF_lbbbEUlllE_EE10hipError_tT0_T1_T2_jT3_P12ihipStream_tbPNSt15iterator_traitsISL_E10value_typeEPNSR_ISM_E10value_typeEPSN_NS1_7vsmem_tEENKUlT_SL_SM_SN_E_clIS8_S8_S9_S9_EESK_S10_SL_SM_SN_EUlS10_E0_NS1_11comp_targetILNS1_3genE8ELNS1_11target_archE1030ELNS1_3gpuE2ELNS1_3repE0EEENS1_38merge_mergepath_config_static_selectorELNS0_4arch9wavefront6targetE0EEEvSM_
; %bb.0:
	.section	.rodata,"a",@progbits
	.p2align	6, 0x0
	.amdhsa_kernel _ZN7rocprim17ROCPRIM_400000_NS6detail17trampoline_kernelINS0_14default_configENS1_38merge_sort_block_merge_config_selectorIlNS0_10empty_typeEEEZZNS1_27merge_sort_block_merge_implIS3_PlPS5_mZN2at6native12_GLOBAL__N_124unique_dim_cuda_templateIjEESt5tupleIJNSA_6TensorESF_SF_EERKSF_lbbbEUlllE_EE10hipError_tT0_T1_T2_jT3_P12ihipStream_tbPNSt15iterator_traitsISL_E10value_typeEPNSR_ISM_E10value_typeEPSN_NS1_7vsmem_tEENKUlT_SL_SM_SN_E_clIS8_S8_S9_S9_EESK_S10_SL_SM_SN_EUlS10_E0_NS1_11comp_targetILNS1_3genE8ELNS1_11target_archE1030ELNS1_3gpuE2ELNS1_3repE0EEENS1_38merge_mergepath_config_static_selectorELNS0_4arch9wavefront6targetE0EEEvSM_
		.amdhsa_group_segment_fixed_size 0
		.amdhsa_private_segment_fixed_size 0
		.amdhsa_kernarg_size 88
		.amdhsa_user_sgpr_count 15
		.amdhsa_user_sgpr_dispatch_ptr 0
		.amdhsa_user_sgpr_queue_ptr 0
		.amdhsa_user_sgpr_kernarg_segment_ptr 1
		.amdhsa_user_sgpr_dispatch_id 0
		.amdhsa_user_sgpr_private_segment_size 0
		.amdhsa_wavefront_size32 1
		.amdhsa_uses_dynamic_stack 0
		.amdhsa_enable_private_segment 0
		.amdhsa_system_sgpr_workgroup_id_x 1
		.amdhsa_system_sgpr_workgroup_id_y 0
		.amdhsa_system_sgpr_workgroup_id_z 0
		.amdhsa_system_sgpr_workgroup_info 0
		.amdhsa_system_vgpr_workitem_id 0
		.amdhsa_next_free_vgpr 1
		.amdhsa_next_free_sgpr 1
		.amdhsa_reserve_vcc 0
		.amdhsa_float_round_mode_32 0
		.amdhsa_float_round_mode_16_64 0
		.amdhsa_float_denorm_mode_32 3
		.amdhsa_float_denorm_mode_16_64 3
		.amdhsa_dx10_clamp 1
		.amdhsa_ieee_mode 1
		.amdhsa_fp16_overflow 0
		.amdhsa_workgroup_processor_mode 1
		.amdhsa_memory_ordered 1
		.amdhsa_forward_progress 0
		.amdhsa_shared_vgpr_count 0
		.amdhsa_exception_fp_ieee_invalid_op 0
		.amdhsa_exception_fp_denorm_src 0
		.amdhsa_exception_fp_ieee_div_zero 0
		.amdhsa_exception_fp_ieee_overflow 0
		.amdhsa_exception_fp_ieee_underflow 0
		.amdhsa_exception_fp_ieee_inexact 0
		.amdhsa_exception_int_div_zero 0
	.end_amdhsa_kernel
	.section	.text._ZN7rocprim17ROCPRIM_400000_NS6detail17trampoline_kernelINS0_14default_configENS1_38merge_sort_block_merge_config_selectorIlNS0_10empty_typeEEEZZNS1_27merge_sort_block_merge_implIS3_PlPS5_mZN2at6native12_GLOBAL__N_124unique_dim_cuda_templateIjEESt5tupleIJNSA_6TensorESF_SF_EERKSF_lbbbEUlllE_EE10hipError_tT0_T1_T2_jT3_P12ihipStream_tbPNSt15iterator_traitsISL_E10value_typeEPNSR_ISM_E10value_typeEPSN_NS1_7vsmem_tEENKUlT_SL_SM_SN_E_clIS8_S8_S9_S9_EESK_S10_SL_SM_SN_EUlS10_E0_NS1_11comp_targetILNS1_3genE8ELNS1_11target_archE1030ELNS1_3gpuE2ELNS1_3repE0EEENS1_38merge_mergepath_config_static_selectorELNS0_4arch9wavefront6targetE0EEEvSM_,"axG",@progbits,_ZN7rocprim17ROCPRIM_400000_NS6detail17trampoline_kernelINS0_14default_configENS1_38merge_sort_block_merge_config_selectorIlNS0_10empty_typeEEEZZNS1_27merge_sort_block_merge_implIS3_PlPS5_mZN2at6native12_GLOBAL__N_124unique_dim_cuda_templateIjEESt5tupleIJNSA_6TensorESF_SF_EERKSF_lbbbEUlllE_EE10hipError_tT0_T1_T2_jT3_P12ihipStream_tbPNSt15iterator_traitsISL_E10value_typeEPNSR_ISM_E10value_typeEPSN_NS1_7vsmem_tEENKUlT_SL_SM_SN_E_clIS8_S8_S9_S9_EESK_S10_SL_SM_SN_EUlS10_E0_NS1_11comp_targetILNS1_3genE8ELNS1_11target_archE1030ELNS1_3gpuE2ELNS1_3repE0EEENS1_38merge_mergepath_config_static_selectorELNS0_4arch9wavefront6targetE0EEEvSM_,comdat
.Lfunc_end1505:
	.size	_ZN7rocprim17ROCPRIM_400000_NS6detail17trampoline_kernelINS0_14default_configENS1_38merge_sort_block_merge_config_selectorIlNS0_10empty_typeEEEZZNS1_27merge_sort_block_merge_implIS3_PlPS5_mZN2at6native12_GLOBAL__N_124unique_dim_cuda_templateIjEESt5tupleIJNSA_6TensorESF_SF_EERKSF_lbbbEUlllE_EE10hipError_tT0_T1_T2_jT3_P12ihipStream_tbPNSt15iterator_traitsISL_E10value_typeEPNSR_ISM_E10value_typeEPSN_NS1_7vsmem_tEENKUlT_SL_SM_SN_E_clIS8_S8_S9_S9_EESK_S10_SL_SM_SN_EUlS10_E0_NS1_11comp_targetILNS1_3genE8ELNS1_11target_archE1030ELNS1_3gpuE2ELNS1_3repE0EEENS1_38merge_mergepath_config_static_selectorELNS0_4arch9wavefront6targetE0EEEvSM_, .Lfunc_end1505-_ZN7rocprim17ROCPRIM_400000_NS6detail17trampoline_kernelINS0_14default_configENS1_38merge_sort_block_merge_config_selectorIlNS0_10empty_typeEEEZZNS1_27merge_sort_block_merge_implIS3_PlPS5_mZN2at6native12_GLOBAL__N_124unique_dim_cuda_templateIjEESt5tupleIJNSA_6TensorESF_SF_EERKSF_lbbbEUlllE_EE10hipError_tT0_T1_T2_jT3_P12ihipStream_tbPNSt15iterator_traitsISL_E10value_typeEPNSR_ISM_E10value_typeEPSN_NS1_7vsmem_tEENKUlT_SL_SM_SN_E_clIS8_S8_S9_S9_EESK_S10_SL_SM_SN_EUlS10_E0_NS1_11comp_targetILNS1_3genE8ELNS1_11target_archE1030ELNS1_3gpuE2ELNS1_3repE0EEENS1_38merge_mergepath_config_static_selectorELNS0_4arch9wavefront6targetE0EEEvSM_
                                        ; -- End function
	.section	.AMDGPU.csdata,"",@progbits
; Kernel info:
; codeLenInByte = 0
; NumSgprs: 0
; NumVgprs: 0
; ScratchSize: 0
; MemoryBound: 0
; FloatMode: 240
; IeeeMode: 1
; LDSByteSize: 0 bytes/workgroup (compile time only)
; SGPRBlocks: 0
; VGPRBlocks: 0
; NumSGPRsForWavesPerEU: 1
; NumVGPRsForWavesPerEU: 1
; Occupancy: 16
; WaveLimiterHint : 0
; COMPUTE_PGM_RSRC2:SCRATCH_EN: 0
; COMPUTE_PGM_RSRC2:USER_SGPR: 15
; COMPUTE_PGM_RSRC2:TRAP_HANDLER: 0
; COMPUTE_PGM_RSRC2:TGID_X_EN: 1
; COMPUTE_PGM_RSRC2:TGID_Y_EN: 0
; COMPUTE_PGM_RSRC2:TGID_Z_EN: 0
; COMPUTE_PGM_RSRC2:TIDIG_COMP_CNT: 0
	.section	.text._ZN7rocprim17ROCPRIM_400000_NS6detail17trampoline_kernelINS0_14default_configENS1_38merge_sort_block_merge_config_selectorIlNS0_10empty_typeEEEZZNS1_27merge_sort_block_merge_implIS3_PlPS5_mZN2at6native12_GLOBAL__N_124unique_dim_cuda_templateIjEESt5tupleIJNSA_6TensorESF_SF_EERKSF_lbbbEUlllE_EE10hipError_tT0_T1_T2_jT3_P12ihipStream_tbPNSt15iterator_traitsISL_E10value_typeEPNSR_ISM_E10value_typeEPSN_NS1_7vsmem_tEENKUlT_SL_SM_SN_E_clIS8_S8_S9_S9_EESK_S10_SL_SM_SN_EUlS10_E1_NS1_11comp_targetILNS1_3genE0ELNS1_11target_archE4294967295ELNS1_3gpuE0ELNS1_3repE0EEENS1_36merge_oddeven_config_static_selectorELNS0_4arch9wavefront6targetE0EEEvSM_,"axG",@progbits,_ZN7rocprim17ROCPRIM_400000_NS6detail17trampoline_kernelINS0_14default_configENS1_38merge_sort_block_merge_config_selectorIlNS0_10empty_typeEEEZZNS1_27merge_sort_block_merge_implIS3_PlPS5_mZN2at6native12_GLOBAL__N_124unique_dim_cuda_templateIjEESt5tupleIJNSA_6TensorESF_SF_EERKSF_lbbbEUlllE_EE10hipError_tT0_T1_T2_jT3_P12ihipStream_tbPNSt15iterator_traitsISL_E10value_typeEPNSR_ISM_E10value_typeEPSN_NS1_7vsmem_tEENKUlT_SL_SM_SN_E_clIS8_S8_S9_S9_EESK_S10_SL_SM_SN_EUlS10_E1_NS1_11comp_targetILNS1_3genE0ELNS1_11target_archE4294967295ELNS1_3gpuE0ELNS1_3repE0EEENS1_36merge_oddeven_config_static_selectorELNS0_4arch9wavefront6targetE0EEEvSM_,comdat
	.globl	_ZN7rocprim17ROCPRIM_400000_NS6detail17trampoline_kernelINS0_14default_configENS1_38merge_sort_block_merge_config_selectorIlNS0_10empty_typeEEEZZNS1_27merge_sort_block_merge_implIS3_PlPS5_mZN2at6native12_GLOBAL__N_124unique_dim_cuda_templateIjEESt5tupleIJNSA_6TensorESF_SF_EERKSF_lbbbEUlllE_EE10hipError_tT0_T1_T2_jT3_P12ihipStream_tbPNSt15iterator_traitsISL_E10value_typeEPNSR_ISM_E10value_typeEPSN_NS1_7vsmem_tEENKUlT_SL_SM_SN_E_clIS8_S8_S9_S9_EESK_S10_SL_SM_SN_EUlS10_E1_NS1_11comp_targetILNS1_3genE0ELNS1_11target_archE4294967295ELNS1_3gpuE0ELNS1_3repE0EEENS1_36merge_oddeven_config_static_selectorELNS0_4arch9wavefront6targetE0EEEvSM_ ; -- Begin function _ZN7rocprim17ROCPRIM_400000_NS6detail17trampoline_kernelINS0_14default_configENS1_38merge_sort_block_merge_config_selectorIlNS0_10empty_typeEEEZZNS1_27merge_sort_block_merge_implIS3_PlPS5_mZN2at6native12_GLOBAL__N_124unique_dim_cuda_templateIjEESt5tupleIJNSA_6TensorESF_SF_EERKSF_lbbbEUlllE_EE10hipError_tT0_T1_T2_jT3_P12ihipStream_tbPNSt15iterator_traitsISL_E10value_typeEPNSR_ISM_E10value_typeEPSN_NS1_7vsmem_tEENKUlT_SL_SM_SN_E_clIS8_S8_S9_S9_EESK_S10_SL_SM_SN_EUlS10_E1_NS1_11comp_targetILNS1_3genE0ELNS1_11target_archE4294967295ELNS1_3gpuE0ELNS1_3repE0EEENS1_36merge_oddeven_config_static_selectorELNS0_4arch9wavefront6targetE0EEEvSM_
	.p2align	8
	.type	_ZN7rocprim17ROCPRIM_400000_NS6detail17trampoline_kernelINS0_14default_configENS1_38merge_sort_block_merge_config_selectorIlNS0_10empty_typeEEEZZNS1_27merge_sort_block_merge_implIS3_PlPS5_mZN2at6native12_GLOBAL__N_124unique_dim_cuda_templateIjEESt5tupleIJNSA_6TensorESF_SF_EERKSF_lbbbEUlllE_EE10hipError_tT0_T1_T2_jT3_P12ihipStream_tbPNSt15iterator_traitsISL_E10value_typeEPNSR_ISM_E10value_typeEPSN_NS1_7vsmem_tEENKUlT_SL_SM_SN_E_clIS8_S8_S9_S9_EESK_S10_SL_SM_SN_EUlS10_E1_NS1_11comp_targetILNS1_3genE0ELNS1_11target_archE4294967295ELNS1_3gpuE0ELNS1_3repE0EEENS1_36merge_oddeven_config_static_selectorELNS0_4arch9wavefront6targetE0EEEvSM_,@function
_ZN7rocprim17ROCPRIM_400000_NS6detail17trampoline_kernelINS0_14default_configENS1_38merge_sort_block_merge_config_selectorIlNS0_10empty_typeEEEZZNS1_27merge_sort_block_merge_implIS3_PlPS5_mZN2at6native12_GLOBAL__N_124unique_dim_cuda_templateIjEESt5tupleIJNSA_6TensorESF_SF_EERKSF_lbbbEUlllE_EE10hipError_tT0_T1_T2_jT3_P12ihipStream_tbPNSt15iterator_traitsISL_E10value_typeEPNSR_ISM_E10value_typeEPSN_NS1_7vsmem_tEENKUlT_SL_SM_SN_E_clIS8_S8_S9_S9_EESK_S10_SL_SM_SN_EUlS10_E1_NS1_11comp_targetILNS1_3genE0ELNS1_11target_archE4294967295ELNS1_3gpuE0ELNS1_3repE0EEENS1_36merge_oddeven_config_static_selectorELNS0_4arch9wavefront6targetE0EEEvSM_: ; @_ZN7rocprim17ROCPRIM_400000_NS6detail17trampoline_kernelINS0_14default_configENS1_38merge_sort_block_merge_config_selectorIlNS0_10empty_typeEEEZZNS1_27merge_sort_block_merge_implIS3_PlPS5_mZN2at6native12_GLOBAL__N_124unique_dim_cuda_templateIjEESt5tupleIJNSA_6TensorESF_SF_EERKSF_lbbbEUlllE_EE10hipError_tT0_T1_T2_jT3_P12ihipStream_tbPNSt15iterator_traitsISL_E10value_typeEPNSR_ISM_E10value_typeEPSN_NS1_7vsmem_tEENKUlT_SL_SM_SN_E_clIS8_S8_S9_S9_EESK_S10_SL_SM_SN_EUlS10_E1_NS1_11comp_targetILNS1_3genE0ELNS1_11target_archE4294967295ELNS1_3gpuE0ELNS1_3repE0EEENS1_36merge_oddeven_config_static_selectorELNS0_4arch9wavefront6targetE0EEEvSM_
; %bb.0:
	.section	.rodata,"a",@progbits
	.p2align	6, 0x0
	.amdhsa_kernel _ZN7rocprim17ROCPRIM_400000_NS6detail17trampoline_kernelINS0_14default_configENS1_38merge_sort_block_merge_config_selectorIlNS0_10empty_typeEEEZZNS1_27merge_sort_block_merge_implIS3_PlPS5_mZN2at6native12_GLOBAL__N_124unique_dim_cuda_templateIjEESt5tupleIJNSA_6TensorESF_SF_EERKSF_lbbbEUlllE_EE10hipError_tT0_T1_T2_jT3_P12ihipStream_tbPNSt15iterator_traitsISL_E10value_typeEPNSR_ISM_E10value_typeEPSN_NS1_7vsmem_tEENKUlT_SL_SM_SN_E_clIS8_S8_S9_S9_EESK_S10_SL_SM_SN_EUlS10_E1_NS1_11comp_targetILNS1_3genE0ELNS1_11target_archE4294967295ELNS1_3gpuE0ELNS1_3repE0EEENS1_36merge_oddeven_config_static_selectorELNS0_4arch9wavefront6targetE0EEEvSM_
		.amdhsa_group_segment_fixed_size 0
		.amdhsa_private_segment_fixed_size 0
		.amdhsa_kernarg_size 64
		.amdhsa_user_sgpr_count 15
		.amdhsa_user_sgpr_dispatch_ptr 0
		.amdhsa_user_sgpr_queue_ptr 0
		.amdhsa_user_sgpr_kernarg_segment_ptr 1
		.amdhsa_user_sgpr_dispatch_id 0
		.amdhsa_user_sgpr_private_segment_size 0
		.amdhsa_wavefront_size32 1
		.amdhsa_uses_dynamic_stack 0
		.amdhsa_enable_private_segment 0
		.amdhsa_system_sgpr_workgroup_id_x 1
		.amdhsa_system_sgpr_workgroup_id_y 0
		.amdhsa_system_sgpr_workgroup_id_z 0
		.amdhsa_system_sgpr_workgroup_info 0
		.amdhsa_system_vgpr_workitem_id 0
		.amdhsa_next_free_vgpr 1
		.amdhsa_next_free_sgpr 1
		.amdhsa_reserve_vcc 0
		.amdhsa_float_round_mode_32 0
		.amdhsa_float_round_mode_16_64 0
		.amdhsa_float_denorm_mode_32 3
		.amdhsa_float_denorm_mode_16_64 3
		.amdhsa_dx10_clamp 1
		.amdhsa_ieee_mode 1
		.amdhsa_fp16_overflow 0
		.amdhsa_workgroup_processor_mode 1
		.amdhsa_memory_ordered 1
		.amdhsa_forward_progress 0
		.amdhsa_shared_vgpr_count 0
		.amdhsa_exception_fp_ieee_invalid_op 0
		.amdhsa_exception_fp_denorm_src 0
		.amdhsa_exception_fp_ieee_div_zero 0
		.amdhsa_exception_fp_ieee_overflow 0
		.amdhsa_exception_fp_ieee_underflow 0
		.amdhsa_exception_fp_ieee_inexact 0
		.amdhsa_exception_int_div_zero 0
	.end_amdhsa_kernel
	.section	.text._ZN7rocprim17ROCPRIM_400000_NS6detail17trampoline_kernelINS0_14default_configENS1_38merge_sort_block_merge_config_selectorIlNS0_10empty_typeEEEZZNS1_27merge_sort_block_merge_implIS3_PlPS5_mZN2at6native12_GLOBAL__N_124unique_dim_cuda_templateIjEESt5tupleIJNSA_6TensorESF_SF_EERKSF_lbbbEUlllE_EE10hipError_tT0_T1_T2_jT3_P12ihipStream_tbPNSt15iterator_traitsISL_E10value_typeEPNSR_ISM_E10value_typeEPSN_NS1_7vsmem_tEENKUlT_SL_SM_SN_E_clIS8_S8_S9_S9_EESK_S10_SL_SM_SN_EUlS10_E1_NS1_11comp_targetILNS1_3genE0ELNS1_11target_archE4294967295ELNS1_3gpuE0ELNS1_3repE0EEENS1_36merge_oddeven_config_static_selectorELNS0_4arch9wavefront6targetE0EEEvSM_,"axG",@progbits,_ZN7rocprim17ROCPRIM_400000_NS6detail17trampoline_kernelINS0_14default_configENS1_38merge_sort_block_merge_config_selectorIlNS0_10empty_typeEEEZZNS1_27merge_sort_block_merge_implIS3_PlPS5_mZN2at6native12_GLOBAL__N_124unique_dim_cuda_templateIjEESt5tupleIJNSA_6TensorESF_SF_EERKSF_lbbbEUlllE_EE10hipError_tT0_T1_T2_jT3_P12ihipStream_tbPNSt15iterator_traitsISL_E10value_typeEPNSR_ISM_E10value_typeEPSN_NS1_7vsmem_tEENKUlT_SL_SM_SN_E_clIS8_S8_S9_S9_EESK_S10_SL_SM_SN_EUlS10_E1_NS1_11comp_targetILNS1_3genE0ELNS1_11target_archE4294967295ELNS1_3gpuE0ELNS1_3repE0EEENS1_36merge_oddeven_config_static_selectorELNS0_4arch9wavefront6targetE0EEEvSM_,comdat
.Lfunc_end1506:
	.size	_ZN7rocprim17ROCPRIM_400000_NS6detail17trampoline_kernelINS0_14default_configENS1_38merge_sort_block_merge_config_selectorIlNS0_10empty_typeEEEZZNS1_27merge_sort_block_merge_implIS3_PlPS5_mZN2at6native12_GLOBAL__N_124unique_dim_cuda_templateIjEESt5tupleIJNSA_6TensorESF_SF_EERKSF_lbbbEUlllE_EE10hipError_tT0_T1_T2_jT3_P12ihipStream_tbPNSt15iterator_traitsISL_E10value_typeEPNSR_ISM_E10value_typeEPSN_NS1_7vsmem_tEENKUlT_SL_SM_SN_E_clIS8_S8_S9_S9_EESK_S10_SL_SM_SN_EUlS10_E1_NS1_11comp_targetILNS1_3genE0ELNS1_11target_archE4294967295ELNS1_3gpuE0ELNS1_3repE0EEENS1_36merge_oddeven_config_static_selectorELNS0_4arch9wavefront6targetE0EEEvSM_, .Lfunc_end1506-_ZN7rocprim17ROCPRIM_400000_NS6detail17trampoline_kernelINS0_14default_configENS1_38merge_sort_block_merge_config_selectorIlNS0_10empty_typeEEEZZNS1_27merge_sort_block_merge_implIS3_PlPS5_mZN2at6native12_GLOBAL__N_124unique_dim_cuda_templateIjEESt5tupleIJNSA_6TensorESF_SF_EERKSF_lbbbEUlllE_EE10hipError_tT0_T1_T2_jT3_P12ihipStream_tbPNSt15iterator_traitsISL_E10value_typeEPNSR_ISM_E10value_typeEPSN_NS1_7vsmem_tEENKUlT_SL_SM_SN_E_clIS8_S8_S9_S9_EESK_S10_SL_SM_SN_EUlS10_E1_NS1_11comp_targetILNS1_3genE0ELNS1_11target_archE4294967295ELNS1_3gpuE0ELNS1_3repE0EEENS1_36merge_oddeven_config_static_selectorELNS0_4arch9wavefront6targetE0EEEvSM_
                                        ; -- End function
	.section	.AMDGPU.csdata,"",@progbits
; Kernel info:
; codeLenInByte = 0
; NumSgprs: 0
; NumVgprs: 0
; ScratchSize: 0
; MemoryBound: 0
; FloatMode: 240
; IeeeMode: 1
; LDSByteSize: 0 bytes/workgroup (compile time only)
; SGPRBlocks: 0
; VGPRBlocks: 0
; NumSGPRsForWavesPerEU: 1
; NumVGPRsForWavesPerEU: 1
; Occupancy: 16
; WaveLimiterHint : 0
; COMPUTE_PGM_RSRC2:SCRATCH_EN: 0
; COMPUTE_PGM_RSRC2:USER_SGPR: 15
; COMPUTE_PGM_RSRC2:TRAP_HANDLER: 0
; COMPUTE_PGM_RSRC2:TGID_X_EN: 1
; COMPUTE_PGM_RSRC2:TGID_Y_EN: 0
; COMPUTE_PGM_RSRC2:TGID_Z_EN: 0
; COMPUTE_PGM_RSRC2:TIDIG_COMP_CNT: 0
	.section	.text._ZN7rocprim17ROCPRIM_400000_NS6detail17trampoline_kernelINS0_14default_configENS1_38merge_sort_block_merge_config_selectorIlNS0_10empty_typeEEEZZNS1_27merge_sort_block_merge_implIS3_PlPS5_mZN2at6native12_GLOBAL__N_124unique_dim_cuda_templateIjEESt5tupleIJNSA_6TensorESF_SF_EERKSF_lbbbEUlllE_EE10hipError_tT0_T1_T2_jT3_P12ihipStream_tbPNSt15iterator_traitsISL_E10value_typeEPNSR_ISM_E10value_typeEPSN_NS1_7vsmem_tEENKUlT_SL_SM_SN_E_clIS8_S8_S9_S9_EESK_S10_SL_SM_SN_EUlS10_E1_NS1_11comp_targetILNS1_3genE10ELNS1_11target_archE1201ELNS1_3gpuE5ELNS1_3repE0EEENS1_36merge_oddeven_config_static_selectorELNS0_4arch9wavefront6targetE0EEEvSM_,"axG",@progbits,_ZN7rocprim17ROCPRIM_400000_NS6detail17trampoline_kernelINS0_14default_configENS1_38merge_sort_block_merge_config_selectorIlNS0_10empty_typeEEEZZNS1_27merge_sort_block_merge_implIS3_PlPS5_mZN2at6native12_GLOBAL__N_124unique_dim_cuda_templateIjEESt5tupleIJNSA_6TensorESF_SF_EERKSF_lbbbEUlllE_EE10hipError_tT0_T1_T2_jT3_P12ihipStream_tbPNSt15iterator_traitsISL_E10value_typeEPNSR_ISM_E10value_typeEPSN_NS1_7vsmem_tEENKUlT_SL_SM_SN_E_clIS8_S8_S9_S9_EESK_S10_SL_SM_SN_EUlS10_E1_NS1_11comp_targetILNS1_3genE10ELNS1_11target_archE1201ELNS1_3gpuE5ELNS1_3repE0EEENS1_36merge_oddeven_config_static_selectorELNS0_4arch9wavefront6targetE0EEEvSM_,comdat
	.globl	_ZN7rocprim17ROCPRIM_400000_NS6detail17trampoline_kernelINS0_14default_configENS1_38merge_sort_block_merge_config_selectorIlNS0_10empty_typeEEEZZNS1_27merge_sort_block_merge_implIS3_PlPS5_mZN2at6native12_GLOBAL__N_124unique_dim_cuda_templateIjEESt5tupleIJNSA_6TensorESF_SF_EERKSF_lbbbEUlllE_EE10hipError_tT0_T1_T2_jT3_P12ihipStream_tbPNSt15iterator_traitsISL_E10value_typeEPNSR_ISM_E10value_typeEPSN_NS1_7vsmem_tEENKUlT_SL_SM_SN_E_clIS8_S8_S9_S9_EESK_S10_SL_SM_SN_EUlS10_E1_NS1_11comp_targetILNS1_3genE10ELNS1_11target_archE1201ELNS1_3gpuE5ELNS1_3repE0EEENS1_36merge_oddeven_config_static_selectorELNS0_4arch9wavefront6targetE0EEEvSM_ ; -- Begin function _ZN7rocprim17ROCPRIM_400000_NS6detail17trampoline_kernelINS0_14default_configENS1_38merge_sort_block_merge_config_selectorIlNS0_10empty_typeEEEZZNS1_27merge_sort_block_merge_implIS3_PlPS5_mZN2at6native12_GLOBAL__N_124unique_dim_cuda_templateIjEESt5tupleIJNSA_6TensorESF_SF_EERKSF_lbbbEUlllE_EE10hipError_tT0_T1_T2_jT3_P12ihipStream_tbPNSt15iterator_traitsISL_E10value_typeEPNSR_ISM_E10value_typeEPSN_NS1_7vsmem_tEENKUlT_SL_SM_SN_E_clIS8_S8_S9_S9_EESK_S10_SL_SM_SN_EUlS10_E1_NS1_11comp_targetILNS1_3genE10ELNS1_11target_archE1201ELNS1_3gpuE5ELNS1_3repE0EEENS1_36merge_oddeven_config_static_selectorELNS0_4arch9wavefront6targetE0EEEvSM_
	.p2align	8
	.type	_ZN7rocprim17ROCPRIM_400000_NS6detail17trampoline_kernelINS0_14default_configENS1_38merge_sort_block_merge_config_selectorIlNS0_10empty_typeEEEZZNS1_27merge_sort_block_merge_implIS3_PlPS5_mZN2at6native12_GLOBAL__N_124unique_dim_cuda_templateIjEESt5tupleIJNSA_6TensorESF_SF_EERKSF_lbbbEUlllE_EE10hipError_tT0_T1_T2_jT3_P12ihipStream_tbPNSt15iterator_traitsISL_E10value_typeEPNSR_ISM_E10value_typeEPSN_NS1_7vsmem_tEENKUlT_SL_SM_SN_E_clIS8_S8_S9_S9_EESK_S10_SL_SM_SN_EUlS10_E1_NS1_11comp_targetILNS1_3genE10ELNS1_11target_archE1201ELNS1_3gpuE5ELNS1_3repE0EEENS1_36merge_oddeven_config_static_selectorELNS0_4arch9wavefront6targetE0EEEvSM_,@function
_ZN7rocprim17ROCPRIM_400000_NS6detail17trampoline_kernelINS0_14default_configENS1_38merge_sort_block_merge_config_selectorIlNS0_10empty_typeEEEZZNS1_27merge_sort_block_merge_implIS3_PlPS5_mZN2at6native12_GLOBAL__N_124unique_dim_cuda_templateIjEESt5tupleIJNSA_6TensorESF_SF_EERKSF_lbbbEUlllE_EE10hipError_tT0_T1_T2_jT3_P12ihipStream_tbPNSt15iterator_traitsISL_E10value_typeEPNSR_ISM_E10value_typeEPSN_NS1_7vsmem_tEENKUlT_SL_SM_SN_E_clIS8_S8_S9_S9_EESK_S10_SL_SM_SN_EUlS10_E1_NS1_11comp_targetILNS1_3genE10ELNS1_11target_archE1201ELNS1_3gpuE5ELNS1_3repE0EEENS1_36merge_oddeven_config_static_selectorELNS0_4arch9wavefront6targetE0EEEvSM_: ; @_ZN7rocprim17ROCPRIM_400000_NS6detail17trampoline_kernelINS0_14default_configENS1_38merge_sort_block_merge_config_selectorIlNS0_10empty_typeEEEZZNS1_27merge_sort_block_merge_implIS3_PlPS5_mZN2at6native12_GLOBAL__N_124unique_dim_cuda_templateIjEESt5tupleIJNSA_6TensorESF_SF_EERKSF_lbbbEUlllE_EE10hipError_tT0_T1_T2_jT3_P12ihipStream_tbPNSt15iterator_traitsISL_E10value_typeEPNSR_ISM_E10value_typeEPSN_NS1_7vsmem_tEENKUlT_SL_SM_SN_E_clIS8_S8_S9_S9_EESK_S10_SL_SM_SN_EUlS10_E1_NS1_11comp_targetILNS1_3genE10ELNS1_11target_archE1201ELNS1_3gpuE5ELNS1_3repE0EEENS1_36merge_oddeven_config_static_selectorELNS0_4arch9wavefront6targetE0EEEvSM_
; %bb.0:
	.section	.rodata,"a",@progbits
	.p2align	6, 0x0
	.amdhsa_kernel _ZN7rocprim17ROCPRIM_400000_NS6detail17trampoline_kernelINS0_14default_configENS1_38merge_sort_block_merge_config_selectorIlNS0_10empty_typeEEEZZNS1_27merge_sort_block_merge_implIS3_PlPS5_mZN2at6native12_GLOBAL__N_124unique_dim_cuda_templateIjEESt5tupleIJNSA_6TensorESF_SF_EERKSF_lbbbEUlllE_EE10hipError_tT0_T1_T2_jT3_P12ihipStream_tbPNSt15iterator_traitsISL_E10value_typeEPNSR_ISM_E10value_typeEPSN_NS1_7vsmem_tEENKUlT_SL_SM_SN_E_clIS8_S8_S9_S9_EESK_S10_SL_SM_SN_EUlS10_E1_NS1_11comp_targetILNS1_3genE10ELNS1_11target_archE1201ELNS1_3gpuE5ELNS1_3repE0EEENS1_36merge_oddeven_config_static_selectorELNS0_4arch9wavefront6targetE0EEEvSM_
		.amdhsa_group_segment_fixed_size 0
		.amdhsa_private_segment_fixed_size 0
		.amdhsa_kernarg_size 64
		.amdhsa_user_sgpr_count 15
		.amdhsa_user_sgpr_dispatch_ptr 0
		.amdhsa_user_sgpr_queue_ptr 0
		.amdhsa_user_sgpr_kernarg_segment_ptr 1
		.amdhsa_user_sgpr_dispatch_id 0
		.amdhsa_user_sgpr_private_segment_size 0
		.amdhsa_wavefront_size32 1
		.amdhsa_uses_dynamic_stack 0
		.amdhsa_enable_private_segment 0
		.amdhsa_system_sgpr_workgroup_id_x 1
		.amdhsa_system_sgpr_workgroup_id_y 0
		.amdhsa_system_sgpr_workgroup_id_z 0
		.amdhsa_system_sgpr_workgroup_info 0
		.amdhsa_system_vgpr_workitem_id 0
		.amdhsa_next_free_vgpr 1
		.amdhsa_next_free_sgpr 1
		.amdhsa_reserve_vcc 0
		.amdhsa_float_round_mode_32 0
		.amdhsa_float_round_mode_16_64 0
		.amdhsa_float_denorm_mode_32 3
		.amdhsa_float_denorm_mode_16_64 3
		.amdhsa_dx10_clamp 1
		.amdhsa_ieee_mode 1
		.amdhsa_fp16_overflow 0
		.amdhsa_workgroup_processor_mode 1
		.amdhsa_memory_ordered 1
		.amdhsa_forward_progress 0
		.amdhsa_shared_vgpr_count 0
		.amdhsa_exception_fp_ieee_invalid_op 0
		.amdhsa_exception_fp_denorm_src 0
		.amdhsa_exception_fp_ieee_div_zero 0
		.amdhsa_exception_fp_ieee_overflow 0
		.amdhsa_exception_fp_ieee_underflow 0
		.amdhsa_exception_fp_ieee_inexact 0
		.amdhsa_exception_int_div_zero 0
	.end_amdhsa_kernel
	.section	.text._ZN7rocprim17ROCPRIM_400000_NS6detail17trampoline_kernelINS0_14default_configENS1_38merge_sort_block_merge_config_selectorIlNS0_10empty_typeEEEZZNS1_27merge_sort_block_merge_implIS3_PlPS5_mZN2at6native12_GLOBAL__N_124unique_dim_cuda_templateIjEESt5tupleIJNSA_6TensorESF_SF_EERKSF_lbbbEUlllE_EE10hipError_tT0_T1_T2_jT3_P12ihipStream_tbPNSt15iterator_traitsISL_E10value_typeEPNSR_ISM_E10value_typeEPSN_NS1_7vsmem_tEENKUlT_SL_SM_SN_E_clIS8_S8_S9_S9_EESK_S10_SL_SM_SN_EUlS10_E1_NS1_11comp_targetILNS1_3genE10ELNS1_11target_archE1201ELNS1_3gpuE5ELNS1_3repE0EEENS1_36merge_oddeven_config_static_selectorELNS0_4arch9wavefront6targetE0EEEvSM_,"axG",@progbits,_ZN7rocprim17ROCPRIM_400000_NS6detail17trampoline_kernelINS0_14default_configENS1_38merge_sort_block_merge_config_selectorIlNS0_10empty_typeEEEZZNS1_27merge_sort_block_merge_implIS3_PlPS5_mZN2at6native12_GLOBAL__N_124unique_dim_cuda_templateIjEESt5tupleIJNSA_6TensorESF_SF_EERKSF_lbbbEUlllE_EE10hipError_tT0_T1_T2_jT3_P12ihipStream_tbPNSt15iterator_traitsISL_E10value_typeEPNSR_ISM_E10value_typeEPSN_NS1_7vsmem_tEENKUlT_SL_SM_SN_E_clIS8_S8_S9_S9_EESK_S10_SL_SM_SN_EUlS10_E1_NS1_11comp_targetILNS1_3genE10ELNS1_11target_archE1201ELNS1_3gpuE5ELNS1_3repE0EEENS1_36merge_oddeven_config_static_selectorELNS0_4arch9wavefront6targetE0EEEvSM_,comdat
.Lfunc_end1507:
	.size	_ZN7rocprim17ROCPRIM_400000_NS6detail17trampoline_kernelINS0_14default_configENS1_38merge_sort_block_merge_config_selectorIlNS0_10empty_typeEEEZZNS1_27merge_sort_block_merge_implIS3_PlPS5_mZN2at6native12_GLOBAL__N_124unique_dim_cuda_templateIjEESt5tupleIJNSA_6TensorESF_SF_EERKSF_lbbbEUlllE_EE10hipError_tT0_T1_T2_jT3_P12ihipStream_tbPNSt15iterator_traitsISL_E10value_typeEPNSR_ISM_E10value_typeEPSN_NS1_7vsmem_tEENKUlT_SL_SM_SN_E_clIS8_S8_S9_S9_EESK_S10_SL_SM_SN_EUlS10_E1_NS1_11comp_targetILNS1_3genE10ELNS1_11target_archE1201ELNS1_3gpuE5ELNS1_3repE0EEENS1_36merge_oddeven_config_static_selectorELNS0_4arch9wavefront6targetE0EEEvSM_, .Lfunc_end1507-_ZN7rocprim17ROCPRIM_400000_NS6detail17trampoline_kernelINS0_14default_configENS1_38merge_sort_block_merge_config_selectorIlNS0_10empty_typeEEEZZNS1_27merge_sort_block_merge_implIS3_PlPS5_mZN2at6native12_GLOBAL__N_124unique_dim_cuda_templateIjEESt5tupleIJNSA_6TensorESF_SF_EERKSF_lbbbEUlllE_EE10hipError_tT0_T1_T2_jT3_P12ihipStream_tbPNSt15iterator_traitsISL_E10value_typeEPNSR_ISM_E10value_typeEPSN_NS1_7vsmem_tEENKUlT_SL_SM_SN_E_clIS8_S8_S9_S9_EESK_S10_SL_SM_SN_EUlS10_E1_NS1_11comp_targetILNS1_3genE10ELNS1_11target_archE1201ELNS1_3gpuE5ELNS1_3repE0EEENS1_36merge_oddeven_config_static_selectorELNS0_4arch9wavefront6targetE0EEEvSM_
                                        ; -- End function
	.section	.AMDGPU.csdata,"",@progbits
; Kernel info:
; codeLenInByte = 0
; NumSgprs: 0
; NumVgprs: 0
; ScratchSize: 0
; MemoryBound: 0
; FloatMode: 240
; IeeeMode: 1
; LDSByteSize: 0 bytes/workgroup (compile time only)
; SGPRBlocks: 0
; VGPRBlocks: 0
; NumSGPRsForWavesPerEU: 1
; NumVGPRsForWavesPerEU: 1
; Occupancy: 16
; WaveLimiterHint : 0
; COMPUTE_PGM_RSRC2:SCRATCH_EN: 0
; COMPUTE_PGM_RSRC2:USER_SGPR: 15
; COMPUTE_PGM_RSRC2:TRAP_HANDLER: 0
; COMPUTE_PGM_RSRC2:TGID_X_EN: 1
; COMPUTE_PGM_RSRC2:TGID_Y_EN: 0
; COMPUTE_PGM_RSRC2:TGID_Z_EN: 0
; COMPUTE_PGM_RSRC2:TIDIG_COMP_CNT: 0
	.section	.text._ZN7rocprim17ROCPRIM_400000_NS6detail17trampoline_kernelINS0_14default_configENS1_38merge_sort_block_merge_config_selectorIlNS0_10empty_typeEEEZZNS1_27merge_sort_block_merge_implIS3_PlPS5_mZN2at6native12_GLOBAL__N_124unique_dim_cuda_templateIjEESt5tupleIJNSA_6TensorESF_SF_EERKSF_lbbbEUlllE_EE10hipError_tT0_T1_T2_jT3_P12ihipStream_tbPNSt15iterator_traitsISL_E10value_typeEPNSR_ISM_E10value_typeEPSN_NS1_7vsmem_tEENKUlT_SL_SM_SN_E_clIS8_S8_S9_S9_EESK_S10_SL_SM_SN_EUlS10_E1_NS1_11comp_targetILNS1_3genE5ELNS1_11target_archE942ELNS1_3gpuE9ELNS1_3repE0EEENS1_36merge_oddeven_config_static_selectorELNS0_4arch9wavefront6targetE0EEEvSM_,"axG",@progbits,_ZN7rocprim17ROCPRIM_400000_NS6detail17trampoline_kernelINS0_14default_configENS1_38merge_sort_block_merge_config_selectorIlNS0_10empty_typeEEEZZNS1_27merge_sort_block_merge_implIS3_PlPS5_mZN2at6native12_GLOBAL__N_124unique_dim_cuda_templateIjEESt5tupleIJNSA_6TensorESF_SF_EERKSF_lbbbEUlllE_EE10hipError_tT0_T1_T2_jT3_P12ihipStream_tbPNSt15iterator_traitsISL_E10value_typeEPNSR_ISM_E10value_typeEPSN_NS1_7vsmem_tEENKUlT_SL_SM_SN_E_clIS8_S8_S9_S9_EESK_S10_SL_SM_SN_EUlS10_E1_NS1_11comp_targetILNS1_3genE5ELNS1_11target_archE942ELNS1_3gpuE9ELNS1_3repE0EEENS1_36merge_oddeven_config_static_selectorELNS0_4arch9wavefront6targetE0EEEvSM_,comdat
	.globl	_ZN7rocprim17ROCPRIM_400000_NS6detail17trampoline_kernelINS0_14default_configENS1_38merge_sort_block_merge_config_selectorIlNS0_10empty_typeEEEZZNS1_27merge_sort_block_merge_implIS3_PlPS5_mZN2at6native12_GLOBAL__N_124unique_dim_cuda_templateIjEESt5tupleIJNSA_6TensorESF_SF_EERKSF_lbbbEUlllE_EE10hipError_tT0_T1_T2_jT3_P12ihipStream_tbPNSt15iterator_traitsISL_E10value_typeEPNSR_ISM_E10value_typeEPSN_NS1_7vsmem_tEENKUlT_SL_SM_SN_E_clIS8_S8_S9_S9_EESK_S10_SL_SM_SN_EUlS10_E1_NS1_11comp_targetILNS1_3genE5ELNS1_11target_archE942ELNS1_3gpuE9ELNS1_3repE0EEENS1_36merge_oddeven_config_static_selectorELNS0_4arch9wavefront6targetE0EEEvSM_ ; -- Begin function _ZN7rocprim17ROCPRIM_400000_NS6detail17trampoline_kernelINS0_14default_configENS1_38merge_sort_block_merge_config_selectorIlNS0_10empty_typeEEEZZNS1_27merge_sort_block_merge_implIS3_PlPS5_mZN2at6native12_GLOBAL__N_124unique_dim_cuda_templateIjEESt5tupleIJNSA_6TensorESF_SF_EERKSF_lbbbEUlllE_EE10hipError_tT0_T1_T2_jT3_P12ihipStream_tbPNSt15iterator_traitsISL_E10value_typeEPNSR_ISM_E10value_typeEPSN_NS1_7vsmem_tEENKUlT_SL_SM_SN_E_clIS8_S8_S9_S9_EESK_S10_SL_SM_SN_EUlS10_E1_NS1_11comp_targetILNS1_3genE5ELNS1_11target_archE942ELNS1_3gpuE9ELNS1_3repE0EEENS1_36merge_oddeven_config_static_selectorELNS0_4arch9wavefront6targetE0EEEvSM_
	.p2align	8
	.type	_ZN7rocprim17ROCPRIM_400000_NS6detail17trampoline_kernelINS0_14default_configENS1_38merge_sort_block_merge_config_selectorIlNS0_10empty_typeEEEZZNS1_27merge_sort_block_merge_implIS3_PlPS5_mZN2at6native12_GLOBAL__N_124unique_dim_cuda_templateIjEESt5tupleIJNSA_6TensorESF_SF_EERKSF_lbbbEUlllE_EE10hipError_tT0_T1_T2_jT3_P12ihipStream_tbPNSt15iterator_traitsISL_E10value_typeEPNSR_ISM_E10value_typeEPSN_NS1_7vsmem_tEENKUlT_SL_SM_SN_E_clIS8_S8_S9_S9_EESK_S10_SL_SM_SN_EUlS10_E1_NS1_11comp_targetILNS1_3genE5ELNS1_11target_archE942ELNS1_3gpuE9ELNS1_3repE0EEENS1_36merge_oddeven_config_static_selectorELNS0_4arch9wavefront6targetE0EEEvSM_,@function
_ZN7rocprim17ROCPRIM_400000_NS6detail17trampoline_kernelINS0_14default_configENS1_38merge_sort_block_merge_config_selectorIlNS0_10empty_typeEEEZZNS1_27merge_sort_block_merge_implIS3_PlPS5_mZN2at6native12_GLOBAL__N_124unique_dim_cuda_templateIjEESt5tupleIJNSA_6TensorESF_SF_EERKSF_lbbbEUlllE_EE10hipError_tT0_T1_T2_jT3_P12ihipStream_tbPNSt15iterator_traitsISL_E10value_typeEPNSR_ISM_E10value_typeEPSN_NS1_7vsmem_tEENKUlT_SL_SM_SN_E_clIS8_S8_S9_S9_EESK_S10_SL_SM_SN_EUlS10_E1_NS1_11comp_targetILNS1_3genE5ELNS1_11target_archE942ELNS1_3gpuE9ELNS1_3repE0EEENS1_36merge_oddeven_config_static_selectorELNS0_4arch9wavefront6targetE0EEEvSM_: ; @_ZN7rocprim17ROCPRIM_400000_NS6detail17trampoline_kernelINS0_14default_configENS1_38merge_sort_block_merge_config_selectorIlNS0_10empty_typeEEEZZNS1_27merge_sort_block_merge_implIS3_PlPS5_mZN2at6native12_GLOBAL__N_124unique_dim_cuda_templateIjEESt5tupleIJNSA_6TensorESF_SF_EERKSF_lbbbEUlllE_EE10hipError_tT0_T1_T2_jT3_P12ihipStream_tbPNSt15iterator_traitsISL_E10value_typeEPNSR_ISM_E10value_typeEPSN_NS1_7vsmem_tEENKUlT_SL_SM_SN_E_clIS8_S8_S9_S9_EESK_S10_SL_SM_SN_EUlS10_E1_NS1_11comp_targetILNS1_3genE5ELNS1_11target_archE942ELNS1_3gpuE9ELNS1_3repE0EEENS1_36merge_oddeven_config_static_selectorELNS0_4arch9wavefront6targetE0EEEvSM_
; %bb.0:
	.section	.rodata,"a",@progbits
	.p2align	6, 0x0
	.amdhsa_kernel _ZN7rocprim17ROCPRIM_400000_NS6detail17trampoline_kernelINS0_14default_configENS1_38merge_sort_block_merge_config_selectorIlNS0_10empty_typeEEEZZNS1_27merge_sort_block_merge_implIS3_PlPS5_mZN2at6native12_GLOBAL__N_124unique_dim_cuda_templateIjEESt5tupleIJNSA_6TensorESF_SF_EERKSF_lbbbEUlllE_EE10hipError_tT0_T1_T2_jT3_P12ihipStream_tbPNSt15iterator_traitsISL_E10value_typeEPNSR_ISM_E10value_typeEPSN_NS1_7vsmem_tEENKUlT_SL_SM_SN_E_clIS8_S8_S9_S9_EESK_S10_SL_SM_SN_EUlS10_E1_NS1_11comp_targetILNS1_3genE5ELNS1_11target_archE942ELNS1_3gpuE9ELNS1_3repE0EEENS1_36merge_oddeven_config_static_selectorELNS0_4arch9wavefront6targetE0EEEvSM_
		.amdhsa_group_segment_fixed_size 0
		.amdhsa_private_segment_fixed_size 0
		.amdhsa_kernarg_size 64
		.amdhsa_user_sgpr_count 15
		.amdhsa_user_sgpr_dispatch_ptr 0
		.amdhsa_user_sgpr_queue_ptr 0
		.amdhsa_user_sgpr_kernarg_segment_ptr 1
		.amdhsa_user_sgpr_dispatch_id 0
		.amdhsa_user_sgpr_private_segment_size 0
		.amdhsa_wavefront_size32 1
		.amdhsa_uses_dynamic_stack 0
		.amdhsa_enable_private_segment 0
		.amdhsa_system_sgpr_workgroup_id_x 1
		.amdhsa_system_sgpr_workgroup_id_y 0
		.amdhsa_system_sgpr_workgroup_id_z 0
		.amdhsa_system_sgpr_workgroup_info 0
		.amdhsa_system_vgpr_workitem_id 0
		.amdhsa_next_free_vgpr 1
		.amdhsa_next_free_sgpr 1
		.amdhsa_reserve_vcc 0
		.amdhsa_float_round_mode_32 0
		.amdhsa_float_round_mode_16_64 0
		.amdhsa_float_denorm_mode_32 3
		.amdhsa_float_denorm_mode_16_64 3
		.amdhsa_dx10_clamp 1
		.amdhsa_ieee_mode 1
		.amdhsa_fp16_overflow 0
		.amdhsa_workgroup_processor_mode 1
		.amdhsa_memory_ordered 1
		.amdhsa_forward_progress 0
		.amdhsa_shared_vgpr_count 0
		.amdhsa_exception_fp_ieee_invalid_op 0
		.amdhsa_exception_fp_denorm_src 0
		.amdhsa_exception_fp_ieee_div_zero 0
		.amdhsa_exception_fp_ieee_overflow 0
		.amdhsa_exception_fp_ieee_underflow 0
		.amdhsa_exception_fp_ieee_inexact 0
		.amdhsa_exception_int_div_zero 0
	.end_amdhsa_kernel
	.section	.text._ZN7rocprim17ROCPRIM_400000_NS6detail17trampoline_kernelINS0_14default_configENS1_38merge_sort_block_merge_config_selectorIlNS0_10empty_typeEEEZZNS1_27merge_sort_block_merge_implIS3_PlPS5_mZN2at6native12_GLOBAL__N_124unique_dim_cuda_templateIjEESt5tupleIJNSA_6TensorESF_SF_EERKSF_lbbbEUlllE_EE10hipError_tT0_T1_T2_jT3_P12ihipStream_tbPNSt15iterator_traitsISL_E10value_typeEPNSR_ISM_E10value_typeEPSN_NS1_7vsmem_tEENKUlT_SL_SM_SN_E_clIS8_S8_S9_S9_EESK_S10_SL_SM_SN_EUlS10_E1_NS1_11comp_targetILNS1_3genE5ELNS1_11target_archE942ELNS1_3gpuE9ELNS1_3repE0EEENS1_36merge_oddeven_config_static_selectorELNS0_4arch9wavefront6targetE0EEEvSM_,"axG",@progbits,_ZN7rocprim17ROCPRIM_400000_NS6detail17trampoline_kernelINS0_14default_configENS1_38merge_sort_block_merge_config_selectorIlNS0_10empty_typeEEEZZNS1_27merge_sort_block_merge_implIS3_PlPS5_mZN2at6native12_GLOBAL__N_124unique_dim_cuda_templateIjEESt5tupleIJNSA_6TensorESF_SF_EERKSF_lbbbEUlllE_EE10hipError_tT0_T1_T2_jT3_P12ihipStream_tbPNSt15iterator_traitsISL_E10value_typeEPNSR_ISM_E10value_typeEPSN_NS1_7vsmem_tEENKUlT_SL_SM_SN_E_clIS8_S8_S9_S9_EESK_S10_SL_SM_SN_EUlS10_E1_NS1_11comp_targetILNS1_3genE5ELNS1_11target_archE942ELNS1_3gpuE9ELNS1_3repE0EEENS1_36merge_oddeven_config_static_selectorELNS0_4arch9wavefront6targetE0EEEvSM_,comdat
.Lfunc_end1508:
	.size	_ZN7rocprim17ROCPRIM_400000_NS6detail17trampoline_kernelINS0_14default_configENS1_38merge_sort_block_merge_config_selectorIlNS0_10empty_typeEEEZZNS1_27merge_sort_block_merge_implIS3_PlPS5_mZN2at6native12_GLOBAL__N_124unique_dim_cuda_templateIjEESt5tupleIJNSA_6TensorESF_SF_EERKSF_lbbbEUlllE_EE10hipError_tT0_T1_T2_jT3_P12ihipStream_tbPNSt15iterator_traitsISL_E10value_typeEPNSR_ISM_E10value_typeEPSN_NS1_7vsmem_tEENKUlT_SL_SM_SN_E_clIS8_S8_S9_S9_EESK_S10_SL_SM_SN_EUlS10_E1_NS1_11comp_targetILNS1_3genE5ELNS1_11target_archE942ELNS1_3gpuE9ELNS1_3repE0EEENS1_36merge_oddeven_config_static_selectorELNS0_4arch9wavefront6targetE0EEEvSM_, .Lfunc_end1508-_ZN7rocprim17ROCPRIM_400000_NS6detail17trampoline_kernelINS0_14default_configENS1_38merge_sort_block_merge_config_selectorIlNS0_10empty_typeEEEZZNS1_27merge_sort_block_merge_implIS3_PlPS5_mZN2at6native12_GLOBAL__N_124unique_dim_cuda_templateIjEESt5tupleIJNSA_6TensorESF_SF_EERKSF_lbbbEUlllE_EE10hipError_tT0_T1_T2_jT3_P12ihipStream_tbPNSt15iterator_traitsISL_E10value_typeEPNSR_ISM_E10value_typeEPSN_NS1_7vsmem_tEENKUlT_SL_SM_SN_E_clIS8_S8_S9_S9_EESK_S10_SL_SM_SN_EUlS10_E1_NS1_11comp_targetILNS1_3genE5ELNS1_11target_archE942ELNS1_3gpuE9ELNS1_3repE0EEENS1_36merge_oddeven_config_static_selectorELNS0_4arch9wavefront6targetE0EEEvSM_
                                        ; -- End function
	.section	.AMDGPU.csdata,"",@progbits
; Kernel info:
; codeLenInByte = 0
; NumSgprs: 0
; NumVgprs: 0
; ScratchSize: 0
; MemoryBound: 0
; FloatMode: 240
; IeeeMode: 1
; LDSByteSize: 0 bytes/workgroup (compile time only)
; SGPRBlocks: 0
; VGPRBlocks: 0
; NumSGPRsForWavesPerEU: 1
; NumVGPRsForWavesPerEU: 1
; Occupancy: 16
; WaveLimiterHint : 0
; COMPUTE_PGM_RSRC2:SCRATCH_EN: 0
; COMPUTE_PGM_RSRC2:USER_SGPR: 15
; COMPUTE_PGM_RSRC2:TRAP_HANDLER: 0
; COMPUTE_PGM_RSRC2:TGID_X_EN: 1
; COMPUTE_PGM_RSRC2:TGID_Y_EN: 0
; COMPUTE_PGM_RSRC2:TGID_Z_EN: 0
; COMPUTE_PGM_RSRC2:TIDIG_COMP_CNT: 0
	.section	.text._ZN7rocprim17ROCPRIM_400000_NS6detail17trampoline_kernelINS0_14default_configENS1_38merge_sort_block_merge_config_selectorIlNS0_10empty_typeEEEZZNS1_27merge_sort_block_merge_implIS3_PlPS5_mZN2at6native12_GLOBAL__N_124unique_dim_cuda_templateIjEESt5tupleIJNSA_6TensorESF_SF_EERKSF_lbbbEUlllE_EE10hipError_tT0_T1_T2_jT3_P12ihipStream_tbPNSt15iterator_traitsISL_E10value_typeEPNSR_ISM_E10value_typeEPSN_NS1_7vsmem_tEENKUlT_SL_SM_SN_E_clIS8_S8_S9_S9_EESK_S10_SL_SM_SN_EUlS10_E1_NS1_11comp_targetILNS1_3genE4ELNS1_11target_archE910ELNS1_3gpuE8ELNS1_3repE0EEENS1_36merge_oddeven_config_static_selectorELNS0_4arch9wavefront6targetE0EEEvSM_,"axG",@progbits,_ZN7rocprim17ROCPRIM_400000_NS6detail17trampoline_kernelINS0_14default_configENS1_38merge_sort_block_merge_config_selectorIlNS0_10empty_typeEEEZZNS1_27merge_sort_block_merge_implIS3_PlPS5_mZN2at6native12_GLOBAL__N_124unique_dim_cuda_templateIjEESt5tupleIJNSA_6TensorESF_SF_EERKSF_lbbbEUlllE_EE10hipError_tT0_T1_T2_jT3_P12ihipStream_tbPNSt15iterator_traitsISL_E10value_typeEPNSR_ISM_E10value_typeEPSN_NS1_7vsmem_tEENKUlT_SL_SM_SN_E_clIS8_S8_S9_S9_EESK_S10_SL_SM_SN_EUlS10_E1_NS1_11comp_targetILNS1_3genE4ELNS1_11target_archE910ELNS1_3gpuE8ELNS1_3repE0EEENS1_36merge_oddeven_config_static_selectorELNS0_4arch9wavefront6targetE0EEEvSM_,comdat
	.globl	_ZN7rocprim17ROCPRIM_400000_NS6detail17trampoline_kernelINS0_14default_configENS1_38merge_sort_block_merge_config_selectorIlNS0_10empty_typeEEEZZNS1_27merge_sort_block_merge_implIS3_PlPS5_mZN2at6native12_GLOBAL__N_124unique_dim_cuda_templateIjEESt5tupleIJNSA_6TensorESF_SF_EERKSF_lbbbEUlllE_EE10hipError_tT0_T1_T2_jT3_P12ihipStream_tbPNSt15iterator_traitsISL_E10value_typeEPNSR_ISM_E10value_typeEPSN_NS1_7vsmem_tEENKUlT_SL_SM_SN_E_clIS8_S8_S9_S9_EESK_S10_SL_SM_SN_EUlS10_E1_NS1_11comp_targetILNS1_3genE4ELNS1_11target_archE910ELNS1_3gpuE8ELNS1_3repE0EEENS1_36merge_oddeven_config_static_selectorELNS0_4arch9wavefront6targetE0EEEvSM_ ; -- Begin function _ZN7rocprim17ROCPRIM_400000_NS6detail17trampoline_kernelINS0_14default_configENS1_38merge_sort_block_merge_config_selectorIlNS0_10empty_typeEEEZZNS1_27merge_sort_block_merge_implIS3_PlPS5_mZN2at6native12_GLOBAL__N_124unique_dim_cuda_templateIjEESt5tupleIJNSA_6TensorESF_SF_EERKSF_lbbbEUlllE_EE10hipError_tT0_T1_T2_jT3_P12ihipStream_tbPNSt15iterator_traitsISL_E10value_typeEPNSR_ISM_E10value_typeEPSN_NS1_7vsmem_tEENKUlT_SL_SM_SN_E_clIS8_S8_S9_S9_EESK_S10_SL_SM_SN_EUlS10_E1_NS1_11comp_targetILNS1_3genE4ELNS1_11target_archE910ELNS1_3gpuE8ELNS1_3repE0EEENS1_36merge_oddeven_config_static_selectorELNS0_4arch9wavefront6targetE0EEEvSM_
	.p2align	8
	.type	_ZN7rocprim17ROCPRIM_400000_NS6detail17trampoline_kernelINS0_14default_configENS1_38merge_sort_block_merge_config_selectorIlNS0_10empty_typeEEEZZNS1_27merge_sort_block_merge_implIS3_PlPS5_mZN2at6native12_GLOBAL__N_124unique_dim_cuda_templateIjEESt5tupleIJNSA_6TensorESF_SF_EERKSF_lbbbEUlllE_EE10hipError_tT0_T1_T2_jT3_P12ihipStream_tbPNSt15iterator_traitsISL_E10value_typeEPNSR_ISM_E10value_typeEPSN_NS1_7vsmem_tEENKUlT_SL_SM_SN_E_clIS8_S8_S9_S9_EESK_S10_SL_SM_SN_EUlS10_E1_NS1_11comp_targetILNS1_3genE4ELNS1_11target_archE910ELNS1_3gpuE8ELNS1_3repE0EEENS1_36merge_oddeven_config_static_selectorELNS0_4arch9wavefront6targetE0EEEvSM_,@function
_ZN7rocprim17ROCPRIM_400000_NS6detail17trampoline_kernelINS0_14default_configENS1_38merge_sort_block_merge_config_selectorIlNS0_10empty_typeEEEZZNS1_27merge_sort_block_merge_implIS3_PlPS5_mZN2at6native12_GLOBAL__N_124unique_dim_cuda_templateIjEESt5tupleIJNSA_6TensorESF_SF_EERKSF_lbbbEUlllE_EE10hipError_tT0_T1_T2_jT3_P12ihipStream_tbPNSt15iterator_traitsISL_E10value_typeEPNSR_ISM_E10value_typeEPSN_NS1_7vsmem_tEENKUlT_SL_SM_SN_E_clIS8_S8_S9_S9_EESK_S10_SL_SM_SN_EUlS10_E1_NS1_11comp_targetILNS1_3genE4ELNS1_11target_archE910ELNS1_3gpuE8ELNS1_3repE0EEENS1_36merge_oddeven_config_static_selectorELNS0_4arch9wavefront6targetE0EEEvSM_: ; @_ZN7rocprim17ROCPRIM_400000_NS6detail17trampoline_kernelINS0_14default_configENS1_38merge_sort_block_merge_config_selectorIlNS0_10empty_typeEEEZZNS1_27merge_sort_block_merge_implIS3_PlPS5_mZN2at6native12_GLOBAL__N_124unique_dim_cuda_templateIjEESt5tupleIJNSA_6TensorESF_SF_EERKSF_lbbbEUlllE_EE10hipError_tT0_T1_T2_jT3_P12ihipStream_tbPNSt15iterator_traitsISL_E10value_typeEPNSR_ISM_E10value_typeEPSN_NS1_7vsmem_tEENKUlT_SL_SM_SN_E_clIS8_S8_S9_S9_EESK_S10_SL_SM_SN_EUlS10_E1_NS1_11comp_targetILNS1_3genE4ELNS1_11target_archE910ELNS1_3gpuE8ELNS1_3repE0EEENS1_36merge_oddeven_config_static_selectorELNS0_4arch9wavefront6targetE0EEEvSM_
; %bb.0:
	.section	.rodata,"a",@progbits
	.p2align	6, 0x0
	.amdhsa_kernel _ZN7rocprim17ROCPRIM_400000_NS6detail17trampoline_kernelINS0_14default_configENS1_38merge_sort_block_merge_config_selectorIlNS0_10empty_typeEEEZZNS1_27merge_sort_block_merge_implIS3_PlPS5_mZN2at6native12_GLOBAL__N_124unique_dim_cuda_templateIjEESt5tupleIJNSA_6TensorESF_SF_EERKSF_lbbbEUlllE_EE10hipError_tT0_T1_T2_jT3_P12ihipStream_tbPNSt15iterator_traitsISL_E10value_typeEPNSR_ISM_E10value_typeEPSN_NS1_7vsmem_tEENKUlT_SL_SM_SN_E_clIS8_S8_S9_S9_EESK_S10_SL_SM_SN_EUlS10_E1_NS1_11comp_targetILNS1_3genE4ELNS1_11target_archE910ELNS1_3gpuE8ELNS1_3repE0EEENS1_36merge_oddeven_config_static_selectorELNS0_4arch9wavefront6targetE0EEEvSM_
		.amdhsa_group_segment_fixed_size 0
		.amdhsa_private_segment_fixed_size 0
		.amdhsa_kernarg_size 64
		.amdhsa_user_sgpr_count 15
		.amdhsa_user_sgpr_dispatch_ptr 0
		.amdhsa_user_sgpr_queue_ptr 0
		.amdhsa_user_sgpr_kernarg_segment_ptr 1
		.amdhsa_user_sgpr_dispatch_id 0
		.amdhsa_user_sgpr_private_segment_size 0
		.amdhsa_wavefront_size32 1
		.amdhsa_uses_dynamic_stack 0
		.amdhsa_enable_private_segment 0
		.amdhsa_system_sgpr_workgroup_id_x 1
		.amdhsa_system_sgpr_workgroup_id_y 0
		.amdhsa_system_sgpr_workgroup_id_z 0
		.amdhsa_system_sgpr_workgroup_info 0
		.amdhsa_system_vgpr_workitem_id 0
		.amdhsa_next_free_vgpr 1
		.amdhsa_next_free_sgpr 1
		.amdhsa_reserve_vcc 0
		.amdhsa_float_round_mode_32 0
		.amdhsa_float_round_mode_16_64 0
		.amdhsa_float_denorm_mode_32 3
		.amdhsa_float_denorm_mode_16_64 3
		.amdhsa_dx10_clamp 1
		.amdhsa_ieee_mode 1
		.amdhsa_fp16_overflow 0
		.amdhsa_workgroup_processor_mode 1
		.amdhsa_memory_ordered 1
		.amdhsa_forward_progress 0
		.amdhsa_shared_vgpr_count 0
		.amdhsa_exception_fp_ieee_invalid_op 0
		.amdhsa_exception_fp_denorm_src 0
		.amdhsa_exception_fp_ieee_div_zero 0
		.amdhsa_exception_fp_ieee_overflow 0
		.amdhsa_exception_fp_ieee_underflow 0
		.amdhsa_exception_fp_ieee_inexact 0
		.amdhsa_exception_int_div_zero 0
	.end_amdhsa_kernel
	.section	.text._ZN7rocprim17ROCPRIM_400000_NS6detail17trampoline_kernelINS0_14default_configENS1_38merge_sort_block_merge_config_selectorIlNS0_10empty_typeEEEZZNS1_27merge_sort_block_merge_implIS3_PlPS5_mZN2at6native12_GLOBAL__N_124unique_dim_cuda_templateIjEESt5tupleIJNSA_6TensorESF_SF_EERKSF_lbbbEUlllE_EE10hipError_tT0_T1_T2_jT3_P12ihipStream_tbPNSt15iterator_traitsISL_E10value_typeEPNSR_ISM_E10value_typeEPSN_NS1_7vsmem_tEENKUlT_SL_SM_SN_E_clIS8_S8_S9_S9_EESK_S10_SL_SM_SN_EUlS10_E1_NS1_11comp_targetILNS1_3genE4ELNS1_11target_archE910ELNS1_3gpuE8ELNS1_3repE0EEENS1_36merge_oddeven_config_static_selectorELNS0_4arch9wavefront6targetE0EEEvSM_,"axG",@progbits,_ZN7rocprim17ROCPRIM_400000_NS6detail17trampoline_kernelINS0_14default_configENS1_38merge_sort_block_merge_config_selectorIlNS0_10empty_typeEEEZZNS1_27merge_sort_block_merge_implIS3_PlPS5_mZN2at6native12_GLOBAL__N_124unique_dim_cuda_templateIjEESt5tupleIJNSA_6TensorESF_SF_EERKSF_lbbbEUlllE_EE10hipError_tT0_T1_T2_jT3_P12ihipStream_tbPNSt15iterator_traitsISL_E10value_typeEPNSR_ISM_E10value_typeEPSN_NS1_7vsmem_tEENKUlT_SL_SM_SN_E_clIS8_S8_S9_S9_EESK_S10_SL_SM_SN_EUlS10_E1_NS1_11comp_targetILNS1_3genE4ELNS1_11target_archE910ELNS1_3gpuE8ELNS1_3repE0EEENS1_36merge_oddeven_config_static_selectorELNS0_4arch9wavefront6targetE0EEEvSM_,comdat
.Lfunc_end1509:
	.size	_ZN7rocprim17ROCPRIM_400000_NS6detail17trampoline_kernelINS0_14default_configENS1_38merge_sort_block_merge_config_selectorIlNS0_10empty_typeEEEZZNS1_27merge_sort_block_merge_implIS3_PlPS5_mZN2at6native12_GLOBAL__N_124unique_dim_cuda_templateIjEESt5tupleIJNSA_6TensorESF_SF_EERKSF_lbbbEUlllE_EE10hipError_tT0_T1_T2_jT3_P12ihipStream_tbPNSt15iterator_traitsISL_E10value_typeEPNSR_ISM_E10value_typeEPSN_NS1_7vsmem_tEENKUlT_SL_SM_SN_E_clIS8_S8_S9_S9_EESK_S10_SL_SM_SN_EUlS10_E1_NS1_11comp_targetILNS1_3genE4ELNS1_11target_archE910ELNS1_3gpuE8ELNS1_3repE0EEENS1_36merge_oddeven_config_static_selectorELNS0_4arch9wavefront6targetE0EEEvSM_, .Lfunc_end1509-_ZN7rocprim17ROCPRIM_400000_NS6detail17trampoline_kernelINS0_14default_configENS1_38merge_sort_block_merge_config_selectorIlNS0_10empty_typeEEEZZNS1_27merge_sort_block_merge_implIS3_PlPS5_mZN2at6native12_GLOBAL__N_124unique_dim_cuda_templateIjEESt5tupleIJNSA_6TensorESF_SF_EERKSF_lbbbEUlllE_EE10hipError_tT0_T1_T2_jT3_P12ihipStream_tbPNSt15iterator_traitsISL_E10value_typeEPNSR_ISM_E10value_typeEPSN_NS1_7vsmem_tEENKUlT_SL_SM_SN_E_clIS8_S8_S9_S9_EESK_S10_SL_SM_SN_EUlS10_E1_NS1_11comp_targetILNS1_3genE4ELNS1_11target_archE910ELNS1_3gpuE8ELNS1_3repE0EEENS1_36merge_oddeven_config_static_selectorELNS0_4arch9wavefront6targetE0EEEvSM_
                                        ; -- End function
	.section	.AMDGPU.csdata,"",@progbits
; Kernel info:
; codeLenInByte = 0
; NumSgprs: 0
; NumVgprs: 0
; ScratchSize: 0
; MemoryBound: 0
; FloatMode: 240
; IeeeMode: 1
; LDSByteSize: 0 bytes/workgroup (compile time only)
; SGPRBlocks: 0
; VGPRBlocks: 0
; NumSGPRsForWavesPerEU: 1
; NumVGPRsForWavesPerEU: 1
; Occupancy: 16
; WaveLimiterHint : 0
; COMPUTE_PGM_RSRC2:SCRATCH_EN: 0
; COMPUTE_PGM_RSRC2:USER_SGPR: 15
; COMPUTE_PGM_RSRC2:TRAP_HANDLER: 0
; COMPUTE_PGM_RSRC2:TGID_X_EN: 1
; COMPUTE_PGM_RSRC2:TGID_Y_EN: 0
; COMPUTE_PGM_RSRC2:TGID_Z_EN: 0
; COMPUTE_PGM_RSRC2:TIDIG_COMP_CNT: 0
	.section	.text._ZN7rocprim17ROCPRIM_400000_NS6detail17trampoline_kernelINS0_14default_configENS1_38merge_sort_block_merge_config_selectorIlNS0_10empty_typeEEEZZNS1_27merge_sort_block_merge_implIS3_PlPS5_mZN2at6native12_GLOBAL__N_124unique_dim_cuda_templateIjEESt5tupleIJNSA_6TensorESF_SF_EERKSF_lbbbEUlllE_EE10hipError_tT0_T1_T2_jT3_P12ihipStream_tbPNSt15iterator_traitsISL_E10value_typeEPNSR_ISM_E10value_typeEPSN_NS1_7vsmem_tEENKUlT_SL_SM_SN_E_clIS8_S8_S9_S9_EESK_S10_SL_SM_SN_EUlS10_E1_NS1_11comp_targetILNS1_3genE3ELNS1_11target_archE908ELNS1_3gpuE7ELNS1_3repE0EEENS1_36merge_oddeven_config_static_selectorELNS0_4arch9wavefront6targetE0EEEvSM_,"axG",@progbits,_ZN7rocprim17ROCPRIM_400000_NS6detail17trampoline_kernelINS0_14default_configENS1_38merge_sort_block_merge_config_selectorIlNS0_10empty_typeEEEZZNS1_27merge_sort_block_merge_implIS3_PlPS5_mZN2at6native12_GLOBAL__N_124unique_dim_cuda_templateIjEESt5tupleIJNSA_6TensorESF_SF_EERKSF_lbbbEUlllE_EE10hipError_tT0_T1_T2_jT3_P12ihipStream_tbPNSt15iterator_traitsISL_E10value_typeEPNSR_ISM_E10value_typeEPSN_NS1_7vsmem_tEENKUlT_SL_SM_SN_E_clIS8_S8_S9_S9_EESK_S10_SL_SM_SN_EUlS10_E1_NS1_11comp_targetILNS1_3genE3ELNS1_11target_archE908ELNS1_3gpuE7ELNS1_3repE0EEENS1_36merge_oddeven_config_static_selectorELNS0_4arch9wavefront6targetE0EEEvSM_,comdat
	.globl	_ZN7rocprim17ROCPRIM_400000_NS6detail17trampoline_kernelINS0_14default_configENS1_38merge_sort_block_merge_config_selectorIlNS0_10empty_typeEEEZZNS1_27merge_sort_block_merge_implIS3_PlPS5_mZN2at6native12_GLOBAL__N_124unique_dim_cuda_templateIjEESt5tupleIJNSA_6TensorESF_SF_EERKSF_lbbbEUlllE_EE10hipError_tT0_T1_T2_jT3_P12ihipStream_tbPNSt15iterator_traitsISL_E10value_typeEPNSR_ISM_E10value_typeEPSN_NS1_7vsmem_tEENKUlT_SL_SM_SN_E_clIS8_S8_S9_S9_EESK_S10_SL_SM_SN_EUlS10_E1_NS1_11comp_targetILNS1_3genE3ELNS1_11target_archE908ELNS1_3gpuE7ELNS1_3repE0EEENS1_36merge_oddeven_config_static_selectorELNS0_4arch9wavefront6targetE0EEEvSM_ ; -- Begin function _ZN7rocprim17ROCPRIM_400000_NS6detail17trampoline_kernelINS0_14default_configENS1_38merge_sort_block_merge_config_selectorIlNS0_10empty_typeEEEZZNS1_27merge_sort_block_merge_implIS3_PlPS5_mZN2at6native12_GLOBAL__N_124unique_dim_cuda_templateIjEESt5tupleIJNSA_6TensorESF_SF_EERKSF_lbbbEUlllE_EE10hipError_tT0_T1_T2_jT3_P12ihipStream_tbPNSt15iterator_traitsISL_E10value_typeEPNSR_ISM_E10value_typeEPSN_NS1_7vsmem_tEENKUlT_SL_SM_SN_E_clIS8_S8_S9_S9_EESK_S10_SL_SM_SN_EUlS10_E1_NS1_11comp_targetILNS1_3genE3ELNS1_11target_archE908ELNS1_3gpuE7ELNS1_3repE0EEENS1_36merge_oddeven_config_static_selectorELNS0_4arch9wavefront6targetE0EEEvSM_
	.p2align	8
	.type	_ZN7rocprim17ROCPRIM_400000_NS6detail17trampoline_kernelINS0_14default_configENS1_38merge_sort_block_merge_config_selectorIlNS0_10empty_typeEEEZZNS1_27merge_sort_block_merge_implIS3_PlPS5_mZN2at6native12_GLOBAL__N_124unique_dim_cuda_templateIjEESt5tupleIJNSA_6TensorESF_SF_EERKSF_lbbbEUlllE_EE10hipError_tT0_T1_T2_jT3_P12ihipStream_tbPNSt15iterator_traitsISL_E10value_typeEPNSR_ISM_E10value_typeEPSN_NS1_7vsmem_tEENKUlT_SL_SM_SN_E_clIS8_S8_S9_S9_EESK_S10_SL_SM_SN_EUlS10_E1_NS1_11comp_targetILNS1_3genE3ELNS1_11target_archE908ELNS1_3gpuE7ELNS1_3repE0EEENS1_36merge_oddeven_config_static_selectorELNS0_4arch9wavefront6targetE0EEEvSM_,@function
_ZN7rocprim17ROCPRIM_400000_NS6detail17trampoline_kernelINS0_14default_configENS1_38merge_sort_block_merge_config_selectorIlNS0_10empty_typeEEEZZNS1_27merge_sort_block_merge_implIS3_PlPS5_mZN2at6native12_GLOBAL__N_124unique_dim_cuda_templateIjEESt5tupleIJNSA_6TensorESF_SF_EERKSF_lbbbEUlllE_EE10hipError_tT0_T1_T2_jT3_P12ihipStream_tbPNSt15iterator_traitsISL_E10value_typeEPNSR_ISM_E10value_typeEPSN_NS1_7vsmem_tEENKUlT_SL_SM_SN_E_clIS8_S8_S9_S9_EESK_S10_SL_SM_SN_EUlS10_E1_NS1_11comp_targetILNS1_3genE3ELNS1_11target_archE908ELNS1_3gpuE7ELNS1_3repE0EEENS1_36merge_oddeven_config_static_selectorELNS0_4arch9wavefront6targetE0EEEvSM_: ; @_ZN7rocprim17ROCPRIM_400000_NS6detail17trampoline_kernelINS0_14default_configENS1_38merge_sort_block_merge_config_selectorIlNS0_10empty_typeEEEZZNS1_27merge_sort_block_merge_implIS3_PlPS5_mZN2at6native12_GLOBAL__N_124unique_dim_cuda_templateIjEESt5tupleIJNSA_6TensorESF_SF_EERKSF_lbbbEUlllE_EE10hipError_tT0_T1_T2_jT3_P12ihipStream_tbPNSt15iterator_traitsISL_E10value_typeEPNSR_ISM_E10value_typeEPSN_NS1_7vsmem_tEENKUlT_SL_SM_SN_E_clIS8_S8_S9_S9_EESK_S10_SL_SM_SN_EUlS10_E1_NS1_11comp_targetILNS1_3genE3ELNS1_11target_archE908ELNS1_3gpuE7ELNS1_3repE0EEENS1_36merge_oddeven_config_static_selectorELNS0_4arch9wavefront6targetE0EEEvSM_
; %bb.0:
	.section	.rodata,"a",@progbits
	.p2align	6, 0x0
	.amdhsa_kernel _ZN7rocprim17ROCPRIM_400000_NS6detail17trampoline_kernelINS0_14default_configENS1_38merge_sort_block_merge_config_selectorIlNS0_10empty_typeEEEZZNS1_27merge_sort_block_merge_implIS3_PlPS5_mZN2at6native12_GLOBAL__N_124unique_dim_cuda_templateIjEESt5tupleIJNSA_6TensorESF_SF_EERKSF_lbbbEUlllE_EE10hipError_tT0_T1_T2_jT3_P12ihipStream_tbPNSt15iterator_traitsISL_E10value_typeEPNSR_ISM_E10value_typeEPSN_NS1_7vsmem_tEENKUlT_SL_SM_SN_E_clIS8_S8_S9_S9_EESK_S10_SL_SM_SN_EUlS10_E1_NS1_11comp_targetILNS1_3genE3ELNS1_11target_archE908ELNS1_3gpuE7ELNS1_3repE0EEENS1_36merge_oddeven_config_static_selectorELNS0_4arch9wavefront6targetE0EEEvSM_
		.amdhsa_group_segment_fixed_size 0
		.amdhsa_private_segment_fixed_size 0
		.amdhsa_kernarg_size 64
		.amdhsa_user_sgpr_count 15
		.amdhsa_user_sgpr_dispatch_ptr 0
		.amdhsa_user_sgpr_queue_ptr 0
		.amdhsa_user_sgpr_kernarg_segment_ptr 1
		.amdhsa_user_sgpr_dispatch_id 0
		.amdhsa_user_sgpr_private_segment_size 0
		.amdhsa_wavefront_size32 1
		.amdhsa_uses_dynamic_stack 0
		.amdhsa_enable_private_segment 0
		.amdhsa_system_sgpr_workgroup_id_x 1
		.amdhsa_system_sgpr_workgroup_id_y 0
		.amdhsa_system_sgpr_workgroup_id_z 0
		.amdhsa_system_sgpr_workgroup_info 0
		.amdhsa_system_vgpr_workitem_id 0
		.amdhsa_next_free_vgpr 1
		.amdhsa_next_free_sgpr 1
		.amdhsa_reserve_vcc 0
		.amdhsa_float_round_mode_32 0
		.amdhsa_float_round_mode_16_64 0
		.amdhsa_float_denorm_mode_32 3
		.amdhsa_float_denorm_mode_16_64 3
		.amdhsa_dx10_clamp 1
		.amdhsa_ieee_mode 1
		.amdhsa_fp16_overflow 0
		.amdhsa_workgroup_processor_mode 1
		.amdhsa_memory_ordered 1
		.amdhsa_forward_progress 0
		.amdhsa_shared_vgpr_count 0
		.amdhsa_exception_fp_ieee_invalid_op 0
		.amdhsa_exception_fp_denorm_src 0
		.amdhsa_exception_fp_ieee_div_zero 0
		.amdhsa_exception_fp_ieee_overflow 0
		.amdhsa_exception_fp_ieee_underflow 0
		.amdhsa_exception_fp_ieee_inexact 0
		.amdhsa_exception_int_div_zero 0
	.end_amdhsa_kernel
	.section	.text._ZN7rocprim17ROCPRIM_400000_NS6detail17trampoline_kernelINS0_14default_configENS1_38merge_sort_block_merge_config_selectorIlNS0_10empty_typeEEEZZNS1_27merge_sort_block_merge_implIS3_PlPS5_mZN2at6native12_GLOBAL__N_124unique_dim_cuda_templateIjEESt5tupleIJNSA_6TensorESF_SF_EERKSF_lbbbEUlllE_EE10hipError_tT0_T1_T2_jT3_P12ihipStream_tbPNSt15iterator_traitsISL_E10value_typeEPNSR_ISM_E10value_typeEPSN_NS1_7vsmem_tEENKUlT_SL_SM_SN_E_clIS8_S8_S9_S9_EESK_S10_SL_SM_SN_EUlS10_E1_NS1_11comp_targetILNS1_3genE3ELNS1_11target_archE908ELNS1_3gpuE7ELNS1_3repE0EEENS1_36merge_oddeven_config_static_selectorELNS0_4arch9wavefront6targetE0EEEvSM_,"axG",@progbits,_ZN7rocprim17ROCPRIM_400000_NS6detail17trampoline_kernelINS0_14default_configENS1_38merge_sort_block_merge_config_selectorIlNS0_10empty_typeEEEZZNS1_27merge_sort_block_merge_implIS3_PlPS5_mZN2at6native12_GLOBAL__N_124unique_dim_cuda_templateIjEESt5tupleIJNSA_6TensorESF_SF_EERKSF_lbbbEUlllE_EE10hipError_tT0_T1_T2_jT3_P12ihipStream_tbPNSt15iterator_traitsISL_E10value_typeEPNSR_ISM_E10value_typeEPSN_NS1_7vsmem_tEENKUlT_SL_SM_SN_E_clIS8_S8_S9_S9_EESK_S10_SL_SM_SN_EUlS10_E1_NS1_11comp_targetILNS1_3genE3ELNS1_11target_archE908ELNS1_3gpuE7ELNS1_3repE0EEENS1_36merge_oddeven_config_static_selectorELNS0_4arch9wavefront6targetE0EEEvSM_,comdat
.Lfunc_end1510:
	.size	_ZN7rocprim17ROCPRIM_400000_NS6detail17trampoline_kernelINS0_14default_configENS1_38merge_sort_block_merge_config_selectorIlNS0_10empty_typeEEEZZNS1_27merge_sort_block_merge_implIS3_PlPS5_mZN2at6native12_GLOBAL__N_124unique_dim_cuda_templateIjEESt5tupleIJNSA_6TensorESF_SF_EERKSF_lbbbEUlllE_EE10hipError_tT0_T1_T2_jT3_P12ihipStream_tbPNSt15iterator_traitsISL_E10value_typeEPNSR_ISM_E10value_typeEPSN_NS1_7vsmem_tEENKUlT_SL_SM_SN_E_clIS8_S8_S9_S9_EESK_S10_SL_SM_SN_EUlS10_E1_NS1_11comp_targetILNS1_3genE3ELNS1_11target_archE908ELNS1_3gpuE7ELNS1_3repE0EEENS1_36merge_oddeven_config_static_selectorELNS0_4arch9wavefront6targetE0EEEvSM_, .Lfunc_end1510-_ZN7rocprim17ROCPRIM_400000_NS6detail17trampoline_kernelINS0_14default_configENS1_38merge_sort_block_merge_config_selectorIlNS0_10empty_typeEEEZZNS1_27merge_sort_block_merge_implIS3_PlPS5_mZN2at6native12_GLOBAL__N_124unique_dim_cuda_templateIjEESt5tupleIJNSA_6TensorESF_SF_EERKSF_lbbbEUlllE_EE10hipError_tT0_T1_T2_jT3_P12ihipStream_tbPNSt15iterator_traitsISL_E10value_typeEPNSR_ISM_E10value_typeEPSN_NS1_7vsmem_tEENKUlT_SL_SM_SN_E_clIS8_S8_S9_S9_EESK_S10_SL_SM_SN_EUlS10_E1_NS1_11comp_targetILNS1_3genE3ELNS1_11target_archE908ELNS1_3gpuE7ELNS1_3repE0EEENS1_36merge_oddeven_config_static_selectorELNS0_4arch9wavefront6targetE0EEEvSM_
                                        ; -- End function
	.section	.AMDGPU.csdata,"",@progbits
; Kernel info:
; codeLenInByte = 0
; NumSgprs: 0
; NumVgprs: 0
; ScratchSize: 0
; MemoryBound: 0
; FloatMode: 240
; IeeeMode: 1
; LDSByteSize: 0 bytes/workgroup (compile time only)
; SGPRBlocks: 0
; VGPRBlocks: 0
; NumSGPRsForWavesPerEU: 1
; NumVGPRsForWavesPerEU: 1
; Occupancy: 16
; WaveLimiterHint : 0
; COMPUTE_PGM_RSRC2:SCRATCH_EN: 0
; COMPUTE_PGM_RSRC2:USER_SGPR: 15
; COMPUTE_PGM_RSRC2:TRAP_HANDLER: 0
; COMPUTE_PGM_RSRC2:TGID_X_EN: 1
; COMPUTE_PGM_RSRC2:TGID_Y_EN: 0
; COMPUTE_PGM_RSRC2:TGID_Z_EN: 0
; COMPUTE_PGM_RSRC2:TIDIG_COMP_CNT: 0
	.section	.text._ZN7rocprim17ROCPRIM_400000_NS6detail17trampoline_kernelINS0_14default_configENS1_38merge_sort_block_merge_config_selectorIlNS0_10empty_typeEEEZZNS1_27merge_sort_block_merge_implIS3_PlPS5_mZN2at6native12_GLOBAL__N_124unique_dim_cuda_templateIjEESt5tupleIJNSA_6TensorESF_SF_EERKSF_lbbbEUlllE_EE10hipError_tT0_T1_T2_jT3_P12ihipStream_tbPNSt15iterator_traitsISL_E10value_typeEPNSR_ISM_E10value_typeEPSN_NS1_7vsmem_tEENKUlT_SL_SM_SN_E_clIS8_S8_S9_S9_EESK_S10_SL_SM_SN_EUlS10_E1_NS1_11comp_targetILNS1_3genE2ELNS1_11target_archE906ELNS1_3gpuE6ELNS1_3repE0EEENS1_36merge_oddeven_config_static_selectorELNS0_4arch9wavefront6targetE0EEEvSM_,"axG",@progbits,_ZN7rocprim17ROCPRIM_400000_NS6detail17trampoline_kernelINS0_14default_configENS1_38merge_sort_block_merge_config_selectorIlNS0_10empty_typeEEEZZNS1_27merge_sort_block_merge_implIS3_PlPS5_mZN2at6native12_GLOBAL__N_124unique_dim_cuda_templateIjEESt5tupleIJNSA_6TensorESF_SF_EERKSF_lbbbEUlllE_EE10hipError_tT0_T1_T2_jT3_P12ihipStream_tbPNSt15iterator_traitsISL_E10value_typeEPNSR_ISM_E10value_typeEPSN_NS1_7vsmem_tEENKUlT_SL_SM_SN_E_clIS8_S8_S9_S9_EESK_S10_SL_SM_SN_EUlS10_E1_NS1_11comp_targetILNS1_3genE2ELNS1_11target_archE906ELNS1_3gpuE6ELNS1_3repE0EEENS1_36merge_oddeven_config_static_selectorELNS0_4arch9wavefront6targetE0EEEvSM_,comdat
	.globl	_ZN7rocprim17ROCPRIM_400000_NS6detail17trampoline_kernelINS0_14default_configENS1_38merge_sort_block_merge_config_selectorIlNS0_10empty_typeEEEZZNS1_27merge_sort_block_merge_implIS3_PlPS5_mZN2at6native12_GLOBAL__N_124unique_dim_cuda_templateIjEESt5tupleIJNSA_6TensorESF_SF_EERKSF_lbbbEUlllE_EE10hipError_tT0_T1_T2_jT3_P12ihipStream_tbPNSt15iterator_traitsISL_E10value_typeEPNSR_ISM_E10value_typeEPSN_NS1_7vsmem_tEENKUlT_SL_SM_SN_E_clIS8_S8_S9_S9_EESK_S10_SL_SM_SN_EUlS10_E1_NS1_11comp_targetILNS1_3genE2ELNS1_11target_archE906ELNS1_3gpuE6ELNS1_3repE0EEENS1_36merge_oddeven_config_static_selectorELNS0_4arch9wavefront6targetE0EEEvSM_ ; -- Begin function _ZN7rocprim17ROCPRIM_400000_NS6detail17trampoline_kernelINS0_14default_configENS1_38merge_sort_block_merge_config_selectorIlNS0_10empty_typeEEEZZNS1_27merge_sort_block_merge_implIS3_PlPS5_mZN2at6native12_GLOBAL__N_124unique_dim_cuda_templateIjEESt5tupleIJNSA_6TensorESF_SF_EERKSF_lbbbEUlllE_EE10hipError_tT0_T1_T2_jT3_P12ihipStream_tbPNSt15iterator_traitsISL_E10value_typeEPNSR_ISM_E10value_typeEPSN_NS1_7vsmem_tEENKUlT_SL_SM_SN_E_clIS8_S8_S9_S9_EESK_S10_SL_SM_SN_EUlS10_E1_NS1_11comp_targetILNS1_3genE2ELNS1_11target_archE906ELNS1_3gpuE6ELNS1_3repE0EEENS1_36merge_oddeven_config_static_selectorELNS0_4arch9wavefront6targetE0EEEvSM_
	.p2align	8
	.type	_ZN7rocprim17ROCPRIM_400000_NS6detail17trampoline_kernelINS0_14default_configENS1_38merge_sort_block_merge_config_selectorIlNS0_10empty_typeEEEZZNS1_27merge_sort_block_merge_implIS3_PlPS5_mZN2at6native12_GLOBAL__N_124unique_dim_cuda_templateIjEESt5tupleIJNSA_6TensorESF_SF_EERKSF_lbbbEUlllE_EE10hipError_tT0_T1_T2_jT3_P12ihipStream_tbPNSt15iterator_traitsISL_E10value_typeEPNSR_ISM_E10value_typeEPSN_NS1_7vsmem_tEENKUlT_SL_SM_SN_E_clIS8_S8_S9_S9_EESK_S10_SL_SM_SN_EUlS10_E1_NS1_11comp_targetILNS1_3genE2ELNS1_11target_archE906ELNS1_3gpuE6ELNS1_3repE0EEENS1_36merge_oddeven_config_static_selectorELNS0_4arch9wavefront6targetE0EEEvSM_,@function
_ZN7rocprim17ROCPRIM_400000_NS6detail17trampoline_kernelINS0_14default_configENS1_38merge_sort_block_merge_config_selectorIlNS0_10empty_typeEEEZZNS1_27merge_sort_block_merge_implIS3_PlPS5_mZN2at6native12_GLOBAL__N_124unique_dim_cuda_templateIjEESt5tupleIJNSA_6TensorESF_SF_EERKSF_lbbbEUlllE_EE10hipError_tT0_T1_T2_jT3_P12ihipStream_tbPNSt15iterator_traitsISL_E10value_typeEPNSR_ISM_E10value_typeEPSN_NS1_7vsmem_tEENKUlT_SL_SM_SN_E_clIS8_S8_S9_S9_EESK_S10_SL_SM_SN_EUlS10_E1_NS1_11comp_targetILNS1_3genE2ELNS1_11target_archE906ELNS1_3gpuE6ELNS1_3repE0EEENS1_36merge_oddeven_config_static_selectorELNS0_4arch9wavefront6targetE0EEEvSM_: ; @_ZN7rocprim17ROCPRIM_400000_NS6detail17trampoline_kernelINS0_14default_configENS1_38merge_sort_block_merge_config_selectorIlNS0_10empty_typeEEEZZNS1_27merge_sort_block_merge_implIS3_PlPS5_mZN2at6native12_GLOBAL__N_124unique_dim_cuda_templateIjEESt5tupleIJNSA_6TensorESF_SF_EERKSF_lbbbEUlllE_EE10hipError_tT0_T1_T2_jT3_P12ihipStream_tbPNSt15iterator_traitsISL_E10value_typeEPNSR_ISM_E10value_typeEPSN_NS1_7vsmem_tEENKUlT_SL_SM_SN_E_clIS8_S8_S9_S9_EESK_S10_SL_SM_SN_EUlS10_E1_NS1_11comp_targetILNS1_3genE2ELNS1_11target_archE906ELNS1_3gpuE6ELNS1_3repE0EEENS1_36merge_oddeven_config_static_selectorELNS0_4arch9wavefront6targetE0EEEvSM_
; %bb.0:
	.section	.rodata,"a",@progbits
	.p2align	6, 0x0
	.amdhsa_kernel _ZN7rocprim17ROCPRIM_400000_NS6detail17trampoline_kernelINS0_14default_configENS1_38merge_sort_block_merge_config_selectorIlNS0_10empty_typeEEEZZNS1_27merge_sort_block_merge_implIS3_PlPS5_mZN2at6native12_GLOBAL__N_124unique_dim_cuda_templateIjEESt5tupleIJNSA_6TensorESF_SF_EERKSF_lbbbEUlllE_EE10hipError_tT0_T1_T2_jT3_P12ihipStream_tbPNSt15iterator_traitsISL_E10value_typeEPNSR_ISM_E10value_typeEPSN_NS1_7vsmem_tEENKUlT_SL_SM_SN_E_clIS8_S8_S9_S9_EESK_S10_SL_SM_SN_EUlS10_E1_NS1_11comp_targetILNS1_3genE2ELNS1_11target_archE906ELNS1_3gpuE6ELNS1_3repE0EEENS1_36merge_oddeven_config_static_selectorELNS0_4arch9wavefront6targetE0EEEvSM_
		.amdhsa_group_segment_fixed_size 0
		.amdhsa_private_segment_fixed_size 0
		.amdhsa_kernarg_size 64
		.amdhsa_user_sgpr_count 15
		.amdhsa_user_sgpr_dispatch_ptr 0
		.amdhsa_user_sgpr_queue_ptr 0
		.amdhsa_user_sgpr_kernarg_segment_ptr 1
		.amdhsa_user_sgpr_dispatch_id 0
		.amdhsa_user_sgpr_private_segment_size 0
		.amdhsa_wavefront_size32 1
		.amdhsa_uses_dynamic_stack 0
		.amdhsa_enable_private_segment 0
		.amdhsa_system_sgpr_workgroup_id_x 1
		.amdhsa_system_sgpr_workgroup_id_y 0
		.amdhsa_system_sgpr_workgroup_id_z 0
		.amdhsa_system_sgpr_workgroup_info 0
		.amdhsa_system_vgpr_workitem_id 0
		.amdhsa_next_free_vgpr 1
		.amdhsa_next_free_sgpr 1
		.amdhsa_reserve_vcc 0
		.amdhsa_float_round_mode_32 0
		.amdhsa_float_round_mode_16_64 0
		.amdhsa_float_denorm_mode_32 3
		.amdhsa_float_denorm_mode_16_64 3
		.amdhsa_dx10_clamp 1
		.amdhsa_ieee_mode 1
		.amdhsa_fp16_overflow 0
		.amdhsa_workgroup_processor_mode 1
		.amdhsa_memory_ordered 1
		.amdhsa_forward_progress 0
		.amdhsa_shared_vgpr_count 0
		.amdhsa_exception_fp_ieee_invalid_op 0
		.amdhsa_exception_fp_denorm_src 0
		.amdhsa_exception_fp_ieee_div_zero 0
		.amdhsa_exception_fp_ieee_overflow 0
		.amdhsa_exception_fp_ieee_underflow 0
		.amdhsa_exception_fp_ieee_inexact 0
		.amdhsa_exception_int_div_zero 0
	.end_amdhsa_kernel
	.section	.text._ZN7rocprim17ROCPRIM_400000_NS6detail17trampoline_kernelINS0_14default_configENS1_38merge_sort_block_merge_config_selectorIlNS0_10empty_typeEEEZZNS1_27merge_sort_block_merge_implIS3_PlPS5_mZN2at6native12_GLOBAL__N_124unique_dim_cuda_templateIjEESt5tupleIJNSA_6TensorESF_SF_EERKSF_lbbbEUlllE_EE10hipError_tT0_T1_T2_jT3_P12ihipStream_tbPNSt15iterator_traitsISL_E10value_typeEPNSR_ISM_E10value_typeEPSN_NS1_7vsmem_tEENKUlT_SL_SM_SN_E_clIS8_S8_S9_S9_EESK_S10_SL_SM_SN_EUlS10_E1_NS1_11comp_targetILNS1_3genE2ELNS1_11target_archE906ELNS1_3gpuE6ELNS1_3repE0EEENS1_36merge_oddeven_config_static_selectorELNS0_4arch9wavefront6targetE0EEEvSM_,"axG",@progbits,_ZN7rocprim17ROCPRIM_400000_NS6detail17trampoline_kernelINS0_14default_configENS1_38merge_sort_block_merge_config_selectorIlNS0_10empty_typeEEEZZNS1_27merge_sort_block_merge_implIS3_PlPS5_mZN2at6native12_GLOBAL__N_124unique_dim_cuda_templateIjEESt5tupleIJNSA_6TensorESF_SF_EERKSF_lbbbEUlllE_EE10hipError_tT0_T1_T2_jT3_P12ihipStream_tbPNSt15iterator_traitsISL_E10value_typeEPNSR_ISM_E10value_typeEPSN_NS1_7vsmem_tEENKUlT_SL_SM_SN_E_clIS8_S8_S9_S9_EESK_S10_SL_SM_SN_EUlS10_E1_NS1_11comp_targetILNS1_3genE2ELNS1_11target_archE906ELNS1_3gpuE6ELNS1_3repE0EEENS1_36merge_oddeven_config_static_selectorELNS0_4arch9wavefront6targetE0EEEvSM_,comdat
.Lfunc_end1511:
	.size	_ZN7rocprim17ROCPRIM_400000_NS6detail17trampoline_kernelINS0_14default_configENS1_38merge_sort_block_merge_config_selectorIlNS0_10empty_typeEEEZZNS1_27merge_sort_block_merge_implIS3_PlPS5_mZN2at6native12_GLOBAL__N_124unique_dim_cuda_templateIjEESt5tupleIJNSA_6TensorESF_SF_EERKSF_lbbbEUlllE_EE10hipError_tT0_T1_T2_jT3_P12ihipStream_tbPNSt15iterator_traitsISL_E10value_typeEPNSR_ISM_E10value_typeEPSN_NS1_7vsmem_tEENKUlT_SL_SM_SN_E_clIS8_S8_S9_S9_EESK_S10_SL_SM_SN_EUlS10_E1_NS1_11comp_targetILNS1_3genE2ELNS1_11target_archE906ELNS1_3gpuE6ELNS1_3repE0EEENS1_36merge_oddeven_config_static_selectorELNS0_4arch9wavefront6targetE0EEEvSM_, .Lfunc_end1511-_ZN7rocprim17ROCPRIM_400000_NS6detail17trampoline_kernelINS0_14default_configENS1_38merge_sort_block_merge_config_selectorIlNS0_10empty_typeEEEZZNS1_27merge_sort_block_merge_implIS3_PlPS5_mZN2at6native12_GLOBAL__N_124unique_dim_cuda_templateIjEESt5tupleIJNSA_6TensorESF_SF_EERKSF_lbbbEUlllE_EE10hipError_tT0_T1_T2_jT3_P12ihipStream_tbPNSt15iterator_traitsISL_E10value_typeEPNSR_ISM_E10value_typeEPSN_NS1_7vsmem_tEENKUlT_SL_SM_SN_E_clIS8_S8_S9_S9_EESK_S10_SL_SM_SN_EUlS10_E1_NS1_11comp_targetILNS1_3genE2ELNS1_11target_archE906ELNS1_3gpuE6ELNS1_3repE0EEENS1_36merge_oddeven_config_static_selectorELNS0_4arch9wavefront6targetE0EEEvSM_
                                        ; -- End function
	.section	.AMDGPU.csdata,"",@progbits
; Kernel info:
; codeLenInByte = 0
; NumSgprs: 0
; NumVgprs: 0
; ScratchSize: 0
; MemoryBound: 0
; FloatMode: 240
; IeeeMode: 1
; LDSByteSize: 0 bytes/workgroup (compile time only)
; SGPRBlocks: 0
; VGPRBlocks: 0
; NumSGPRsForWavesPerEU: 1
; NumVGPRsForWavesPerEU: 1
; Occupancy: 16
; WaveLimiterHint : 0
; COMPUTE_PGM_RSRC2:SCRATCH_EN: 0
; COMPUTE_PGM_RSRC2:USER_SGPR: 15
; COMPUTE_PGM_RSRC2:TRAP_HANDLER: 0
; COMPUTE_PGM_RSRC2:TGID_X_EN: 1
; COMPUTE_PGM_RSRC2:TGID_Y_EN: 0
; COMPUTE_PGM_RSRC2:TGID_Z_EN: 0
; COMPUTE_PGM_RSRC2:TIDIG_COMP_CNT: 0
	.section	.text._ZN7rocprim17ROCPRIM_400000_NS6detail17trampoline_kernelINS0_14default_configENS1_38merge_sort_block_merge_config_selectorIlNS0_10empty_typeEEEZZNS1_27merge_sort_block_merge_implIS3_PlPS5_mZN2at6native12_GLOBAL__N_124unique_dim_cuda_templateIjEESt5tupleIJNSA_6TensorESF_SF_EERKSF_lbbbEUlllE_EE10hipError_tT0_T1_T2_jT3_P12ihipStream_tbPNSt15iterator_traitsISL_E10value_typeEPNSR_ISM_E10value_typeEPSN_NS1_7vsmem_tEENKUlT_SL_SM_SN_E_clIS8_S8_S9_S9_EESK_S10_SL_SM_SN_EUlS10_E1_NS1_11comp_targetILNS1_3genE9ELNS1_11target_archE1100ELNS1_3gpuE3ELNS1_3repE0EEENS1_36merge_oddeven_config_static_selectorELNS0_4arch9wavefront6targetE0EEEvSM_,"axG",@progbits,_ZN7rocprim17ROCPRIM_400000_NS6detail17trampoline_kernelINS0_14default_configENS1_38merge_sort_block_merge_config_selectorIlNS0_10empty_typeEEEZZNS1_27merge_sort_block_merge_implIS3_PlPS5_mZN2at6native12_GLOBAL__N_124unique_dim_cuda_templateIjEESt5tupleIJNSA_6TensorESF_SF_EERKSF_lbbbEUlllE_EE10hipError_tT0_T1_T2_jT3_P12ihipStream_tbPNSt15iterator_traitsISL_E10value_typeEPNSR_ISM_E10value_typeEPSN_NS1_7vsmem_tEENKUlT_SL_SM_SN_E_clIS8_S8_S9_S9_EESK_S10_SL_SM_SN_EUlS10_E1_NS1_11comp_targetILNS1_3genE9ELNS1_11target_archE1100ELNS1_3gpuE3ELNS1_3repE0EEENS1_36merge_oddeven_config_static_selectorELNS0_4arch9wavefront6targetE0EEEvSM_,comdat
	.globl	_ZN7rocprim17ROCPRIM_400000_NS6detail17trampoline_kernelINS0_14default_configENS1_38merge_sort_block_merge_config_selectorIlNS0_10empty_typeEEEZZNS1_27merge_sort_block_merge_implIS3_PlPS5_mZN2at6native12_GLOBAL__N_124unique_dim_cuda_templateIjEESt5tupleIJNSA_6TensorESF_SF_EERKSF_lbbbEUlllE_EE10hipError_tT0_T1_T2_jT3_P12ihipStream_tbPNSt15iterator_traitsISL_E10value_typeEPNSR_ISM_E10value_typeEPSN_NS1_7vsmem_tEENKUlT_SL_SM_SN_E_clIS8_S8_S9_S9_EESK_S10_SL_SM_SN_EUlS10_E1_NS1_11comp_targetILNS1_3genE9ELNS1_11target_archE1100ELNS1_3gpuE3ELNS1_3repE0EEENS1_36merge_oddeven_config_static_selectorELNS0_4arch9wavefront6targetE0EEEvSM_ ; -- Begin function _ZN7rocprim17ROCPRIM_400000_NS6detail17trampoline_kernelINS0_14default_configENS1_38merge_sort_block_merge_config_selectorIlNS0_10empty_typeEEEZZNS1_27merge_sort_block_merge_implIS3_PlPS5_mZN2at6native12_GLOBAL__N_124unique_dim_cuda_templateIjEESt5tupleIJNSA_6TensorESF_SF_EERKSF_lbbbEUlllE_EE10hipError_tT0_T1_T2_jT3_P12ihipStream_tbPNSt15iterator_traitsISL_E10value_typeEPNSR_ISM_E10value_typeEPSN_NS1_7vsmem_tEENKUlT_SL_SM_SN_E_clIS8_S8_S9_S9_EESK_S10_SL_SM_SN_EUlS10_E1_NS1_11comp_targetILNS1_3genE9ELNS1_11target_archE1100ELNS1_3gpuE3ELNS1_3repE0EEENS1_36merge_oddeven_config_static_selectorELNS0_4arch9wavefront6targetE0EEEvSM_
	.p2align	8
	.type	_ZN7rocprim17ROCPRIM_400000_NS6detail17trampoline_kernelINS0_14default_configENS1_38merge_sort_block_merge_config_selectorIlNS0_10empty_typeEEEZZNS1_27merge_sort_block_merge_implIS3_PlPS5_mZN2at6native12_GLOBAL__N_124unique_dim_cuda_templateIjEESt5tupleIJNSA_6TensorESF_SF_EERKSF_lbbbEUlllE_EE10hipError_tT0_T1_T2_jT3_P12ihipStream_tbPNSt15iterator_traitsISL_E10value_typeEPNSR_ISM_E10value_typeEPSN_NS1_7vsmem_tEENKUlT_SL_SM_SN_E_clIS8_S8_S9_S9_EESK_S10_SL_SM_SN_EUlS10_E1_NS1_11comp_targetILNS1_3genE9ELNS1_11target_archE1100ELNS1_3gpuE3ELNS1_3repE0EEENS1_36merge_oddeven_config_static_selectorELNS0_4arch9wavefront6targetE0EEEvSM_,@function
_ZN7rocprim17ROCPRIM_400000_NS6detail17trampoline_kernelINS0_14default_configENS1_38merge_sort_block_merge_config_selectorIlNS0_10empty_typeEEEZZNS1_27merge_sort_block_merge_implIS3_PlPS5_mZN2at6native12_GLOBAL__N_124unique_dim_cuda_templateIjEESt5tupleIJNSA_6TensorESF_SF_EERKSF_lbbbEUlllE_EE10hipError_tT0_T1_T2_jT3_P12ihipStream_tbPNSt15iterator_traitsISL_E10value_typeEPNSR_ISM_E10value_typeEPSN_NS1_7vsmem_tEENKUlT_SL_SM_SN_E_clIS8_S8_S9_S9_EESK_S10_SL_SM_SN_EUlS10_E1_NS1_11comp_targetILNS1_3genE9ELNS1_11target_archE1100ELNS1_3gpuE3ELNS1_3repE0EEENS1_36merge_oddeven_config_static_selectorELNS0_4arch9wavefront6targetE0EEEvSM_: ; @_ZN7rocprim17ROCPRIM_400000_NS6detail17trampoline_kernelINS0_14default_configENS1_38merge_sort_block_merge_config_selectorIlNS0_10empty_typeEEEZZNS1_27merge_sort_block_merge_implIS3_PlPS5_mZN2at6native12_GLOBAL__N_124unique_dim_cuda_templateIjEESt5tupleIJNSA_6TensorESF_SF_EERKSF_lbbbEUlllE_EE10hipError_tT0_T1_T2_jT3_P12ihipStream_tbPNSt15iterator_traitsISL_E10value_typeEPNSR_ISM_E10value_typeEPSN_NS1_7vsmem_tEENKUlT_SL_SM_SN_E_clIS8_S8_S9_S9_EESK_S10_SL_SM_SN_EUlS10_E1_NS1_11comp_targetILNS1_3genE9ELNS1_11target_archE1100ELNS1_3gpuE3ELNS1_3repE0EEENS1_36merge_oddeven_config_static_selectorELNS0_4arch9wavefront6targetE0EEEvSM_
; %bb.0:
	s_load_b32 s3, s[0:1], 0x20
	s_waitcnt lgkmcnt(0)
	s_lshr_b32 s2, s3, 8
	s_delay_alu instid0(SALU_CYCLE_1) | instskip(SKIP_4) | instid1(SALU_CYCLE_1)
	s_cmp_lg_u32 s15, s2
	s_cselect_b32 s8, -1, 0
	s_cmp_eq_u32 s15, s2
	s_cselect_b32 s14, -1, 0
	s_lshl_b32 s12, s15, 8
	s_sub_i32 s2, s3, s12
	s_delay_alu instid0(SALU_CYCLE_1) | instskip(NEXT) | instid1(VALU_DEP_1)
	v_cmp_gt_u32_e64 s2, s2, v0
	s_or_b32 s4, s8, s2
	s_delay_alu instid0(SALU_CYCLE_1)
	s_and_saveexec_b32 s5, s4
	s_cbranch_execz .LBB1512_54
; %bb.1:
	s_clause 0x1
	s_load_b128 s[4:7], s[0:1], 0x0
	s_load_b32 s18, s[0:1], 0x28
	s_mov_b32 s13, 0
	v_lshlrev_b32_e32 v1, 3, v0
	s_lshl_b64 s[10:11], s[12:13], 3
	s_waitcnt lgkmcnt(0)
	s_add_u32 s10, s4, s10
	s_addc_u32 s11, s5, s11
	s_lshr_b32 s9, s18, 8
	global_load_b64 v[1:2], v1, s[10:11]
	s_sub_i32 s10, 0, s9
	s_delay_alu instid0(SALU_CYCLE_1) | instskip(NEXT) | instid1(SALU_CYCLE_1)
	s_and_b32 s10, s15, s10
	s_and_b32 s9, s10, s9
	s_delay_alu instid0(SALU_CYCLE_1)
	s_cmp_lg_u32 s9, 0
	s_cselect_b32 s16, -1, 0
	s_lshl_b32 s15, s10, 8
	s_sub_i32 s10, 0, s18
	s_cmp_eq_u32 s9, 0
	s_cselect_b32 s17, s18, s10
	s_delay_alu instid0(SALU_CYCLE_1) | instskip(NEXT) | instid1(SALU_CYCLE_1)
	s_add_i32 s17, s17, s15
	s_cmp_lt_u32 s17, s3
	s_cbranch_scc1 .LBB1512_3
; %bb.2:
	v_add_nc_u32_e32 v3, s12, v0
	s_delay_alu instid0(VALU_DEP_1) | instskip(SKIP_1) | instid1(SALU_CYCLE_1)
	v_cmp_gt_u32_e32 vcc_lo, s3, v3
	s_or_b32 s9, vcc_lo, s8
	s_and_b32 s13, s9, exec_lo
	s_cbranch_execz .LBB1512_4
	s_branch .LBB1512_52
.LBB1512_3:
                                        ; implicit-def: $vgpr3
.LBB1512_4:
	s_load_b128 s[8:11], s[0:1], 0x30
	v_add_nc_u32_e32 v0, s12, v0
	s_min_u32 s1, s17, s3
	s_and_b32 vcc_lo, exec_lo, s14
	s_add_i32 s0, s15, s1
	s_add_i32 s12, s1, s18
	v_subrev_nc_u32_e32 v0, s0, v0
	s_min_u32 s0, s15, s1
	s_min_u32 s12, s12, s3
	s_delay_alu instid0(VALU_DEP_1)
	v_add_nc_u32_e32 v0, s0, v0
	s_cbranch_vccz .LBB1512_26
; %bb.5:
                                        ; implicit-def: $vgpr3
	s_and_saveexec_b32 s18, s2
	s_cbranch_execz .LBB1512_29
; %bb.6:
	v_mov_b32_e32 v13, s1
	s_cmp_ge_u32 s17, s12
	s_cbranch_scc1 .LBB1512_28
; %bb.7:
	s_waitcnt vmcnt(0) lgkmcnt(0)
	v_mul_lo_u32 v5, v2, s8
	v_mul_lo_u32 v6, v1, s9
	v_mad_u64_u32 v[3:4], null, v1, s8, 0
	v_cmp_gt_i64_e64 s19, s[8:9], 0
	v_dual_mov_b32 v14, s12 :: v_dual_mov_b32 v13, s1
	s_lshl_b64 s[2:3], s[8:9], 2
	s_mov_b32 s20, 0
	s_delay_alu instid0(VALU_DEP_3) | instskip(NEXT) | instid1(VALU_DEP_1)
	v_add3_u32 v4, v4, v6, v5
	v_lshlrev_b64 v[5:6], 2, v[3:4]
	v_mov_b32_e32 v4, 0
	s_delay_alu instid0(VALU_DEP_2) | instskip(NEXT) | instid1(VALU_DEP_3)
	v_add_co_u32 v5, vcc_lo, s10, v5
	v_add_co_ci_u32_e32 v6, vcc_lo, s11, v6, vcc_lo
	s_branch .LBB1512_10
.LBB1512_8:                             ;   in Loop: Header=BB1512_10 Depth=1
	s_set_inst_prefetch_distance 0x2
	s_or_b32 exec_lo, exec_lo, s22
.LBB1512_9:                             ;   in Loop: Header=BB1512_10 Depth=1
	s_waitcnt vmcnt(0)
	v_add_nc_u32_e32 v7, 1, v3
	v_cndmask_b32_e64 v14, v3, v14, s21
	s_delay_alu instid0(VALU_DEP_2) | instskip(NEXT) | instid1(VALU_DEP_1)
	v_cndmask_b32_e64 v13, v13, v7, s21
	v_cmp_ge_u32_e32 vcc_lo, v13, v14
	s_or_b32 s20, vcc_lo, s20
	s_delay_alu instid0(SALU_CYCLE_1)
	s_and_not1_b32 exec_lo, exec_lo, s20
	s_cbranch_execz .LBB1512_27
.LBB1512_10:                            ; =>This Loop Header: Depth=1
                                        ;     Child Loop BB1512_14 Depth 2
                                        ;     Child Loop BB1512_23 Depth 2
	v_add_nc_u32_e32 v3, v13, v14
	s_mov_b32 s0, -1
                                        ; implicit-def: $sgpr21
	s_delay_alu instid0(VALU_DEP_1) | instskip(NEXT) | instid1(VALU_DEP_1)
	v_lshrrev_b32_e32 v3, 1, v3
	v_lshlrev_b64 v[7:8], 3, v[3:4]
	s_delay_alu instid0(VALU_DEP_1) | instskip(NEXT) | instid1(VALU_DEP_2)
	v_add_co_u32 v7, vcc_lo, s4, v7
	v_add_co_ci_u32_e32 v8, vcc_lo, s5, v8, vcc_lo
	s_and_not1_b32 vcc_lo, exec_lo, s16
	global_load_b64 v[7:8], v[7:8], off
	s_cbranch_vccnz .LBB1512_19
; %bb.11:                               ;   in Loop: Header=BB1512_10 Depth=1
	s_and_not1_b32 vcc_lo, exec_lo, s19
	s_cbranch_vccnz .LBB1512_17
; %bb.12:                               ;   in Loop: Header=BB1512_10 Depth=1
	s_waitcnt vmcnt(0)
	v_mad_u64_u32 v[9:10], null, s2, v7, s[10:11]
	v_mul_lo_u32 v11, s2, v8
	v_mul_lo_u32 v12, s3, v7
	s_mov_b32 s22, 0
	s_mov_b64 s[14:15], s[8:9]
                                        ; implicit-def: $sgpr21
                                        ; implicit-def: $sgpr23
                                        ; implicit-def: $sgpr24
                                        ; implicit-def: $sgpr25
                                        ; implicit-def: $sgpr26
	s_delay_alu instid0(VALU_DEP_1)
	v_add3_u32 v10, v12, v10, v11
	v_dual_mov_b32 v12, v6 :: v_dual_mov_b32 v11, v5
	s_set_inst_prefetch_distance 0x1
	s_branch .LBB1512_14
	.p2align	6
.LBB1512_13:                            ;   in Loop: Header=BB1512_14 Depth=2
	s_or_b32 exec_lo, exec_lo, s0
	s_delay_alu instid0(SALU_CYCLE_1) | instskip(NEXT) | instid1(SALU_CYCLE_1)
	s_and_b32 s0, exec_lo, s23
	s_or_b32 s22, s0, s22
	s_and_not1_b32 s0, s26, exec_lo
	s_and_b32 s26, s24, exec_lo
	s_and_not1_b32 s21, s21, exec_lo
	s_and_b32 s27, s25, exec_lo
	s_or_b32 s26, s0, s26
	s_or_b32 s21, s21, s27
	s_and_not1_b32 exec_lo, exec_lo, s22
	s_cbranch_execz .LBB1512_16
.LBB1512_14:                            ;   Parent Loop BB1512_10 Depth=1
                                        ; =>  This Inner Loop Header: Depth=2
	global_load_b32 v15, v[11:12], off
	global_load_b32 v16, v[9:10], off
	s_and_not1_b32 s25, s25, exec_lo
	s_and_not1_b32 s24, s24, exec_lo
	s_or_b32 s23, s23, exec_lo
	s_waitcnt vmcnt(0)
	v_cmp_le_u32_e32 vcc_lo, v15, v16
	v_cmp_lt_u32_e64 s0, v15, v16
	s_and_b32 s27, vcc_lo, s26
	s_delay_alu instid0(VALU_DEP_1) | instid1(SALU_CYCLE_1)
	s_or_b32 s27, s0, s27
	s_delay_alu instid0(SALU_CYCLE_1) | instskip(NEXT) | instid1(SALU_CYCLE_1)
	s_and_b32 s0, s27, exec_lo
	s_or_b32 s25, s25, s0
	s_mov_b32 s0, exec_lo
	v_cmpx_eq_u32_e64 v15, v16
	s_cbranch_execz .LBB1512_13
; %bb.15:                               ;   in Loop: Header=BB1512_14 Depth=2
	s_add_u32 s14, s14, -1
	s_addc_u32 s15, s15, -1
	v_add_co_u32 v11, vcc_lo, v11, 4
	s_cmp_eq_u64 s[14:15], 0
	v_add_co_ci_u32_e32 v12, vcc_lo, 0, v12, vcc_lo
	s_cselect_b32 s26, -1, 0
	v_add_co_u32 v9, vcc_lo, v9, 4
	s_and_not1_b32 s24, s24, exec_lo
	s_and_b32 s27, s27, exec_lo
	s_and_not1_b32 s23, s23, exec_lo
	s_and_b32 s26, s26, exec_lo
	v_add_co_ci_u32_e32 v10, vcc_lo, 0, v10, vcc_lo
	s_and_not1_b32 s25, s25, exec_lo
	s_or_b32 s24, s24, s27
	s_or_b32 s23, s23, s26
                                        ; implicit-def: $sgpr26
	s_branch .LBB1512_13
.LBB1512_16:                            ;   in Loop: Header=BB1512_10 Depth=1
	s_set_inst_prefetch_distance 0x2
	s_or_b32 exec_lo, exec_lo, s22
	s_branch .LBB1512_18
.LBB1512_17:                            ;   in Loop: Header=BB1512_10 Depth=1
	s_mov_b32 s21, 0
.LBB1512_18:                            ;   in Loop: Header=BB1512_10 Depth=1
	s_delay_alu instid0(SALU_CYCLE_1)
	s_xor_b32 s21, s21, -1
	s_mov_b32 s0, 0
.LBB1512_19:                            ;   in Loop: Header=BB1512_10 Depth=1
	s_delay_alu instid0(SALU_CYCLE_1)
	s_and_b32 vcc_lo, exec_lo, s0
	s_cbranch_vccz .LBB1512_9
; %bb.20:                               ;   in Loop: Header=BB1512_10 Depth=1
	s_and_not1_b32 vcc_lo, exec_lo, s19
	s_cbranch_vccnz .LBB1512_25
; %bb.21:                               ;   in Loop: Header=BB1512_10 Depth=1
	s_waitcnt vmcnt(0)
	v_mad_u64_u32 v[9:10], null, s2, v7, s[10:11]
	v_mul_lo_u32 v8, s2, v8
	v_mul_lo_u32 v7, s3, v7
	s_mov_b32 s22, 0
	s_mov_b64 s[14:15], s[8:9]
                                        ; implicit-def: $sgpr21
                                        ; implicit-def: $sgpr23
                                        ; implicit-def: $sgpr24
                                        ; implicit-def: $sgpr25
                                        ; implicit-def: $sgpr26
	s_delay_alu instid0(VALU_DEP_1)
	v_add3_u32 v10, v7, v10, v8
	v_dual_mov_b32 v8, v6 :: v_dual_mov_b32 v7, v5
	s_set_inst_prefetch_distance 0x1
	s_branch .LBB1512_23
	.p2align	6
.LBB1512_22:                            ;   in Loop: Header=BB1512_23 Depth=2
	s_or_b32 exec_lo, exec_lo, s0
	s_delay_alu instid0(SALU_CYCLE_1) | instskip(NEXT) | instid1(SALU_CYCLE_1)
	s_and_b32 s0, exec_lo, s23
	s_or_b32 s22, s0, s22
	s_and_not1_b32 s0, s26, exec_lo
	s_and_b32 s26, s24, exec_lo
	s_and_not1_b32 s21, s21, exec_lo
	s_and_b32 s27, s25, exec_lo
	s_or_b32 s26, s0, s26
	s_or_b32 s21, s21, s27
	s_and_not1_b32 exec_lo, exec_lo, s22
	s_cbranch_execz .LBB1512_8
.LBB1512_23:                            ;   Parent Loop BB1512_10 Depth=1
                                        ; =>  This Inner Loop Header: Depth=2
	global_load_b32 v11, v[9:10], off
	global_load_b32 v12, v[7:8], off
	s_and_not1_b32 s25, s25, exec_lo
	s_and_not1_b32 s24, s24, exec_lo
	s_or_b32 s23, s23, exec_lo
	s_waitcnt vmcnt(0)
	v_cmp_le_u32_e32 vcc_lo, v11, v12
	v_cmp_lt_u32_e64 s0, v11, v12
	s_and_b32 s27, vcc_lo, s26
	s_delay_alu instid0(VALU_DEP_1) | instid1(SALU_CYCLE_1)
	s_or_b32 s27, s0, s27
	s_delay_alu instid0(SALU_CYCLE_1) | instskip(NEXT) | instid1(SALU_CYCLE_1)
	s_and_b32 s0, s27, exec_lo
	s_or_b32 s25, s25, s0
	s_mov_b32 s0, exec_lo
	v_cmpx_eq_u32_e64 v11, v12
	s_cbranch_execz .LBB1512_22
; %bb.24:                               ;   in Loop: Header=BB1512_23 Depth=2
	s_add_u32 s14, s14, -1
	s_addc_u32 s15, s15, -1
	v_add_co_u32 v9, vcc_lo, v9, 4
	s_cmp_eq_u64 s[14:15], 0
	v_add_co_ci_u32_e32 v10, vcc_lo, 0, v10, vcc_lo
	s_cselect_b32 s26, -1, 0
	v_add_co_u32 v7, vcc_lo, v7, 4
	s_and_not1_b32 s24, s24, exec_lo
	s_and_b32 s27, s27, exec_lo
	s_and_not1_b32 s23, s23, exec_lo
	s_and_b32 s26, s26, exec_lo
	v_add_co_ci_u32_e32 v8, vcc_lo, 0, v8, vcc_lo
	s_and_not1_b32 s25, s25, exec_lo
	s_or_b32 s24, s24, s27
	s_or_b32 s23, s23, s26
                                        ; implicit-def: $sgpr26
	s_branch .LBB1512_22
.LBB1512_25:                            ;   in Loop: Header=BB1512_10 Depth=1
	s_mov_b32 s21, 0
	s_branch .LBB1512_9
.LBB1512_26:
                                        ; implicit-def: $vgpr3
	s_cbranch_execnz .LBB1512_30
	s_branch .LBB1512_52
.LBB1512_27:
	s_or_b32 exec_lo, exec_lo, s20
.LBB1512_28:
	s_delay_alu instid0(VALU_DEP_1)
	v_add_nc_u32_e32 v3, v13, v0
	s_or_b32 s13, s13, exec_lo
.LBB1512_29:
	s_or_b32 exec_lo, exec_lo, s18
	s_branch .LBB1512_52
.LBB1512_30:
	v_mov_b32_e32 v13, s1
	s_cmp_ge_u32 s17, s12
	s_cbranch_scc1 .LBB1512_51
; %bb.31:
	s_waitcnt vmcnt(0) lgkmcnt(0)
	v_mul_lo_u32 v5, v2, s8
	v_mul_lo_u32 v6, v1, s9
	v_mad_u64_u32 v[3:4], null, v1, s8, 0
	v_dual_mov_b32 v14, s12 :: v_dual_mov_b32 v13, s1
	v_cmp_gt_i64_e64 s1, s[8:9], 0
	s_lshl_b64 s[2:3], s[8:9], 2
	s_mov_b32 s14, 0
	s_delay_alu instid0(VALU_DEP_3) | instskip(NEXT) | instid1(VALU_DEP_2)
	v_add3_u32 v4, v4, v6, v5
	v_cndmask_b32_e64 v15, 0, 1, s1
	s_delay_alu instid0(VALU_DEP_2) | instskip(SKIP_1) | instid1(VALU_DEP_2)
	v_lshlrev_b64 v[5:6], 2, v[3:4]
	v_mov_b32_e32 v4, 0
	v_add_co_u32 v5, vcc_lo, s10, v5
	s_delay_alu instid0(VALU_DEP_3)
	v_add_co_ci_u32_e32 v6, vcc_lo, s11, v6, vcc_lo
	s_branch .LBB1512_34
.LBB1512_32:                            ;   in Loop: Header=BB1512_34 Depth=1
	s_set_inst_prefetch_distance 0x2
	s_or_b32 exec_lo, exec_lo, s17
.LBB1512_33:                            ;   in Loop: Header=BB1512_34 Depth=1
	s_waitcnt vmcnt(0)
	v_add_nc_u32_e32 v7, 1, v3
	v_cndmask_b32_e64 v14, v3, v14, s15
	s_delay_alu instid0(VALU_DEP_2) | instskip(NEXT) | instid1(VALU_DEP_1)
	v_cndmask_b32_e64 v13, v13, v7, s15
	v_cmp_ge_u32_e32 vcc_lo, v13, v14
	s_or_b32 s14, vcc_lo, s14
	s_delay_alu instid0(SALU_CYCLE_1)
	s_and_not1_b32 exec_lo, exec_lo, s14
	s_cbranch_execz .LBB1512_50
.LBB1512_34:                            ; =>This Loop Header: Depth=1
                                        ;     Child Loop BB1512_38 Depth 2
                                        ;     Child Loop BB1512_47 Depth 2
	v_add_nc_u32_e32 v3, v13, v14
	v_cmp_ne_u32_e64 s0, 1, v15
	s_mov_b32 s12, -1
                                        ; implicit-def: $sgpr15
	s_delay_alu instid0(VALU_DEP_2) | instskip(NEXT) | instid1(VALU_DEP_1)
	v_lshrrev_b32_e32 v3, 1, v3
	v_lshlrev_b64 v[7:8], 3, v[3:4]
	s_delay_alu instid0(VALU_DEP_1) | instskip(NEXT) | instid1(VALU_DEP_2)
	v_add_co_u32 v7, vcc_lo, s4, v7
	v_add_co_ci_u32_e32 v8, vcc_lo, s5, v8, vcc_lo
	s_and_not1_b32 vcc_lo, exec_lo, s16
	global_load_b64 v[7:8], v[7:8], off
	s_cbranch_vccnz .LBB1512_43
; %bb.35:                               ;   in Loop: Header=BB1512_34 Depth=1
	s_and_b32 vcc_lo, exec_lo, s0
	s_cbranch_vccnz .LBB1512_41
; %bb.36:                               ;   in Loop: Header=BB1512_34 Depth=1
	s_waitcnt vmcnt(0)
	v_mad_u64_u32 v[9:10], null, s2, v7, s[10:11]
	v_mul_lo_u32 v11, s2, v8
	v_mul_lo_u32 v12, s3, v7
	s_mov_b32 s17, 0
	s_mov_b64 s[12:13], s[8:9]
                                        ; implicit-def: $sgpr15
                                        ; implicit-def: $sgpr18
                                        ; implicit-def: $sgpr19
                                        ; implicit-def: $sgpr20
                                        ; implicit-def: $sgpr21
	s_delay_alu instid0(VALU_DEP_1)
	v_add3_u32 v10, v12, v10, v11
	v_dual_mov_b32 v12, v6 :: v_dual_mov_b32 v11, v5
	s_set_inst_prefetch_distance 0x1
	s_branch .LBB1512_38
	.p2align	6
.LBB1512_37:                            ;   in Loop: Header=BB1512_38 Depth=2
	s_or_b32 exec_lo, exec_lo, s0
	s_delay_alu instid0(SALU_CYCLE_1) | instskip(NEXT) | instid1(SALU_CYCLE_1)
	s_and_b32 s0, exec_lo, s18
	s_or_b32 s17, s0, s17
	s_and_not1_b32 s0, s21, exec_lo
	s_and_b32 s21, s19, exec_lo
	s_and_not1_b32 s15, s15, exec_lo
	s_and_b32 s22, s20, exec_lo
	s_or_b32 s21, s0, s21
	s_or_b32 s15, s15, s22
	s_and_not1_b32 exec_lo, exec_lo, s17
	s_cbranch_execz .LBB1512_40
.LBB1512_38:                            ;   Parent Loop BB1512_34 Depth=1
                                        ; =>  This Inner Loop Header: Depth=2
	global_load_b32 v16, v[11:12], off
	global_load_b32 v17, v[9:10], off
	s_and_not1_b32 s20, s20, exec_lo
	s_and_not1_b32 s19, s19, exec_lo
	s_or_b32 s18, s18, exec_lo
	s_waitcnt vmcnt(0)
	v_cmp_le_u32_e32 vcc_lo, v16, v17
	v_cmp_lt_u32_e64 s0, v16, v17
	s_and_b32 s22, vcc_lo, s21
	s_delay_alu instid0(VALU_DEP_1) | instid1(SALU_CYCLE_1)
	s_or_b32 s22, s0, s22
	s_delay_alu instid0(SALU_CYCLE_1) | instskip(NEXT) | instid1(SALU_CYCLE_1)
	s_and_b32 s0, s22, exec_lo
	s_or_b32 s20, s20, s0
	s_mov_b32 s0, exec_lo
	v_cmpx_eq_u32_e64 v16, v17
	s_cbranch_execz .LBB1512_37
; %bb.39:                               ;   in Loop: Header=BB1512_38 Depth=2
	s_add_u32 s12, s12, -1
	s_addc_u32 s13, s13, -1
	v_add_co_u32 v11, vcc_lo, v11, 4
	s_cmp_eq_u64 s[12:13], 0
	v_add_co_ci_u32_e32 v12, vcc_lo, 0, v12, vcc_lo
	s_cselect_b32 s21, -1, 0
	v_add_co_u32 v9, vcc_lo, v9, 4
	s_and_not1_b32 s19, s19, exec_lo
	s_and_b32 s22, s22, exec_lo
	s_and_not1_b32 s18, s18, exec_lo
	s_and_b32 s21, s21, exec_lo
	v_add_co_ci_u32_e32 v10, vcc_lo, 0, v10, vcc_lo
	s_and_not1_b32 s20, s20, exec_lo
	s_or_b32 s19, s19, s22
	s_or_b32 s18, s18, s21
                                        ; implicit-def: $sgpr21
	s_branch .LBB1512_37
.LBB1512_40:                            ;   in Loop: Header=BB1512_34 Depth=1
	s_set_inst_prefetch_distance 0x2
	s_or_b32 exec_lo, exec_lo, s17
	s_branch .LBB1512_42
.LBB1512_41:                            ;   in Loop: Header=BB1512_34 Depth=1
	s_mov_b32 s15, 0
.LBB1512_42:                            ;   in Loop: Header=BB1512_34 Depth=1
	s_delay_alu instid0(SALU_CYCLE_1)
	s_xor_b32 s15, s15, -1
	s_mov_b32 s12, 0
.LBB1512_43:                            ;   in Loop: Header=BB1512_34 Depth=1
	s_delay_alu instid0(SALU_CYCLE_1)
	s_and_b32 vcc_lo, exec_lo, s12
	s_cbranch_vccz .LBB1512_33
; %bb.44:                               ;   in Loop: Header=BB1512_34 Depth=1
	s_and_not1_b32 vcc_lo, exec_lo, s1
	s_cbranch_vccnz .LBB1512_49
; %bb.45:                               ;   in Loop: Header=BB1512_34 Depth=1
	s_waitcnt vmcnt(0)
	v_mad_u64_u32 v[9:10], null, s2, v7, s[10:11]
	v_mul_lo_u32 v8, s2, v8
	v_mul_lo_u32 v7, s3, v7
	s_mov_b32 s17, 0
	s_mov_b64 s[12:13], s[8:9]
                                        ; implicit-def: $sgpr15
                                        ; implicit-def: $sgpr18
                                        ; implicit-def: $sgpr19
                                        ; implicit-def: $sgpr20
                                        ; implicit-def: $sgpr21
	s_delay_alu instid0(VALU_DEP_1)
	v_add3_u32 v10, v7, v10, v8
	v_dual_mov_b32 v8, v6 :: v_dual_mov_b32 v7, v5
	s_set_inst_prefetch_distance 0x1
	s_branch .LBB1512_47
	.p2align	6
.LBB1512_46:                            ;   in Loop: Header=BB1512_47 Depth=2
	s_or_b32 exec_lo, exec_lo, s0
	s_delay_alu instid0(SALU_CYCLE_1) | instskip(NEXT) | instid1(SALU_CYCLE_1)
	s_and_b32 s0, exec_lo, s18
	s_or_b32 s17, s0, s17
	s_and_not1_b32 s0, s21, exec_lo
	s_and_b32 s21, s19, exec_lo
	s_and_not1_b32 s15, s15, exec_lo
	s_and_b32 s22, s20, exec_lo
	s_or_b32 s21, s0, s21
	s_or_b32 s15, s15, s22
	s_and_not1_b32 exec_lo, exec_lo, s17
	s_cbranch_execz .LBB1512_32
.LBB1512_47:                            ;   Parent Loop BB1512_34 Depth=1
                                        ; =>  This Inner Loop Header: Depth=2
	global_load_b32 v11, v[9:10], off
	global_load_b32 v12, v[7:8], off
	s_and_not1_b32 s20, s20, exec_lo
	s_and_not1_b32 s19, s19, exec_lo
	s_or_b32 s18, s18, exec_lo
	s_waitcnt vmcnt(0)
	v_cmp_le_u32_e32 vcc_lo, v11, v12
	v_cmp_lt_u32_e64 s0, v11, v12
	s_and_b32 s22, vcc_lo, s21
	s_delay_alu instid0(VALU_DEP_1) | instid1(SALU_CYCLE_1)
	s_or_b32 s22, s0, s22
	s_delay_alu instid0(SALU_CYCLE_1) | instskip(NEXT) | instid1(SALU_CYCLE_1)
	s_and_b32 s0, s22, exec_lo
	s_or_b32 s20, s20, s0
	s_mov_b32 s0, exec_lo
	v_cmpx_eq_u32_e64 v11, v12
	s_cbranch_execz .LBB1512_46
; %bb.48:                               ;   in Loop: Header=BB1512_47 Depth=2
	s_add_u32 s12, s12, -1
	s_addc_u32 s13, s13, -1
	v_add_co_u32 v9, vcc_lo, v9, 4
	s_cmp_eq_u64 s[12:13], 0
	v_add_co_ci_u32_e32 v10, vcc_lo, 0, v10, vcc_lo
	s_cselect_b32 s21, -1, 0
	v_add_co_u32 v7, vcc_lo, v7, 4
	s_and_not1_b32 s19, s19, exec_lo
	s_and_b32 s22, s22, exec_lo
	s_and_not1_b32 s18, s18, exec_lo
	s_and_b32 s21, s21, exec_lo
	v_add_co_ci_u32_e32 v8, vcc_lo, 0, v8, vcc_lo
	s_and_not1_b32 s20, s20, exec_lo
	s_or_b32 s19, s19, s22
	s_or_b32 s18, s18, s21
                                        ; implicit-def: $sgpr21
	s_branch .LBB1512_46
.LBB1512_49:                            ;   in Loop: Header=BB1512_34 Depth=1
	s_mov_b32 s15, 0
	s_branch .LBB1512_33
.LBB1512_50:
	s_or_b32 exec_lo, exec_lo, s14
.LBB1512_51:
	s_delay_alu instid0(VALU_DEP_1)
	v_add_nc_u32_e32 v3, v13, v0
	s_mov_b32 s13, -1
.LBB1512_52:
	s_delay_alu instid0(SALU_CYCLE_1)
	s_and_b32 exec_lo, exec_lo, s13
	s_cbranch_execz .LBB1512_54
; %bb.53:
	v_mov_b32_e32 v4, 0
	s_delay_alu instid0(VALU_DEP_1) | instskip(NEXT) | instid1(VALU_DEP_1)
	v_lshlrev_b64 v[3:4], 3, v[3:4]
	v_add_co_u32 v3, vcc_lo, s6, v3
	s_delay_alu instid0(VALU_DEP_2)
	v_add_co_ci_u32_e32 v4, vcc_lo, s7, v4, vcc_lo
	s_waitcnt vmcnt(0)
	global_store_b64 v[3:4], v[1:2], off
.LBB1512_54:
	s_nop 0
	s_sendmsg sendmsg(MSG_DEALLOC_VGPRS)
	s_endpgm
	.section	.rodata,"a",@progbits
	.p2align	6, 0x0
	.amdhsa_kernel _ZN7rocprim17ROCPRIM_400000_NS6detail17trampoline_kernelINS0_14default_configENS1_38merge_sort_block_merge_config_selectorIlNS0_10empty_typeEEEZZNS1_27merge_sort_block_merge_implIS3_PlPS5_mZN2at6native12_GLOBAL__N_124unique_dim_cuda_templateIjEESt5tupleIJNSA_6TensorESF_SF_EERKSF_lbbbEUlllE_EE10hipError_tT0_T1_T2_jT3_P12ihipStream_tbPNSt15iterator_traitsISL_E10value_typeEPNSR_ISM_E10value_typeEPSN_NS1_7vsmem_tEENKUlT_SL_SM_SN_E_clIS8_S8_S9_S9_EESK_S10_SL_SM_SN_EUlS10_E1_NS1_11comp_targetILNS1_3genE9ELNS1_11target_archE1100ELNS1_3gpuE3ELNS1_3repE0EEENS1_36merge_oddeven_config_static_selectorELNS0_4arch9wavefront6targetE0EEEvSM_
		.amdhsa_group_segment_fixed_size 0
		.amdhsa_private_segment_fixed_size 0
		.amdhsa_kernarg_size 64
		.amdhsa_user_sgpr_count 15
		.amdhsa_user_sgpr_dispatch_ptr 0
		.amdhsa_user_sgpr_queue_ptr 0
		.amdhsa_user_sgpr_kernarg_segment_ptr 1
		.amdhsa_user_sgpr_dispatch_id 0
		.amdhsa_user_sgpr_private_segment_size 0
		.amdhsa_wavefront_size32 1
		.amdhsa_uses_dynamic_stack 0
		.amdhsa_enable_private_segment 0
		.amdhsa_system_sgpr_workgroup_id_x 1
		.amdhsa_system_sgpr_workgroup_id_y 0
		.amdhsa_system_sgpr_workgroup_id_z 0
		.amdhsa_system_sgpr_workgroup_info 0
		.amdhsa_system_vgpr_workitem_id 0
		.amdhsa_next_free_vgpr 18
		.amdhsa_next_free_sgpr 28
		.amdhsa_reserve_vcc 1
		.amdhsa_float_round_mode_32 0
		.amdhsa_float_round_mode_16_64 0
		.amdhsa_float_denorm_mode_32 3
		.amdhsa_float_denorm_mode_16_64 3
		.amdhsa_dx10_clamp 1
		.amdhsa_ieee_mode 1
		.amdhsa_fp16_overflow 0
		.amdhsa_workgroup_processor_mode 1
		.amdhsa_memory_ordered 1
		.amdhsa_forward_progress 0
		.amdhsa_shared_vgpr_count 0
		.amdhsa_exception_fp_ieee_invalid_op 0
		.amdhsa_exception_fp_denorm_src 0
		.amdhsa_exception_fp_ieee_div_zero 0
		.amdhsa_exception_fp_ieee_overflow 0
		.amdhsa_exception_fp_ieee_underflow 0
		.amdhsa_exception_fp_ieee_inexact 0
		.amdhsa_exception_int_div_zero 0
	.end_amdhsa_kernel
	.section	.text._ZN7rocprim17ROCPRIM_400000_NS6detail17trampoline_kernelINS0_14default_configENS1_38merge_sort_block_merge_config_selectorIlNS0_10empty_typeEEEZZNS1_27merge_sort_block_merge_implIS3_PlPS5_mZN2at6native12_GLOBAL__N_124unique_dim_cuda_templateIjEESt5tupleIJNSA_6TensorESF_SF_EERKSF_lbbbEUlllE_EE10hipError_tT0_T1_T2_jT3_P12ihipStream_tbPNSt15iterator_traitsISL_E10value_typeEPNSR_ISM_E10value_typeEPSN_NS1_7vsmem_tEENKUlT_SL_SM_SN_E_clIS8_S8_S9_S9_EESK_S10_SL_SM_SN_EUlS10_E1_NS1_11comp_targetILNS1_3genE9ELNS1_11target_archE1100ELNS1_3gpuE3ELNS1_3repE0EEENS1_36merge_oddeven_config_static_selectorELNS0_4arch9wavefront6targetE0EEEvSM_,"axG",@progbits,_ZN7rocprim17ROCPRIM_400000_NS6detail17trampoline_kernelINS0_14default_configENS1_38merge_sort_block_merge_config_selectorIlNS0_10empty_typeEEEZZNS1_27merge_sort_block_merge_implIS3_PlPS5_mZN2at6native12_GLOBAL__N_124unique_dim_cuda_templateIjEESt5tupleIJNSA_6TensorESF_SF_EERKSF_lbbbEUlllE_EE10hipError_tT0_T1_T2_jT3_P12ihipStream_tbPNSt15iterator_traitsISL_E10value_typeEPNSR_ISM_E10value_typeEPSN_NS1_7vsmem_tEENKUlT_SL_SM_SN_E_clIS8_S8_S9_S9_EESK_S10_SL_SM_SN_EUlS10_E1_NS1_11comp_targetILNS1_3genE9ELNS1_11target_archE1100ELNS1_3gpuE3ELNS1_3repE0EEENS1_36merge_oddeven_config_static_selectorELNS0_4arch9wavefront6targetE0EEEvSM_,comdat
.Lfunc_end1512:
	.size	_ZN7rocprim17ROCPRIM_400000_NS6detail17trampoline_kernelINS0_14default_configENS1_38merge_sort_block_merge_config_selectorIlNS0_10empty_typeEEEZZNS1_27merge_sort_block_merge_implIS3_PlPS5_mZN2at6native12_GLOBAL__N_124unique_dim_cuda_templateIjEESt5tupleIJNSA_6TensorESF_SF_EERKSF_lbbbEUlllE_EE10hipError_tT0_T1_T2_jT3_P12ihipStream_tbPNSt15iterator_traitsISL_E10value_typeEPNSR_ISM_E10value_typeEPSN_NS1_7vsmem_tEENKUlT_SL_SM_SN_E_clIS8_S8_S9_S9_EESK_S10_SL_SM_SN_EUlS10_E1_NS1_11comp_targetILNS1_3genE9ELNS1_11target_archE1100ELNS1_3gpuE3ELNS1_3repE0EEENS1_36merge_oddeven_config_static_selectorELNS0_4arch9wavefront6targetE0EEEvSM_, .Lfunc_end1512-_ZN7rocprim17ROCPRIM_400000_NS6detail17trampoline_kernelINS0_14default_configENS1_38merge_sort_block_merge_config_selectorIlNS0_10empty_typeEEEZZNS1_27merge_sort_block_merge_implIS3_PlPS5_mZN2at6native12_GLOBAL__N_124unique_dim_cuda_templateIjEESt5tupleIJNSA_6TensorESF_SF_EERKSF_lbbbEUlllE_EE10hipError_tT0_T1_T2_jT3_P12ihipStream_tbPNSt15iterator_traitsISL_E10value_typeEPNSR_ISM_E10value_typeEPSN_NS1_7vsmem_tEENKUlT_SL_SM_SN_E_clIS8_S8_S9_S9_EESK_S10_SL_SM_SN_EUlS10_E1_NS1_11comp_targetILNS1_3genE9ELNS1_11target_archE1100ELNS1_3gpuE3ELNS1_3repE0EEENS1_36merge_oddeven_config_static_selectorELNS0_4arch9wavefront6targetE0EEEvSM_
                                        ; -- End function
	.section	.AMDGPU.csdata,"",@progbits
; Kernel info:
; codeLenInByte = 2052
; NumSgprs: 30
; NumVgprs: 18
; ScratchSize: 0
; MemoryBound: 0
; FloatMode: 240
; IeeeMode: 1
; LDSByteSize: 0 bytes/workgroup (compile time only)
; SGPRBlocks: 3
; VGPRBlocks: 2
; NumSGPRsForWavesPerEU: 30
; NumVGPRsForWavesPerEU: 18
; Occupancy: 16
; WaveLimiterHint : 0
; COMPUTE_PGM_RSRC2:SCRATCH_EN: 0
; COMPUTE_PGM_RSRC2:USER_SGPR: 15
; COMPUTE_PGM_RSRC2:TRAP_HANDLER: 0
; COMPUTE_PGM_RSRC2:TGID_X_EN: 1
; COMPUTE_PGM_RSRC2:TGID_Y_EN: 0
; COMPUTE_PGM_RSRC2:TGID_Z_EN: 0
; COMPUTE_PGM_RSRC2:TIDIG_COMP_CNT: 0
	.section	.text._ZN7rocprim17ROCPRIM_400000_NS6detail17trampoline_kernelINS0_14default_configENS1_38merge_sort_block_merge_config_selectorIlNS0_10empty_typeEEEZZNS1_27merge_sort_block_merge_implIS3_PlPS5_mZN2at6native12_GLOBAL__N_124unique_dim_cuda_templateIjEESt5tupleIJNSA_6TensorESF_SF_EERKSF_lbbbEUlllE_EE10hipError_tT0_T1_T2_jT3_P12ihipStream_tbPNSt15iterator_traitsISL_E10value_typeEPNSR_ISM_E10value_typeEPSN_NS1_7vsmem_tEENKUlT_SL_SM_SN_E_clIS8_S8_S9_S9_EESK_S10_SL_SM_SN_EUlS10_E1_NS1_11comp_targetILNS1_3genE8ELNS1_11target_archE1030ELNS1_3gpuE2ELNS1_3repE0EEENS1_36merge_oddeven_config_static_selectorELNS0_4arch9wavefront6targetE0EEEvSM_,"axG",@progbits,_ZN7rocprim17ROCPRIM_400000_NS6detail17trampoline_kernelINS0_14default_configENS1_38merge_sort_block_merge_config_selectorIlNS0_10empty_typeEEEZZNS1_27merge_sort_block_merge_implIS3_PlPS5_mZN2at6native12_GLOBAL__N_124unique_dim_cuda_templateIjEESt5tupleIJNSA_6TensorESF_SF_EERKSF_lbbbEUlllE_EE10hipError_tT0_T1_T2_jT3_P12ihipStream_tbPNSt15iterator_traitsISL_E10value_typeEPNSR_ISM_E10value_typeEPSN_NS1_7vsmem_tEENKUlT_SL_SM_SN_E_clIS8_S8_S9_S9_EESK_S10_SL_SM_SN_EUlS10_E1_NS1_11comp_targetILNS1_3genE8ELNS1_11target_archE1030ELNS1_3gpuE2ELNS1_3repE0EEENS1_36merge_oddeven_config_static_selectorELNS0_4arch9wavefront6targetE0EEEvSM_,comdat
	.globl	_ZN7rocprim17ROCPRIM_400000_NS6detail17trampoline_kernelINS0_14default_configENS1_38merge_sort_block_merge_config_selectorIlNS0_10empty_typeEEEZZNS1_27merge_sort_block_merge_implIS3_PlPS5_mZN2at6native12_GLOBAL__N_124unique_dim_cuda_templateIjEESt5tupleIJNSA_6TensorESF_SF_EERKSF_lbbbEUlllE_EE10hipError_tT0_T1_T2_jT3_P12ihipStream_tbPNSt15iterator_traitsISL_E10value_typeEPNSR_ISM_E10value_typeEPSN_NS1_7vsmem_tEENKUlT_SL_SM_SN_E_clIS8_S8_S9_S9_EESK_S10_SL_SM_SN_EUlS10_E1_NS1_11comp_targetILNS1_3genE8ELNS1_11target_archE1030ELNS1_3gpuE2ELNS1_3repE0EEENS1_36merge_oddeven_config_static_selectorELNS0_4arch9wavefront6targetE0EEEvSM_ ; -- Begin function _ZN7rocprim17ROCPRIM_400000_NS6detail17trampoline_kernelINS0_14default_configENS1_38merge_sort_block_merge_config_selectorIlNS0_10empty_typeEEEZZNS1_27merge_sort_block_merge_implIS3_PlPS5_mZN2at6native12_GLOBAL__N_124unique_dim_cuda_templateIjEESt5tupleIJNSA_6TensorESF_SF_EERKSF_lbbbEUlllE_EE10hipError_tT0_T1_T2_jT3_P12ihipStream_tbPNSt15iterator_traitsISL_E10value_typeEPNSR_ISM_E10value_typeEPSN_NS1_7vsmem_tEENKUlT_SL_SM_SN_E_clIS8_S8_S9_S9_EESK_S10_SL_SM_SN_EUlS10_E1_NS1_11comp_targetILNS1_3genE8ELNS1_11target_archE1030ELNS1_3gpuE2ELNS1_3repE0EEENS1_36merge_oddeven_config_static_selectorELNS0_4arch9wavefront6targetE0EEEvSM_
	.p2align	8
	.type	_ZN7rocprim17ROCPRIM_400000_NS6detail17trampoline_kernelINS0_14default_configENS1_38merge_sort_block_merge_config_selectorIlNS0_10empty_typeEEEZZNS1_27merge_sort_block_merge_implIS3_PlPS5_mZN2at6native12_GLOBAL__N_124unique_dim_cuda_templateIjEESt5tupleIJNSA_6TensorESF_SF_EERKSF_lbbbEUlllE_EE10hipError_tT0_T1_T2_jT3_P12ihipStream_tbPNSt15iterator_traitsISL_E10value_typeEPNSR_ISM_E10value_typeEPSN_NS1_7vsmem_tEENKUlT_SL_SM_SN_E_clIS8_S8_S9_S9_EESK_S10_SL_SM_SN_EUlS10_E1_NS1_11comp_targetILNS1_3genE8ELNS1_11target_archE1030ELNS1_3gpuE2ELNS1_3repE0EEENS1_36merge_oddeven_config_static_selectorELNS0_4arch9wavefront6targetE0EEEvSM_,@function
_ZN7rocprim17ROCPRIM_400000_NS6detail17trampoline_kernelINS0_14default_configENS1_38merge_sort_block_merge_config_selectorIlNS0_10empty_typeEEEZZNS1_27merge_sort_block_merge_implIS3_PlPS5_mZN2at6native12_GLOBAL__N_124unique_dim_cuda_templateIjEESt5tupleIJNSA_6TensorESF_SF_EERKSF_lbbbEUlllE_EE10hipError_tT0_T1_T2_jT3_P12ihipStream_tbPNSt15iterator_traitsISL_E10value_typeEPNSR_ISM_E10value_typeEPSN_NS1_7vsmem_tEENKUlT_SL_SM_SN_E_clIS8_S8_S9_S9_EESK_S10_SL_SM_SN_EUlS10_E1_NS1_11comp_targetILNS1_3genE8ELNS1_11target_archE1030ELNS1_3gpuE2ELNS1_3repE0EEENS1_36merge_oddeven_config_static_selectorELNS0_4arch9wavefront6targetE0EEEvSM_: ; @_ZN7rocprim17ROCPRIM_400000_NS6detail17trampoline_kernelINS0_14default_configENS1_38merge_sort_block_merge_config_selectorIlNS0_10empty_typeEEEZZNS1_27merge_sort_block_merge_implIS3_PlPS5_mZN2at6native12_GLOBAL__N_124unique_dim_cuda_templateIjEESt5tupleIJNSA_6TensorESF_SF_EERKSF_lbbbEUlllE_EE10hipError_tT0_T1_T2_jT3_P12ihipStream_tbPNSt15iterator_traitsISL_E10value_typeEPNSR_ISM_E10value_typeEPSN_NS1_7vsmem_tEENKUlT_SL_SM_SN_E_clIS8_S8_S9_S9_EESK_S10_SL_SM_SN_EUlS10_E1_NS1_11comp_targetILNS1_3genE8ELNS1_11target_archE1030ELNS1_3gpuE2ELNS1_3repE0EEENS1_36merge_oddeven_config_static_selectorELNS0_4arch9wavefront6targetE0EEEvSM_
; %bb.0:
	.section	.rodata,"a",@progbits
	.p2align	6, 0x0
	.amdhsa_kernel _ZN7rocprim17ROCPRIM_400000_NS6detail17trampoline_kernelINS0_14default_configENS1_38merge_sort_block_merge_config_selectorIlNS0_10empty_typeEEEZZNS1_27merge_sort_block_merge_implIS3_PlPS5_mZN2at6native12_GLOBAL__N_124unique_dim_cuda_templateIjEESt5tupleIJNSA_6TensorESF_SF_EERKSF_lbbbEUlllE_EE10hipError_tT0_T1_T2_jT3_P12ihipStream_tbPNSt15iterator_traitsISL_E10value_typeEPNSR_ISM_E10value_typeEPSN_NS1_7vsmem_tEENKUlT_SL_SM_SN_E_clIS8_S8_S9_S9_EESK_S10_SL_SM_SN_EUlS10_E1_NS1_11comp_targetILNS1_3genE8ELNS1_11target_archE1030ELNS1_3gpuE2ELNS1_3repE0EEENS1_36merge_oddeven_config_static_selectorELNS0_4arch9wavefront6targetE0EEEvSM_
		.amdhsa_group_segment_fixed_size 0
		.amdhsa_private_segment_fixed_size 0
		.amdhsa_kernarg_size 64
		.amdhsa_user_sgpr_count 15
		.amdhsa_user_sgpr_dispatch_ptr 0
		.amdhsa_user_sgpr_queue_ptr 0
		.amdhsa_user_sgpr_kernarg_segment_ptr 1
		.amdhsa_user_sgpr_dispatch_id 0
		.amdhsa_user_sgpr_private_segment_size 0
		.amdhsa_wavefront_size32 1
		.amdhsa_uses_dynamic_stack 0
		.amdhsa_enable_private_segment 0
		.amdhsa_system_sgpr_workgroup_id_x 1
		.amdhsa_system_sgpr_workgroup_id_y 0
		.amdhsa_system_sgpr_workgroup_id_z 0
		.amdhsa_system_sgpr_workgroup_info 0
		.amdhsa_system_vgpr_workitem_id 0
		.amdhsa_next_free_vgpr 1
		.amdhsa_next_free_sgpr 1
		.amdhsa_reserve_vcc 0
		.amdhsa_float_round_mode_32 0
		.amdhsa_float_round_mode_16_64 0
		.amdhsa_float_denorm_mode_32 3
		.amdhsa_float_denorm_mode_16_64 3
		.amdhsa_dx10_clamp 1
		.amdhsa_ieee_mode 1
		.amdhsa_fp16_overflow 0
		.amdhsa_workgroup_processor_mode 1
		.amdhsa_memory_ordered 1
		.amdhsa_forward_progress 0
		.amdhsa_shared_vgpr_count 0
		.amdhsa_exception_fp_ieee_invalid_op 0
		.amdhsa_exception_fp_denorm_src 0
		.amdhsa_exception_fp_ieee_div_zero 0
		.amdhsa_exception_fp_ieee_overflow 0
		.amdhsa_exception_fp_ieee_underflow 0
		.amdhsa_exception_fp_ieee_inexact 0
		.amdhsa_exception_int_div_zero 0
	.end_amdhsa_kernel
	.section	.text._ZN7rocprim17ROCPRIM_400000_NS6detail17trampoline_kernelINS0_14default_configENS1_38merge_sort_block_merge_config_selectorIlNS0_10empty_typeEEEZZNS1_27merge_sort_block_merge_implIS3_PlPS5_mZN2at6native12_GLOBAL__N_124unique_dim_cuda_templateIjEESt5tupleIJNSA_6TensorESF_SF_EERKSF_lbbbEUlllE_EE10hipError_tT0_T1_T2_jT3_P12ihipStream_tbPNSt15iterator_traitsISL_E10value_typeEPNSR_ISM_E10value_typeEPSN_NS1_7vsmem_tEENKUlT_SL_SM_SN_E_clIS8_S8_S9_S9_EESK_S10_SL_SM_SN_EUlS10_E1_NS1_11comp_targetILNS1_3genE8ELNS1_11target_archE1030ELNS1_3gpuE2ELNS1_3repE0EEENS1_36merge_oddeven_config_static_selectorELNS0_4arch9wavefront6targetE0EEEvSM_,"axG",@progbits,_ZN7rocprim17ROCPRIM_400000_NS6detail17trampoline_kernelINS0_14default_configENS1_38merge_sort_block_merge_config_selectorIlNS0_10empty_typeEEEZZNS1_27merge_sort_block_merge_implIS3_PlPS5_mZN2at6native12_GLOBAL__N_124unique_dim_cuda_templateIjEESt5tupleIJNSA_6TensorESF_SF_EERKSF_lbbbEUlllE_EE10hipError_tT0_T1_T2_jT3_P12ihipStream_tbPNSt15iterator_traitsISL_E10value_typeEPNSR_ISM_E10value_typeEPSN_NS1_7vsmem_tEENKUlT_SL_SM_SN_E_clIS8_S8_S9_S9_EESK_S10_SL_SM_SN_EUlS10_E1_NS1_11comp_targetILNS1_3genE8ELNS1_11target_archE1030ELNS1_3gpuE2ELNS1_3repE0EEENS1_36merge_oddeven_config_static_selectorELNS0_4arch9wavefront6targetE0EEEvSM_,comdat
.Lfunc_end1513:
	.size	_ZN7rocprim17ROCPRIM_400000_NS6detail17trampoline_kernelINS0_14default_configENS1_38merge_sort_block_merge_config_selectorIlNS0_10empty_typeEEEZZNS1_27merge_sort_block_merge_implIS3_PlPS5_mZN2at6native12_GLOBAL__N_124unique_dim_cuda_templateIjEESt5tupleIJNSA_6TensorESF_SF_EERKSF_lbbbEUlllE_EE10hipError_tT0_T1_T2_jT3_P12ihipStream_tbPNSt15iterator_traitsISL_E10value_typeEPNSR_ISM_E10value_typeEPSN_NS1_7vsmem_tEENKUlT_SL_SM_SN_E_clIS8_S8_S9_S9_EESK_S10_SL_SM_SN_EUlS10_E1_NS1_11comp_targetILNS1_3genE8ELNS1_11target_archE1030ELNS1_3gpuE2ELNS1_3repE0EEENS1_36merge_oddeven_config_static_selectorELNS0_4arch9wavefront6targetE0EEEvSM_, .Lfunc_end1513-_ZN7rocprim17ROCPRIM_400000_NS6detail17trampoline_kernelINS0_14default_configENS1_38merge_sort_block_merge_config_selectorIlNS0_10empty_typeEEEZZNS1_27merge_sort_block_merge_implIS3_PlPS5_mZN2at6native12_GLOBAL__N_124unique_dim_cuda_templateIjEESt5tupleIJNSA_6TensorESF_SF_EERKSF_lbbbEUlllE_EE10hipError_tT0_T1_T2_jT3_P12ihipStream_tbPNSt15iterator_traitsISL_E10value_typeEPNSR_ISM_E10value_typeEPSN_NS1_7vsmem_tEENKUlT_SL_SM_SN_E_clIS8_S8_S9_S9_EESK_S10_SL_SM_SN_EUlS10_E1_NS1_11comp_targetILNS1_3genE8ELNS1_11target_archE1030ELNS1_3gpuE2ELNS1_3repE0EEENS1_36merge_oddeven_config_static_selectorELNS0_4arch9wavefront6targetE0EEEvSM_
                                        ; -- End function
	.section	.AMDGPU.csdata,"",@progbits
; Kernel info:
; codeLenInByte = 0
; NumSgprs: 0
; NumVgprs: 0
; ScratchSize: 0
; MemoryBound: 0
; FloatMode: 240
; IeeeMode: 1
; LDSByteSize: 0 bytes/workgroup (compile time only)
; SGPRBlocks: 0
; VGPRBlocks: 0
; NumSGPRsForWavesPerEU: 1
; NumVGPRsForWavesPerEU: 1
; Occupancy: 16
; WaveLimiterHint : 0
; COMPUTE_PGM_RSRC2:SCRATCH_EN: 0
; COMPUTE_PGM_RSRC2:USER_SGPR: 15
; COMPUTE_PGM_RSRC2:TRAP_HANDLER: 0
; COMPUTE_PGM_RSRC2:TGID_X_EN: 1
; COMPUTE_PGM_RSRC2:TGID_Y_EN: 0
; COMPUTE_PGM_RSRC2:TGID_Z_EN: 0
; COMPUTE_PGM_RSRC2:TIDIG_COMP_CNT: 0
	.section	.text._ZN7rocprim17ROCPRIM_400000_NS6detail17trampoline_kernelINS0_14default_configENS1_35adjacent_difference_config_selectorILb0ElEEZNS1_24adjacent_difference_implIS3_Lb0ELb0EPlS7_ZN2at6native12_GLOBAL__N_124unique_dim_cuda_templateIjEESt5tupleIJNS8_6TensorESD_SD_EERKSD_lbbbEUlllE1_EE10hipError_tPvRmT2_T3_mT4_P12ihipStream_tbEUlT_E_NS1_11comp_targetILNS1_3genE0ELNS1_11target_archE4294967295ELNS1_3gpuE0ELNS1_3repE0EEENS1_30default_config_static_selectorELNS0_4arch9wavefront6targetE0EEEvT1_,"axG",@progbits,_ZN7rocprim17ROCPRIM_400000_NS6detail17trampoline_kernelINS0_14default_configENS1_35adjacent_difference_config_selectorILb0ElEEZNS1_24adjacent_difference_implIS3_Lb0ELb0EPlS7_ZN2at6native12_GLOBAL__N_124unique_dim_cuda_templateIjEESt5tupleIJNS8_6TensorESD_SD_EERKSD_lbbbEUlllE1_EE10hipError_tPvRmT2_T3_mT4_P12ihipStream_tbEUlT_E_NS1_11comp_targetILNS1_3genE0ELNS1_11target_archE4294967295ELNS1_3gpuE0ELNS1_3repE0EEENS1_30default_config_static_selectorELNS0_4arch9wavefront6targetE0EEEvT1_,comdat
	.globl	_ZN7rocprim17ROCPRIM_400000_NS6detail17trampoline_kernelINS0_14default_configENS1_35adjacent_difference_config_selectorILb0ElEEZNS1_24adjacent_difference_implIS3_Lb0ELb0EPlS7_ZN2at6native12_GLOBAL__N_124unique_dim_cuda_templateIjEESt5tupleIJNS8_6TensorESD_SD_EERKSD_lbbbEUlllE1_EE10hipError_tPvRmT2_T3_mT4_P12ihipStream_tbEUlT_E_NS1_11comp_targetILNS1_3genE0ELNS1_11target_archE4294967295ELNS1_3gpuE0ELNS1_3repE0EEENS1_30default_config_static_selectorELNS0_4arch9wavefront6targetE0EEEvT1_ ; -- Begin function _ZN7rocprim17ROCPRIM_400000_NS6detail17trampoline_kernelINS0_14default_configENS1_35adjacent_difference_config_selectorILb0ElEEZNS1_24adjacent_difference_implIS3_Lb0ELb0EPlS7_ZN2at6native12_GLOBAL__N_124unique_dim_cuda_templateIjEESt5tupleIJNS8_6TensorESD_SD_EERKSD_lbbbEUlllE1_EE10hipError_tPvRmT2_T3_mT4_P12ihipStream_tbEUlT_E_NS1_11comp_targetILNS1_3genE0ELNS1_11target_archE4294967295ELNS1_3gpuE0ELNS1_3repE0EEENS1_30default_config_static_selectorELNS0_4arch9wavefront6targetE0EEEvT1_
	.p2align	8
	.type	_ZN7rocprim17ROCPRIM_400000_NS6detail17trampoline_kernelINS0_14default_configENS1_35adjacent_difference_config_selectorILb0ElEEZNS1_24adjacent_difference_implIS3_Lb0ELb0EPlS7_ZN2at6native12_GLOBAL__N_124unique_dim_cuda_templateIjEESt5tupleIJNS8_6TensorESD_SD_EERKSD_lbbbEUlllE1_EE10hipError_tPvRmT2_T3_mT4_P12ihipStream_tbEUlT_E_NS1_11comp_targetILNS1_3genE0ELNS1_11target_archE4294967295ELNS1_3gpuE0ELNS1_3repE0EEENS1_30default_config_static_selectorELNS0_4arch9wavefront6targetE0EEEvT1_,@function
_ZN7rocprim17ROCPRIM_400000_NS6detail17trampoline_kernelINS0_14default_configENS1_35adjacent_difference_config_selectorILb0ElEEZNS1_24adjacent_difference_implIS3_Lb0ELb0EPlS7_ZN2at6native12_GLOBAL__N_124unique_dim_cuda_templateIjEESt5tupleIJNS8_6TensorESD_SD_EERKSD_lbbbEUlllE1_EE10hipError_tPvRmT2_T3_mT4_P12ihipStream_tbEUlT_E_NS1_11comp_targetILNS1_3genE0ELNS1_11target_archE4294967295ELNS1_3gpuE0ELNS1_3repE0EEENS1_30default_config_static_selectorELNS0_4arch9wavefront6targetE0EEEvT1_: ; @_ZN7rocprim17ROCPRIM_400000_NS6detail17trampoline_kernelINS0_14default_configENS1_35adjacent_difference_config_selectorILb0ElEEZNS1_24adjacent_difference_implIS3_Lb0ELb0EPlS7_ZN2at6native12_GLOBAL__N_124unique_dim_cuda_templateIjEESt5tupleIJNS8_6TensorESD_SD_EERKSD_lbbbEUlllE1_EE10hipError_tPvRmT2_T3_mT4_P12ihipStream_tbEUlT_E_NS1_11comp_targetILNS1_3genE0ELNS1_11target_archE4294967295ELNS1_3gpuE0ELNS1_3repE0EEENS1_30default_config_static_selectorELNS0_4arch9wavefront6targetE0EEEvT1_
; %bb.0:
	.section	.rodata,"a",@progbits
	.p2align	6, 0x0
	.amdhsa_kernel _ZN7rocprim17ROCPRIM_400000_NS6detail17trampoline_kernelINS0_14default_configENS1_35adjacent_difference_config_selectorILb0ElEEZNS1_24adjacent_difference_implIS3_Lb0ELb0EPlS7_ZN2at6native12_GLOBAL__N_124unique_dim_cuda_templateIjEESt5tupleIJNS8_6TensorESD_SD_EERKSD_lbbbEUlllE1_EE10hipError_tPvRmT2_T3_mT4_P12ihipStream_tbEUlT_E_NS1_11comp_targetILNS1_3genE0ELNS1_11target_archE4294967295ELNS1_3gpuE0ELNS1_3repE0EEENS1_30default_config_static_selectorELNS0_4arch9wavefront6targetE0EEEvT1_
		.amdhsa_group_segment_fixed_size 0
		.amdhsa_private_segment_fixed_size 0
		.amdhsa_kernarg_size 64
		.amdhsa_user_sgpr_count 15
		.amdhsa_user_sgpr_dispatch_ptr 0
		.amdhsa_user_sgpr_queue_ptr 0
		.amdhsa_user_sgpr_kernarg_segment_ptr 1
		.amdhsa_user_sgpr_dispatch_id 0
		.amdhsa_user_sgpr_private_segment_size 0
		.amdhsa_wavefront_size32 1
		.amdhsa_uses_dynamic_stack 0
		.amdhsa_enable_private_segment 0
		.amdhsa_system_sgpr_workgroup_id_x 1
		.amdhsa_system_sgpr_workgroup_id_y 0
		.amdhsa_system_sgpr_workgroup_id_z 0
		.amdhsa_system_sgpr_workgroup_info 0
		.amdhsa_system_vgpr_workitem_id 0
		.amdhsa_next_free_vgpr 1
		.amdhsa_next_free_sgpr 1
		.amdhsa_reserve_vcc 0
		.amdhsa_float_round_mode_32 0
		.amdhsa_float_round_mode_16_64 0
		.amdhsa_float_denorm_mode_32 3
		.amdhsa_float_denorm_mode_16_64 3
		.amdhsa_dx10_clamp 1
		.amdhsa_ieee_mode 1
		.amdhsa_fp16_overflow 0
		.amdhsa_workgroup_processor_mode 1
		.amdhsa_memory_ordered 1
		.amdhsa_forward_progress 0
		.amdhsa_shared_vgpr_count 0
		.amdhsa_exception_fp_ieee_invalid_op 0
		.amdhsa_exception_fp_denorm_src 0
		.amdhsa_exception_fp_ieee_div_zero 0
		.amdhsa_exception_fp_ieee_overflow 0
		.amdhsa_exception_fp_ieee_underflow 0
		.amdhsa_exception_fp_ieee_inexact 0
		.amdhsa_exception_int_div_zero 0
	.end_amdhsa_kernel
	.section	.text._ZN7rocprim17ROCPRIM_400000_NS6detail17trampoline_kernelINS0_14default_configENS1_35adjacent_difference_config_selectorILb0ElEEZNS1_24adjacent_difference_implIS3_Lb0ELb0EPlS7_ZN2at6native12_GLOBAL__N_124unique_dim_cuda_templateIjEESt5tupleIJNS8_6TensorESD_SD_EERKSD_lbbbEUlllE1_EE10hipError_tPvRmT2_T3_mT4_P12ihipStream_tbEUlT_E_NS1_11comp_targetILNS1_3genE0ELNS1_11target_archE4294967295ELNS1_3gpuE0ELNS1_3repE0EEENS1_30default_config_static_selectorELNS0_4arch9wavefront6targetE0EEEvT1_,"axG",@progbits,_ZN7rocprim17ROCPRIM_400000_NS6detail17trampoline_kernelINS0_14default_configENS1_35adjacent_difference_config_selectorILb0ElEEZNS1_24adjacent_difference_implIS3_Lb0ELb0EPlS7_ZN2at6native12_GLOBAL__N_124unique_dim_cuda_templateIjEESt5tupleIJNS8_6TensorESD_SD_EERKSD_lbbbEUlllE1_EE10hipError_tPvRmT2_T3_mT4_P12ihipStream_tbEUlT_E_NS1_11comp_targetILNS1_3genE0ELNS1_11target_archE4294967295ELNS1_3gpuE0ELNS1_3repE0EEENS1_30default_config_static_selectorELNS0_4arch9wavefront6targetE0EEEvT1_,comdat
.Lfunc_end1514:
	.size	_ZN7rocprim17ROCPRIM_400000_NS6detail17trampoline_kernelINS0_14default_configENS1_35adjacent_difference_config_selectorILb0ElEEZNS1_24adjacent_difference_implIS3_Lb0ELb0EPlS7_ZN2at6native12_GLOBAL__N_124unique_dim_cuda_templateIjEESt5tupleIJNS8_6TensorESD_SD_EERKSD_lbbbEUlllE1_EE10hipError_tPvRmT2_T3_mT4_P12ihipStream_tbEUlT_E_NS1_11comp_targetILNS1_3genE0ELNS1_11target_archE4294967295ELNS1_3gpuE0ELNS1_3repE0EEENS1_30default_config_static_selectorELNS0_4arch9wavefront6targetE0EEEvT1_, .Lfunc_end1514-_ZN7rocprim17ROCPRIM_400000_NS6detail17trampoline_kernelINS0_14default_configENS1_35adjacent_difference_config_selectorILb0ElEEZNS1_24adjacent_difference_implIS3_Lb0ELb0EPlS7_ZN2at6native12_GLOBAL__N_124unique_dim_cuda_templateIjEESt5tupleIJNS8_6TensorESD_SD_EERKSD_lbbbEUlllE1_EE10hipError_tPvRmT2_T3_mT4_P12ihipStream_tbEUlT_E_NS1_11comp_targetILNS1_3genE0ELNS1_11target_archE4294967295ELNS1_3gpuE0ELNS1_3repE0EEENS1_30default_config_static_selectorELNS0_4arch9wavefront6targetE0EEEvT1_
                                        ; -- End function
	.section	.AMDGPU.csdata,"",@progbits
; Kernel info:
; codeLenInByte = 0
; NumSgprs: 0
; NumVgprs: 0
; ScratchSize: 0
; MemoryBound: 0
; FloatMode: 240
; IeeeMode: 1
; LDSByteSize: 0 bytes/workgroup (compile time only)
; SGPRBlocks: 0
; VGPRBlocks: 0
; NumSGPRsForWavesPerEU: 1
; NumVGPRsForWavesPerEU: 1
; Occupancy: 16
; WaveLimiterHint : 0
; COMPUTE_PGM_RSRC2:SCRATCH_EN: 0
; COMPUTE_PGM_RSRC2:USER_SGPR: 15
; COMPUTE_PGM_RSRC2:TRAP_HANDLER: 0
; COMPUTE_PGM_RSRC2:TGID_X_EN: 1
; COMPUTE_PGM_RSRC2:TGID_Y_EN: 0
; COMPUTE_PGM_RSRC2:TGID_Z_EN: 0
; COMPUTE_PGM_RSRC2:TIDIG_COMP_CNT: 0
	.section	.text._ZN7rocprim17ROCPRIM_400000_NS6detail17trampoline_kernelINS0_14default_configENS1_35adjacent_difference_config_selectorILb0ElEEZNS1_24adjacent_difference_implIS3_Lb0ELb0EPlS7_ZN2at6native12_GLOBAL__N_124unique_dim_cuda_templateIjEESt5tupleIJNS8_6TensorESD_SD_EERKSD_lbbbEUlllE1_EE10hipError_tPvRmT2_T3_mT4_P12ihipStream_tbEUlT_E_NS1_11comp_targetILNS1_3genE10ELNS1_11target_archE1201ELNS1_3gpuE5ELNS1_3repE0EEENS1_30default_config_static_selectorELNS0_4arch9wavefront6targetE0EEEvT1_,"axG",@progbits,_ZN7rocprim17ROCPRIM_400000_NS6detail17trampoline_kernelINS0_14default_configENS1_35adjacent_difference_config_selectorILb0ElEEZNS1_24adjacent_difference_implIS3_Lb0ELb0EPlS7_ZN2at6native12_GLOBAL__N_124unique_dim_cuda_templateIjEESt5tupleIJNS8_6TensorESD_SD_EERKSD_lbbbEUlllE1_EE10hipError_tPvRmT2_T3_mT4_P12ihipStream_tbEUlT_E_NS1_11comp_targetILNS1_3genE10ELNS1_11target_archE1201ELNS1_3gpuE5ELNS1_3repE0EEENS1_30default_config_static_selectorELNS0_4arch9wavefront6targetE0EEEvT1_,comdat
	.globl	_ZN7rocprim17ROCPRIM_400000_NS6detail17trampoline_kernelINS0_14default_configENS1_35adjacent_difference_config_selectorILb0ElEEZNS1_24adjacent_difference_implIS3_Lb0ELb0EPlS7_ZN2at6native12_GLOBAL__N_124unique_dim_cuda_templateIjEESt5tupleIJNS8_6TensorESD_SD_EERKSD_lbbbEUlllE1_EE10hipError_tPvRmT2_T3_mT4_P12ihipStream_tbEUlT_E_NS1_11comp_targetILNS1_3genE10ELNS1_11target_archE1201ELNS1_3gpuE5ELNS1_3repE0EEENS1_30default_config_static_selectorELNS0_4arch9wavefront6targetE0EEEvT1_ ; -- Begin function _ZN7rocprim17ROCPRIM_400000_NS6detail17trampoline_kernelINS0_14default_configENS1_35adjacent_difference_config_selectorILb0ElEEZNS1_24adjacent_difference_implIS3_Lb0ELb0EPlS7_ZN2at6native12_GLOBAL__N_124unique_dim_cuda_templateIjEESt5tupleIJNS8_6TensorESD_SD_EERKSD_lbbbEUlllE1_EE10hipError_tPvRmT2_T3_mT4_P12ihipStream_tbEUlT_E_NS1_11comp_targetILNS1_3genE10ELNS1_11target_archE1201ELNS1_3gpuE5ELNS1_3repE0EEENS1_30default_config_static_selectorELNS0_4arch9wavefront6targetE0EEEvT1_
	.p2align	8
	.type	_ZN7rocprim17ROCPRIM_400000_NS6detail17trampoline_kernelINS0_14default_configENS1_35adjacent_difference_config_selectorILb0ElEEZNS1_24adjacent_difference_implIS3_Lb0ELb0EPlS7_ZN2at6native12_GLOBAL__N_124unique_dim_cuda_templateIjEESt5tupleIJNS8_6TensorESD_SD_EERKSD_lbbbEUlllE1_EE10hipError_tPvRmT2_T3_mT4_P12ihipStream_tbEUlT_E_NS1_11comp_targetILNS1_3genE10ELNS1_11target_archE1201ELNS1_3gpuE5ELNS1_3repE0EEENS1_30default_config_static_selectorELNS0_4arch9wavefront6targetE0EEEvT1_,@function
_ZN7rocprim17ROCPRIM_400000_NS6detail17trampoline_kernelINS0_14default_configENS1_35adjacent_difference_config_selectorILb0ElEEZNS1_24adjacent_difference_implIS3_Lb0ELb0EPlS7_ZN2at6native12_GLOBAL__N_124unique_dim_cuda_templateIjEESt5tupleIJNS8_6TensorESD_SD_EERKSD_lbbbEUlllE1_EE10hipError_tPvRmT2_T3_mT4_P12ihipStream_tbEUlT_E_NS1_11comp_targetILNS1_3genE10ELNS1_11target_archE1201ELNS1_3gpuE5ELNS1_3repE0EEENS1_30default_config_static_selectorELNS0_4arch9wavefront6targetE0EEEvT1_: ; @_ZN7rocprim17ROCPRIM_400000_NS6detail17trampoline_kernelINS0_14default_configENS1_35adjacent_difference_config_selectorILb0ElEEZNS1_24adjacent_difference_implIS3_Lb0ELb0EPlS7_ZN2at6native12_GLOBAL__N_124unique_dim_cuda_templateIjEESt5tupleIJNS8_6TensorESD_SD_EERKSD_lbbbEUlllE1_EE10hipError_tPvRmT2_T3_mT4_P12ihipStream_tbEUlT_E_NS1_11comp_targetILNS1_3genE10ELNS1_11target_archE1201ELNS1_3gpuE5ELNS1_3repE0EEENS1_30default_config_static_selectorELNS0_4arch9wavefront6targetE0EEEvT1_
; %bb.0:
	.section	.rodata,"a",@progbits
	.p2align	6, 0x0
	.amdhsa_kernel _ZN7rocprim17ROCPRIM_400000_NS6detail17trampoline_kernelINS0_14default_configENS1_35adjacent_difference_config_selectorILb0ElEEZNS1_24adjacent_difference_implIS3_Lb0ELb0EPlS7_ZN2at6native12_GLOBAL__N_124unique_dim_cuda_templateIjEESt5tupleIJNS8_6TensorESD_SD_EERKSD_lbbbEUlllE1_EE10hipError_tPvRmT2_T3_mT4_P12ihipStream_tbEUlT_E_NS1_11comp_targetILNS1_3genE10ELNS1_11target_archE1201ELNS1_3gpuE5ELNS1_3repE0EEENS1_30default_config_static_selectorELNS0_4arch9wavefront6targetE0EEEvT1_
		.amdhsa_group_segment_fixed_size 0
		.amdhsa_private_segment_fixed_size 0
		.amdhsa_kernarg_size 64
		.amdhsa_user_sgpr_count 15
		.amdhsa_user_sgpr_dispatch_ptr 0
		.amdhsa_user_sgpr_queue_ptr 0
		.amdhsa_user_sgpr_kernarg_segment_ptr 1
		.amdhsa_user_sgpr_dispatch_id 0
		.amdhsa_user_sgpr_private_segment_size 0
		.amdhsa_wavefront_size32 1
		.amdhsa_uses_dynamic_stack 0
		.amdhsa_enable_private_segment 0
		.amdhsa_system_sgpr_workgroup_id_x 1
		.amdhsa_system_sgpr_workgroup_id_y 0
		.amdhsa_system_sgpr_workgroup_id_z 0
		.amdhsa_system_sgpr_workgroup_info 0
		.amdhsa_system_vgpr_workitem_id 0
		.amdhsa_next_free_vgpr 1
		.amdhsa_next_free_sgpr 1
		.amdhsa_reserve_vcc 0
		.amdhsa_float_round_mode_32 0
		.amdhsa_float_round_mode_16_64 0
		.amdhsa_float_denorm_mode_32 3
		.amdhsa_float_denorm_mode_16_64 3
		.amdhsa_dx10_clamp 1
		.amdhsa_ieee_mode 1
		.amdhsa_fp16_overflow 0
		.amdhsa_workgroup_processor_mode 1
		.amdhsa_memory_ordered 1
		.amdhsa_forward_progress 0
		.amdhsa_shared_vgpr_count 0
		.amdhsa_exception_fp_ieee_invalid_op 0
		.amdhsa_exception_fp_denorm_src 0
		.amdhsa_exception_fp_ieee_div_zero 0
		.amdhsa_exception_fp_ieee_overflow 0
		.amdhsa_exception_fp_ieee_underflow 0
		.amdhsa_exception_fp_ieee_inexact 0
		.amdhsa_exception_int_div_zero 0
	.end_amdhsa_kernel
	.section	.text._ZN7rocprim17ROCPRIM_400000_NS6detail17trampoline_kernelINS0_14default_configENS1_35adjacent_difference_config_selectorILb0ElEEZNS1_24adjacent_difference_implIS3_Lb0ELb0EPlS7_ZN2at6native12_GLOBAL__N_124unique_dim_cuda_templateIjEESt5tupleIJNS8_6TensorESD_SD_EERKSD_lbbbEUlllE1_EE10hipError_tPvRmT2_T3_mT4_P12ihipStream_tbEUlT_E_NS1_11comp_targetILNS1_3genE10ELNS1_11target_archE1201ELNS1_3gpuE5ELNS1_3repE0EEENS1_30default_config_static_selectorELNS0_4arch9wavefront6targetE0EEEvT1_,"axG",@progbits,_ZN7rocprim17ROCPRIM_400000_NS6detail17trampoline_kernelINS0_14default_configENS1_35adjacent_difference_config_selectorILb0ElEEZNS1_24adjacent_difference_implIS3_Lb0ELb0EPlS7_ZN2at6native12_GLOBAL__N_124unique_dim_cuda_templateIjEESt5tupleIJNS8_6TensorESD_SD_EERKSD_lbbbEUlllE1_EE10hipError_tPvRmT2_T3_mT4_P12ihipStream_tbEUlT_E_NS1_11comp_targetILNS1_3genE10ELNS1_11target_archE1201ELNS1_3gpuE5ELNS1_3repE0EEENS1_30default_config_static_selectorELNS0_4arch9wavefront6targetE0EEEvT1_,comdat
.Lfunc_end1515:
	.size	_ZN7rocprim17ROCPRIM_400000_NS6detail17trampoline_kernelINS0_14default_configENS1_35adjacent_difference_config_selectorILb0ElEEZNS1_24adjacent_difference_implIS3_Lb0ELb0EPlS7_ZN2at6native12_GLOBAL__N_124unique_dim_cuda_templateIjEESt5tupleIJNS8_6TensorESD_SD_EERKSD_lbbbEUlllE1_EE10hipError_tPvRmT2_T3_mT4_P12ihipStream_tbEUlT_E_NS1_11comp_targetILNS1_3genE10ELNS1_11target_archE1201ELNS1_3gpuE5ELNS1_3repE0EEENS1_30default_config_static_selectorELNS0_4arch9wavefront6targetE0EEEvT1_, .Lfunc_end1515-_ZN7rocprim17ROCPRIM_400000_NS6detail17trampoline_kernelINS0_14default_configENS1_35adjacent_difference_config_selectorILb0ElEEZNS1_24adjacent_difference_implIS3_Lb0ELb0EPlS7_ZN2at6native12_GLOBAL__N_124unique_dim_cuda_templateIjEESt5tupleIJNS8_6TensorESD_SD_EERKSD_lbbbEUlllE1_EE10hipError_tPvRmT2_T3_mT4_P12ihipStream_tbEUlT_E_NS1_11comp_targetILNS1_3genE10ELNS1_11target_archE1201ELNS1_3gpuE5ELNS1_3repE0EEENS1_30default_config_static_selectorELNS0_4arch9wavefront6targetE0EEEvT1_
                                        ; -- End function
	.section	.AMDGPU.csdata,"",@progbits
; Kernel info:
; codeLenInByte = 0
; NumSgprs: 0
; NumVgprs: 0
; ScratchSize: 0
; MemoryBound: 0
; FloatMode: 240
; IeeeMode: 1
; LDSByteSize: 0 bytes/workgroup (compile time only)
; SGPRBlocks: 0
; VGPRBlocks: 0
; NumSGPRsForWavesPerEU: 1
; NumVGPRsForWavesPerEU: 1
; Occupancy: 16
; WaveLimiterHint : 0
; COMPUTE_PGM_RSRC2:SCRATCH_EN: 0
; COMPUTE_PGM_RSRC2:USER_SGPR: 15
; COMPUTE_PGM_RSRC2:TRAP_HANDLER: 0
; COMPUTE_PGM_RSRC2:TGID_X_EN: 1
; COMPUTE_PGM_RSRC2:TGID_Y_EN: 0
; COMPUTE_PGM_RSRC2:TGID_Z_EN: 0
; COMPUTE_PGM_RSRC2:TIDIG_COMP_CNT: 0
	.section	.text._ZN7rocprim17ROCPRIM_400000_NS6detail17trampoline_kernelINS0_14default_configENS1_35adjacent_difference_config_selectorILb0ElEEZNS1_24adjacent_difference_implIS3_Lb0ELb0EPlS7_ZN2at6native12_GLOBAL__N_124unique_dim_cuda_templateIjEESt5tupleIJNS8_6TensorESD_SD_EERKSD_lbbbEUlllE1_EE10hipError_tPvRmT2_T3_mT4_P12ihipStream_tbEUlT_E_NS1_11comp_targetILNS1_3genE5ELNS1_11target_archE942ELNS1_3gpuE9ELNS1_3repE0EEENS1_30default_config_static_selectorELNS0_4arch9wavefront6targetE0EEEvT1_,"axG",@progbits,_ZN7rocprim17ROCPRIM_400000_NS6detail17trampoline_kernelINS0_14default_configENS1_35adjacent_difference_config_selectorILb0ElEEZNS1_24adjacent_difference_implIS3_Lb0ELb0EPlS7_ZN2at6native12_GLOBAL__N_124unique_dim_cuda_templateIjEESt5tupleIJNS8_6TensorESD_SD_EERKSD_lbbbEUlllE1_EE10hipError_tPvRmT2_T3_mT4_P12ihipStream_tbEUlT_E_NS1_11comp_targetILNS1_3genE5ELNS1_11target_archE942ELNS1_3gpuE9ELNS1_3repE0EEENS1_30default_config_static_selectorELNS0_4arch9wavefront6targetE0EEEvT1_,comdat
	.globl	_ZN7rocprim17ROCPRIM_400000_NS6detail17trampoline_kernelINS0_14default_configENS1_35adjacent_difference_config_selectorILb0ElEEZNS1_24adjacent_difference_implIS3_Lb0ELb0EPlS7_ZN2at6native12_GLOBAL__N_124unique_dim_cuda_templateIjEESt5tupleIJNS8_6TensorESD_SD_EERKSD_lbbbEUlllE1_EE10hipError_tPvRmT2_T3_mT4_P12ihipStream_tbEUlT_E_NS1_11comp_targetILNS1_3genE5ELNS1_11target_archE942ELNS1_3gpuE9ELNS1_3repE0EEENS1_30default_config_static_selectorELNS0_4arch9wavefront6targetE0EEEvT1_ ; -- Begin function _ZN7rocprim17ROCPRIM_400000_NS6detail17trampoline_kernelINS0_14default_configENS1_35adjacent_difference_config_selectorILb0ElEEZNS1_24adjacent_difference_implIS3_Lb0ELb0EPlS7_ZN2at6native12_GLOBAL__N_124unique_dim_cuda_templateIjEESt5tupleIJNS8_6TensorESD_SD_EERKSD_lbbbEUlllE1_EE10hipError_tPvRmT2_T3_mT4_P12ihipStream_tbEUlT_E_NS1_11comp_targetILNS1_3genE5ELNS1_11target_archE942ELNS1_3gpuE9ELNS1_3repE0EEENS1_30default_config_static_selectorELNS0_4arch9wavefront6targetE0EEEvT1_
	.p2align	8
	.type	_ZN7rocprim17ROCPRIM_400000_NS6detail17trampoline_kernelINS0_14default_configENS1_35adjacent_difference_config_selectorILb0ElEEZNS1_24adjacent_difference_implIS3_Lb0ELb0EPlS7_ZN2at6native12_GLOBAL__N_124unique_dim_cuda_templateIjEESt5tupleIJNS8_6TensorESD_SD_EERKSD_lbbbEUlllE1_EE10hipError_tPvRmT2_T3_mT4_P12ihipStream_tbEUlT_E_NS1_11comp_targetILNS1_3genE5ELNS1_11target_archE942ELNS1_3gpuE9ELNS1_3repE0EEENS1_30default_config_static_selectorELNS0_4arch9wavefront6targetE0EEEvT1_,@function
_ZN7rocprim17ROCPRIM_400000_NS6detail17trampoline_kernelINS0_14default_configENS1_35adjacent_difference_config_selectorILb0ElEEZNS1_24adjacent_difference_implIS3_Lb0ELb0EPlS7_ZN2at6native12_GLOBAL__N_124unique_dim_cuda_templateIjEESt5tupleIJNS8_6TensorESD_SD_EERKSD_lbbbEUlllE1_EE10hipError_tPvRmT2_T3_mT4_P12ihipStream_tbEUlT_E_NS1_11comp_targetILNS1_3genE5ELNS1_11target_archE942ELNS1_3gpuE9ELNS1_3repE0EEENS1_30default_config_static_selectorELNS0_4arch9wavefront6targetE0EEEvT1_: ; @_ZN7rocprim17ROCPRIM_400000_NS6detail17trampoline_kernelINS0_14default_configENS1_35adjacent_difference_config_selectorILb0ElEEZNS1_24adjacent_difference_implIS3_Lb0ELb0EPlS7_ZN2at6native12_GLOBAL__N_124unique_dim_cuda_templateIjEESt5tupleIJNS8_6TensorESD_SD_EERKSD_lbbbEUlllE1_EE10hipError_tPvRmT2_T3_mT4_P12ihipStream_tbEUlT_E_NS1_11comp_targetILNS1_3genE5ELNS1_11target_archE942ELNS1_3gpuE9ELNS1_3repE0EEENS1_30default_config_static_selectorELNS0_4arch9wavefront6targetE0EEEvT1_
; %bb.0:
	.section	.rodata,"a",@progbits
	.p2align	6, 0x0
	.amdhsa_kernel _ZN7rocprim17ROCPRIM_400000_NS6detail17trampoline_kernelINS0_14default_configENS1_35adjacent_difference_config_selectorILb0ElEEZNS1_24adjacent_difference_implIS3_Lb0ELb0EPlS7_ZN2at6native12_GLOBAL__N_124unique_dim_cuda_templateIjEESt5tupleIJNS8_6TensorESD_SD_EERKSD_lbbbEUlllE1_EE10hipError_tPvRmT2_T3_mT4_P12ihipStream_tbEUlT_E_NS1_11comp_targetILNS1_3genE5ELNS1_11target_archE942ELNS1_3gpuE9ELNS1_3repE0EEENS1_30default_config_static_selectorELNS0_4arch9wavefront6targetE0EEEvT1_
		.amdhsa_group_segment_fixed_size 0
		.amdhsa_private_segment_fixed_size 0
		.amdhsa_kernarg_size 64
		.amdhsa_user_sgpr_count 15
		.amdhsa_user_sgpr_dispatch_ptr 0
		.amdhsa_user_sgpr_queue_ptr 0
		.amdhsa_user_sgpr_kernarg_segment_ptr 1
		.amdhsa_user_sgpr_dispatch_id 0
		.amdhsa_user_sgpr_private_segment_size 0
		.amdhsa_wavefront_size32 1
		.amdhsa_uses_dynamic_stack 0
		.amdhsa_enable_private_segment 0
		.amdhsa_system_sgpr_workgroup_id_x 1
		.amdhsa_system_sgpr_workgroup_id_y 0
		.amdhsa_system_sgpr_workgroup_id_z 0
		.amdhsa_system_sgpr_workgroup_info 0
		.amdhsa_system_vgpr_workitem_id 0
		.amdhsa_next_free_vgpr 1
		.amdhsa_next_free_sgpr 1
		.amdhsa_reserve_vcc 0
		.amdhsa_float_round_mode_32 0
		.amdhsa_float_round_mode_16_64 0
		.amdhsa_float_denorm_mode_32 3
		.amdhsa_float_denorm_mode_16_64 3
		.amdhsa_dx10_clamp 1
		.amdhsa_ieee_mode 1
		.amdhsa_fp16_overflow 0
		.amdhsa_workgroup_processor_mode 1
		.amdhsa_memory_ordered 1
		.amdhsa_forward_progress 0
		.amdhsa_shared_vgpr_count 0
		.amdhsa_exception_fp_ieee_invalid_op 0
		.amdhsa_exception_fp_denorm_src 0
		.amdhsa_exception_fp_ieee_div_zero 0
		.amdhsa_exception_fp_ieee_overflow 0
		.amdhsa_exception_fp_ieee_underflow 0
		.amdhsa_exception_fp_ieee_inexact 0
		.amdhsa_exception_int_div_zero 0
	.end_amdhsa_kernel
	.section	.text._ZN7rocprim17ROCPRIM_400000_NS6detail17trampoline_kernelINS0_14default_configENS1_35adjacent_difference_config_selectorILb0ElEEZNS1_24adjacent_difference_implIS3_Lb0ELb0EPlS7_ZN2at6native12_GLOBAL__N_124unique_dim_cuda_templateIjEESt5tupleIJNS8_6TensorESD_SD_EERKSD_lbbbEUlllE1_EE10hipError_tPvRmT2_T3_mT4_P12ihipStream_tbEUlT_E_NS1_11comp_targetILNS1_3genE5ELNS1_11target_archE942ELNS1_3gpuE9ELNS1_3repE0EEENS1_30default_config_static_selectorELNS0_4arch9wavefront6targetE0EEEvT1_,"axG",@progbits,_ZN7rocprim17ROCPRIM_400000_NS6detail17trampoline_kernelINS0_14default_configENS1_35adjacent_difference_config_selectorILb0ElEEZNS1_24adjacent_difference_implIS3_Lb0ELb0EPlS7_ZN2at6native12_GLOBAL__N_124unique_dim_cuda_templateIjEESt5tupleIJNS8_6TensorESD_SD_EERKSD_lbbbEUlllE1_EE10hipError_tPvRmT2_T3_mT4_P12ihipStream_tbEUlT_E_NS1_11comp_targetILNS1_3genE5ELNS1_11target_archE942ELNS1_3gpuE9ELNS1_3repE0EEENS1_30default_config_static_selectorELNS0_4arch9wavefront6targetE0EEEvT1_,comdat
.Lfunc_end1516:
	.size	_ZN7rocprim17ROCPRIM_400000_NS6detail17trampoline_kernelINS0_14default_configENS1_35adjacent_difference_config_selectorILb0ElEEZNS1_24adjacent_difference_implIS3_Lb0ELb0EPlS7_ZN2at6native12_GLOBAL__N_124unique_dim_cuda_templateIjEESt5tupleIJNS8_6TensorESD_SD_EERKSD_lbbbEUlllE1_EE10hipError_tPvRmT2_T3_mT4_P12ihipStream_tbEUlT_E_NS1_11comp_targetILNS1_3genE5ELNS1_11target_archE942ELNS1_3gpuE9ELNS1_3repE0EEENS1_30default_config_static_selectorELNS0_4arch9wavefront6targetE0EEEvT1_, .Lfunc_end1516-_ZN7rocprim17ROCPRIM_400000_NS6detail17trampoline_kernelINS0_14default_configENS1_35adjacent_difference_config_selectorILb0ElEEZNS1_24adjacent_difference_implIS3_Lb0ELb0EPlS7_ZN2at6native12_GLOBAL__N_124unique_dim_cuda_templateIjEESt5tupleIJNS8_6TensorESD_SD_EERKSD_lbbbEUlllE1_EE10hipError_tPvRmT2_T3_mT4_P12ihipStream_tbEUlT_E_NS1_11comp_targetILNS1_3genE5ELNS1_11target_archE942ELNS1_3gpuE9ELNS1_3repE0EEENS1_30default_config_static_selectorELNS0_4arch9wavefront6targetE0EEEvT1_
                                        ; -- End function
	.section	.AMDGPU.csdata,"",@progbits
; Kernel info:
; codeLenInByte = 0
; NumSgprs: 0
; NumVgprs: 0
; ScratchSize: 0
; MemoryBound: 0
; FloatMode: 240
; IeeeMode: 1
; LDSByteSize: 0 bytes/workgroup (compile time only)
; SGPRBlocks: 0
; VGPRBlocks: 0
; NumSGPRsForWavesPerEU: 1
; NumVGPRsForWavesPerEU: 1
; Occupancy: 16
; WaveLimiterHint : 0
; COMPUTE_PGM_RSRC2:SCRATCH_EN: 0
; COMPUTE_PGM_RSRC2:USER_SGPR: 15
; COMPUTE_PGM_RSRC2:TRAP_HANDLER: 0
; COMPUTE_PGM_RSRC2:TGID_X_EN: 1
; COMPUTE_PGM_RSRC2:TGID_Y_EN: 0
; COMPUTE_PGM_RSRC2:TGID_Z_EN: 0
; COMPUTE_PGM_RSRC2:TIDIG_COMP_CNT: 0
	.section	.text._ZN7rocprim17ROCPRIM_400000_NS6detail17trampoline_kernelINS0_14default_configENS1_35adjacent_difference_config_selectorILb0ElEEZNS1_24adjacent_difference_implIS3_Lb0ELb0EPlS7_ZN2at6native12_GLOBAL__N_124unique_dim_cuda_templateIjEESt5tupleIJNS8_6TensorESD_SD_EERKSD_lbbbEUlllE1_EE10hipError_tPvRmT2_T3_mT4_P12ihipStream_tbEUlT_E_NS1_11comp_targetILNS1_3genE4ELNS1_11target_archE910ELNS1_3gpuE8ELNS1_3repE0EEENS1_30default_config_static_selectorELNS0_4arch9wavefront6targetE0EEEvT1_,"axG",@progbits,_ZN7rocprim17ROCPRIM_400000_NS6detail17trampoline_kernelINS0_14default_configENS1_35adjacent_difference_config_selectorILb0ElEEZNS1_24adjacent_difference_implIS3_Lb0ELb0EPlS7_ZN2at6native12_GLOBAL__N_124unique_dim_cuda_templateIjEESt5tupleIJNS8_6TensorESD_SD_EERKSD_lbbbEUlllE1_EE10hipError_tPvRmT2_T3_mT4_P12ihipStream_tbEUlT_E_NS1_11comp_targetILNS1_3genE4ELNS1_11target_archE910ELNS1_3gpuE8ELNS1_3repE0EEENS1_30default_config_static_selectorELNS0_4arch9wavefront6targetE0EEEvT1_,comdat
	.globl	_ZN7rocprim17ROCPRIM_400000_NS6detail17trampoline_kernelINS0_14default_configENS1_35adjacent_difference_config_selectorILb0ElEEZNS1_24adjacent_difference_implIS3_Lb0ELb0EPlS7_ZN2at6native12_GLOBAL__N_124unique_dim_cuda_templateIjEESt5tupleIJNS8_6TensorESD_SD_EERKSD_lbbbEUlllE1_EE10hipError_tPvRmT2_T3_mT4_P12ihipStream_tbEUlT_E_NS1_11comp_targetILNS1_3genE4ELNS1_11target_archE910ELNS1_3gpuE8ELNS1_3repE0EEENS1_30default_config_static_selectorELNS0_4arch9wavefront6targetE0EEEvT1_ ; -- Begin function _ZN7rocprim17ROCPRIM_400000_NS6detail17trampoline_kernelINS0_14default_configENS1_35adjacent_difference_config_selectorILb0ElEEZNS1_24adjacent_difference_implIS3_Lb0ELb0EPlS7_ZN2at6native12_GLOBAL__N_124unique_dim_cuda_templateIjEESt5tupleIJNS8_6TensorESD_SD_EERKSD_lbbbEUlllE1_EE10hipError_tPvRmT2_T3_mT4_P12ihipStream_tbEUlT_E_NS1_11comp_targetILNS1_3genE4ELNS1_11target_archE910ELNS1_3gpuE8ELNS1_3repE0EEENS1_30default_config_static_selectorELNS0_4arch9wavefront6targetE0EEEvT1_
	.p2align	8
	.type	_ZN7rocprim17ROCPRIM_400000_NS6detail17trampoline_kernelINS0_14default_configENS1_35adjacent_difference_config_selectorILb0ElEEZNS1_24adjacent_difference_implIS3_Lb0ELb0EPlS7_ZN2at6native12_GLOBAL__N_124unique_dim_cuda_templateIjEESt5tupleIJNS8_6TensorESD_SD_EERKSD_lbbbEUlllE1_EE10hipError_tPvRmT2_T3_mT4_P12ihipStream_tbEUlT_E_NS1_11comp_targetILNS1_3genE4ELNS1_11target_archE910ELNS1_3gpuE8ELNS1_3repE0EEENS1_30default_config_static_selectorELNS0_4arch9wavefront6targetE0EEEvT1_,@function
_ZN7rocprim17ROCPRIM_400000_NS6detail17trampoline_kernelINS0_14default_configENS1_35adjacent_difference_config_selectorILb0ElEEZNS1_24adjacent_difference_implIS3_Lb0ELb0EPlS7_ZN2at6native12_GLOBAL__N_124unique_dim_cuda_templateIjEESt5tupleIJNS8_6TensorESD_SD_EERKSD_lbbbEUlllE1_EE10hipError_tPvRmT2_T3_mT4_P12ihipStream_tbEUlT_E_NS1_11comp_targetILNS1_3genE4ELNS1_11target_archE910ELNS1_3gpuE8ELNS1_3repE0EEENS1_30default_config_static_selectorELNS0_4arch9wavefront6targetE0EEEvT1_: ; @_ZN7rocprim17ROCPRIM_400000_NS6detail17trampoline_kernelINS0_14default_configENS1_35adjacent_difference_config_selectorILb0ElEEZNS1_24adjacent_difference_implIS3_Lb0ELb0EPlS7_ZN2at6native12_GLOBAL__N_124unique_dim_cuda_templateIjEESt5tupleIJNS8_6TensorESD_SD_EERKSD_lbbbEUlllE1_EE10hipError_tPvRmT2_T3_mT4_P12ihipStream_tbEUlT_E_NS1_11comp_targetILNS1_3genE4ELNS1_11target_archE910ELNS1_3gpuE8ELNS1_3repE0EEENS1_30default_config_static_selectorELNS0_4arch9wavefront6targetE0EEEvT1_
; %bb.0:
	.section	.rodata,"a",@progbits
	.p2align	6, 0x0
	.amdhsa_kernel _ZN7rocprim17ROCPRIM_400000_NS6detail17trampoline_kernelINS0_14default_configENS1_35adjacent_difference_config_selectorILb0ElEEZNS1_24adjacent_difference_implIS3_Lb0ELb0EPlS7_ZN2at6native12_GLOBAL__N_124unique_dim_cuda_templateIjEESt5tupleIJNS8_6TensorESD_SD_EERKSD_lbbbEUlllE1_EE10hipError_tPvRmT2_T3_mT4_P12ihipStream_tbEUlT_E_NS1_11comp_targetILNS1_3genE4ELNS1_11target_archE910ELNS1_3gpuE8ELNS1_3repE0EEENS1_30default_config_static_selectorELNS0_4arch9wavefront6targetE0EEEvT1_
		.amdhsa_group_segment_fixed_size 0
		.amdhsa_private_segment_fixed_size 0
		.amdhsa_kernarg_size 64
		.amdhsa_user_sgpr_count 15
		.amdhsa_user_sgpr_dispatch_ptr 0
		.amdhsa_user_sgpr_queue_ptr 0
		.amdhsa_user_sgpr_kernarg_segment_ptr 1
		.amdhsa_user_sgpr_dispatch_id 0
		.amdhsa_user_sgpr_private_segment_size 0
		.amdhsa_wavefront_size32 1
		.amdhsa_uses_dynamic_stack 0
		.amdhsa_enable_private_segment 0
		.amdhsa_system_sgpr_workgroup_id_x 1
		.amdhsa_system_sgpr_workgroup_id_y 0
		.amdhsa_system_sgpr_workgroup_id_z 0
		.amdhsa_system_sgpr_workgroup_info 0
		.amdhsa_system_vgpr_workitem_id 0
		.amdhsa_next_free_vgpr 1
		.amdhsa_next_free_sgpr 1
		.amdhsa_reserve_vcc 0
		.amdhsa_float_round_mode_32 0
		.amdhsa_float_round_mode_16_64 0
		.amdhsa_float_denorm_mode_32 3
		.amdhsa_float_denorm_mode_16_64 3
		.amdhsa_dx10_clamp 1
		.amdhsa_ieee_mode 1
		.amdhsa_fp16_overflow 0
		.amdhsa_workgroup_processor_mode 1
		.amdhsa_memory_ordered 1
		.amdhsa_forward_progress 0
		.amdhsa_shared_vgpr_count 0
		.amdhsa_exception_fp_ieee_invalid_op 0
		.amdhsa_exception_fp_denorm_src 0
		.amdhsa_exception_fp_ieee_div_zero 0
		.amdhsa_exception_fp_ieee_overflow 0
		.amdhsa_exception_fp_ieee_underflow 0
		.amdhsa_exception_fp_ieee_inexact 0
		.amdhsa_exception_int_div_zero 0
	.end_amdhsa_kernel
	.section	.text._ZN7rocprim17ROCPRIM_400000_NS6detail17trampoline_kernelINS0_14default_configENS1_35adjacent_difference_config_selectorILb0ElEEZNS1_24adjacent_difference_implIS3_Lb0ELb0EPlS7_ZN2at6native12_GLOBAL__N_124unique_dim_cuda_templateIjEESt5tupleIJNS8_6TensorESD_SD_EERKSD_lbbbEUlllE1_EE10hipError_tPvRmT2_T3_mT4_P12ihipStream_tbEUlT_E_NS1_11comp_targetILNS1_3genE4ELNS1_11target_archE910ELNS1_3gpuE8ELNS1_3repE0EEENS1_30default_config_static_selectorELNS0_4arch9wavefront6targetE0EEEvT1_,"axG",@progbits,_ZN7rocprim17ROCPRIM_400000_NS6detail17trampoline_kernelINS0_14default_configENS1_35adjacent_difference_config_selectorILb0ElEEZNS1_24adjacent_difference_implIS3_Lb0ELb0EPlS7_ZN2at6native12_GLOBAL__N_124unique_dim_cuda_templateIjEESt5tupleIJNS8_6TensorESD_SD_EERKSD_lbbbEUlllE1_EE10hipError_tPvRmT2_T3_mT4_P12ihipStream_tbEUlT_E_NS1_11comp_targetILNS1_3genE4ELNS1_11target_archE910ELNS1_3gpuE8ELNS1_3repE0EEENS1_30default_config_static_selectorELNS0_4arch9wavefront6targetE0EEEvT1_,comdat
.Lfunc_end1517:
	.size	_ZN7rocprim17ROCPRIM_400000_NS6detail17trampoline_kernelINS0_14default_configENS1_35adjacent_difference_config_selectorILb0ElEEZNS1_24adjacent_difference_implIS3_Lb0ELb0EPlS7_ZN2at6native12_GLOBAL__N_124unique_dim_cuda_templateIjEESt5tupleIJNS8_6TensorESD_SD_EERKSD_lbbbEUlllE1_EE10hipError_tPvRmT2_T3_mT4_P12ihipStream_tbEUlT_E_NS1_11comp_targetILNS1_3genE4ELNS1_11target_archE910ELNS1_3gpuE8ELNS1_3repE0EEENS1_30default_config_static_selectorELNS0_4arch9wavefront6targetE0EEEvT1_, .Lfunc_end1517-_ZN7rocprim17ROCPRIM_400000_NS6detail17trampoline_kernelINS0_14default_configENS1_35adjacent_difference_config_selectorILb0ElEEZNS1_24adjacent_difference_implIS3_Lb0ELb0EPlS7_ZN2at6native12_GLOBAL__N_124unique_dim_cuda_templateIjEESt5tupleIJNS8_6TensorESD_SD_EERKSD_lbbbEUlllE1_EE10hipError_tPvRmT2_T3_mT4_P12ihipStream_tbEUlT_E_NS1_11comp_targetILNS1_3genE4ELNS1_11target_archE910ELNS1_3gpuE8ELNS1_3repE0EEENS1_30default_config_static_selectorELNS0_4arch9wavefront6targetE0EEEvT1_
                                        ; -- End function
	.section	.AMDGPU.csdata,"",@progbits
; Kernel info:
; codeLenInByte = 0
; NumSgprs: 0
; NumVgprs: 0
; ScratchSize: 0
; MemoryBound: 0
; FloatMode: 240
; IeeeMode: 1
; LDSByteSize: 0 bytes/workgroup (compile time only)
; SGPRBlocks: 0
; VGPRBlocks: 0
; NumSGPRsForWavesPerEU: 1
; NumVGPRsForWavesPerEU: 1
; Occupancy: 16
; WaveLimiterHint : 0
; COMPUTE_PGM_RSRC2:SCRATCH_EN: 0
; COMPUTE_PGM_RSRC2:USER_SGPR: 15
; COMPUTE_PGM_RSRC2:TRAP_HANDLER: 0
; COMPUTE_PGM_RSRC2:TGID_X_EN: 1
; COMPUTE_PGM_RSRC2:TGID_Y_EN: 0
; COMPUTE_PGM_RSRC2:TGID_Z_EN: 0
; COMPUTE_PGM_RSRC2:TIDIG_COMP_CNT: 0
	.section	.text._ZN7rocprim17ROCPRIM_400000_NS6detail17trampoline_kernelINS0_14default_configENS1_35adjacent_difference_config_selectorILb0ElEEZNS1_24adjacent_difference_implIS3_Lb0ELb0EPlS7_ZN2at6native12_GLOBAL__N_124unique_dim_cuda_templateIjEESt5tupleIJNS8_6TensorESD_SD_EERKSD_lbbbEUlllE1_EE10hipError_tPvRmT2_T3_mT4_P12ihipStream_tbEUlT_E_NS1_11comp_targetILNS1_3genE3ELNS1_11target_archE908ELNS1_3gpuE7ELNS1_3repE0EEENS1_30default_config_static_selectorELNS0_4arch9wavefront6targetE0EEEvT1_,"axG",@progbits,_ZN7rocprim17ROCPRIM_400000_NS6detail17trampoline_kernelINS0_14default_configENS1_35adjacent_difference_config_selectorILb0ElEEZNS1_24adjacent_difference_implIS3_Lb0ELb0EPlS7_ZN2at6native12_GLOBAL__N_124unique_dim_cuda_templateIjEESt5tupleIJNS8_6TensorESD_SD_EERKSD_lbbbEUlllE1_EE10hipError_tPvRmT2_T3_mT4_P12ihipStream_tbEUlT_E_NS1_11comp_targetILNS1_3genE3ELNS1_11target_archE908ELNS1_3gpuE7ELNS1_3repE0EEENS1_30default_config_static_selectorELNS0_4arch9wavefront6targetE0EEEvT1_,comdat
	.globl	_ZN7rocprim17ROCPRIM_400000_NS6detail17trampoline_kernelINS0_14default_configENS1_35adjacent_difference_config_selectorILb0ElEEZNS1_24adjacent_difference_implIS3_Lb0ELb0EPlS7_ZN2at6native12_GLOBAL__N_124unique_dim_cuda_templateIjEESt5tupleIJNS8_6TensorESD_SD_EERKSD_lbbbEUlllE1_EE10hipError_tPvRmT2_T3_mT4_P12ihipStream_tbEUlT_E_NS1_11comp_targetILNS1_3genE3ELNS1_11target_archE908ELNS1_3gpuE7ELNS1_3repE0EEENS1_30default_config_static_selectorELNS0_4arch9wavefront6targetE0EEEvT1_ ; -- Begin function _ZN7rocprim17ROCPRIM_400000_NS6detail17trampoline_kernelINS0_14default_configENS1_35adjacent_difference_config_selectorILb0ElEEZNS1_24adjacent_difference_implIS3_Lb0ELb0EPlS7_ZN2at6native12_GLOBAL__N_124unique_dim_cuda_templateIjEESt5tupleIJNS8_6TensorESD_SD_EERKSD_lbbbEUlllE1_EE10hipError_tPvRmT2_T3_mT4_P12ihipStream_tbEUlT_E_NS1_11comp_targetILNS1_3genE3ELNS1_11target_archE908ELNS1_3gpuE7ELNS1_3repE0EEENS1_30default_config_static_selectorELNS0_4arch9wavefront6targetE0EEEvT1_
	.p2align	8
	.type	_ZN7rocprim17ROCPRIM_400000_NS6detail17trampoline_kernelINS0_14default_configENS1_35adjacent_difference_config_selectorILb0ElEEZNS1_24adjacent_difference_implIS3_Lb0ELb0EPlS7_ZN2at6native12_GLOBAL__N_124unique_dim_cuda_templateIjEESt5tupleIJNS8_6TensorESD_SD_EERKSD_lbbbEUlllE1_EE10hipError_tPvRmT2_T3_mT4_P12ihipStream_tbEUlT_E_NS1_11comp_targetILNS1_3genE3ELNS1_11target_archE908ELNS1_3gpuE7ELNS1_3repE0EEENS1_30default_config_static_selectorELNS0_4arch9wavefront6targetE0EEEvT1_,@function
_ZN7rocprim17ROCPRIM_400000_NS6detail17trampoline_kernelINS0_14default_configENS1_35adjacent_difference_config_selectorILb0ElEEZNS1_24adjacent_difference_implIS3_Lb0ELb0EPlS7_ZN2at6native12_GLOBAL__N_124unique_dim_cuda_templateIjEESt5tupleIJNS8_6TensorESD_SD_EERKSD_lbbbEUlllE1_EE10hipError_tPvRmT2_T3_mT4_P12ihipStream_tbEUlT_E_NS1_11comp_targetILNS1_3genE3ELNS1_11target_archE908ELNS1_3gpuE7ELNS1_3repE0EEENS1_30default_config_static_selectorELNS0_4arch9wavefront6targetE0EEEvT1_: ; @_ZN7rocprim17ROCPRIM_400000_NS6detail17trampoline_kernelINS0_14default_configENS1_35adjacent_difference_config_selectorILb0ElEEZNS1_24adjacent_difference_implIS3_Lb0ELb0EPlS7_ZN2at6native12_GLOBAL__N_124unique_dim_cuda_templateIjEESt5tupleIJNS8_6TensorESD_SD_EERKSD_lbbbEUlllE1_EE10hipError_tPvRmT2_T3_mT4_P12ihipStream_tbEUlT_E_NS1_11comp_targetILNS1_3genE3ELNS1_11target_archE908ELNS1_3gpuE7ELNS1_3repE0EEENS1_30default_config_static_selectorELNS0_4arch9wavefront6targetE0EEEvT1_
; %bb.0:
	.section	.rodata,"a",@progbits
	.p2align	6, 0x0
	.amdhsa_kernel _ZN7rocprim17ROCPRIM_400000_NS6detail17trampoline_kernelINS0_14default_configENS1_35adjacent_difference_config_selectorILb0ElEEZNS1_24adjacent_difference_implIS3_Lb0ELb0EPlS7_ZN2at6native12_GLOBAL__N_124unique_dim_cuda_templateIjEESt5tupleIJNS8_6TensorESD_SD_EERKSD_lbbbEUlllE1_EE10hipError_tPvRmT2_T3_mT4_P12ihipStream_tbEUlT_E_NS1_11comp_targetILNS1_3genE3ELNS1_11target_archE908ELNS1_3gpuE7ELNS1_3repE0EEENS1_30default_config_static_selectorELNS0_4arch9wavefront6targetE0EEEvT1_
		.amdhsa_group_segment_fixed_size 0
		.amdhsa_private_segment_fixed_size 0
		.amdhsa_kernarg_size 64
		.amdhsa_user_sgpr_count 15
		.amdhsa_user_sgpr_dispatch_ptr 0
		.amdhsa_user_sgpr_queue_ptr 0
		.amdhsa_user_sgpr_kernarg_segment_ptr 1
		.amdhsa_user_sgpr_dispatch_id 0
		.amdhsa_user_sgpr_private_segment_size 0
		.amdhsa_wavefront_size32 1
		.amdhsa_uses_dynamic_stack 0
		.amdhsa_enable_private_segment 0
		.amdhsa_system_sgpr_workgroup_id_x 1
		.amdhsa_system_sgpr_workgroup_id_y 0
		.amdhsa_system_sgpr_workgroup_id_z 0
		.amdhsa_system_sgpr_workgroup_info 0
		.amdhsa_system_vgpr_workitem_id 0
		.amdhsa_next_free_vgpr 1
		.amdhsa_next_free_sgpr 1
		.amdhsa_reserve_vcc 0
		.amdhsa_float_round_mode_32 0
		.amdhsa_float_round_mode_16_64 0
		.amdhsa_float_denorm_mode_32 3
		.amdhsa_float_denorm_mode_16_64 3
		.amdhsa_dx10_clamp 1
		.amdhsa_ieee_mode 1
		.amdhsa_fp16_overflow 0
		.amdhsa_workgroup_processor_mode 1
		.amdhsa_memory_ordered 1
		.amdhsa_forward_progress 0
		.amdhsa_shared_vgpr_count 0
		.amdhsa_exception_fp_ieee_invalid_op 0
		.amdhsa_exception_fp_denorm_src 0
		.amdhsa_exception_fp_ieee_div_zero 0
		.amdhsa_exception_fp_ieee_overflow 0
		.amdhsa_exception_fp_ieee_underflow 0
		.amdhsa_exception_fp_ieee_inexact 0
		.amdhsa_exception_int_div_zero 0
	.end_amdhsa_kernel
	.section	.text._ZN7rocprim17ROCPRIM_400000_NS6detail17trampoline_kernelINS0_14default_configENS1_35adjacent_difference_config_selectorILb0ElEEZNS1_24adjacent_difference_implIS3_Lb0ELb0EPlS7_ZN2at6native12_GLOBAL__N_124unique_dim_cuda_templateIjEESt5tupleIJNS8_6TensorESD_SD_EERKSD_lbbbEUlllE1_EE10hipError_tPvRmT2_T3_mT4_P12ihipStream_tbEUlT_E_NS1_11comp_targetILNS1_3genE3ELNS1_11target_archE908ELNS1_3gpuE7ELNS1_3repE0EEENS1_30default_config_static_selectorELNS0_4arch9wavefront6targetE0EEEvT1_,"axG",@progbits,_ZN7rocprim17ROCPRIM_400000_NS6detail17trampoline_kernelINS0_14default_configENS1_35adjacent_difference_config_selectorILb0ElEEZNS1_24adjacent_difference_implIS3_Lb0ELb0EPlS7_ZN2at6native12_GLOBAL__N_124unique_dim_cuda_templateIjEESt5tupleIJNS8_6TensorESD_SD_EERKSD_lbbbEUlllE1_EE10hipError_tPvRmT2_T3_mT4_P12ihipStream_tbEUlT_E_NS1_11comp_targetILNS1_3genE3ELNS1_11target_archE908ELNS1_3gpuE7ELNS1_3repE0EEENS1_30default_config_static_selectorELNS0_4arch9wavefront6targetE0EEEvT1_,comdat
.Lfunc_end1518:
	.size	_ZN7rocprim17ROCPRIM_400000_NS6detail17trampoline_kernelINS0_14default_configENS1_35adjacent_difference_config_selectorILb0ElEEZNS1_24adjacent_difference_implIS3_Lb0ELb0EPlS7_ZN2at6native12_GLOBAL__N_124unique_dim_cuda_templateIjEESt5tupleIJNS8_6TensorESD_SD_EERKSD_lbbbEUlllE1_EE10hipError_tPvRmT2_T3_mT4_P12ihipStream_tbEUlT_E_NS1_11comp_targetILNS1_3genE3ELNS1_11target_archE908ELNS1_3gpuE7ELNS1_3repE0EEENS1_30default_config_static_selectorELNS0_4arch9wavefront6targetE0EEEvT1_, .Lfunc_end1518-_ZN7rocprim17ROCPRIM_400000_NS6detail17trampoline_kernelINS0_14default_configENS1_35adjacent_difference_config_selectorILb0ElEEZNS1_24adjacent_difference_implIS3_Lb0ELb0EPlS7_ZN2at6native12_GLOBAL__N_124unique_dim_cuda_templateIjEESt5tupleIJNS8_6TensorESD_SD_EERKSD_lbbbEUlllE1_EE10hipError_tPvRmT2_T3_mT4_P12ihipStream_tbEUlT_E_NS1_11comp_targetILNS1_3genE3ELNS1_11target_archE908ELNS1_3gpuE7ELNS1_3repE0EEENS1_30default_config_static_selectorELNS0_4arch9wavefront6targetE0EEEvT1_
                                        ; -- End function
	.section	.AMDGPU.csdata,"",@progbits
; Kernel info:
; codeLenInByte = 0
; NumSgprs: 0
; NumVgprs: 0
; ScratchSize: 0
; MemoryBound: 0
; FloatMode: 240
; IeeeMode: 1
; LDSByteSize: 0 bytes/workgroup (compile time only)
; SGPRBlocks: 0
; VGPRBlocks: 0
; NumSGPRsForWavesPerEU: 1
; NumVGPRsForWavesPerEU: 1
; Occupancy: 16
; WaveLimiterHint : 0
; COMPUTE_PGM_RSRC2:SCRATCH_EN: 0
; COMPUTE_PGM_RSRC2:USER_SGPR: 15
; COMPUTE_PGM_RSRC2:TRAP_HANDLER: 0
; COMPUTE_PGM_RSRC2:TGID_X_EN: 1
; COMPUTE_PGM_RSRC2:TGID_Y_EN: 0
; COMPUTE_PGM_RSRC2:TGID_Z_EN: 0
; COMPUTE_PGM_RSRC2:TIDIG_COMP_CNT: 0
	.section	.text._ZN7rocprim17ROCPRIM_400000_NS6detail17trampoline_kernelINS0_14default_configENS1_35adjacent_difference_config_selectorILb0ElEEZNS1_24adjacent_difference_implIS3_Lb0ELb0EPlS7_ZN2at6native12_GLOBAL__N_124unique_dim_cuda_templateIjEESt5tupleIJNS8_6TensorESD_SD_EERKSD_lbbbEUlllE1_EE10hipError_tPvRmT2_T3_mT4_P12ihipStream_tbEUlT_E_NS1_11comp_targetILNS1_3genE2ELNS1_11target_archE906ELNS1_3gpuE6ELNS1_3repE0EEENS1_30default_config_static_selectorELNS0_4arch9wavefront6targetE0EEEvT1_,"axG",@progbits,_ZN7rocprim17ROCPRIM_400000_NS6detail17trampoline_kernelINS0_14default_configENS1_35adjacent_difference_config_selectorILb0ElEEZNS1_24adjacent_difference_implIS3_Lb0ELb0EPlS7_ZN2at6native12_GLOBAL__N_124unique_dim_cuda_templateIjEESt5tupleIJNS8_6TensorESD_SD_EERKSD_lbbbEUlllE1_EE10hipError_tPvRmT2_T3_mT4_P12ihipStream_tbEUlT_E_NS1_11comp_targetILNS1_3genE2ELNS1_11target_archE906ELNS1_3gpuE6ELNS1_3repE0EEENS1_30default_config_static_selectorELNS0_4arch9wavefront6targetE0EEEvT1_,comdat
	.globl	_ZN7rocprim17ROCPRIM_400000_NS6detail17trampoline_kernelINS0_14default_configENS1_35adjacent_difference_config_selectorILb0ElEEZNS1_24adjacent_difference_implIS3_Lb0ELb0EPlS7_ZN2at6native12_GLOBAL__N_124unique_dim_cuda_templateIjEESt5tupleIJNS8_6TensorESD_SD_EERKSD_lbbbEUlllE1_EE10hipError_tPvRmT2_T3_mT4_P12ihipStream_tbEUlT_E_NS1_11comp_targetILNS1_3genE2ELNS1_11target_archE906ELNS1_3gpuE6ELNS1_3repE0EEENS1_30default_config_static_selectorELNS0_4arch9wavefront6targetE0EEEvT1_ ; -- Begin function _ZN7rocprim17ROCPRIM_400000_NS6detail17trampoline_kernelINS0_14default_configENS1_35adjacent_difference_config_selectorILb0ElEEZNS1_24adjacent_difference_implIS3_Lb0ELb0EPlS7_ZN2at6native12_GLOBAL__N_124unique_dim_cuda_templateIjEESt5tupleIJNS8_6TensorESD_SD_EERKSD_lbbbEUlllE1_EE10hipError_tPvRmT2_T3_mT4_P12ihipStream_tbEUlT_E_NS1_11comp_targetILNS1_3genE2ELNS1_11target_archE906ELNS1_3gpuE6ELNS1_3repE0EEENS1_30default_config_static_selectorELNS0_4arch9wavefront6targetE0EEEvT1_
	.p2align	8
	.type	_ZN7rocprim17ROCPRIM_400000_NS6detail17trampoline_kernelINS0_14default_configENS1_35adjacent_difference_config_selectorILb0ElEEZNS1_24adjacent_difference_implIS3_Lb0ELb0EPlS7_ZN2at6native12_GLOBAL__N_124unique_dim_cuda_templateIjEESt5tupleIJNS8_6TensorESD_SD_EERKSD_lbbbEUlllE1_EE10hipError_tPvRmT2_T3_mT4_P12ihipStream_tbEUlT_E_NS1_11comp_targetILNS1_3genE2ELNS1_11target_archE906ELNS1_3gpuE6ELNS1_3repE0EEENS1_30default_config_static_selectorELNS0_4arch9wavefront6targetE0EEEvT1_,@function
_ZN7rocprim17ROCPRIM_400000_NS6detail17trampoline_kernelINS0_14default_configENS1_35adjacent_difference_config_selectorILb0ElEEZNS1_24adjacent_difference_implIS3_Lb0ELb0EPlS7_ZN2at6native12_GLOBAL__N_124unique_dim_cuda_templateIjEESt5tupleIJNS8_6TensorESD_SD_EERKSD_lbbbEUlllE1_EE10hipError_tPvRmT2_T3_mT4_P12ihipStream_tbEUlT_E_NS1_11comp_targetILNS1_3genE2ELNS1_11target_archE906ELNS1_3gpuE6ELNS1_3repE0EEENS1_30default_config_static_selectorELNS0_4arch9wavefront6targetE0EEEvT1_: ; @_ZN7rocprim17ROCPRIM_400000_NS6detail17trampoline_kernelINS0_14default_configENS1_35adjacent_difference_config_selectorILb0ElEEZNS1_24adjacent_difference_implIS3_Lb0ELb0EPlS7_ZN2at6native12_GLOBAL__N_124unique_dim_cuda_templateIjEESt5tupleIJNS8_6TensorESD_SD_EERKSD_lbbbEUlllE1_EE10hipError_tPvRmT2_T3_mT4_P12ihipStream_tbEUlT_E_NS1_11comp_targetILNS1_3genE2ELNS1_11target_archE906ELNS1_3gpuE6ELNS1_3repE0EEENS1_30default_config_static_selectorELNS0_4arch9wavefront6targetE0EEEvT1_
; %bb.0:
	.section	.rodata,"a",@progbits
	.p2align	6, 0x0
	.amdhsa_kernel _ZN7rocprim17ROCPRIM_400000_NS6detail17trampoline_kernelINS0_14default_configENS1_35adjacent_difference_config_selectorILb0ElEEZNS1_24adjacent_difference_implIS3_Lb0ELb0EPlS7_ZN2at6native12_GLOBAL__N_124unique_dim_cuda_templateIjEESt5tupleIJNS8_6TensorESD_SD_EERKSD_lbbbEUlllE1_EE10hipError_tPvRmT2_T3_mT4_P12ihipStream_tbEUlT_E_NS1_11comp_targetILNS1_3genE2ELNS1_11target_archE906ELNS1_3gpuE6ELNS1_3repE0EEENS1_30default_config_static_selectorELNS0_4arch9wavefront6targetE0EEEvT1_
		.amdhsa_group_segment_fixed_size 0
		.amdhsa_private_segment_fixed_size 0
		.amdhsa_kernarg_size 64
		.amdhsa_user_sgpr_count 15
		.amdhsa_user_sgpr_dispatch_ptr 0
		.amdhsa_user_sgpr_queue_ptr 0
		.amdhsa_user_sgpr_kernarg_segment_ptr 1
		.amdhsa_user_sgpr_dispatch_id 0
		.amdhsa_user_sgpr_private_segment_size 0
		.amdhsa_wavefront_size32 1
		.amdhsa_uses_dynamic_stack 0
		.amdhsa_enable_private_segment 0
		.amdhsa_system_sgpr_workgroup_id_x 1
		.amdhsa_system_sgpr_workgroup_id_y 0
		.amdhsa_system_sgpr_workgroup_id_z 0
		.amdhsa_system_sgpr_workgroup_info 0
		.amdhsa_system_vgpr_workitem_id 0
		.amdhsa_next_free_vgpr 1
		.amdhsa_next_free_sgpr 1
		.amdhsa_reserve_vcc 0
		.amdhsa_float_round_mode_32 0
		.amdhsa_float_round_mode_16_64 0
		.amdhsa_float_denorm_mode_32 3
		.amdhsa_float_denorm_mode_16_64 3
		.amdhsa_dx10_clamp 1
		.amdhsa_ieee_mode 1
		.amdhsa_fp16_overflow 0
		.amdhsa_workgroup_processor_mode 1
		.amdhsa_memory_ordered 1
		.amdhsa_forward_progress 0
		.amdhsa_shared_vgpr_count 0
		.amdhsa_exception_fp_ieee_invalid_op 0
		.amdhsa_exception_fp_denorm_src 0
		.amdhsa_exception_fp_ieee_div_zero 0
		.amdhsa_exception_fp_ieee_overflow 0
		.amdhsa_exception_fp_ieee_underflow 0
		.amdhsa_exception_fp_ieee_inexact 0
		.amdhsa_exception_int_div_zero 0
	.end_amdhsa_kernel
	.section	.text._ZN7rocprim17ROCPRIM_400000_NS6detail17trampoline_kernelINS0_14default_configENS1_35adjacent_difference_config_selectorILb0ElEEZNS1_24adjacent_difference_implIS3_Lb0ELb0EPlS7_ZN2at6native12_GLOBAL__N_124unique_dim_cuda_templateIjEESt5tupleIJNS8_6TensorESD_SD_EERKSD_lbbbEUlllE1_EE10hipError_tPvRmT2_T3_mT4_P12ihipStream_tbEUlT_E_NS1_11comp_targetILNS1_3genE2ELNS1_11target_archE906ELNS1_3gpuE6ELNS1_3repE0EEENS1_30default_config_static_selectorELNS0_4arch9wavefront6targetE0EEEvT1_,"axG",@progbits,_ZN7rocprim17ROCPRIM_400000_NS6detail17trampoline_kernelINS0_14default_configENS1_35adjacent_difference_config_selectorILb0ElEEZNS1_24adjacent_difference_implIS3_Lb0ELb0EPlS7_ZN2at6native12_GLOBAL__N_124unique_dim_cuda_templateIjEESt5tupleIJNS8_6TensorESD_SD_EERKSD_lbbbEUlllE1_EE10hipError_tPvRmT2_T3_mT4_P12ihipStream_tbEUlT_E_NS1_11comp_targetILNS1_3genE2ELNS1_11target_archE906ELNS1_3gpuE6ELNS1_3repE0EEENS1_30default_config_static_selectorELNS0_4arch9wavefront6targetE0EEEvT1_,comdat
.Lfunc_end1519:
	.size	_ZN7rocprim17ROCPRIM_400000_NS6detail17trampoline_kernelINS0_14default_configENS1_35adjacent_difference_config_selectorILb0ElEEZNS1_24adjacent_difference_implIS3_Lb0ELb0EPlS7_ZN2at6native12_GLOBAL__N_124unique_dim_cuda_templateIjEESt5tupleIJNS8_6TensorESD_SD_EERKSD_lbbbEUlllE1_EE10hipError_tPvRmT2_T3_mT4_P12ihipStream_tbEUlT_E_NS1_11comp_targetILNS1_3genE2ELNS1_11target_archE906ELNS1_3gpuE6ELNS1_3repE0EEENS1_30default_config_static_selectorELNS0_4arch9wavefront6targetE0EEEvT1_, .Lfunc_end1519-_ZN7rocprim17ROCPRIM_400000_NS6detail17trampoline_kernelINS0_14default_configENS1_35adjacent_difference_config_selectorILb0ElEEZNS1_24adjacent_difference_implIS3_Lb0ELb0EPlS7_ZN2at6native12_GLOBAL__N_124unique_dim_cuda_templateIjEESt5tupleIJNS8_6TensorESD_SD_EERKSD_lbbbEUlllE1_EE10hipError_tPvRmT2_T3_mT4_P12ihipStream_tbEUlT_E_NS1_11comp_targetILNS1_3genE2ELNS1_11target_archE906ELNS1_3gpuE6ELNS1_3repE0EEENS1_30default_config_static_selectorELNS0_4arch9wavefront6targetE0EEEvT1_
                                        ; -- End function
	.section	.AMDGPU.csdata,"",@progbits
; Kernel info:
; codeLenInByte = 0
; NumSgprs: 0
; NumVgprs: 0
; ScratchSize: 0
; MemoryBound: 0
; FloatMode: 240
; IeeeMode: 1
; LDSByteSize: 0 bytes/workgroup (compile time only)
; SGPRBlocks: 0
; VGPRBlocks: 0
; NumSGPRsForWavesPerEU: 1
; NumVGPRsForWavesPerEU: 1
; Occupancy: 16
; WaveLimiterHint : 0
; COMPUTE_PGM_RSRC2:SCRATCH_EN: 0
; COMPUTE_PGM_RSRC2:USER_SGPR: 15
; COMPUTE_PGM_RSRC2:TRAP_HANDLER: 0
; COMPUTE_PGM_RSRC2:TGID_X_EN: 1
; COMPUTE_PGM_RSRC2:TGID_Y_EN: 0
; COMPUTE_PGM_RSRC2:TGID_Z_EN: 0
; COMPUTE_PGM_RSRC2:TIDIG_COMP_CNT: 0
	.section	.text._ZN7rocprim17ROCPRIM_400000_NS6detail17trampoline_kernelINS0_14default_configENS1_35adjacent_difference_config_selectorILb0ElEEZNS1_24adjacent_difference_implIS3_Lb0ELb0EPlS7_ZN2at6native12_GLOBAL__N_124unique_dim_cuda_templateIjEESt5tupleIJNS8_6TensorESD_SD_EERKSD_lbbbEUlllE1_EE10hipError_tPvRmT2_T3_mT4_P12ihipStream_tbEUlT_E_NS1_11comp_targetILNS1_3genE9ELNS1_11target_archE1100ELNS1_3gpuE3ELNS1_3repE0EEENS1_30default_config_static_selectorELNS0_4arch9wavefront6targetE0EEEvT1_,"axG",@progbits,_ZN7rocprim17ROCPRIM_400000_NS6detail17trampoline_kernelINS0_14default_configENS1_35adjacent_difference_config_selectorILb0ElEEZNS1_24adjacent_difference_implIS3_Lb0ELb0EPlS7_ZN2at6native12_GLOBAL__N_124unique_dim_cuda_templateIjEESt5tupleIJNS8_6TensorESD_SD_EERKSD_lbbbEUlllE1_EE10hipError_tPvRmT2_T3_mT4_P12ihipStream_tbEUlT_E_NS1_11comp_targetILNS1_3genE9ELNS1_11target_archE1100ELNS1_3gpuE3ELNS1_3repE0EEENS1_30default_config_static_selectorELNS0_4arch9wavefront6targetE0EEEvT1_,comdat
	.globl	_ZN7rocprim17ROCPRIM_400000_NS6detail17trampoline_kernelINS0_14default_configENS1_35adjacent_difference_config_selectorILb0ElEEZNS1_24adjacent_difference_implIS3_Lb0ELb0EPlS7_ZN2at6native12_GLOBAL__N_124unique_dim_cuda_templateIjEESt5tupleIJNS8_6TensorESD_SD_EERKSD_lbbbEUlllE1_EE10hipError_tPvRmT2_T3_mT4_P12ihipStream_tbEUlT_E_NS1_11comp_targetILNS1_3genE9ELNS1_11target_archE1100ELNS1_3gpuE3ELNS1_3repE0EEENS1_30default_config_static_selectorELNS0_4arch9wavefront6targetE0EEEvT1_ ; -- Begin function _ZN7rocprim17ROCPRIM_400000_NS6detail17trampoline_kernelINS0_14default_configENS1_35adjacent_difference_config_selectorILb0ElEEZNS1_24adjacent_difference_implIS3_Lb0ELb0EPlS7_ZN2at6native12_GLOBAL__N_124unique_dim_cuda_templateIjEESt5tupleIJNS8_6TensorESD_SD_EERKSD_lbbbEUlllE1_EE10hipError_tPvRmT2_T3_mT4_P12ihipStream_tbEUlT_E_NS1_11comp_targetILNS1_3genE9ELNS1_11target_archE1100ELNS1_3gpuE3ELNS1_3repE0EEENS1_30default_config_static_selectorELNS0_4arch9wavefront6targetE0EEEvT1_
	.p2align	8
	.type	_ZN7rocprim17ROCPRIM_400000_NS6detail17trampoline_kernelINS0_14default_configENS1_35adjacent_difference_config_selectorILb0ElEEZNS1_24adjacent_difference_implIS3_Lb0ELb0EPlS7_ZN2at6native12_GLOBAL__N_124unique_dim_cuda_templateIjEESt5tupleIJNS8_6TensorESD_SD_EERKSD_lbbbEUlllE1_EE10hipError_tPvRmT2_T3_mT4_P12ihipStream_tbEUlT_E_NS1_11comp_targetILNS1_3genE9ELNS1_11target_archE1100ELNS1_3gpuE3ELNS1_3repE0EEENS1_30default_config_static_selectorELNS0_4arch9wavefront6targetE0EEEvT1_,@function
_ZN7rocprim17ROCPRIM_400000_NS6detail17trampoline_kernelINS0_14default_configENS1_35adjacent_difference_config_selectorILb0ElEEZNS1_24adjacent_difference_implIS3_Lb0ELb0EPlS7_ZN2at6native12_GLOBAL__N_124unique_dim_cuda_templateIjEESt5tupleIJNS8_6TensorESD_SD_EERKSD_lbbbEUlllE1_EE10hipError_tPvRmT2_T3_mT4_P12ihipStream_tbEUlT_E_NS1_11comp_targetILNS1_3genE9ELNS1_11target_archE1100ELNS1_3gpuE3ELNS1_3repE0EEENS1_30default_config_static_selectorELNS0_4arch9wavefront6targetE0EEEvT1_: ; @_ZN7rocprim17ROCPRIM_400000_NS6detail17trampoline_kernelINS0_14default_configENS1_35adjacent_difference_config_selectorILb0ElEEZNS1_24adjacent_difference_implIS3_Lb0ELb0EPlS7_ZN2at6native12_GLOBAL__N_124unique_dim_cuda_templateIjEESt5tupleIJNS8_6TensorESD_SD_EERKSD_lbbbEUlllE1_EE10hipError_tPvRmT2_T3_mT4_P12ihipStream_tbEUlT_E_NS1_11comp_targetILNS1_3genE9ELNS1_11target_archE1100ELNS1_3gpuE3ELNS1_3repE0EEENS1_30default_config_static_selectorELNS0_4arch9wavefront6targetE0EEEvT1_
; %bb.0:
	s_clause 0x1
	s_load_b256 s[4:11], s[0:1], 0x0
	s_load_b64 s[18:19], s[0:1], 0x38
	s_mov_b32 s17, 0
	s_waitcnt lgkmcnt(0)
	s_lshl_b64 s[12:13], s[6:7], 3
	s_delay_alu instid0(SALU_CYCLE_1)
	s_add_u32 s20, s4, s12
	s_addc_u32 s21, s5, s13
	s_load_b128 s[4:7], s[0:1], 0x20
	s_and_b32 s16, s10, 0x1ff
	s_lshl_b32 s2, s15, 9
	s_lshr_b64 s[22:23], s[10:11], 9
	s_cmp_lg_u64 s[16:17], 0
	s_cselect_b32 s3, -1, 0
	s_delay_alu instid0(SALU_CYCLE_1) | instskip(NEXT) | instid1(VALU_DEP_1)
	v_cndmask_b32_e64 v1, 0, 1, s3
	v_readfirstlane_b32 s3, v1
	s_delay_alu instid0(VALU_DEP_1)
	s_add_u32 s16, s22, s3
	s_addc_u32 s17, s23, 0
	s_add_u32 s18, s18, s15
	s_addc_u32 s19, s19, 0
	s_add_u32 s14, s16, -1
	s_addc_u32 s15, s17, -1
	s_delay_alu instid0(SALU_CYCLE_1) | instskip(NEXT) | instid1(VALU_DEP_1)
	v_cmp_ge_u64_e64 s1, s[18:19], s[14:15]
	s_and_b32 vcc_lo, exec_lo, s1
	s_cbranch_vccz .LBB1520_4
; %bb.1:
	s_lshl_b32 s0, s14, 9
                                        ; implicit-def: $vgpr1_vgpr2
	s_delay_alu instid0(SALU_CYCLE_1) | instskip(NEXT) | instid1(SALU_CYCLE_1)
	s_sub_i32 s0, s10, s0
	v_cmp_gt_u32_e32 vcc_lo, s0, v0
	s_and_saveexec_b32 s0, vcc_lo
	s_cbranch_execz .LBB1520_3
; %bb.2:
	s_mov_b32 s3, 0
	v_lshlrev_b32_e32 v1, 3, v0
	s_lshl_b64 s[22:23], s[2:3], 3
	s_delay_alu instid0(SALU_CYCLE_1)
	s_add_u32 s22, s20, s22
	s_addc_u32 s23, s21, s23
	global_load_b64 v[1:2], v1, s[22:23]
.LBB1520_3:
	s_or_b32 exec_lo, exec_lo, s0
	v_lshlrev_b32_e32 v3, 3, v0
	s_waitcnt vmcnt(0)
	ds_store_b64 v3, v[1:2]
	s_waitcnt lgkmcnt(0)
	s_barrier
	v_lshlrev_b32_e32 v9, 3, v0
	s_branch .LBB1520_6
.LBB1520_4:
                                        ; implicit-def: $vgpr3
	v_lshlrev_b32_e32 v9, 3, v0
	s_cbranch_execz .LBB1520_6
; %bb.5:
	s_mov_b32 s3, 0
	s_delay_alu instid0(VALU_DEP_1) | instskip(SKIP_1) | instid1(SALU_CYCLE_1)
	v_mov_b32_e32 v3, v9
	s_lshl_b64 s[22:23], s[2:3], 3
	s_add_u32 s22, s20, s22
	s_addc_u32 s23, s21, s23
	global_load_b64 v[1:2], v9, s[22:23]
	s_waitcnt vmcnt(0)
	ds_store_b64 v9, v[1:2]
	s_waitcnt lgkmcnt(0)
	s_barrier
.LBB1520_6:
	s_waitcnt lgkmcnt(0)
	buffer_gl0_inv
	ds_load_b64 v[1:2], v3
	s_cmp_eq_u64 s[18:19], 0
	s_waitcnt lgkmcnt(0)
	s_barrier
	buffer_gl0_inv
	s_cbranch_scc1 .LBB1520_17
; %bb.7:
	s_mov_b32 s3, 0
	s_delay_alu instid0(SALU_CYCLE_1) | instskip(NEXT) | instid1(SALU_CYCLE_1)
	s_lshl_b64 s[22:23], s[2:3], 3
	s_add_u32 s0, s20, s22
	s_addc_u32 s11, s21, s23
	s_add_u32 s20, s0, -8
	s_addc_u32 s21, s11, -1
	s_cmp_lg_u64 s[18:19], s[14:15]
	s_load_b64 s[20:21], s[20:21], 0x0
	s_cbranch_scc0 .LBB1520_18
; %bb.8:
	s_waitcnt lgkmcnt(0)
	v_dual_mov_b32 v3, s20 :: v_dual_mov_b32 v4, s21
	s_mov_b32 s0, 0
	s_mov_b32 s3, exec_lo
	ds_store_b64 v9, v[1:2]
	s_waitcnt lgkmcnt(0)
	s_barrier
	buffer_gl0_inv
	v_cmpx_ne_u32_e32 0, v0
	s_cbranch_execz .LBB1520_10
; %bb.9:
	v_add_nc_u32_e32 v3, -8, v9
	ds_load_b64 v[3:4], v3
.LBB1520_10:
	s_or_b32 exec_lo, exec_lo, s3
	v_cmp_lt_i64_e64 s3, s[4:5], 1
	s_delay_alu instid0(VALU_DEP_1)
	s_and_b32 vcc_lo, exec_lo, s3
	s_cbranch_vccnz .LBB1520_21
; %bb.11:
	v_mul_lo_u32 v10, v2, s4
	v_mul_lo_u32 v11, v1, s5
	v_mad_u64_u32 v[5:6], null, v1, s4, 0
	s_waitcnt lgkmcnt(0)
	v_mul_lo_u32 v4, v4, s4
	v_mul_lo_u32 v12, v3, s5
	v_mad_u64_u32 v[7:8], null, v3, s4, 0
	s_mov_b32 s0, -1
	s_mov_b32 s3, exec_lo
	s_delay_alu instid0(VALU_DEP_4) | instskip(NEXT) | instid1(VALU_DEP_2)
	v_add3_u32 v6, v6, v11, v10
	v_add3_u32 v8, v8, v12, v4
	s_delay_alu instid0(VALU_DEP_2) | instskip(NEXT) | instid1(VALU_DEP_2)
	v_lshlrev_b64 v[3:4], 2, v[5:6]
	v_lshlrev_b64 v[7:8], 2, v[7:8]
	s_delay_alu instid0(VALU_DEP_2) | instskip(NEXT) | instid1(VALU_DEP_3)
	v_add_co_u32 v5, vcc_lo, s6, v3
	v_add_co_ci_u32_e32 v6, vcc_lo, s7, v4, vcc_lo
	s_delay_alu instid0(VALU_DEP_3) | instskip(NEXT) | instid1(VALU_DEP_4)
	v_add_co_u32 v3, vcc_lo, s6, v7
	v_add_co_ci_u32_e32 v4, vcc_lo, s7, v8, vcc_lo
	s_clause 0x1
	global_load_b32 v7, v[5:6], off
	global_load_b32 v8, v[3:4], off
	s_waitcnt vmcnt(0)
	v_cmpx_eq_u32_e64 v7, v8
	s_cbranch_execz .LBB1520_20
; %bb.12:
	v_add_co_u32 v3, vcc_lo, v3, 4
	v_add_co_ci_u32_e32 v4, vcc_lo, 0, v4, vcc_lo
	v_add_co_u32 v5, vcc_lo, v5, 4
	v_add_co_ci_u32_e32 v6, vcc_lo, 0, v6, vcc_lo
	s_add_u32 s22, s4, -1
	s_addc_u32 s23, s5, -1
	s_mov_b64 s[24:25], 0
	s_mov_b32 s11, 0
                                        ; implicit-def: $sgpr15
	s_set_inst_prefetch_distance 0x1
	s_branch .LBB1520_15
	.p2align	6
.LBB1520_13:                            ;   in Loop: Header=BB1520_15 Depth=1
	global_load_b32 v7, v[5:6], off
	global_load_b32 v8, v[3:4], off
	v_add_co_u32 v3, vcc_lo, v3, 4
	v_add_co_ci_u32_e32 v4, vcc_lo, 0, v4, vcc_lo
	v_add_co_u32 v5, s0, v5, 4
	s_delay_alu instid0(VALU_DEP_1)
	v_add_co_ci_u32_e64 v6, s0, 0, v6, s0
	s_add_u32 s24, s24, 1
	s_addc_u32 s25, s25, 0
	s_and_not1_b32 s0, s15, exec_lo
	s_waitcnt vmcnt(0)
	v_cmp_ne_u32_e32 vcc_lo, v7, v8
	s_and_b32 s15, vcc_lo, exec_lo
	s_delay_alu instid0(SALU_CYCLE_1)
	s_or_b32 s15, s0, s15
.LBB1520_14:                            ;   in Loop: Header=BB1520_15 Depth=1
	v_dual_mov_b32 v7, s24 :: v_dual_mov_b32 v8, s25
	s_and_b32 s0, exec_lo, s15
	s_delay_alu instid0(SALU_CYCLE_1) | instskip(NEXT) | instid1(SALU_CYCLE_1)
	s_or_b32 s11, s0, s11
	s_and_not1_b32 exec_lo, exec_lo, s11
	s_cbranch_execz .LBB1520_19
.LBB1520_15:                            ; =>This Inner Loop Header: Depth=1
	s_or_b32 s15, s15, exec_lo
	s_cmp_eq_u64 s[22:23], s[24:25]
	s_cbranch_scc0 .LBB1520_13
; %bb.16:                               ;   in Loop: Header=BB1520_15 Depth=1
	s_mov_b64 s[24:25], s[4:5]
                                        ; implicit-def: $vgpr3_vgpr4
                                        ; implicit-def: $vgpr5_vgpr6
	s_branch .LBB1520_14
.LBB1520_17:
	s_mov_b32 s3, 0
                                        ; implicit-def: $sgpr0
	s_cbranch_execnz .LBB1520_38
	s_branch .LBB1520_65
.LBB1520_18:
                                        ; implicit-def: $sgpr0
	s_cbranch_execnz .LBB1520_22
	s_branch .LBB1520_37
.LBB1520_19:
	s_set_inst_prefetch_distance 0x2
	s_or_b32 exec_lo, exec_lo, s11
	v_cmp_gt_i64_e32 vcc_lo, s[4:5], v[7:8]
	s_or_not1_b32 s0, vcc_lo, exec_lo
.LBB1520_20:
	s_or_b32 exec_lo, exec_lo, s3
.LBB1520_21:
	s_mov_b32 s3, -1
	s_branch .LBB1520_37
.LBB1520_22:
	s_waitcnt lgkmcnt(0)
	v_dual_mov_b32 v3, s20 :: v_dual_mov_b32 v4, s21
	s_mov_b32 s0, exec_lo
	ds_store_b64 v9, v[1:2]
	s_waitcnt lgkmcnt(0)
	s_barrier
	buffer_gl0_inv
	v_cmpx_ne_u32_e32 0, v0
	s_cbranch_execz .LBB1520_24
; %bb.23:
	v_add_nc_u32_e32 v3, -8, v9
	ds_load_b64 v[3:4], v3
.LBB1520_24:
	s_or_b32 exec_lo, exec_lo, s0
	s_lshl_b32 s0, s18, 9
	s_delay_alu instid0(SALU_CYCLE_1) | instskip(NEXT) | instid1(SALU_CYCLE_1)
	s_sub_i32 s0, s10, s0
	v_cmp_gt_u32_e32 vcc_lo, s0, v0
                                        ; implicit-def: $sgpr0
	s_and_saveexec_b32 s11, vcc_lo
	s_cbranch_execz .LBB1520_36
; %bb.25:
	v_cmp_lt_i64_e64 s0, s[4:5], 1
	s_delay_alu instid0(VALU_DEP_1)
	s_and_b32 vcc_lo, exec_lo, s0
	s_cbranch_vccnz .LBB1520_32
; %bb.26:
	v_mul_lo_u32 v10, v2, s4
	v_mul_lo_u32 v11, v1, s5
	v_mad_u64_u32 v[5:6], null, v1, s4, 0
	s_waitcnt lgkmcnt(0)
	v_mul_lo_u32 v4, v4, s4
	v_mul_lo_u32 v12, v3, s5
	v_mad_u64_u32 v[7:8], null, v3, s4, 0
	s_mov_b32 s0, -1
	s_mov_b32 s15, exec_lo
	s_delay_alu instid0(VALU_DEP_4) | instskip(NEXT) | instid1(VALU_DEP_2)
	v_add3_u32 v6, v6, v11, v10
	v_add3_u32 v8, v8, v12, v4
	s_delay_alu instid0(VALU_DEP_2) | instskip(NEXT) | instid1(VALU_DEP_2)
	v_lshlrev_b64 v[3:4], 2, v[5:6]
	v_lshlrev_b64 v[7:8], 2, v[7:8]
	s_delay_alu instid0(VALU_DEP_2) | instskip(NEXT) | instid1(VALU_DEP_3)
	v_add_co_u32 v5, vcc_lo, s6, v3
	v_add_co_ci_u32_e32 v6, vcc_lo, s7, v4, vcc_lo
	s_delay_alu instid0(VALU_DEP_3) | instskip(NEXT) | instid1(VALU_DEP_4)
	v_add_co_u32 v3, vcc_lo, s6, v7
	v_add_co_ci_u32_e32 v4, vcc_lo, s7, v8, vcc_lo
	s_clause 0x1
	global_load_b32 v7, v[5:6], off
	global_load_b32 v8, v[3:4], off
	s_waitcnt vmcnt(0)
	v_cmpx_eq_u32_e64 v7, v8
	s_cbranch_execz .LBB1520_34
; %bb.27:
	v_add_co_u32 v3, vcc_lo, v3, 4
	v_add_co_ci_u32_e32 v4, vcc_lo, 0, v4, vcc_lo
	v_add_co_u32 v5, vcc_lo, v5, 4
	v_add_co_ci_u32_e32 v6, vcc_lo, 0, v6, vcc_lo
	s_add_u32 s18, s4, -1
	s_addc_u32 s19, s5, -1
	s_mov_b64 s[20:21], 0
	s_mov_b32 s22, 0
                                        ; implicit-def: $sgpr23
	s_set_inst_prefetch_distance 0x1
	s_branch .LBB1520_30
	.p2align	6
.LBB1520_28:                            ;   in Loop: Header=BB1520_30 Depth=1
	global_load_b32 v7, v[5:6], off
	global_load_b32 v8, v[3:4], off
	v_add_co_u32 v3, vcc_lo, v3, 4
	v_add_co_ci_u32_e32 v4, vcc_lo, 0, v4, vcc_lo
	v_add_co_u32 v5, s0, v5, 4
	s_delay_alu instid0(VALU_DEP_1)
	v_add_co_ci_u32_e64 v6, s0, 0, v6, s0
	s_add_u32 s20, s20, 1
	s_addc_u32 s21, s21, 0
	s_and_not1_b32 s0, s23, exec_lo
	s_waitcnt vmcnt(0)
	v_cmp_ne_u32_e32 vcc_lo, v7, v8
	s_and_b32 s23, vcc_lo, exec_lo
	s_delay_alu instid0(SALU_CYCLE_1)
	s_or_b32 s23, s0, s23
.LBB1520_29:                            ;   in Loop: Header=BB1520_30 Depth=1
	v_dual_mov_b32 v7, s20 :: v_dual_mov_b32 v8, s21
	s_and_b32 s0, exec_lo, s23
	s_delay_alu instid0(SALU_CYCLE_1) | instskip(NEXT) | instid1(SALU_CYCLE_1)
	s_or_b32 s22, s0, s22
	s_and_not1_b32 exec_lo, exec_lo, s22
	s_cbranch_execz .LBB1520_33
.LBB1520_30:                            ; =>This Inner Loop Header: Depth=1
	s_or_b32 s23, s23, exec_lo
	s_cmp_eq_u64 s[18:19], s[20:21]
	s_cbranch_scc0 .LBB1520_28
; %bb.31:                               ;   in Loop: Header=BB1520_30 Depth=1
	s_mov_b64 s[20:21], s[4:5]
                                        ; implicit-def: $vgpr3_vgpr4
                                        ; implicit-def: $vgpr5_vgpr6
	s_branch .LBB1520_29
.LBB1520_32:
	s_mov_b32 s0, 0
	s_branch .LBB1520_35
.LBB1520_33:
	s_set_inst_prefetch_distance 0x2
	s_or_b32 exec_lo, exec_lo, s22
	v_cmp_gt_i64_e32 vcc_lo, s[4:5], v[7:8]
	s_or_not1_b32 s0, vcc_lo, exec_lo
.LBB1520_34:
	s_or_b32 exec_lo, exec_lo, s15
.LBB1520_35:
	s_delay_alu instid0(SALU_CYCLE_1)
	s_and_b32 s0, s0, exec_lo
	s_or_b32 s3, s3, exec_lo
.LBB1520_36:
	s_or_b32 exec_lo, exec_lo, s11
.LBB1520_37:
	s_branch .LBB1520_65
.LBB1520_38:
	s_cmp_lg_u64 s[16:17], 1
	s_cbranch_scc0 .LBB1520_47
; %bb.39:
	s_mov_b32 s11, 0
	s_mov_b32 s15, exec_lo
	ds_store_b64 v9, v[1:2]
	s_waitcnt lgkmcnt(0)
	s_barrier
	buffer_gl0_inv
                                        ; implicit-def: $sgpr0
	v_cmpx_ne_u32_e32 0, v0
	s_cbranch_execz .LBB1520_48
; %bb.40:
	v_cmp_lt_i64_e64 s0, s[4:5], 1
	s_delay_alu instid0(VALU_DEP_1)
	s_and_b32 vcc_lo, exec_lo, s0
	s_cbranch_vccnz .LBB1520_49
; %bb.41:
	v_add_nc_u32_e32 v3, -8, v9
	v_mul_lo_u32 v10, v2, s4
	v_mul_lo_u32 v11, v1, s5
	v_mad_u64_u32 v[5:6], null, v1, s4, 0
	ds_load_b64 v[3:4], v3
	s_mov_b32 s0, -1
	s_mov_b32 s20, exec_lo
	v_add3_u32 v6, v6, v11, v10
	s_waitcnt lgkmcnt(0)
	v_mul_lo_u32 v4, v4, s4
	v_mul_lo_u32 v12, v3, s5
	v_mad_u64_u32 v[7:8], null, v3, s4, 0
	s_delay_alu instid0(VALU_DEP_1) | instskip(SKIP_1) | instid1(VALU_DEP_2)
	v_add3_u32 v8, v8, v12, v4
	v_lshlrev_b64 v[3:4], 2, v[5:6]
	v_lshlrev_b64 v[7:8], 2, v[7:8]
	s_delay_alu instid0(VALU_DEP_2) | instskip(NEXT) | instid1(VALU_DEP_3)
	v_add_co_u32 v5, vcc_lo, s6, v3
	v_add_co_ci_u32_e32 v6, vcc_lo, s7, v4, vcc_lo
	s_delay_alu instid0(VALU_DEP_3) | instskip(NEXT) | instid1(VALU_DEP_4)
	v_add_co_u32 v3, vcc_lo, s6, v7
	v_add_co_ci_u32_e32 v4, vcc_lo, s7, v8, vcc_lo
	s_clause 0x1
	global_load_b32 v7, v[5:6], off
	global_load_b32 v8, v[3:4], off
	s_waitcnt vmcnt(0)
	v_cmpx_eq_u32_e64 v7, v8
	s_cbranch_execz .LBB1520_51
; %bb.42:
	v_add_co_u32 v3, vcc_lo, v3, 4
	v_add_co_ci_u32_e32 v4, vcc_lo, 0, v4, vcc_lo
	v_add_co_u32 v5, vcc_lo, v5, 4
	v_add_co_ci_u32_e32 v6, vcc_lo, 0, v6, vcc_lo
	s_add_u32 s16, s4, -1
	s_addc_u32 s17, s5, -1
	s_mov_b64 s[18:19], 0
	s_mov_b32 s21, 0
                                        ; implicit-def: $sgpr22
	s_set_inst_prefetch_distance 0x1
	s_branch .LBB1520_45
	.p2align	6
.LBB1520_43:                            ;   in Loop: Header=BB1520_45 Depth=1
	global_load_b32 v7, v[5:6], off
	global_load_b32 v8, v[3:4], off
	v_add_co_u32 v3, vcc_lo, v3, 4
	v_add_co_ci_u32_e32 v4, vcc_lo, 0, v4, vcc_lo
	v_add_co_u32 v5, s0, v5, 4
	s_delay_alu instid0(VALU_DEP_1)
	v_add_co_ci_u32_e64 v6, s0, 0, v6, s0
	s_add_u32 s18, s18, 1
	s_addc_u32 s19, s19, 0
	s_and_not1_b32 s0, s22, exec_lo
	s_waitcnt vmcnt(0)
	v_cmp_ne_u32_e32 vcc_lo, v7, v8
	s_and_b32 s22, vcc_lo, exec_lo
	s_delay_alu instid0(SALU_CYCLE_1)
	s_or_b32 s22, s0, s22
.LBB1520_44:                            ;   in Loop: Header=BB1520_45 Depth=1
	v_dual_mov_b32 v7, s18 :: v_dual_mov_b32 v8, s19
	s_and_b32 s0, exec_lo, s22
	s_delay_alu instid0(SALU_CYCLE_1) | instskip(NEXT) | instid1(SALU_CYCLE_1)
	s_or_b32 s21, s0, s21
	s_and_not1_b32 exec_lo, exec_lo, s21
	s_cbranch_execz .LBB1520_50
.LBB1520_45:                            ; =>This Inner Loop Header: Depth=1
	s_or_b32 s22, s22, exec_lo
	s_cmp_eq_u64 s[16:17], s[18:19]
	s_cbranch_scc0 .LBB1520_43
; %bb.46:                               ;   in Loop: Header=BB1520_45 Depth=1
	s_mov_b64 s[18:19], s[4:5]
                                        ; implicit-def: $vgpr3_vgpr4
                                        ; implicit-def: $vgpr5_vgpr6
	s_branch .LBB1520_44
.LBB1520_47:
                                        ; implicit-def: $sgpr0
	s_cbranch_execnz .LBB1520_53
	s_branch .LBB1520_65
.LBB1520_48:
	s_or_b32 exec_lo, exec_lo, s15
	s_delay_alu instid0(SALU_CYCLE_1)
	s_and_b32 vcc_lo, exec_lo, s11
	s_cbranch_vccnz .LBB1520_53
	s_branch .LBB1520_65
.LBB1520_49:
	s_mov_b32 s0, 0
	s_branch .LBB1520_52
.LBB1520_50:
	s_set_inst_prefetch_distance 0x2
	s_or_b32 exec_lo, exec_lo, s21
	v_cmp_gt_i64_e32 vcc_lo, s[4:5], v[7:8]
	s_or_not1_b32 s0, vcc_lo, exec_lo
.LBB1520_51:
	s_or_b32 exec_lo, exec_lo, s20
.LBB1520_52:
	s_delay_alu instid0(SALU_CYCLE_1) | instskip(SKIP_2) | instid1(SALU_CYCLE_1)
	s_and_b32 s0, s0, exec_lo
	s_or_b32 s3, s3, exec_lo
	s_or_b32 exec_lo, exec_lo, s15
	s_and_b32 vcc_lo, exec_lo, s11
	s_cbranch_vccz .LBB1520_65
.LBB1520_53:
	v_cmp_ne_u32_e32 vcc_lo, 0, v0
	v_cmp_gt_u32_e64 s0, s10, v0
	s_mov_b32 s16, 0
	ds_store_b64 v9, v[1:2]
	s_waitcnt lgkmcnt(0)
	s_barrier
	s_and_b32 s15, vcc_lo, s0
	buffer_gl0_inv
                                        ; implicit-def: $sgpr0
	s_and_saveexec_b32 s11, s15
	s_cbranch_execz .LBB1520_64
; %bb.54:
	v_cmp_lt_i64_e64 s0, s[4:5], 1
	s_delay_alu instid0(VALU_DEP_1)
	s_and_b32 vcc_lo, exec_lo, s0
	s_cbranch_vccnz .LBB1520_63
; %bb.55:
	v_add_nc_u32_e32 v3, -8, v9
	v_mul_lo_u32 v7, v2, s4
	v_mul_lo_u32 v8, v1, s5
	v_mad_u64_u32 v[5:6], null, v1, s4, 0
	ds_load_b64 v[3:4], v3
	s_mov_b32 s16, -1
	s_mov_b32 s15, exec_lo
	v_add3_u32 v6, v6, v8, v7
	s_waitcnt lgkmcnt(0)
	v_mul_lo_u32 v4, v4, s4
	v_mul_lo_u32 v10, v3, s5
	v_mad_u64_u32 v[1:2], null, v3, s4, 0
	s_delay_alu instid0(VALU_DEP_1) | instskip(SKIP_1) | instid1(VALU_DEP_2)
	v_add3_u32 v2, v2, v10, v4
	v_lshlrev_b64 v[3:4], 2, v[5:6]
	v_lshlrev_b64 v[1:2], 2, v[1:2]
	s_delay_alu instid0(VALU_DEP_2) | instskip(NEXT) | instid1(VALU_DEP_3)
	v_add_co_u32 v3, vcc_lo, s6, v3
	v_add_co_ci_u32_e32 v4, vcc_lo, s7, v4, vcc_lo
	s_delay_alu instid0(VALU_DEP_3) | instskip(NEXT) | instid1(VALU_DEP_4)
	v_add_co_u32 v1, vcc_lo, s6, v1
	v_add_co_ci_u32_e32 v2, vcc_lo, s7, v2, vcc_lo
	s_clause 0x1
	global_load_b32 v5, v[3:4], off
	global_load_b32 v6, v[1:2], off
	s_waitcnt vmcnt(0)
	v_cmpx_eq_u32_e64 v5, v6
	s_cbranch_execz .LBB1520_62
; %bb.56:
	v_add_co_u32 v1, vcc_lo, v1, 4
	v_add_co_ci_u32_e32 v2, vcc_lo, 0, v2, vcc_lo
	v_add_co_u32 v3, vcc_lo, v3, 4
	v_add_co_ci_u32_e32 v4, vcc_lo, 0, v4, vcc_lo
	s_add_u32 s6, s4, -1
	s_addc_u32 s7, s5, -1
	s_mov_b64 s[16:17], 0
	s_mov_b32 s18, 0
                                        ; implicit-def: $sgpr19
	s_set_inst_prefetch_distance 0x1
	s_branch .LBB1520_59
	.p2align	6
.LBB1520_57:                            ;   in Loop: Header=BB1520_59 Depth=1
	global_load_b32 v5, v[3:4], off
	global_load_b32 v6, v[1:2], off
	v_add_co_u32 v1, vcc_lo, v1, 4
	v_add_co_ci_u32_e32 v2, vcc_lo, 0, v2, vcc_lo
	v_add_co_u32 v3, s0, v3, 4
	s_delay_alu instid0(VALU_DEP_1)
	v_add_co_ci_u32_e64 v4, s0, 0, v4, s0
	s_add_u32 s16, s16, 1
	s_addc_u32 s17, s17, 0
	s_and_not1_b32 s0, s19, exec_lo
	s_waitcnt vmcnt(0)
	v_cmp_ne_u32_e32 vcc_lo, v5, v6
	s_and_b32 s19, vcc_lo, exec_lo
	s_delay_alu instid0(SALU_CYCLE_1)
	s_or_b32 s19, s0, s19
.LBB1520_58:                            ;   in Loop: Header=BB1520_59 Depth=1
	v_dual_mov_b32 v5, s16 :: v_dual_mov_b32 v6, s17
	s_and_b32 s0, exec_lo, s19
	s_delay_alu instid0(SALU_CYCLE_1) | instskip(NEXT) | instid1(SALU_CYCLE_1)
	s_or_b32 s18, s0, s18
	s_and_not1_b32 exec_lo, exec_lo, s18
	s_cbranch_execz .LBB1520_61
.LBB1520_59:                            ; =>This Inner Loop Header: Depth=1
	s_or_b32 s19, s19, exec_lo
	s_cmp_eq_u64 s[6:7], s[16:17]
	s_cbranch_scc0 .LBB1520_57
; %bb.60:                               ;   in Loop: Header=BB1520_59 Depth=1
	s_mov_b64 s[16:17], s[4:5]
                                        ; implicit-def: $vgpr1_vgpr2
                                        ; implicit-def: $vgpr3_vgpr4
	s_branch .LBB1520_58
.LBB1520_61:
	s_set_inst_prefetch_distance 0x2
	s_or_b32 exec_lo, exec_lo, s18
	v_cmp_gt_i64_e32 vcc_lo, s[4:5], v[5:6]
	s_or_not1_b32 s16, vcc_lo, exec_lo
.LBB1520_62:
	s_or_b32 exec_lo, exec_lo, s15
.LBB1520_63:
	s_delay_alu instid0(SALU_CYCLE_1)
	s_and_b32 s0, s16, exec_lo
	s_or_b32 s3, s3, exec_lo
                                        ; implicit-def: $vgpr1_vgpr2
.LBB1520_64:
	s_or_b32 exec_lo, exec_lo, s11
.LBB1520_65:
	s_and_saveexec_b32 s4, s3
; %bb.66:
	s_mov_b32 s3, 0
	v_cndmask_b32_e64 v1, 0, 1, s0
	v_mov_b32_e32 v2, s3
; %bb.67:
	s_or_b32 exec_lo, exec_lo, s4
	s_add_u32 s0, s8, s12
	s_addc_u32 s4, s9, s13
	s_and_b32 vcc_lo, exec_lo, s1
	s_mov_b32 s1, -1
	s_waitcnt lgkmcnt(0)
	s_barrier
	buffer_gl0_inv
	s_cbranch_vccnz .LBB1520_70
; %bb.68:
	s_and_not1_b32 vcc_lo, exec_lo, s1
	s_cbranch_vccz .LBB1520_73
.LBB1520_69:
	s_nop 0
	s_sendmsg sendmsg(MSG_DEALLOC_VGPRS)
	s_endpgm
.LBB1520_70:
	s_lshl_b32 s1, s14, 9
	ds_store_b64 v9, v[1:2]
	s_sub_i32 s1, s10, s1
	s_waitcnt lgkmcnt(0)
	v_cmp_gt_u32_e32 vcc_lo, s1, v0
	s_barrier
	buffer_gl0_inv
	s_and_saveexec_b32 s1, vcc_lo
	s_cbranch_execz .LBB1520_72
; %bb.71:
	ds_load_b64 v[3:4], v9
	s_mov_b32 s3, 0
	s_delay_alu instid0(SALU_CYCLE_1) | instskip(NEXT) | instid1(SALU_CYCLE_1)
	s_lshl_b64 s[6:7], s[2:3], 3
	s_add_u32 s6, s0, s6
	s_addc_u32 s7, s4, s7
	s_waitcnt lgkmcnt(0)
	global_store_b64 v9, v[3:4], s[6:7]
.LBB1520_72:
	s_or_b32 exec_lo, exec_lo, s1
	s_cbranch_execnz .LBB1520_69
.LBB1520_73:
	ds_store_b64 v9, v[1:2]
	s_waitcnt lgkmcnt(0)
	s_waitcnt_vscnt null, 0x0
	s_barrier
	buffer_gl0_inv
	ds_load_b64 v[0:1], v9
	s_mov_b32 s3, 0
	s_delay_alu instid0(SALU_CYCLE_1) | instskip(NEXT) | instid1(SALU_CYCLE_1)
	s_lshl_b64 s[2:3], s[2:3], 3
	s_add_u32 s0, s0, s2
	s_addc_u32 s1, s4, s3
	s_waitcnt lgkmcnt(0)
	global_store_b64 v9, v[0:1], s[0:1]
	s_nop 0
	s_sendmsg sendmsg(MSG_DEALLOC_VGPRS)
	s_endpgm
	.section	.rodata,"a",@progbits
	.p2align	6, 0x0
	.amdhsa_kernel _ZN7rocprim17ROCPRIM_400000_NS6detail17trampoline_kernelINS0_14default_configENS1_35adjacent_difference_config_selectorILb0ElEEZNS1_24adjacent_difference_implIS3_Lb0ELb0EPlS7_ZN2at6native12_GLOBAL__N_124unique_dim_cuda_templateIjEESt5tupleIJNS8_6TensorESD_SD_EERKSD_lbbbEUlllE1_EE10hipError_tPvRmT2_T3_mT4_P12ihipStream_tbEUlT_E_NS1_11comp_targetILNS1_3genE9ELNS1_11target_archE1100ELNS1_3gpuE3ELNS1_3repE0EEENS1_30default_config_static_selectorELNS0_4arch9wavefront6targetE0EEEvT1_
		.amdhsa_group_segment_fixed_size 8192
		.amdhsa_private_segment_fixed_size 0
		.amdhsa_kernarg_size 64
		.amdhsa_user_sgpr_count 15
		.amdhsa_user_sgpr_dispatch_ptr 0
		.amdhsa_user_sgpr_queue_ptr 0
		.amdhsa_user_sgpr_kernarg_segment_ptr 1
		.amdhsa_user_sgpr_dispatch_id 0
		.amdhsa_user_sgpr_private_segment_size 0
		.amdhsa_wavefront_size32 1
		.amdhsa_uses_dynamic_stack 0
		.amdhsa_enable_private_segment 0
		.amdhsa_system_sgpr_workgroup_id_x 1
		.amdhsa_system_sgpr_workgroup_id_y 0
		.amdhsa_system_sgpr_workgroup_id_z 0
		.amdhsa_system_sgpr_workgroup_info 0
		.amdhsa_system_vgpr_workitem_id 0
		.amdhsa_next_free_vgpr 13
		.amdhsa_next_free_sgpr 26
		.amdhsa_reserve_vcc 1
		.amdhsa_float_round_mode_32 0
		.amdhsa_float_round_mode_16_64 0
		.amdhsa_float_denorm_mode_32 3
		.amdhsa_float_denorm_mode_16_64 3
		.amdhsa_dx10_clamp 1
		.amdhsa_ieee_mode 1
		.amdhsa_fp16_overflow 0
		.amdhsa_workgroup_processor_mode 1
		.amdhsa_memory_ordered 1
		.amdhsa_forward_progress 0
		.amdhsa_shared_vgpr_count 0
		.amdhsa_exception_fp_ieee_invalid_op 0
		.amdhsa_exception_fp_denorm_src 0
		.amdhsa_exception_fp_ieee_div_zero 0
		.amdhsa_exception_fp_ieee_overflow 0
		.amdhsa_exception_fp_ieee_underflow 0
		.amdhsa_exception_fp_ieee_inexact 0
		.amdhsa_exception_int_div_zero 0
	.end_amdhsa_kernel
	.section	.text._ZN7rocprim17ROCPRIM_400000_NS6detail17trampoline_kernelINS0_14default_configENS1_35adjacent_difference_config_selectorILb0ElEEZNS1_24adjacent_difference_implIS3_Lb0ELb0EPlS7_ZN2at6native12_GLOBAL__N_124unique_dim_cuda_templateIjEESt5tupleIJNS8_6TensorESD_SD_EERKSD_lbbbEUlllE1_EE10hipError_tPvRmT2_T3_mT4_P12ihipStream_tbEUlT_E_NS1_11comp_targetILNS1_3genE9ELNS1_11target_archE1100ELNS1_3gpuE3ELNS1_3repE0EEENS1_30default_config_static_selectorELNS0_4arch9wavefront6targetE0EEEvT1_,"axG",@progbits,_ZN7rocprim17ROCPRIM_400000_NS6detail17trampoline_kernelINS0_14default_configENS1_35adjacent_difference_config_selectorILb0ElEEZNS1_24adjacent_difference_implIS3_Lb0ELb0EPlS7_ZN2at6native12_GLOBAL__N_124unique_dim_cuda_templateIjEESt5tupleIJNS8_6TensorESD_SD_EERKSD_lbbbEUlllE1_EE10hipError_tPvRmT2_T3_mT4_P12ihipStream_tbEUlT_E_NS1_11comp_targetILNS1_3genE9ELNS1_11target_archE1100ELNS1_3gpuE3ELNS1_3repE0EEENS1_30default_config_static_selectorELNS0_4arch9wavefront6targetE0EEEvT1_,comdat
.Lfunc_end1520:
	.size	_ZN7rocprim17ROCPRIM_400000_NS6detail17trampoline_kernelINS0_14default_configENS1_35adjacent_difference_config_selectorILb0ElEEZNS1_24adjacent_difference_implIS3_Lb0ELb0EPlS7_ZN2at6native12_GLOBAL__N_124unique_dim_cuda_templateIjEESt5tupleIJNS8_6TensorESD_SD_EERKSD_lbbbEUlllE1_EE10hipError_tPvRmT2_T3_mT4_P12ihipStream_tbEUlT_E_NS1_11comp_targetILNS1_3genE9ELNS1_11target_archE1100ELNS1_3gpuE3ELNS1_3repE0EEENS1_30default_config_static_selectorELNS0_4arch9wavefront6targetE0EEEvT1_, .Lfunc_end1520-_ZN7rocprim17ROCPRIM_400000_NS6detail17trampoline_kernelINS0_14default_configENS1_35adjacent_difference_config_selectorILb0ElEEZNS1_24adjacent_difference_implIS3_Lb0ELb0EPlS7_ZN2at6native12_GLOBAL__N_124unique_dim_cuda_templateIjEESt5tupleIJNS8_6TensorESD_SD_EERKSD_lbbbEUlllE1_EE10hipError_tPvRmT2_T3_mT4_P12ihipStream_tbEUlT_E_NS1_11comp_targetILNS1_3genE9ELNS1_11target_archE1100ELNS1_3gpuE3ELNS1_3repE0EEENS1_30default_config_static_selectorELNS0_4arch9wavefront6targetE0EEEvT1_
                                        ; -- End function
	.section	.AMDGPU.csdata,"",@progbits
; Kernel info:
; codeLenInByte = 2572
; NumSgprs: 28
; NumVgprs: 13
; ScratchSize: 0
; MemoryBound: 0
; FloatMode: 240
; IeeeMode: 1
; LDSByteSize: 8192 bytes/workgroup (compile time only)
; SGPRBlocks: 3
; VGPRBlocks: 1
; NumSGPRsForWavesPerEU: 28
; NumVGPRsForWavesPerEU: 13
; Occupancy: 16
; WaveLimiterHint : 0
; COMPUTE_PGM_RSRC2:SCRATCH_EN: 0
; COMPUTE_PGM_RSRC2:USER_SGPR: 15
; COMPUTE_PGM_RSRC2:TRAP_HANDLER: 0
; COMPUTE_PGM_RSRC2:TGID_X_EN: 1
; COMPUTE_PGM_RSRC2:TGID_Y_EN: 0
; COMPUTE_PGM_RSRC2:TGID_Z_EN: 0
; COMPUTE_PGM_RSRC2:TIDIG_COMP_CNT: 0
	.section	.text._ZN7rocprim17ROCPRIM_400000_NS6detail17trampoline_kernelINS0_14default_configENS1_35adjacent_difference_config_selectorILb0ElEEZNS1_24adjacent_difference_implIS3_Lb0ELb0EPlS7_ZN2at6native12_GLOBAL__N_124unique_dim_cuda_templateIjEESt5tupleIJNS8_6TensorESD_SD_EERKSD_lbbbEUlllE1_EE10hipError_tPvRmT2_T3_mT4_P12ihipStream_tbEUlT_E_NS1_11comp_targetILNS1_3genE8ELNS1_11target_archE1030ELNS1_3gpuE2ELNS1_3repE0EEENS1_30default_config_static_selectorELNS0_4arch9wavefront6targetE0EEEvT1_,"axG",@progbits,_ZN7rocprim17ROCPRIM_400000_NS6detail17trampoline_kernelINS0_14default_configENS1_35adjacent_difference_config_selectorILb0ElEEZNS1_24adjacent_difference_implIS3_Lb0ELb0EPlS7_ZN2at6native12_GLOBAL__N_124unique_dim_cuda_templateIjEESt5tupleIJNS8_6TensorESD_SD_EERKSD_lbbbEUlllE1_EE10hipError_tPvRmT2_T3_mT4_P12ihipStream_tbEUlT_E_NS1_11comp_targetILNS1_3genE8ELNS1_11target_archE1030ELNS1_3gpuE2ELNS1_3repE0EEENS1_30default_config_static_selectorELNS0_4arch9wavefront6targetE0EEEvT1_,comdat
	.globl	_ZN7rocprim17ROCPRIM_400000_NS6detail17trampoline_kernelINS0_14default_configENS1_35adjacent_difference_config_selectorILb0ElEEZNS1_24adjacent_difference_implIS3_Lb0ELb0EPlS7_ZN2at6native12_GLOBAL__N_124unique_dim_cuda_templateIjEESt5tupleIJNS8_6TensorESD_SD_EERKSD_lbbbEUlllE1_EE10hipError_tPvRmT2_T3_mT4_P12ihipStream_tbEUlT_E_NS1_11comp_targetILNS1_3genE8ELNS1_11target_archE1030ELNS1_3gpuE2ELNS1_3repE0EEENS1_30default_config_static_selectorELNS0_4arch9wavefront6targetE0EEEvT1_ ; -- Begin function _ZN7rocprim17ROCPRIM_400000_NS6detail17trampoline_kernelINS0_14default_configENS1_35adjacent_difference_config_selectorILb0ElEEZNS1_24adjacent_difference_implIS3_Lb0ELb0EPlS7_ZN2at6native12_GLOBAL__N_124unique_dim_cuda_templateIjEESt5tupleIJNS8_6TensorESD_SD_EERKSD_lbbbEUlllE1_EE10hipError_tPvRmT2_T3_mT4_P12ihipStream_tbEUlT_E_NS1_11comp_targetILNS1_3genE8ELNS1_11target_archE1030ELNS1_3gpuE2ELNS1_3repE0EEENS1_30default_config_static_selectorELNS0_4arch9wavefront6targetE0EEEvT1_
	.p2align	8
	.type	_ZN7rocprim17ROCPRIM_400000_NS6detail17trampoline_kernelINS0_14default_configENS1_35adjacent_difference_config_selectorILb0ElEEZNS1_24adjacent_difference_implIS3_Lb0ELb0EPlS7_ZN2at6native12_GLOBAL__N_124unique_dim_cuda_templateIjEESt5tupleIJNS8_6TensorESD_SD_EERKSD_lbbbEUlllE1_EE10hipError_tPvRmT2_T3_mT4_P12ihipStream_tbEUlT_E_NS1_11comp_targetILNS1_3genE8ELNS1_11target_archE1030ELNS1_3gpuE2ELNS1_3repE0EEENS1_30default_config_static_selectorELNS0_4arch9wavefront6targetE0EEEvT1_,@function
_ZN7rocprim17ROCPRIM_400000_NS6detail17trampoline_kernelINS0_14default_configENS1_35adjacent_difference_config_selectorILb0ElEEZNS1_24adjacent_difference_implIS3_Lb0ELb0EPlS7_ZN2at6native12_GLOBAL__N_124unique_dim_cuda_templateIjEESt5tupleIJNS8_6TensorESD_SD_EERKSD_lbbbEUlllE1_EE10hipError_tPvRmT2_T3_mT4_P12ihipStream_tbEUlT_E_NS1_11comp_targetILNS1_3genE8ELNS1_11target_archE1030ELNS1_3gpuE2ELNS1_3repE0EEENS1_30default_config_static_selectorELNS0_4arch9wavefront6targetE0EEEvT1_: ; @_ZN7rocprim17ROCPRIM_400000_NS6detail17trampoline_kernelINS0_14default_configENS1_35adjacent_difference_config_selectorILb0ElEEZNS1_24adjacent_difference_implIS3_Lb0ELb0EPlS7_ZN2at6native12_GLOBAL__N_124unique_dim_cuda_templateIjEESt5tupleIJNS8_6TensorESD_SD_EERKSD_lbbbEUlllE1_EE10hipError_tPvRmT2_T3_mT4_P12ihipStream_tbEUlT_E_NS1_11comp_targetILNS1_3genE8ELNS1_11target_archE1030ELNS1_3gpuE2ELNS1_3repE0EEENS1_30default_config_static_selectorELNS0_4arch9wavefront6targetE0EEEvT1_
; %bb.0:
	.section	.rodata,"a",@progbits
	.p2align	6, 0x0
	.amdhsa_kernel _ZN7rocprim17ROCPRIM_400000_NS6detail17trampoline_kernelINS0_14default_configENS1_35adjacent_difference_config_selectorILb0ElEEZNS1_24adjacent_difference_implIS3_Lb0ELb0EPlS7_ZN2at6native12_GLOBAL__N_124unique_dim_cuda_templateIjEESt5tupleIJNS8_6TensorESD_SD_EERKSD_lbbbEUlllE1_EE10hipError_tPvRmT2_T3_mT4_P12ihipStream_tbEUlT_E_NS1_11comp_targetILNS1_3genE8ELNS1_11target_archE1030ELNS1_3gpuE2ELNS1_3repE0EEENS1_30default_config_static_selectorELNS0_4arch9wavefront6targetE0EEEvT1_
		.amdhsa_group_segment_fixed_size 0
		.amdhsa_private_segment_fixed_size 0
		.amdhsa_kernarg_size 64
		.amdhsa_user_sgpr_count 15
		.amdhsa_user_sgpr_dispatch_ptr 0
		.amdhsa_user_sgpr_queue_ptr 0
		.amdhsa_user_sgpr_kernarg_segment_ptr 1
		.amdhsa_user_sgpr_dispatch_id 0
		.amdhsa_user_sgpr_private_segment_size 0
		.amdhsa_wavefront_size32 1
		.amdhsa_uses_dynamic_stack 0
		.amdhsa_enable_private_segment 0
		.amdhsa_system_sgpr_workgroup_id_x 1
		.amdhsa_system_sgpr_workgroup_id_y 0
		.amdhsa_system_sgpr_workgroup_id_z 0
		.amdhsa_system_sgpr_workgroup_info 0
		.amdhsa_system_vgpr_workitem_id 0
		.amdhsa_next_free_vgpr 1
		.amdhsa_next_free_sgpr 1
		.amdhsa_reserve_vcc 0
		.amdhsa_float_round_mode_32 0
		.amdhsa_float_round_mode_16_64 0
		.amdhsa_float_denorm_mode_32 3
		.amdhsa_float_denorm_mode_16_64 3
		.amdhsa_dx10_clamp 1
		.amdhsa_ieee_mode 1
		.amdhsa_fp16_overflow 0
		.amdhsa_workgroup_processor_mode 1
		.amdhsa_memory_ordered 1
		.amdhsa_forward_progress 0
		.amdhsa_shared_vgpr_count 0
		.amdhsa_exception_fp_ieee_invalid_op 0
		.amdhsa_exception_fp_denorm_src 0
		.amdhsa_exception_fp_ieee_div_zero 0
		.amdhsa_exception_fp_ieee_overflow 0
		.amdhsa_exception_fp_ieee_underflow 0
		.amdhsa_exception_fp_ieee_inexact 0
		.amdhsa_exception_int_div_zero 0
	.end_amdhsa_kernel
	.section	.text._ZN7rocprim17ROCPRIM_400000_NS6detail17trampoline_kernelINS0_14default_configENS1_35adjacent_difference_config_selectorILb0ElEEZNS1_24adjacent_difference_implIS3_Lb0ELb0EPlS7_ZN2at6native12_GLOBAL__N_124unique_dim_cuda_templateIjEESt5tupleIJNS8_6TensorESD_SD_EERKSD_lbbbEUlllE1_EE10hipError_tPvRmT2_T3_mT4_P12ihipStream_tbEUlT_E_NS1_11comp_targetILNS1_3genE8ELNS1_11target_archE1030ELNS1_3gpuE2ELNS1_3repE0EEENS1_30default_config_static_selectorELNS0_4arch9wavefront6targetE0EEEvT1_,"axG",@progbits,_ZN7rocprim17ROCPRIM_400000_NS6detail17trampoline_kernelINS0_14default_configENS1_35adjacent_difference_config_selectorILb0ElEEZNS1_24adjacent_difference_implIS3_Lb0ELb0EPlS7_ZN2at6native12_GLOBAL__N_124unique_dim_cuda_templateIjEESt5tupleIJNS8_6TensorESD_SD_EERKSD_lbbbEUlllE1_EE10hipError_tPvRmT2_T3_mT4_P12ihipStream_tbEUlT_E_NS1_11comp_targetILNS1_3genE8ELNS1_11target_archE1030ELNS1_3gpuE2ELNS1_3repE0EEENS1_30default_config_static_selectorELNS0_4arch9wavefront6targetE0EEEvT1_,comdat
.Lfunc_end1521:
	.size	_ZN7rocprim17ROCPRIM_400000_NS6detail17trampoline_kernelINS0_14default_configENS1_35adjacent_difference_config_selectorILb0ElEEZNS1_24adjacent_difference_implIS3_Lb0ELb0EPlS7_ZN2at6native12_GLOBAL__N_124unique_dim_cuda_templateIjEESt5tupleIJNS8_6TensorESD_SD_EERKSD_lbbbEUlllE1_EE10hipError_tPvRmT2_T3_mT4_P12ihipStream_tbEUlT_E_NS1_11comp_targetILNS1_3genE8ELNS1_11target_archE1030ELNS1_3gpuE2ELNS1_3repE0EEENS1_30default_config_static_selectorELNS0_4arch9wavefront6targetE0EEEvT1_, .Lfunc_end1521-_ZN7rocprim17ROCPRIM_400000_NS6detail17trampoline_kernelINS0_14default_configENS1_35adjacent_difference_config_selectorILb0ElEEZNS1_24adjacent_difference_implIS3_Lb0ELb0EPlS7_ZN2at6native12_GLOBAL__N_124unique_dim_cuda_templateIjEESt5tupleIJNS8_6TensorESD_SD_EERKSD_lbbbEUlllE1_EE10hipError_tPvRmT2_T3_mT4_P12ihipStream_tbEUlT_E_NS1_11comp_targetILNS1_3genE8ELNS1_11target_archE1030ELNS1_3gpuE2ELNS1_3repE0EEENS1_30default_config_static_selectorELNS0_4arch9wavefront6targetE0EEEvT1_
                                        ; -- End function
	.section	.AMDGPU.csdata,"",@progbits
; Kernel info:
; codeLenInByte = 0
; NumSgprs: 0
; NumVgprs: 0
; ScratchSize: 0
; MemoryBound: 0
; FloatMode: 240
; IeeeMode: 1
; LDSByteSize: 0 bytes/workgroup (compile time only)
; SGPRBlocks: 0
; VGPRBlocks: 0
; NumSGPRsForWavesPerEU: 1
; NumVGPRsForWavesPerEU: 1
; Occupancy: 16
; WaveLimiterHint : 0
; COMPUTE_PGM_RSRC2:SCRATCH_EN: 0
; COMPUTE_PGM_RSRC2:USER_SGPR: 15
; COMPUTE_PGM_RSRC2:TRAP_HANDLER: 0
; COMPUTE_PGM_RSRC2:TGID_X_EN: 1
; COMPUTE_PGM_RSRC2:TGID_Y_EN: 0
; COMPUTE_PGM_RSRC2:TGID_Z_EN: 0
; COMPUTE_PGM_RSRC2:TIDIG_COMP_CNT: 0
	.section	.text._ZN7rocprim17ROCPRIM_400000_NS6detail17trampoline_kernelINS0_14default_configENS1_25transform_config_selectorIlLb0EEEZNS1_14transform_implILb0ES3_S5_NS0_18transform_iteratorINS0_17counting_iteratorImlEEZNS1_24adjacent_difference_implIS3_Lb1ELb0EPlSB_ZN2at6native12_GLOBAL__N_124unique_dim_cuda_templateIjEESt5tupleIJNSC_6TensorESH_SH_EERKSH_lbbbEUlllE1_EE10hipError_tPvRmT2_T3_mT4_P12ihipStream_tbEUlmE_lEESB_NS0_8identityIvEEEESM_SP_SQ_mSR_ST_bEUlT_E_NS1_11comp_targetILNS1_3genE0ELNS1_11target_archE4294967295ELNS1_3gpuE0ELNS1_3repE0EEENS1_30default_config_static_selectorELNS0_4arch9wavefront6targetE0EEEvT1_,"axG",@progbits,_ZN7rocprim17ROCPRIM_400000_NS6detail17trampoline_kernelINS0_14default_configENS1_25transform_config_selectorIlLb0EEEZNS1_14transform_implILb0ES3_S5_NS0_18transform_iteratorINS0_17counting_iteratorImlEEZNS1_24adjacent_difference_implIS3_Lb1ELb0EPlSB_ZN2at6native12_GLOBAL__N_124unique_dim_cuda_templateIjEESt5tupleIJNSC_6TensorESH_SH_EERKSH_lbbbEUlllE1_EE10hipError_tPvRmT2_T3_mT4_P12ihipStream_tbEUlmE_lEESB_NS0_8identityIvEEEESM_SP_SQ_mSR_ST_bEUlT_E_NS1_11comp_targetILNS1_3genE0ELNS1_11target_archE4294967295ELNS1_3gpuE0ELNS1_3repE0EEENS1_30default_config_static_selectorELNS0_4arch9wavefront6targetE0EEEvT1_,comdat
	.globl	_ZN7rocprim17ROCPRIM_400000_NS6detail17trampoline_kernelINS0_14default_configENS1_25transform_config_selectorIlLb0EEEZNS1_14transform_implILb0ES3_S5_NS0_18transform_iteratorINS0_17counting_iteratorImlEEZNS1_24adjacent_difference_implIS3_Lb1ELb0EPlSB_ZN2at6native12_GLOBAL__N_124unique_dim_cuda_templateIjEESt5tupleIJNSC_6TensorESH_SH_EERKSH_lbbbEUlllE1_EE10hipError_tPvRmT2_T3_mT4_P12ihipStream_tbEUlmE_lEESB_NS0_8identityIvEEEESM_SP_SQ_mSR_ST_bEUlT_E_NS1_11comp_targetILNS1_3genE0ELNS1_11target_archE4294967295ELNS1_3gpuE0ELNS1_3repE0EEENS1_30default_config_static_selectorELNS0_4arch9wavefront6targetE0EEEvT1_ ; -- Begin function _ZN7rocprim17ROCPRIM_400000_NS6detail17trampoline_kernelINS0_14default_configENS1_25transform_config_selectorIlLb0EEEZNS1_14transform_implILb0ES3_S5_NS0_18transform_iteratorINS0_17counting_iteratorImlEEZNS1_24adjacent_difference_implIS3_Lb1ELb0EPlSB_ZN2at6native12_GLOBAL__N_124unique_dim_cuda_templateIjEESt5tupleIJNSC_6TensorESH_SH_EERKSH_lbbbEUlllE1_EE10hipError_tPvRmT2_T3_mT4_P12ihipStream_tbEUlmE_lEESB_NS0_8identityIvEEEESM_SP_SQ_mSR_ST_bEUlT_E_NS1_11comp_targetILNS1_3genE0ELNS1_11target_archE4294967295ELNS1_3gpuE0ELNS1_3repE0EEENS1_30default_config_static_selectorELNS0_4arch9wavefront6targetE0EEEvT1_
	.p2align	8
	.type	_ZN7rocprim17ROCPRIM_400000_NS6detail17trampoline_kernelINS0_14default_configENS1_25transform_config_selectorIlLb0EEEZNS1_14transform_implILb0ES3_S5_NS0_18transform_iteratorINS0_17counting_iteratorImlEEZNS1_24adjacent_difference_implIS3_Lb1ELb0EPlSB_ZN2at6native12_GLOBAL__N_124unique_dim_cuda_templateIjEESt5tupleIJNSC_6TensorESH_SH_EERKSH_lbbbEUlllE1_EE10hipError_tPvRmT2_T3_mT4_P12ihipStream_tbEUlmE_lEESB_NS0_8identityIvEEEESM_SP_SQ_mSR_ST_bEUlT_E_NS1_11comp_targetILNS1_3genE0ELNS1_11target_archE4294967295ELNS1_3gpuE0ELNS1_3repE0EEENS1_30default_config_static_selectorELNS0_4arch9wavefront6targetE0EEEvT1_,@function
_ZN7rocprim17ROCPRIM_400000_NS6detail17trampoline_kernelINS0_14default_configENS1_25transform_config_selectorIlLb0EEEZNS1_14transform_implILb0ES3_S5_NS0_18transform_iteratorINS0_17counting_iteratorImlEEZNS1_24adjacent_difference_implIS3_Lb1ELb0EPlSB_ZN2at6native12_GLOBAL__N_124unique_dim_cuda_templateIjEESt5tupleIJNSC_6TensorESH_SH_EERKSH_lbbbEUlllE1_EE10hipError_tPvRmT2_T3_mT4_P12ihipStream_tbEUlmE_lEESB_NS0_8identityIvEEEESM_SP_SQ_mSR_ST_bEUlT_E_NS1_11comp_targetILNS1_3genE0ELNS1_11target_archE4294967295ELNS1_3gpuE0ELNS1_3repE0EEENS1_30default_config_static_selectorELNS0_4arch9wavefront6targetE0EEEvT1_: ; @_ZN7rocprim17ROCPRIM_400000_NS6detail17trampoline_kernelINS0_14default_configENS1_25transform_config_selectorIlLb0EEEZNS1_14transform_implILb0ES3_S5_NS0_18transform_iteratorINS0_17counting_iteratorImlEEZNS1_24adjacent_difference_implIS3_Lb1ELb0EPlSB_ZN2at6native12_GLOBAL__N_124unique_dim_cuda_templateIjEESt5tupleIJNSC_6TensorESH_SH_EERKSH_lbbbEUlllE1_EE10hipError_tPvRmT2_T3_mT4_P12ihipStream_tbEUlmE_lEESB_NS0_8identityIvEEEESM_SP_SQ_mSR_ST_bEUlT_E_NS1_11comp_targetILNS1_3genE0ELNS1_11target_archE4294967295ELNS1_3gpuE0ELNS1_3repE0EEENS1_30default_config_static_selectorELNS0_4arch9wavefront6targetE0EEEvT1_
; %bb.0:
	.section	.rodata,"a",@progbits
	.p2align	6, 0x0
	.amdhsa_kernel _ZN7rocprim17ROCPRIM_400000_NS6detail17trampoline_kernelINS0_14default_configENS1_25transform_config_selectorIlLb0EEEZNS1_14transform_implILb0ES3_S5_NS0_18transform_iteratorINS0_17counting_iteratorImlEEZNS1_24adjacent_difference_implIS3_Lb1ELb0EPlSB_ZN2at6native12_GLOBAL__N_124unique_dim_cuda_templateIjEESt5tupleIJNSC_6TensorESH_SH_EERKSH_lbbbEUlllE1_EE10hipError_tPvRmT2_T3_mT4_P12ihipStream_tbEUlmE_lEESB_NS0_8identityIvEEEESM_SP_SQ_mSR_ST_bEUlT_E_NS1_11comp_targetILNS1_3genE0ELNS1_11target_archE4294967295ELNS1_3gpuE0ELNS1_3repE0EEENS1_30default_config_static_selectorELNS0_4arch9wavefront6targetE0EEEvT1_
		.amdhsa_group_segment_fixed_size 0
		.amdhsa_private_segment_fixed_size 0
		.amdhsa_kernarg_size 56
		.amdhsa_user_sgpr_count 15
		.amdhsa_user_sgpr_dispatch_ptr 0
		.amdhsa_user_sgpr_queue_ptr 0
		.amdhsa_user_sgpr_kernarg_segment_ptr 1
		.amdhsa_user_sgpr_dispatch_id 0
		.amdhsa_user_sgpr_private_segment_size 0
		.amdhsa_wavefront_size32 1
		.amdhsa_uses_dynamic_stack 0
		.amdhsa_enable_private_segment 0
		.amdhsa_system_sgpr_workgroup_id_x 1
		.amdhsa_system_sgpr_workgroup_id_y 0
		.amdhsa_system_sgpr_workgroup_id_z 0
		.amdhsa_system_sgpr_workgroup_info 0
		.amdhsa_system_vgpr_workitem_id 0
		.amdhsa_next_free_vgpr 1
		.amdhsa_next_free_sgpr 1
		.amdhsa_reserve_vcc 0
		.amdhsa_float_round_mode_32 0
		.amdhsa_float_round_mode_16_64 0
		.amdhsa_float_denorm_mode_32 3
		.amdhsa_float_denorm_mode_16_64 3
		.amdhsa_dx10_clamp 1
		.amdhsa_ieee_mode 1
		.amdhsa_fp16_overflow 0
		.amdhsa_workgroup_processor_mode 1
		.amdhsa_memory_ordered 1
		.amdhsa_forward_progress 0
		.amdhsa_shared_vgpr_count 0
		.amdhsa_exception_fp_ieee_invalid_op 0
		.amdhsa_exception_fp_denorm_src 0
		.amdhsa_exception_fp_ieee_div_zero 0
		.amdhsa_exception_fp_ieee_overflow 0
		.amdhsa_exception_fp_ieee_underflow 0
		.amdhsa_exception_fp_ieee_inexact 0
		.amdhsa_exception_int_div_zero 0
	.end_amdhsa_kernel
	.section	.text._ZN7rocprim17ROCPRIM_400000_NS6detail17trampoline_kernelINS0_14default_configENS1_25transform_config_selectorIlLb0EEEZNS1_14transform_implILb0ES3_S5_NS0_18transform_iteratorINS0_17counting_iteratorImlEEZNS1_24adjacent_difference_implIS3_Lb1ELb0EPlSB_ZN2at6native12_GLOBAL__N_124unique_dim_cuda_templateIjEESt5tupleIJNSC_6TensorESH_SH_EERKSH_lbbbEUlllE1_EE10hipError_tPvRmT2_T3_mT4_P12ihipStream_tbEUlmE_lEESB_NS0_8identityIvEEEESM_SP_SQ_mSR_ST_bEUlT_E_NS1_11comp_targetILNS1_3genE0ELNS1_11target_archE4294967295ELNS1_3gpuE0ELNS1_3repE0EEENS1_30default_config_static_selectorELNS0_4arch9wavefront6targetE0EEEvT1_,"axG",@progbits,_ZN7rocprim17ROCPRIM_400000_NS6detail17trampoline_kernelINS0_14default_configENS1_25transform_config_selectorIlLb0EEEZNS1_14transform_implILb0ES3_S5_NS0_18transform_iteratorINS0_17counting_iteratorImlEEZNS1_24adjacent_difference_implIS3_Lb1ELb0EPlSB_ZN2at6native12_GLOBAL__N_124unique_dim_cuda_templateIjEESt5tupleIJNSC_6TensorESH_SH_EERKSH_lbbbEUlllE1_EE10hipError_tPvRmT2_T3_mT4_P12ihipStream_tbEUlmE_lEESB_NS0_8identityIvEEEESM_SP_SQ_mSR_ST_bEUlT_E_NS1_11comp_targetILNS1_3genE0ELNS1_11target_archE4294967295ELNS1_3gpuE0ELNS1_3repE0EEENS1_30default_config_static_selectorELNS0_4arch9wavefront6targetE0EEEvT1_,comdat
.Lfunc_end1522:
	.size	_ZN7rocprim17ROCPRIM_400000_NS6detail17trampoline_kernelINS0_14default_configENS1_25transform_config_selectorIlLb0EEEZNS1_14transform_implILb0ES3_S5_NS0_18transform_iteratorINS0_17counting_iteratorImlEEZNS1_24adjacent_difference_implIS3_Lb1ELb0EPlSB_ZN2at6native12_GLOBAL__N_124unique_dim_cuda_templateIjEESt5tupleIJNSC_6TensorESH_SH_EERKSH_lbbbEUlllE1_EE10hipError_tPvRmT2_T3_mT4_P12ihipStream_tbEUlmE_lEESB_NS0_8identityIvEEEESM_SP_SQ_mSR_ST_bEUlT_E_NS1_11comp_targetILNS1_3genE0ELNS1_11target_archE4294967295ELNS1_3gpuE0ELNS1_3repE0EEENS1_30default_config_static_selectorELNS0_4arch9wavefront6targetE0EEEvT1_, .Lfunc_end1522-_ZN7rocprim17ROCPRIM_400000_NS6detail17trampoline_kernelINS0_14default_configENS1_25transform_config_selectorIlLb0EEEZNS1_14transform_implILb0ES3_S5_NS0_18transform_iteratorINS0_17counting_iteratorImlEEZNS1_24adjacent_difference_implIS3_Lb1ELb0EPlSB_ZN2at6native12_GLOBAL__N_124unique_dim_cuda_templateIjEESt5tupleIJNSC_6TensorESH_SH_EERKSH_lbbbEUlllE1_EE10hipError_tPvRmT2_T3_mT4_P12ihipStream_tbEUlmE_lEESB_NS0_8identityIvEEEESM_SP_SQ_mSR_ST_bEUlT_E_NS1_11comp_targetILNS1_3genE0ELNS1_11target_archE4294967295ELNS1_3gpuE0ELNS1_3repE0EEENS1_30default_config_static_selectorELNS0_4arch9wavefront6targetE0EEEvT1_
                                        ; -- End function
	.section	.AMDGPU.csdata,"",@progbits
; Kernel info:
; codeLenInByte = 0
; NumSgprs: 0
; NumVgprs: 0
; ScratchSize: 0
; MemoryBound: 0
; FloatMode: 240
; IeeeMode: 1
; LDSByteSize: 0 bytes/workgroup (compile time only)
; SGPRBlocks: 0
; VGPRBlocks: 0
; NumSGPRsForWavesPerEU: 1
; NumVGPRsForWavesPerEU: 1
; Occupancy: 16
; WaveLimiterHint : 0
; COMPUTE_PGM_RSRC2:SCRATCH_EN: 0
; COMPUTE_PGM_RSRC2:USER_SGPR: 15
; COMPUTE_PGM_RSRC2:TRAP_HANDLER: 0
; COMPUTE_PGM_RSRC2:TGID_X_EN: 1
; COMPUTE_PGM_RSRC2:TGID_Y_EN: 0
; COMPUTE_PGM_RSRC2:TGID_Z_EN: 0
; COMPUTE_PGM_RSRC2:TIDIG_COMP_CNT: 0
	.section	.text._ZN7rocprim17ROCPRIM_400000_NS6detail17trampoline_kernelINS0_14default_configENS1_25transform_config_selectorIlLb0EEEZNS1_14transform_implILb0ES3_S5_NS0_18transform_iteratorINS0_17counting_iteratorImlEEZNS1_24adjacent_difference_implIS3_Lb1ELb0EPlSB_ZN2at6native12_GLOBAL__N_124unique_dim_cuda_templateIjEESt5tupleIJNSC_6TensorESH_SH_EERKSH_lbbbEUlllE1_EE10hipError_tPvRmT2_T3_mT4_P12ihipStream_tbEUlmE_lEESB_NS0_8identityIvEEEESM_SP_SQ_mSR_ST_bEUlT_E_NS1_11comp_targetILNS1_3genE5ELNS1_11target_archE942ELNS1_3gpuE9ELNS1_3repE0EEENS1_30default_config_static_selectorELNS0_4arch9wavefront6targetE0EEEvT1_,"axG",@progbits,_ZN7rocprim17ROCPRIM_400000_NS6detail17trampoline_kernelINS0_14default_configENS1_25transform_config_selectorIlLb0EEEZNS1_14transform_implILb0ES3_S5_NS0_18transform_iteratorINS0_17counting_iteratorImlEEZNS1_24adjacent_difference_implIS3_Lb1ELb0EPlSB_ZN2at6native12_GLOBAL__N_124unique_dim_cuda_templateIjEESt5tupleIJNSC_6TensorESH_SH_EERKSH_lbbbEUlllE1_EE10hipError_tPvRmT2_T3_mT4_P12ihipStream_tbEUlmE_lEESB_NS0_8identityIvEEEESM_SP_SQ_mSR_ST_bEUlT_E_NS1_11comp_targetILNS1_3genE5ELNS1_11target_archE942ELNS1_3gpuE9ELNS1_3repE0EEENS1_30default_config_static_selectorELNS0_4arch9wavefront6targetE0EEEvT1_,comdat
	.globl	_ZN7rocprim17ROCPRIM_400000_NS6detail17trampoline_kernelINS0_14default_configENS1_25transform_config_selectorIlLb0EEEZNS1_14transform_implILb0ES3_S5_NS0_18transform_iteratorINS0_17counting_iteratorImlEEZNS1_24adjacent_difference_implIS3_Lb1ELb0EPlSB_ZN2at6native12_GLOBAL__N_124unique_dim_cuda_templateIjEESt5tupleIJNSC_6TensorESH_SH_EERKSH_lbbbEUlllE1_EE10hipError_tPvRmT2_T3_mT4_P12ihipStream_tbEUlmE_lEESB_NS0_8identityIvEEEESM_SP_SQ_mSR_ST_bEUlT_E_NS1_11comp_targetILNS1_3genE5ELNS1_11target_archE942ELNS1_3gpuE9ELNS1_3repE0EEENS1_30default_config_static_selectorELNS0_4arch9wavefront6targetE0EEEvT1_ ; -- Begin function _ZN7rocprim17ROCPRIM_400000_NS6detail17trampoline_kernelINS0_14default_configENS1_25transform_config_selectorIlLb0EEEZNS1_14transform_implILb0ES3_S5_NS0_18transform_iteratorINS0_17counting_iteratorImlEEZNS1_24adjacent_difference_implIS3_Lb1ELb0EPlSB_ZN2at6native12_GLOBAL__N_124unique_dim_cuda_templateIjEESt5tupleIJNSC_6TensorESH_SH_EERKSH_lbbbEUlllE1_EE10hipError_tPvRmT2_T3_mT4_P12ihipStream_tbEUlmE_lEESB_NS0_8identityIvEEEESM_SP_SQ_mSR_ST_bEUlT_E_NS1_11comp_targetILNS1_3genE5ELNS1_11target_archE942ELNS1_3gpuE9ELNS1_3repE0EEENS1_30default_config_static_selectorELNS0_4arch9wavefront6targetE0EEEvT1_
	.p2align	8
	.type	_ZN7rocprim17ROCPRIM_400000_NS6detail17trampoline_kernelINS0_14default_configENS1_25transform_config_selectorIlLb0EEEZNS1_14transform_implILb0ES3_S5_NS0_18transform_iteratorINS0_17counting_iteratorImlEEZNS1_24adjacent_difference_implIS3_Lb1ELb0EPlSB_ZN2at6native12_GLOBAL__N_124unique_dim_cuda_templateIjEESt5tupleIJNSC_6TensorESH_SH_EERKSH_lbbbEUlllE1_EE10hipError_tPvRmT2_T3_mT4_P12ihipStream_tbEUlmE_lEESB_NS0_8identityIvEEEESM_SP_SQ_mSR_ST_bEUlT_E_NS1_11comp_targetILNS1_3genE5ELNS1_11target_archE942ELNS1_3gpuE9ELNS1_3repE0EEENS1_30default_config_static_selectorELNS0_4arch9wavefront6targetE0EEEvT1_,@function
_ZN7rocprim17ROCPRIM_400000_NS6detail17trampoline_kernelINS0_14default_configENS1_25transform_config_selectorIlLb0EEEZNS1_14transform_implILb0ES3_S5_NS0_18transform_iteratorINS0_17counting_iteratorImlEEZNS1_24adjacent_difference_implIS3_Lb1ELb0EPlSB_ZN2at6native12_GLOBAL__N_124unique_dim_cuda_templateIjEESt5tupleIJNSC_6TensorESH_SH_EERKSH_lbbbEUlllE1_EE10hipError_tPvRmT2_T3_mT4_P12ihipStream_tbEUlmE_lEESB_NS0_8identityIvEEEESM_SP_SQ_mSR_ST_bEUlT_E_NS1_11comp_targetILNS1_3genE5ELNS1_11target_archE942ELNS1_3gpuE9ELNS1_3repE0EEENS1_30default_config_static_selectorELNS0_4arch9wavefront6targetE0EEEvT1_: ; @_ZN7rocprim17ROCPRIM_400000_NS6detail17trampoline_kernelINS0_14default_configENS1_25transform_config_selectorIlLb0EEEZNS1_14transform_implILb0ES3_S5_NS0_18transform_iteratorINS0_17counting_iteratorImlEEZNS1_24adjacent_difference_implIS3_Lb1ELb0EPlSB_ZN2at6native12_GLOBAL__N_124unique_dim_cuda_templateIjEESt5tupleIJNSC_6TensorESH_SH_EERKSH_lbbbEUlllE1_EE10hipError_tPvRmT2_T3_mT4_P12ihipStream_tbEUlmE_lEESB_NS0_8identityIvEEEESM_SP_SQ_mSR_ST_bEUlT_E_NS1_11comp_targetILNS1_3genE5ELNS1_11target_archE942ELNS1_3gpuE9ELNS1_3repE0EEENS1_30default_config_static_selectorELNS0_4arch9wavefront6targetE0EEEvT1_
; %bb.0:
	.section	.rodata,"a",@progbits
	.p2align	6, 0x0
	.amdhsa_kernel _ZN7rocprim17ROCPRIM_400000_NS6detail17trampoline_kernelINS0_14default_configENS1_25transform_config_selectorIlLb0EEEZNS1_14transform_implILb0ES3_S5_NS0_18transform_iteratorINS0_17counting_iteratorImlEEZNS1_24adjacent_difference_implIS3_Lb1ELb0EPlSB_ZN2at6native12_GLOBAL__N_124unique_dim_cuda_templateIjEESt5tupleIJNSC_6TensorESH_SH_EERKSH_lbbbEUlllE1_EE10hipError_tPvRmT2_T3_mT4_P12ihipStream_tbEUlmE_lEESB_NS0_8identityIvEEEESM_SP_SQ_mSR_ST_bEUlT_E_NS1_11comp_targetILNS1_3genE5ELNS1_11target_archE942ELNS1_3gpuE9ELNS1_3repE0EEENS1_30default_config_static_selectorELNS0_4arch9wavefront6targetE0EEEvT1_
		.amdhsa_group_segment_fixed_size 0
		.amdhsa_private_segment_fixed_size 0
		.amdhsa_kernarg_size 56
		.amdhsa_user_sgpr_count 15
		.amdhsa_user_sgpr_dispatch_ptr 0
		.amdhsa_user_sgpr_queue_ptr 0
		.amdhsa_user_sgpr_kernarg_segment_ptr 1
		.amdhsa_user_sgpr_dispatch_id 0
		.amdhsa_user_sgpr_private_segment_size 0
		.amdhsa_wavefront_size32 1
		.amdhsa_uses_dynamic_stack 0
		.amdhsa_enable_private_segment 0
		.amdhsa_system_sgpr_workgroup_id_x 1
		.amdhsa_system_sgpr_workgroup_id_y 0
		.amdhsa_system_sgpr_workgroup_id_z 0
		.amdhsa_system_sgpr_workgroup_info 0
		.amdhsa_system_vgpr_workitem_id 0
		.amdhsa_next_free_vgpr 1
		.amdhsa_next_free_sgpr 1
		.amdhsa_reserve_vcc 0
		.amdhsa_float_round_mode_32 0
		.amdhsa_float_round_mode_16_64 0
		.amdhsa_float_denorm_mode_32 3
		.amdhsa_float_denorm_mode_16_64 3
		.amdhsa_dx10_clamp 1
		.amdhsa_ieee_mode 1
		.amdhsa_fp16_overflow 0
		.amdhsa_workgroup_processor_mode 1
		.amdhsa_memory_ordered 1
		.amdhsa_forward_progress 0
		.amdhsa_shared_vgpr_count 0
		.amdhsa_exception_fp_ieee_invalid_op 0
		.amdhsa_exception_fp_denorm_src 0
		.amdhsa_exception_fp_ieee_div_zero 0
		.amdhsa_exception_fp_ieee_overflow 0
		.amdhsa_exception_fp_ieee_underflow 0
		.amdhsa_exception_fp_ieee_inexact 0
		.amdhsa_exception_int_div_zero 0
	.end_amdhsa_kernel
	.section	.text._ZN7rocprim17ROCPRIM_400000_NS6detail17trampoline_kernelINS0_14default_configENS1_25transform_config_selectorIlLb0EEEZNS1_14transform_implILb0ES3_S5_NS0_18transform_iteratorINS0_17counting_iteratorImlEEZNS1_24adjacent_difference_implIS3_Lb1ELb0EPlSB_ZN2at6native12_GLOBAL__N_124unique_dim_cuda_templateIjEESt5tupleIJNSC_6TensorESH_SH_EERKSH_lbbbEUlllE1_EE10hipError_tPvRmT2_T3_mT4_P12ihipStream_tbEUlmE_lEESB_NS0_8identityIvEEEESM_SP_SQ_mSR_ST_bEUlT_E_NS1_11comp_targetILNS1_3genE5ELNS1_11target_archE942ELNS1_3gpuE9ELNS1_3repE0EEENS1_30default_config_static_selectorELNS0_4arch9wavefront6targetE0EEEvT1_,"axG",@progbits,_ZN7rocprim17ROCPRIM_400000_NS6detail17trampoline_kernelINS0_14default_configENS1_25transform_config_selectorIlLb0EEEZNS1_14transform_implILb0ES3_S5_NS0_18transform_iteratorINS0_17counting_iteratorImlEEZNS1_24adjacent_difference_implIS3_Lb1ELb0EPlSB_ZN2at6native12_GLOBAL__N_124unique_dim_cuda_templateIjEESt5tupleIJNSC_6TensorESH_SH_EERKSH_lbbbEUlllE1_EE10hipError_tPvRmT2_T3_mT4_P12ihipStream_tbEUlmE_lEESB_NS0_8identityIvEEEESM_SP_SQ_mSR_ST_bEUlT_E_NS1_11comp_targetILNS1_3genE5ELNS1_11target_archE942ELNS1_3gpuE9ELNS1_3repE0EEENS1_30default_config_static_selectorELNS0_4arch9wavefront6targetE0EEEvT1_,comdat
.Lfunc_end1523:
	.size	_ZN7rocprim17ROCPRIM_400000_NS6detail17trampoline_kernelINS0_14default_configENS1_25transform_config_selectorIlLb0EEEZNS1_14transform_implILb0ES3_S5_NS0_18transform_iteratorINS0_17counting_iteratorImlEEZNS1_24adjacent_difference_implIS3_Lb1ELb0EPlSB_ZN2at6native12_GLOBAL__N_124unique_dim_cuda_templateIjEESt5tupleIJNSC_6TensorESH_SH_EERKSH_lbbbEUlllE1_EE10hipError_tPvRmT2_T3_mT4_P12ihipStream_tbEUlmE_lEESB_NS0_8identityIvEEEESM_SP_SQ_mSR_ST_bEUlT_E_NS1_11comp_targetILNS1_3genE5ELNS1_11target_archE942ELNS1_3gpuE9ELNS1_3repE0EEENS1_30default_config_static_selectorELNS0_4arch9wavefront6targetE0EEEvT1_, .Lfunc_end1523-_ZN7rocprim17ROCPRIM_400000_NS6detail17trampoline_kernelINS0_14default_configENS1_25transform_config_selectorIlLb0EEEZNS1_14transform_implILb0ES3_S5_NS0_18transform_iteratorINS0_17counting_iteratorImlEEZNS1_24adjacent_difference_implIS3_Lb1ELb0EPlSB_ZN2at6native12_GLOBAL__N_124unique_dim_cuda_templateIjEESt5tupleIJNSC_6TensorESH_SH_EERKSH_lbbbEUlllE1_EE10hipError_tPvRmT2_T3_mT4_P12ihipStream_tbEUlmE_lEESB_NS0_8identityIvEEEESM_SP_SQ_mSR_ST_bEUlT_E_NS1_11comp_targetILNS1_3genE5ELNS1_11target_archE942ELNS1_3gpuE9ELNS1_3repE0EEENS1_30default_config_static_selectorELNS0_4arch9wavefront6targetE0EEEvT1_
                                        ; -- End function
	.section	.AMDGPU.csdata,"",@progbits
; Kernel info:
; codeLenInByte = 0
; NumSgprs: 0
; NumVgprs: 0
; ScratchSize: 0
; MemoryBound: 0
; FloatMode: 240
; IeeeMode: 1
; LDSByteSize: 0 bytes/workgroup (compile time only)
; SGPRBlocks: 0
; VGPRBlocks: 0
; NumSGPRsForWavesPerEU: 1
; NumVGPRsForWavesPerEU: 1
; Occupancy: 16
; WaveLimiterHint : 0
; COMPUTE_PGM_RSRC2:SCRATCH_EN: 0
; COMPUTE_PGM_RSRC2:USER_SGPR: 15
; COMPUTE_PGM_RSRC2:TRAP_HANDLER: 0
; COMPUTE_PGM_RSRC2:TGID_X_EN: 1
; COMPUTE_PGM_RSRC2:TGID_Y_EN: 0
; COMPUTE_PGM_RSRC2:TGID_Z_EN: 0
; COMPUTE_PGM_RSRC2:TIDIG_COMP_CNT: 0
	.section	.text._ZN7rocprim17ROCPRIM_400000_NS6detail17trampoline_kernelINS0_14default_configENS1_25transform_config_selectorIlLb0EEEZNS1_14transform_implILb0ES3_S5_NS0_18transform_iteratorINS0_17counting_iteratorImlEEZNS1_24adjacent_difference_implIS3_Lb1ELb0EPlSB_ZN2at6native12_GLOBAL__N_124unique_dim_cuda_templateIjEESt5tupleIJNSC_6TensorESH_SH_EERKSH_lbbbEUlllE1_EE10hipError_tPvRmT2_T3_mT4_P12ihipStream_tbEUlmE_lEESB_NS0_8identityIvEEEESM_SP_SQ_mSR_ST_bEUlT_E_NS1_11comp_targetILNS1_3genE4ELNS1_11target_archE910ELNS1_3gpuE8ELNS1_3repE0EEENS1_30default_config_static_selectorELNS0_4arch9wavefront6targetE0EEEvT1_,"axG",@progbits,_ZN7rocprim17ROCPRIM_400000_NS6detail17trampoline_kernelINS0_14default_configENS1_25transform_config_selectorIlLb0EEEZNS1_14transform_implILb0ES3_S5_NS0_18transform_iteratorINS0_17counting_iteratorImlEEZNS1_24adjacent_difference_implIS3_Lb1ELb0EPlSB_ZN2at6native12_GLOBAL__N_124unique_dim_cuda_templateIjEESt5tupleIJNSC_6TensorESH_SH_EERKSH_lbbbEUlllE1_EE10hipError_tPvRmT2_T3_mT4_P12ihipStream_tbEUlmE_lEESB_NS0_8identityIvEEEESM_SP_SQ_mSR_ST_bEUlT_E_NS1_11comp_targetILNS1_3genE4ELNS1_11target_archE910ELNS1_3gpuE8ELNS1_3repE0EEENS1_30default_config_static_selectorELNS0_4arch9wavefront6targetE0EEEvT1_,comdat
	.globl	_ZN7rocprim17ROCPRIM_400000_NS6detail17trampoline_kernelINS0_14default_configENS1_25transform_config_selectorIlLb0EEEZNS1_14transform_implILb0ES3_S5_NS0_18transform_iteratorINS0_17counting_iteratorImlEEZNS1_24adjacent_difference_implIS3_Lb1ELb0EPlSB_ZN2at6native12_GLOBAL__N_124unique_dim_cuda_templateIjEESt5tupleIJNSC_6TensorESH_SH_EERKSH_lbbbEUlllE1_EE10hipError_tPvRmT2_T3_mT4_P12ihipStream_tbEUlmE_lEESB_NS0_8identityIvEEEESM_SP_SQ_mSR_ST_bEUlT_E_NS1_11comp_targetILNS1_3genE4ELNS1_11target_archE910ELNS1_3gpuE8ELNS1_3repE0EEENS1_30default_config_static_selectorELNS0_4arch9wavefront6targetE0EEEvT1_ ; -- Begin function _ZN7rocprim17ROCPRIM_400000_NS6detail17trampoline_kernelINS0_14default_configENS1_25transform_config_selectorIlLb0EEEZNS1_14transform_implILb0ES3_S5_NS0_18transform_iteratorINS0_17counting_iteratorImlEEZNS1_24adjacent_difference_implIS3_Lb1ELb0EPlSB_ZN2at6native12_GLOBAL__N_124unique_dim_cuda_templateIjEESt5tupleIJNSC_6TensorESH_SH_EERKSH_lbbbEUlllE1_EE10hipError_tPvRmT2_T3_mT4_P12ihipStream_tbEUlmE_lEESB_NS0_8identityIvEEEESM_SP_SQ_mSR_ST_bEUlT_E_NS1_11comp_targetILNS1_3genE4ELNS1_11target_archE910ELNS1_3gpuE8ELNS1_3repE0EEENS1_30default_config_static_selectorELNS0_4arch9wavefront6targetE0EEEvT1_
	.p2align	8
	.type	_ZN7rocprim17ROCPRIM_400000_NS6detail17trampoline_kernelINS0_14default_configENS1_25transform_config_selectorIlLb0EEEZNS1_14transform_implILb0ES3_S5_NS0_18transform_iteratorINS0_17counting_iteratorImlEEZNS1_24adjacent_difference_implIS3_Lb1ELb0EPlSB_ZN2at6native12_GLOBAL__N_124unique_dim_cuda_templateIjEESt5tupleIJNSC_6TensorESH_SH_EERKSH_lbbbEUlllE1_EE10hipError_tPvRmT2_T3_mT4_P12ihipStream_tbEUlmE_lEESB_NS0_8identityIvEEEESM_SP_SQ_mSR_ST_bEUlT_E_NS1_11comp_targetILNS1_3genE4ELNS1_11target_archE910ELNS1_3gpuE8ELNS1_3repE0EEENS1_30default_config_static_selectorELNS0_4arch9wavefront6targetE0EEEvT1_,@function
_ZN7rocprim17ROCPRIM_400000_NS6detail17trampoline_kernelINS0_14default_configENS1_25transform_config_selectorIlLb0EEEZNS1_14transform_implILb0ES3_S5_NS0_18transform_iteratorINS0_17counting_iteratorImlEEZNS1_24adjacent_difference_implIS3_Lb1ELb0EPlSB_ZN2at6native12_GLOBAL__N_124unique_dim_cuda_templateIjEESt5tupleIJNSC_6TensorESH_SH_EERKSH_lbbbEUlllE1_EE10hipError_tPvRmT2_T3_mT4_P12ihipStream_tbEUlmE_lEESB_NS0_8identityIvEEEESM_SP_SQ_mSR_ST_bEUlT_E_NS1_11comp_targetILNS1_3genE4ELNS1_11target_archE910ELNS1_3gpuE8ELNS1_3repE0EEENS1_30default_config_static_selectorELNS0_4arch9wavefront6targetE0EEEvT1_: ; @_ZN7rocprim17ROCPRIM_400000_NS6detail17trampoline_kernelINS0_14default_configENS1_25transform_config_selectorIlLb0EEEZNS1_14transform_implILb0ES3_S5_NS0_18transform_iteratorINS0_17counting_iteratorImlEEZNS1_24adjacent_difference_implIS3_Lb1ELb0EPlSB_ZN2at6native12_GLOBAL__N_124unique_dim_cuda_templateIjEESt5tupleIJNSC_6TensorESH_SH_EERKSH_lbbbEUlllE1_EE10hipError_tPvRmT2_T3_mT4_P12ihipStream_tbEUlmE_lEESB_NS0_8identityIvEEEESM_SP_SQ_mSR_ST_bEUlT_E_NS1_11comp_targetILNS1_3genE4ELNS1_11target_archE910ELNS1_3gpuE8ELNS1_3repE0EEENS1_30default_config_static_selectorELNS0_4arch9wavefront6targetE0EEEvT1_
; %bb.0:
	.section	.rodata,"a",@progbits
	.p2align	6, 0x0
	.amdhsa_kernel _ZN7rocprim17ROCPRIM_400000_NS6detail17trampoline_kernelINS0_14default_configENS1_25transform_config_selectorIlLb0EEEZNS1_14transform_implILb0ES3_S5_NS0_18transform_iteratorINS0_17counting_iteratorImlEEZNS1_24adjacent_difference_implIS3_Lb1ELb0EPlSB_ZN2at6native12_GLOBAL__N_124unique_dim_cuda_templateIjEESt5tupleIJNSC_6TensorESH_SH_EERKSH_lbbbEUlllE1_EE10hipError_tPvRmT2_T3_mT4_P12ihipStream_tbEUlmE_lEESB_NS0_8identityIvEEEESM_SP_SQ_mSR_ST_bEUlT_E_NS1_11comp_targetILNS1_3genE4ELNS1_11target_archE910ELNS1_3gpuE8ELNS1_3repE0EEENS1_30default_config_static_selectorELNS0_4arch9wavefront6targetE0EEEvT1_
		.amdhsa_group_segment_fixed_size 0
		.amdhsa_private_segment_fixed_size 0
		.amdhsa_kernarg_size 56
		.amdhsa_user_sgpr_count 15
		.amdhsa_user_sgpr_dispatch_ptr 0
		.amdhsa_user_sgpr_queue_ptr 0
		.amdhsa_user_sgpr_kernarg_segment_ptr 1
		.amdhsa_user_sgpr_dispatch_id 0
		.amdhsa_user_sgpr_private_segment_size 0
		.amdhsa_wavefront_size32 1
		.amdhsa_uses_dynamic_stack 0
		.amdhsa_enable_private_segment 0
		.amdhsa_system_sgpr_workgroup_id_x 1
		.amdhsa_system_sgpr_workgroup_id_y 0
		.amdhsa_system_sgpr_workgroup_id_z 0
		.amdhsa_system_sgpr_workgroup_info 0
		.amdhsa_system_vgpr_workitem_id 0
		.amdhsa_next_free_vgpr 1
		.amdhsa_next_free_sgpr 1
		.amdhsa_reserve_vcc 0
		.amdhsa_float_round_mode_32 0
		.amdhsa_float_round_mode_16_64 0
		.amdhsa_float_denorm_mode_32 3
		.amdhsa_float_denorm_mode_16_64 3
		.amdhsa_dx10_clamp 1
		.amdhsa_ieee_mode 1
		.amdhsa_fp16_overflow 0
		.amdhsa_workgroup_processor_mode 1
		.amdhsa_memory_ordered 1
		.amdhsa_forward_progress 0
		.amdhsa_shared_vgpr_count 0
		.amdhsa_exception_fp_ieee_invalid_op 0
		.amdhsa_exception_fp_denorm_src 0
		.amdhsa_exception_fp_ieee_div_zero 0
		.amdhsa_exception_fp_ieee_overflow 0
		.amdhsa_exception_fp_ieee_underflow 0
		.amdhsa_exception_fp_ieee_inexact 0
		.amdhsa_exception_int_div_zero 0
	.end_amdhsa_kernel
	.section	.text._ZN7rocprim17ROCPRIM_400000_NS6detail17trampoline_kernelINS0_14default_configENS1_25transform_config_selectorIlLb0EEEZNS1_14transform_implILb0ES3_S5_NS0_18transform_iteratorINS0_17counting_iteratorImlEEZNS1_24adjacent_difference_implIS3_Lb1ELb0EPlSB_ZN2at6native12_GLOBAL__N_124unique_dim_cuda_templateIjEESt5tupleIJNSC_6TensorESH_SH_EERKSH_lbbbEUlllE1_EE10hipError_tPvRmT2_T3_mT4_P12ihipStream_tbEUlmE_lEESB_NS0_8identityIvEEEESM_SP_SQ_mSR_ST_bEUlT_E_NS1_11comp_targetILNS1_3genE4ELNS1_11target_archE910ELNS1_3gpuE8ELNS1_3repE0EEENS1_30default_config_static_selectorELNS0_4arch9wavefront6targetE0EEEvT1_,"axG",@progbits,_ZN7rocprim17ROCPRIM_400000_NS6detail17trampoline_kernelINS0_14default_configENS1_25transform_config_selectorIlLb0EEEZNS1_14transform_implILb0ES3_S5_NS0_18transform_iteratorINS0_17counting_iteratorImlEEZNS1_24adjacent_difference_implIS3_Lb1ELb0EPlSB_ZN2at6native12_GLOBAL__N_124unique_dim_cuda_templateIjEESt5tupleIJNSC_6TensorESH_SH_EERKSH_lbbbEUlllE1_EE10hipError_tPvRmT2_T3_mT4_P12ihipStream_tbEUlmE_lEESB_NS0_8identityIvEEEESM_SP_SQ_mSR_ST_bEUlT_E_NS1_11comp_targetILNS1_3genE4ELNS1_11target_archE910ELNS1_3gpuE8ELNS1_3repE0EEENS1_30default_config_static_selectorELNS0_4arch9wavefront6targetE0EEEvT1_,comdat
.Lfunc_end1524:
	.size	_ZN7rocprim17ROCPRIM_400000_NS6detail17trampoline_kernelINS0_14default_configENS1_25transform_config_selectorIlLb0EEEZNS1_14transform_implILb0ES3_S5_NS0_18transform_iteratorINS0_17counting_iteratorImlEEZNS1_24adjacent_difference_implIS3_Lb1ELb0EPlSB_ZN2at6native12_GLOBAL__N_124unique_dim_cuda_templateIjEESt5tupleIJNSC_6TensorESH_SH_EERKSH_lbbbEUlllE1_EE10hipError_tPvRmT2_T3_mT4_P12ihipStream_tbEUlmE_lEESB_NS0_8identityIvEEEESM_SP_SQ_mSR_ST_bEUlT_E_NS1_11comp_targetILNS1_3genE4ELNS1_11target_archE910ELNS1_3gpuE8ELNS1_3repE0EEENS1_30default_config_static_selectorELNS0_4arch9wavefront6targetE0EEEvT1_, .Lfunc_end1524-_ZN7rocprim17ROCPRIM_400000_NS6detail17trampoline_kernelINS0_14default_configENS1_25transform_config_selectorIlLb0EEEZNS1_14transform_implILb0ES3_S5_NS0_18transform_iteratorINS0_17counting_iteratorImlEEZNS1_24adjacent_difference_implIS3_Lb1ELb0EPlSB_ZN2at6native12_GLOBAL__N_124unique_dim_cuda_templateIjEESt5tupleIJNSC_6TensorESH_SH_EERKSH_lbbbEUlllE1_EE10hipError_tPvRmT2_T3_mT4_P12ihipStream_tbEUlmE_lEESB_NS0_8identityIvEEEESM_SP_SQ_mSR_ST_bEUlT_E_NS1_11comp_targetILNS1_3genE4ELNS1_11target_archE910ELNS1_3gpuE8ELNS1_3repE0EEENS1_30default_config_static_selectorELNS0_4arch9wavefront6targetE0EEEvT1_
                                        ; -- End function
	.section	.AMDGPU.csdata,"",@progbits
; Kernel info:
; codeLenInByte = 0
; NumSgprs: 0
; NumVgprs: 0
; ScratchSize: 0
; MemoryBound: 0
; FloatMode: 240
; IeeeMode: 1
; LDSByteSize: 0 bytes/workgroup (compile time only)
; SGPRBlocks: 0
; VGPRBlocks: 0
; NumSGPRsForWavesPerEU: 1
; NumVGPRsForWavesPerEU: 1
; Occupancy: 16
; WaveLimiterHint : 0
; COMPUTE_PGM_RSRC2:SCRATCH_EN: 0
; COMPUTE_PGM_RSRC2:USER_SGPR: 15
; COMPUTE_PGM_RSRC2:TRAP_HANDLER: 0
; COMPUTE_PGM_RSRC2:TGID_X_EN: 1
; COMPUTE_PGM_RSRC2:TGID_Y_EN: 0
; COMPUTE_PGM_RSRC2:TGID_Z_EN: 0
; COMPUTE_PGM_RSRC2:TIDIG_COMP_CNT: 0
	.section	.text._ZN7rocprim17ROCPRIM_400000_NS6detail17trampoline_kernelINS0_14default_configENS1_25transform_config_selectorIlLb0EEEZNS1_14transform_implILb0ES3_S5_NS0_18transform_iteratorINS0_17counting_iteratorImlEEZNS1_24adjacent_difference_implIS3_Lb1ELb0EPlSB_ZN2at6native12_GLOBAL__N_124unique_dim_cuda_templateIjEESt5tupleIJNSC_6TensorESH_SH_EERKSH_lbbbEUlllE1_EE10hipError_tPvRmT2_T3_mT4_P12ihipStream_tbEUlmE_lEESB_NS0_8identityIvEEEESM_SP_SQ_mSR_ST_bEUlT_E_NS1_11comp_targetILNS1_3genE3ELNS1_11target_archE908ELNS1_3gpuE7ELNS1_3repE0EEENS1_30default_config_static_selectorELNS0_4arch9wavefront6targetE0EEEvT1_,"axG",@progbits,_ZN7rocprim17ROCPRIM_400000_NS6detail17trampoline_kernelINS0_14default_configENS1_25transform_config_selectorIlLb0EEEZNS1_14transform_implILb0ES3_S5_NS0_18transform_iteratorINS0_17counting_iteratorImlEEZNS1_24adjacent_difference_implIS3_Lb1ELb0EPlSB_ZN2at6native12_GLOBAL__N_124unique_dim_cuda_templateIjEESt5tupleIJNSC_6TensorESH_SH_EERKSH_lbbbEUlllE1_EE10hipError_tPvRmT2_T3_mT4_P12ihipStream_tbEUlmE_lEESB_NS0_8identityIvEEEESM_SP_SQ_mSR_ST_bEUlT_E_NS1_11comp_targetILNS1_3genE3ELNS1_11target_archE908ELNS1_3gpuE7ELNS1_3repE0EEENS1_30default_config_static_selectorELNS0_4arch9wavefront6targetE0EEEvT1_,comdat
	.globl	_ZN7rocprim17ROCPRIM_400000_NS6detail17trampoline_kernelINS0_14default_configENS1_25transform_config_selectorIlLb0EEEZNS1_14transform_implILb0ES3_S5_NS0_18transform_iteratorINS0_17counting_iteratorImlEEZNS1_24adjacent_difference_implIS3_Lb1ELb0EPlSB_ZN2at6native12_GLOBAL__N_124unique_dim_cuda_templateIjEESt5tupleIJNSC_6TensorESH_SH_EERKSH_lbbbEUlllE1_EE10hipError_tPvRmT2_T3_mT4_P12ihipStream_tbEUlmE_lEESB_NS0_8identityIvEEEESM_SP_SQ_mSR_ST_bEUlT_E_NS1_11comp_targetILNS1_3genE3ELNS1_11target_archE908ELNS1_3gpuE7ELNS1_3repE0EEENS1_30default_config_static_selectorELNS0_4arch9wavefront6targetE0EEEvT1_ ; -- Begin function _ZN7rocprim17ROCPRIM_400000_NS6detail17trampoline_kernelINS0_14default_configENS1_25transform_config_selectorIlLb0EEEZNS1_14transform_implILb0ES3_S5_NS0_18transform_iteratorINS0_17counting_iteratorImlEEZNS1_24adjacent_difference_implIS3_Lb1ELb0EPlSB_ZN2at6native12_GLOBAL__N_124unique_dim_cuda_templateIjEESt5tupleIJNSC_6TensorESH_SH_EERKSH_lbbbEUlllE1_EE10hipError_tPvRmT2_T3_mT4_P12ihipStream_tbEUlmE_lEESB_NS0_8identityIvEEEESM_SP_SQ_mSR_ST_bEUlT_E_NS1_11comp_targetILNS1_3genE3ELNS1_11target_archE908ELNS1_3gpuE7ELNS1_3repE0EEENS1_30default_config_static_selectorELNS0_4arch9wavefront6targetE0EEEvT1_
	.p2align	8
	.type	_ZN7rocprim17ROCPRIM_400000_NS6detail17trampoline_kernelINS0_14default_configENS1_25transform_config_selectorIlLb0EEEZNS1_14transform_implILb0ES3_S5_NS0_18transform_iteratorINS0_17counting_iteratorImlEEZNS1_24adjacent_difference_implIS3_Lb1ELb0EPlSB_ZN2at6native12_GLOBAL__N_124unique_dim_cuda_templateIjEESt5tupleIJNSC_6TensorESH_SH_EERKSH_lbbbEUlllE1_EE10hipError_tPvRmT2_T3_mT4_P12ihipStream_tbEUlmE_lEESB_NS0_8identityIvEEEESM_SP_SQ_mSR_ST_bEUlT_E_NS1_11comp_targetILNS1_3genE3ELNS1_11target_archE908ELNS1_3gpuE7ELNS1_3repE0EEENS1_30default_config_static_selectorELNS0_4arch9wavefront6targetE0EEEvT1_,@function
_ZN7rocprim17ROCPRIM_400000_NS6detail17trampoline_kernelINS0_14default_configENS1_25transform_config_selectorIlLb0EEEZNS1_14transform_implILb0ES3_S5_NS0_18transform_iteratorINS0_17counting_iteratorImlEEZNS1_24adjacent_difference_implIS3_Lb1ELb0EPlSB_ZN2at6native12_GLOBAL__N_124unique_dim_cuda_templateIjEESt5tupleIJNSC_6TensorESH_SH_EERKSH_lbbbEUlllE1_EE10hipError_tPvRmT2_T3_mT4_P12ihipStream_tbEUlmE_lEESB_NS0_8identityIvEEEESM_SP_SQ_mSR_ST_bEUlT_E_NS1_11comp_targetILNS1_3genE3ELNS1_11target_archE908ELNS1_3gpuE7ELNS1_3repE0EEENS1_30default_config_static_selectorELNS0_4arch9wavefront6targetE0EEEvT1_: ; @_ZN7rocprim17ROCPRIM_400000_NS6detail17trampoline_kernelINS0_14default_configENS1_25transform_config_selectorIlLb0EEEZNS1_14transform_implILb0ES3_S5_NS0_18transform_iteratorINS0_17counting_iteratorImlEEZNS1_24adjacent_difference_implIS3_Lb1ELb0EPlSB_ZN2at6native12_GLOBAL__N_124unique_dim_cuda_templateIjEESt5tupleIJNSC_6TensorESH_SH_EERKSH_lbbbEUlllE1_EE10hipError_tPvRmT2_T3_mT4_P12ihipStream_tbEUlmE_lEESB_NS0_8identityIvEEEESM_SP_SQ_mSR_ST_bEUlT_E_NS1_11comp_targetILNS1_3genE3ELNS1_11target_archE908ELNS1_3gpuE7ELNS1_3repE0EEENS1_30default_config_static_selectorELNS0_4arch9wavefront6targetE0EEEvT1_
; %bb.0:
	.section	.rodata,"a",@progbits
	.p2align	6, 0x0
	.amdhsa_kernel _ZN7rocprim17ROCPRIM_400000_NS6detail17trampoline_kernelINS0_14default_configENS1_25transform_config_selectorIlLb0EEEZNS1_14transform_implILb0ES3_S5_NS0_18transform_iteratorINS0_17counting_iteratorImlEEZNS1_24adjacent_difference_implIS3_Lb1ELb0EPlSB_ZN2at6native12_GLOBAL__N_124unique_dim_cuda_templateIjEESt5tupleIJNSC_6TensorESH_SH_EERKSH_lbbbEUlllE1_EE10hipError_tPvRmT2_T3_mT4_P12ihipStream_tbEUlmE_lEESB_NS0_8identityIvEEEESM_SP_SQ_mSR_ST_bEUlT_E_NS1_11comp_targetILNS1_3genE3ELNS1_11target_archE908ELNS1_3gpuE7ELNS1_3repE0EEENS1_30default_config_static_selectorELNS0_4arch9wavefront6targetE0EEEvT1_
		.amdhsa_group_segment_fixed_size 0
		.amdhsa_private_segment_fixed_size 0
		.amdhsa_kernarg_size 56
		.amdhsa_user_sgpr_count 15
		.amdhsa_user_sgpr_dispatch_ptr 0
		.amdhsa_user_sgpr_queue_ptr 0
		.amdhsa_user_sgpr_kernarg_segment_ptr 1
		.amdhsa_user_sgpr_dispatch_id 0
		.amdhsa_user_sgpr_private_segment_size 0
		.amdhsa_wavefront_size32 1
		.amdhsa_uses_dynamic_stack 0
		.amdhsa_enable_private_segment 0
		.amdhsa_system_sgpr_workgroup_id_x 1
		.amdhsa_system_sgpr_workgroup_id_y 0
		.amdhsa_system_sgpr_workgroup_id_z 0
		.amdhsa_system_sgpr_workgroup_info 0
		.amdhsa_system_vgpr_workitem_id 0
		.amdhsa_next_free_vgpr 1
		.amdhsa_next_free_sgpr 1
		.amdhsa_reserve_vcc 0
		.amdhsa_float_round_mode_32 0
		.amdhsa_float_round_mode_16_64 0
		.amdhsa_float_denorm_mode_32 3
		.amdhsa_float_denorm_mode_16_64 3
		.amdhsa_dx10_clamp 1
		.amdhsa_ieee_mode 1
		.amdhsa_fp16_overflow 0
		.amdhsa_workgroup_processor_mode 1
		.amdhsa_memory_ordered 1
		.amdhsa_forward_progress 0
		.amdhsa_shared_vgpr_count 0
		.amdhsa_exception_fp_ieee_invalid_op 0
		.amdhsa_exception_fp_denorm_src 0
		.amdhsa_exception_fp_ieee_div_zero 0
		.amdhsa_exception_fp_ieee_overflow 0
		.amdhsa_exception_fp_ieee_underflow 0
		.amdhsa_exception_fp_ieee_inexact 0
		.amdhsa_exception_int_div_zero 0
	.end_amdhsa_kernel
	.section	.text._ZN7rocprim17ROCPRIM_400000_NS6detail17trampoline_kernelINS0_14default_configENS1_25transform_config_selectorIlLb0EEEZNS1_14transform_implILb0ES3_S5_NS0_18transform_iteratorINS0_17counting_iteratorImlEEZNS1_24adjacent_difference_implIS3_Lb1ELb0EPlSB_ZN2at6native12_GLOBAL__N_124unique_dim_cuda_templateIjEESt5tupleIJNSC_6TensorESH_SH_EERKSH_lbbbEUlllE1_EE10hipError_tPvRmT2_T3_mT4_P12ihipStream_tbEUlmE_lEESB_NS0_8identityIvEEEESM_SP_SQ_mSR_ST_bEUlT_E_NS1_11comp_targetILNS1_3genE3ELNS1_11target_archE908ELNS1_3gpuE7ELNS1_3repE0EEENS1_30default_config_static_selectorELNS0_4arch9wavefront6targetE0EEEvT1_,"axG",@progbits,_ZN7rocprim17ROCPRIM_400000_NS6detail17trampoline_kernelINS0_14default_configENS1_25transform_config_selectorIlLb0EEEZNS1_14transform_implILb0ES3_S5_NS0_18transform_iteratorINS0_17counting_iteratorImlEEZNS1_24adjacent_difference_implIS3_Lb1ELb0EPlSB_ZN2at6native12_GLOBAL__N_124unique_dim_cuda_templateIjEESt5tupleIJNSC_6TensorESH_SH_EERKSH_lbbbEUlllE1_EE10hipError_tPvRmT2_T3_mT4_P12ihipStream_tbEUlmE_lEESB_NS0_8identityIvEEEESM_SP_SQ_mSR_ST_bEUlT_E_NS1_11comp_targetILNS1_3genE3ELNS1_11target_archE908ELNS1_3gpuE7ELNS1_3repE0EEENS1_30default_config_static_selectorELNS0_4arch9wavefront6targetE0EEEvT1_,comdat
.Lfunc_end1525:
	.size	_ZN7rocprim17ROCPRIM_400000_NS6detail17trampoline_kernelINS0_14default_configENS1_25transform_config_selectorIlLb0EEEZNS1_14transform_implILb0ES3_S5_NS0_18transform_iteratorINS0_17counting_iteratorImlEEZNS1_24adjacent_difference_implIS3_Lb1ELb0EPlSB_ZN2at6native12_GLOBAL__N_124unique_dim_cuda_templateIjEESt5tupleIJNSC_6TensorESH_SH_EERKSH_lbbbEUlllE1_EE10hipError_tPvRmT2_T3_mT4_P12ihipStream_tbEUlmE_lEESB_NS0_8identityIvEEEESM_SP_SQ_mSR_ST_bEUlT_E_NS1_11comp_targetILNS1_3genE3ELNS1_11target_archE908ELNS1_3gpuE7ELNS1_3repE0EEENS1_30default_config_static_selectorELNS0_4arch9wavefront6targetE0EEEvT1_, .Lfunc_end1525-_ZN7rocprim17ROCPRIM_400000_NS6detail17trampoline_kernelINS0_14default_configENS1_25transform_config_selectorIlLb0EEEZNS1_14transform_implILb0ES3_S5_NS0_18transform_iteratorINS0_17counting_iteratorImlEEZNS1_24adjacent_difference_implIS3_Lb1ELb0EPlSB_ZN2at6native12_GLOBAL__N_124unique_dim_cuda_templateIjEESt5tupleIJNSC_6TensorESH_SH_EERKSH_lbbbEUlllE1_EE10hipError_tPvRmT2_T3_mT4_P12ihipStream_tbEUlmE_lEESB_NS0_8identityIvEEEESM_SP_SQ_mSR_ST_bEUlT_E_NS1_11comp_targetILNS1_3genE3ELNS1_11target_archE908ELNS1_3gpuE7ELNS1_3repE0EEENS1_30default_config_static_selectorELNS0_4arch9wavefront6targetE0EEEvT1_
                                        ; -- End function
	.section	.AMDGPU.csdata,"",@progbits
; Kernel info:
; codeLenInByte = 0
; NumSgprs: 0
; NumVgprs: 0
; ScratchSize: 0
; MemoryBound: 0
; FloatMode: 240
; IeeeMode: 1
; LDSByteSize: 0 bytes/workgroup (compile time only)
; SGPRBlocks: 0
; VGPRBlocks: 0
; NumSGPRsForWavesPerEU: 1
; NumVGPRsForWavesPerEU: 1
; Occupancy: 16
; WaveLimiterHint : 0
; COMPUTE_PGM_RSRC2:SCRATCH_EN: 0
; COMPUTE_PGM_RSRC2:USER_SGPR: 15
; COMPUTE_PGM_RSRC2:TRAP_HANDLER: 0
; COMPUTE_PGM_RSRC2:TGID_X_EN: 1
; COMPUTE_PGM_RSRC2:TGID_Y_EN: 0
; COMPUTE_PGM_RSRC2:TGID_Z_EN: 0
; COMPUTE_PGM_RSRC2:TIDIG_COMP_CNT: 0
	.section	.text._ZN7rocprim17ROCPRIM_400000_NS6detail17trampoline_kernelINS0_14default_configENS1_25transform_config_selectorIlLb0EEEZNS1_14transform_implILb0ES3_S5_NS0_18transform_iteratorINS0_17counting_iteratorImlEEZNS1_24adjacent_difference_implIS3_Lb1ELb0EPlSB_ZN2at6native12_GLOBAL__N_124unique_dim_cuda_templateIjEESt5tupleIJNSC_6TensorESH_SH_EERKSH_lbbbEUlllE1_EE10hipError_tPvRmT2_T3_mT4_P12ihipStream_tbEUlmE_lEESB_NS0_8identityIvEEEESM_SP_SQ_mSR_ST_bEUlT_E_NS1_11comp_targetILNS1_3genE2ELNS1_11target_archE906ELNS1_3gpuE6ELNS1_3repE0EEENS1_30default_config_static_selectorELNS0_4arch9wavefront6targetE0EEEvT1_,"axG",@progbits,_ZN7rocprim17ROCPRIM_400000_NS6detail17trampoline_kernelINS0_14default_configENS1_25transform_config_selectorIlLb0EEEZNS1_14transform_implILb0ES3_S5_NS0_18transform_iteratorINS0_17counting_iteratorImlEEZNS1_24adjacent_difference_implIS3_Lb1ELb0EPlSB_ZN2at6native12_GLOBAL__N_124unique_dim_cuda_templateIjEESt5tupleIJNSC_6TensorESH_SH_EERKSH_lbbbEUlllE1_EE10hipError_tPvRmT2_T3_mT4_P12ihipStream_tbEUlmE_lEESB_NS0_8identityIvEEEESM_SP_SQ_mSR_ST_bEUlT_E_NS1_11comp_targetILNS1_3genE2ELNS1_11target_archE906ELNS1_3gpuE6ELNS1_3repE0EEENS1_30default_config_static_selectorELNS0_4arch9wavefront6targetE0EEEvT1_,comdat
	.globl	_ZN7rocprim17ROCPRIM_400000_NS6detail17trampoline_kernelINS0_14default_configENS1_25transform_config_selectorIlLb0EEEZNS1_14transform_implILb0ES3_S5_NS0_18transform_iteratorINS0_17counting_iteratorImlEEZNS1_24adjacent_difference_implIS3_Lb1ELb0EPlSB_ZN2at6native12_GLOBAL__N_124unique_dim_cuda_templateIjEESt5tupleIJNSC_6TensorESH_SH_EERKSH_lbbbEUlllE1_EE10hipError_tPvRmT2_T3_mT4_P12ihipStream_tbEUlmE_lEESB_NS0_8identityIvEEEESM_SP_SQ_mSR_ST_bEUlT_E_NS1_11comp_targetILNS1_3genE2ELNS1_11target_archE906ELNS1_3gpuE6ELNS1_3repE0EEENS1_30default_config_static_selectorELNS0_4arch9wavefront6targetE0EEEvT1_ ; -- Begin function _ZN7rocprim17ROCPRIM_400000_NS6detail17trampoline_kernelINS0_14default_configENS1_25transform_config_selectorIlLb0EEEZNS1_14transform_implILb0ES3_S5_NS0_18transform_iteratorINS0_17counting_iteratorImlEEZNS1_24adjacent_difference_implIS3_Lb1ELb0EPlSB_ZN2at6native12_GLOBAL__N_124unique_dim_cuda_templateIjEESt5tupleIJNSC_6TensorESH_SH_EERKSH_lbbbEUlllE1_EE10hipError_tPvRmT2_T3_mT4_P12ihipStream_tbEUlmE_lEESB_NS0_8identityIvEEEESM_SP_SQ_mSR_ST_bEUlT_E_NS1_11comp_targetILNS1_3genE2ELNS1_11target_archE906ELNS1_3gpuE6ELNS1_3repE0EEENS1_30default_config_static_selectorELNS0_4arch9wavefront6targetE0EEEvT1_
	.p2align	8
	.type	_ZN7rocprim17ROCPRIM_400000_NS6detail17trampoline_kernelINS0_14default_configENS1_25transform_config_selectorIlLb0EEEZNS1_14transform_implILb0ES3_S5_NS0_18transform_iteratorINS0_17counting_iteratorImlEEZNS1_24adjacent_difference_implIS3_Lb1ELb0EPlSB_ZN2at6native12_GLOBAL__N_124unique_dim_cuda_templateIjEESt5tupleIJNSC_6TensorESH_SH_EERKSH_lbbbEUlllE1_EE10hipError_tPvRmT2_T3_mT4_P12ihipStream_tbEUlmE_lEESB_NS0_8identityIvEEEESM_SP_SQ_mSR_ST_bEUlT_E_NS1_11comp_targetILNS1_3genE2ELNS1_11target_archE906ELNS1_3gpuE6ELNS1_3repE0EEENS1_30default_config_static_selectorELNS0_4arch9wavefront6targetE0EEEvT1_,@function
_ZN7rocprim17ROCPRIM_400000_NS6detail17trampoline_kernelINS0_14default_configENS1_25transform_config_selectorIlLb0EEEZNS1_14transform_implILb0ES3_S5_NS0_18transform_iteratorINS0_17counting_iteratorImlEEZNS1_24adjacent_difference_implIS3_Lb1ELb0EPlSB_ZN2at6native12_GLOBAL__N_124unique_dim_cuda_templateIjEESt5tupleIJNSC_6TensorESH_SH_EERKSH_lbbbEUlllE1_EE10hipError_tPvRmT2_T3_mT4_P12ihipStream_tbEUlmE_lEESB_NS0_8identityIvEEEESM_SP_SQ_mSR_ST_bEUlT_E_NS1_11comp_targetILNS1_3genE2ELNS1_11target_archE906ELNS1_3gpuE6ELNS1_3repE0EEENS1_30default_config_static_selectorELNS0_4arch9wavefront6targetE0EEEvT1_: ; @_ZN7rocprim17ROCPRIM_400000_NS6detail17trampoline_kernelINS0_14default_configENS1_25transform_config_selectorIlLb0EEEZNS1_14transform_implILb0ES3_S5_NS0_18transform_iteratorINS0_17counting_iteratorImlEEZNS1_24adjacent_difference_implIS3_Lb1ELb0EPlSB_ZN2at6native12_GLOBAL__N_124unique_dim_cuda_templateIjEESt5tupleIJNSC_6TensorESH_SH_EERKSH_lbbbEUlllE1_EE10hipError_tPvRmT2_T3_mT4_P12ihipStream_tbEUlmE_lEESB_NS0_8identityIvEEEESM_SP_SQ_mSR_ST_bEUlT_E_NS1_11comp_targetILNS1_3genE2ELNS1_11target_archE906ELNS1_3gpuE6ELNS1_3repE0EEENS1_30default_config_static_selectorELNS0_4arch9wavefront6targetE0EEEvT1_
; %bb.0:
	.section	.rodata,"a",@progbits
	.p2align	6, 0x0
	.amdhsa_kernel _ZN7rocprim17ROCPRIM_400000_NS6detail17trampoline_kernelINS0_14default_configENS1_25transform_config_selectorIlLb0EEEZNS1_14transform_implILb0ES3_S5_NS0_18transform_iteratorINS0_17counting_iteratorImlEEZNS1_24adjacent_difference_implIS3_Lb1ELb0EPlSB_ZN2at6native12_GLOBAL__N_124unique_dim_cuda_templateIjEESt5tupleIJNSC_6TensorESH_SH_EERKSH_lbbbEUlllE1_EE10hipError_tPvRmT2_T3_mT4_P12ihipStream_tbEUlmE_lEESB_NS0_8identityIvEEEESM_SP_SQ_mSR_ST_bEUlT_E_NS1_11comp_targetILNS1_3genE2ELNS1_11target_archE906ELNS1_3gpuE6ELNS1_3repE0EEENS1_30default_config_static_selectorELNS0_4arch9wavefront6targetE0EEEvT1_
		.amdhsa_group_segment_fixed_size 0
		.amdhsa_private_segment_fixed_size 0
		.amdhsa_kernarg_size 56
		.amdhsa_user_sgpr_count 15
		.amdhsa_user_sgpr_dispatch_ptr 0
		.amdhsa_user_sgpr_queue_ptr 0
		.amdhsa_user_sgpr_kernarg_segment_ptr 1
		.amdhsa_user_sgpr_dispatch_id 0
		.amdhsa_user_sgpr_private_segment_size 0
		.amdhsa_wavefront_size32 1
		.amdhsa_uses_dynamic_stack 0
		.amdhsa_enable_private_segment 0
		.amdhsa_system_sgpr_workgroup_id_x 1
		.amdhsa_system_sgpr_workgroup_id_y 0
		.amdhsa_system_sgpr_workgroup_id_z 0
		.amdhsa_system_sgpr_workgroup_info 0
		.amdhsa_system_vgpr_workitem_id 0
		.amdhsa_next_free_vgpr 1
		.amdhsa_next_free_sgpr 1
		.amdhsa_reserve_vcc 0
		.amdhsa_float_round_mode_32 0
		.amdhsa_float_round_mode_16_64 0
		.amdhsa_float_denorm_mode_32 3
		.amdhsa_float_denorm_mode_16_64 3
		.amdhsa_dx10_clamp 1
		.amdhsa_ieee_mode 1
		.amdhsa_fp16_overflow 0
		.amdhsa_workgroup_processor_mode 1
		.amdhsa_memory_ordered 1
		.amdhsa_forward_progress 0
		.amdhsa_shared_vgpr_count 0
		.amdhsa_exception_fp_ieee_invalid_op 0
		.amdhsa_exception_fp_denorm_src 0
		.amdhsa_exception_fp_ieee_div_zero 0
		.amdhsa_exception_fp_ieee_overflow 0
		.amdhsa_exception_fp_ieee_underflow 0
		.amdhsa_exception_fp_ieee_inexact 0
		.amdhsa_exception_int_div_zero 0
	.end_amdhsa_kernel
	.section	.text._ZN7rocprim17ROCPRIM_400000_NS6detail17trampoline_kernelINS0_14default_configENS1_25transform_config_selectorIlLb0EEEZNS1_14transform_implILb0ES3_S5_NS0_18transform_iteratorINS0_17counting_iteratorImlEEZNS1_24adjacent_difference_implIS3_Lb1ELb0EPlSB_ZN2at6native12_GLOBAL__N_124unique_dim_cuda_templateIjEESt5tupleIJNSC_6TensorESH_SH_EERKSH_lbbbEUlllE1_EE10hipError_tPvRmT2_T3_mT4_P12ihipStream_tbEUlmE_lEESB_NS0_8identityIvEEEESM_SP_SQ_mSR_ST_bEUlT_E_NS1_11comp_targetILNS1_3genE2ELNS1_11target_archE906ELNS1_3gpuE6ELNS1_3repE0EEENS1_30default_config_static_selectorELNS0_4arch9wavefront6targetE0EEEvT1_,"axG",@progbits,_ZN7rocprim17ROCPRIM_400000_NS6detail17trampoline_kernelINS0_14default_configENS1_25transform_config_selectorIlLb0EEEZNS1_14transform_implILb0ES3_S5_NS0_18transform_iteratorINS0_17counting_iteratorImlEEZNS1_24adjacent_difference_implIS3_Lb1ELb0EPlSB_ZN2at6native12_GLOBAL__N_124unique_dim_cuda_templateIjEESt5tupleIJNSC_6TensorESH_SH_EERKSH_lbbbEUlllE1_EE10hipError_tPvRmT2_T3_mT4_P12ihipStream_tbEUlmE_lEESB_NS0_8identityIvEEEESM_SP_SQ_mSR_ST_bEUlT_E_NS1_11comp_targetILNS1_3genE2ELNS1_11target_archE906ELNS1_3gpuE6ELNS1_3repE0EEENS1_30default_config_static_selectorELNS0_4arch9wavefront6targetE0EEEvT1_,comdat
.Lfunc_end1526:
	.size	_ZN7rocprim17ROCPRIM_400000_NS6detail17trampoline_kernelINS0_14default_configENS1_25transform_config_selectorIlLb0EEEZNS1_14transform_implILb0ES3_S5_NS0_18transform_iteratorINS0_17counting_iteratorImlEEZNS1_24adjacent_difference_implIS3_Lb1ELb0EPlSB_ZN2at6native12_GLOBAL__N_124unique_dim_cuda_templateIjEESt5tupleIJNSC_6TensorESH_SH_EERKSH_lbbbEUlllE1_EE10hipError_tPvRmT2_T3_mT4_P12ihipStream_tbEUlmE_lEESB_NS0_8identityIvEEEESM_SP_SQ_mSR_ST_bEUlT_E_NS1_11comp_targetILNS1_3genE2ELNS1_11target_archE906ELNS1_3gpuE6ELNS1_3repE0EEENS1_30default_config_static_selectorELNS0_4arch9wavefront6targetE0EEEvT1_, .Lfunc_end1526-_ZN7rocprim17ROCPRIM_400000_NS6detail17trampoline_kernelINS0_14default_configENS1_25transform_config_selectorIlLb0EEEZNS1_14transform_implILb0ES3_S5_NS0_18transform_iteratorINS0_17counting_iteratorImlEEZNS1_24adjacent_difference_implIS3_Lb1ELb0EPlSB_ZN2at6native12_GLOBAL__N_124unique_dim_cuda_templateIjEESt5tupleIJNSC_6TensorESH_SH_EERKSH_lbbbEUlllE1_EE10hipError_tPvRmT2_T3_mT4_P12ihipStream_tbEUlmE_lEESB_NS0_8identityIvEEEESM_SP_SQ_mSR_ST_bEUlT_E_NS1_11comp_targetILNS1_3genE2ELNS1_11target_archE906ELNS1_3gpuE6ELNS1_3repE0EEENS1_30default_config_static_selectorELNS0_4arch9wavefront6targetE0EEEvT1_
                                        ; -- End function
	.section	.AMDGPU.csdata,"",@progbits
; Kernel info:
; codeLenInByte = 0
; NumSgprs: 0
; NumVgprs: 0
; ScratchSize: 0
; MemoryBound: 0
; FloatMode: 240
; IeeeMode: 1
; LDSByteSize: 0 bytes/workgroup (compile time only)
; SGPRBlocks: 0
; VGPRBlocks: 0
; NumSGPRsForWavesPerEU: 1
; NumVGPRsForWavesPerEU: 1
; Occupancy: 16
; WaveLimiterHint : 0
; COMPUTE_PGM_RSRC2:SCRATCH_EN: 0
; COMPUTE_PGM_RSRC2:USER_SGPR: 15
; COMPUTE_PGM_RSRC2:TRAP_HANDLER: 0
; COMPUTE_PGM_RSRC2:TGID_X_EN: 1
; COMPUTE_PGM_RSRC2:TGID_Y_EN: 0
; COMPUTE_PGM_RSRC2:TGID_Z_EN: 0
; COMPUTE_PGM_RSRC2:TIDIG_COMP_CNT: 0
	.section	.text._ZN7rocprim17ROCPRIM_400000_NS6detail17trampoline_kernelINS0_14default_configENS1_25transform_config_selectorIlLb0EEEZNS1_14transform_implILb0ES3_S5_NS0_18transform_iteratorINS0_17counting_iteratorImlEEZNS1_24adjacent_difference_implIS3_Lb1ELb0EPlSB_ZN2at6native12_GLOBAL__N_124unique_dim_cuda_templateIjEESt5tupleIJNSC_6TensorESH_SH_EERKSH_lbbbEUlllE1_EE10hipError_tPvRmT2_T3_mT4_P12ihipStream_tbEUlmE_lEESB_NS0_8identityIvEEEESM_SP_SQ_mSR_ST_bEUlT_E_NS1_11comp_targetILNS1_3genE10ELNS1_11target_archE1201ELNS1_3gpuE5ELNS1_3repE0EEENS1_30default_config_static_selectorELNS0_4arch9wavefront6targetE0EEEvT1_,"axG",@progbits,_ZN7rocprim17ROCPRIM_400000_NS6detail17trampoline_kernelINS0_14default_configENS1_25transform_config_selectorIlLb0EEEZNS1_14transform_implILb0ES3_S5_NS0_18transform_iteratorINS0_17counting_iteratorImlEEZNS1_24adjacent_difference_implIS3_Lb1ELb0EPlSB_ZN2at6native12_GLOBAL__N_124unique_dim_cuda_templateIjEESt5tupleIJNSC_6TensorESH_SH_EERKSH_lbbbEUlllE1_EE10hipError_tPvRmT2_T3_mT4_P12ihipStream_tbEUlmE_lEESB_NS0_8identityIvEEEESM_SP_SQ_mSR_ST_bEUlT_E_NS1_11comp_targetILNS1_3genE10ELNS1_11target_archE1201ELNS1_3gpuE5ELNS1_3repE0EEENS1_30default_config_static_selectorELNS0_4arch9wavefront6targetE0EEEvT1_,comdat
	.globl	_ZN7rocprim17ROCPRIM_400000_NS6detail17trampoline_kernelINS0_14default_configENS1_25transform_config_selectorIlLb0EEEZNS1_14transform_implILb0ES3_S5_NS0_18transform_iteratorINS0_17counting_iteratorImlEEZNS1_24adjacent_difference_implIS3_Lb1ELb0EPlSB_ZN2at6native12_GLOBAL__N_124unique_dim_cuda_templateIjEESt5tupleIJNSC_6TensorESH_SH_EERKSH_lbbbEUlllE1_EE10hipError_tPvRmT2_T3_mT4_P12ihipStream_tbEUlmE_lEESB_NS0_8identityIvEEEESM_SP_SQ_mSR_ST_bEUlT_E_NS1_11comp_targetILNS1_3genE10ELNS1_11target_archE1201ELNS1_3gpuE5ELNS1_3repE0EEENS1_30default_config_static_selectorELNS0_4arch9wavefront6targetE0EEEvT1_ ; -- Begin function _ZN7rocprim17ROCPRIM_400000_NS6detail17trampoline_kernelINS0_14default_configENS1_25transform_config_selectorIlLb0EEEZNS1_14transform_implILb0ES3_S5_NS0_18transform_iteratorINS0_17counting_iteratorImlEEZNS1_24adjacent_difference_implIS3_Lb1ELb0EPlSB_ZN2at6native12_GLOBAL__N_124unique_dim_cuda_templateIjEESt5tupleIJNSC_6TensorESH_SH_EERKSH_lbbbEUlllE1_EE10hipError_tPvRmT2_T3_mT4_P12ihipStream_tbEUlmE_lEESB_NS0_8identityIvEEEESM_SP_SQ_mSR_ST_bEUlT_E_NS1_11comp_targetILNS1_3genE10ELNS1_11target_archE1201ELNS1_3gpuE5ELNS1_3repE0EEENS1_30default_config_static_selectorELNS0_4arch9wavefront6targetE0EEEvT1_
	.p2align	8
	.type	_ZN7rocprim17ROCPRIM_400000_NS6detail17trampoline_kernelINS0_14default_configENS1_25transform_config_selectorIlLb0EEEZNS1_14transform_implILb0ES3_S5_NS0_18transform_iteratorINS0_17counting_iteratorImlEEZNS1_24adjacent_difference_implIS3_Lb1ELb0EPlSB_ZN2at6native12_GLOBAL__N_124unique_dim_cuda_templateIjEESt5tupleIJNSC_6TensorESH_SH_EERKSH_lbbbEUlllE1_EE10hipError_tPvRmT2_T3_mT4_P12ihipStream_tbEUlmE_lEESB_NS0_8identityIvEEEESM_SP_SQ_mSR_ST_bEUlT_E_NS1_11comp_targetILNS1_3genE10ELNS1_11target_archE1201ELNS1_3gpuE5ELNS1_3repE0EEENS1_30default_config_static_selectorELNS0_4arch9wavefront6targetE0EEEvT1_,@function
_ZN7rocprim17ROCPRIM_400000_NS6detail17trampoline_kernelINS0_14default_configENS1_25transform_config_selectorIlLb0EEEZNS1_14transform_implILb0ES3_S5_NS0_18transform_iteratorINS0_17counting_iteratorImlEEZNS1_24adjacent_difference_implIS3_Lb1ELb0EPlSB_ZN2at6native12_GLOBAL__N_124unique_dim_cuda_templateIjEESt5tupleIJNSC_6TensorESH_SH_EERKSH_lbbbEUlllE1_EE10hipError_tPvRmT2_T3_mT4_P12ihipStream_tbEUlmE_lEESB_NS0_8identityIvEEEESM_SP_SQ_mSR_ST_bEUlT_E_NS1_11comp_targetILNS1_3genE10ELNS1_11target_archE1201ELNS1_3gpuE5ELNS1_3repE0EEENS1_30default_config_static_selectorELNS0_4arch9wavefront6targetE0EEEvT1_: ; @_ZN7rocprim17ROCPRIM_400000_NS6detail17trampoline_kernelINS0_14default_configENS1_25transform_config_selectorIlLb0EEEZNS1_14transform_implILb0ES3_S5_NS0_18transform_iteratorINS0_17counting_iteratorImlEEZNS1_24adjacent_difference_implIS3_Lb1ELb0EPlSB_ZN2at6native12_GLOBAL__N_124unique_dim_cuda_templateIjEESt5tupleIJNSC_6TensorESH_SH_EERKSH_lbbbEUlllE1_EE10hipError_tPvRmT2_T3_mT4_P12ihipStream_tbEUlmE_lEESB_NS0_8identityIvEEEESM_SP_SQ_mSR_ST_bEUlT_E_NS1_11comp_targetILNS1_3genE10ELNS1_11target_archE1201ELNS1_3gpuE5ELNS1_3repE0EEENS1_30default_config_static_selectorELNS0_4arch9wavefront6targetE0EEEvT1_
; %bb.0:
	.section	.rodata,"a",@progbits
	.p2align	6, 0x0
	.amdhsa_kernel _ZN7rocprim17ROCPRIM_400000_NS6detail17trampoline_kernelINS0_14default_configENS1_25transform_config_selectorIlLb0EEEZNS1_14transform_implILb0ES3_S5_NS0_18transform_iteratorINS0_17counting_iteratorImlEEZNS1_24adjacent_difference_implIS3_Lb1ELb0EPlSB_ZN2at6native12_GLOBAL__N_124unique_dim_cuda_templateIjEESt5tupleIJNSC_6TensorESH_SH_EERKSH_lbbbEUlllE1_EE10hipError_tPvRmT2_T3_mT4_P12ihipStream_tbEUlmE_lEESB_NS0_8identityIvEEEESM_SP_SQ_mSR_ST_bEUlT_E_NS1_11comp_targetILNS1_3genE10ELNS1_11target_archE1201ELNS1_3gpuE5ELNS1_3repE0EEENS1_30default_config_static_selectorELNS0_4arch9wavefront6targetE0EEEvT1_
		.amdhsa_group_segment_fixed_size 0
		.amdhsa_private_segment_fixed_size 0
		.amdhsa_kernarg_size 56
		.amdhsa_user_sgpr_count 15
		.amdhsa_user_sgpr_dispatch_ptr 0
		.amdhsa_user_sgpr_queue_ptr 0
		.amdhsa_user_sgpr_kernarg_segment_ptr 1
		.amdhsa_user_sgpr_dispatch_id 0
		.amdhsa_user_sgpr_private_segment_size 0
		.amdhsa_wavefront_size32 1
		.amdhsa_uses_dynamic_stack 0
		.amdhsa_enable_private_segment 0
		.amdhsa_system_sgpr_workgroup_id_x 1
		.amdhsa_system_sgpr_workgroup_id_y 0
		.amdhsa_system_sgpr_workgroup_id_z 0
		.amdhsa_system_sgpr_workgroup_info 0
		.amdhsa_system_vgpr_workitem_id 0
		.amdhsa_next_free_vgpr 1
		.amdhsa_next_free_sgpr 1
		.amdhsa_reserve_vcc 0
		.amdhsa_float_round_mode_32 0
		.amdhsa_float_round_mode_16_64 0
		.amdhsa_float_denorm_mode_32 3
		.amdhsa_float_denorm_mode_16_64 3
		.amdhsa_dx10_clamp 1
		.amdhsa_ieee_mode 1
		.amdhsa_fp16_overflow 0
		.amdhsa_workgroup_processor_mode 1
		.amdhsa_memory_ordered 1
		.amdhsa_forward_progress 0
		.amdhsa_shared_vgpr_count 0
		.amdhsa_exception_fp_ieee_invalid_op 0
		.amdhsa_exception_fp_denorm_src 0
		.amdhsa_exception_fp_ieee_div_zero 0
		.amdhsa_exception_fp_ieee_overflow 0
		.amdhsa_exception_fp_ieee_underflow 0
		.amdhsa_exception_fp_ieee_inexact 0
		.amdhsa_exception_int_div_zero 0
	.end_amdhsa_kernel
	.section	.text._ZN7rocprim17ROCPRIM_400000_NS6detail17trampoline_kernelINS0_14default_configENS1_25transform_config_selectorIlLb0EEEZNS1_14transform_implILb0ES3_S5_NS0_18transform_iteratorINS0_17counting_iteratorImlEEZNS1_24adjacent_difference_implIS3_Lb1ELb0EPlSB_ZN2at6native12_GLOBAL__N_124unique_dim_cuda_templateIjEESt5tupleIJNSC_6TensorESH_SH_EERKSH_lbbbEUlllE1_EE10hipError_tPvRmT2_T3_mT4_P12ihipStream_tbEUlmE_lEESB_NS0_8identityIvEEEESM_SP_SQ_mSR_ST_bEUlT_E_NS1_11comp_targetILNS1_3genE10ELNS1_11target_archE1201ELNS1_3gpuE5ELNS1_3repE0EEENS1_30default_config_static_selectorELNS0_4arch9wavefront6targetE0EEEvT1_,"axG",@progbits,_ZN7rocprim17ROCPRIM_400000_NS6detail17trampoline_kernelINS0_14default_configENS1_25transform_config_selectorIlLb0EEEZNS1_14transform_implILb0ES3_S5_NS0_18transform_iteratorINS0_17counting_iteratorImlEEZNS1_24adjacent_difference_implIS3_Lb1ELb0EPlSB_ZN2at6native12_GLOBAL__N_124unique_dim_cuda_templateIjEESt5tupleIJNSC_6TensorESH_SH_EERKSH_lbbbEUlllE1_EE10hipError_tPvRmT2_T3_mT4_P12ihipStream_tbEUlmE_lEESB_NS0_8identityIvEEEESM_SP_SQ_mSR_ST_bEUlT_E_NS1_11comp_targetILNS1_3genE10ELNS1_11target_archE1201ELNS1_3gpuE5ELNS1_3repE0EEENS1_30default_config_static_selectorELNS0_4arch9wavefront6targetE0EEEvT1_,comdat
.Lfunc_end1527:
	.size	_ZN7rocprim17ROCPRIM_400000_NS6detail17trampoline_kernelINS0_14default_configENS1_25transform_config_selectorIlLb0EEEZNS1_14transform_implILb0ES3_S5_NS0_18transform_iteratorINS0_17counting_iteratorImlEEZNS1_24adjacent_difference_implIS3_Lb1ELb0EPlSB_ZN2at6native12_GLOBAL__N_124unique_dim_cuda_templateIjEESt5tupleIJNSC_6TensorESH_SH_EERKSH_lbbbEUlllE1_EE10hipError_tPvRmT2_T3_mT4_P12ihipStream_tbEUlmE_lEESB_NS0_8identityIvEEEESM_SP_SQ_mSR_ST_bEUlT_E_NS1_11comp_targetILNS1_3genE10ELNS1_11target_archE1201ELNS1_3gpuE5ELNS1_3repE0EEENS1_30default_config_static_selectorELNS0_4arch9wavefront6targetE0EEEvT1_, .Lfunc_end1527-_ZN7rocprim17ROCPRIM_400000_NS6detail17trampoline_kernelINS0_14default_configENS1_25transform_config_selectorIlLb0EEEZNS1_14transform_implILb0ES3_S5_NS0_18transform_iteratorINS0_17counting_iteratorImlEEZNS1_24adjacent_difference_implIS3_Lb1ELb0EPlSB_ZN2at6native12_GLOBAL__N_124unique_dim_cuda_templateIjEESt5tupleIJNSC_6TensorESH_SH_EERKSH_lbbbEUlllE1_EE10hipError_tPvRmT2_T3_mT4_P12ihipStream_tbEUlmE_lEESB_NS0_8identityIvEEEESM_SP_SQ_mSR_ST_bEUlT_E_NS1_11comp_targetILNS1_3genE10ELNS1_11target_archE1201ELNS1_3gpuE5ELNS1_3repE0EEENS1_30default_config_static_selectorELNS0_4arch9wavefront6targetE0EEEvT1_
                                        ; -- End function
	.section	.AMDGPU.csdata,"",@progbits
; Kernel info:
; codeLenInByte = 0
; NumSgprs: 0
; NumVgprs: 0
; ScratchSize: 0
; MemoryBound: 0
; FloatMode: 240
; IeeeMode: 1
; LDSByteSize: 0 bytes/workgroup (compile time only)
; SGPRBlocks: 0
; VGPRBlocks: 0
; NumSGPRsForWavesPerEU: 1
; NumVGPRsForWavesPerEU: 1
; Occupancy: 16
; WaveLimiterHint : 0
; COMPUTE_PGM_RSRC2:SCRATCH_EN: 0
; COMPUTE_PGM_RSRC2:USER_SGPR: 15
; COMPUTE_PGM_RSRC2:TRAP_HANDLER: 0
; COMPUTE_PGM_RSRC2:TGID_X_EN: 1
; COMPUTE_PGM_RSRC2:TGID_Y_EN: 0
; COMPUTE_PGM_RSRC2:TGID_Z_EN: 0
; COMPUTE_PGM_RSRC2:TIDIG_COMP_CNT: 0
	.section	.text._ZN7rocprim17ROCPRIM_400000_NS6detail17trampoline_kernelINS0_14default_configENS1_25transform_config_selectorIlLb0EEEZNS1_14transform_implILb0ES3_S5_NS0_18transform_iteratorINS0_17counting_iteratorImlEEZNS1_24adjacent_difference_implIS3_Lb1ELb0EPlSB_ZN2at6native12_GLOBAL__N_124unique_dim_cuda_templateIjEESt5tupleIJNSC_6TensorESH_SH_EERKSH_lbbbEUlllE1_EE10hipError_tPvRmT2_T3_mT4_P12ihipStream_tbEUlmE_lEESB_NS0_8identityIvEEEESM_SP_SQ_mSR_ST_bEUlT_E_NS1_11comp_targetILNS1_3genE10ELNS1_11target_archE1200ELNS1_3gpuE4ELNS1_3repE0EEENS1_30default_config_static_selectorELNS0_4arch9wavefront6targetE0EEEvT1_,"axG",@progbits,_ZN7rocprim17ROCPRIM_400000_NS6detail17trampoline_kernelINS0_14default_configENS1_25transform_config_selectorIlLb0EEEZNS1_14transform_implILb0ES3_S5_NS0_18transform_iteratorINS0_17counting_iteratorImlEEZNS1_24adjacent_difference_implIS3_Lb1ELb0EPlSB_ZN2at6native12_GLOBAL__N_124unique_dim_cuda_templateIjEESt5tupleIJNSC_6TensorESH_SH_EERKSH_lbbbEUlllE1_EE10hipError_tPvRmT2_T3_mT4_P12ihipStream_tbEUlmE_lEESB_NS0_8identityIvEEEESM_SP_SQ_mSR_ST_bEUlT_E_NS1_11comp_targetILNS1_3genE10ELNS1_11target_archE1200ELNS1_3gpuE4ELNS1_3repE0EEENS1_30default_config_static_selectorELNS0_4arch9wavefront6targetE0EEEvT1_,comdat
	.globl	_ZN7rocprim17ROCPRIM_400000_NS6detail17trampoline_kernelINS0_14default_configENS1_25transform_config_selectorIlLb0EEEZNS1_14transform_implILb0ES3_S5_NS0_18transform_iteratorINS0_17counting_iteratorImlEEZNS1_24adjacent_difference_implIS3_Lb1ELb0EPlSB_ZN2at6native12_GLOBAL__N_124unique_dim_cuda_templateIjEESt5tupleIJNSC_6TensorESH_SH_EERKSH_lbbbEUlllE1_EE10hipError_tPvRmT2_T3_mT4_P12ihipStream_tbEUlmE_lEESB_NS0_8identityIvEEEESM_SP_SQ_mSR_ST_bEUlT_E_NS1_11comp_targetILNS1_3genE10ELNS1_11target_archE1200ELNS1_3gpuE4ELNS1_3repE0EEENS1_30default_config_static_selectorELNS0_4arch9wavefront6targetE0EEEvT1_ ; -- Begin function _ZN7rocprim17ROCPRIM_400000_NS6detail17trampoline_kernelINS0_14default_configENS1_25transform_config_selectorIlLb0EEEZNS1_14transform_implILb0ES3_S5_NS0_18transform_iteratorINS0_17counting_iteratorImlEEZNS1_24adjacent_difference_implIS3_Lb1ELb0EPlSB_ZN2at6native12_GLOBAL__N_124unique_dim_cuda_templateIjEESt5tupleIJNSC_6TensorESH_SH_EERKSH_lbbbEUlllE1_EE10hipError_tPvRmT2_T3_mT4_P12ihipStream_tbEUlmE_lEESB_NS0_8identityIvEEEESM_SP_SQ_mSR_ST_bEUlT_E_NS1_11comp_targetILNS1_3genE10ELNS1_11target_archE1200ELNS1_3gpuE4ELNS1_3repE0EEENS1_30default_config_static_selectorELNS0_4arch9wavefront6targetE0EEEvT1_
	.p2align	8
	.type	_ZN7rocprim17ROCPRIM_400000_NS6detail17trampoline_kernelINS0_14default_configENS1_25transform_config_selectorIlLb0EEEZNS1_14transform_implILb0ES3_S5_NS0_18transform_iteratorINS0_17counting_iteratorImlEEZNS1_24adjacent_difference_implIS3_Lb1ELb0EPlSB_ZN2at6native12_GLOBAL__N_124unique_dim_cuda_templateIjEESt5tupleIJNSC_6TensorESH_SH_EERKSH_lbbbEUlllE1_EE10hipError_tPvRmT2_T3_mT4_P12ihipStream_tbEUlmE_lEESB_NS0_8identityIvEEEESM_SP_SQ_mSR_ST_bEUlT_E_NS1_11comp_targetILNS1_3genE10ELNS1_11target_archE1200ELNS1_3gpuE4ELNS1_3repE0EEENS1_30default_config_static_selectorELNS0_4arch9wavefront6targetE0EEEvT1_,@function
_ZN7rocprim17ROCPRIM_400000_NS6detail17trampoline_kernelINS0_14default_configENS1_25transform_config_selectorIlLb0EEEZNS1_14transform_implILb0ES3_S5_NS0_18transform_iteratorINS0_17counting_iteratorImlEEZNS1_24adjacent_difference_implIS3_Lb1ELb0EPlSB_ZN2at6native12_GLOBAL__N_124unique_dim_cuda_templateIjEESt5tupleIJNSC_6TensorESH_SH_EERKSH_lbbbEUlllE1_EE10hipError_tPvRmT2_T3_mT4_P12ihipStream_tbEUlmE_lEESB_NS0_8identityIvEEEESM_SP_SQ_mSR_ST_bEUlT_E_NS1_11comp_targetILNS1_3genE10ELNS1_11target_archE1200ELNS1_3gpuE4ELNS1_3repE0EEENS1_30default_config_static_selectorELNS0_4arch9wavefront6targetE0EEEvT1_: ; @_ZN7rocprim17ROCPRIM_400000_NS6detail17trampoline_kernelINS0_14default_configENS1_25transform_config_selectorIlLb0EEEZNS1_14transform_implILb0ES3_S5_NS0_18transform_iteratorINS0_17counting_iteratorImlEEZNS1_24adjacent_difference_implIS3_Lb1ELb0EPlSB_ZN2at6native12_GLOBAL__N_124unique_dim_cuda_templateIjEESt5tupleIJNSC_6TensorESH_SH_EERKSH_lbbbEUlllE1_EE10hipError_tPvRmT2_T3_mT4_P12ihipStream_tbEUlmE_lEESB_NS0_8identityIvEEEESM_SP_SQ_mSR_ST_bEUlT_E_NS1_11comp_targetILNS1_3genE10ELNS1_11target_archE1200ELNS1_3gpuE4ELNS1_3repE0EEENS1_30default_config_static_selectorELNS0_4arch9wavefront6targetE0EEEvT1_
; %bb.0:
	.section	.rodata,"a",@progbits
	.p2align	6, 0x0
	.amdhsa_kernel _ZN7rocprim17ROCPRIM_400000_NS6detail17trampoline_kernelINS0_14default_configENS1_25transform_config_selectorIlLb0EEEZNS1_14transform_implILb0ES3_S5_NS0_18transform_iteratorINS0_17counting_iteratorImlEEZNS1_24adjacent_difference_implIS3_Lb1ELb0EPlSB_ZN2at6native12_GLOBAL__N_124unique_dim_cuda_templateIjEESt5tupleIJNSC_6TensorESH_SH_EERKSH_lbbbEUlllE1_EE10hipError_tPvRmT2_T3_mT4_P12ihipStream_tbEUlmE_lEESB_NS0_8identityIvEEEESM_SP_SQ_mSR_ST_bEUlT_E_NS1_11comp_targetILNS1_3genE10ELNS1_11target_archE1200ELNS1_3gpuE4ELNS1_3repE0EEENS1_30default_config_static_selectorELNS0_4arch9wavefront6targetE0EEEvT1_
		.amdhsa_group_segment_fixed_size 0
		.amdhsa_private_segment_fixed_size 0
		.amdhsa_kernarg_size 56
		.amdhsa_user_sgpr_count 15
		.amdhsa_user_sgpr_dispatch_ptr 0
		.amdhsa_user_sgpr_queue_ptr 0
		.amdhsa_user_sgpr_kernarg_segment_ptr 1
		.amdhsa_user_sgpr_dispatch_id 0
		.amdhsa_user_sgpr_private_segment_size 0
		.amdhsa_wavefront_size32 1
		.amdhsa_uses_dynamic_stack 0
		.amdhsa_enable_private_segment 0
		.amdhsa_system_sgpr_workgroup_id_x 1
		.amdhsa_system_sgpr_workgroup_id_y 0
		.amdhsa_system_sgpr_workgroup_id_z 0
		.amdhsa_system_sgpr_workgroup_info 0
		.amdhsa_system_vgpr_workitem_id 0
		.amdhsa_next_free_vgpr 1
		.amdhsa_next_free_sgpr 1
		.amdhsa_reserve_vcc 0
		.amdhsa_float_round_mode_32 0
		.amdhsa_float_round_mode_16_64 0
		.amdhsa_float_denorm_mode_32 3
		.amdhsa_float_denorm_mode_16_64 3
		.amdhsa_dx10_clamp 1
		.amdhsa_ieee_mode 1
		.amdhsa_fp16_overflow 0
		.amdhsa_workgroup_processor_mode 1
		.amdhsa_memory_ordered 1
		.amdhsa_forward_progress 0
		.amdhsa_shared_vgpr_count 0
		.amdhsa_exception_fp_ieee_invalid_op 0
		.amdhsa_exception_fp_denorm_src 0
		.amdhsa_exception_fp_ieee_div_zero 0
		.amdhsa_exception_fp_ieee_overflow 0
		.amdhsa_exception_fp_ieee_underflow 0
		.amdhsa_exception_fp_ieee_inexact 0
		.amdhsa_exception_int_div_zero 0
	.end_amdhsa_kernel
	.section	.text._ZN7rocprim17ROCPRIM_400000_NS6detail17trampoline_kernelINS0_14default_configENS1_25transform_config_selectorIlLb0EEEZNS1_14transform_implILb0ES3_S5_NS0_18transform_iteratorINS0_17counting_iteratorImlEEZNS1_24adjacent_difference_implIS3_Lb1ELb0EPlSB_ZN2at6native12_GLOBAL__N_124unique_dim_cuda_templateIjEESt5tupleIJNSC_6TensorESH_SH_EERKSH_lbbbEUlllE1_EE10hipError_tPvRmT2_T3_mT4_P12ihipStream_tbEUlmE_lEESB_NS0_8identityIvEEEESM_SP_SQ_mSR_ST_bEUlT_E_NS1_11comp_targetILNS1_3genE10ELNS1_11target_archE1200ELNS1_3gpuE4ELNS1_3repE0EEENS1_30default_config_static_selectorELNS0_4arch9wavefront6targetE0EEEvT1_,"axG",@progbits,_ZN7rocprim17ROCPRIM_400000_NS6detail17trampoline_kernelINS0_14default_configENS1_25transform_config_selectorIlLb0EEEZNS1_14transform_implILb0ES3_S5_NS0_18transform_iteratorINS0_17counting_iteratorImlEEZNS1_24adjacent_difference_implIS3_Lb1ELb0EPlSB_ZN2at6native12_GLOBAL__N_124unique_dim_cuda_templateIjEESt5tupleIJNSC_6TensorESH_SH_EERKSH_lbbbEUlllE1_EE10hipError_tPvRmT2_T3_mT4_P12ihipStream_tbEUlmE_lEESB_NS0_8identityIvEEEESM_SP_SQ_mSR_ST_bEUlT_E_NS1_11comp_targetILNS1_3genE10ELNS1_11target_archE1200ELNS1_3gpuE4ELNS1_3repE0EEENS1_30default_config_static_selectorELNS0_4arch9wavefront6targetE0EEEvT1_,comdat
.Lfunc_end1528:
	.size	_ZN7rocprim17ROCPRIM_400000_NS6detail17trampoline_kernelINS0_14default_configENS1_25transform_config_selectorIlLb0EEEZNS1_14transform_implILb0ES3_S5_NS0_18transform_iteratorINS0_17counting_iteratorImlEEZNS1_24adjacent_difference_implIS3_Lb1ELb0EPlSB_ZN2at6native12_GLOBAL__N_124unique_dim_cuda_templateIjEESt5tupleIJNSC_6TensorESH_SH_EERKSH_lbbbEUlllE1_EE10hipError_tPvRmT2_T3_mT4_P12ihipStream_tbEUlmE_lEESB_NS0_8identityIvEEEESM_SP_SQ_mSR_ST_bEUlT_E_NS1_11comp_targetILNS1_3genE10ELNS1_11target_archE1200ELNS1_3gpuE4ELNS1_3repE0EEENS1_30default_config_static_selectorELNS0_4arch9wavefront6targetE0EEEvT1_, .Lfunc_end1528-_ZN7rocprim17ROCPRIM_400000_NS6detail17trampoline_kernelINS0_14default_configENS1_25transform_config_selectorIlLb0EEEZNS1_14transform_implILb0ES3_S5_NS0_18transform_iteratorINS0_17counting_iteratorImlEEZNS1_24adjacent_difference_implIS3_Lb1ELb0EPlSB_ZN2at6native12_GLOBAL__N_124unique_dim_cuda_templateIjEESt5tupleIJNSC_6TensorESH_SH_EERKSH_lbbbEUlllE1_EE10hipError_tPvRmT2_T3_mT4_P12ihipStream_tbEUlmE_lEESB_NS0_8identityIvEEEESM_SP_SQ_mSR_ST_bEUlT_E_NS1_11comp_targetILNS1_3genE10ELNS1_11target_archE1200ELNS1_3gpuE4ELNS1_3repE0EEENS1_30default_config_static_selectorELNS0_4arch9wavefront6targetE0EEEvT1_
                                        ; -- End function
	.section	.AMDGPU.csdata,"",@progbits
; Kernel info:
; codeLenInByte = 0
; NumSgprs: 0
; NumVgprs: 0
; ScratchSize: 0
; MemoryBound: 0
; FloatMode: 240
; IeeeMode: 1
; LDSByteSize: 0 bytes/workgroup (compile time only)
; SGPRBlocks: 0
; VGPRBlocks: 0
; NumSGPRsForWavesPerEU: 1
; NumVGPRsForWavesPerEU: 1
; Occupancy: 16
; WaveLimiterHint : 0
; COMPUTE_PGM_RSRC2:SCRATCH_EN: 0
; COMPUTE_PGM_RSRC2:USER_SGPR: 15
; COMPUTE_PGM_RSRC2:TRAP_HANDLER: 0
; COMPUTE_PGM_RSRC2:TGID_X_EN: 1
; COMPUTE_PGM_RSRC2:TGID_Y_EN: 0
; COMPUTE_PGM_RSRC2:TGID_Z_EN: 0
; COMPUTE_PGM_RSRC2:TIDIG_COMP_CNT: 0
	.section	.text._ZN7rocprim17ROCPRIM_400000_NS6detail17trampoline_kernelINS0_14default_configENS1_25transform_config_selectorIlLb0EEEZNS1_14transform_implILb0ES3_S5_NS0_18transform_iteratorINS0_17counting_iteratorImlEEZNS1_24adjacent_difference_implIS3_Lb1ELb0EPlSB_ZN2at6native12_GLOBAL__N_124unique_dim_cuda_templateIjEESt5tupleIJNSC_6TensorESH_SH_EERKSH_lbbbEUlllE1_EE10hipError_tPvRmT2_T3_mT4_P12ihipStream_tbEUlmE_lEESB_NS0_8identityIvEEEESM_SP_SQ_mSR_ST_bEUlT_E_NS1_11comp_targetILNS1_3genE9ELNS1_11target_archE1100ELNS1_3gpuE3ELNS1_3repE0EEENS1_30default_config_static_selectorELNS0_4arch9wavefront6targetE0EEEvT1_,"axG",@progbits,_ZN7rocprim17ROCPRIM_400000_NS6detail17trampoline_kernelINS0_14default_configENS1_25transform_config_selectorIlLb0EEEZNS1_14transform_implILb0ES3_S5_NS0_18transform_iteratorINS0_17counting_iteratorImlEEZNS1_24adjacent_difference_implIS3_Lb1ELb0EPlSB_ZN2at6native12_GLOBAL__N_124unique_dim_cuda_templateIjEESt5tupleIJNSC_6TensorESH_SH_EERKSH_lbbbEUlllE1_EE10hipError_tPvRmT2_T3_mT4_P12ihipStream_tbEUlmE_lEESB_NS0_8identityIvEEEESM_SP_SQ_mSR_ST_bEUlT_E_NS1_11comp_targetILNS1_3genE9ELNS1_11target_archE1100ELNS1_3gpuE3ELNS1_3repE0EEENS1_30default_config_static_selectorELNS0_4arch9wavefront6targetE0EEEvT1_,comdat
	.globl	_ZN7rocprim17ROCPRIM_400000_NS6detail17trampoline_kernelINS0_14default_configENS1_25transform_config_selectorIlLb0EEEZNS1_14transform_implILb0ES3_S5_NS0_18transform_iteratorINS0_17counting_iteratorImlEEZNS1_24adjacent_difference_implIS3_Lb1ELb0EPlSB_ZN2at6native12_GLOBAL__N_124unique_dim_cuda_templateIjEESt5tupleIJNSC_6TensorESH_SH_EERKSH_lbbbEUlllE1_EE10hipError_tPvRmT2_T3_mT4_P12ihipStream_tbEUlmE_lEESB_NS0_8identityIvEEEESM_SP_SQ_mSR_ST_bEUlT_E_NS1_11comp_targetILNS1_3genE9ELNS1_11target_archE1100ELNS1_3gpuE3ELNS1_3repE0EEENS1_30default_config_static_selectorELNS0_4arch9wavefront6targetE0EEEvT1_ ; -- Begin function _ZN7rocprim17ROCPRIM_400000_NS6detail17trampoline_kernelINS0_14default_configENS1_25transform_config_selectorIlLb0EEEZNS1_14transform_implILb0ES3_S5_NS0_18transform_iteratorINS0_17counting_iteratorImlEEZNS1_24adjacent_difference_implIS3_Lb1ELb0EPlSB_ZN2at6native12_GLOBAL__N_124unique_dim_cuda_templateIjEESt5tupleIJNSC_6TensorESH_SH_EERKSH_lbbbEUlllE1_EE10hipError_tPvRmT2_T3_mT4_P12ihipStream_tbEUlmE_lEESB_NS0_8identityIvEEEESM_SP_SQ_mSR_ST_bEUlT_E_NS1_11comp_targetILNS1_3genE9ELNS1_11target_archE1100ELNS1_3gpuE3ELNS1_3repE0EEENS1_30default_config_static_selectorELNS0_4arch9wavefront6targetE0EEEvT1_
	.p2align	8
	.type	_ZN7rocprim17ROCPRIM_400000_NS6detail17trampoline_kernelINS0_14default_configENS1_25transform_config_selectorIlLb0EEEZNS1_14transform_implILb0ES3_S5_NS0_18transform_iteratorINS0_17counting_iteratorImlEEZNS1_24adjacent_difference_implIS3_Lb1ELb0EPlSB_ZN2at6native12_GLOBAL__N_124unique_dim_cuda_templateIjEESt5tupleIJNSC_6TensorESH_SH_EERKSH_lbbbEUlllE1_EE10hipError_tPvRmT2_T3_mT4_P12ihipStream_tbEUlmE_lEESB_NS0_8identityIvEEEESM_SP_SQ_mSR_ST_bEUlT_E_NS1_11comp_targetILNS1_3genE9ELNS1_11target_archE1100ELNS1_3gpuE3ELNS1_3repE0EEENS1_30default_config_static_selectorELNS0_4arch9wavefront6targetE0EEEvT1_,@function
_ZN7rocprim17ROCPRIM_400000_NS6detail17trampoline_kernelINS0_14default_configENS1_25transform_config_selectorIlLb0EEEZNS1_14transform_implILb0ES3_S5_NS0_18transform_iteratorINS0_17counting_iteratorImlEEZNS1_24adjacent_difference_implIS3_Lb1ELb0EPlSB_ZN2at6native12_GLOBAL__N_124unique_dim_cuda_templateIjEESt5tupleIJNSC_6TensorESH_SH_EERKSH_lbbbEUlllE1_EE10hipError_tPvRmT2_T3_mT4_P12ihipStream_tbEUlmE_lEESB_NS0_8identityIvEEEESM_SP_SQ_mSR_ST_bEUlT_E_NS1_11comp_targetILNS1_3genE9ELNS1_11target_archE1100ELNS1_3gpuE3ELNS1_3repE0EEENS1_30default_config_static_selectorELNS0_4arch9wavefront6targetE0EEEvT1_: ; @_ZN7rocprim17ROCPRIM_400000_NS6detail17trampoline_kernelINS0_14default_configENS1_25transform_config_selectorIlLb0EEEZNS1_14transform_implILb0ES3_S5_NS0_18transform_iteratorINS0_17counting_iteratorImlEEZNS1_24adjacent_difference_implIS3_Lb1ELb0EPlSB_ZN2at6native12_GLOBAL__N_124unique_dim_cuda_templateIjEESt5tupleIJNSC_6TensorESH_SH_EERKSH_lbbbEUlllE1_EE10hipError_tPvRmT2_T3_mT4_P12ihipStream_tbEUlmE_lEESB_NS0_8identityIvEEEESM_SP_SQ_mSR_ST_bEUlT_E_NS1_11comp_targetILNS1_3genE9ELNS1_11target_archE1100ELNS1_3gpuE3ELNS1_3repE0EEENS1_30default_config_static_selectorELNS0_4arch9wavefront6targetE0EEEvT1_
; %bb.0:
	s_clause 0x4
	s_load_b128 s[4:7], s[0:1], 0x0
	s_load_b64 s[2:3], s[0:1], 0x18
	s_load_b64 s[12:13], s[0:1], 0x28
	s_load_b32 s11, s[0:1], 0x38
	s_load_b32 s8, s[0:1], 0x10
	s_waitcnt lgkmcnt(0)
	s_add_u32 s9, s2, s4
	s_addc_u32 s10, s3, s5
	s_lshl_b64 s[2:3], s[2:3], 3
	s_delay_alu instid0(SALU_CYCLE_1)
	s_add_u32 s4, s12, s2
	s_addc_u32 s5, s13, s3
	s_add_i32 s11, s11, -1
	s_lshl_b32 s2, s15, 9
	s_mov_b32 s3, 0
	s_cmp_lg_u32 s15, s11
	s_mov_b32 s11, -1
	s_cbranch_scc0 .LBB1529_2
; %bb.1:
	s_add_u32 s11, s9, s2
	s_addc_u32 s12, s10, 0
	v_add_co_u32 v3, s11, s11, v0
	s_delay_alu instid0(VALU_DEP_1) | instskip(SKIP_1) | instid1(VALU_DEP_2)
	v_add_co_ci_u32_e64 v5, null, s12, 0, s11
	s_lshl_b64 s[12:13], s[2:3], 3
	v_mad_u64_u32 v[1:2], null, v3, s8, 0
	s_add_u32 s12, s4, s12
	s_addc_u32 s13, s5, s13
	s_mov_b32 s11, s3
	s_delay_alu instid0(VALU_DEP_1) | instskip(NEXT) | instid1(VALU_DEP_1)
	v_mad_u64_u32 v[3:4], null, v5, s8, v[2:3]
	v_dual_mov_b32 v2, v3 :: v_dual_lshlrev_b32 v3, 3, v0
	s_delay_alu instid0(VALU_DEP_1) | instskip(NEXT) | instid1(VALU_DEP_1)
	v_lshlrev_b64 v[1:2], 3, v[1:2]
	v_add_co_u32 v1, vcc_lo, s6, v1
	s_delay_alu instid0(VALU_DEP_2)
	v_add_co_ci_u32_e32 v2, vcc_lo, s7, v2, vcc_lo
	global_load_b64 v[1:2], v[1:2], off
	s_waitcnt vmcnt(0)
	global_store_b64 v3, v[1:2], s[12:13]
.LBB1529_2:
	s_and_not1_b32 vcc_lo, exec_lo, s11
	s_cbranch_vccnz .LBB1529_7
; %bb.3:
	s_load_b32 s0, s[0:1], 0x20
                                        ; implicit-def: $vgpr1_vgpr2
	s_waitcnt lgkmcnt(0)
	s_sub_i32 s0, s0, s2
	s_delay_alu instid0(SALU_CYCLE_1)
	v_cmp_gt_u32_e32 vcc_lo, s0, v0
	s_and_saveexec_b32 s1, vcc_lo
	s_cbranch_execz .LBB1529_5
; %bb.4:
	s_add_u32 s0, s9, s2
	s_addc_u32 s9, s10, 0
	v_add_co_u32 v3, s0, s0, v0
	s_delay_alu instid0(VALU_DEP_1) | instskip(NEXT) | instid1(VALU_DEP_2)
	v_add_co_ci_u32_e64 v5, null, s9, 0, s0
	v_mad_u64_u32 v[1:2], null, v3, s8, 0
	s_delay_alu instid0(VALU_DEP_1) | instskip(NEXT) | instid1(VALU_DEP_1)
	v_mad_u64_u32 v[3:4], null, v5, s8, v[2:3]
	v_mov_b32_e32 v2, v3
	s_delay_alu instid0(VALU_DEP_1) | instskip(NEXT) | instid1(VALU_DEP_1)
	v_lshlrev_b64 v[1:2], 3, v[1:2]
	v_add_co_u32 v1, s0, s6, v1
	s_delay_alu instid0(VALU_DEP_1)
	v_add_co_ci_u32_e64 v2, s0, s7, v2, s0
	global_load_b64 v[1:2], v[1:2], off
.LBB1529_5:
	s_or_b32 exec_lo, exec_lo, s1
	s_and_saveexec_b32 s0, vcc_lo
	s_cbranch_execz .LBB1529_7
; %bb.6:
	s_lshl_b64 s[0:1], s[2:3], 3
	v_lshlrev_b32_e32 v0, 3, v0
	s_add_u32 s0, s4, s0
	s_addc_u32 s1, s5, s1
	s_waitcnt vmcnt(0)
	global_store_b64 v0, v[1:2], s[0:1]
.LBB1529_7:
	s_nop 0
	s_sendmsg sendmsg(MSG_DEALLOC_VGPRS)
	s_endpgm
	.section	.rodata,"a",@progbits
	.p2align	6, 0x0
	.amdhsa_kernel _ZN7rocprim17ROCPRIM_400000_NS6detail17trampoline_kernelINS0_14default_configENS1_25transform_config_selectorIlLb0EEEZNS1_14transform_implILb0ES3_S5_NS0_18transform_iteratorINS0_17counting_iteratorImlEEZNS1_24adjacent_difference_implIS3_Lb1ELb0EPlSB_ZN2at6native12_GLOBAL__N_124unique_dim_cuda_templateIjEESt5tupleIJNSC_6TensorESH_SH_EERKSH_lbbbEUlllE1_EE10hipError_tPvRmT2_T3_mT4_P12ihipStream_tbEUlmE_lEESB_NS0_8identityIvEEEESM_SP_SQ_mSR_ST_bEUlT_E_NS1_11comp_targetILNS1_3genE9ELNS1_11target_archE1100ELNS1_3gpuE3ELNS1_3repE0EEENS1_30default_config_static_selectorELNS0_4arch9wavefront6targetE0EEEvT1_
		.amdhsa_group_segment_fixed_size 0
		.amdhsa_private_segment_fixed_size 0
		.amdhsa_kernarg_size 312
		.amdhsa_user_sgpr_count 15
		.amdhsa_user_sgpr_dispatch_ptr 0
		.amdhsa_user_sgpr_queue_ptr 0
		.amdhsa_user_sgpr_kernarg_segment_ptr 1
		.amdhsa_user_sgpr_dispatch_id 0
		.amdhsa_user_sgpr_private_segment_size 0
		.amdhsa_wavefront_size32 1
		.amdhsa_uses_dynamic_stack 0
		.amdhsa_enable_private_segment 0
		.amdhsa_system_sgpr_workgroup_id_x 1
		.amdhsa_system_sgpr_workgroup_id_y 0
		.amdhsa_system_sgpr_workgroup_id_z 0
		.amdhsa_system_sgpr_workgroup_info 0
		.amdhsa_system_vgpr_workitem_id 0
		.amdhsa_next_free_vgpr 6
		.amdhsa_next_free_sgpr 16
		.amdhsa_reserve_vcc 1
		.amdhsa_float_round_mode_32 0
		.amdhsa_float_round_mode_16_64 0
		.amdhsa_float_denorm_mode_32 3
		.amdhsa_float_denorm_mode_16_64 3
		.amdhsa_dx10_clamp 1
		.amdhsa_ieee_mode 1
		.amdhsa_fp16_overflow 0
		.amdhsa_workgroup_processor_mode 1
		.amdhsa_memory_ordered 1
		.amdhsa_forward_progress 0
		.amdhsa_shared_vgpr_count 0
		.amdhsa_exception_fp_ieee_invalid_op 0
		.amdhsa_exception_fp_denorm_src 0
		.amdhsa_exception_fp_ieee_div_zero 0
		.amdhsa_exception_fp_ieee_overflow 0
		.amdhsa_exception_fp_ieee_underflow 0
		.amdhsa_exception_fp_ieee_inexact 0
		.amdhsa_exception_int_div_zero 0
	.end_amdhsa_kernel
	.section	.text._ZN7rocprim17ROCPRIM_400000_NS6detail17trampoline_kernelINS0_14default_configENS1_25transform_config_selectorIlLb0EEEZNS1_14transform_implILb0ES3_S5_NS0_18transform_iteratorINS0_17counting_iteratorImlEEZNS1_24adjacent_difference_implIS3_Lb1ELb0EPlSB_ZN2at6native12_GLOBAL__N_124unique_dim_cuda_templateIjEESt5tupleIJNSC_6TensorESH_SH_EERKSH_lbbbEUlllE1_EE10hipError_tPvRmT2_T3_mT4_P12ihipStream_tbEUlmE_lEESB_NS0_8identityIvEEEESM_SP_SQ_mSR_ST_bEUlT_E_NS1_11comp_targetILNS1_3genE9ELNS1_11target_archE1100ELNS1_3gpuE3ELNS1_3repE0EEENS1_30default_config_static_selectorELNS0_4arch9wavefront6targetE0EEEvT1_,"axG",@progbits,_ZN7rocprim17ROCPRIM_400000_NS6detail17trampoline_kernelINS0_14default_configENS1_25transform_config_selectorIlLb0EEEZNS1_14transform_implILb0ES3_S5_NS0_18transform_iteratorINS0_17counting_iteratorImlEEZNS1_24adjacent_difference_implIS3_Lb1ELb0EPlSB_ZN2at6native12_GLOBAL__N_124unique_dim_cuda_templateIjEESt5tupleIJNSC_6TensorESH_SH_EERKSH_lbbbEUlllE1_EE10hipError_tPvRmT2_T3_mT4_P12ihipStream_tbEUlmE_lEESB_NS0_8identityIvEEEESM_SP_SQ_mSR_ST_bEUlT_E_NS1_11comp_targetILNS1_3genE9ELNS1_11target_archE1100ELNS1_3gpuE3ELNS1_3repE0EEENS1_30default_config_static_selectorELNS0_4arch9wavefront6targetE0EEEvT1_,comdat
.Lfunc_end1529:
	.size	_ZN7rocprim17ROCPRIM_400000_NS6detail17trampoline_kernelINS0_14default_configENS1_25transform_config_selectorIlLb0EEEZNS1_14transform_implILb0ES3_S5_NS0_18transform_iteratorINS0_17counting_iteratorImlEEZNS1_24adjacent_difference_implIS3_Lb1ELb0EPlSB_ZN2at6native12_GLOBAL__N_124unique_dim_cuda_templateIjEESt5tupleIJNSC_6TensorESH_SH_EERKSH_lbbbEUlllE1_EE10hipError_tPvRmT2_T3_mT4_P12ihipStream_tbEUlmE_lEESB_NS0_8identityIvEEEESM_SP_SQ_mSR_ST_bEUlT_E_NS1_11comp_targetILNS1_3genE9ELNS1_11target_archE1100ELNS1_3gpuE3ELNS1_3repE0EEENS1_30default_config_static_selectorELNS0_4arch9wavefront6targetE0EEEvT1_, .Lfunc_end1529-_ZN7rocprim17ROCPRIM_400000_NS6detail17trampoline_kernelINS0_14default_configENS1_25transform_config_selectorIlLb0EEEZNS1_14transform_implILb0ES3_S5_NS0_18transform_iteratorINS0_17counting_iteratorImlEEZNS1_24adjacent_difference_implIS3_Lb1ELb0EPlSB_ZN2at6native12_GLOBAL__N_124unique_dim_cuda_templateIjEESt5tupleIJNSC_6TensorESH_SH_EERKSH_lbbbEUlllE1_EE10hipError_tPvRmT2_T3_mT4_P12ihipStream_tbEUlmE_lEESB_NS0_8identityIvEEEESM_SP_SQ_mSR_ST_bEUlT_E_NS1_11comp_targetILNS1_3genE9ELNS1_11target_archE1100ELNS1_3gpuE3ELNS1_3repE0EEENS1_30default_config_static_selectorELNS0_4arch9wavefront6targetE0EEEvT1_
                                        ; -- End function
	.section	.AMDGPU.csdata,"",@progbits
; Kernel info:
; codeLenInByte = 400
; NumSgprs: 18
; NumVgprs: 6
; ScratchSize: 0
; MemoryBound: 0
; FloatMode: 240
; IeeeMode: 1
; LDSByteSize: 0 bytes/workgroup (compile time only)
; SGPRBlocks: 2
; VGPRBlocks: 0
; NumSGPRsForWavesPerEU: 18
; NumVGPRsForWavesPerEU: 6
; Occupancy: 16
; WaveLimiterHint : 0
; COMPUTE_PGM_RSRC2:SCRATCH_EN: 0
; COMPUTE_PGM_RSRC2:USER_SGPR: 15
; COMPUTE_PGM_RSRC2:TRAP_HANDLER: 0
; COMPUTE_PGM_RSRC2:TGID_X_EN: 1
; COMPUTE_PGM_RSRC2:TGID_Y_EN: 0
; COMPUTE_PGM_RSRC2:TGID_Z_EN: 0
; COMPUTE_PGM_RSRC2:TIDIG_COMP_CNT: 0
	.section	.text._ZN7rocprim17ROCPRIM_400000_NS6detail17trampoline_kernelINS0_14default_configENS1_25transform_config_selectorIlLb0EEEZNS1_14transform_implILb0ES3_S5_NS0_18transform_iteratorINS0_17counting_iteratorImlEEZNS1_24adjacent_difference_implIS3_Lb1ELb0EPlSB_ZN2at6native12_GLOBAL__N_124unique_dim_cuda_templateIjEESt5tupleIJNSC_6TensorESH_SH_EERKSH_lbbbEUlllE1_EE10hipError_tPvRmT2_T3_mT4_P12ihipStream_tbEUlmE_lEESB_NS0_8identityIvEEEESM_SP_SQ_mSR_ST_bEUlT_E_NS1_11comp_targetILNS1_3genE8ELNS1_11target_archE1030ELNS1_3gpuE2ELNS1_3repE0EEENS1_30default_config_static_selectorELNS0_4arch9wavefront6targetE0EEEvT1_,"axG",@progbits,_ZN7rocprim17ROCPRIM_400000_NS6detail17trampoline_kernelINS0_14default_configENS1_25transform_config_selectorIlLb0EEEZNS1_14transform_implILb0ES3_S5_NS0_18transform_iteratorINS0_17counting_iteratorImlEEZNS1_24adjacent_difference_implIS3_Lb1ELb0EPlSB_ZN2at6native12_GLOBAL__N_124unique_dim_cuda_templateIjEESt5tupleIJNSC_6TensorESH_SH_EERKSH_lbbbEUlllE1_EE10hipError_tPvRmT2_T3_mT4_P12ihipStream_tbEUlmE_lEESB_NS0_8identityIvEEEESM_SP_SQ_mSR_ST_bEUlT_E_NS1_11comp_targetILNS1_3genE8ELNS1_11target_archE1030ELNS1_3gpuE2ELNS1_3repE0EEENS1_30default_config_static_selectorELNS0_4arch9wavefront6targetE0EEEvT1_,comdat
	.globl	_ZN7rocprim17ROCPRIM_400000_NS6detail17trampoline_kernelINS0_14default_configENS1_25transform_config_selectorIlLb0EEEZNS1_14transform_implILb0ES3_S5_NS0_18transform_iteratorINS0_17counting_iteratorImlEEZNS1_24adjacent_difference_implIS3_Lb1ELb0EPlSB_ZN2at6native12_GLOBAL__N_124unique_dim_cuda_templateIjEESt5tupleIJNSC_6TensorESH_SH_EERKSH_lbbbEUlllE1_EE10hipError_tPvRmT2_T3_mT4_P12ihipStream_tbEUlmE_lEESB_NS0_8identityIvEEEESM_SP_SQ_mSR_ST_bEUlT_E_NS1_11comp_targetILNS1_3genE8ELNS1_11target_archE1030ELNS1_3gpuE2ELNS1_3repE0EEENS1_30default_config_static_selectorELNS0_4arch9wavefront6targetE0EEEvT1_ ; -- Begin function _ZN7rocprim17ROCPRIM_400000_NS6detail17trampoline_kernelINS0_14default_configENS1_25transform_config_selectorIlLb0EEEZNS1_14transform_implILb0ES3_S5_NS0_18transform_iteratorINS0_17counting_iteratorImlEEZNS1_24adjacent_difference_implIS3_Lb1ELb0EPlSB_ZN2at6native12_GLOBAL__N_124unique_dim_cuda_templateIjEESt5tupleIJNSC_6TensorESH_SH_EERKSH_lbbbEUlllE1_EE10hipError_tPvRmT2_T3_mT4_P12ihipStream_tbEUlmE_lEESB_NS0_8identityIvEEEESM_SP_SQ_mSR_ST_bEUlT_E_NS1_11comp_targetILNS1_3genE8ELNS1_11target_archE1030ELNS1_3gpuE2ELNS1_3repE0EEENS1_30default_config_static_selectorELNS0_4arch9wavefront6targetE0EEEvT1_
	.p2align	8
	.type	_ZN7rocprim17ROCPRIM_400000_NS6detail17trampoline_kernelINS0_14default_configENS1_25transform_config_selectorIlLb0EEEZNS1_14transform_implILb0ES3_S5_NS0_18transform_iteratorINS0_17counting_iteratorImlEEZNS1_24adjacent_difference_implIS3_Lb1ELb0EPlSB_ZN2at6native12_GLOBAL__N_124unique_dim_cuda_templateIjEESt5tupleIJNSC_6TensorESH_SH_EERKSH_lbbbEUlllE1_EE10hipError_tPvRmT2_T3_mT4_P12ihipStream_tbEUlmE_lEESB_NS0_8identityIvEEEESM_SP_SQ_mSR_ST_bEUlT_E_NS1_11comp_targetILNS1_3genE8ELNS1_11target_archE1030ELNS1_3gpuE2ELNS1_3repE0EEENS1_30default_config_static_selectorELNS0_4arch9wavefront6targetE0EEEvT1_,@function
_ZN7rocprim17ROCPRIM_400000_NS6detail17trampoline_kernelINS0_14default_configENS1_25transform_config_selectorIlLb0EEEZNS1_14transform_implILb0ES3_S5_NS0_18transform_iteratorINS0_17counting_iteratorImlEEZNS1_24adjacent_difference_implIS3_Lb1ELb0EPlSB_ZN2at6native12_GLOBAL__N_124unique_dim_cuda_templateIjEESt5tupleIJNSC_6TensorESH_SH_EERKSH_lbbbEUlllE1_EE10hipError_tPvRmT2_T3_mT4_P12ihipStream_tbEUlmE_lEESB_NS0_8identityIvEEEESM_SP_SQ_mSR_ST_bEUlT_E_NS1_11comp_targetILNS1_3genE8ELNS1_11target_archE1030ELNS1_3gpuE2ELNS1_3repE0EEENS1_30default_config_static_selectorELNS0_4arch9wavefront6targetE0EEEvT1_: ; @_ZN7rocprim17ROCPRIM_400000_NS6detail17trampoline_kernelINS0_14default_configENS1_25transform_config_selectorIlLb0EEEZNS1_14transform_implILb0ES3_S5_NS0_18transform_iteratorINS0_17counting_iteratorImlEEZNS1_24adjacent_difference_implIS3_Lb1ELb0EPlSB_ZN2at6native12_GLOBAL__N_124unique_dim_cuda_templateIjEESt5tupleIJNSC_6TensorESH_SH_EERKSH_lbbbEUlllE1_EE10hipError_tPvRmT2_T3_mT4_P12ihipStream_tbEUlmE_lEESB_NS0_8identityIvEEEESM_SP_SQ_mSR_ST_bEUlT_E_NS1_11comp_targetILNS1_3genE8ELNS1_11target_archE1030ELNS1_3gpuE2ELNS1_3repE0EEENS1_30default_config_static_selectorELNS0_4arch9wavefront6targetE0EEEvT1_
; %bb.0:
	.section	.rodata,"a",@progbits
	.p2align	6, 0x0
	.amdhsa_kernel _ZN7rocprim17ROCPRIM_400000_NS6detail17trampoline_kernelINS0_14default_configENS1_25transform_config_selectorIlLb0EEEZNS1_14transform_implILb0ES3_S5_NS0_18transform_iteratorINS0_17counting_iteratorImlEEZNS1_24adjacent_difference_implIS3_Lb1ELb0EPlSB_ZN2at6native12_GLOBAL__N_124unique_dim_cuda_templateIjEESt5tupleIJNSC_6TensorESH_SH_EERKSH_lbbbEUlllE1_EE10hipError_tPvRmT2_T3_mT4_P12ihipStream_tbEUlmE_lEESB_NS0_8identityIvEEEESM_SP_SQ_mSR_ST_bEUlT_E_NS1_11comp_targetILNS1_3genE8ELNS1_11target_archE1030ELNS1_3gpuE2ELNS1_3repE0EEENS1_30default_config_static_selectorELNS0_4arch9wavefront6targetE0EEEvT1_
		.amdhsa_group_segment_fixed_size 0
		.amdhsa_private_segment_fixed_size 0
		.amdhsa_kernarg_size 56
		.amdhsa_user_sgpr_count 15
		.amdhsa_user_sgpr_dispatch_ptr 0
		.amdhsa_user_sgpr_queue_ptr 0
		.amdhsa_user_sgpr_kernarg_segment_ptr 1
		.amdhsa_user_sgpr_dispatch_id 0
		.amdhsa_user_sgpr_private_segment_size 0
		.amdhsa_wavefront_size32 1
		.amdhsa_uses_dynamic_stack 0
		.amdhsa_enable_private_segment 0
		.amdhsa_system_sgpr_workgroup_id_x 1
		.amdhsa_system_sgpr_workgroup_id_y 0
		.amdhsa_system_sgpr_workgroup_id_z 0
		.amdhsa_system_sgpr_workgroup_info 0
		.amdhsa_system_vgpr_workitem_id 0
		.amdhsa_next_free_vgpr 1
		.amdhsa_next_free_sgpr 1
		.amdhsa_reserve_vcc 0
		.amdhsa_float_round_mode_32 0
		.amdhsa_float_round_mode_16_64 0
		.amdhsa_float_denorm_mode_32 3
		.amdhsa_float_denorm_mode_16_64 3
		.amdhsa_dx10_clamp 1
		.amdhsa_ieee_mode 1
		.amdhsa_fp16_overflow 0
		.amdhsa_workgroup_processor_mode 1
		.amdhsa_memory_ordered 1
		.amdhsa_forward_progress 0
		.amdhsa_shared_vgpr_count 0
		.amdhsa_exception_fp_ieee_invalid_op 0
		.amdhsa_exception_fp_denorm_src 0
		.amdhsa_exception_fp_ieee_div_zero 0
		.amdhsa_exception_fp_ieee_overflow 0
		.amdhsa_exception_fp_ieee_underflow 0
		.amdhsa_exception_fp_ieee_inexact 0
		.amdhsa_exception_int_div_zero 0
	.end_amdhsa_kernel
	.section	.text._ZN7rocprim17ROCPRIM_400000_NS6detail17trampoline_kernelINS0_14default_configENS1_25transform_config_selectorIlLb0EEEZNS1_14transform_implILb0ES3_S5_NS0_18transform_iteratorINS0_17counting_iteratorImlEEZNS1_24adjacent_difference_implIS3_Lb1ELb0EPlSB_ZN2at6native12_GLOBAL__N_124unique_dim_cuda_templateIjEESt5tupleIJNSC_6TensorESH_SH_EERKSH_lbbbEUlllE1_EE10hipError_tPvRmT2_T3_mT4_P12ihipStream_tbEUlmE_lEESB_NS0_8identityIvEEEESM_SP_SQ_mSR_ST_bEUlT_E_NS1_11comp_targetILNS1_3genE8ELNS1_11target_archE1030ELNS1_3gpuE2ELNS1_3repE0EEENS1_30default_config_static_selectorELNS0_4arch9wavefront6targetE0EEEvT1_,"axG",@progbits,_ZN7rocprim17ROCPRIM_400000_NS6detail17trampoline_kernelINS0_14default_configENS1_25transform_config_selectorIlLb0EEEZNS1_14transform_implILb0ES3_S5_NS0_18transform_iteratorINS0_17counting_iteratorImlEEZNS1_24adjacent_difference_implIS3_Lb1ELb0EPlSB_ZN2at6native12_GLOBAL__N_124unique_dim_cuda_templateIjEESt5tupleIJNSC_6TensorESH_SH_EERKSH_lbbbEUlllE1_EE10hipError_tPvRmT2_T3_mT4_P12ihipStream_tbEUlmE_lEESB_NS0_8identityIvEEEESM_SP_SQ_mSR_ST_bEUlT_E_NS1_11comp_targetILNS1_3genE8ELNS1_11target_archE1030ELNS1_3gpuE2ELNS1_3repE0EEENS1_30default_config_static_selectorELNS0_4arch9wavefront6targetE0EEEvT1_,comdat
.Lfunc_end1530:
	.size	_ZN7rocprim17ROCPRIM_400000_NS6detail17trampoline_kernelINS0_14default_configENS1_25transform_config_selectorIlLb0EEEZNS1_14transform_implILb0ES3_S5_NS0_18transform_iteratorINS0_17counting_iteratorImlEEZNS1_24adjacent_difference_implIS3_Lb1ELb0EPlSB_ZN2at6native12_GLOBAL__N_124unique_dim_cuda_templateIjEESt5tupleIJNSC_6TensorESH_SH_EERKSH_lbbbEUlllE1_EE10hipError_tPvRmT2_T3_mT4_P12ihipStream_tbEUlmE_lEESB_NS0_8identityIvEEEESM_SP_SQ_mSR_ST_bEUlT_E_NS1_11comp_targetILNS1_3genE8ELNS1_11target_archE1030ELNS1_3gpuE2ELNS1_3repE0EEENS1_30default_config_static_selectorELNS0_4arch9wavefront6targetE0EEEvT1_, .Lfunc_end1530-_ZN7rocprim17ROCPRIM_400000_NS6detail17trampoline_kernelINS0_14default_configENS1_25transform_config_selectorIlLb0EEEZNS1_14transform_implILb0ES3_S5_NS0_18transform_iteratorINS0_17counting_iteratorImlEEZNS1_24adjacent_difference_implIS3_Lb1ELb0EPlSB_ZN2at6native12_GLOBAL__N_124unique_dim_cuda_templateIjEESt5tupleIJNSC_6TensorESH_SH_EERKSH_lbbbEUlllE1_EE10hipError_tPvRmT2_T3_mT4_P12ihipStream_tbEUlmE_lEESB_NS0_8identityIvEEEESM_SP_SQ_mSR_ST_bEUlT_E_NS1_11comp_targetILNS1_3genE8ELNS1_11target_archE1030ELNS1_3gpuE2ELNS1_3repE0EEENS1_30default_config_static_selectorELNS0_4arch9wavefront6targetE0EEEvT1_
                                        ; -- End function
	.section	.AMDGPU.csdata,"",@progbits
; Kernel info:
; codeLenInByte = 0
; NumSgprs: 0
; NumVgprs: 0
; ScratchSize: 0
; MemoryBound: 0
; FloatMode: 240
; IeeeMode: 1
; LDSByteSize: 0 bytes/workgroup (compile time only)
; SGPRBlocks: 0
; VGPRBlocks: 0
; NumSGPRsForWavesPerEU: 1
; NumVGPRsForWavesPerEU: 1
; Occupancy: 16
; WaveLimiterHint : 0
; COMPUTE_PGM_RSRC2:SCRATCH_EN: 0
; COMPUTE_PGM_RSRC2:USER_SGPR: 15
; COMPUTE_PGM_RSRC2:TRAP_HANDLER: 0
; COMPUTE_PGM_RSRC2:TGID_X_EN: 1
; COMPUTE_PGM_RSRC2:TGID_Y_EN: 0
; COMPUTE_PGM_RSRC2:TGID_Z_EN: 0
; COMPUTE_PGM_RSRC2:TIDIG_COMP_CNT: 0
	.section	.text._ZN7rocprim17ROCPRIM_400000_NS6detail17trampoline_kernelINS0_14default_configENS1_35adjacent_difference_config_selectorILb1ElEEZNS1_24adjacent_difference_implIS3_Lb1ELb0EPlS7_ZN2at6native12_GLOBAL__N_124unique_dim_cuda_templateIjEESt5tupleIJNS8_6TensorESD_SD_EERKSD_lbbbEUlllE1_EE10hipError_tPvRmT2_T3_mT4_P12ihipStream_tbEUlT_E_NS1_11comp_targetILNS1_3genE0ELNS1_11target_archE4294967295ELNS1_3gpuE0ELNS1_3repE0EEENS1_30default_config_static_selectorELNS0_4arch9wavefront6targetE0EEEvT1_,"axG",@progbits,_ZN7rocprim17ROCPRIM_400000_NS6detail17trampoline_kernelINS0_14default_configENS1_35adjacent_difference_config_selectorILb1ElEEZNS1_24adjacent_difference_implIS3_Lb1ELb0EPlS7_ZN2at6native12_GLOBAL__N_124unique_dim_cuda_templateIjEESt5tupleIJNS8_6TensorESD_SD_EERKSD_lbbbEUlllE1_EE10hipError_tPvRmT2_T3_mT4_P12ihipStream_tbEUlT_E_NS1_11comp_targetILNS1_3genE0ELNS1_11target_archE4294967295ELNS1_3gpuE0ELNS1_3repE0EEENS1_30default_config_static_selectorELNS0_4arch9wavefront6targetE0EEEvT1_,comdat
	.globl	_ZN7rocprim17ROCPRIM_400000_NS6detail17trampoline_kernelINS0_14default_configENS1_35adjacent_difference_config_selectorILb1ElEEZNS1_24adjacent_difference_implIS3_Lb1ELb0EPlS7_ZN2at6native12_GLOBAL__N_124unique_dim_cuda_templateIjEESt5tupleIJNS8_6TensorESD_SD_EERKSD_lbbbEUlllE1_EE10hipError_tPvRmT2_T3_mT4_P12ihipStream_tbEUlT_E_NS1_11comp_targetILNS1_3genE0ELNS1_11target_archE4294967295ELNS1_3gpuE0ELNS1_3repE0EEENS1_30default_config_static_selectorELNS0_4arch9wavefront6targetE0EEEvT1_ ; -- Begin function _ZN7rocprim17ROCPRIM_400000_NS6detail17trampoline_kernelINS0_14default_configENS1_35adjacent_difference_config_selectorILb1ElEEZNS1_24adjacent_difference_implIS3_Lb1ELb0EPlS7_ZN2at6native12_GLOBAL__N_124unique_dim_cuda_templateIjEESt5tupleIJNS8_6TensorESD_SD_EERKSD_lbbbEUlllE1_EE10hipError_tPvRmT2_T3_mT4_P12ihipStream_tbEUlT_E_NS1_11comp_targetILNS1_3genE0ELNS1_11target_archE4294967295ELNS1_3gpuE0ELNS1_3repE0EEENS1_30default_config_static_selectorELNS0_4arch9wavefront6targetE0EEEvT1_
	.p2align	8
	.type	_ZN7rocprim17ROCPRIM_400000_NS6detail17trampoline_kernelINS0_14default_configENS1_35adjacent_difference_config_selectorILb1ElEEZNS1_24adjacent_difference_implIS3_Lb1ELb0EPlS7_ZN2at6native12_GLOBAL__N_124unique_dim_cuda_templateIjEESt5tupleIJNS8_6TensorESD_SD_EERKSD_lbbbEUlllE1_EE10hipError_tPvRmT2_T3_mT4_P12ihipStream_tbEUlT_E_NS1_11comp_targetILNS1_3genE0ELNS1_11target_archE4294967295ELNS1_3gpuE0ELNS1_3repE0EEENS1_30default_config_static_selectorELNS0_4arch9wavefront6targetE0EEEvT1_,@function
_ZN7rocprim17ROCPRIM_400000_NS6detail17trampoline_kernelINS0_14default_configENS1_35adjacent_difference_config_selectorILb1ElEEZNS1_24adjacent_difference_implIS3_Lb1ELb0EPlS7_ZN2at6native12_GLOBAL__N_124unique_dim_cuda_templateIjEESt5tupleIJNS8_6TensorESD_SD_EERKSD_lbbbEUlllE1_EE10hipError_tPvRmT2_T3_mT4_P12ihipStream_tbEUlT_E_NS1_11comp_targetILNS1_3genE0ELNS1_11target_archE4294967295ELNS1_3gpuE0ELNS1_3repE0EEENS1_30default_config_static_selectorELNS0_4arch9wavefront6targetE0EEEvT1_: ; @_ZN7rocprim17ROCPRIM_400000_NS6detail17trampoline_kernelINS0_14default_configENS1_35adjacent_difference_config_selectorILb1ElEEZNS1_24adjacent_difference_implIS3_Lb1ELb0EPlS7_ZN2at6native12_GLOBAL__N_124unique_dim_cuda_templateIjEESt5tupleIJNS8_6TensorESD_SD_EERKSD_lbbbEUlllE1_EE10hipError_tPvRmT2_T3_mT4_P12ihipStream_tbEUlT_E_NS1_11comp_targetILNS1_3genE0ELNS1_11target_archE4294967295ELNS1_3gpuE0ELNS1_3repE0EEENS1_30default_config_static_selectorELNS0_4arch9wavefront6targetE0EEEvT1_
; %bb.0:
	.section	.rodata,"a",@progbits
	.p2align	6, 0x0
	.amdhsa_kernel _ZN7rocprim17ROCPRIM_400000_NS6detail17trampoline_kernelINS0_14default_configENS1_35adjacent_difference_config_selectorILb1ElEEZNS1_24adjacent_difference_implIS3_Lb1ELb0EPlS7_ZN2at6native12_GLOBAL__N_124unique_dim_cuda_templateIjEESt5tupleIJNS8_6TensorESD_SD_EERKSD_lbbbEUlllE1_EE10hipError_tPvRmT2_T3_mT4_P12ihipStream_tbEUlT_E_NS1_11comp_targetILNS1_3genE0ELNS1_11target_archE4294967295ELNS1_3gpuE0ELNS1_3repE0EEENS1_30default_config_static_selectorELNS0_4arch9wavefront6targetE0EEEvT1_
		.amdhsa_group_segment_fixed_size 0
		.amdhsa_private_segment_fixed_size 0
		.amdhsa_kernarg_size 64
		.amdhsa_user_sgpr_count 15
		.amdhsa_user_sgpr_dispatch_ptr 0
		.amdhsa_user_sgpr_queue_ptr 0
		.amdhsa_user_sgpr_kernarg_segment_ptr 1
		.amdhsa_user_sgpr_dispatch_id 0
		.amdhsa_user_sgpr_private_segment_size 0
		.amdhsa_wavefront_size32 1
		.amdhsa_uses_dynamic_stack 0
		.amdhsa_enable_private_segment 0
		.amdhsa_system_sgpr_workgroup_id_x 1
		.amdhsa_system_sgpr_workgroup_id_y 0
		.amdhsa_system_sgpr_workgroup_id_z 0
		.amdhsa_system_sgpr_workgroup_info 0
		.amdhsa_system_vgpr_workitem_id 0
		.amdhsa_next_free_vgpr 1
		.amdhsa_next_free_sgpr 1
		.amdhsa_reserve_vcc 0
		.amdhsa_float_round_mode_32 0
		.amdhsa_float_round_mode_16_64 0
		.amdhsa_float_denorm_mode_32 3
		.amdhsa_float_denorm_mode_16_64 3
		.amdhsa_dx10_clamp 1
		.amdhsa_ieee_mode 1
		.amdhsa_fp16_overflow 0
		.amdhsa_workgroup_processor_mode 1
		.amdhsa_memory_ordered 1
		.amdhsa_forward_progress 0
		.amdhsa_shared_vgpr_count 0
		.amdhsa_exception_fp_ieee_invalid_op 0
		.amdhsa_exception_fp_denorm_src 0
		.amdhsa_exception_fp_ieee_div_zero 0
		.amdhsa_exception_fp_ieee_overflow 0
		.amdhsa_exception_fp_ieee_underflow 0
		.amdhsa_exception_fp_ieee_inexact 0
		.amdhsa_exception_int_div_zero 0
	.end_amdhsa_kernel
	.section	.text._ZN7rocprim17ROCPRIM_400000_NS6detail17trampoline_kernelINS0_14default_configENS1_35adjacent_difference_config_selectorILb1ElEEZNS1_24adjacent_difference_implIS3_Lb1ELb0EPlS7_ZN2at6native12_GLOBAL__N_124unique_dim_cuda_templateIjEESt5tupleIJNS8_6TensorESD_SD_EERKSD_lbbbEUlllE1_EE10hipError_tPvRmT2_T3_mT4_P12ihipStream_tbEUlT_E_NS1_11comp_targetILNS1_3genE0ELNS1_11target_archE4294967295ELNS1_3gpuE0ELNS1_3repE0EEENS1_30default_config_static_selectorELNS0_4arch9wavefront6targetE0EEEvT1_,"axG",@progbits,_ZN7rocprim17ROCPRIM_400000_NS6detail17trampoline_kernelINS0_14default_configENS1_35adjacent_difference_config_selectorILb1ElEEZNS1_24adjacent_difference_implIS3_Lb1ELb0EPlS7_ZN2at6native12_GLOBAL__N_124unique_dim_cuda_templateIjEESt5tupleIJNS8_6TensorESD_SD_EERKSD_lbbbEUlllE1_EE10hipError_tPvRmT2_T3_mT4_P12ihipStream_tbEUlT_E_NS1_11comp_targetILNS1_3genE0ELNS1_11target_archE4294967295ELNS1_3gpuE0ELNS1_3repE0EEENS1_30default_config_static_selectorELNS0_4arch9wavefront6targetE0EEEvT1_,comdat
.Lfunc_end1531:
	.size	_ZN7rocprim17ROCPRIM_400000_NS6detail17trampoline_kernelINS0_14default_configENS1_35adjacent_difference_config_selectorILb1ElEEZNS1_24adjacent_difference_implIS3_Lb1ELb0EPlS7_ZN2at6native12_GLOBAL__N_124unique_dim_cuda_templateIjEESt5tupleIJNS8_6TensorESD_SD_EERKSD_lbbbEUlllE1_EE10hipError_tPvRmT2_T3_mT4_P12ihipStream_tbEUlT_E_NS1_11comp_targetILNS1_3genE0ELNS1_11target_archE4294967295ELNS1_3gpuE0ELNS1_3repE0EEENS1_30default_config_static_selectorELNS0_4arch9wavefront6targetE0EEEvT1_, .Lfunc_end1531-_ZN7rocprim17ROCPRIM_400000_NS6detail17trampoline_kernelINS0_14default_configENS1_35adjacent_difference_config_selectorILb1ElEEZNS1_24adjacent_difference_implIS3_Lb1ELb0EPlS7_ZN2at6native12_GLOBAL__N_124unique_dim_cuda_templateIjEESt5tupleIJNS8_6TensorESD_SD_EERKSD_lbbbEUlllE1_EE10hipError_tPvRmT2_T3_mT4_P12ihipStream_tbEUlT_E_NS1_11comp_targetILNS1_3genE0ELNS1_11target_archE4294967295ELNS1_3gpuE0ELNS1_3repE0EEENS1_30default_config_static_selectorELNS0_4arch9wavefront6targetE0EEEvT1_
                                        ; -- End function
	.section	.AMDGPU.csdata,"",@progbits
; Kernel info:
; codeLenInByte = 0
; NumSgprs: 0
; NumVgprs: 0
; ScratchSize: 0
; MemoryBound: 0
; FloatMode: 240
; IeeeMode: 1
; LDSByteSize: 0 bytes/workgroup (compile time only)
; SGPRBlocks: 0
; VGPRBlocks: 0
; NumSGPRsForWavesPerEU: 1
; NumVGPRsForWavesPerEU: 1
; Occupancy: 16
; WaveLimiterHint : 0
; COMPUTE_PGM_RSRC2:SCRATCH_EN: 0
; COMPUTE_PGM_RSRC2:USER_SGPR: 15
; COMPUTE_PGM_RSRC2:TRAP_HANDLER: 0
; COMPUTE_PGM_RSRC2:TGID_X_EN: 1
; COMPUTE_PGM_RSRC2:TGID_Y_EN: 0
; COMPUTE_PGM_RSRC2:TGID_Z_EN: 0
; COMPUTE_PGM_RSRC2:TIDIG_COMP_CNT: 0
	.section	.text._ZN7rocprim17ROCPRIM_400000_NS6detail17trampoline_kernelINS0_14default_configENS1_35adjacent_difference_config_selectorILb1ElEEZNS1_24adjacent_difference_implIS3_Lb1ELb0EPlS7_ZN2at6native12_GLOBAL__N_124unique_dim_cuda_templateIjEESt5tupleIJNS8_6TensorESD_SD_EERKSD_lbbbEUlllE1_EE10hipError_tPvRmT2_T3_mT4_P12ihipStream_tbEUlT_E_NS1_11comp_targetILNS1_3genE10ELNS1_11target_archE1201ELNS1_3gpuE5ELNS1_3repE0EEENS1_30default_config_static_selectorELNS0_4arch9wavefront6targetE0EEEvT1_,"axG",@progbits,_ZN7rocprim17ROCPRIM_400000_NS6detail17trampoline_kernelINS0_14default_configENS1_35adjacent_difference_config_selectorILb1ElEEZNS1_24adjacent_difference_implIS3_Lb1ELb0EPlS7_ZN2at6native12_GLOBAL__N_124unique_dim_cuda_templateIjEESt5tupleIJNS8_6TensorESD_SD_EERKSD_lbbbEUlllE1_EE10hipError_tPvRmT2_T3_mT4_P12ihipStream_tbEUlT_E_NS1_11comp_targetILNS1_3genE10ELNS1_11target_archE1201ELNS1_3gpuE5ELNS1_3repE0EEENS1_30default_config_static_selectorELNS0_4arch9wavefront6targetE0EEEvT1_,comdat
	.globl	_ZN7rocprim17ROCPRIM_400000_NS6detail17trampoline_kernelINS0_14default_configENS1_35adjacent_difference_config_selectorILb1ElEEZNS1_24adjacent_difference_implIS3_Lb1ELb0EPlS7_ZN2at6native12_GLOBAL__N_124unique_dim_cuda_templateIjEESt5tupleIJNS8_6TensorESD_SD_EERKSD_lbbbEUlllE1_EE10hipError_tPvRmT2_T3_mT4_P12ihipStream_tbEUlT_E_NS1_11comp_targetILNS1_3genE10ELNS1_11target_archE1201ELNS1_3gpuE5ELNS1_3repE0EEENS1_30default_config_static_selectorELNS0_4arch9wavefront6targetE0EEEvT1_ ; -- Begin function _ZN7rocprim17ROCPRIM_400000_NS6detail17trampoline_kernelINS0_14default_configENS1_35adjacent_difference_config_selectorILb1ElEEZNS1_24adjacent_difference_implIS3_Lb1ELb0EPlS7_ZN2at6native12_GLOBAL__N_124unique_dim_cuda_templateIjEESt5tupleIJNS8_6TensorESD_SD_EERKSD_lbbbEUlllE1_EE10hipError_tPvRmT2_T3_mT4_P12ihipStream_tbEUlT_E_NS1_11comp_targetILNS1_3genE10ELNS1_11target_archE1201ELNS1_3gpuE5ELNS1_3repE0EEENS1_30default_config_static_selectorELNS0_4arch9wavefront6targetE0EEEvT1_
	.p2align	8
	.type	_ZN7rocprim17ROCPRIM_400000_NS6detail17trampoline_kernelINS0_14default_configENS1_35adjacent_difference_config_selectorILb1ElEEZNS1_24adjacent_difference_implIS3_Lb1ELb0EPlS7_ZN2at6native12_GLOBAL__N_124unique_dim_cuda_templateIjEESt5tupleIJNS8_6TensorESD_SD_EERKSD_lbbbEUlllE1_EE10hipError_tPvRmT2_T3_mT4_P12ihipStream_tbEUlT_E_NS1_11comp_targetILNS1_3genE10ELNS1_11target_archE1201ELNS1_3gpuE5ELNS1_3repE0EEENS1_30default_config_static_selectorELNS0_4arch9wavefront6targetE0EEEvT1_,@function
_ZN7rocprim17ROCPRIM_400000_NS6detail17trampoline_kernelINS0_14default_configENS1_35adjacent_difference_config_selectorILb1ElEEZNS1_24adjacent_difference_implIS3_Lb1ELb0EPlS7_ZN2at6native12_GLOBAL__N_124unique_dim_cuda_templateIjEESt5tupleIJNS8_6TensorESD_SD_EERKSD_lbbbEUlllE1_EE10hipError_tPvRmT2_T3_mT4_P12ihipStream_tbEUlT_E_NS1_11comp_targetILNS1_3genE10ELNS1_11target_archE1201ELNS1_3gpuE5ELNS1_3repE0EEENS1_30default_config_static_selectorELNS0_4arch9wavefront6targetE0EEEvT1_: ; @_ZN7rocprim17ROCPRIM_400000_NS6detail17trampoline_kernelINS0_14default_configENS1_35adjacent_difference_config_selectorILb1ElEEZNS1_24adjacent_difference_implIS3_Lb1ELb0EPlS7_ZN2at6native12_GLOBAL__N_124unique_dim_cuda_templateIjEESt5tupleIJNS8_6TensorESD_SD_EERKSD_lbbbEUlllE1_EE10hipError_tPvRmT2_T3_mT4_P12ihipStream_tbEUlT_E_NS1_11comp_targetILNS1_3genE10ELNS1_11target_archE1201ELNS1_3gpuE5ELNS1_3repE0EEENS1_30default_config_static_selectorELNS0_4arch9wavefront6targetE0EEEvT1_
; %bb.0:
	.section	.rodata,"a",@progbits
	.p2align	6, 0x0
	.amdhsa_kernel _ZN7rocprim17ROCPRIM_400000_NS6detail17trampoline_kernelINS0_14default_configENS1_35adjacent_difference_config_selectorILb1ElEEZNS1_24adjacent_difference_implIS3_Lb1ELb0EPlS7_ZN2at6native12_GLOBAL__N_124unique_dim_cuda_templateIjEESt5tupleIJNS8_6TensorESD_SD_EERKSD_lbbbEUlllE1_EE10hipError_tPvRmT2_T3_mT4_P12ihipStream_tbEUlT_E_NS1_11comp_targetILNS1_3genE10ELNS1_11target_archE1201ELNS1_3gpuE5ELNS1_3repE0EEENS1_30default_config_static_selectorELNS0_4arch9wavefront6targetE0EEEvT1_
		.amdhsa_group_segment_fixed_size 0
		.amdhsa_private_segment_fixed_size 0
		.amdhsa_kernarg_size 64
		.amdhsa_user_sgpr_count 15
		.amdhsa_user_sgpr_dispatch_ptr 0
		.amdhsa_user_sgpr_queue_ptr 0
		.amdhsa_user_sgpr_kernarg_segment_ptr 1
		.amdhsa_user_sgpr_dispatch_id 0
		.amdhsa_user_sgpr_private_segment_size 0
		.amdhsa_wavefront_size32 1
		.amdhsa_uses_dynamic_stack 0
		.amdhsa_enable_private_segment 0
		.amdhsa_system_sgpr_workgroup_id_x 1
		.amdhsa_system_sgpr_workgroup_id_y 0
		.amdhsa_system_sgpr_workgroup_id_z 0
		.amdhsa_system_sgpr_workgroup_info 0
		.amdhsa_system_vgpr_workitem_id 0
		.amdhsa_next_free_vgpr 1
		.amdhsa_next_free_sgpr 1
		.amdhsa_reserve_vcc 0
		.amdhsa_float_round_mode_32 0
		.amdhsa_float_round_mode_16_64 0
		.amdhsa_float_denorm_mode_32 3
		.amdhsa_float_denorm_mode_16_64 3
		.amdhsa_dx10_clamp 1
		.amdhsa_ieee_mode 1
		.amdhsa_fp16_overflow 0
		.amdhsa_workgroup_processor_mode 1
		.amdhsa_memory_ordered 1
		.amdhsa_forward_progress 0
		.amdhsa_shared_vgpr_count 0
		.amdhsa_exception_fp_ieee_invalid_op 0
		.amdhsa_exception_fp_denorm_src 0
		.amdhsa_exception_fp_ieee_div_zero 0
		.amdhsa_exception_fp_ieee_overflow 0
		.amdhsa_exception_fp_ieee_underflow 0
		.amdhsa_exception_fp_ieee_inexact 0
		.amdhsa_exception_int_div_zero 0
	.end_amdhsa_kernel
	.section	.text._ZN7rocprim17ROCPRIM_400000_NS6detail17trampoline_kernelINS0_14default_configENS1_35adjacent_difference_config_selectorILb1ElEEZNS1_24adjacent_difference_implIS3_Lb1ELb0EPlS7_ZN2at6native12_GLOBAL__N_124unique_dim_cuda_templateIjEESt5tupleIJNS8_6TensorESD_SD_EERKSD_lbbbEUlllE1_EE10hipError_tPvRmT2_T3_mT4_P12ihipStream_tbEUlT_E_NS1_11comp_targetILNS1_3genE10ELNS1_11target_archE1201ELNS1_3gpuE5ELNS1_3repE0EEENS1_30default_config_static_selectorELNS0_4arch9wavefront6targetE0EEEvT1_,"axG",@progbits,_ZN7rocprim17ROCPRIM_400000_NS6detail17trampoline_kernelINS0_14default_configENS1_35adjacent_difference_config_selectorILb1ElEEZNS1_24adjacent_difference_implIS3_Lb1ELb0EPlS7_ZN2at6native12_GLOBAL__N_124unique_dim_cuda_templateIjEESt5tupleIJNS8_6TensorESD_SD_EERKSD_lbbbEUlllE1_EE10hipError_tPvRmT2_T3_mT4_P12ihipStream_tbEUlT_E_NS1_11comp_targetILNS1_3genE10ELNS1_11target_archE1201ELNS1_3gpuE5ELNS1_3repE0EEENS1_30default_config_static_selectorELNS0_4arch9wavefront6targetE0EEEvT1_,comdat
.Lfunc_end1532:
	.size	_ZN7rocprim17ROCPRIM_400000_NS6detail17trampoline_kernelINS0_14default_configENS1_35adjacent_difference_config_selectorILb1ElEEZNS1_24adjacent_difference_implIS3_Lb1ELb0EPlS7_ZN2at6native12_GLOBAL__N_124unique_dim_cuda_templateIjEESt5tupleIJNS8_6TensorESD_SD_EERKSD_lbbbEUlllE1_EE10hipError_tPvRmT2_T3_mT4_P12ihipStream_tbEUlT_E_NS1_11comp_targetILNS1_3genE10ELNS1_11target_archE1201ELNS1_3gpuE5ELNS1_3repE0EEENS1_30default_config_static_selectorELNS0_4arch9wavefront6targetE0EEEvT1_, .Lfunc_end1532-_ZN7rocprim17ROCPRIM_400000_NS6detail17trampoline_kernelINS0_14default_configENS1_35adjacent_difference_config_selectorILb1ElEEZNS1_24adjacent_difference_implIS3_Lb1ELb0EPlS7_ZN2at6native12_GLOBAL__N_124unique_dim_cuda_templateIjEESt5tupleIJNS8_6TensorESD_SD_EERKSD_lbbbEUlllE1_EE10hipError_tPvRmT2_T3_mT4_P12ihipStream_tbEUlT_E_NS1_11comp_targetILNS1_3genE10ELNS1_11target_archE1201ELNS1_3gpuE5ELNS1_3repE0EEENS1_30default_config_static_selectorELNS0_4arch9wavefront6targetE0EEEvT1_
                                        ; -- End function
	.section	.AMDGPU.csdata,"",@progbits
; Kernel info:
; codeLenInByte = 0
; NumSgprs: 0
; NumVgprs: 0
; ScratchSize: 0
; MemoryBound: 0
; FloatMode: 240
; IeeeMode: 1
; LDSByteSize: 0 bytes/workgroup (compile time only)
; SGPRBlocks: 0
; VGPRBlocks: 0
; NumSGPRsForWavesPerEU: 1
; NumVGPRsForWavesPerEU: 1
; Occupancy: 16
; WaveLimiterHint : 0
; COMPUTE_PGM_RSRC2:SCRATCH_EN: 0
; COMPUTE_PGM_RSRC2:USER_SGPR: 15
; COMPUTE_PGM_RSRC2:TRAP_HANDLER: 0
; COMPUTE_PGM_RSRC2:TGID_X_EN: 1
; COMPUTE_PGM_RSRC2:TGID_Y_EN: 0
; COMPUTE_PGM_RSRC2:TGID_Z_EN: 0
; COMPUTE_PGM_RSRC2:TIDIG_COMP_CNT: 0
	.section	.text._ZN7rocprim17ROCPRIM_400000_NS6detail17trampoline_kernelINS0_14default_configENS1_35adjacent_difference_config_selectorILb1ElEEZNS1_24adjacent_difference_implIS3_Lb1ELb0EPlS7_ZN2at6native12_GLOBAL__N_124unique_dim_cuda_templateIjEESt5tupleIJNS8_6TensorESD_SD_EERKSD_lbbbEUlllE1_EE10hipError_tPvRmT2_T3_mT4_P12ihipStream_tbEUlT_E_NS1_11comp_targetILNS1_3genE5ELNS1_11target_archE942ELNS1_3gpuE9ELNS1_3repE0EEENS1_30default_config_static_selectorELNS0_4arch9wavefront6targetE0EEEvT1_,"axG",@progbits,_ZN7rocprim17ROCPRIM_400000_NS6detail17trampoline_kernelINS0_14default_configENS1_35adjacent_difference_config_selectorILb1ElEEZNS1_24adjacent_difference_implIS3_Lb1ELb0EPlS7_ZN2at6native12_GLOBAL__N_124unique_dim_cuda_templateIjEESt5tupleIJNS8_6TensorESD_SD_EERKSD_lbbbEUlllE1_EE10hipError_tPvRmT2_T3_mT4_P12ihipStream_tbEUlT_E_NS1_11comp_targetILNS1_3genE5ELNS1_11target_archE942ELNS1_3gpuE9ELNS1_3repE0EEENS1_30default_config_static_selectorELNS0_4arch9wavefront6targetE0EEEvT1_,comdat
	.globl	_ZN7rocprim17ROCPRIM_400000_NS6detail17trampoline_kernelINS0_14default_configENS1_35adjacent_difference_config_selectorILb1ElEEZNS1_24adjacent_difference_implIS3_Lb1ELb0EPlS7_ZN2at6native12_GLOBAL__N_124unique_dim_cuda_templateIjEESt5tupleIJNS8_6TensorESD_SD_EERKSD_lbbbEUlllE1_EE10hipError_tPvRmT2_T3_mT4_P12ihipStream_tbEUlT_E_NS1_11comp_targetILNS1_3genE5ELNS1_11target_archE942ELNS1_3gpuE9ELNS1_3repE0EEENS1_30default_config_static_selectorELNS0_4arch9wavefront6targetE0EEEvT1_ ; -- Begin function _ZN7rocprim17ROCPRIM_400000_NS6detail17trampoline_kernelINS0_14default_configENS1_35adjacent_difference_config_selectorILb1ElEEZNS1_24adjacent_difference_implIS3_Lb1ELb0EPlS7_ZN2at6native12_GLOBAL__N_124unique_dim_cuda_templateIjEESt5tupleIJNS8_6TensorESD_SD_EERKSD_lbbbEUlllE1_EE10hipError_tPvRmT2_T3_mT4_P12ihipStream_tbEUlT_E_NS1_11comp_targetILNS1_3genE5ELNS1_11target_archE942ELNS1_3gpuE9ELNS1_3repE0EEENS1_30default_config_static_selectorELNS0_4arch9wavefront6targetE0EEEvT1_
	.p2align	8
	.type	_ZN7rocprim17ROCPRIM_400000_NS6detail17trampoline_kernelINS0_14default_configENS1_35adjacent_difference_config_selectorILb1ElEEZNS1_24adjacent_difference_implIS3_Lb1ELb0EPlS7_ZN2at6native12_GLOBAL__N_124unique_dim_cuda_templateIjEESt5tupleIJNS8_6TensorESD_SD_EERKSD_lbbbEUlllE1_EE10hipError_tPvRmT2_T3_mT4_P12ihipStream_tbEUlT_E_NS1_11comp_targetILNS1_3genE5ELNS1_11target_archE942ELNS1_3gpuE9ELNS1_3repE0EEENS1_30default_config_static_selectorELNS0_4arch9wavefront6targetE0EEEvT1_,@function
_ZN7rocprim17ROCPRIM_400000_NS6detail17trampoline_kernelINS0_14default_configENS1_35adjacent_difference_config_selectorILb1ElEEZNS1_24adjacent_difference_implIS3_Lb1ELb0EPlS7_ZN2at6native12_GLOBAL__N_124unique_dim_cuda_templateIjEESt5tupleIJNS8_6TensorESD_SD_EERKSD_lbbbEUlllE1_EE10hipError_tPvRmT2_T3_mT4_P12ihipStream_tbEUlT_E_NS1_11comp_targetILNS1_3genE5ELNS1_11target_archE942ELNS1_3gpuE9ELNS1_3repE0EEENS1_30default_config_static_selectorELNS0_4arch9wavefront6targetE0EEEvT1_: ; @_ZN7rocprim17ROCPRIM_400000_NS6detail17trampoline_kernelINS0_14default_configENS1_35adjacent_difference_config_selectorILb1ElEEZNS1_24adjacent_difference_implIS3_Lb1ELb0EPlS7_ZN2at6native12_GLOBAL__N_124unique_dim_cuda_templateIjEESt5tupleIJNS8_6TensorESD_SD_EERKSD_lbbbEUlllE1_EE10hipError_tPvRmT2_T3_mT4_P12ihipStream_tbEUlT_E_NS1_11comp_targetILNS1_3genE5ELNS1_11target_archE942ELNS1_3gpuE9ELNS1_3repE0EEENS1_30default_config_static_selectorELNS0_4arch9wavefront6targetE0EEEvT1_
; %bb.0:
	.section	.rodata,"a",@progbits
	.p2align	6, 0x0
	.amdhsa_kernel _ZN7rocprim17ROCPRIM_400000_NS6detail17trampoline_kernelINS0_14default_configENS1_35adjacent_difference_config_selectorILb1ElEEZNS1_24adjacent_difference_implIS3_Lb1ELb0EPlS7_ZN2at6native12_GLOBAL__N_124unique_dim_cuda_templateIjEESt5tupleIJNS8_6TensorESD_SD_EERKSD_lbbbEUlllE1_EE10hipError_tPvRmT2_T3_mT4_P12ihipStream_tbEUlT_E_NS1_11comp_targetILNS1_3genE5ELNS1_11target_archE942ELNS1_3gpuE9ELNS1_3repE0EEENS1_30default_config_static_selectorELNS0_4arch9wavefront6targetE0EEEvT1_
		.amdhsa_group_segment_fixed_size 0
		.amdhsa_private_segment_fixed_size 0
		.amdhsa_kernarg_size 64
		.amdhsa_user_sgpr_count 15
		.amdhsa_user_sgpr_dispatch_ptr 0
		.amdhsa_user_sgpr_queue_ptr 0
		.amdhsa_user_sgpr_kernarg_segment_ptr 1
		.amdhsa_user_sgpr_dispatch_id 0
		.amdhsa_user_sgpr_private_segment_size 0
		.amdhsa_wavefront_size32 1
		.amdhsa_uses_dynamic_stack 0
		.amdhsa_enable_private_segment 0
		.amdhsa_system_sgpr_workgroup_id_x 1
		.amdhsa_system_sgpr_workgroup_id_y 0
		.amdhsa_system_sgpr_workgroup_id_z 0
		.amdhsa_system_sgpr_workgroup_info 0
		.amdhsa_system_vgpr_workitem_id 0
		.amdhsa_next_free_vgpr 1
		.amdhsa_next_free_sgpr 1
		.amdhsa_reserve_vcc 0
		.amdhsa_float_round_mode_32 0
		.amdhsa_float_round_mode_16_64 0
		.amdhsa_float_denorm_mode_32 3
		.amdhsa_float_denorm_mode_16_64 3
		.amdhsa_dx10_clamp 1
		.amdhsa_ieee_mode 1
		.amdhsa_fp16_overflow 0
		.amdhsa_workgroup_processor_mode 1
		.amdhsa_memory_ordered 1
		.amdhsa_forward_progress 0
		.amdhsa_shared_vgpr_count 0
		.amdhsa_exception_fp_ieee_invalid_op 0
		.amdhsa_exception_fp_denorm_src 0
		.amdhsa_exception_fp_ieee_div_zero 0
		.amdhsa_exception_fp_ieee_overflow 0
		.amdhsa_exception_fp_ieee_underflow 0
		.amdhsa_exception_fp_ieee_inexact 0
		.amdhsa_exception_int_div_zero 0
	.end_amdhsa_kernel
	.section	.text._ZN7rocprim17ROCPRIM_400000_NS6detail17trampoline_kernelINS0_14default_configENS1_35adjacent_difference_config_selectorILb1ElEEZNS1_24adjacent_difference_implIS3_Lb1ELb0EPlS7_ZN2at6native12_GLOBAL__N_124unique_dim_cuda_templateIjEESt5tupleIJNS8_6TensorESD_SD_EERKSD_lbbbEUlllE1_EE10hipError_tPvRmT2_T3_mT4_P12ihipStream_tbEUlT_E_NS1_11comp_targetILNS1_3genE5ELNS1_11target_archE942ELNS1_3gpuE9ELNS1_3repE0EEENS1_30default_config_static_selectorELNS0_4arch9wavefront6targetE0EEEvT1_,"axG",@progbits,_ZN7rocprim17ROCPRIM_400000_NS6detail17trampoline_kernelINS0_14default_configENS1_35adjacent_difference_config_selectorILb1ElEEZNS1_24adjacent_difference_implIS3_Lb1ELb0EPlS7_ZN2at6native12_GLOBAL__N_124unique_dim_cuda_templateIjEESt5tupleIJNS8_6TensorESD_SD_EERKSD_lbbbEUlllE1_EE10hipError_tPvRmT2_T3_mT4_P12ihipStream_tbEUlT_E_NS1_11comp_targetILNS1_3genE5ELNS1_11target_archE942ELNS1_3gpuE9ELNS1_3repE0EEENS1_30default_config_static_selectorELNS0_4arch9wavefront6targetE0EEEvT1_,comdat
.Lfunc_end1533:
	.size	_ZN7rocprim17ROCPRIM_400000_NS6detail17trampoline_kernelINS0_14default_configENS1_35adjacent_difference_config_selectorILb1ElEEZNS1_24adjacent_difference_implIS3_Lb1ELb0EPlS7_ZN2at6native12_GLOBAL__N_124unique_dim_cuda_templateIjEESt5tupleIJNS8_6TensorESD_SD_EERKSD_lbbbEUlllE1_EE10hipError_tPvRmT2_T3_mT4_P12ihipStream_tbEUlT_E_NS1_11comp_targetILNS1_3genE5ELNS1_11target_archE942ELNS1_3gpuE9ELNS1_3repE0EEENS1_30default_config_static_selectorELNS0_4arch9wavefront6targetE0EEEvT1_, .Lfunc_end1533-_ZN7rocprim17ROCPRIM_400000_NS6detail17trampoline_kernelINS0_14default_configENS1_35adjacent_difference_config_selectorILb1ElEEZNS1_24adjacent_difference_implIS3_Lb1ELb0EPlS7_ZN2at6native12_GLOBAL__N_124unique_dim_cuda_templateIjEESt5tupleIJNS8_6TensorESD_SD_EERKSD_lbbbEUlllE1_EE10hipError_tPvRmT2_T3_mT4_P12ihipStream_tbEUlT_E_NS1_11comp_targetILNS1_3genE5ELNS1_11target_archE942ELNS1_3gpuE9ELNS1_3repE0EEENS1_30default_config_static_selectorELNS0_4arch9wavefront6targetE0EEEvT1_
                                        ; -- End function
	.section	.AMDGPU.csdata,"",@progbits
; Kernel info:
; codeLenInByte = 0
; NumSgprs: 0
; NumVgprs: 0
; ScratchSize: 0
; MemoryBound: 0
; FloatMode: 240
; IeeeMode: 1
; LDSByteSize: 0 bytes/workgroup (compile time only)
; SGPRBlocks: 0
; VGPRBlocks: 0
; NumSGPRsForWavesPerEU: 1
; NumVGPRsForWavesPerEU: 1
; Occupancy: 16
; WaveLimiterHint : 0
; COMPUTE_PGM_RSRC2:SCRATCH_EN: 0
; COMPUTE_PGM_RSRC2:USER_SGPR: 15
; COMPUTE_PGM_RSRC2:TRAP_HANDLER: 0
; COMPUTE_PGM_RSRC2:TGID_X_EN: 1
; COMPUTE_PGM_RSRC2:TGID_Y_EN: 0
; COMPUTE_PGM_RSRC2:TGID_Z_EN: 0
; COMPUTE_PGM_RSRC2:TIDIG_COMP_CNT: 0
	.section	.text._ZN7rocprim17ROCPRIM_400000_NS6detail17trampoline_kernelINS0_14default_configENS1_35adjacent_difference_config_selectorILb1ElEEZNS1_24adjacent_difference_implIS3_Lb1ELb0EPlS7_ZN2at6native12_GLOBAL__N_124unique_dim_cuda_templateIjEESt5tupleIJNS8_6TensorESD_SD_EERKSD_lbbbEUlllE1_EE10hipError_tPvRmT2_T3_mT4_P12ihipStream_tbEUlT_E_NS1_11comp_targetILNS1_3genE4ELNS1_11target_archE910ELNS1_3gpuE8ELNS1_3repE0EEENS1_30default_config_static_selectorELNS0_4arch9wavefront6targetE0EEEvT1_,"axG",@progbits,_ZN7rocprim17ROCPRIM_400000_NS6detail17trampoline_kernelINS0_14default_configENS1_35adjacent_difference_config_selectorILb1ElEEZNS1_24adjacent_difference_implIS3_Lb1ELb0EPlS7_ZN2at6native12_GLOBAL__N_124unique_dim_cuda_templateIjEESt5tupleIJNS8_6TensorESD_SD_EERKSD_lbbbEUlllE1_EE10hipError_tPvRmT2_T3_mT4_P12ihipStream_tbEUlT_E_NS1_11comp_targetILNS1_3genE4ELNS1_11target_archE910ELNS1_3gpuE8ELNS1_3repE0EEENS1_30default_config_static_selectorELNS0_4arch9wavefront6targetE0EEEvT1_,comdat
	.globl	_ZN7rocprim17ROCPRIM_400000_NS6detail17trampoline_kernelINS0_14default_configENS1_35adjacent_difference_config_selectorILb1ElEEZNS1_24adjacent_difference_implIS3_Lb1ELb0EPlS7_ZN2at6native12_GLOBAL__N_124unique_dim_cuda_templateIjEESt5tupleIJNS8_6TensorESD_SD_EERKSD_lbbbEUlllE1_EE10hipError_tPvRmT2_T3_mT4_P12ihipStream_tbEUlT_E_NS1_11comp_targetILNS1_3genE4ELNS1_11target_archE910ELNS1_3gpuE8ELNS1_3repE0EEENS1_30default_config_static_selectorELNS0_4arch9wavefront6targetE0EEEvT1_ ; -- Begin function _ZN7rocprim17ROCPRIM_400000_NS6detail17trampoline_kernelINS0_14default_configENS1_35adjacent_difference_config_selectorILb1ElEEZNS1_24adjacent_difference_implIS3_Lb1ELb0EPlS7_ZN2at6native12_GLOBAL__N_124unique_dim_cuda_templateIjEESt5tupleIJNS8_6TensorESD_SD_EERKSD_lbbbEUlllE1_EE10hipError_tPvRmT2_T3_mT4_P12ihipStream_tbEUlT_E_NS1_11comp_targetILNS1_3genE4ELNS1_11target_archE910ELNS1_3gpuE8ELNS1_3repE0EEENS1_30default_config_static_selectorELNS0_4arch9wavefront6targetE0EEEvT1_
	.p2align	8
	.type	_ZN7rocprim17ROCPRIM_400000_NS6detail17trampoline_kernelINS0_14default_configENS1_35adjacent_difference_config_selectorILb1ElEEZNS1_24adjacent_difference_implIS3_Lb1ELb0EPlS7_ZN2at6native12_GLOBAL__N_124unique_dim_cuda_templateIjEESt5tupleIJNS8_6TensorESD_SD_EERKSD_lbbbEUlllE1_EE10hipError_tPvRmT2_T3_mT4_P12ihipStream_tbEUlT_E_NS1_11comp_targetILNS1_3genE4ELNS1_11target_archE910ELNS1_3gpuE8ELNS1_3repE0EEENS1_30default_config_static_selectorELNS0_4arch9wavefront6targetE0EEEvT1_,@function
_ZN7rocprim17ROCPRIM_400000_NS6detail17trampoline_kernelINS0_14default_configENS1_35adjacent_difference_config_selectorILb1ElEEZNS1_24adjacent_difference_implIS3_Lb1ELb0EPlS7_ZN2at6native12_GLOBAL__N_124unique_dim_cuda_templateIjEESt5tupleIJNS8_6TensorESD_SD_EERKSD_lbbbEUlllE1_EE10hipError_tPvRmT2_T3_mT4_P12ihipStream_tbEUlT_E_NS1_11comp_targetILNS1_3genE4ELNS1_11target_archE910ELNS1_3gpuE8ELNS1_3repE0EEENS1_30default_config_static_selectorELNS0_4arch9wavefront6targetE0EEEvT1_: ; @_ZN7rocprim17ROCPRIM_400000_NS6detail17trampoline_kernelINS0_14default_configENS1_35adjacent_difference_config_selectorILb1ElEEZNS1_24adjacent_difference_implIS3_Lb1ELb0EPlS7_ZN2at6native12_GLOBAL__N_124unique_dim_cuda_templateIjEESt5tupleIJNS8_6TensorESD_SD_EERKSD_lbbbEUlllE1_EE10hipError_tPvRmT2_T3_mT4_P12ihipStream_tbEUlT_E_NS1_11comp_targetILNS1_3genE4ELNS1_11target_archE910ELNS1_3gpuE8ELNS1_3repE0EEENS1_30default_config_static_selectorELNS0_4arch9wavefront6targetE0EEEvT1_
; %bb.0:
	.section	.rodata,"a",@progbits
	.p2align	6, 0x0
	.amdhsa_kernel _ZN7rocprim17ROCPRIM_400000_NS6detail17trampoline_kernelINS0_14default_configENS1_35adjacent_difference_config_selectorILb1ElEEZNS1_24adjacent_difference_implIS3_Lb1ELb0EPlS7_ZN2at6native12_GLOBAL__N_124unique_dim_cuda_templateIjEESt5tupleIJNS8_6TensorESD_SD_EERKSD_lbbbEUlllE1_EE10hipError_tPvRmT2_T3_mT4_P12ihipStream_tbEUlT_E_NS1_11comp_targetILNS1_3genE4ELNS1_11target_archE910ELNS1_3gpuE8ELNS1_3repE0EEENS1_30default_config_static_selectorELNS0_4arch9wavefront6targetE0EEEvT1_
		.amdhsa_group_segment_fixed_size 0
		.amdhsa_private_segment_fixed_size 0
		.amdhsa_kernarg_size 64
		.amdhsa_user_sgpr_count 15
		.amdhsa_user_sgpr_dispatch_ptr 0
		.amdhsa_user_sgpr_queue_ptr 0
		.amdhsa_user_sgpr_kernarg_segment_ptr 1
		.amdhsa_user_sgpr_dispatch_id 0
		.amdhsa_user_sgpr_private_segment_size 0
		.amdhsa_wavefront_size32 1
		.amdhsa_uses_dynamic_stack 0
		.amdhsa_enable_private_segment 0
		.amdhsa_system_sgpr_workgroup_id_x 1
		.amdhsa_system_sgpr_workgroup_id_y 0
		.amdhsa_system_sgpr_workgroup_id_z 0
		.amdhsa_system_sgpr_workgroup_info 0
		.amdhsa_system_vgpr_workitem_id 0
		.amdhsa_next_free_vgpr 1
		.amdhsa_next_free_sgpr 1
		.amdhsa_reserve_vcc 0
		.amdhsa_float_round_mode_32 0
		.amdhsa_float_round_mode_16_64 0
		.amdhsa_float_denorm_mode_32 3
		.amdhsa_float_denorm_mode_16_64 3
		.amdhsa_dx10_clamp 1
		.amdhsa_ieee_mode 1
		.amdhsa_fp16_overflow 0
		.amdhsa_workgroup_processor_mode 1
		.amdhsa_memory_ordered 1
		.amdhsa_forward_progress 0
		.amdhsa_shared_vgpr_count 0
		.amdhsa_exception_fp_ieee_invalid_op 0
		.amdhsa_exception_fp_denorm_src 0
		.amdhsa_exception_fp_ieee_div_zero 0
		.amdhsa_exception_fp_ieee_overflow 0
		.amdhsa_exception_fp_ieee_underflow 0
		.amdhsa_exception_fp_ieee_inexact 0
		.amdhsa_exception_int_div_zero 0
	.end_amdhsa_kernel
	.section	.text._ZN7rocprim17ROCPRIM_400000_NS6detail17trampoline_kernelINS0_14default_configENS1_35adjacent_difference_config_selectorILb1ElEEZNS1_24adjacent_difference_implIS3_Lb1ELb0EPlS7_ZN2at6native12_GLOBAL__N_124unique_dim_cuda_templateIjEESt5tupleIJNS8_6TensorESD_SD_EERKSD_lbbbEUlllE1_EE10hipError_tPvRmT2_T3_mT4_P12ihipStream_tbEUlT_E_NS1_11comp_targetILNS1_3genE4ELNS1_11target_archE910ELNS1_3gpuE8ELNS1_3repE0EEENS1_30default_config_static_selectorELNS0_4arch9wavefront6targetE0EEEvT1_,"axG",@progbits,_ZN7rocprim17ROCPRIM_400000_NS6detail17trampoline_kernelINS0_14default_configENS1_35adjacent_difference_config_selectorILb1ElEEZNS1_24adjacent_difference_implIS3_Lb1ELb0EPlS7_ZN2at6native12_GLOBAL__N_124unique_dim_cuda_templateIjEESt5tupleIJNS8_6TensorESD_SD_EERKSD_lbbbEUlllE1_EE10hipError_tPvRmT2_T3_mT4_P12ihipStream_tbEUlT_E_NS1_11comp_targetILNS1_3genE4ELNS1_11target_archE910ELNS1_3gpuE8ELNS1_3repE0EEENS1_30default_config_static_selectorELNS0_4arch9wavefront6targetE0EEEvT1_,comdat
.Lfunc_end1534:
	.size	_ZN7rocprim17ROCPRIM_400000_NS6detail17trampoline_kernelINS0_14default_configENS1_35adjacent_difference_config_selectorILb1ElEEZNS1_24adjacent_difference_implIS3_Lb1ELb0EPlS7_ZN2at6native12_GLOBAL__N_124unique_dim_cuda_templateIjEESt5tupleIJNS8_6TensorESD_SD_EERKSD_lbbbEUlllE1_EE10hipError_tPvRmT2_T3_mT4_P12ihipStream_tbEUlT_E_NS1_11comp_targetILNS1_3genE4ELNS1_11target_archE910ELNS1_3gpuE8ELNS1_3repE0EEENS1_30default_config_static_selectorELNS0_4arch9wavefront6targetE0EEEvT1_, .Lfunc_end1534-_ZN7rocprim17ROCPRIM_400000_NS6detail17trampoline_kernelINS0_14default_configENS1_35adjacent_difference_config_selectorILb1ElEEZNS1_24adjacent_difference_implIS3_Lb1ELb0EPlS7_ZN2at6native12_GLOBAL__N_124unique_dim_cuda_templateIjEESt5tupleIJNS8_6TensorESD_SD_EERKSD_lbbbEUlllE1_EE10hipError_tPvRmT2_T3_mT4_P12ihipStream_tbEUlT_E_NS1_11comp_targetILNS1_3genE4ELNS1_11target_archE910ELNS1_3gpuE8ELNS1_3repE0EEENS1_30default_config_static_selectorELNS0_4arch9wavefront6targetE0EEEvT1_
                                        ; -- End function
	.section	.AMDGPU.csdata,"",@progbits
; Kernel info:
; codeLenInByte = 0
; NumSgprs: 0
; NumVgprs: 0
; ScratchSize: 0
; MemoryBound: 0
; FloatMode: 240
; IeeeMode: 1
; LDSByteSize: 0 bytes/workgroup (compile time only)
; SGPRBlocks: 0
; VGPRBlocks: 0
; NumSGPRsForWavesPerEU: 1
; NumVGPRsForWavesPerEU: 1
; Occupancy: 16
; WaveLimiterHint : 0
; COMPUTE_PGM_RSRC2:SCRATCH_EN: 0
; COMPUTE_PGM_RSRC2:USER_SGPR: 15
; COMPUTE_PGM_RSRC2:TRAP_HANDLER: 0
; COMPUTE_PGM_RSRC2:TGID_X_EN: 1
; COMPUTE_PGM_RSRC2:TGID_Y_EN: 0
; COMPUTE_PGM_RSRC2:TGID_Z_EN: 0
; COMPUTE_PGM_RSRC2:TIDIG_COMP_CNT: 0
	.section	.text._ZN7rocprim17ROCPRIM_400000_NS6detail17trampoline_kernelINS0_14default_configENS1_35adjacent_difference_config_selectorILb1ElEEZNS1_24adjacent_difference_implIS3_Lb1ELb0EPlS7_ZN2at6native12_GLOBAL__N_124unique_dim_cuda_templateIjEESt5tupleIJNS8_6TensorESD_SD_EERKSD_lbbbEUlllE1_EE10hipError_tPvRmT2_T3_mT4_P12ihipStream_tbEUlT_E_NS1_11comp_targetILNS1_3genE3ELNS1_11target_archE908ELNS1_3gpuE7ELNS1_3repE0EEENS1_30default_config_static_selectorELNS0_4arch9wavefront6targetE0EEEvT1_,"axG",@progbits,_ZN7rocprim17ROCPRIM_400000_NS6detail17trampoline_kernelINS0_14default_configENS1_35adjacent_difference_config_selectorILb1ElEEZNS1_24adjacent_difference_implIS3_Lb1ELb0EPlS7_ZN2at6native12_GLOBAL__N_124unique_dim_cuda_templateIjEESt5tupleIJNS8_6TensorESD_SD_EERKSD_lbbbEUlllE1_EE10hipError_tPvRmT2_T3_mT4_P12ihipStream_tbEUlT_E_NS1_11comp_targetILNS1_3genE3ELNS1_11target_archE908ELNS1_3gpuE7ELNS1_3repE0EEENS1_30default_config_static_selectorELNS0_4arch9wavefront6targetE0EEEvT1_,comdat
	.globl	_ZN7rocprim17ROCPRIM_400000_NS6detail17trampoline_kernelINS0_14default_configENS1_35adjacent_difference_config_selectorILb1ElEEZNS1_24adjacent_difference_implIS3_Lb1ELb0EPlS7_ZN2at6native12_GLOBAL__N_124unique_dim_cuda_templateIjEESt5tupleIJNS8_6TensorESD_SD_EERKSD_lbbbEUlllE1_EE10hipError_tPvRmT2_T3_mT4_P12ihipStream_tbEUlT_E_NS1_11comp_targetILNS1_3genE3ELNS1_11target_archE908ELNS1_3gpuE7ELNS1_3repE0EEENS1_30default_config_static_selectorELNS0_4arch9wavefront6targetE0EEEvT1_ ; -- Begin function _ZN7rocprim17ROCPRIM_400000_NS6detail17trampoline_kernelINS0_14default_configENS1_35adjacent_difference_config_selectorILb1ElEEZNS1_24adjacent_difference_implIS3_Lb1ELb0EPlS7_ZN2at6native12_GLOBAL__N_124unique_dim_cuda_templateIjEESt5tupleIJNS8_6TensorESD_SD_EERKSD_lbbbEUlllE1_EE10hipError_tPvRmT2_T3_mT4_P12ihipStream_tbEUlT_E_NS1_11comp_targetILNS1_3genE3ELNS1_11target_archE908ELNS1_3gpuE7ELNS1_3repE0EEENS1_30default_config_static_selectorELNS0_4arch9wavefront6targetE0EEEvT1_
	.p2align	8
	.type	_ZN7rocprim17ROCPRIM_400000_NS6detail17trampoline_kernelINS0_14default_configENS1_35adjacent_difference_config_selectorILb1ElEEZNS1_24adjacent_difference_implIS3_Lb1ELb0EPlS7_ZN2at6native12_GLOBAL__N_124unique_dim_cuda_templateIjEESt5tupleIJNS8_6TensorESD_SD_EERKSD_lbbbEUlllE1_EE10hipError_tPvRmT2_T3_mT4_P12ihipStream_tbEUlT_E_NS1_11comp_targetILNS1_3genE3ELNS1_11target_archE908ELNS1_3gpuE7ELNS1_3repE0EEENS1_30default_config_static_selectorELNS0_4arch9wavefront6targetE0EEEvT1_,@function
_ZN7rocprim17ROCPRIM_400000_NS6detail17trampoline_kernelINS0_14default_configENS1_35adjacent_difference_config_selectorILb1ElEEZNS1_24adjacent_difference_implIS3_Lb1ELb0EPlS7_ZN2at6native12_GLOBAL__N_124unique_dim_cuda_templateIjEESt5tupleIJNS8_6TensorESD_SD_EERKSD_lbbbEUlllE1_EE10hipError_tPvRmT2_T3_mT4_P12ihipStream_tbEUlT_E_NS1_11comp_targetILNS1_3genE3ELNS1_11target_archE908ELNS1_3gpuE7ELNS1_3repE0EEENS1_30default_config_static_selectorELNS0_4arch9wavefront6targetE0EEEvT1_: ; @_ZN7rocprim17ROCPRIM_400000_NS6detail17trampoline_kernelINS0_14default_configENS1_35adjacent_difference_config_selectorILb1ElEEZNS1_24adjacent_difference_implIS3_Lb1ELb0EPlS7_ZN2at6native12_GLOBAL__N_124unique_dim_cuda_templateIjEESt5tupleIJNS8_6TensorESD_SD_EERKSD_lbbbEUlllE1_EE10hipError_tPvRmT2_T3_mT4_P12ihipStream_tbEUlT_E_NS1_11comp_targetILNS1_3genE3ELNS1_11target_archE908ELNS1_3gpuE7ELNS1_3repE0EEENS1_30default_config_static_selectorELNS0_4arch9wavefront6targetE0EEEvT1_
; %bb.0:
	.section	.rodata,"a",@progbits
	.p2align	6, 0x0
	.amdhsa_kernel _ZN7rocprim17ROCPRIM_400000_NS6detail17trampoline_kernelINS0_14default_configENS1_35adjacent_difference_config_selectorILb1ElEEZNS1_24adjacent_difference_implIS3_Lb1ELb0EPlS7_ZN2at6native12_GLOBAL__N_124unique_dim_cuda_templateIjEESt5tupleIJNS8_6TensorESD_SD_EERKSD_lbbbEUlllE1_EE10hipError_tPvRmT2_T3_mT4_P12ihipStream_tbEUlT_E_NS1_11comp_targetILNS1_3genE3ELNS1_11target_archE908ELNS1_3gpuE7ELNS1_3repE0EEENS1_30default_config_static_selectorELNS0_4arch9wavefront6targetE0EEEvT1_
		.amdhsa_group_segment_fixed_size 0
		.amdhsa_private_segment_fixed_size 0
		.amdhsa_kernarg_size 64
		.amdhsa_user_sgpr_count 15
		.amdhsa_user_sgpr_dispatch_ptr 0
		.amdhsa_user_sgpr_queue_ptr 0
		.amdhsa_user_sgpr_kernarg_segment_ptr 1
		.amdhsa_user_sgpr_dispatch_id 0
		.amdhsa_user_sgpr_private_segment_size 0
		.amdhsa_wavefront_size32 1
		.amdhsa_uses_dynamic_stack 0
		.amdhsa_enable_private_segment 0
		.amdhsa_system_sgpr_workgroup_id_x 1
		.amdhsa_system_sgpr_workgroup_id_y 0
		.amdhsa_system_sgpr_workgroup_id_z 0
		.amdhsa_system_sgpr_workgroup_info 0
		.amdhsa_system_vgpr_workitem_id 0
		.amdhsa_next_free_vgpr 1
		.amdhsa_next_free_sgpr 1
		.amdhsa_reserve_vcc 0
		.amdhsa_float_round_mode_32 0
		.amdhsa_float_round_mode_16_64 0
		.amdhsa_float_denorm_mode_32 3
		.amdhsa_float_denorm_mode_16_64 3
		.amdhsa_dx10_clamp 1
		.amdhsa_ieee_mode 1
		.amdhsa_fp16_overflow 0
		.amdhsa_workgroup_processor_mode 1
		.amdhsa_memory_ordered 1
		.amdhsa_forward_progress 0
		.amdhsa_shared_vgpr_count 0
		.amdhsa_exception_fp_ieee_invalid_op 0
		.amdhsa_exception_fp_denorm_src 0
		.amdhsa_exception_fp_ieee_div_zero 0
		.amdhsa_exception_fp_ieee_overflow 0
		.amdhsa_exception_fp_ieee_underflow 0
		.amdhsa_exception_fp_ieee_inexact 0
		.amdhsa_exception_int_div_zero 0
	.end_amdhsa_kernel
	.section	.text._ZN7rocprim17ROCPRIM_400000_NS6detail17trampoline_kernelINS0_14default_configENS1_35adjacent_difference_config_selectorILb1ElEEZNS1_24adjacent_difference_implIS3_Lb1ELb0EPlS7_ZN2at6native12_GLOBAL__N_124unique_dim_cuda_templateIjEESt5tupleIJNS8_6TensorESD_SD_EERKSD_lbbbEUlllE1_EE10hipError_tPvRmT2_T3_mT4_P12ihipStream_tbEUlT_E_NS1_11comp_targetILNS1_3genE3ELNS1_11target_archE908ELNS1_3gpuE7ELNS1_3repE0EEENS1_30default_config_static_selectorELNS0_4arch9wavefront6targetE0EEEvT1_,"axG",@progbits,_ZN7rocprim17ROCPRIM_400000_NS6detail17trampoline_kernelINS0_14default_configENS1_35adjacent_difference_config_selectorILb1ElEEZNS1_24adjacent_difference_implIS3_Lb1ELb0EPlS7_ZN2at6native12_GLOBAL__N_124unique_dim_cuda_templateIjEESt5tupleIJNS8_6TensorESD_SD_EERKSD_lbbbEUlllE1_EE10hipError_tPvRmT2_T3_mT4_P12ihipStream_tbEUlT_E_NS1_11comp_targetILNS1_3genE3ELNS1_11target_archE908ELNS1_3gpuE7ELNS1_3repE0EEENS1_30default_config_static_selectorELNS0_4arch9wavefront6targetE0EEEvT1_,comdat
.Lfunc_end1535:
	.size	_ZN7rocprim17ROCPRIM_400000_NS6detail17trampoline_kernelINS0_14default_configENS1_35adjacent_difference_config_selectorILb1ElEEZNS1_24adjacent_difference_implIS3_Lb1ELb0EPlS7_ZN2at6native12_GLOBAL__N_124unique_dim_cuda_templateIjEESt5tupleIJNS8_6TensorESD_SD_EERKSD_lbbbEUlllE1_EE10hipError_tPvRmT2_T3_mT4_P12ihipStream_tbEUlT_E_NS1_11comp_targetILNS1_3genE3ELNS1_11target_archE908ELNS1_3gpuE7ELNS1_3repE0EEENS1_30default_config_static_selectorELNS0_4arch9wavefront6targetE0EEEvT1_, .Lfunc_end1535-_ZN7rocprim17ROCPRIM_400000_NS6detail17trampoline_kernelINS0_14default_configENS1_35adjacent_difference_config_selectorILb1ElEEZNS1_24adjacent_difference_implIS3_Lb1ELb0EPlS7_ZN2at6native12_GLOBAL__N_124unique_dim_cuda_templateIjEESt5tupleIJNS8_6TensorESD_SD_EERKSD_lbbbEUlllE1_EE10hipError_tPvRmT2_T3_mT4_P12ihipStream_tbEUlT_E_NS1_11comp_targetILNS1_3genE3ELNS1_11target_archE908ELNS1_3gpuE7ELNS1_3repE0EEENS1_30default_config_static_selectorELNS0_4arch9wavefront6targetE0EEEvT1_
                                        ; -- End function
	.section	.AMDGPU.csdata,"",@progbits
; Kernel info:
; codeLenInByte = 0
; NumSgprs: 0
; NumVgprs: 0
; ScratchSize: 0
; MemoryBound: 0
; FloatMode: 240
; IeeeMode: 1
; LDSByteSize: 0 bytes/workgroup (compile time only)
; SGPRBlocks: 0
; VGPRBlocks: 0
; NumSGPRsForWavesPerEU: 1
; NumVGPRsForWavesPerEU: 1
; Occupancy: 16
; WaveLimiterHint : 0
; COMPUTE_PGM_RSRC2:SCRATCH_EN: 0
; COMPUTE_PGM_RSRC2:USER_SGPR: 15
; COMPUTE_PGM_RSRC2:TRAP_HANDLER: 0
; COMPUTE_PGM_RSRC2:TGID_X_EN: 1
; COMPUTE_PGM_RSRC2:TGID_Y_EN: 0
; COMPUTE_PGM_RSRC2:TGID_Z_EN: 0
; COMPUTE_PGM_RSRC2:TIDIG_COMP_CNT: 0
	.section	.text._ZN7rocprim17ROCPRIM_400000_NS6detail17trampoline_kernelINS0_14default_configENS1_35adjacent_difference_config_selectorILb1ElEEZNS1_24adjacent_difference_implIS3_Lb1ELb0EPlS7_ZN2at6native12_GLOBAL__N_124unique_dim_cuda_templateIjEESt5tupleIJNS8_6TensorESD_SD_EERKSD_lbbbEUlllE1_EE10hipError_tPvRmT2_T3_mT4_P12ihipStream_tbEUlT_E_NS1_11comp_targetILNS1_3genE2ELNS1_11target_archE906ELNS1_3gpuE6ELNS1_3repE0EEENS1_30default_config_static_selectorELNS0_4arch9wavefront6targetE0EEEvT1_,"axG",@progbits,_ZN7rocprim17ROCPRIM_400000_NS6detail17trampoline_kernelINS0_14default_configENS1_35adjacent_difference_config_selectorILb1ElEEZNS1_24adjacent_difference_implIS3_Lb1ELb0EPlS7_ZN2at6native12_GLOBAL__N_124unique_dim_cuda_templateIjEESt5tupleIJNS8_6TensorESD_SD_EERKSD_lbbbEUlllE1_EE10hipError_tPvRmT2_T3_mT4_P12ihipStream_tbEUlT_E_NS1_11comp_targetILNS1_3genE2ELNS1_11target_archE906ELNS1_3gpuE6ELNS1_3repE0EEENS1_30default_config_static_selectorELNS0_4arch9wavefront6targetE0EEEvT1_,comdat
	.globl	_ZN7rocprim17ROCPRIM_400000_NS6detail17trampoline_kernelINS0_14default_configENS1_35adjacent_difference_config_selectorILb1ElEEZNS1_24adjacent_difference_implIS3_Lb1ELb0EPlS7_ZN2at6native12_GLOBAL__N_124unique_dim_cuda_templateIjEESt5tupleIJNS8_6TensorESD_SD_EERKSD_lbbbEUlllE1_EE10hipError_tPvRmT2_T3_mT4_P12ihipStream_tbEUlT_E_NS1_11comp_targetILNS1_3genE2ELNS1_11target_archE906ELNS1_3gpuE6ELNS1_3repE0EEENS1_30default_config_static_selectorELNS0_4arch9wavefront6targetE0EEEvT1_ ; -- Begin function _ZN7rocprim17ROCPRIM_400000_NS6detail17trampoline_kernelINS0_14default_configENS1_35adjacent_difference_config_selectorILb1ElEEZNS1_24adjacent_difference_implIS3_Lb1ELb0EPlS7_ZN2at6native12_GLOBAL__N_124unique_dim_cuda_templateIjEESt5tupleIJNS8_6TensorESD_SD_EERKSD_lbbbEUlllE1_EE10hipError_tPvRmT2_T3_mT4_P12ihipStream_tbEUlT_E_NS1_11comp_targetILNS1_3genE2ELNS1_11target_archE906ELNS1_3gpuE6ELNS1_3repE0EEENS1_30default_config_static_selectorELNS0_4arch9wavefront6targetE0EEEvT1_
	.p2align	8
	.type	_ZN7rocprim17ROCPRIM_400000_NS6detail17trampoline_kernelINS0_14default_configENS1_35adjacent_difference_config_selectorILb1ElEEZNS1_24adjacent_difference_implIS3_Lb1ELb0EPlS7_ZN2at6native12_GLOBAL__N_124unique_dim_cuda_templateIjEESt5tupleIJNS8_6TensorESD_SD_EERKSD_lbbbEUlllE1_EE10hipError_tPvRmT2_T3_mT4_P12ihipStream_tbEUlT_E_NS1_11comp_targetILNS1_3genE2ELNS1_11target_archE906ELNS1_3gpuE6ELNS1_3repE0EEENS1_30default_config_static_selectorELNS0_4arch9wavefront6targetE0EEEvT1_,@function
_ZN7rocprim17ROCPRIM_400000_NS6detail17trampoline_kernelINS0_14default_configENS1_35adjacent_difference_config_selectorILb1ElEEZNS1_24adjacent_difference_implIS3_Lb1ELb0EPlS7_ZN2at6native12_GLOBAL__N_124unique_dim_cuda_templateIjEESt5tupleIJNS8_6TensorESD_SD_EERKSD_lbbbEUlllE1_EE10hipError_tPvRmT2_T3_mT4_P12ihipStream_tbEUlT_E_NS1_11comp_targetILNS1_3genE2ELNS1_11target_archE906ELNS1_3gpuE6ELNS1_3repE0EEENS1_30default_config_static_selectorELNS0_4arch9wavefront6targetE0EEEvT1_: ; @_ZN7rocprim17ROCPRIM_400000_NS6detail17trampoline_kernelINS0_14default_configENS1_35adjacent_difference_config_selectorILb1ElEEZNS1_24adjacent_difference_implIS3_Lb1ELb0EPlS7_ZN2at6native12_GLOBAL__N_124unique_dim_cuda_templateIjEESt5tupleIJNS8_6TensorESD_SD_EERKSD_lbbbEUlllE1_EE10hipError_tPvRmT2_T3_mT4_P12ihipStream_tbEUlT_E_NS1_11comp_targetILNS1_3genE2ELNS1_11target_archE906ELNS1_3gpuE6ELNS1_3repE0EEENS1_30default_config_static_selectorELNS0_4arch9wavefront6targetE0EEEvT1_
; %bb.0:
	.section	.rodata,"a",@progbits
	.p2align	6, 0x0
	.amdhsa_kernel _ZN7rocprim17ROCPRIM_400000_NS6detail17trampoline_kernelINS0_14default_configENS1_35adjacent_difference_config_selectorILb1ElEEZNS1_24adjacent_difference_implIS3_Lb1ELb0EPlS7_ZN2at6native12_GLOBAL__N_124unique_dim_cuda_templateIjEESt5tupleIJNS8_6TensorESD_SD_EERKSD_lbbbEUlllE1_EE10hipError_tPvRmT2_T3_mT4_P12ihipStream_tbEUlT_E_NS1_11comp_targetILNS1_3genE2ELNS1_11target_archE906ELNS1_3gpuE6ELNS1_3repE0EEENS1_30default_config_static_selectorELNS0_4arch9wavefront6targetE0EEEvT1_
		.amdhsa_group_segment_fixed_size 0
		.amdhsa_private_segment_fixed_size 0
		.amdhsa_kernarg_size 64
		.amdhsa_user_sgpr_count 15
		.amdhsa_user_sgpr_dispatch_ptr 0
		.amdhsa_user_sgpr_queue_ptr 0
		.amdhsa_user_sgpr_kernarg_segment_ptr 1
		.amdhsa_user_sgpr_dispatch_id 0
		.amdhsa_user_sgpr_private_segment_size 0
		.amdhsa_wavefront_size32 1
		.amdhsa_uses_dynamic_stack 0
		.amdhsa_enable_private_segment 0
		.amdhsa_system_sgpr_workgroup_id_x 1
		.amdhsa_system_sgpr_workgroup_id_y 0
		.amdhsa_system_sgpr_workgroup_id_z 0
		.amdhsa_system_sgpr_workgroup_info 0
		.amdhsa_system_vgpr_workitem_id 0
		.amdhsa_next_free_vgpr 1
		.amdhsa_next_free_sgpr 1
		.amdhsa_reserve_vcc 0
		.amdhsa_float_round_mode_32 0
		.amdhsa_float_round_mode_16_64 0
		.amdhsa_float_denorm_mode_32 3
		.amdhsa_float_denorm_mode_16_64 3
		.amdhsa_dx10_clamp 1
		.amdhsa_ieee_mode 1
		.amdhsa_fp16_overflow 0
		.amdhsa_workgroup_processor_mode 1
		.amdhsa_memory_ordered 1
		.amdhsa_forward_progress 0
		.amdhsa_shared_vgpr_count 0
		.amdhsa_exception_fp_ieee_invalid_op 0
		.amdhsa_exception_fp_denorm_src 0
		.amdhsa_exception_fp_ieee_div_zero 0
		.amdhsa_exception_fp_ieee_overflow 0
		.amdhsa_exception_fp_ieee_underflow 0
		.amdhsa_exception_fp_ieee_inexact 0
		.amdhsa_exception_int_div_zero 0
	.end_amdhsa_kernel
	.section	.text._ZN7rocprim17ROCPRIM_400000_NS6detail17trampoline_kernelINS0_14default_configENS1_35adjacent_difference_config_selectorILb1ElEEZNS1_24adjacent_difference_implIS3_Lb1ELb0EPlS7_ZN2at6native12_GLOBAL__N_124unique_dim_cuda_templateIjEESt5tupleIJNS8_6TensorESD_SD_EERKSD_lbbbEUlllE1_EE10hipError_tPvRmT2_T3_mT4_P12ihipStream_tbEUlT_E_NS1_11comp_targetILNS1_3genE2ELNS1_11target_archE906ELNS1_3gpuE6ELNS1_3repE0EEENS1_30default_config_static_selectorELNS0_4arch9wavefront6targetE0EEEvT1_,"axG",@progbits,_ZN7rocprim17ROCPRIM_400000_NS6detail17trampoline_kernelINS0_14default_configENS1_35adjacent_difference_config_selectorILb1ElEEZNS1_24adjacent_difference_implIS3_Lb1ELb0EPlS7_ZN2at6native12_GLOBAL__N_124unique_dim_cuda_templateIjEESt5tupleIJNS8_6TensorESD_SD_EERKSD_lbbbEUlllE1_EE10hipError_tPvRmT2_T3_mT4_P12ihipStream_tbEUlT_E_NS1_11comp_targetILNS1_3genE2ELNS1_11target_archE906ELNS1_3gpuE6ELNS1_3repE0EEENS1_30default_config_static_selectorELNS0_4arch9wavefront6targetE0EEEvT1_,comdat
.Lfunc_end1536:
	.size	_ZN7rocprim17ROCPRIM_400000_NS6detail17trampoline_kernelINS0_14default_configENS1_35adjacent_difference_config_selectorILb1ElEEZNS1_24adjacent_difference_implIS3_Lb1ELb0EPlS7_ZN2at6native12_GLOBAL__N_124unique_dim_cuda_templateIjEESt5tupleIJNS8_6TensorESD_SD_EERKSD_lbbbEUlllE1_EE10hipError_tPvRmT2_T3_mT4_P12ihipStream_tbEUlT_E_NS1_11comp_targetILNS1_3genE2ELNS1_11target_archE906ELNS1_3gpuE6ELNS1_3repE0EEENS1_30default_config_static_selectorELNS0_4arch9wavefront6targetE0EEEvT1_, .Lfunc_end1536-_ZN7rocprim17ROCPRIM_400000_NS6detail17trampoline_kernelINS0_14default_configENS1_35adjacent_difference_config_selectorILb1ElEEZNS1_24adjacent_difference_implIS3_Lb1ELb0EPlS7_ZN2at6native12_GLOBAL__N_124unique_dim_cuda_templateIjEESt5tupleIJNS8_6TensorESD_SD_EERKSD_lbbbEUlllE1_EE10hipError_tPvRmT2_T3_mT4_P12ihipStream_tbEUlT_E_NS1_11comp_targetILNS1_3genE2ELNS1_11target_archE906ELNS1_3gpuE6ELNS1_3repE0EEENS1_30default_config_static_selectorELNS0_4arch9wavefront6targetE0EEEvT1_
                                        ; -- End function
	.section	.AMDGPU.csdata,"",@progbits
; Kernel info:
; codeLenInByte = 0
; NumSgprs: 0
; NumVgprs: 0
; ScratchSize: 0
; MemoryBound: 0
; FloatMode: 240
; IeeeMode: 1
; LDSByteSize: 0 bytes/workgroup (compile time only)
; SGPRBlocks: 0
; VGPRBlocks: 0
; NumSGPRsForWavesPerEU: 1
; NumVGPRsForWavesPerEU: 1
; Occupancy: 16
; WaveLimiterHint : 0
; COMPUTE_PGM_RSRC2:SCRATCH_EN: 0
; COMPUTE_PGM_RSRC2:USER_SGPR: 15
; COMPUTE_PGM_RSRC2:TRAP_HANDLER: 0
; COMPUTE_PGM_RSRC2:TGID_X_EN: 1
; COMPUTE_PGM_RSRC2:TGID_Y_EN: 0
; COMPUTE_PGM_RSRC2:TGID_Z_EN: 0
; COMPUTE_PGM_RSRC2:TIDIG_COMP_CNT: 0
	.section	.text._ZN7rocprim17ROCPRIM_400000_NS6detail17trampoline_kernelINS0_14default_configENS1_35adjacent_difference_config_selectorILb1ElEEZNS1_24adjacent_difference_implIS3_Lb1ELb0EPlS7_ZN2at6native12_GLOBAL__N_124unique_dim_cuda_templateIjEESt5tupleIJNS8_6TensorESD_SD_EERKSD_lbbbEUlllE1_EE10hipError_tPvRmT2_T3_mT4_P12ihipStream_tbEUlT_E_NS1_11comp_targetILNS1_3genE9ELNS1_11target_archE1100ELNS1_3gpuE3ELNS1_3repE0EEENS1_30default_config_static_selectorELNS0_4arch9wavefront6targetE0EEEvT1_,"axG",@progbits,_ZN7rocprim17ROCPRIM_400000_NS6detail17trampoline_kernelINS0_14default_configENS1_35adjacent_difference_config_selectorILb1ElEEZNS1_24adjacent_difference_implIS3_Lb1ELb0EPlS7_ZN2at6native12_GLOBAL__N_124unique_dim_cuda_templateIjEESt5tupleIJNS8_6TensorESD_SD_EERKSD_lbbbEUlllE1_EE10hipError_tPvRmT2_T3_mT4_P12ihipStream_tbEUlT_E_NS1_11comp_targetILNS1_3genE9ELNS1_11target_archE1100ELNS1_3gpuE3ELNS1_3repE0EEENS1_30default_config_static_selectorELNS0_4arch9wavefront6targetE0EEEvT1_,comdat
	.globl	_ZN7rocprim17ROCPRIM_400000_NS6detail17trampoline_kernelINS0_14default_configENS1_35adjacent_difference_config_selectorILb1ElEEZNS1_24adjacent_difference_implIS3_Lb1ELb0EPlS7_ZN2at6native12_GLOBAL__N_124unique_dim_cuda_templateIjEESt5tupleIJNS8_6TensorESD_SD_EERKSD_lbbbEUlllE1_EE10hipError_tPvRmT2_T3_mT4_P12ihipStream_tbEUlT_E_NS1_11comp_targetILNS1_3genE9ELNS1_11target_archE1100ELNS1_3gpuE3ELNS1_3repE0EEENS1_30default_config_static_selectorELNS0_4arch9wavefront6targetE0EEEvT1_ ; -- Begin function _ZN7rocprim17ROCPRIM_400000_NS6detail17trampoline_kernelINS0_14default_configENS1_35adjacent_difference_config_selectorILb1ElEEZNS1_24adjacent_difference_implIS3_Lb1ELb0EPlS7_ZN2at6native12_GLOBAL__N_124unique_dim_cuda_templateIjEESt5tupleIJNS8_6TensorESD_SD_EERKSD_lbbbEUlllE1_EE10hipError_tPvRmT2_T3_mT4_P12ihipStream_tbEUlT_E_NS1_11comp_targetILNS1_3genE9ELNS1_11target_archE1100ELNS1_3gpuE3ELNS1_3repE0EEENS1_30default_config_static_selectorELNS0_4arch9wavefront6targetE0EEEvT1_
	.p2align	8
	.type	_ZN7rocprim17ROCPRIM_400000_NS6detail17trampoline_kernelINS0_14default_configENS1_35adjacent_difference_config_selectorILb1ElEEZNS1_24adjacent_difference_implIS3_Lb1ELb0EPlS7_ZN2at6native12_GLOBAL__N_124unique_dim_cuda_templateIjEESt5tupleIJNS8_6TensorESD_SD_EERKSD_lbbbEUlllE1_EE10hipError_tPvRmT2_T3_mT4_P12ihipStream_tbEUlT_E_NS1_11comp_targetILNS1_3genE9ELNS1_11target_archE1100ELNS1_3gpuE3ELNS1_3repE0EEENS1_30default_config_static_selectorELNS0_4arch9wavefront6targetE0EEEvT1_,@function
_ZN7rocprim17ROCPRIM_400000_NS6detail17trampoline_kernelINS0_14default_configENS1_35adjacent_difference_config_selectorILb1ElEEZNS1_24adjacent_difference_implIS3_Lb1ELb0EPlS7_ZN2at6native12_GLOBAL__N_124unique_dim_cuda_templateIjEESt5tupleIJNS8_6TensorESD_SD_EERKSD_lbbbEUlllE1_EE10hipError_tPvRmT2_T3_mT4_P12ihipStream_tbEUlT_E_NS1_11comp_targetILNS1_3genE9ELNS1_11target_archE1100ELNS1_3gpuE3ELNS1_3repE0EEENS1_30default_config_static_selectorELNS0_4arch9wavefront6targetE0EEEvT1_: ; @_ZN7rocprim17ROCPRIM_400000_NS6detail17trampoline_kernelINS0_14default_configENS1_35adjacent_difference_config_selectorILb1ElEEZNS1_24adjacent_difference_implIS3_Lb1ELb0EPlS7_ZN2at6native12_GLOBAL__N_124unique_dim_cuda_templateIjEESt5tupleIJNS8_6TensorESD_SD_EERKSD_lbbbEUlllE1_EE10hipError_tPvRmT2_T3_mT4_P12ihipStream_tbEUlT_E_NS1_11comp_targetILNS1_3genE9ELNS1_11target_archE1100ELNS1_3gpuE3ELNS1_3repE0EEENS1_30default_config_static_selectorELNS0_4arch9wavefront6targetE0EEEvT1_
; %bb.0:
	s_mov_b32 s22, s15
	s_load_b512 s[0:15], s[0:1], 0x0
	s_waitcnt lgkmcnt(0)
	s_lshl_b64 s[16:17], s[2:3], 3
	s_mov_b32 s2, 0x411a7a30
	s_add_u32 s27, s0, s16
	s_addc_u32 s28, s1, s17
	s_add_u32 s0, 0x76, s2
	s_addc_u32 s1, 0, 0
	v_add_co_u32 v1, s0, 0x20000000, s0
	s_delay_alu instid0(VALU_DEP_1) | instskip(SKIP_1) | instid1(VALU_DEP_1)
	s_cmp_lg_u32 s0, 0
	s_addc_u32 s1, s1, 0x11a7b9
	v_readfirstlane_b32 s0, v1
	s_mul_i32 s2, s1, 0xfffff180
	s_delay_alu instid0(VALU_DEP_1)
	s_mul_hi_u32 s3, s0, 0xfffff180
	s_mul_i32 s18, s0, 0xfffff180
	s_sub_i32 s3, s3, s0
	s_mul_hi_u32 s19, s0, s18
	s_add_i32 s3, s3, s2
	s_mul_hi_u32 s20, s1, s18
	s_mul_i32 s2, s1, s18
	s_mul_hi_u32 s18, s0, s3
	s_mul_i32 s0, s0, s3
	s_mul_hi_u32 s21, s1, s3
	s_add_u32 s0, s19, s0
	s_addc_u32 s18, 0, s18
	s_add_u32 s0, s0, s2
	s_mul_i32 s3, s1, s3
	s_addc_u32 s0, s18, s20
	s_addc_u32 s2, s21, 0
	s_add_u32 s0, s0, s3
	s_addc_u32 s2, 0, s2
	v_add_co_u32 v1, s0, v1, s0
	s_delay_alu instid0(VALU_DEP_1) | instskip(SKIP_1) | instid1(VALU_DEP_1)
	s_cmp_lg_u32 s0, 0
	s_addc_u32 s0, s1, s2
	v_readfirstlane_b32 s1, v1
	s_mul_i32 s3, s6, s0
	s_mul_hi_u32 s2, s6, s0
	s_mul_hi_u32 s18, s7, s0
	s_mul_i32 s0, s7, s0
	s_mul_hi_u32 s19, s6, s1
	s_mul_hi_u32 s20, s7, s1
	s_mul_i32 s1, s7, s1
	s_add_u32 s3, s19, s3
	s_addc_u32 s2, 0, s2
	s_add_u32 s1, s3, s1
	s_addc_u32 s1, s2, s20
	s_addc_u32 s2, s18, 0
	s_add_u32 s0, s1, s0
	s_addc_u32 s1, 0, s2
	s_mul_i32 s3, s0, 0xe80
	s_add_u32 s2, s0, 1
	v_sub_co_u32 v1, s3, s6, s3
	s_mul_hi_u32 s18, s0, 0xe80
	s_addc_u32 s19, s1, 0
	s_mul_i32 s20, s1, 0xe80
	s_delay_alu instid0(VALU_DEP_1)
	v_subrev_co_u32 v2, s21, 0xe80, v1
	s_add_u32 s23, s0, 2
	s_addc_u32 s24, s1, 0
	s_add_i32 s18, s18, s20
	s_cmp_lg_u32 s3, 0
	v_readfirstlane_b32 s3, v2
	s_subb_u32 s18, s7, s18
	s_cmp_lg_u32 s21, 0
	s_subb_u32 s20, s18, 0
	s_delay_alu instid0(VALU_DEP_1) | instskip(SKIP_4) | instid1(SALU_CYCLE_1)
	s_cmpk_gt_u32 s3, 0xe7f
	s_cselect_b32 s3, -1, 0
	s_cmp_eq_u32 s20, 0
	v_readfirstlane_b32 s20, v1
	s_cselect_b32 s3, s3, -1
	s_cmp_lg_u32 s3, 0
	s_cselect_b32 s2, s23, s2
	s_cselect_b32 s3, s24, s19
	s_cmpk_gt_u32 s20, 0xe7f
	s_mov_b32 s23, 0
	s_cselect_b32 s19, -1, 0
	s_cmp_eq_u32 s18, 0
	s_cselect_b32 s18, s19, -1
	s_delay_alu instid0(SALU_CYCLE_1)
	s_cmp_lg_u32 s18, 0
	s_cselect_b32 s3, s3, s1
	s_cselect_b32 s2, s2, s0
	s_mul_i32 s0, s3, 0xe80
	s_mul_hi_u32 s1, s2, 0xe80
	s_mul_i32 s18, s2, 0xe80
	s_add_i32 s1, s1, s0
	s_sub_u32 s0, s6, s18
	s_subb_u32 s1, s7, s1
	s_delay_alu instid0(SALU_CYCLE_1) | instskip(SKIP_1) | instid1(SALU_CYCLE_1)
	s_cmp_lg_u64 s[0:1], 0
	s_cselect_b32 s0, -1, 0
	v_cndmask_b32_e64 v1, 0, 1, s0
	s_delay_alu instid0(VALU_DEP_1) | instskip(NEXT) | instid1(VALU_DEP_1)
	v_readfirstlane_b32 s0, v1
	s_add_u32 s18, s2, s0
	s_addc_u32 s19, s3, 0
	s_add_u32 s20, s14, s22
	s_addc_u32 s21, s15, 0
	s_add_u32 s0, s18, -1
	s_addc_u32 s1, s19, -1
	s_mul_i32 s2, s22, 0xe80
	v_cmp_ge_u64_e64 s26, s[20:21], s[0:1]
	s_mov_b32 s3, -1
	s_mul_i32 s7, s0, 0xfffff180
	s_delay_alu instid0(VALU_DEP_1)
	s_and_b32 vcc_lo, exec_lo, s26
	s_cbranch_vccz .LBB1537_60
; %bb.1:
	s_mov_b32 s3, s23
	s_add_i32 s29, s7, s6
	s_lshl_b64 s[24:25], s[2:3], 3
	s_mov_b32 s3, exec_lo
	s_add_u32 s24, s27, s24
	s_addc_u32 s25, s28, s25
                                        ; implicit-def: $vgpr1_vgpr2
	v_cmpx_gt_u32_e64 s29, v0
	s_cbranch_execz .LBB1537_3
; %bb.2:
	v_lshlrev_b32_e32 v1, 3, v0
	global_load_b64 v[1:2], v1, s[24:25]
.LBB1537_3:
	s_or_b32 exec_lo, exec_lo, s3
	v_or_b32_e32 v3, 0x80, v0
	s_delay_alu instid0(VALU_DEP_1)
	v_cmp_gt_u32_e32 vcc_lo, s29, v3
                                        ; implicit-def: $vgpr3_vgpr4
	s_and_saveexec_b32 s3, vcc_lo
	s_cbranch_execz .LBB1537_5
; %bb.4:
	v_lshlrev_b32_e32 v3, 3, v0
	global_load_b64 v[3:4], v3, s[24:25] offset:1024
.LBB1537_5:
	s_or_b32 exec_lo, exec_lo, s3
	v_or_b32_e32 v5, 0x100, v0
	s_delay_alu instid0(VALU_DEP_1)
	v_cmp_gt_u32_e32 vcc_lo, s29, v5
                                        ; implicit-def: $vgpr5_vgpr6
	s_and_saveexec_b32 s3, vcc_lo
	s_cbranch_execz .LBB1537_7
; %bb.6:
	v_lshlrev_b32_e32 v5, 3, v0
	global_load_b64 v[5:6], v5, s[24:25] offset:2048
.LBB1537_7:
	s_or_b32 exec_lo, exec_lo, s3
	v_or_b32_e32 v7, 0x180, v0
	s_delay_alu instid0(VALU_DEP_1)
	v_cmp_gt_u32_e32 vcc_lo, s29, v7
                                        ; implicit-def: $vgpr7_vgpr8
	s_and_saveexec_b32 s3, vcc_lo
	s_cbranch_execz .LBB1537_9
; %bb.8:
	v_lshlrev_b32_e32 v7, 3, v0
	global_load_b64 v[7:8], v7, s[24:25] offset:3072
.LBB1537_9:
	s_or_b32 exec_lo, exec_lo, s3
	v_or_b32_e32 v11, 0x200, v0
	s_mov_b32 s3, exec_lo
                                        ; implicit-def: $vgpr9_vgpr10
	s_delay_alu instid0(VALU_DEP_1)
	v_cmpx_gt_u32_e64 s29, v11
	s_cbranch_execz .LBB1537_11
; %bb.10:
	v_lshlrev_b32_e32 v9, 3, v11
	global_load_b64 v[9:10], v9, s[24:25]
.LBB1537_11:
	s_or_b32 exec_lo, exec_lo, s3
	v_or_b32_e32 v13, 0x280, v0
	s_mov_b32 s3, exec_lo
                                        ; implicit-def: $vgpr11_vgpr12
	s_delay_alu instid0(VALU_DEP_1)
	v_cmpx_gt_u32_e64 s29, v13
	s_cbranch_execz .LBB1537_13
; %bb.12:
	v_lshlrev_b32_e32 v11, 3, v13
	global_load_b64 v[11:12], v11, s[24:25]
.LBB1537_13:
	s_or_b32 exec_lo, exec_lo, s3
	v_or_b32_e32 v15, 0x300, v0
	s_mov_b32 s3, exec_lo
                                        ; implicit-def: $vgpr13_vgpr14
	s_delay_alu instid0(VALU_DEP_1)
	v_cmpx_gt_u32_e64 s29, v15
	s_cbranch_execz .LBB1537_15
; %bb.14:
	v_lshlrev_b32_e32 v13, 3, v15
	global_load_b64 v[13:14], v13, s[24:25]
.LBB1537_15:
	s_or_b32 exec_lo, exec_lo, s3
	v_or_b32_e32 v17, 0x380, v0
	s_mov_b32 s3, exec_lo
                                        ; implicit-def: $vgpr15_vgpr16
	s_delay_alu instid0(VALU_DEP_1)
	v_cmpx_gt_u32_e64 s29, v17
	s_cbranch_execz .LBB1537_17
; %bb.16:
	v_lshlrev_b32_e32 v15, 3, v17
	global_load_b64 v[15:16], v15, s[24:25]
.LBB1537_17:
	s_or_b32 exec_lo, exec_lo, s3
	v_or_b32_e32 v19, 0x400, v0
	s_mov_b32 s3, exec_lo
                                        ; implicit-def: $vgpr17_vgpr18
	s_delay_alu instid0(VALU_DEP_1)
	v_cmpx_gt_u32_e64 s29, v19
	s_cbranch_execz .LBB1537_19
; %bb.18:
	v_lshlrev_b32_e32 v17, 3, v19
	global_load_b64 v[17:18], v17, s[24:25]
.LBB1537_19:
	s_or_b32 exec_lo, exec_lo, s3
	v_or_b32_e32 v21, 0x480, v0
	s_mov_b32 s3, exec_lo
                                        ; implicit-def: $vgpr19_vgpr20
	s_delay_alu instid0(VALU_DEP_1)
	v_cmpx_gt_u32_e64 s29, v21
	s_cbranch_execz .LBB1537_21
; %bb.20:
	v_lshlrev_b32_e32 v19, 3, v21
	global_load_b64 v[19:20], v19, s[24:25]
.LBB1537_21:
	s_or_b32 exec_lo, exec_lo, s3
	v_or_b32_e32 v23, 0x500, v0
	s_mov_b32 s3, exec_lo
                                        ; implicit-def: $vgpr21_vgpr22
	s_delay_alu instid0(VALU_DEP_1)
	v_cmpx_gt_u32_e64 s29, v23
	s_cbranch_execz .LBB1537_23
; %bb.22:
	v_lshlrev_b32_e32 v21, 3, v23
	global_load_b64 v[21:22], v21, s[24:25]
.LBB1537_23:
	s_or_b32 exec_lo, exec_lo, s3
	v_or_b32_e32 v25, 0x580, v0
	s_mov_b32 s3, exec_lo
                                        ; implicit-def: $vgpr23_vgpr24
	s_delay_alu instid0(VALU_DEP_1)
	v_cmpx_gt_u32_e64 s29, v25
	s_cbranch_execz .LBB1537_25
; %bb.24:
	v_lshlrev_b32_e32 v23, 3, v25
	global_load_b64 v[23:24], v23, s[24:25]
.LBB1537_25:
	s_or_b32 exec_lo, exec_lo, s3
	v_or_b32_e32 v27, 0x600, v0
	s_mov_b32 s3, exec_lo
                                        ; implicit-def: $vgpr25_vgpr26
	s_delay_alu instid0(VALU_DEP_1)
	v_cmpx_gt_u32_e64 s29, v27
	s_cbranch_execz .LBB1537_27
; %bb.26:
	v_lshlrev_b32_e32 v25, 3, v27
	global_load_b64 v[25:26], v25, s[24:25]
.LBB1537_27:
	s_or_b32 exec_lo, exec_lo, s3
	v_or_b32_e32 v29, 0x680, v0
	s_mov_b32 s3, exec_lo
                                        ; implicit-def: $vgpr27_vgpr28
	s_delay_alu instid0(VALU_DEP_1)
	v_cmpx_gt_u32_e64 s29, v29
	s_cbranch_execz .LBB1537_29
; %bb.28:
	v_lshlrev_b32_e32 v27, 3, v29
	global_load_b64 v[27:28], v27, s[24:25]
.LBB1537_29:
	s_or_b32 exec_lo, exec_lo, s3
	v_or_b32_e32 v31, 0x700, v0
	s_mov_b32 s3, exec_lo
                                        ; implicit-def: $vgpr29_vgpr30
	s_delay_alu instid0(VALU_DEP_1)
	v_cmpx_gt_u32_e64 s29, v31
	s_cbranch_execz .LBB1537_31
; %bb.30:
	v_lshlrev_b32_e32 v29, 3, v31
	global_load_b64 v[29:30], v29, s[24:25]
.LBB1537_31:
	s_or_b32 exec_lo, exec_lo, s3
	v_or_b32_e32 v33, 0x780, v0
	s_mov_b32 s3, exec_lo
                                        ; implicit-def: $vgpr31_vgpr32
	s_delay_alu instid0(VALU_DEP_1)
	v_cmpx_gt_u32_e64 s29, v33
	s_cbranch_execz .LBB1537_33
; %bb.32:
	v_lshlrev_b32_e32 v31, 3, v33
	global_load_b64 v[31:32], v31, s[24:25]
.LBB1537_33:
	s_or_b32 exec_lo, exec_lo, s3
	v_or_b32_e32 v35, 0x800, v0
	s_mov_b32 s3, exec_lo
                                        ; implicit-def: $vgpr33_vgpr34
	s_delay_alu instid0(VALU_DEP_1)
	v_cmpx_gt_u32_e64 s29, v35
	s_cbranch_execz .LBB1537_35
; %bb.34:
	v_lshlrev_b32_e32 v33, 3, v35
	global_load_b64 v[33:34], v33, s[24:25]
.LBB1537_35:
	s_or_b32 exec_lo, exec_lo, s3
	v_or_b32_e32 v37, 0x880, v0
	s_mov_b32 s3, exec_lo
                                        ; implicit-def: $vgpr35_vgpr36
	s_delay_alu instid0(VALU_DEP_1)
	v_cmpx_gt_u32_e64 s29, v37
	s_cbranch_execz .LBB1537_37
; %bb.36:
	v_lshlrev_b32_e32 v35, 3, v37
	global_load_b64 v[35:36], v35, s[24:25]
.LBB1537_37:
	s_or_b32 exec_lo, exec_lo, s3
	v_or_b32_e32 v39, 0x900, v0
	s_mov_b32 s3, exec_lo
                                        ; implicit-def: $vgpr37_vgpr38
	s_delay_alu instid0(VALU_DEP_1)
	v_cmpx_gt_u32_e64 s29, v39
	s_cbranch_execz .LBB1537_39
; %bb.38:
	v_lshlrev_b32_e32 v37, 3, v39
	global_load_b64 v[37:38], v37, s[24:25]
.LBB1537_39:
	s_or_b32 exec_lo, exec_lo, s3
	v_or_b32_e32 v41, 0x980, v0
	s_mov_b32 s3, exec_lo
                                        ; implicit-def: $vgpr39_vgpr40
	s_delay_alu instid0(VALU_DEP_1)
	v_cmpx_gt_u32_e64 s29, v41
	s_cbranch_execz .LBB1537_41
; %bb.40:
	v_lshlrev_b32_e32 v39, 3, v41
	global_load_b64 v[39:40], v39, s[24:25]
.LBB1537_41:
	s_or_b32 exec_lo, exec_lo, s3
	v_or_b32_e32 v43, 0xa00, v0
	s_mov_b32 s3, exec_lo
                                        ; implicit-def: $vgpr41_vgpr42
	s_delay_alu instid0(VALU_DEP_1)
	v_cmpx_gt_u32_e64 s29, v43
	s_cbranch_execz .LBB1537_43
; %bb.42:
	v_lshlrev_b32_e32 v41, 3, v43
	global_load_b64 v[41:42], v41, s[24:25]
.LBB1537_43:
	s_or_b32 exec_lo, exec_lo, s3
	v_or_b32_e32 v45, 0xa80, v0
	s_mov_b32 s3, exec_lo
                                        ; implicit-def: $vgpr43_vgpr44
	s_delay_alu instid0(VALU_DEP_1)
	v_cmpx_gt_u32_e64 s29, v45
	s_cbranch_execz .LBB1537_45
; %bb.44:
	v_lshlrev_b32_e32 v43, 3, v45
	global_load_b64 v[43:44], v43, s[24:25]
.LBB1537_45:
	s_or_b32 exec_lo, exec_lo, s3
	v_or_b32_e32 v47, 0xb00, v0
	s_mov_b32 s3, exec_lo
                                        ; implicit-def: $vgpr45_vgpr46
	s_delay_alu instid0(VALU_DEP_1)
	v_cmpx_gt_u32_e64 s29, v47
	s_cbranch_execz .LBB1537_47
; %bb.46:
	v_lshlrev_b32_e32 v45, 3, v47
	global_load_b64 v[45:46], v45, s[24:25]
.LBB1537_47:
	s_or_b32 exec_lo, exec_lo, s3
	v_or_b32_e32 v49, 0xb80, v0
	s_mov_b32 s3, exec_lo
                                        ; implicit-def: $vgpr47_vgpr48
	s_delay_alu instid0(VALU_DEP_1)
	v_cmpx_gt_u32_e64 s29, v49
	s_cbranch_execz .LBB1537_49
; %bb.48:
	v_lshlrev_b32_e32 v47, 3, v49
	global_load_b64 v[47:48], v47, s[24:25]
.LBB1537_49:
	s_or_b32 exec_lo, exec_lo, s3
	v_or_b32_e32 v51, 0xc00, v0
	s_mov_b32 s3, exec_lo
                                        ; implicit-def: $vgpr49_vgpr50
	s_delay_alu instid0(VALU_DEP_1)
	v_cmpx_gt_u32_e64 s29, v51
	s_cbranch_execz .LBB1537_51
; %bb.50:
	v_lshlrev_b32_e32 v49, 3, v51
	global_load_b64 v[49:50], v49, s[24:25]
.LBB1537_51:
	s_or_b32 exec_lo, exec_lo, s3
	v_or_b32_e32 v53, 0xc80, v0
	s_mov_b32 s3, exec_lo
                                        ; implicit-def: $vgpr51_vgpr52
	s_delay_alu instid0(VALU_DEP_1)
	v_cmpx_gt_u32_e64 s29, v53
	s_cbranch_execz .LBB1537_53
; %bb.52:
	v_lshlrev_b32_e32 v51, 3, v53
	global_load_b64 v[51:52], v51, s[24:25]
.LBB1537_53:
	s_or_b32 exec_lo, exec_lo, s3
	v_or_b32_e32 v55, 0xd00, v0
	s_mov_b32 s3, exec_lo
                                        ; implicit-def: $vgpr53_vgpr54
	s_delay_alu instid0(VALU_DEP_1)
	v_cmpx_gt_u32_e64 s29, v55
	s_cbranch_execz .LBB1537_55
; %bb.54:
	v_lshlrev_b32_e32 v53, 3, v55
	global_load_b64 v[53:54], v53, s[24:25]
.LBB1537_55:
	s_or_b32 exec_lo, exec_lo, s3
	v_or_b32_e32 v57, 0xd80, v0
	s_mov_b32 s3, exec_lo
                                        ; implicit-def: $vgpr55_vgpr56
	s_delay_alu instid0(VALU_DEP_1)
	v_cmpx_gt_u32_e64 s29, v57
	s_cbranch_execz .LBB1537_57
; %bb.56:
	v_lshlrev_b32_e32 v55, 3, v57
	global_load_b64 v[55:56], v55, s[24:25]
.LBB1537_57:
	s_or_b32 exec_lo, exec_lo, s3
	v_or_b32_e32 v59, 0xe00, v0
	s_mov_b32 s3, exec_lo
                                        ; implicit-def: $vgpr57_vgpr58
	s_delay_alu instid0(VALU_DEP_1)
	v_cmpx_gt_u32_e64 s29, v59
	s_cbranch_execz .LBB1537_59
; %bb.58:
	v_lshlrev_b32_e32 v57, 3, v59
	global_load_b64 v[57:58], v57, s[24:25]
.LBB1537_59:
	s_or_b32 exec_lo, exec_lo, s3
	v_lshlrev_b32_e32 v59, 3, v0
	s_mov_b32 s3, 0
	s_waitcnt vmcnt(0)
	ds_store_2addr_stride64_b64 v59, v[1:2], v[3:4] offset1:2
	ds_store_2addr_stride64_b64 v59, v[5:6], v[7:8] offset0:4 offset1:6
	ds_store_2addr_stride64_b64 v59, v[9:10], v[11:12] offset0:8 offset1:10
	ds_store_2addr_stride64_b64 v59, v[13:14], v[15:16] offset0:12 offset1:14
	ds_store_2addr_stride64_b64 v59, v[17:18], v[19:20] offset0:16 offset1:18
	ds_store_2addr_stride64_b64 v59, v[21:22], v[23:24] offset0:20 offset1:22
	ds_store_2addr_stride64_b64 v59, v[25:26], v[27:28] offset0:24 offset1:26
	ds_store_2addr_stride64_b64 v59, v[29:30], v[31:32] offset0:28 offset1:30
	ds_store_2addr_stride64_b64 v59, v[33:34], v[35:36] offset0:32 offset1:34
	ds_store_2addr_stride64_b64 v59, v[37:38], v[39:40] offset0:36 offset1:38
	ds_store_2addr_stride64_b64 v59, v[41:42], v[43:44] offset0:40 offset1:42
	ds_store_2addr_stride64_b64 v59, v[45:46], v[47:48] offset0:44 offset1:46
	ds_store_2addr_stride64_b64 v59, v[49:50], v[51:52] offset0:48 offset1:50
	ds_store_2addr_stride64_b64 v59, v[53:54], v[55:56] offset0:52 offset1:54
	ds_store_b64 v59, v[57:58] offset:28672
	s_waitcnt lgkmcnt(0)
	s_barrier
.LBB1537_60:
	v_lshlrev_b32_e32 v195, 3, v0
	s_and_b32 vcc_lo, exec_lo, s3
	s_cbranch_vccz .LBB1537_62
; %bb.61:
	s_mov_b32 s3, 0
	s_delay_alu instid0(SALU_CYCLE_1) | instskip(NEXT) | instid1(SALU_CYCLE_1)
	s_lshl_b64 s[24:25], s[2:3], 3
	s_add_u32 s24, s27, s24
	s_addc_u32 s25, s28, s25
	v_add_co_u32 v49, s3, s24, v195
	s_delay_alu instid0(VALU_DEP_1)
	v_add_co_ci_u32_e64 v50, null, s25, 0, s3
	s_clause 0x3
	global_load_b64 v[1:2], v195, s[24:25]
	global_load_b64 v[3:4], v195, s[24:25] offset:1024
	global_load_b64 v[5:6], v195, s[24:25] offset:2048
	;; [unrolled: 1-line block ×3, first 2 shown]
	v_add_co_u32 v9, vcc_lo, 0x1000, v49
	v_add_co_ci_u32_e32 v10, vcc_lo, 0, v50, vcc_lo
	v_add_co_u32 v11, vcc_lo, v49, 0x2000
	v_add_co_ci_u32_e32 v12, vcc_lo, 0, v50, vcc_lo
	;; [unrolled: 2-line block ×10, first 2 shown]
	s_clause 0x18
	global_load_b64 v[15:16], v[11:12], off offset:-4096
	global_load_b64 v[17:18], v[9:10], off offset:1024
	global_load_b64 v[19:20], v[9:10], off offset:2048
	;; [unrolled: 1-line block ×12, first 2 shown]
	global_load_b64 v[11:12], v[11:12], off
	global_load_b64 v[43:44], v[25:26], off offset:-4096
	global_load_b64 v[25:26], v[25:26], off
	global_load_b64 v[45:46], v[39:40], off offset:-4096
	global_load_b64 v[39:40], v[39:40], off
	global_load_b64 v[51:52], v[41:42], off offset:1024
	global_load_b64 v[53:54], v[41:42], off offset:2048
	;; [unrolled: 1-line block ×6, first 2 shown]
	global_load_b64 v[49:50], v[49:50], off
	s_waitcnt vmcnt(27)
	ds_store_2addr_stride64_b64 v195, v[1:2], v[3:4] offset1:2
	s_waitcnt vmcnt(25)
	ds_store_2addr_stride64_b64 v195, v[5:6], v[7:8] offset0:4 offset1:6
	s_waitcnt vmcnt(23)
	ds_store_2addr_stride64_b64 v195, v[15:16], v[17:18] offset0:8 offset1:10
	;; [unrolled: 2-line block ×4, first 2 shown]
	ds_store_2addr_stride64_b64 v195, v[29:30], v[13:14] offset0:20 offset1:22
	s_waitcnt vmcnt(10)
	ds_store_2addr_stride64_b64 v195, v[43:44], v[31:32] offset0:24 offset1:26
	ds_store_2addr_stride64_b64 v195, v[33:34], v[23:24] offset0:28 offset1:30
	s_waitcnt vmcnt(9)
	ds_store_2addr_stride64_b64 v195, v[25:26], v[35:36] offset0:32 offset1:34
	;; [unrolled: 3-line block ×3, first 2 shown]
	s_waitcnt vmcnt(4)
	ds_store_2addr_stride64_b64 v195, v[53:54], v[41:42] offset0:44 offset1:46
	s_waitcnt vmcnt(3)
	ds_store_2addr_stride64_b64 v195, v[39:40], v[55:56] offset0:48 offset1:50
	;; [unrolled: 2-line block ×3, first 2 shown]
	s_waitcnt vmcnt(0)
	ds_store_b64 v195, v[49:50] offset:28672
	s_waitcnt lgkmcnt(0)
	s_barrier
.LBB1537_62:
	v_mul_u32_u24_e32 v1, 29, v0
	buffer_gl0_inv
	s_cmp_eq_u64 s[20:21], 0
	v_lshlrev_b32_e32 v53, 3, v1
	ds_load_b64 v[109:110], v53 offset:224
	ds_load_2addr_b64 v[5:8], v53 offset0:26 offset1:27
	ds_load_2addr_b64 v[9:12], v53 offset0:24 offset1:25
	ds_load_2addr_b64 v[1:4], v53 offset1:1
	ds_load_2addr_b64 v[13:16], v53 offset0:2 offset1:3
	ds_load_2addr_b64 v[17:20], v53 offset0:4 offset1:5
	;; [unrolled: 1-line block ×11, first 2 shown]
	s_waitcnt lgkmcnt(0)
	s_barrier
	buffer_gl0_inv
	s_cbranch_scc1 .LBB1537_71
; %bb.63:
	s_lshl_b64 s[14:15], s[14:15], 3
	s_delay_alu instid0(SALU_CYCLE_1) | instskip(SKIP_2) | instid1(SALU_CYCLE_1)
	s_add_u32 s3, s12, s14
	s_addc_u32 s14, s13, s15
	s_lshl_b64 s[12:13], s[22:23], 3
	s_add_u32 s3, s3, s12
	s_addc_u32 s13, s14, s13
	s_add_u32 s12, s3, -8
	s_addc_u32 s13, s13, -1
	s_cmp_lg_u64 s[20:21], s[0:1]
	s_load_b64 s[12:13], s[12:13], 0x0
	s_cbranch_scc0 .LBB1537_72
; %bb.64:
	v_mul_lo_u32 v59, v8, s8
	v_mul_lo_u32 v60, v7, s9
	v_mad_u64_u32 v[57:58], null, v7, s8, 0
	v_mov_b32_e32 v113, 0
	v_mov_b32_e32 v114, 0
	v_cmp_lt_i64_e64 s0, s[8:9], 1
	v_cmp_gt_i64_e64 s1, s[8:9], 0
	s_delay_alu instid0(VALU_DEP_4) | instskip(SKIP_4) | instid1(VALU_DEP_1)
	v_mov_b32_e32 v111, v113
	ds_store_b64 v195, v[109:110]
	v_mov_b32_e32 v112, v114
	v_add3_u32 v58, v58, v60, v59
	s_and_b32 vcc_lo, exec_lo, s0
	v_lshlrev_b64 v[57:58], 2, v[57:58]
	s_cbranch_vccnz .LBB1537_76
; %bb.65:
	v_mul_lo_u32 v61, v110, s8
	v_mul_lo_u32 v62, v109, s9
	v_mad_u64_u32 v[59:60], null, v109, s8, 0
	v_mov_b32_e32 v111, 1
	v_mov_b32_e32 v112, 0
	s_mov_b32 s3, exec_lo
	s_delay_alu instid0(VALU_DEP_3) | instskip(NEXT) | instid1(VALU_DEP_1)
	v_add3_u32 v60, v60, v62, v61
	v_lshlrev_b64 v[59:60], 2, v[59:60]
	s_delay_alu instid0(VALU_DEP_1) | instskip(NEXT) | instid1(VALU_DEP_2)
	v_add_co_u32 v61, vcc_lo, s10, v59
	v_add_co_ci_u32_e32 v62, vcc_lo, s11, v60, vcc_lo
	v_add_co_u32 v59, vcc_lo, s10, v57
	v_add_co_ci_u32_e32 v60, vcc_lo, s11, v58, vcc_lo
	s_clause 0x1
	global_load_b32 v63, v[61:62], off
	global_load_b32 v64, v[59:60], off
	s_waitcnt vmcnt(0)
	v_cmpx_eq_u32_e64 v63, v64
	s_cbranch_execz .LBB1537_75
; %bb.66:
	v_add_co_u32 v59, vcc_lo, v59, 4
	v_add_co_ci_u32_e32 v60, vcc_lo, 0, v60, vcc_lo
	v_add_co_u32 v61, vcc_lo, v61, 4
	v_add_co_ci_u32_e32 v62, vcc_lo, 0, v62, vcc_lo
	s_add_u32 s14, s8, -1
	s_addc_u32 s15, s9, -1
	s_mov_b64 s[22:23], 0
	s_mov_b32 s21, 0
                                        ; implicit-def: $sgpr24
	s_set_inst_prefetch_distance 0x1
	s_branch .LBB1537_69
	.p2align	6
.LBB1537_67:                            ;   in Loop: Header=BB1537_69 Depth=1
	global_load_b32 v63, v[61:62], off
	global_load_b32 v64, v[59:60], off
	v_add_co_u32 v59, vcc_lo, v59, 4
	v_add_co_ci_u32_e32 v60, vcc_lo, 0, v60, vcc_lo
	v_add_co_u32 v61, s0, v61, 4
	s_delay_alu instid0(VALU_DEP_1)
	v_add_co_ci_u32_e64 v62, s0, 0, v62, s0
	s_add_u32 s22, s22, 1
	s_addc_u32 s23, s23, 0
	s_and_not1_b32 s0, s24, exec_lo
	s_waitcnt vmcnt(0)
	v_cmp_ne_u32_e32 vcc_lo, v63, v64
	s_and_b32 s24, vcc_lo, exec_lo
	s_delay_alu instid0(SALU_CYCLE_1)
	s_or_b32 s24, s0, s24
.LBB1537_68:                            ;   in Loop: Header=BB1537_69 Depth=1
	v_dual_mov_b32 v64, s23 :: v_dual_mov_b32 v63, s22
	s_and_b32 s0, exec_lo, s24
	s_delay_alu instid0(SALU_CYCLE_1) | instskip(NEXT) | instid1(SALU_CYCLE_1)
	s_or_b32 s21, s0, s21
	s_and_not1_b32 exec_lo, exec_lo, s21
	s_cbranch_execz .LBB1537_74
.LBB1537_69:                            ; =>This Inner Loop Header: Depth=1
	s_or_b32 s24, s24, exec_lo
	s_cmp_eq_u64 s[14:15], s[22:23]
	s_cbranch_scc0 .LBB1537_67
; %bb.70:                               ;   in Loop: Header=BB1537_69 Depth=1
	s_mov_b64 s[22:23], s[8:9]
                                        ; implicit-def: $vgpr59_vgpr60
                                        ; implicit-def: $vgpr61_vgpr62
	s_branch .LBB1537_68
.LBB1537_71:
	s_mov_b32 s1, 0
                                        ; implicit-def: $sgpr0
                                        ; implicit-def: $vgpr165_vgpr166
                                        ; implicit-def: $vgpr163_vgpr164
                                        ; implicit-def: $vgpr161_vgpr162
                                        ; implicit-def: $vgpr159_vgpr160
                                        ; implicit-def: $vgpr157_vgpr158
                                        ; implicit-def: $vgpr155_vgpr156
                                        ; implicit-def: $vgpr153_vgpr154
                                        ; implicit-def: $vgpr151_vgpr152
                                        ; implicit-def: $vgpr149_vgpr150
                                        ; implicit-def: $vgpr147_vgpr148
                                        ; implicit-def: $vgpr145_vgpr146
                                        ; implicit-def: $vgpr143_vgpr144
                                        ; implicit-def: $vgpr141_vgpr142
                                        ; implicit-def: $vgpr139_vgpr140
                                        ; implicit-def: $vgpr137_vgpr138
                                        ; implicit-def: $vgpr135_vgpr136
                                        ; implicit-def: $vgpr133_vgpr134
                                        ; implicit-def: $vgpr131_vgpr132
                                        ; implicit-def: $vgpr129_vgpr130
                                        ; implicit-def: $vgpr127_vgpr128
                                        ; implicit-def: $vgpr125_vgpr126
                                        ; implicit-def: $vgpr123_vgpr124
                                        ; implicit-def: $vgpr121_vgpr122
                                        ; implicit-def: $vgpr119_vgpr120
                                        ; implicit-def: $vgpr117_vgpr118
                                        ; implicit-def: $vgpr113_vgpr114
                                        ; implicit-def: $vgpr115_vgpr116
                                        ; implicit-def: $vgpr111_vgpr112
                                        ; implicit-def: $vgpr181_vgpr182
                                        ; implicit-def: $vgpr167_vgpr168
                                        ; implicit-def: $vgpr169_vgpr170
                                        ; implicit-def: $vgpr171_vgpr172
                                        ; implicit-def: $vgpr173_vgpr174
                                        ; implicit-def: $vgpr175_vgpr176
                                        ; implicit-def: $vgpr177_vgpr178
                                        ; implicit-def: $vgpr179_vgpr180
                                        ; implicit-def: $vgpr183_vgpr184
                                        ; implicit-def: $vgpr185_vgpr186
                                        ; implicit-def: $vgpr187_vgpr188
                                        ; implicit-def: $vgpr189_vgpr190
                                        ; implicit-def: $vgpr191_vgpr192
                                        ; implicit-def: $vgpr193_vgpr194
                                        ; implicit-def: $vgpr57_vgpr58_vgpr59_vgpr60
                                        ; implicit-def: $vgpr61_vgpr62_vgpr63_vgpr64
                                        ; implicit-def: $vgpr65_vgpr66_vgpr67_vgpr68
                                        ; implicit-def: $vgpr69_vgpr70_vgpr71_vgpr72
                                        ; implicit-def: $vgpr73_vgpr74_vgpr75_vgpr76
                                        ; implicit-def: $vgpr77_vgpr78_vgpr79_vgpr80
                                        ; implicit-def: $vgpr81_vgpr82_vgpr83_vgpr84
                                        ; implicit-def: $vgpr85_vgpr86_vgpr87_vgpr88
                                        ; implicit-def: $vgpr89_vgpr90_vgpr91_vgpr92
                                        ; implicit-def: $vgpr93_vgpr94_vgpr95_vgpr96
                                        ; implicit-def: $vgpr97_vgpr98_vgpr99_vgpr100
                                        ; implicit-def: $vgpr101_vgpr102_vgpr103_vgpr104
                                        ; implicit-def: $vgpr105_vgpr106_vgpr107_vgpr108
	s_cbranch_execnz .LBB1537_655
	s_branch .LBB1537_1243
.LBB1537_72:
	s_mov_b32 s1, 0
                                        ; implicit-def: $sgpr0
                                        ; implicit-def: $vgpr165_vgpr166
                                        ; implicit-def: $vgpr163_vgpr164
                                        ; implicit-def: $vgpr161_vgpr162
                                        ; implicit-def: $vgpr159_vgpr160
                                        ; implicit-def: $vgpr157_vgpr158
                                        ; implicit-def: $vgpr155_vgpr156
                                        ; implicit-def: $vgpr153_vgpr154
                                        ; implicit-def: $vgpr151_vgpr152
                                        ; implicit-def: $vgpr149_vgpr150
                                        ; implicit-def: $vgpr147_vgpr148
                                        ; implicit-def: $vgpr145_vgpr146
                                        ; implicit-def: $vgpr143_vgpr144
                                        ; implicit-def: $vgpr141_vgpr142
                                        ; implicit-def: $vgpr139_vgpr140
                                        ; implicit-def: $vgpr137_vgpr138
                                        ; implicit-def: $vgpr135_vgpr136
                                        ; implicit-def: $vgpr133_vgpr134
                                        ; implicit-def: $vgpr131_vgpr132
                                        ; implicit-def: $vgpr129_vgpr130
                                        ; implicit-def: $vgpr127_vgpr128
                                        ; implicit-def: $vgpr125_vgpr126
                                        ; implicit-def: $vgpr123_vgpr124
                                        ; implicit-def: $vgpr121_vgpr122
                                        ; implicit-def: $vgpr119_vgpr120
                                        ; implicit-def: $vgpr117_vgpr118
                                        ; implicit-def: $vgpr113_vgpr114
                                        ; implicit-def: $vgpr115_vgpr116
                                        ; implicit-def: $vgpr111_vgpr112
	s_cbranch_execnz .LBB1537_332
.LBB1537_73:
                                        ; implicit-def: $vgpr181_vgpr182
                                        ; implicit-def: $vgpr167_vgpr168
                                        ; implicit-def: $vgpr169_vgpr170
                                        ; implicit-def: $vgpr171_vgpr172
                                        ; implicit-def: $vgpr173_vgpr174
                                        ; implicit-def: $vgpr175_vgpr176
                                        ; implicit-def: $vgpr177_vgpr178
                                        ; implicit-def: $vgpr179_vgpr180
                                        ; implicit-def: $vgpr183_vgpr184
                                        ; implicit-def: $vgpr185_vgpr186
                                        ; implicit-def: $vgpr187_vgpr188
                                        ; implicit-def: $vgpr189_vgpr190
                                        ; implicit-def: $vgpr191_vgpr192
                                        ; implicit-def: $vgpr193_vgpr194
                                        ; implicit-def: $vgpr57_vgpr58_vgpr59_vgpr60
                                        ; implicit-def: $vgpr61_vgpr62_vgpr63_vgpr64
                                        ; implicit-def: $vgpr65_vgpr66_vgpr67_vgpr68
                                        ; implicit-def: $vgpr69_vgpr70_vgpr71_vgpr72
                                        ; implicit-def: $vgpr73_vgpr74_vgpr75_vgpr76
                                        ; implicit-def: $vgpr77_vgpr78_vgpr79_vgpr80
                                        ; implicit-def: $vgpr81_vgpr82_vgpr83_vgpr84
                                        ; implicit-def: $vgpr85_vgpr86_vgpr87_vgpr88
                                        ; implicit-def: $vgpr89_vgpr90_vgpr91_vgpr92
                                        ; implicit-def: $vgpr93_vgpr94_vgpr95_vgpr96
                                        ; implicit-def: $vgpr97_vgpr98_vgpr99_vgpr100
                                        ; implicit-def: $vgpr101_vgpr102_vgpr103_vgpr104
                                        ; implicit-def: $vgpr105_vgpr106_vgpr107_vgpr108
	s_branch .LBB1537_1243
.LBB1537_74:
	s_set_inst_prefetch_distance 0x2
	s_or_b32 exec_lo, exec_lo, s21
	v_cmp_gt_i64_e32 vcc_lo, s[8:9], v[63:64]
	s_mov_b32 s0, 0
	s_delay_alu instid0(SALU_CYCLE_1)
	v_mov_b32_e32 v112, s0
	v_cndmask_b32_e64 v111, 0, 1, vcc_lo
.LBB1537_75:
	s_or_b32 exec_lo, exec_lo, s3
.LBB1537_76:
	v_mul_lo_u32 v61, v6, s8
	v_mul_lo_u32 v62, v5, s9
	v_mad_u64_u32 v[59:60], null, v5, s8, 0
	v_cndmask_b32_e64 v65, 0, 1, s1
	v_dual_mov_b32 v116, v114 :: v_dual_mov_b32 v115, v113
	s_and_not1_b32 vcc_lo, exec_lo, s1
	s_delay_alu instid0(VALU_DEP_3) | instskip(NEXT) | instid1(VALU_DEP_1)
	v_add3_u32 v60, v60, v62, v61
	v_lshlrev_b64 v[59:60], 2, v[59:60]
	s_cbranch_vccnz .LBB1537_85
; %bb.77:
	v_add_co_u32 v61, vcc_lo, s10, v57
	v_add_co_ci_u32_e32 v62, vcc_lo, s11, v58, vcc_lo
	s_delay_alu instid0(VALU_DEP_3) | instskip(NEXT) | instid1(VALU_DEP_4)
	v_add_co_u32 v57, vcc_lo, s10, v59
	v_add_co_ci_u32_e32 v58, vcc_lo, s11, v60, vcc_lo
	v_mov_b32_e32 v115, 1
	s_clause 0x1
	global_load_b32 v63, v[61:62], off
	global_load_b32 v64, v[57:58], off
	v_mov_b32_e32 v116, 0
	s_mov_b32 s1, exec_lo
	s_waitcnt vmcnt(0)
	v_cmpx_eq_u32_e64 v63, v64
	s_cbranch_execz .LBB1537_84
; %bb.78:
	v_add_co_u32 v57, vcc_lo, v57, 4
	v_add_co_ci_u32_e32 v58, vcc_lo, 0, v58, vcc_lo
	v_add_co_u32 v61, vcc_lo, v61, 4
	v_add_co_ci_u32_e32 v62, vcc_lo, 0, v62, vcc_lo
	s_add_u32 s14, s8, -1
	s_addc_u32 s15, s9, -1
	s_mov_b64 s[22:23], 0
	s_mov_b32 s3, 0
                                        ; implicit-def: $sgpr21
	s_set_inst_prefetch_distance 0x1
	s_branch .LBB1537_81
	.p2align	6
.LBB1537_79:                            ;   in Loop: Header=BB1537_81 Depth=1
	global_load_b32 v63, v[61:62], off
	global_load_b32 v64, v[57:58], off
	v_add_co_u32 v57, vcc_lo, v57, 4
	v_add_co_ci_u32_e32 v58, vcc_lo, 0, v58, vcc_lo
	v_add_co_u32 v61, s0, v61, 4
	s_delay_alu instid0(VALU_DEP_1)
	v_add_co_ci_u32_e64 v62, s0, 0, v62, s0
	s_add_u32 s22, s22, 1
	s_addc_u32 s23, s23, 0
	s_and_not1_b32 s0, s21, exec_lo
	s_waitcnt vmcnt(0)
	v_cmp_ne_u32_e32 vcc_lo, v63, v64
	s_and_b32 s21, vcc_lo, exec_lo
	s_delay_alu instid0(SALU_CYCLE_1)
	s_or_b32 s21, s0, s21
.LBB1537_80:                            ;   in Loop: Header=BB1537_81 Depth=1
	v_dual_mov_b32 v64, s23 :: v_dual_mov_b32 v63, s22
	s_and_b32 s0, exec_lo, s21
	s_delay_alu instid0(SALU_CYCLE_1) | instskip(NEXT) | instid1(SALU_CYCLE_1)
	s_or_b32 s3, s0, s3
	s_and_not1_b32 exec_lo, exec_lo, s3
	s_cbranch_execz .LBB1537_83
.LBB1537_81:                            ; =>This Inner Loop Header: Depth=1
	s_or_b32 s21, s21, exec_lo
	s_cmp_eq_u64 s[14:15], s[22:23]
	s_cbranch_scc0 .LBB1537_79
; %bb.82:                               ;   in Loop: Header=BB1537_81 Depth=1
	s_mov_b64 s[22:23], s[8:9]
                                        ; implicit-def: $vgpr57_vgpr58
                                        ; implicit-def: $vgpr61_vgpr62
	s_branch .LBB1537_80
.LBB1537_83:
	s_set_inst_prefetch_distance 0x2
	s_or_b32 exec_lo, exec_lo, s3
	v_cmp_gt_i64_e32 vcc_lo, s[8:9], v[63:64]
	s_mov_b32 s0, 0
	s_delay_alu instid0(SALU_CYCLE_1)
	v_mov_b32_e32 v116, s0
	v_cndmask_b32_e64 v115, 0, 1, vcc_lo
.LBB1537_84:
	s_or_b32 exec_lo, exec_lo, s1
.LBB1537_85:
	v_mul_lo_u32 v61, v12, s8
	v_mul_lo_u32 v62, v11, s9
	v_mad_u64_u32 v[57:58], null, v11, s8, 0
	v_cmp_ne_u32_e32 vcc_lo, 1, v65
	s_delay_alu instid0(VALU_DEP_2) | instskip(NEXT) | instid1(VALU_DEP_1)
	v_add3_u32 v58, v58, v62, v61
	v_lshlrev_b64 v[57:58], 2, v[57:58]
	s_cbranch_vccnz .LBB1537_94
; %bb.86:
	v_add_co_u32 v61, vcc_lo, s10, v59
	v_add_co_ci_u32_e32 v62, vcc_lo, s11, v60, vcc_lo
	s_delay_alu instid0(VALU_DEP_3) | instskip(NEXT) | instid1(VALU_DEP_4)
	v_add_co_u32 v59, vcc_lo, s10, v57
	v_add_co_ci_u32_e32 v60, vcc_lo, s11, v58, vcc_lo
	v_mov_b32_e32 v113, 1
	s_clause 0x1
	global_load_b32 v63, v[61:62], off
	global_load_b32 v64, v[59:60], off
	v_mov_b32_e32 v114, 0
	s_mov_b32 s1, exec_lo
	s_waitcnt vmcnt(0)
	v_cmpx_eq_u32_e64 v63, v64
	s_cbranch_execz .LBB1537_93
; %bb.87:
	v_add_co_u32 v59, vcc_lo, v59, 4
	v_add_co_ci_u32_e32 v60, vcc_lo, 0, v60, vcc_lo
	v_add_co_u32 v61, vcc_lo, v61, 4
	v_add_co_ci_u32_e32 v62, vcc_lo, 0, v62, vcc_lo
	s_add_u32 s14, s8, -1
	s_addc_u32 s15, s9, -1
	s_mov_b64 s[22:23], 0
	s_mov_b32 s3, 0
                                        ; implicit-def: $sgpr21
	s_set_inst_prefetch_distance 0x1
	s_branch .LBB1537_90
	.p2align	6
.LBB1537_88:                            ;   in Loop: Header=BB1537_90 Depth=1
	global_load_b32 v63, v[61:62], off
	global_load_b32 v64, v[59:60], off
	v_add_co_u32 v59, vcc_lo, v59, 4
	v_add_co_ci_u32_e32 v60, vcc_lo, 0, v60, vcc_lo
	v_add_co_u32 v61, s0, v61, 4
	s_delay_alu instid0(VALU_DEP_1)
	v_add_co_ci_u32_e64 v62, s0, 0, v62, s0
	s_add_u32 s22, s22, 1
	s_addc_u32 s23, s23, 0
	s_and_not1_b32 s0, s21, exec_lo
	s_waitcnt vmcnt(0)
	v_cmp_ne_u32_e32 vcc_lo, v63, v64
	s_and_b32 s21, vcc_lo, exec_lo
	s_delay_alu instid0(SALU_CYCLE_1)
	s_or_b32 s21, s0, s21
.LBB1537_89:                            ;   in Loop: Header=BB1537_90 Depth=1
	v_dual_mov_b32 v64, s23 :: v_dual_mov_b32 v63, s22
	s_and_b32 s0, exec_lo, s21
	s_delay_alu instid0(SALU_CYCLE_1) | instskip(NEXT) | instid1(SALU_CYCLE_1)
	s_or_b32 s3, s0, s3
	s_and_not1_b32 exec_lo, exec_lo, s3
	s_cbranch_execz .LBB1537_92
.LBB1537_90:                            ; =>This Inner Loop Header: Depth=1
	s_or_b32 s21, s21, exec_lo
	s_cmp_eq_u64 s[14:15], s[22:23]
	s_cbranch_scc0 .LBB1537_88
; %bb.91:                               ;   in Loop: Header=BB1537_90 Depth=1
	s_mov_b64 s[22:23], s[8:9]
                                        ; implicit-def: $vgpr59_vgpr60
                                        ; implicit-def: $vgpr61_vgpr62
	s_branch .LBB1537_89
.LBB1537_92:
	s_set_inst_prefetch_distance 0x2
	s_or_b32 exec_lo, exec_lo, s3
	v_cmp_gt_i64_e32 vcc_lo, s[8:9], v[63:64]
	s_mov_b32 s0, 0
	s_delay_alu instid0(SALU_CYCLE_1)
	v_mov_b32_e32 v114, s0
	v_cndmask_b32_e64 v113, 0, 1, vcc_lo
.LBB1537_93:
	s_or_b32 exec_lo, exec_lo, s1
.LBB1537_94:
	v_mul_lo_u32 v61, v10, s8
	v_mul_lo_u32 v62, v9, s9
	v_mad_u64_u32 v[59:60], null, v9, s8, 0
	v_mov_b32_e32 v119, 0
	v_mov_b32_e32 v120, 0
	v_cmp_ne_u32_e32 vcc_lo, 1, v65
	s_delay_alu instid0(VALU_DEP_2) | instskip(SKIP_1) | instid1(VALU_DEP_1)
	v_dual_mov_b32 v117, v119 :: v_dual_mov_b32 v118, v120
	v_add3_u32 v60, v60, v62, v61
	v_lshlrev_b64 v[59:60], 2, v[59:60]
	s_cbranch_vccnz .LBB1537_103
; %bb.95:
	v_add_co_u32 v61, vcc_lo, s10, v57
	v_add_co_ci_u32_e32 v62, vcc_lo, s11, v58, vcc_lo
	s_delay_alu instid0(VALU_DEP_3) | instskip(NEXT) | instid1(VALU_DEP_4)
	v_add_co_u32 v57, vcc_lo, s10, v59
	v_add_co_ci_u32_e32 v58, vcc_lo, s11, v60, vcc_lo
	v_mov_b32_e32 v117, 1
	s_clause 0x1
	global_load_b32 v63, v[61:62], off
	global_load_b32 v64, v[57:58], off
	v_mov_b32_e32 v118, 0
	s_mov_b32 s1, exec_lo
	s_waitcnt vmcnt(0)
	v_cmpx_eq_u32_e64 v63, v64
	s_cbranch_execz .LBB1537_102
; %bb.96:
	v_add_co_u32 v57, vcc_lo, v57, 4
	v_add_co_ci_u32_e32 v58, vcc_lo, 0, v58, vcc_lo
	v_add_co_u32 v61, vcc_lo, v61, 4
	v_add_co_ci_u32_e32 v62, vcc_lo, 0, v62, vcc_lo
	s_add_u32 s14, s8, -1
	s_addc_u32 s15, s9, -1
	s_mov_b64 s[22:23], 0
	s_mov_b32 s3, 0
                                        ; implicit-def: $sgpr21
	s_set_inst_prefetch_distance 0x1
	s_branch .LBB1537_99
	.p2align	6
.LBB1537_97:                            ;   in Loop: Header=BB1537_99 Depth=1
	global_load_b32 v63, v[61:62], off
	global_load_b32 v64, v[57:58], off
	v_add_co_u32 v57, vcc_lo, v57, 4
	v_add_co_ci_u32_e32 v58, vcc_lo, 0, v58, vcc_lo
	v_add_co_u32 v61, s0, v61, 4
	s_delay_alu instid0(VALU_DEP_1)
	v_add_co_ci_u32_e64 v62, s0, 0, v62, s0
	s_add_u32 s22, s22, 1
	s_addc_u32 s23, s23, 0
	s_and_not1_b32 s0, s21, exec_lo
	s_waitcnt vmcnt(0)
	v_cmp_ne_u32_e32 vcc_lo, v63, v64
	s_and_b32 s21, vcc_lo, exec_lo
	s_delay_alu instid0(SALU_CYCLE_1)
	s_or_b32 s21, s0, s21
.LBB1537_98:                            ;   in Loop: Header=BB1537_99 Depth=1
	v_dual_mov_b32 v64, s23 :: v_dual_mov_b32 v63, s22
	s_and_b32 s0, exec_lo, s21
	s_delay_alu instid0(SALU_CYCLE_1) | instskip(NEXT) | instid1(SALU_CYCLE_1)
	s_or_b32 s3, s0, s3
	s_and_not1_b32 exec_lo, exec_lo, s3
	s_cbranch_execz .LBB1537_101
.LBB1537_99:                            ; =>This Inner Loop Header: Depth=1
	s_or_b32 s21, s21, exec_lo
	s_cmp_eq_u64 s[14:15], s[22:23]
	s_cbranch_scc0 .LBB1537_97
; %bb.100:                              ;   in Loop: Header=BB1537_99 Depth=1
	s_mov_b64 s[22:23], s[8:9]
                                        ; implicit-def: $vgpr57_vgpr58
                                        ; implicit-def: $vgpr61_vgpr62
	s_branch .LBB1537_98
.LBB1537_101:
	s_set_inst_prefetch_distance 0x2
	s_or_b32 exec_lo, exec_lo, s3
	v_cmp_gt_i64_e32 vcc_lo, s[8:9], v[63:64]
	s_mov_b32 s0, 0
	s_delay_alu instid0(SALU_CYCLE_1)
	v_mov_b32_e32 v118, s0
	v_cndmask_b32_e64 v117, 0, 1, vcc_lo
.LBB1537_102:
	s_or_b32 exec_lo, exec_lo, s1
.LBB1537_103:
	v_mul_lo_u32 v61, v56, s8
	v_mul_lo_u32 v62, v55, s9
	v_mad_u64_u32 v[57:58], null, v55, s8, 0
	v_cmp_ne_u32_e32 vcc_lo, 1, v65
	s_delay_alu instid0(VALU_DEP_2) | instskip(NEXT) | instid1(VALU_DEP_1)
	v_add3_u32 v58, v58, v62, v61
	v_lshlrev_b64 v[57:58], 2, v[57:58]
	s_cbranch_vccnz .LBB1537_112
; %bb.104:
	v_add_co_u32 v61, vcc_lo, s10, v59
	v_add_co_ci_u32_e32 v62, vcc_lo, s11, v60, vcc_lo
	s_delay_alu instid0(VALU_DEP_3) | instskip(NEXT) | instid1(VALU_DEP_4)
	v_add_co_u32 v59, vcc_lo, s10, v57
	v_add_co_ci_u32_e32 v60, vcc_lo, s11, v58, vcc_lo
	v_mov_b32_e32 v119, 1
	s_clause 0x1
	global_load_b32 v63, v[61:62], off
	global_load_b32 v64, v[59:60], off
	v_mov_b32_e32 v120, 0
	s_mov_b32 s1, exec_lo
	s_waitcnt vmcnt(0)
	v_cmpx_eq_u32_e64 v63, v64
	s_cbranch_execz .LBB1537_111
; %bb.105:
	v_add_co_u32 v59, vcc_lo, v59, 4
	v_add_co_ci_u32_e32 v60, vcc_lo, 0, v60, vcc_lo
	v_add_co_u32 v61, vcc_lo, v61, 4
	v_add_co_ci_u32_e32 v62, vcc_lo, 0, v62, vcc_lo
	s_add_u32 s14, s8, -1
	s_addc_u32 s15, s9, -1
	s_mov_b64 s[22:23], 0
	s_mov_b32 s3, 0
                                        ; implicit-def: $sgpr21
	s_set_inst_prefetch_distance 0x1
	s_branch .LBB1537_108
	.p2align	6
.LBB1537_106:                           ;   in Loop: Header=BB1537_108 Depth=1
	global_load_b32 v63, v[61:62], off
	global_load_b32 v64, v[59:60], off
	v_add_co_u32 v59, vcc_lo, v59, 4
	v_add_co_ci_u32_e32 v60, vcc_lo, 0, v60, vcc_lo
	v_add_co_u32 v61, s0, v61, 4
	s_delay_alu instid0(VALU_DEP_1)
	v_add_co_ci_u32_e64 v62, s0, 0, v62, s0
	s_add_u32 s22, s22, 1
	s_addc_u32 s23, s23, 0
	s_and_not1_b32 s0, s21, exec_lo
	s_waitcnt vmcnt(0)
	v_cmp_ne_u32_e32 vcc_lo, v63, v64
	s_and_b32 s21, vcc_lo, exec_lo
	s_delay_alu instid0(SALU_CYCLE_1)
	s_or_b32 s21, s0, s21
.LBB1537_107:                           ;   in Loop: Header=BB1537_108 Depth=1
	v_dual_mov_b32 v64, s23 :: v_dual_mov_b32 v63, s22
	s_and_b32 s0, exec_lo, s21
	s_delay_alu instid0(SALU_CYCLE_1) | instskip(NEXT) | instid1(SALU_CYCLE_1)
	s_or_b32 s3, s0, s3
	s_and_not1_b32 exec_lo, exec_lo, s3
	s_cbranch_execz .LBB1537_110
.LBB1537_108:                           ; =>This Inner Loop Header: Depth=1
	s_or_b32 s21, s21, exec_lo
	s_cmp_eq_u64 s[14:15], s[22:23]
	s_cbranch_scc0 .LBB1537_106
; %bb.109:                              ;   in Loop: Header=BB1537_108 Depth=1
	s_mov_b64 s[22:23], s[8:9]
                                        ; implicit-def: $vgpr59_vgpr60
                                        ; implicit-def: $vgpr61_vgpr62
	s_branch .LBB1537_107
.LBB1537_110:
	s_set_inst_prefetch_distance 0x2
	s_or_b32 exec_lo, exec_lo, s3
	v_cmp_gt_i64_e32 vcc_lo, s[8:9], v[63:64]
	s_mov_b32 s0, 0
	s_delay_alu instid0(SALU_CYCLE_1)
	v_mov_b32_e32 v120, s0
	v_cndmask_b32_e64 v119, 0, 1, vcc_lo
.LBB1537_111:
	s_or_b32 exec_lo, exec_lo, s1
.LBB1537_112:
	v_mul_lo_u32 v61, v54, s8
	v_mul_lo_u32 v62, v53, s9
	v_mad_u64_u32 v[59:60], null, v53, s8, 0
	v_mov_b32_e32 v123, 0
	v_mov_b32_e32 v124, 0
	v_cmp_ne_u32_e32 vcc_lo, 1, v65
	s_delay_alu instid0(VALU_DEP_2) | instskip(SKIP_1) | instid1(VALU_DEP_1)
	v_dual_mov_b32 v121, v123 :: v_dual_mov_b32 v122, v124
	v_add3_u32 v60, v60, v62, v61
	v_lshlrev_b64 v[59:60], 2, v[59:60]
	s_cbranch_vccnz .LBB1537_121
; %bb.113:
	v_add_co_u32 v61, vcc_lo, s10, v57
	v_add_co_ci_u32_e32 v62, vcc_lo, s11, v58, vcc_lo
	s_delay_alu instid0(VALU_DEP_3) | instskip(NEXT) | instid1(VALU_DEP_4)
	v_add_co_u32 v57, vcc_lo, s10, v59
	v_add_co_ci_u32_e32 v58, vcc_lo, s11, v60, vcc_lo
	v_mov_b32_e32 v121, 1
	s_clause 0x1
	global_load_b32 v63, v[61:62], off
	global_load_b32 v64, v[57:58], off
	v_mov_b32_e32 v122, 0
	s_mov_b32 s1, exec_lo
	s_waitcnt vmcnt(0)
	v_cmpx_eq_u32_e64 v63, v64
	s_cbranch_execz .LBB1537_120
; %bb.114:
	v_add_co_u32 v57, vcc_lo, v57, 4
	v_add_co_ci_u32_e32 v58, vcc_lo, 0, v58, vcc_lo
	v_add_co_u32 v61, vcc_lo, v61, 4
	v_add_co_ci_u32_e32 v62, vcc_lo, 0, v62, vcc_lo
	s_add_u32 s14, s8, -1
	s_addc_u32 s15, s9, -1
	s_mov_b64 s[22:23], 0
	s_mov_b32 s3, 0
                                        ; implicit-def: $sgpr21
	s_set_inst_prefetch_distance 0x1
	s_branch .LBB1537_117
	.p2align	6
.LBB1537_115:                           ;   in Loop: Header=BB1537_117 Depth=1
	global_load_b32 v63, v[61:62], off
	global_load_b32 v64, v[57:58], off
	v_add_co_u32 v57, vcc_lo, v57, 4
	v_add_co_ci_u32_e32 v58, vcc_lo, 0, v58, vcc_lo
	v_add_co_u32 v61, s0, v61, 4
	s_delay_alu instid0(VALU_DEP_1)
	v_add_co_ci_u32_e64 v62, s0, 0, v62, s0
	s_add_u32 s22, s22, 1
	s_addc_u32 s23, s23, 0
	s_and_not1_b32 s0, s21, exec_lo
	s_waitcnt vmcnt(0)
	v_cmp_ne_u32_e32 vcc_lo, v63, v64
	s_and_b32 s21, vcc_lo, exec_lo
	s_delay_alu instid0(SALU_CYCLE_1)
	s_or_b32 s21, s0, s21
.LBB1537_116:                           ;   in Loop: Header=BB1537_117 Depth=1
	v_dual_mov_b32 v64, s23 :: v_dual_mov_b32 v63, s22
	s_and_b32 s0, exec_lo, s21
	s_delay_alu instid0(SALU_CYCLE_1) | instskip(NEXT) | instid1(SALU_CYCLE_1)
	s_or_b32 s3, s0, s3
	s_and_not1_b32 exec_lo, exec_lo, s3
	s_cbranch_execz .LBB1537_119
.LBB1537_117:                           ; =>This Inner Loop Header: Depth=1
	s_or_b32 s21, s21, exec_lo
	s_cmp_eq_u64 s[14:15], s[22:23]
	s_cbranch_scc0 .LBB1537_115
; %bb.118:                              ;   in Loop: Header=BB1537_117 Depth=1
	s_mov_b64 s[22:23], s[8:9]
                                        ; implicit-def: $vgpr57_vgpr58
                                        ; implicit-def: $vgpr61_vgpr62
	s_branch .LBB1537_116
.LBB1537_119:
	s_set_inst_prefetch_distance 0x2
	s_or_b32 exec_lo, exec_lo, s3
	v_cmp_gt_i64_e32 vcc_lo, s[8:9], v[63:64]
	s_mov_b32 s0, 0
	s_delay_alu instid0(SALU_CYCLE_1)
	v_mov_b32_e32 v122, s0
	v_cndmask_b32_e64 v121, 0, 1, vcc_lo
.LBB1537_120:
	s_or_b32 exec_lo, exec_lo, s1
.LBB1537_121:
	v_mul_lo_u32 v61, v52, s8
	v_mul_lo_u32 v62, v51, s9
	v_mad_u64_u32 v[57:58], null, v51, s8, 0
	v_cmp_ne_u32_e32 vcc_lo, 1, v65
	s_delay_alu instid0(VALU_DEP_2) | instskip(NEXT) | instid1(VALU_DEP_1)
	v_add3_u32 v58, v58, v62, v61
	v_lshlrev_b64 v[57:58], 2, v[57:58]
	s_cbranch_vccnz .LBB1537_130
; %bb.122:
	v_add_co_u32 v61, vcc_lo, s10, v59
	v_add_co_ci_u32_e32 v62, vcc_lo, s11, v60, vcc_lo
	s_delay_alu instid0(VALU_DEP_3) | instskip(NEXT) | instid1(VALU_DEP_4)
	v_add_co_u32 v59, vcc_lo, s10, v57
	v_add_co_ci_u32_e32 v60, vcc_lo, s11, v58, vcc_lo
	v_mov_b32_e32 v123, 1
	s_clause 0x1
	global_load_b32 v63, v[61:62], off
	global_load_b32 v64, v[59:60], off
	v_mov_b32_e32 v124, 0
	s_mov_b32 s1, exec_lo
	s_waitcnt vmcnt(0)
	v_cmpx_eq_u32_e64 v63, v64
	s_cbranch_execz .LBB1537_129
; %bb.123:
	v_add_co_u32 v59, vcc_lo, v59, 4
	v_add_co_ci_u32_e32 v60, vcc_lo, 0, v60, vcc_lo
	v_add_co_u32 v61, vcc_lo, v61, 4
	v_add_co_ci_u32_e32 v62, vcc_lo, 0, v62, vcc_lo
	s_add_u32 s14, s8, -1
	s_addc_u32 s15, s9, -1
	s_mov_b64 s[22:23], 0
	s_mov_b32 s3, 0
                                        ; implicit-def: $sgpr21
	s_set_inst_prefetch_distance 0x1
	s_branch .LBB1537_126
	.p2align	6
.LBB1537_124:                           ;   in Loop: Header=BB1537_126 Depth=1
	global_load_b32 v63, v[61:62], off
	global_load_b32 v64, v[59:60], off
	v_add_co_u32 v59, vcc_lo, v59, 4
	v_add_co_ci_u32_e32 v60, vcc_lo, 0, v60, vcc_lo
	v_add_co_u32 v61, s0, v61, 4
	s_delay_alu instid0(VALU_DEP_1)
	v_add_co_ci_u32_e64 v62, s0, 0, v62, s0
	s_add_u32 s22, s22, 1
	s_addc_u32 s23, s23, 0
	s_and_not1_b32 s0, s21, exec_lo
	s_waitcnt vmcnt(0)
	v_cmp_ne_u32_e32 vcc_lo, v63, v64
	s_and_b32 s21, vcc_lo, exec_lo
	s_delay_alu instid0(SALU_CYCLE_1)
	s_or_b32 s21, s0, s21
.LBB1537_125:                           ;   in Loop: Header=BB1537_126 Depth=1
	v_dual_mov_b32 v64, s23 :: v_dual_mov_b32 v63, s22
	s_and_b32 s0, exec_lo, s21
	s_delay_alu instid0(SALU_CYCLE_1) | instskip(NEXT) | instid1(SALU_CYCLE_1)
	s_or_b32 s3, s0, s3
	s_and_not1_b32 exec_lo, exec_lo, s3
	s_cbranch_execz .LBB1537_128
.LBB1537_126:                           ; =>This Inner Loop Header: Depth=1
	s_or_b32 s21, s21, exec_lo
	s_cmp_eq_u64 s[14:15], s[22:23]
	s_cbranch_scc0 .LBB1537_124
; %bb.127:                              ;   in Loop: Header=BB1537_126 Depth=1
	s_mov_b64 s[22:23], s[8:9]
                                        ; implicit-def: $vgpr59_vgpr60
                                        ; implicit-def: $vgpr61_vgpr62
	s_branch .LBB1537_125
.LBB1537_128:
	s_set_inst_prefetch_distance 0x2
	s_or_b32 exec_lo, exec_lo, s3
	v_cmp_gt_i64_e32 vcc_lo, s[8:9], v[63:64]
	s_mov_b32 s0, 0
	s_delay_alu instid0(SALU_CYCLE_1)
	v_mov_b32_e32 v124, s0
	v_cndmask_b32_e64 v123, 0, 1, vcc_lo
.LBB1537_129:
	s_or_b32 exec_lo, exec_lo, s1
.LBB1537_130:
	v_mul_lo_u32 v61, v50, s8
	v_mul_lo_u32 v62, v49, s9
	v_mad_u64_u32 v[59:60], null, v49, s8, 0
	v_mov_b32_e32 v127, 0
	v_mov_b32_e32 v128, 0
	v_cmp_ne_u32_e32 vcc_lo, 1, v65
	s_delay_alu instid0(VALU_DEP_2) | instskip(SKIP_1) | instid1(VALU_DEP_1)
	v_dual_mov_b32 v125, v127 :: v_dual_mov_b32 v126, v128
	v_add3_u32 v60, v60, v62, v61
	v_lshlrev_b64 v[59:60], 2, v[59:60]
	s_cbranch_vccnz .LBB1537_139
; %bb.131:
	v_add_co_u32 v61, vcc_lo, s10, v57
	v_add_co_ci_u32_e32 v62, vcc_lo, s11, v58, vcc_lo
	s_delay_alu instid0(VALU_DEP_3) | instskip(NEXT) | instid1(VALU_DEP_4)
	v_add_co_u32 v57, vcc_lo, s10, v59
	v_add_co_ci_u32_e32 v58, vcc_lo, s11, v60, vcc_lo
	v_mov_b32_e32 v125, 1
	s_clause 0x1
	global_load_b32 v63, v[61:62], off
	global_load_b32 v64, v[57:58], off
	v_mov_b32_e32 v126, 0
	s_mov_b32 s1, exec_lo
	s_waitcnt vmcnt(0)
	v_cmpx_eq_u32_e64 v63, v64
	s_cbranch_execz .LBB1537_138
; %bb.132:
	v_add_co_u32 v57, vcc_lo, v57, 4
	v_add_co_ci_u32_e32 v58, vcc_lo, 0, v58, vcc_lo
	v_add_co_u32 v61, vcc_lo, v61, 4
	v_add_co_ci_u32_e32 v62, vcc_lo, 0, v62, vcc_lo
	s_add_u32 s14, s8, -1
	s_addc_u32 s15, s9, -1
	s_mov_b64 s[22:23], 0
	s_mov_b32 s3, 0
                                        ; implicit-def: $sgpr21
	s_set_inst_prefetch_distance 0x1
	s_branch .LBB1537_135
	.p2align	6
.LBB1537_133:                           ;   in Loop: Header=BB1537_135 Depth=1
	global_load_b32 v63, v[61:62], off
	global_load_b32 v64, v[57:58], off
	v_add_co_u32 v57, vcc_lo, v57, 4
	v_add_co_ci_u32_e32 v58, vcc_lo, 0, v58, vcc_lo
	v_add_co_u32 v61, s0, v61, 4
	s_delay_alu instid0(VALU_DEP_1)
	v_add_co_ci_u32_e64 v62, s0, 0, v62, s0
	s_add_u32 s22, s22, 1
	s_addc_u32 s23, s23, 0
	s_and_not1_b32 s0, s21, exec_lo
	s_waitcnt vmcnt(0)
	v_cmp_ne_u32_e32 vcc_lo, v63, v64
	s_and_b32 s21, vcc_lo, exec_lo
	s_delay_alu instid0(SALU_CYCLE_1)
	s_or_b32 s21, s0, s21
.LBB1537_134:                           ;   in Loop: Header=BB1537_135 Depth=1
	v_dual_mov_b32 v64, s23 :: v_dual_mov_b32 v63, s22
	s_and_b32 s0, exec_lo, s21
	s_delay_alu instid0(SALU_CYCLE_1) | instskip(NEXT) | instid1(SALU_CYCLE_1)
	s_or_b32 s3, s0, s3
	s_and_not1_b32 exec_lo, exec_lo, s3
	s_cbranch_execz .LBB1537_137
.LBB1537_135:                           ; =>This Inner Loop Header: Depth=1
	s_or_b32 s21, s21, exec_lo
	s_cmp_eq_u64 s[14:15], s[22:23]
	s_cbranch_scc0 .LBB1537_133
; %bb.136:                              ;   in Loop: Header=BB1537_135 Depth=1
	s_mov_b64 s[22:23], s[8:9]
                                        ; implicit-def: $vgpr57_vgpr58
                                        ; implicit-def: $vgpr61_vgpr62
	s_branch .LBB1537_134
.LBB1537_137:
	s_set_inst_prefetch_distance 0x2
	s_or_b32 exec_lo, exec_lo, s3
	v_cmp_gt_i64_e32 vcc_lo, s[8:9], v[63:64]
	s_mov_b32 s0, 0
	s_delay_alu instid0(SALU_CYCLE_1)
	v_mov_b32_e32 v126, s0
	v_cndmask_b32_e64 v125, 0, 1, vcc_lo
.LBB1537_138:
	s_or_b32 exec_lo, exec_lo, s1
.LBB1537_139:
	v_mul_lo_u32 v61, v48, s8
	v_mul_lo_u32 v62, v47, s9
	v_mad_u64_u32 v[57:58], null, v47, s8, 0
	v_cmp_ne_u32_e32 vcc_lo, 1, v65
	s_delay_alu instid0(VALU_DEP_2) | instskip(NEXT) | instid1(VALU_DEP_1)
	v_add3_u32 v58, v58, v62, v61
	v_lshlrev_b64 v[57:58], 2, v[57:58]
	s_cbranch_vccnz .LBB1537_148
; %bb.140:
	v_add_co_u32 v61, vcc_lo, s10, v59
	v_add_co_ci_u32_e32 v62, vcc_lo, s11, v60, vcc_lo
	s_delay_alu instid0(VALU_DEP_3) | instskip(NEXT) | instid1(VALU_DEP_4)
	v_add_co_u32 v59, vcc_lo, s10, v57
	v_add_co_ci_u32_e32 v60, vcc_lo, s11, v58, vcc_lo
	v_mov_b32_e32 v127, 1
	s_clause 0x1
	global_load_b32 v63, v[61:62], off
	global_load_b32 v64, v[59:60], off
	v_mov_b32_e32 v128, 0
	s_mov_b32 s1, exec_lo
	s_waitcnt vmcnt(0)
	v_cmpx_eq_u32_e64 v63, v64
	s_cbranch_execz .LBB1537_147
; %bb.141:
	v_add_co_u32 v59, vcc_lo, v59, 4
	v_add_co_ci_u32_e32 v60, vcc_lo, 0, v60, vcc_lo
	v_add_co_u32 v61, vcc_lo, v61, 4
	v_add_co_ci_u32_e32 v62, vcc_lo, 0, v62, vcc_lo
	s_add_u32 s14, s8, -1
	s_addc_u32 s15, s9, -1
	s_mov_b64 s[22:23], 0
	s_mov_b32 s3, 0
                                        ; implicit-def: $sgpr21
	s_set_inst_prefetch_distance 0x1
	s_branch .LBB1537_144
	.p2align	6
.LBB1537_142:                           ;   in Loop: Header=BB1537_144 Depth=1
	global_load_b32 v63, v[61:62], off
	global_load_b32 v64, v[59:60], off
	v_add_co_u32 v59, vcc_lo, v59, 4
	v_add_co_ci_u32_e32 v60, vcc_lo, 0, v60, vcc_lo
	v_add_co_u32 v61, s0, v61, 4
	s_delay_alu instid0(VALU_DEP_1)
	v_add_co_ci_u32_e64 v62, s0, 0, v62, s0
	s_add_u32 s22, s22, 1
	s_addc_u32 s23, s23, 0
	s_and_not1_b32 s0, s21, exec_lo
	s_waitcnt vmcnt(0)
	v_cmp_ne_u32_e32 vcc_lo, v63, v64
	s_and_b32 s21, vcc_lo, exec_lo
	s_delay_alu instid0(SALU_CYCLE_1)
	s_or_b32 s21, s0, s21
.LBB1537_143:                           ;   in Loop: Header=BB1537_144 Depth=1
	v_dual_mov_b32 v64, s23 :: v_dual_mov_b32 v63, s22
	s_and_b32 s0, exec_lo, s21
	s_delay_alu instid0(SALU_CYCLE_1) | instskip(NEXT) | instid1(SALU_CYCLE_1)
	s_or_b32 s3, s0, s3
	s_and_not1_b32 exec_lo, exec_lo, s3
	s_cbranch_execz .LBB1537_146
.LBB1537_144:                           ; =>This Inner Loop Header: Depth=1
	s_or_b32 s21, s21, exec_lo
	s_cmp_eq_u64 s[14:15], s[22:23]
	s_cbranch_scc0 .LBB1537_142
; %bb.145:                              ;   in Loop: Header=BB1537_144 Depth=1
	s_mov_b64 s[22:23], s[8:9]
                                        ; implicit-def: $vgpr59_vgpr60
                                        ; implicit-def: $vgpr61_vgpr62
	s_branch .LBB1537_143
.LBB1537_146:
	s_set_inst_prefetch_distance 0x2
	s_or_b32 exec_lo, exec_lo, s3
	v_cmp_gt_i64_e32 vcc_lo, s[8:9], v[63:64]
	s_mov_b32 s0, 0
	s_delay_alu instid0(SALU_CYCLE_1)
	v_mov_b32_e32 v128, s0
	v_cndmask_b32_e64 v127, 0, 1, vcc_lo
.LBB1537_147:
	s_or_b32 exec_lo, exec_lo, s1
.LBB1537_148:
	v_mul_lo_u32 v61, v46, s8
	v_mul_lo_u32 v62, v45, s9
	v_mad_u64_u32 v[59:60], null, v45, s8, 0
	v_mov_b32_e32 v131, 0
	v_mov_b32_e32 v132, 0
	v_cmp_ne_u32_e32 vcc_lo, 1, v65
	s_delay_alu instid0(VALU_DEP_2) | instskip(SKIP_1) | instid1(VALU_DEP_1)
	v_dual_mov_b32 v129, v131 :: v_dual_mov_b32 v130, v132
	v_add3_u32 v60, v60, v62, v61
	v_lshlrev_b64 v[59:60], 2, v[59:60]
	s_cbranch_vccnz .LBB1537_157
; %bb.149:
	v_add_co_u32 v61, vcc_lo, s10, v57
	v_add_co_ci_u32_e32 v62, vcc_lo, s11, v58, vcc_lo
	s_delay_alu instid0(VALU_DEP_3) | instskip(NEXT) | instid1(VALU_DEP_4)
	v_add_co_u32 v57, vcc_lo, s10, v59
	v_add_co_ci_u32_e32 v58, vcc_lo, s11, v60, vcc_lo
	v_mov_b32_e32 v129, 1
	s_clause 0x1
	global_load_b32 v63, v[61:62], off
	global_load_b32 v64, v[57:58], off
	v_mov_b32_e32 v130, 0
	s_mov_b32 s1, exec_lo
	s_waitcnt vmcnt(0)
	v_cmpx_eq_u32_e64 v63, v64
	s_cbranch_execz .LBB1537_156
; %bb.150:
	v_add_co_u32 v57, vcc_lo, v57, 4
	v_add_co_ci_u32_e32 v58, vcc_lo, 0, v58, vcc_lo
	v_add_co_u32 v61, vcc_lo, v61, 4
	v_add_co_ci_u32_e32 v62, vcc_lo, 0, v62, vcc_lo
	s_add_u32 s14, s8, -1
	s_addc_u32 s15, s9, -1
	s_mov_b64 s[22:23], 0
	s_mov_b32 s3, 0
                                        ; implicit-def: $sgpr21
	s_set_inst_prefetch_distance 0x1
	s_branch .LBB1537_153
	.p2align	6
.LBB1537_151:                           ;   in Loop: Header=BB1537_153 Depth=1
	global_load_b32 v63, v[61:62], off
	global_load_b32 v64, v[57:58], off
	v_add_co_u32 v57, vcc_lo, v57, 4
	v_add_co_ci_u32_e32 v58, vcc_lo, 0, v58, vcc_lo
	v_add_co_u32 v61, s0, v61, 4
	s_delay_alu instid0(VALU_DEP_1)
	v_add_co_ci_u32_e64 v62, s0, 0, v62, s0
	s_add_u32 s22, s22, 1
	s_addc_u32 s23, s23, 0
	s_and_not1_b32 s0, s21, exec_lo
	s_waitcnt vmcnt(0)
	v_cmp_ne_u32_e32 vcc_lo, v63, v64
	s_and_b32 s21, vcc_lo, exec_lo
	s_delay_alu instid0(SALU_CYCLE_1)
	s_or_b32 s21, s0, s21
.LBB1537_152:                           ;   in Loop: Header=BB1537_153 Depth=1
	v_dual_mov_b32 v64, s23 :: v_dual_mov_b32 v63, s22
	s_and_b32 s0, exec_lo, s21
	s_delay_alu instid0(SALU_CYCLE_1) | instskip(NEXT) | instid1(SALU_CYCLE_1)
	s_or_b32 s3, s0, s3
	s_and_not1_b32 exec_lo, exec_lo, s3
	s_cbranch_execz .LBB1537_155
.LBB1537_153:                           ; =>This Inner Loop Header: Depth=1
	s_or_b32 s21, s21, exec_lo
	s_cmp_eq_u64 s[14:15], s[22:23]
	s_cbranch_scc0 .LBB1537_151
; %bb.154:                              ;   in Loop: Header=BB1537_153 Depth=1
	s_mov_b64 s[22:23], s[8:9]
                                        ; implicit-def: $vgpr57_vgpr58
                                        ; implicit-def: $vgpr61_vgpr62
	s_branch .LBB1537_152
.LBB1537_155:
	s_set_inst_prefetch_distance 0x2
	s_or_b32 exec_lo, exec_lo, s3
	v_cmp_gt_i64_e32 vcc_lo, s[8:9], v[63:64]
	s_mov_b32 s0, 0
	s_delay_alu instid0(SALU_CYCLE_1)
	v_mov_b32_e32 v130, s0
	v_cndmask_b32_e64 v129, 0, 1, vcc_lo
.LBB1537_156:
	s_or_b32 exec_lo, exec_lo, s1
.LBB1537_157:
	v_mul_lo_u32 v61, v44, s8
	v_mul_lo_u32 v62, v43, s9
	v_mad_u64_u32 v[57:58], null, v43, s8, 0
	v_cmp_ne_u32_e32 vcc_lo, 1, v65
	s_delay_alu instid0(VALU_DEP_2) | instskip(NEXT) | instid1(VALU_DEP_1)
	v_add3_u32 v58, v58, v62, v61
	v_lshlrev_b64 v[57:58], 2, v[57:58]
	s_cbranch_vccnz .LBB1537_166
; %bb.158:
	v_add_co_u32 v61, vcc_lo, s10, v59
	v_add_co_ci_u32_e32 v62, vcc_lo, s11, v60, vcc_lo
	s_delay_alu instid0(VALU_DEP_3) | instskip(NEXT) | instid1(VALU_DEP_4)
	v_add_co_u32 v59, vcc_lo, s10, v57
	v_add_co_ci_u32_e32 v60, vcc_lo, s11, v58, vcc_lo
	v_mov_b32_e32 v131, 1
	s_clause 0x1
	global_load_b32 v63, v[61:62], off
	global_load_b32 v64, v[59:60], off
	v_mov_b32_e32 v132, 0
	s_mov_b32 s1, exec_lo
	s_waitcnt vmcnt(0)
	v_cmpx_eq_u32_e64 v63, v64
	s_cbranch_execz .LBB1537_165
; %bb.159:
	v_add_co_u32 v59, vcc_lo, v59, 4
	v_add_co_ci_u32_e32 v60, vcc_lo, 0, v60, vcc_lo
	v_add_co_u32 v61, vcc_lo, v61, 4
	v_add_co_ci_u32_e32 v62, vcc_lo, 0, v62, vcc_lo
	s_add_u32 s14, s8, -1
	s_addc_u32 s15, s9, -1
	s_mov_b64 s[22:23], 0
	s_mov_b32 s3, 0
                                        ; implicit-def: $sgpr21
	s_set_inst_prefetch_distance 0x1
	s_branch .LBB1537_162
	.p2align	6
.LBB1537_160:                           ;   in Loop: Header=BB1537_162 Depth=1
	global_load_b32 v63, v[61:62], off
	global_load_b32 v64, v[59:60], off
	v_add_co_u32 v59, vcc_lo, v59, 4
	v_add_co_ci_u32_e32 v60, vcc_lo, 0, v60, vcc_lo
	v_add_co_u32 v61, s0, v61, 4
	s_delay_alu instid0(VALU_DEP_1)
	v_add_co_ci_u32_e64 v62, s0, 0, v62, s0
	s_add_u32 s22, s22, 1
	s_addc_u32 s23, s23, 0
	s_and_not1_b32 s0, s21, exec_lo
	s_waitcnt vmcnt(0)
	v_cmp_ne_u32_e32 vcc_lo, v63, v64
	s_and_b32 s21, vcc_lo, exec_lo
	s_delay_alu instid0(SALU_CYCLE_1)
	s_or_b32 s21, s0, s21
.LBB1537_161:                           ;   in Loop: Header=BB1537_162 Depth=1
	v_dual_mov_b32 v64, s23 :: v_dual_mov_b32 v63, s22
	s_and_b32 s0, exec_lo, s21
	s_delay_alu instid0(SALU_CYCLE_1) | instskip(NEXT) | instid1(SALU_CYCLE_1)
	s_or_b32 s3, s0, s3
	s_and_not1_b32 exec_lo, exec_lo, s3
	s_cbranch_execz .LBB1537_164
.LBB1537_162:                           ; =>This Inner Loop Header: Depth=1
	s_or_b32 s21, s21, exec_lo
	s_cmp_eq_u64 s[14:15], s[22:23]
	s_cbranch_scc0 .LBB1537_160
; %bb.163:                              ;   in Loop: Header=BB1537_162 Depth=1
	s_mov_b64 s[22:23], s[8:9]
                                        ; implicit-def: $vgpr59_vgpr60
                                        ; implicit-def: $vgpr61_vgpr62
	s_branch .LBB1537_161
.LBB1537_164:
	s_set_inst_prefetch_distance 0x2
	s_or_b32 exec_lo, exec_lo, s3
	v_cmp_gt_i64_e32 vcc_lo, s[8:9], v[63:64]
	s_mov_b32 s0, 0
	s_delay_alu instid0(SALU_CYCLE_1)
	v_mov_b32_e32 v132, s0
	v_cndmask_b32_e64 v131, 0, 1, vcc_lo
.LBB1537_165:
	s_or_b32 exec_lo, exec_lo, s1
.LBB1537_166:
	v_mul_lo_u32 v61, v42, s8
	v_mul_lo_u32 v62, v41, s9
	v_mad_u64_u32 v[59:60], null, v41, s8, 0
	v_mov_b32_e32 v135, 0
	v_mov_b32_e32 v136, 0
	v_cmp_ne_u32_e32 vcc_lo, 1, v65
	s_delay_alu instid0(VALU_DEP_2) | instskip(SKIP_1) | instid1(VALU_DEP_1)
	v_dual_mov_b32 v133, v135 :: v_dual_mov_b32 v134, v136
	v_add3_u32 v60, v60, v62, v61
	v_lshlrev_b64 v[59:60], 2, v[59:60]
	s_cbranch_vccnz .LBB1537_175
; %bb.167:
	v_add_co_u32 v61, vcc_lo, s10, v57
	v_add_co_ci_u32_e32 v62, vcc_lo, s11, v58, vcc_lo
	s_delay_alu instid0(VALU_DEP_3) | instskip(NEXT) | instid1(VALU_DEP_4)
	v_add_co_u32 v57, vcc_lo, s10, v59
	v_add_co_ci_u32_e32 v58, vcc_lo, s11, v60, vcc_lo
	v_mov_b32_e32 v133, 1
	s_clause 0x1
	global_load_b32 v63, v[61:62], off
	global_load_b32 v64, v[57:58], off
	v_mov_b32_e32 v134, 0
	s_mov_b32 s1, exec_lo
	s_waitcnt vmcnt(0)
	v_cmpx_eq_u32_e64 v63, v64
	s_cbranch_execz .LBB1537_174
; %bb.168:
	v_add_co_u32 v57, vcc_lo, v57, 4
	v_add_co_ci_u32_e32 v58, vcc_lo, 0, v58, vcc_lo
	v_add_co_u32 v61, vcc_lo, v61, 4
	v_add_co_ci_u32_e32 v62, vcc_lo, 0, v62, vcc_lo
	s_add_u32 s14, s8, -1
	s_addc_u32 s15, s9, -1
	s_mov_b64 s[22:23], 0
	s_mov_b32 s3, 0
                                        ; implicit-def: $sgpr21
	s_set_inst_prefetch_distance 0x1
	s_branch .LBB1537_171
	.p2align	6
.LBB1537_169:                           ;   in Loop: Header=BB1537_171 Depth=1
	global_load_b32 v63, v[61:62], off
	global_load_b32 v64, v[57:58], off
	v_add_co_u32 v57, vcc_lo, v57, 4
	v_add_co_ci_u32_e32 v58, vcc_lo, 0, v58, vcc_lo
	v_add_co_u32 v61, s0, v61, 4
	s_delay_alu instid0(VALU_DEP_1)
	v_add_co_ci_u32_e64 v62, s0, 0, v62, s0
	s_add_u32 s22, s22, 1
	s_addc_u32 s23, s23, 0
	s_and_not1_b32 s0, s21, exec_lo
	s_waitcnt vmcnt(0)
	v_cmp_ne_u32_e32 vcc_lo, v63, v64
	s_and_b32 s21, vcc_lo, exec_lo
	s_delay_alu instid0(SALU_CYCLE_1)
	s_or_b32 s21, s0, s21
.LBB1537_170:                           ;   in Loop: Header=BB1537_171 Depth=1
	v_dual_mov_b32 v64, s23 :: v_dual_mov_b32 v63, s22
	s_and_b32 s0, exec_lo, s21
	s_delay_alu instid0(SALU_CYCLE_1) | instskip(NEXT) | instid1(SALU_CYCLE_1)
	s_or_b32 s3, s0, s3
	s_and_not1_b32 exec_lo, exec_lo, s3
	s_cbranch_execz .LBB1537_173
.LBB1537_171:                           ; =>This Inner Loop Header: Depth=1
	s_or_b32 s21, s21, exec_lo
	s_cmp_eq_u64 s[14:15], s[22:23]
	s_cbranch_scc0 .LBB1537_169
; %bb.172:                              ;   in Loop: Header=BB1537_171 Depth=1
	s_mov_b64 s[22:23], s[8:9]
                                        ; implicit-def: $vgpr57_vgpr58
                                        ; implicit-def: $vgpr61_vgpr62
	s_branch .LBB1537_170
.LBB1537_173:
	s_set_inst_prefetch_distance 0x2
	s_or_b32 exec_lo, exec_lo, s3
	v_cmp_gt_i64_e32 vcc_lo, s[8:9], v[63:64]
	s_mov_b32 s0, 0
	s_delay_alu instid0(SALU_CYCLE_1)
	v_mov_b32_e32 v134, s0
	v_cndmask_b32_e64 v133, 0, 1, vcc_lo
.LBB1537_174:
	s_or_b32 exec_lo, exec_lo, s1
.LBB1537_175:
	v_mul_lo_u32 v61, v40, s8
	v_mul_lo_u32 v62, v39, s9
	v_mad_u64_u32 v[57:58], null, v39, s8, 0
	v_cmp_ne_u32_e32 vcc_lo, 1, v65
	s_delay_alu instid0(VALU_DEP_2) | instskip(NEXT) | instid1(VALU_DEP_1)
	v_add3_u32 v58, v58, v62, v61
	v_lshlrev_b64 v[57:58], 2, v[57:58]
	s_cbranch_vccnz .LBB1537_184
; %bb.176:
	v_add_co_u32 v61, vcc_lo, s10, v59
	v_add_co_ci_u32_e32 v62, vcc_lo, s11, v60, vcc_lo
	s_delay_alu instid0(VALU_DEP_3) | instskip(NEXT) | instid1(VALU_DEP_4)
	v_add_co_u32 v59, vcc_lo, s10, v57
	v_add_co_ci_u32_e32 v60, vcc_lo, s11, v58, vcc_lo
	v_mov_b32_e32 v135, 1
	s_clause 0x1
	global_load_b32 v63, v[61:62], off
	global_load_b32 v64, v[59:60], off
	v_mov_b32_e32 v136, 0
	s_mov_b32 s1, exec_lo
	s_waitcnt vmcnt(0)
	v_cmpx_eq_u32_e64 v63, v64
	s_cbranch_execz .LBB1537_183
; %bb.177:
	v_add_co_u32 v59, vcc_lo, v59, 4
	v_add_co_ci_u32_e32 v60, vcc_lo, 0, v60, vcc_lo
	v_add_co_u32 v61, vcc_lo, v61, 4
	v_add_co_ci_u32_e32 v62, vcc_lo, 0, v62, vcc_lo
	s_add_u32 s14, s8, -1
	s_addc_u32 s15, s9, -1
	s_mov_b64 s[22:23], 0
	s_mov_b32 s3, 0
                                        ; implicit-def: $sgpr21
	s_set_inst_prefetch_distance 0x1
	s_branch .LBB1537_180
	.p2align	6
.LBB1537_178:                           ;   in Loop: Header=BB1537_180 Depth=1
	global_load_b32 v63, v[61:62], off
	global_load_b32 v64, v[59:60], off
	v_add_co_u32 v59, vcc_lo, v59, 4
	v_add_co_ci_u32_e32 v60, vcc_lo, 0, v60, vcc_lo
	v_add_co_u32 v61, s0, v61, 4
	s_delay_alu instid0(VALU_DEP_1)
	v_add_co_ci_u32_e64 v62, s0, 0, v62, s0
	s_add_u32 s22, s22, 1
	s_addc_u32 s23, s23, 0
	s_and_not1_b32 s0, s21, exec_lo
	s_waitcnt vmcnt(0)
	v_cmp_ne_u32_e32 vcc_lo, v63, v64
	s_and_b32 s21, vcc_lo, exec_lo
	s_delay_alu instid0(SALU_CYCLE_1)
	s_or_b32 s21, s0, s21
.LBB1537_179:                           ;   in Loop: Header=BB1537_180 Depth=1
	v_dual_mov_b32 v64, s23 :: v_dual_mov_b32 v63, s22
	s_and_b32 s0, exec_lo, s21
	s_delay_alu instid0(SALU_CYCLE_1) | instskip(NEXT) | instid1(SALU_CYCLE_1)
	s_or_b32 s3, s0, s3
	s_and_not1_b32 exec_lo, exec_lo, s3
	s_cbranch_execz .LBB1537_182
.LBB1537_180:                           ; =>This Inner Loop Header: Depth=1
	s_or_b32 s21, s21, exec_lo
	s_cmp_eq_u64 s[14:15], s[22:23]
	s_cbranch_scc0 .LBB1537_178
; %bb.181:                              ;   in Loop: Header=BB1537_180 Depth=1
	s_mov_b64 s[22:23], s[8:9]
                                        ; implicit-def: $vgpr59_vgpr60
                                        ; implicit-def: $vgpr61_vgpr62
	s_branch .LBB1537_179
.LBB1537_182:
	s_set_inst_prefetch_distance 0x2
	s_or_b32 exec_lo, exec_lo, s3
	v_cmp_gt_i64_e32 vcc_lo, s[8:9], v[63:64]
	s_mov_b32 s0, 0
	s_delay_alu instid0(SALU_CYCLE_1)
	v_mov_b32_e32 v136, s0
	v_cndmask_b32_e64 v135, 0, 1, vcc_lo
.LBB1537_183:
	s_or_b32 exec_lo, exec_lo, s1
.LBB1537_184:
	v_mul_lo_u32 v61, v38, s8
	v_mul_lo_u32 v62, v37, s9
	v_mad_u64_u32 v[59:60], null, v37, s8, 0
	v_mov_b32_e32 v139, 0
	v_mov_b32_e32 v140, 0
	v_cmp_ne_u32_e32 vcc_lo, 1, v65
	s_delay_alu instid0(VALU_DEP_2) | instskip(SKIP_1) | instid1(VALU_DEP_1)
	v_dual_mov_b32 v137, v139 :: v_dual_mov_b32 v138, v140
	v_add3_u32 v60, v60, v62, v61
	v_lshlrev_b64 v[59:60], 2, v[59:60]
	s_cbranch_vccnz .LBB1537_193
; %bb.185:
	v_add_co_u32 v61, vcc_lo, s10, v57
	v_add_co_ci_u32_e32 v62, vcc_lo, s11, v58, vcc_lo
	s_delay_alu instid0(VALU_DEP_3) | instskip(NEXT) | instid1(VALU_DEP_4)
	v_add_co_u32 v57, vcc_lo, s10, v59
	v_add_co_ci_u32_e32 v58, vcc_lo, s11, v60, vcc_lo
	v_mov_b32_e32 v137, 1
	s_clause 0x1
	global_load_b32 v63, v[61:62], off
	global_load_b32 v64, v[57:58], off
	v_mov_b32_e32 v138, 0
	s_mov_b32 s1, exec_lo
	s_waitcnt vmcnt(0)
	v_cmpx_eq_u32_e64 v63, v64
	s_cbranch_execz .LBB1537_192
; %bb.186:
	v_add_co_u32 v57, vcc_lo, v57, 4
	v_add_co_ci_u32_e32 v58, vcc_lo, 0, v58, vcc_lo
	v_add_co_u32 v61, vcc_lo, v61, 4
	v_add_co_ci_u32_e32 v62, vcc_lo, 0, v62, vcc_lo
	s_add_u32 s14, s8, -1
	s_addc_u32 s15, s9, -1
	s_mov_b64 s[22:23], 0
	s_mov_b32 s3, 0
                                        ; implicit-def: $sgpr21
	s_set_inst_prefetch_distance 0x1
	s_branch .LBB1537_189
	.p2align	6
.LBB1537_187:                           ;   in Loop: Header=BB1537_189 Depth=1
	global_load_b32 v63, v[61:62], off
	global_load_b32 v64, v[57:58], off
	v_add_co_u32 v57, vcc_lo, v57, 4
	v_add_co_ci_u32_e32 v58, vcc_lo, 0, v58, vcc_lo
	v_add_co_u32 v61, s0, v61, 4
	s_delay_alu instid0(VALU_DEP_1)
	v_add_co_ci_u32_e64 v62, s0, 0, v62, s0
	s_add_u32 s22, s22, 1
	s_addc_u32 s23, s23, 0
	s_and_not1_b32 s0, s21, exec_lo
	s_waitcnt vmcnt(0)
	v_cmp_ne_u32_e32 vcc_lo, v63, v64
	s_and_b32 s21, vcc_lo, exec_lo
	s_delay_alu instid0(SALU_CYCLE_1)
	s_or_b32 s21, s0, s21
.LBB1537_188:                           ;   in Loop: Header=BB1537_189 Depth=1
	v_dual_mov_b32 v64, s23 :: v_dual_mov_b32 v63, s22
	s_and_b32 s0, exec_lo, s21
	s_delay_alu instid0(SALU_CYCLE_1) | instskip(NEXT) | instid1(SALU_CYCLE_1)
	s_or_b32 s3, s0, s3
	s_and_not1_b32 exec_lo, exec_lo, s3
	s_cbranch_execz .LBB1537_191
.LBB1537_189:                           ; =>This Inner Loop Header: Depth=1
	s_or_b32 s21, s21, exec_lo
	s_cmp_eq_u64 s[14:15], s[22:23]
	s_cbranch_scc0 .LBB1537_187
; %bb.190:                              ;   in Loop: Header=BB1537_189 Depth=1
	s_mov_b64 s[22:23], s[8:9]
                                        ; implicit-def: $vgpr57_vgpr58
                                        ; implicit-def: $vgpr61_vgpr62
	s_branch .LBB1537_188
.LBB1537_191:
	s_set_inst_prefetch_distance 0x2
	s_or_b32 exec_lo, exec_lo, s3
	v_cmp_gt_i64_e32 vcc_lo, s[8:9], v[63:64]
	s_mov_b32 s0, 0
	s_delay_alu instid0(SALU_CYCLE_1)
	v_mov_b32_e32 v138, s0
	v_cndmask_b32_e64 v137, 0, 1, vcc_lo
.LBB1537_192:
	s_or_b32 exec_lo, exec_lo, s1
.LBB1537_193:
	v_mul_lo_u32 v61, v36, s8
	v_mul_lo_u32 v62, v35, s9
	v_mad_u64_u32 v[57:58], null, v35, s8, 0
	v_cmp_ne_u32_e32 vcc_lo, 1, v65
	s_delay_alu instid0(VALU_DEP_2) | instskip(NEXT) | instid1(VALU_DEP_1)
	v_add3_u32 v58, v58, v62, v61
	v_lshlrev_b64 v[57:58], 2, v[57:58]
	s_cbranch_vccnz .LBB1537_202
; %bb.194:
	v_add_co_u32 v61, vcc_lo, s10, v59
	v_add_co_ci_u32_e32 v62, vcc_lo, s11, v60, vcc_lo
	s_delay_alu instid0(VALU_DEP_3) | instskip(NEXT) | instid1(VALU_DEP_4)
	v_add_co_u32 v59, vcc_lo, s10, v57
	v_add_co_ci_u32_e32 v60, vcc_lo, s11, v58, vcc_lo
	v_mov_b32_e32 v139, 1
	s_clause 0x1
	global_load_b32 v63, v[61:62], off
	global_load_b32 v64, v[59:60], off
	v_mov_b32_e32 v140, 0
	s_mov_b32 s1, exec_lo
	s_waitcnt vmcnt(0)
	v_cmpx_eq_u32_e64 v63, v64
	s_cbranch_execz .LBB1537_201
; %bb.195:
	v_add_co_u32 v59, vcc_lo, v59, 4
	v_add_co_ci_u32_e32 v60, vcc_lo, 0, v60, vcc_lo
	v_add_co_u32 v61, vcc_lo, v61, 4
	v_add_co_ci_u32_e32 v62, vcc_lo, 0, v62, vcc_lo
	s_add_u32 s14, s8, -1
	s_addc_u32 s15, s9, -1
	s_mov_b64 s[22:23], 0
	s_mov_b32 s3, 0
                                        ; implicit-def: $sgpr21
	s_set_inst_prefetch_distance 0x1
	s_branch .LBB1537_198
	.p2align	6
.LBB1537_196:                           ;   in Loop: Header=BB1537_198 Depth=1
	global_load_b32 v63, v[61:62], off
	global_load_b32 v64, v[59:60], off
	v_add_co_u32 v59, vcc_lo, v59, 4
	v_add_co_ci_u32_e32 v60, vcc_lo, 0, v60, vcc_lo
	v_add_co_u32 v61, s0, v61, 4
	s_delay_alu instid0(VALU_DEP_1)
	v_add_co_ci_u32_e64 v62, s0, 0, v62, s0
	s_add_u32 s22, s22, 1
	s_addc_u32 s23, s23, 0
	s_and_not1_b32 s0, s21, exec_lo
	s_waitcnt vmcnt(0)
	v_cmp_ne_u32_e32 vcc_lo, v63, v64
	s_and_b32 s21, vcc_lo, exec_lo
	s_delay_alu instid0(SALU_CYCLE_1)
	s_or_b32 s21, s0, s21
.LBB1537_197:                           ;   in Loop: Header=BB1537_198 Depth=1
	v_dual_mov_b32 v64, s23 :: v_dual_mov_b32 v63, s22
	s_and_b32 s0, exec_lo, s21
	s_delay_alu instid0(SALU_CYCLE_1) | instskip(NEXT) | instid1(SALU_CYCLE_1)
	s_or_b32 s3, s0, s3
	s_and_not1_b32 exec_lo, exec_lo, s3
	s_cbranch_execz .LBB1537_200
.LBB1537_198:                           ; =>This Inner Loop Header: Depth=1
	s_or_b32 s21, s21, exec_lo
	s_cmp_eq_u64 s[14:15], s[22:23]
	s_cbranch_scc0 .LBB1537_196
; %bb.199:                              ;   in Loop: Header=BB1537_198 Depth=1
	s_mov_b64 s[22:23], s[8:9]
                                        ; implicit-def: $vgpr59_vgpr60
                                        ; implicit-def: $vgpr61_vgpr62
	s_branch .LBB1537_197
.LBB1537_200:
	s_set_inst_prefetch_distance 0x2
	s_or_b32 exec_lo, exec_lo, s3
	v_cmp_gt_i64_e32 vcc_lo, s[8:9], v[63:64]
	s_mov_b32 s0, 0
	s_delay_alu instid0(SALU_CYCLE_1)
	v_mov_b32_e32 v140, s0
	v_cndmask_b32_e64 v139, 0, 1, vcc_lo
.LBB1537_201:
	s_or_b32 exec_lo, exec_lo, s1
.LBB1537_202:
	v_mul_lo_u32 v61, v34, s8
	v_mul_lo_u32 v62, v33, s9
	v_mad_u64_u32 v[59:60], null, v33, s8, 0
	v_mov_b32_e32 v143, 0
	v_mov_b32_e32 v144, 0
	v_cmp_ne_u32_e32 vcc_lo, 1, v65
	s_delay_alu instid0(VALU_DEP_2) | instskip(SKIP_1) | instid1(VALU_DEP_1)
	v_dual_mov_b32 v141, v143 :: v_dual_mov_b32 v142, v144
	v_add3_u32 v60, v60, v62, v61
	v_lshlrev_b64 v[59:60], 2, v[59:60]
	s_cbranch_vccnz .LBB1537_211
; %bb.203:
	v_add_co_u32 v61, vcc_lo, s10, v57
	v_add_co_ci_u32_e32 v62, vcc_lo, s11, v58, vcc_lo
	s_delay_alu instid0(VALU_DEP_3) | instskip(NEXT) | instid1(VALU_DEP_4)
	v_add_co_u32 v57, vcc_lo, s10, v59
	v_add_co_ci_u32_e32 v58, vcc_lo, s11, v60, vcc_lo
	v_mov_b32_e32 v141, 1
	s_clause 0x1
	global_load_b32 v63, v[61:62], off
	global_load_b32 v64, v[57:58], off
	v_mov_b32_e32 v142, 0
	s_mov_b32 s1, exec_lo
	s_waitcnt vmcnt(0)
	v_cmpx_eq_u32_e64 v63, v64
	s_cbranch_execz .LBB1537_210
; %bb.204:
	v_add_co_u32 v57, vcc_lo, v57, 4
	v_add_co_ci_u32_e32 v58, vcc_lo, 0, v58, vcc_lo
	v_add_co_u32 v61, vcc_lo, v61, 4
	v_add_co_ci_u32_e32 v62, vcc_lo, 0, v62, vcc_lo
	s_add_u32 s14, s8, -1
	s_addc_u32 s15, s9, -1
	s_mov_b64 s[22:23], 0
	s_mov_b32 s3, 0
                                        ; implicit-def: $sgpr21
	s_set_inst_prefetch_distance 0x1
	s_branch .LBB1537_207
	.p2align	6
.LBB1537_205:                           ;   in Loop: Header=BB1537_207 Depth=1
	global_load_b32 v63, v[61:62], off
	global_load_b32 v64, v[57:58], off
	v_add_co_u32 v57, vcc_lo, v57, 4
	v_add_co_ci_u32_e32 v58, vcc_lo, 0, v58, vcc_lo
	v_add_co_u32 v61, s0, v61, 4
	s_delay_alu instid0(VALU_DEP_1)
	v_add_co_ci_u32_e64 v62, s0, 0, v62, s0
	s_add_u32 s22, s22, 1
	s_addc_u32 s23, s23, 0
	s_and_not1_b32 s0, s21, exec_lo
	s_waitcnt vmcnt(0)
	v_cmp_ne_u32_e32 vcc_lo, v63, v64
	s_and_b32 s21, vcc_lo, exec_lo
	s_delay_alu instid0(SALU_CYCLE_1)
	s_or_b32 s21, s0, s21
.LBB1537_206:                           ;   in Loop: Header=BB1537_207 Depth=1
	v_dual_mov_b32 v64, s23 :: v_dual_mov_b32 v63, s22
	s_and_b32 s0, exec_lo, s21
	s_delay_alu instid0(SALU_CYCLE_1) | instskip(NEXT) | instid1(SALU_CYCLE_1)
	s_or_b32 s3, s0, s3
	s_and_not1_b32 exec_lo, exec_lo, s3
	s_cbranch_execz .LBB1537_209
.LBB1537_207:                           ; =>This Inner Loop Header: Depth=1
	s_or_b32 s21, s21, exec_lo
	s_cmp_eq_u64 s[14:15], s[22:23]
	s_cbranch_scc0 .LBB1537_205
; %bb.208:                              ;   in Loop: Header=BB1537_207 Depth=1
	s_mov_b64 s[22:23], s[8:9]
                                        ; implicit-def: $vgpr57_vgpr58
                                        ; implicit-def: $vgpr61_vgpr62
	s_branch .LBB1537_206
.LBB1537_209:
	s_set_inst_prefetch_distance 0x2
	s_or_b32 exec_lo, exec_lo, s3
	v_cmp_gt_i64_e32 vcc_lo, s[8:9], v[63:64]
	s_mov_b32 s0, 0
	s_delay_alu instid0(SALU_CYCLE_1)
	v_mov_b32_e32 v142, s0
	v_cndmask_b32_e64 v141, 0, 1, vcc_lo
.LBB1537_210:
	s_or_b32 exec_lo, exec_lo, s1
.LBB1537_211:
	v_mul_lo_u32 v61, v32, s8
	v_mul_lo_u32 v62, v31, s9
	v_mad_u64_u32 v[57:58], null, v31, s8, 0
	v_cmp_ne_u32_e32 vcc_lo, 1, v65
	s_delay_alu instid0(VALU_DEP_2) | instskip(NEXT) | instid1(VALU_DEP_1)
	v_add3_u32 v58, v58, v62, v61
	v_lshlrev_b64 v[57:58], 2, v[57:58]
	s_cbranch_vccnz .LBB1537_220
; %bb.212:
	v_add_co_u32 v61, vcc_lo, s10, v59
	v_add_co_ci_u32_e32 v62, vcc_lo, s11, v60, vcc_lo
	s_delay_alu instid0(VALU_DEP_3) | instskip(NEXT) | instid1(VALU_DEP_4)
	v_add_co_u32 v59, vcc_lo, s10, v57
	v_add_co_ci_u32_e32 v60, vcc_lo, s11, v58, vcc_lo
	v_mov_b32_e32 v143, 1
	s_clause 0x1
	global_load_b32 v63, v[61:62], off
	global_load_b32 v64, v[59:60], off
	v_mov_b32_e32 v144, 0
	s_mov_b32 s1, exec_lo
	s_waitcnt vmcnt(0)
	v_cmpx_eq_u32_e64 v63, v64
	s_cbranch_execz .LBB1537_219
; %bb.213:
	v_add_co_u32 v59, vcc_lo, v59, 4
	v_add_co_ci_u32_e32 v60, vcc_lo, 0, v60, vcc_lo
	v_add_co_u32 v61, vcc_lo, v61, 4
	v_add_co_ci_u32_e32 v62, vcc_lo, 0, v62, vcc_lo
	s_add_u32 s14, s8, -1
	s_addc_u32 s15, s9, -1
	s_mov_b64 s[22:23], 0
	s_mov_b32 s3, 0
                                        ; implicit-def: $sgpr21
	s_set_inst_prefetch_distance 0x1
	s_branch .LBB1537_216
	.p2align	6
.LBB1537_214:                           ;   in Loop: Header=BB1537_216 Depth=1
	global_load_b32 v63, v[61:62], off
	global_load_b32 v64, v[59:60], off
	v_add_co_u32 v59, vcc_lo, v59, 4
	v_add_co_ci_u32_e32 v60, vcc_lo, 0, v60, vcc_lo
	v_add_co_u32 v61, s0, v61, 4
	s_delay_alu instid0(VALU_DEP_1)
	v_add_co_ci_u32_e64 v62, s0, 0, v62, s0
	s_add_u32 s22, s22, 1
	s_addc_u32 s23, s23, 0
	s_and_not1_b32 s0, s21, exec_lo
	s_waitcnt vmcnt(0)
	v_cmp_ne_u32_e32 vcc_lo, v63, v64
	s_and_b32 s21, vcc_lo, exec_lo
	s_delay_alu instid0(SALU_CYCLE_1)
	s_or_b32 s21, s0, s21
.LBB1537_215:                           ;   in Loop: Header=BB1537_216 Depth=1
	v_dual_mov_b32 v64, s23 :: v_dual_mov_b32 v63, s22
	s_and_b32 s0, exec_lo, s21
	s_delay_alu instid0(SALU_CYCLE_1) | instskip(NEXT) | instid1(SALU_CYCLE_1)
	s_or_b32 s3, s0, s3
	s_and_not1_b32 exec_lo, exec_lo, s3
	s_cbranch_execz .LBB1537_218
.LBB1537_216:                           ; =>This Inner Loop Header: Depth=1
	s_or_b32 s21, s21, exec_lo
	s_cmp_eq_u64 s[14:15], s[22:23]
	s_cbranch_scc0 .LBB1537_214
; %bb.217:                              ;   in Loop: Header=BB1537_216 Depth=1
	s_mov_b64 s[22:23], s[8:9]
                                        ; implicit-def: $vgpr59_vgpr60
                                        ; implicit-def: $vgpr61_vgpr62
	s_branch .LBB1537_215
.LBB1537_218:
	s_set_inst_prefetch_distance 0x2
	s_or_b32 exec_lo, exec_lo, s3
	v_cmp_gt_i64_e32 vcc_lo, s[8:9], v[63:64]
	s_mov_b32 s0, 0
	s_delay_alu instid0(SALU_CYCLE_1)
	v_mov_b32_e32 v144, s0
	v_cndmask_b32_e64 v143, 0, 1, vcc_lo
.LBB1537_219:
	s_or_b32 exec_lo, exec_lo, s1
.LBB1537_220:
	v_mul_lo_u32 v61, v30, s8
	v_mul_lo_u32 v62, v29, s9
	v_mad_u64_u32 v[59:60], null, v29, s8, 0
	v_mov_b32_e32 v147, 0
	v_mov_b32_e32 v148, 0
	v_cmp_ne_u32_e32 vcc_lo, 1, v65
	s_delay_alu instid0(VALU_DEP_2) | instskip(SKIP_1) | instid1(VALU_DEP_1)
	v_dual_mov_b32 v145, v147 :: v_dual_mov_b32 v146, v148
	v_add3_u32 v60, v60, v62, v61
	v_lshlrev_b64 v[59:60], 2, v[59:60]
	s_cbranch_vccnz .LBB1537_229
; %bb.221:
	v_add_co_u32 v61, vcc_lo, s10, v57
	v_add_co_ci_u32_e32 v62, vcc_lo, s11, v58, vcc_lo
	s_delay_alu instid0(VALU_DEP_3) | instskip(NEXT) | instid1(VALU_DEP_4)
	v_add_co_u32 v57, vcc_lo, s10, v59
	v_add_co_ci_u32_e32 v58, vcc_lo, s11, v60, vcc_lo
	v_mov_b32_e32 v145, 1
	s_clause 0x1
	global_load_b32 v63, v[61:62], off
	global_load_b32 v64, v[57:58], off
	v_mov_b32_e32 v146, 0
	s_mov_b32 s1, exec_lo
	s_waitcnt vmcnt(0)
	v_cmpx_eq_u32_e64 v63, v64
	s_cbranch_execz .LBB1537_228
; %bb.222:
	v_add_co_u32 v57, vcc_lo, v57, 4
	v_add_co_ci_u32_e32 v58, vcc_lo, 0, v58, vcc_lo
	v_add_co_u32 v61, vcc_lo, v61, 4
	v_add_co_ci_u32_e32 v62, vcc_lo, 0, v62, vcc_lo
	s_add_u32 s14, s8, -1
	s_addc_u32 s15, s9, -1
	s_mov_b64 s[22:23], 0
	s_mov_b32 s3, 0
                                        ; implicit-def: $sgpr21
	s_set_inst_prefetch_distance 0x1
	s_branch .LBB1537_225
	.p2align	6
.LBB1537_223:                           ;   in Loop: Header=BB1537_225 Depth=1
	global_load_b32 v63, v[61:62], off
	global_load_b32 v64, v[57:58], off
	v_add_co_u32 v57, vcc_lo, v57, 4
	v_add_co_ci_u32_e32 v58, vcc_lo, 0, v58, vcc_lo
	v_add_co_u32 v61, s0, v61, 4
	s_delay_alu instid0(VALU_DEP_1)
	v_add_co_ci_u32_e64 v62, s0, 0, v62, s0
	s_add_u32 s22, s22, 1
	s_addc_u32 s23, s23, 0
	s_and_not1_b32 s0, s21, exec_lo
	s_waitcnt vmcnt(0)
	v_cmp_ne_u32_e32 vcc_lo, v63, v64
	s_and_b32 s21, vcc_lo, exec_lo
	s_delay_alu instid0(SALU_CYCLE_1)
	s_or_b32 s21, s0, s21
.LBB1537_224:                           ;   in Loop: Header=BB1537_225 Depth=1
	v_dual_mov_b32 v64, s23 :: v_dual_mov_b32 v63, s22
	s_and_b32 s0, exec_lo, s21
	s_delay_alu instid0(SALU_CYCLE_1) | instskip(NEXT) | instid1(SALU_CYCLE_1)
	s_or_b32 s3, s0, s3
	s_and_not1_b32 exec_lo, exec_lo, s3
	s_cbranch_execz .LBB1537_227
.LBB1537_225:                           ; =>This Inner Loop Header: Depth=1
	s_or_b32 s21, s21, exec_lo
	s_cmp_eq_u64 s[14:15], s[22:23]
	s_cbranch_scc0 .LBB1537_223
; %bb.226:                              ;   in Loop: Header=BB1537_225 Depth=1
	s_mov_b64 s[22:23], s[8:9]
                                        ; implicit-def: $vgpr57_vgpr58
                                        ; implicit-def: $vgpr61_vgpr62
	s_branch .LBB1537_224
.LBB1537_227:
	s_set_inst_prefetch_distance 0x2
	s_or_b32 exec_lo, exec_lo, s3
	v_cmp_gt_i64_e32 vcc_lo, s[8:9], v[63:64]
	s_mov_b32 s0, 0
	s_delay_alu instid0(SALU_CYCLE_1)
	v_mov_b32_e32 v146, s0
	v_cndmask_b32_e64 v145, 0, 1, vcc_lo
.LBB1537_228:
	s_or_b32 exec_lo, exec_lo, s1
.LBB1537_229:
	v_mul_lo_u32 v61, v28, s8
	v_mul_lo_u32 v62, v27, s9
	v_mad_u64_u32 v[57:58], null, v27, s8, 0
	v_cmp_ne_u32_e32 vcc_lo, 1, v65
	s_delay_alu instid0(VALU_DEP_2) | instskip(NEXT) | instid1(VALU_DEP_1)
	v_add3_u32 v58, v58, v62, v61
	v_lshlrev_b64 v[57:58], 2, v[57:58]
	s_cbranch_vccnz .LBB1537_238
; %bb.230:
	v_add_co_u32 v61, vcc_lo, s10, v59
	v_add_co_ci_u32_e32 v62, vcc_lo, s11, v60, vcc_lo
	s_delay_alu instid0(VALU_DEP_3) | instskip(NEXT) | instid1(VALU_DEP_4)
	v_add_co_u32 v59, vcc_lo, s10, v57
	v_add_co_ci_u32_e32 v60, vcc_lo, s11, v58, vcc_lo
	v_mov_b32_e32 v147, 1
	s_clause 0x1
	global_load_b32 v63, v[61:62], off
	global_load_b32 v64, v[59:60], off
	v_mov_b32_e32 v148, 0
	s_mov_b32 s1, exec_lo
	s_waitcnt vmcnt(0)
	v_cmpx_eq_u32_e64 v63, v64
	s_cbranch_execz .LBB1537_237
; %bb.231:
	v_add_co_u32 v59, vcc_lo, v59, 4
	v_add_co_ci_u32_e32 v60, vcc_lo, 0, v60, vcc_lo
	v_add_co_u32 v61, vcc_lo, v61, 4
	v_add_co_ci_u32_e32 v62, vcc_lo, 0, v62, vcc_lo
	s_add_u32 s14, s8, -1
	s_addc_u32 s15, s9, -1
	s_mov_b64 s[22:23], 0
	s_mov_b32 s3, 0
                                        ; implicit-def: $sgpr21
	s_set_inst_prefetch_distance 0x1
	s_branch .LBB1537_234
	.p2align	6
.LBB1537_232:                           ;   in Loop: Header=BB1537_234 Depth=1
	global_load_b32 v63, v[61:62], off
	global_load_b32 v64, v[59:60], off
	v_add_co_u32 v59, vcc_lo, v59, 4
	v_add_co_ci_u32_e32 v60, vcc_lo, 0, v60, vcc_lo
	v_add_co_u32 v61, s0, v61, 4
	s_delay_alu instid0(VALU_DEP_1)
	v_add_co_ci_u32_e64 v62, s0, 0, v62, s0
	s_add_u32 s22, s22, 1
	s_addc_u32 s23, s23, 0
	s_and_not1_b32 s0, s21, exec_lo
	s_waitcnt vmcnt(0)
	v_cmp_ne_u32_e32 vcc_lo, v63, v64
	s_and_b32 s21, vcc_lo, exec_lo
	s_delay_alu instid0(SALU_CYCLE_1)
	s_or_b32 s21, s0, s21
.LBB1537_233:                           ;   in Loop: Header=BB1537_234 Depth=1
	v_dual_mov_b32 v64, s23 :: v_dual_mov_b32 v63, s22
	s_and_b32 s0, exec_lo, s21
	s_delay_alu instid0(SALU_CYCLE_1) | instskip(NEXT) | instid1(SALU_CYCLE_1)
	s_or_b32 s3, s0, s3
	s_and_not1_b32 exec_lo, exec_lo, s3
	s_cbranch_execz .LBB1537_236
.LBB1537_234:                           ; =>This Inner Loop Header: Depth=1
	s_or_b32 s21, s21, exec_lo
	s_cmp_eq_u64 s[14:15], s[22:23]
	s_cbranch_scc0 .LBB1537_232
; %bb.235:                              ;   in Loop: Header=BB1537_234 Depth=1
	s_mov_b64 s[22:23], s[8:9]
                                        ; implicit-def: $vgpr59_vgpr60
                                        ; implicit-def: $vgpr61_vgpr62
	s_branch .LBB1537_233
.LBB1537_236:
	s_set_inst_prefetch_distance 0x2
	s_or_b32 exec_lo, exec_lo, s3
	v_cmp_gt_i64_e32 vcc_lo, s[8:9], v[63:64]
	s_mov_b32 s0, 0
	s_delay_alu instid0(SALU_CYCLE_1)
	v_mov_b32_e32 v148, s0
	v_cndmask_b32_e64 v147, 0, 1, vcc_lo
.LBB1537_237:
	s_or_b32 exec_lo, exec_lo, s1
.LBB1537_238:
	v_mul_lo_u32 v61, v26, s8
	v_mul_lo_u32 v62, v25, s9
	v_mad_u64_u32 v[59:60], null, v25, s8, 0
	v_mov_b32_e32 v151, 0
	v_mov_b32_e32 v152, 0
	v_cmp_ne_u32_e32 vcc_lo, 1, v65
	s_delay_alu instid0(VALU_DEP_2) | instskip(SKIP_1) | instid1(VALU_DEP_1)
	v_dual_mov_b32 v149, v151 :: v_dual_mov_b32 v150, v152
	v_add3_u32 v60, v60, v62, v61
	v_lshlrev_b64 v[59:60], 2, v[59:60]
	s_cbranch_vccnz .LBB1537_247
; %bb.239:
	v_add_co_u32 v61, vcc_lo, s10, v57
	v_add_co_ci_u32_e32 v62, vcc_lo, s11, v58, vcc_lo
	s_delay_alu instid0(VALU_DEP_3) | instskip(NEXT) | instid1(VALU_DEP_4)
	v_add_co_u32 v57, vcc_lo, s10, v59
	v_add_co_ci_u32_e32 v58, vcc_lo, s11, v60, vcc_lo
	v_mov_b32_e32 v149, 1
	s_clause 0x1
	global_load_b32 v63, v[61:62], off
	global_load_b32 v64, v[57:58], off
	v_mov_b32_e32 v150, 0
	s_mov_b32 s1, exec_lo
	s_waitcnt vmcnt(0)
	v_cmpx_eq_u32_e64 v63, v64
	s_cbranch_execz .LBB1537_246
; %bb.240:
	v_add_co_u32 v57, vcc_lo, v57, 4
	v_add_co_ci_u32_e32 v58, vcc_lo, 0, v58, vcc_lo
	v_add_co_u32 v61, vcc_lo, v61, 4
	v_add_co_ci_u32_e32 v62, vcc_lo, 0, v62, vcc_lo
	s_add_u32 s14, s8, -1
	s_addc_u32 s15, s9, -1
	s_mov_b64 s[22:23], 0
	s_mov_b32 s3, 0
                                        ; implicit-def: $sgpr21
	s_set_inst_prefetch_distance 0x1
	s_branch .LBB1537_243
	.p2align	6
.LBB1537_241:                           ;   in Loop: Header=BB1537_243 Depth=1
	global_load_b32 v63, v[61:62], off
	global_load_b32 v64, v[57:58], off
	v_add_co_u32 v57, vcc_lo, v57, 4
	v_add_co_ci_u32_e32 v58, vcc_lo, 0, v58, vcc_lo
	v_add_co_u32 v61, s0, v61, 4
	s_delay_alu instid0(VALU_DEP_1)
	v_add_co_ci_u32_e64 v62, s0, 0, v62, s0
	s_add_u32 s22, s22, 1
	s_addc_u32 s23, s23, 0
	s_and_not1_b32 s0, s21, exec_lo
	s_waitcnt vmcnt(0)
	v_cmp_ne_u32_e32 vcc_lo, v63, v64
	s_and_b32 s21, vcc_lo, exec_lo
	s_delay_alu instid0(SALU_CYCLE_1)
	s_or_b32 s21, s0, s21
.LBB1537_242:                           ;   in Loop: Header=BB1537_243 Depth=1
	v_dual_mov_b32 v64, s23 :: v_dual_mov_b32 v63, s22
	s_and_b32 s0, exec_lo, s21
	s_delay_alu instid0(SALU_CYCLE_1) | instskip(NEXT) | instid1(SALU_CYCLE_1)
	s_or_b32 s3, s0, s3
	s_and_not1_b32 exec_lo, exec_lo, s3
	s_cbranch_execz .LBB1537_245
.LBB1537_243:                           ; =>This Inner Loop Header: Depth=1
	s_or_b32 s21, s21, exec_lo
	s_cmp_eq_u64 s[14:15], s[22:23]
	s_cbranch_scc0 .LBB1537_241
; %bb.244:                              ;   in Loop: Header=BB1537_243 Depth=1
	s_mov_b64 s[22:23], s[8:9]
                                        ; implicit-def: $vgpr57_vgpr58
                                        ; implicit-def: $vgpr61_vgpr62
	s_branch .LBB1537_242
.LBB1537_245:
	s_set_inst_prefetch_distance 0x2
	s_or_b32 exec_lo, exec_lo, s3
	v_cmp_gt_i64_e32 vcc_lo, s[8:9], v[63:64]
	s_mov_b32 s0, 0
	s_delay_alu instid0(SALU_CYCLE_1)
	v_mov_b32_e32 v150, s0
	v_cndmask_b32_e64 v149, 0, 1, vcc_lo
.LBB1537_246:
	s_or_b32 exec_lo, exec_lo, s1
.LBB1537_247:
	v_mul_lo_u32 v61, v24, s8
	v_mul_lo_u32 v62, v23, s9
	v_mad_u64_u32 v[57:58], null, v23, s8, 0
	v_cmp_ne_u32_e32 vcc_lo, 1, v65
	s_delay_alu instid0(VALU_DEP_2) | instskip(NEXT) | instid1(VALU_DEP_1)
	v_add3_u32 v58, v58, v62, v61
	v_lshlrev_b64 v[57:58], 2, v[57:58]
	s_cbranch_vccnz .LBB1537_256
; %bb.248:
	v_add_co_u32 v61, vcc_lo, s10, v59
	v_add_co_ci_u32_e32 v62, vcc_lo, s11, v60, vcc_lo
	s_delay_alu instid0(VALU_DEP_3) | instskip(NEXT) | instid1(VALU_DEP_4)
	v_add_co_u32 v59, vcc_lo, s10, v57
	v_add_co_ci_u32_e32 v60, vcc_lo, s11, v58, vcc_lo
	v_mov_b32_e32 v151, 1
	s_clause 0x1
	global_load_b32 v63, v[61:62], off
	global_load_b32 v64, v[59:60], off
	v_mov_b32_e32 v152, 0
	s_mov_b32 s1, exec_lo
	s_waitcnt vmcnt(0)
	v_cmpx_eq_u32_e64 v63, v64
	s_cbranch_execz .LBB1537_255
; %bb.249:
	v_add_co_u32 v59, vcc_lo, v59, 4
	v_add_co_ci_u32_e32 v60, vcc_lo, 0, v60, vcc_lo
	v_add_co_u32 v61, vcc_lo, v61, 4
	v_add_co_ci_u32_e32 v62, vcc_lo, 0, v62, vcc_lo
	s_add_u32 s14, s8, -1
	s_addc_u32 s15, s9, -1
	s_mov_b64 s[22:23], 0
	s_mov_b32 s3, 0
                                        ; implicit-def: $sgpr21
	s_set_inst_prefetch_distance 0x1
	s_branch .LBB1537_252
	.p2align	6
.LBB1537_250:                           ;   in Loop: Header=BB1537_252 Depth=1
	global_load_b32 v63, v[61:62], off
	global_load_b32 v64, v[59:60], off
	v_add_co_u32 v59, vcc_lo, v59, 4
	v_add_co_ci_u32_e32 v60, vcc_lo, 0, v60, vcc_lo
	v_add_co_u32 v61, s0, v61, 4
	s_delay_alu instid0(VALU_DEP_1)
	v_add_co_ci_u32_e64 v62, s0, 0, v62, s0
	s_add_u32 s22, s22, 1
	s_addc_u32 s23, s23, 0
	s_and_not1_b32 s0, s21, exec_lo
	s_waitcnt vmcnt(0)
	v_cmp_ne_u32_e32 vcc_lo, v63, v64
	s_and_b32 s21, vcc_lo, exec_lo
	s_delay_alu instid0(SALU_CYCLE_1)
	s_or_b32 s21, s0, s21
.LBB1537_251:                           ;   in Loop: Header=BB1537_252 Depth=1
	v_dual_mov_b32 v64, s23 :: v_dual_mov_b32 v63, s22
	s_and_b32 s0, exec_lo, s21
	s_delay_alu instid0(SALU_CYCLE_1) | instskip(NEXT) | instid1(SALU_CYCLE_1)
	s_or_b32 s3, s0, s3
	s_and_not1_b32 exec_lo, exec_lo, s3
	s_cbranch_execz .LBB1537_254
.LBB1537_252:                           ; =>This Inner Loop Header: Depth=1
	s_or_b32 s21, s21, exec_lo
	s_cmp_eq_u64 s[14:15], s[22:23]
	s_cbranch_scc0 .LBB1537_250
; %bb.253:                              ;   in Loop: Header=BB1537_252 Depth=1
	s_mov_b64 s[22:23], s[8:9]
                                        ; implicit-def: $vgpr59_vgpr60
                                        ; implicit-def: $vgpr61_vgpr62
	s_branch .LBB1537_251
.LBB1537_254:
	s_set_inst_prefetch_distance 0x2
	s_or_b32 exec_lo, exec_lo, s3
	v_cmp_gt_i64_e32 vcc_lo, s[8:9], v[63:64]
	s_mov_b32 s0, 0
	s_delay_alu instid0(SALU_CYCLE_1)
	v_mov_b32_e32 v152, s0
	v_cndmask_b32_e64 v151, 0, 1, vcc_lo
.LBB1537_255:
	s_or_b32 exec_lo, exec_lo, s1
.LBB1537_256:
	v_mul_lo_u32 v61, v22, s8
	v_mul_lo_u32 v62, v21, s9
	v_mad_u64_u32 v[59:60], null, v21, s8, 0
	v_mov_b32_e32 v155, 0
	v_mov_b32_e32 v156, 0
	v_cmp_ne_u32_e32 vcc_lo, 1, v65
	s_delay_alu instid0(VALU_DEP_2) | instskip(SKIP_1) | instid1(VALU_DEP_1)
	v_dual_mov_b32 v153, v155 :: v_dual_mov_b32 v154, v156
	v_add3_u32 v60, v60, v62, v61
	v_lshlrev_b64 v[59:60], 2, v[59:60]
	s_cbranch_vccnz .LBB1537_265
; %bb.257:
	v_add_co_u32 v61, vcc_lo, s10, v57
	v_add_co_ci_u32_e32 v62, vcc_lo, s11, v58, vcc_lo
	s_delay_alu instid0(VALU_DEP_3) | instskip(NEXT) | instid1(VALU_DEP_4)
	v_add_co_u32 v57, vcc_lo, s10, v59
	v_add_co_ci_u32_e32 v58, vcc_lo, s11, v60, vcc_lo
	v_mov_b32_e32 v153, 1
	s_clause 0x1
	global_load_b32 v63, v[61:62], off
	global_load_b32 v64, v[57:58], off
	v_mov_b32_e32 v154, 0
	s_mov_b32 s1, exec_lo
	s_waitcnt vmcnt(0)
	v_cmpx_eq_u32_e64 v63, v64
	s_cbranch_execz .LBB1537_264
; %bb.258:
	v_add_co_u32 v57, vcc_lo, v57, 4
	v_add_co_ci_u32_e32 v58, vcc_lo, 0, v58, vcc_lo
	v_add_co_u32 v61, vcc_lo, v61, 4
	v_add_co_ci_u32_e32 v62, vcc_lo, 0, v62, vcc_lo
	s_add_u32 s14, s8, -1
	s_addc_u32 s15, s9, -1
	s_mov_b64 s[22:23], 0
	s_mov_b32 s3, 0
                                        ; implicit-def: $sgpr21
	s_set_inst_prefetch_distance 0x1
	s_branch .LBB1537_261
	.p2align	6
.LBB1537_259:                           ;   in Loop: Header=BB1537_261 Depth=1
	global_load_b32 v63, v[61:62], off
	global_load_b32 v64, v[57:58], off
	v_add_co_u32 v57, vcc_lo, v57, 4
	v_add_co_ci_u32_e32 v58, vcc_lo, 0, v58, vcc_lo
	v_add_co_u32 v61, s0, v61, 4
	s_delay_alu instid0(VALU_DEP_1)
	v_add_co_ci_u32_e64 v62, s0, 0, v62, s0
	s_add_u32 s22, s22, 1
	s_addc_u32 s23, s23, 0
	s_and_not1_b32 s0, s21, exec_lo
	s_waitcnt vmcnt(0)
	v_cmp_ne_u32_e32 vcc_lo, v63, v64
	s_and_b32 s21, vcc_lo, exec_lo
	s_delay_alu instid0(SALU_CYCLE_1)
	s_or_b32 s21, s0, s21
.LBB1537_260:                           ;   in Loop: Header=BB1537_261 Depth=1
	v_dual_mov_b32 v64, s23 :: v_dual_mov_b32 v63, s22
	s_and_b32 s0, exec_lo, s21
	s_delay_alu instid0(SALU_CYCLE_1) | instskip(NEXT) | instid1(SALU_CYCLE_1)
	s_or_b32 s3, s0, s3
	s_and_not1_b32 exec_lo, exec_lo, s3
	s_cbranch_execz .LBB1537_263
.LBB1537_261:                           ; =>This Inner Loop Header: Depth=1
	s_or_b32 s21, s21, exec_lo
	s_cmp_eq_u64 s[14:15], s[22:23]
	s_cbranch_scc0 .LBB1537_259
; %bb.262:                              ;   in Loop: Header=BB1537_261 Depth=1
	s_mov_b64 s[22:23], s[8:9]
                                        ; implicit-def: $vgpr57_vgpr58
                                        ; implicit-def: $vgpr61_vgpr62
	s_branch .LBB1537_260
.LBB1537_263:
	s_set_inst_prefetch_distance 0x2
	s_or_b32 exec_lo, exec_lo, s3
	v_cmp_gt_i64_e32 vcc_lo, s[8:9], v[63:64]
	s_mov_b32 s0, 0
	s_delay_alu instid0(SALU_CYCLE_1)
	v_mov_b32_e32 v154, s0
	v_cndmask_b32_e64 v153, 0, 1, vcc_lo
.LBB1537_264:
	s_or_b32 exec_lo, exec_lo, s1
.LBB1537_265:
	v_mul_lo_u32 v61, v20, s8
	v_mul_lo_u32 v62, v19, s9
	v_mad_u64_u32 v[57:58], null, v19, s8, 0
	v_cmp_ne_u32_e32 vcc_lo, 1, v65
	s_delay_alu instid0(VALU_DEP_2) | instskip(NEXT) | instid1(VALU_DEP_1)
	v_add3_u32 v58, v58, v62, v61
	v_lshlrev_b64 v[57:58], 2, v[57:58]
	s_cbranch_vccnz .LBB1537_274
; %bb.266:
	v_add_co_u32 v61, vcc_lo, s10, v59
	v_add_co_ci_u32_e32 v62, vcc_lo, s11, v60, vcc_lo
	s_delay_alu instid0(VALU_DEP_3) | instskip(NEXT) | instid1(VALU_DEP_4)
	v_add_co_u32 v59, vcc_lo, s10, v57
	v_add_co_ci_u32_e32 v60, vcc_lo, s11, v58, vcc_lo
	v_mov_b32_e32 v155, 1
	s_clause 0x1
	global_load_b32 v63, v[61:62], off
	global_load_b32 v64, v[59:60], off
	v_mov_b32_e32 v156, 0
	s_mov_b32 s1, exec_lo
	s_waitcnt vmcnt(0)
	v_cmpx_eq_u32_e64 v63, v64
	s_cbranch_execz .LBB1537_273
; %bb.267:
	v_add_co_u32 v59, vcc_lo, v59, 4
	v_add_co_ci_u32_e32 v60, vcc_lo, 0, v60, vcc_lo
	v_add_co_u32 v61, vcc_lo, v61, 4
	v_add_co_ci_u32_e32 v62, vcc_lo, 0, v62, vcc_lo
	s_add_u32 s14, s8, -1
	s_addc_u32 s15, s9, -1
	s_mov_b64 s[22:23], 0
	s_mov_b32 s3, 0
                                        ; implicit-def: $sgpr21
	s_set_inst_prefetch_distance 0x1
	s_branch .LBB1537_270
	.p2align	6
.LBB1537_268:                           ;   in Loop: Header=BB1537_270 Depth=1
	global_load_b32 v63, v[61:62], off
	global_load_b32 v64, v[59:60], off
	v_add_co_u32 v59, vcc_lo, v59, 4
	v_add_co_ci_u32_e32 v60, vcc_lo, 0, v60, vcc_lo
	v_add_co_u32 v61, s0, v61, 4
	s_delay_alu instid0(VALU_DEP_1)
	v_add_co_ci_u32_e64 v62, s0, 0, v62, s0
	s_add_u32 s22, s22, 1
	s_addc_u32 s23, s23, 0
	s_and_not1_b32 s0, s21, exec_lo
	s_waitcnt vmcnt(0)
	v_cmp_ne_u32_e32 vcc_lo, v63, v64
	s_and_b32 s21, vcc_lo, exec_lo
	s_delay_alu instid0(SALU_CYCLE_1)
	s_or_b32 s21, s0, s21
.LBB1537_269:                           ;   in Loop: Header=BB1537_270 Depth=1
	v_dual_mov_b32 v64, s23 :: v_dual_mov_b32 v63, s22
	s_and_b32 s0, exec_lo, s21
	s_delay_alu instid0(SALU_CYCLE_1) | instskip(NEXT) | instid1(SALU_CYCLE_1)
	s_or_b32 s3, s0, s3
	s_and_not1_b32 exec_lo, exec_lo, s3
	s_cbranch_execz .LBB1537_272
.LBB1537_270:                           ; =>This Inner Loop Header: Depth=1
	s_or_b32 s21, s21, exec_lo
	s_cmp_eq_u64 s[14:15], s[22:23]
	s_cbranch_scc0 .LBB1537_268
; %bb.271:                              ;   in Loop: Header=BB1537_270 Depth=1
	s_mov_b64 s[22:23], s[8:9]
                                        ; implicit-def: $vgpr59_vgpr60
                                        ; implicit-def: $vgpr61_vgpr62
	s_branch .LBB1537_269
.LBB1537_272:
	s_set_inst_prefetch_distance 0x2
	s_or_b32 exec_lo, exec_lo, s3
	v_cmp_gt_i64_e32 vcc_lo, s[8:9], v[63:64]
	s_mov_b32 s0, 0
	s_delay_alu instid0(SALU_CYCLE_1)
	v_mov_b32_e32 v156, s0
	v_cndmask_b32_e64 v155, 0, 1, vcc_lo
.LBB1537_273:
	s_or_b32 exec_lo, exec_lo, s1
.LBB1537_274:
	v_mul_lo_u32 v61, v18, s8
	v_mul_lo_u32 v62, v17, s9
	v_mad_u64_u32 v[59:60], null, v17, s8, 0
	v_mov_b32_e32 v159, 0
	v_mov_b32_e32 v160, 0
	v_cmp_ne_u32_e32 vcc_lo, 1, v65
	s_delay_alu instid0(VALU_DEP_2) | instskip(SKIP_1) | instid1(VALU_DEP_1)
	v_dual_mov_b32 v157, v159 :: v_dual_mov_b32 v158, v160
	v_add3_u32 v60, v60, v62, v61
	v_lshlrev_b64 v[59:60], 2, v[59:60]
	s_cbranch_vccnz .LBB1537_283
; %bb.275:
	v_add_co_u32 v61, vcc_lo, s10, v57
	v_add_co_ci_u32_e32 v62, vcc_lo, s11, v58, vcc_lo
	s_delay_alu instid0(VALU_DEP_3) | instskip(NEXT) | instid1(VALU_DEP_4)
	v_add_co_u32 v57, vcc_lo, s10, v59
	v_add_co_ci_u32_e32 v58, vcc_lo, s11, v60, vcc_lo
	v_mov_b32_e32 v157, 1
	s_clause 0x1
	global_load_b32 v63, v[61:62], off
	global_load_b32 v64, v[57:58], off
	v_mov_b32_e32 v158, 0
	s_mov_b32 s1, exec_lo
	s_waitcnt vmcnt(0)
	v_cmpx_eq_u32_e64 v63, v64
	s_cbranch_execz .LBB1537_282
; %bb.276:
	v_add_co_u32 v57, vcc_lo, v57, 4
	v_add_co_ci_u32_e32 v58, vcc_lo, 0, v58, vcc_lo
	v_add_co_u32 v61, vcc_lo, v61, 4
	v_add_co_ci_u32_e32 v62, vcc_lo, 0, v62, vcc_lo
	s_add_u32 s14, s8, -1
	s_addc_u32 s15, s9, -1
	s_mov_b64 s[22:23], 0
	s_mov_b32 s3, 0
                                        ; implicit-def: $sgpr21
	s_set_inst_prefetch_distance 0x1
	s_branch .LBB1537_279
	.p2align	6
.LBB1537_277:                           ;   in Loop: Header=BB1537_279 Depth=1
	global_load_b32 v63, v[61:62], off
	global_load_b32 v64, v[57:58], off
	v_add_co_u32 v57, vcc_lo, v57, 4
	v_add_co_ci_u32_e32 v58, vcc_lo, 0, v58, vcc_lo
	v_add_co_u32 v61, s0, v61, 4
	s_delay_alu instid0(VALU_DEP_1)
	v_add_co_ci_u32_e64 v62, s0, 0, v62, s0
	s_add_u32 s22, s22, 1
	s_addc_u32 s23, s23, 0
	s_and_not1_b32 s0, s21, exec_lo
	s_waitcnt vmcnt(0)
	v_cmp_ne_u32_e32 vcc_lo, v63, v64
	s_and_b32 s21, vcc_lo, exec_lo
	s_delay_alu instid0(SALU_CYCLE_1)
	s_or_b32 s21, s0, s21
.LBB1537_278:                           ;   in Loop: Header=BB1537_279 Depth=1
	v_dual_mov_b32 v64, s23 :: v_dual_mov_b32 v63, s22
	s_and_b32 s0, exec_lo, s21
	s_delay_alu instid0(SALU_CYCLE_1) | instskip(NEXT) | instid1(SALU_CYCLE_1)
	s_or_b32 s3, s0, s3
	s_and_not1_b32 exec_lo, exec_lo, s3
	s_cbranch_execz .LBB1537_281
.LBB1537_279:                           ; =>This Inner Loop Header: Depth=1
	s_or_b32 s21, s21, exec_lo
	s_cmp_eq_u64 s[14:15], s[22:23]
	s_cbranch_scc0 .LBB1537_277
; %bb.280:                              ;   in Loop: Header=BB1537_279 Depth=1
	s_mov_b64 s[22:23], s[8:9]
                                        ; implicit-def: $vgpr57_vgpr58
                                        ; implicit-def: $vgpr61_vgpr62
	s_branch .LBB1537_278
.LBB1537_281:
	s_set_inst_prefetch_distance 0x2
	s_or_b32 exec_lo, exec_lo, s3
	v_cmp_gt_i64_e32 vcc_lo, s[8:9], v[63:64]
	s_mov_b32 s0, 0
	s_delay_alu instid0(SALU_CYCLE_1)
	v_mov_b32_e32 v158, s0
	v_cndmask_b32_e64 v157, 0, 1, vcc_lo
.LBB1537_282:
	s_or_b32 exec_lo, exec_lo, s1
.LBB1537_283:
	v_mul_lo_u32 v61, v16, s8
	v_mul_lo_u32 v62, v15, s9
	v_mad_u64_u32 v[57:58], null, v15, s8, 0
	v_cmp_ne_u32_e32 vcc_lo, 1, v65
	s_delay_alu instid0(VALU_DEP_2) | instskip(NEXT) | instid1(VALU_DEP_1)
	v_add3_u32 v58, v58, v62, v61
	v_lshlrev_b64 v[57:58], 2, v[57:58]
	s_cbranch_vccnz .LBB1537_292
; %bb.284:
	v_add_co_u32 v61, vcc_lo, s10, v59
	v_add_co_ci_u32_e32 v62, vcc_lo, s11, v60, vcc_lo
	s_delay_alu instid0(VALU_DEP_3) | instskip(NEXT) | instid1(VALU_DEP_4)
	v_add_co_u32 v59, vcc_lo, s10, v57
	v_add_co_ci_u32_e32 v60, vcc_lo, s11, v58, vcc_lo
	v_mov_b32_e32 v159, 1
	s_clause 0x1
	global_load_b32 v63, v[61:62], off
	global_load_b32 v64, v[59:60], off
	v_mov_b32_e32 v160, 0
	s_mov_b32 s1, exec_lo
	s_waitcnt vmcnt(0)
	v_cmpx_eq_u32_e64 v63, v64
	s_cbranch_execz .LBB1537_291
; %bb.285:
	v_add_co_u32 v59, vcc_lo, v59, 4
	v_add_co_ci_u32_e32 v60, vcc_lo, 0, v60, vcc_lo
	v_add_co_u32 v61, vcc_lo, v61, 4
	v_add_co_ci_u32_e32 v62, vcc_lo, 0, v62, vcc_lo
	s_add_u32 s14, s8, -1
	s_addc_u32 s15, s9, -1
	s_mov_b64 s[22:23], 0
	s_mov_b32 s3, 0
                                        ; implicit-def: $sgpr21
	s_set_inst_prefetch_distance 0x1
	s_branch .LBB1537_288
	.p2align	6
.LBB1537_286:                           ;   in Loop: Header=BB1537_288 Depth=1
	global_load_b32 v63, v[61:62], off
	global_load_b32 v64, v[59:60], off
	v_add_co_u32 v59, vcc_lo, v59, 4
	v_add_co_ci_u32_e32 v60, vcc_lo, 0, v60, vcc_lo
	v_add_co_u32 v61, s0, v61, 4
	s_delay_alu instid0(VALU_DEP_1)
	v_add_co_ci_u32_e64 v62, s0, 0, v62, s0
	s_add_u32 s22, s22, 1
	s_addc_u32 s23, s23, 0
	s_and_not1_b32 s0, s21, exec_lo
	s_waitcnt vmcnt(0)
	v_cmp_ne_u32_e32 vcc_lo, v63, v64
	s_and_b32 s21, vcc_lo, exec_lo
	s_delay_alu instid0(SALU_CYCLE_1)
	s_or_b32 s21, s0, s21
.LBB1537_287:                           ;   in Loop: Header=BB1537_288 Depth=1
	v_dual_mov_b32 v64, s23 :: v_dual_mov_b32 v63, s22
	s_and_b32 s0, exec_lo, s21
	s_delay_alu instid0(SALU_CYCLE_1) | instskip(NEXT) | instid1(SALU_CYCLE_1)
	s_or_b32 s3, s0, s3
	s_and_not1_b32 exec_lo, exec_lo, s3
	s_cbranch_execz .LBB1537_290
.LBB1537_288:                           ; =>This Inner Loop Header: Depth=1
	s_or_b32 s21, s21, exec_lo
	s_cmp_eq_u64 s[14:15], s[22:23]
	s_cbranch_scc0 .LBB1537_286
; %bb.289:                              ;   in Loop: Header=BB1537_288 Depth=1
	s_mov_b64 s[22:23], s[8:9]
                                        ; implicit-def: $vgpr59_vgpr60
                                        ; implicit-def: $vgpr61_vgpr62
	s_branch .LBB1537_287
.LBB1537_290:
	s_set_inst_prefetch_distance 0x2
	s_or_b32 exec_lo, exec_lo, s3
	v_cmp_gt_i64_e32 vcc_lo, s[8:9], v[63:64]
	s_mov_b32 s0, 0
	s_delay_alu instid0(SALU_CYCLE_1)
	v_mov_b32_e32 v160, s0
	v_cndmask_b32_e64 v159, 0, 1, vcc_lo
.LBB1537_291:
	s_or_b32 exec_lo, exec_lo, s1
.LBB1537_292:
	v_mul_lo_u32 v61, v14, s8
	v_mul_lo_u32 v62, v13, s9
	v_mad_u64_u32 v[59:60], null, v13, s8, 0
	v_mov_b32_e32 v163, 0
	v_mov_b32_e32 v164, 0
	v_cmp_ne_u32_e32 vcc_lo, 1, v65
	s_delay_alu instid0(VALU_DEP_2) | instskip(SKIP_1) | instid1(VALU_DEP_1)
	v_dual_mov_b32 v161, v163 :: v_dual_mov_b32 v162, v164
	v_add3_u32 v60, v60, v62, v61
	v_lshlrev_b64 v[59:60], 2, v[59:60]
	s_cbranch_vccnz .LBB1537_301
; %bb.293:
	v_add_co_u32 v61, vcc_lo, s10, v57
	v_add_co_ci_u32_e32 v62, vcc_lo, s11, v58, vcc_lo
	s_delay_alu instid0(VALU_DEP_3) | instskip(NEXT) | instid1(VALU_DEP_4)
	v_add_co_u32 v57, vcc_lo, s10, v59
	v_add_co_ci_u32_e32 v58, vcc_lo, s11, v60, vcc_lo
	v_mov_b32_e32 v161, 1
	s_clause 0x1
	global_load_b32 v63, v[61:62], off
	global_load_b32 v64, v[57:58], off
	v_mov_b32_e32 v162, 0
	s_mov_b32 s1, exec_lo
	s_waitcnt vmcnt(0)
	v_cmpx_eq_u32_e64 v63, v64
	s_cbranch_execz .LBB1537_300
; %bb.294:
	v_add_co_u32 v57, vcc_lo, v57, 4
	v_add_co_ci_u32_e32 v58, vcc_lo, 0, v58, vcc_lo
	v_add_co_u32 v61, vcc_lo, v61, 4
	v_add_co_ci_u32_e32 v62, vcc_lo, 0, v62, vcc_lo
	s_add_u32 s14, s8, -1
	s_addc_u32 s15, s9, -1
	s_mov_b64 s[22:23], 0
	s_mov_b32 s3, 0
                                        ; implicit-def: $sgpr21
	s_set_inst_prefetch_distance 0x1
	s_branch .LBB1537_297
	.p2align	6
.LBB1537_295:                           ;   in Loop: Header=BB1537_297 Depth=1
	global_load_b32 v63, v[61:62], off
	global_load_b32 v64, v[57:58], off
	v_add_co_u32 v57, vcc_lo, v57, 4
	v_add_co_ci_u32_e32 v58, vcc_lo, 0, v58, vcc_lo
	v_add_co_u32 v61, s0, v61, 4
	s_delay_alu instid0(VALU_DEP_1)
	v_add_co_ci_u32_e64 v62, s0, 0, v62, s0
	s_add_u32 s22, s22, 1
	s_addc_u32 s23, s23, 0
	s_and_not1_b32 s0, s21, exec_lo
	s_waitcnt vmcnt(0)
	v_cmp_ne_u32_e32 vcc_lo, v63, v64
	s_and_b32 s21, vcc_lo, exec_lo
	s_delay_alu instid0(SALU_CYCLE_1)
	s_or_b32 s21, s0, s21
.LBB1537_296:                           ;   in Loop: Header=BB1537_297 Depth=1
	v_dual_mov_b32 v64, s23 :: v_dual_mov_b32 v63, s22
	s_and_b32 s0, exec_lo, s21
	s_delay_alu instid0(SALU_CYCLE_1) | instskip(NEXT) | instid1(SALU_CYCLE_1)
	s_or_b32 s3, s0, s3
	s_and_not1_b32 exec_lo, exec_lo, s3
	s_cbranch_execz .LBB1537_299
.LBB1537_297:                           ; =>This Inner Loop Header: Depth=1
	s_or_b32 s21, s21, exec_lo
	s_cmp_eq_u64 s[14:15], s[22:23]
	s_cbranch_scc0 .LBB1537_295
; %bb.298:                              ;   in Loop: Header=BB1537_297 Depth=1
	s_mov_b64 s[22:23], s[8:9]
                                        ; implicit-def: $vgpr57_vgpr58
                                        ; implicit-def: $vgpr61_vgpr62
	s_branch .LBB1537_296
.LBB1537_299:
	s_set_inst_prefetch_distance 0x2
	s_or_b32 exec_lo, exec_lo, s3
	v_cmp_gt_i64_e32 vcc_lo, s[8:9], v[63:64]
	s_mov_b32 s0, 0
	s_delay_alu instid0(SALU_CYCLE_1)
	v_mov_b32_e32 v162, s0
	v_cndmask_b32_e64 v161, 0, 1, vcc_lo
.LBB1537_300:
	s_or_b32 exec_lo, exec_lo, s1
.LBB1537_301:
	v_mul_lo_u32 v61, v4, s8
	v_mul_lo_u32 v62, v3, s9
	v_mad_u64_u32 v[57:58], null, v3, s8, 0
	v_cmp_ne_u32_e32 vcc_lo, 1, v65
	s_delay_alu instid0(VALU_DEP_2) | instskip(NEXT) | instid1(VALU_DEP_1)
	v_add3_u32 v58, v58, v62, v61
	v_lshlrev_b64 v[57:58], 2, v[57:58]
	s_cbranch_vccnz .LBB1537_310
; %bb.302:
	v_add_co_u32 v61, vcc_lo, s10, v59
	v_add_co_ci_u32_e32 v62, vcc_lo, s11, v60, vcc_lo
	s_delay_alu instid0(VALU_DEP_3) | instskip(NEXT) | instid1(VALU_DEP_4)
	v_add_co_u32 v59, vcc_lo, s10, v57
	v_add_co_ci_u32_e32 v60, vcc_lo, s11, v58, vcc_lo
	v_mov_b32_e32 v163, 1
	s_clause 0x1
	global_load_b32 v63, v[61:62], off
	global_load_b32 v64, v[59:60], off
	v_mov_b32_e32 v164, 0
	s_mov_b32 s1, exec_lo
	s_waitcnt vmcnt(0)
	v_cmpx_eq_u32_e64 v63, v64
	s_cbranch_execz .LBB1537_309
; %bb.303:
	v_add_co_u32 v59, vcc_lo, v59, 4
	v_add_co_ci_u32_e32 v60, vcc_lo, 0, v60, vcc_lo
	v_add_co_u32 v61, vcc_lo, v61, 4
	v_add_co_ci_u32_e32 v62, vcc_lo, 0, v62, vcc_lo
	s_add_u32 s14, s8, -1
	s_addc_u32 s15, s9, -1
	s_mov_b64 s[22:23], 0
	s_mov_b32 s3, 0
                                        ; implicit-def: $sgpr21
	s_set_inst_prefetch_distance 0x1
	s_branch .LBB1537_306
	.p2align	6
.LBB1537_304:                           ;   in Loop: Header=BB1537_306 Depth=1
	global_load_b32 v63, v[61:62], off
	global_load_b32 v64, v[59:60], off
	v_add_co_u32 v59, vcc_lo, v59, 4
	v_add_co_ci_u32_e32 v60, vcc_lo, 0, v60, vcc_lo
	v_add_co_u32 v61, s0, v61, 4
	s_delay_alu instid0(VALU_DEP_1)
	v_add_co_ci_u32_e64 v62, s0, 0, v62, s0
	s_add_u32 s22, s22, 1
	s_addc_u32 s23, s23, 0
	s_and_not1_b32 s0, s21, exec_lo
	s_waitcnt vmcnt(0)
	v_cmp_ne_u32_e32 vcc_lo, v63, v64
	s_and_b32 s21, vcc_lo, exec_lo
	s_delay_alu instid0(SALU_CYCLE_1)
	s_or_b32 s21, s0, s21
.LBB1537_305:                           ;   in Loop: Header=BB1537_306 Depth=1
	v_dual_mov_b32 v64, s23 :: v_dual_mov_b32 v63, s22
	s_and_b32 s0, exec_lo, s21
	s_delay_alu instid0(SALU_CYCLE_1) | instskip(NEXT) | instid1(SALU_CYCLE_1)
	s_or_b32 s3, s0, s3
	s_and_not1_b32 exec_lo, exec_lo, s3
	s_cbranch_execz .LBB1537_308
.LBB1537_306:                           ; =>This Inner Loop Header: Depth=1
	s_or_b32 s21, s21, exec_lo
	s_cmp_eq_u64 s[14:15], s[22:23]
	s_cbranch_scc0 .LBB1537_304
; %bb.307:                              ;   in Loop: Header=BB1537_306 Depth=1
	s_mov_b64 s[22:23], s[8:9]
                                        ; implicit-def: $vgpr59_vgpr60
                                        ; implicit-def: $vgpr61_vgpr62
	s_branch .LBB1537_305
.LBB1537_308:
	s_set_inst_prefetch_distance 0x2
	s_or_b32 exec_lo, exec_lo, s3
	v_cmp_gt_i64_e32 vcc_lo, s[8:9], v[63:64]
	s_mov_b32 s0, 0
	s_delay_alu instid0(SALU_CYCLE_1)
	v_mov_b32_e32 v164, s0
	v_cndmask_b32_e64 v163, 0, 1, vcc_lo
.LBB1537_309:
	s_or_b32 exec_lo, exec_lo, s1
.LBB1537_310:
	v_cmp_ne_u32_e32 vcc_lo, 1, v65
	s_cbranch_vccnz .LBB1537_317
; %bb.311:
	v_mul_lo_u32 v61, v2, s8
	v_mul_lo_u32 v62, v1, s9
	v_mad_u64_u32 v[59:60], null, v1, s8, 0
	v_mov_b32_e32 v165, 1
	v_mov_b32_e32 v166, 0
	s_mov_b32 s1, exec_lo
	s_delay_alu instid0(VALU_DEP_3) | instskip(NEXT) | instid1(VALU_DEP_1)
	v_add3_u32 v60, v60, v62, v61
	v_lshlrev_b64 v[61:62], 2, v[59:60]
	v_add_co_u32 v59, vcc_lo, s10, v57
	v_add_co_ci_u32_e32 v60, vcc_lo, s11, v58, vcc_lo
	s_delay_alu instid0(VALU_DEP_3) | instskip(NEXT) | instid1(VALU_DEP_4)
	v_add_co_u32 v57, vcc_lo, s10, v61
	v_add_co_ci_u32_e32 v58, vcc_lo, s11, v62, vcc_lo
	s_clause 0x1
	global_load_b32 v61, v[59:60], off
	global_load_b32 v62, v[57:58], off
	s_waitcnt vmcnt(0)
	v_cmpx_eq_u32_e64 v61, v62
	s_cbranch_execz .LBB1537_319
; %bb.312:
	v_add_co_u32 v57, vcc_lo, v57, 4
	v_add_co_ci_u32_e32 v58, vcc_lo, 0, v58, vcc_lo
	v_add_co_u32 v59, vcc_lo, v59, 4
	v_add_co_ci_u32_e32 v60, vcc_lo, 0, v60, vcc_lo
	s_add_u32 s14, s8, -1
	s_addc_u32 s15, s9, -1
	s_mov_b64 s[22:23], 0
	s_mov_b32 s3, 0
                                        ; implicit-def: $sgpr21
	s_set_inst_prefetch_distance 0x1
	s_branch .LBB1537_315
	.p2align	6
.LBB1537_313:                           ;   in Loop: Header=BB1537_315 Depth=1
	global_load_b32 v61, v[59:60], off
	global_load_b32 v62, v[57:58], off
	v_add_co_u32 v57, vcc_lo, v57, 4
	v_add_co_ci_u32_e32 v58, vcc_lo, 0, v58, vcc_lo
	v_add_co_u32 v59, s0, v59, 4
	s_delay_alu instid0(VALU_DEP_1)
	v_add_co_ci_u32_e64 v60, s0, 0, v60, s0
	s_add_u32 s22, s22, 1
	s_addc_u32 s23, s23, 0
	s_and_not1_b32 s0, s21, exec_lo
	s_waitcnt vmcnt(0)
	v_cmp_ne_u32_e32 vcc_lo, v61, v62
	s_and_b32 s21, vcc_lo, exec_lo
	s_delay_alu instid0(SALU_CYCLE_1)
	s_or_b32 s21, s0, s21
.LBB1537_314:                           ;   in Loop: Header=BB1537_315 Depth=1
	v_dual_mov_b32 v62, s23 :: v_dual_mov_b32 v61, s22
	s_and_b32 s0, exec_lo, s21
	s_delay_alu instid0(SALU_CYCLE_1) | instskip(NEXT) | instid1(SALU_CYCLE_1)
	s_or_b32 s3, s0, s3
	s_and_not1_b32 exec_lo, exec_lo, s3
	s_cbranch_execz .LBB1537_318
.LBB1537_315:                           ; =>This Inner Loop Header: Depth=1
	s_or_b32 s21, s21, exec_lo
	s_cmp_eq_u64 s[14:15], s[22:23]
	s_cbranch_scc0 .LBB1537_313
; %bb.316:                              ;   in Loop: Header=BB1537_315 Depth=1
	s_mov_b64 s[22:23], s[8:9]
                                        ; implicit-def: $vgpr57_vgpr58
                                        ; implicit-def: $vgpr59_vgpr60
	s_branch .LBB1537_314
.LBB1537_317:
	v_mov_b32_e32 v165, 0
	v_mov_b32_e32 v166, 0
	s_branch .LBB1537_320
.LBB1537_318:
	s_set_inst_prefetch_distance 0x2
	s_or_b32 exec_lo, exec_lo, s3
	v_cmp_gt_i64_e32 vcc_lo, s[8:9], v[61:62]
	s_mov_b32 s0, 0
	s_delay_alu instid0(SALU_CYCLE_1)
	v_mov_b32_e32 v166, s0
	v_cndmask_b32_e64 v165, 0, 1, vcc_lo
.LBB1537_319:
	s_or_b32 exec_lo, exec_lo, s1
.LBB1537_320:
	s_waitcnt lgkmcnt(0)
	v_dual_mov_b32 v58, s13 :: v_dual_mov_b32 v57, s12
	s_mov_b32 s0, 0
	s_mov_b32 s1, exec_lo
	s_barrier
	buffer_gl0_inv
	v_cmpx_ne_u32_e32 0, v0
	s_cbranch_execz .LBB1537_322
; %bb.321:
	v_add_nc_u32_e32 v57, -8, v195
	ds_load_b64 v[57:58], v57
.LBB1537_322:
	s_or_b32 exec_lo, exec_lo, s1
	v_cmp_ne_u32_e32 vcc_lo, 1, v65
	s_cbranch_vccnz .LBB1537_331
; %bb.323:
	v_mul_lo_u32 v63, v2, s8
	v_mul_lo_u32 v64, v1, s9
	v_mad_u64_u32 v[59:60], null, v1, s8, 0
	s_waitcnt lgkmcnt(0)
	v_mul_lo_u32 v58, v58, s8
	v_mul_lo_u32 v65, v57, s9
	v_mad_u64_u32 v[61:62], null, v57, s8, 0
	s_mov_b32 s0, -1
	s_mov_b32 s1, exec_lo
	s_delay_alu instid0(VALU_DEP_4) | instskip(NEXT) | instid1(VALU_DEP_2)
	v_add3_u32 v60, v60, v64, v63
	v_add3_u32 v62, v62, v65, v58
	s_delay_alu instid0(VALU_DEP_2) | instskip(NEXT) | instid1(VALU_DEP_2)
	v_lshlrev_b64 v[57:58], 2, v[59:60]
	v_lshlrev_b64 v[61:62], 2, v[61:62]
	s_delay_alu instid0(VALU_DEP_2) | instskip(NEXT) | instid1(VALU_DEP_3)
	v_add_co_u32 v59, vcc_lo, s10, v57
	v_add_co_ci_u32_e32 v60, vcc_lo, s11, v58, vcc_lo
	s_delay_alu instid0(VALU_DEP_3) | instskip(NEXT) | instid1(VALU_DEP_4)
	v_add_co_u32 v57, vcc_lo, s10, v61
	v_add_co_ci_u32_e32 v58, vcc_lo, s11, v62, vcc_lo
	s_clause 0x1
	global_load_b32 v61, v[59:60], off
	global_load_b32 v62, v[57:58], off
	s_waitcnt vmcnt(0)
	v_cmpx_eq_u32_e64 v61, v62
	s_cbranch_execz .LBB1537_330
; %bb.324:
	v_add_co_u32 v57, vcc_lo, v57, 4
	v_add_co_ci_u32_e32 v58, vcc_lo, 0, v58, vcc_lo
	v_add_co_u32 v59, vcc_lo, v59, 4
	v_add_co_ci_u32_e32 v60, vcc_lo, 0, v60, vcc_lo
	s_add_u32 s14, s8, -1
	s_addc_u32 s15, s9, -1
	s_mov_b64 s[22:23], 0
	s_mov_b32 s3, 0
                                        ; implicit-def: $sgpr21
	s_set_inst_prefetch_distance 0x1
	s_branch .LBB1537_327
	.p2align	6
.LBB1537_325:                           ;   in Loop: Header=BB1537_327 Depth=1
	global_load_b32 v61, v[59:60], off
	global_load_b32 v62, v[57:58], off
	v_add_co_u32 v57, vcc_lo, v57, 4
	v_add_co_ci_u32_e32 v58, vcc_lo, 0, v58, vcc_lo
	v_add_co_u32 v59, s0, v59, 4
	s_delay_alu instid0(VALU_DEP_1)
	v_add_co_ci_u32_e64 v60, s0, 0, v60, s0
	s_add_u32 s22, s22, 1
	s_addc_u32 s23, s23, 0
	s_and_not1_b32 s0, s21, exec_lo
	s_waitcnt vmcnt(0)
	v_cmp_ne_u32_e32 vcc_lo, v61, v62
	s_and_b32 s21, vcc_lo, exec_lo
	s_delay_alu instid0(SALU_CYCLE_1)
	s_or_b32 s21, s0, s21
.LBB1537_326:                           ;   in Loop: Header=BB1537_327 Depth=1
	v_dual_mov_b32 v62, s23 :: v_dual_mov_b32 v61, s22
	s_and_b32 s0, exec_lo, s21
	s_delay_alu instid0(SALU_CYCLE_1) | instskip(NEXT) | instid1(SALU_CYCLE_1)
	s_or_b32 s3, s0, s3
	s_and_not1_b32 exec_lo, exec_lo, s3
	s_cbranch_execz .LBB1537_329
.LBB1537_327:                           ; =>This Inner Loop Header: Depth=1
	s_or_b32 s21, s21, exec_lo
	s_cmp_eq_u64 s[14:15], s[22:23]
	s_cbranch_scc0 .LBB1537_325
; %bb.328:                              ;   in Loop: Header=BB1537_327 Depth=1
	s_mov_b64 s[22:23], s[8:9]
                                        ; implicit-def: $vgpr57_vgpr58
                                        ; implicit-def: $vgpr59_vgpr60
	s_branch .LBB1537_326
.LBB1537_329:
	s_set_inst_prefetch_distance 0x2
	s_or_b32 exec_lo, exec_lo, s3
	v_cmp_gt_i64_e32 vcc_lo, s[8:9], v[61:62]
	s_or_not1_b32 s0, vcc_lo, exec_lo
.LBB1537_330:
	s_or_b32 exec_lo, exec_lo, s1
.LBB1537_331:
	s_mov_b32 s1, -1
	s_branch .LBB1537_73
.LBB1537_332:
	v_cmp_gt_i64_e64 s0, s[8:9], 0
	s_waitcnt lgkmcnt(0)
	v_mad_u32_u24 v57, v0, 29, 28
	v_mul_u32_u24_e32 v64, 29, v0
	v_dual_mov_b32 v112, v110 :: v_dual_mov_b32 v111, v109
	s_mul_i32 s3, s20, 0xfffff180
	v_cndmask_b32_e64 v63, 0, 1, s0
	s_add_i32 s3, s3, s6
	s_mov_b32 s22, exec_lo
	ds_store_b64 v195, v[109:110]
	v_cmpx_gt_u32_e64 s3, v57
	s_cbranch_execz .LBB1537_343
; %bb.333:
	s_and_not1_b32 vcc_lo, exec_lo, s0
	s_cbranch_vccnz .LBB1537_340
; %bb.334:
	v_mul_lo_u32 v61, v110, s8
	v_mul_lo_u32 v62, v109, s9
	v_mad_u64_u32 v[57:58], null, v109, s8, 0
	v_mul_lo_u32 v65, v8, s8
	v_mul_lo_u32 v66, v7, s9
	v_mad_u64_u32 v[59:60], null, v7, s8, 0
	v_mov_b32_e32 v111, 1
	v_mov_b32_e32 v112, 0
	v_add3_u32 v58, v58, v62, v61
	s_mov_b32 s23, exec_lo
	s_delay_alu instid0(VALU_DEP_4) | instskip(NEXT) | instid1(VALU_DEP_2)
	v_add3_u32 v60, v60, v66, v65
	v_lshlrev_b64 v[57:58], 2, v[57:58]
	s_delay_alu instid0(VALU_DEP_2) | instskip(NEXT) | instid1(VALU_DEP_2)
	v_lshlrev_b64 v[61:62], 2, v[59:60]
	v_add_co_u32 v59, vcc_lo, s10, v57
	s_delay_alu instid0(VALU_DEP_3) | instskip(NEXT) | instid1(VALU_DEP_3)
	v_add_co_ci_u32_e32 v60, vcc_lo, s11, v58, vcc_lo
	v_add_co_u32 v57, vcc_lo, s10, v61
	s_delay_alu instid0(VALU_DEP_4)
	v_add_co_ci_u32_e32 v58, vcc_lo, s11, v62, vcc_lo
	s_clause 0x1
	global_load_b32 v61, v[59:60], off
	global_load_b32 v62, v[57:58], off
	s_waitcnt vmcnt(0)
	v_cmpx_eq_u32_e64 v61, v62
	s_cbranch_execz .LBB1537_342
; %bb.335:
	v_add_co_u32 v57, vcc_lo, v57, 4
	v_add_co_ci_u32_e32 v58, vcc_lo, 0, v58, vcc_lo
	v_add_co_u32 v59, vcc_lo, v59, 4
	v_add_co_ci_u32_e32 v60, vcc_lo, 0, v60, vcc_lo
	s_add_u32 s14, s8, -1
	s_addc_u32 s15, s9, -1
	s_mov_b64 s[20:21], 0
	s_mov_b32 s24, 0
                                        ; implicit-def: $sgpr25
	s_set_inst_prefetch_distance 0x1
	s_branch .LBB1537_338
	.p2align	6
.LBB1537_336:                           ;   in Loop: Header=BB1537_338 Depth=1
	global_load_b32 v61, v[59:60], off
	global_load_b32 v62, v[57:58], off
	v_add_co_u32 v57, vcc_lo, v57, 4
	v_add_co_ci_u32_e32 v58, vcc_lo, 0, v58, vcc_lo
	v_add_co_u32 v59, s0, v59, 4
	s_delay_alu instid0(VALU_DEP_1)
	v_add_co_ci_u32_e64 v60, s0, 0, v60, s0
	s_add_u32 s20, s20, 1
	s_addc_u32 s21, s21, 0
	s_and_not1_b32 s0, s25, exec_lo
	s_waitcnt vmcnt(0)
	v_cmp_ne_u32_e32 vcc_lo, v61, v62
	s_and_b32 s25, vcc_lo, exec_lo
	s_delay_alu instid0(SALU_CYCLE_1)
	s_or_b32 s25, s0, s25
.LBB1537_337:                           ;   in Loop: Header=BB1537_338 Depth=1
	v_dual_mov_b32 v62, s21 :: v_dual_mov_b32 v61, s20
	s_and_b32 s0, exec_lo, s25
	s_delay_alu instid0(SALU_CYCLE_1) | instskip(NEXT) | instid1(SALU_CYCLE_1)
	s_or_b32 s24, s0, s24
	s_and_not1_b32 exec_lo, exec_lo, s24
	s_cbranch_execz .LBB1537_341
.LBB1537_338:                           ; =>This Inner Loop Header: Depth=1
	s_or_b32 s25, s25, exec_lo
	s_cmp_eq_u64 s[14:15], s[20:21]
	s_cbranch_scc0 .LBB1537_336
; %bb.339:                              ;   in Loop: Header=BB1537_338 Depth=1
	s_mov_b64 s[20:21], s[8:9]
                                        ; implicit-def: $vgpr57_vgpr58
                                        ; implicit-def: $vgpr59_vgpr60
	s_branch .LBB1537_337
.LBB1537_340:
	v_mov_b32_e32 v111, 0
	v_mov_b32_e32 v112, 0
	s_branch .LBB1537_343
.LBB1537_341:
	s_set_inst_prefetch_distance 0x2
	s_or_b32 exec_lo, exec_lo, s24
	v_cmp_gt_i64_e32 vcc_lo, s[8:9], v[61:62]
	s_mov_b32 s0, 0
	s_delay_alu instid0(SALU_CYCLE_1)
	v_mov_b32_e32 v112, s0
	v_cndmask_b32_e64 v111, 0, 1, vcc_lo
.LBB1537_342:
	s_or_b32 exec_lo, exec_lo, s23
.LBB1537_343:
	s_delay_alu instid0(SALU_CYCLE_1) | instskip(SKIP_3) | instid1(VALU_DEP_2)
	s_or_b32 exec_lo, exec_lo, s22
	v_dual_mov_b32 v116, v8 :: v_dual_add_nc_u32 v57, 27, v64
	v_mov_b32_e32 v115, v7
	s_mov_b32 s22, exec_lo
	v_cmpx_gt_u32_e64 s3, v57
	s_cbranch_execz .LBB1537_354
; %bb.344:
	v_cmp_ne_u32_e32 vcc_lo, 1, v63
	s_cbranch_vccnz .LBB1537_351
; %bb.345:
	v_mul_lo_u32 v61, v8, s8
	v_mul_lo_u32 v62, v7, s9
	v_mad_u64_u32 v[57:58], null, v7, s8, 0
	v_mul_lo_u32 v65, v6, s8
	v_mul_lo_u32 v66, v5, s9
	v_mad_u64_u32 v[59:60], null, v5, s8, 0
	v_mov_b32_e32 v115, 1
	v_mov_b32_e32 v116, 0
	v_add3_u32 v58, v58, v62, v61
	s_mov_b32 s23, exec_lo
	s_delay_alu instid0(VALU_DEP_4) | instskip(NEXT) | instid1(VALU_DEP_2)
	v_add3_u32 v60, v60, v66, v65
	v_lshlrev_b64 v[57:58], 2, v[57:58]
	s_delay_alu instid0(VALU_DEP_2) | instskip(NEXT) | instid1(VALU_DEP_2)
	v_lshlrev_b64 v[61:62], 2, v[59:60]
	v_add_co_u32 v59, vcc_lo, s10, v57
	s_delay_alu instid0(VALU_DEP_3) | instskip(NEXT) | instid1(VALU_DEP_3)
	v_add_co_ci_u32_e32 v60, vcc_lo, s11, v58, vcc_lo
	v_add_co_u32 v57, vcc_lo, s10, v61
	s_delay_alu instid0(VALU_DEP_4)
	v_add_co_ci_u32_e32 v58, vcc_lo, s11, v62, vcc_lo
	s_clause 0x1
	global_load_b32 v61, v[59:60], off
	global_load_b32 v62, v[57:58], off
	s_waitcnt vmcnt(0)
	v_cmpx_eq_u32_e64 v61, v62
	s_cbranch_execz .LBB1537_353
; %bb.346:
	v_add_co_u32 v57, vcc_lo, v57, 4
	v_add_co_ci_u32_e32 v58, vcc_lo, 0, v58, vcc_lo
	v_add_co_u32 v59, vcc_lo, v59, 4
	v_add_co_ci_u32_e32 v60, vcc_lo, 0, v60, vcc_lo
	s_add_u32 s14, s8, -1
	s_addc_u32 s15, s9, -1
	s_mov_b64 s[20:21], 0
	s_mov_b32 s24, 0
                                        ; implicit-def: $sgpr25
	s_set_inst_prefetch_distance 0x1
	s_branch .LBB1537_349
	.p2align	6
.LBB1537_347:                           ;   in Loop: Header=BB1537_349 Depth=1
	global_load_b32 v61, v[59:60], off
	global_load_b32 v62, v[57:58], off
	v_add_co_u32 v57, vcc_lo, v57, 4
	v_add_co_ci_u32_e32 v58, vcc_lo, 0, v58, vcc_lo
	v_add_co_u32 v59, s0, v59, 4
	s_delay_alu instid0(VALU_DEP_1)
	v_add_co_ci_u32_e64 v60, s0, 0, v60, s0
	s_add_u32 s20, s20, 1
	s_addc_u32 s21, s21, 0
	s_and_not1_b32 s0, s25, exec_lo
	s_waitcnt vmcnt(0)
	v_cmp_ne_u32_e32 vcc_lo, v61, v62
	s_and_b32 s25, vcc_lo, exec_lo
	s_delay_alu instid0(SALU_CYCLE_1)
	s_or_b32 s25, s0, s25
.LBB1537_348:                           ;   in Loop: Header=BB1537_349 Depth=1
	v_dual_mov_b32 v62, s21 :: v_dual_mov_b32 v61, s20
	s_and_b32 s0, exec_lo, s25
	s_delay_alu instid0(SALU_CYCLE_1) | instskip(NEXT) | instid1(SALU_CYCLE_1)
	s_or_b32 s24, s0, s24
	s_and_not1_b32 exec_lo, exec_lo, s24
	s_cbranch_execz .LBB1537_352
.LBB1537_349:                           ; =>This Inner Loop Header: Depth=1
	s_or_b32 s25, s25, exec_lo
	s_cmp_eq_u64 s[14:15], s[20:21]
	s_cbranch_scc0 .LBB1537_347
; %bb.350:                              ;   in Loop: Header=BB1537_349 Depth=1
	s_mov_b64 s[20:21], s[8:9]
                                        ; implicit-def: $vgpr57_vgpr58
                                        ; implicit-def: $vgpr59_vgpr60
	s_branch .LBB1537_348
.LBB1537_351:
	v_mov_b32_e32 v115, 0
	v_mov_b32_e32 v116, 0
	s_branch .LBB1537_354
.LBB1537_352:
	s_set_inst_prefetch_distance 0x2
	s_or_b32 exec_lo, exec_lo, s24
	v_cmp_gt_i64_e32 vcc_lo, s[8:9], v[61:62]
	s_mov_b32 s0, 0
	s_delay_alu instid0(SALU_CYCLE_1)
	v_mov_b32_e32 v116, s0
	v_cndmask_b32_e64 v115, 0, 1, vcc_lo
.LBB1537_353:
	s_or_b32 exec_lo, exec_lo, s23
.LBB1537_354:
	s_delay_alu instid0(SALU_CYCLE_1) | instskip(SKIP_3) | instid1(VALU_DEP_2)
	s_or_b32 exec_lo, exec_lo, s22
	v_dual_mov_b32 v114, v6 :: v_dual_add_nc_u32 v57, 26, v64
	v_mov_b32_e32 v113, v5
	s_mov_b32 s22, exec_lo
	v_cmpx_gt_u32_e64 s3, v57
	s_cbranch_execz .LBB1537_365
; %bb.355:
	v_cmp_ne_u32_e32 vcc_lo, 1, v63
	s_cbranch_vccnz .LBB1537_362
; %bb.356:
	v_mul_lo_u32 v61, v6, s8
	v_mul_lo_u32 v62, v5, s9
	v_mad_u64_u32 v[57:58], null, v5, s8, 0
	v_mul_lo_u32 v65, v12, s8
	v_mul_lo_u32 v66, v11, s9
	v_mad_u64_u32 v[59:60], null, v11, s8, 0
	v_mov_b32_e32 v113, 1
	v_mov_b32_e32 v114, 0
	v_add3_u32 v58, v58, v62, v61
	s_mov_b32 s23, exec_lo
	s_delay_alu instid0(VALU_DEP_4) | instskip(NEXT) | instid1(VALU_DEP_2)
	v_add3_u32 v60, v60, v66, v65
	v_lshlrev_b64 v[57:58], 2, v[57:58]
	s_delay_alu instid0(VALU_DEP_2) | instskip(NEXT) | instid1(VALU_DEP_2)
	v_lshlrev_b64 v[61:62], 2, v[59:60]
	v_add_co_u32 v59, vcc_lo, s10, v57
	s_delay_alu instid0(VALU_DEP_3) | instskip(NEXT) | instid1(VALU_DEP_3)
	v_add_co_ci_u32_e32 v60, vcc_lo, s11, v58, vcc_lo
	v_add_co_u32 v57, vcc_lo, s10, v61
	s_delay_alu instid0(VALU_DEP_4)
	v_add_co_ci_u32_e32 v58, vcc_lo, s11, v62, vcc_lo
	s_clause 0x1
	global_load_b32 v61, v[59:60], off
	global_load_b32 v62, v[57:58], off
	s_waitcnt vmcnt(0)
	v_cmpx_eq_u32_e64 v61, v62
	s_cbranch_execz .LBB1537_364
; %bb.357:
	v_add_co_u32 v57, vcc_lo, v57, 4
	v_add_co_ci_u32_e32 v58, vcc_lo, 0, v58, vcc_lo
	v_add_co_u32 v59, vcc_lo, v59, 4
	v_add_co_ci_u32_e32 v60, vcc_lo, 0, v60, vcc_lo
	s_add_u32 s14, s8, -1
	s_addc_u32 s15, s9, -1
	s_mov_b64 s[20:21], 0
	s_mov_b32 s24, 0
                                        ; implicit-def: $sgpr25
	s_set_inst_prefetch_distance 0x1
	s_branch .LBB1537_360
	.p2align	6
.LBB1537_358:                           ;   in Loop: Header=BB1537_360 Depth=1
	global_load_b32 v61, v[59:60], off
	global_load_b32 v62, v[57:58], off
	v_add_co_u32 v57, vcc_lo, v57, 4
	v_add_co_ci_u32_e32 v58, vcc_lo, 0, v58, vcc_lo
	v_add_co_u32 v59, s0, v59, 4
	s_delay_alu instid0(VALU_DEP_1)
	v_add_co_ci_u32_e64 v60, s0, 0, v60, s0
	s_add_u32 s20, s20, 1
	s_addc_u32 s21, s21, 0
	s_and_not1_b32 s0, s25, exec_lo
	s_waitcnt vmcnt(0)
	v_cmp_ne_u32_e32 vcc_lo, v61, v62
	s_and_b32 s25, vcc_lo, exec_lo
	s_delay_alu instid0(SALU_CYCLE_1)
	s_or_b32 s25, s0, s25
.LBB1537_359:                           ;   in Loop: Header=BB1537_360 Depth=1
	v_dual_mov_b32 v62, s21 :: v_dual_mov_b32 v61, s20
	s_and_b32 s0, exec_lo, s25
	s_delay_alu instid0(SALU_CYCLE_1) | instskip(NEXT) | instid1(SALU_CYCLE_1)
	s_or_b32 s24, s0, s24
	s_and_not1_b32 exec_lo, exec_lo, s24
	s_cbranch_execz .LBB1537_363
.LBB1537_360:                           ; =>This Inner Loop Header: Depth=1
	s_or_b32 s25, s25, exec_lo
	s_cmp_eq_u64 s[14:15], s[20:21]
	s_cbranch_scc0 .LBB1537_358
; %bb.361:                              ;   in Loop: Header=BB1537_360 Depth=1
	s_mov_b64 s[20:21], s[8:9]
                                        ; implicit-def: $vgpr57_vgpr58
                                        ; implicit-def: $vgpr59_vgpr60
	s_branch .LBB1537_359
.LBB1537_362:
	v_mov_b32_e32 v113, 0
	v_mov_b32_e32 v114, 0
	s_branch .LBB1537_365
.LBB1537_363:
	s_set_inst_prefetch_distance 0x2
	s_or_b32 exec_lo, exec_lo, s24
	v_cmp_gt_i64_e32 vcc_lo, s[8:9], v[61:62]
	s_mov_b32 s0, 0
	s_delay_alu instid0(SALU_CYCLE_1)
	v_mov_b32_e32 v114, s0
	v_cndmask_b32_e64 v113, 0, 1, vcc_lo
.LBB1537_364:
	s_or_b32 exec_lo, exec_lo, s23
.LBB1537_365:
	s_delay_alu instid0(SALU_CYCLE_1) | instskip(SKIP_3) | instid1(VALU_DEP_2)
	s_or_b32 exec_lo, exec_lo, s22
	v_dual_mov_b32 v118, v12 :: v_dual_add_nc_u32 v57, 25, v64
	v_mov_b32_e32 v117, v11
	s_mov_b32 s22, exec_lo
	v_cmpx_gt_u32_e64 s3, v57
	s_cbranch_execz .LBB1537_376
; %bb.366:
	v_cmp_ne_u32_e32 vcc_lo, 1, v63
	s_cbranch_vccnz .LBB1537_373
; %bb.367:
	v_mul_lo_u32 v61, v12, s8
	v_mul_lo_u32 v62, v11, s9
	v_mad_u64_u32 v[57:58], null, v11, s8, 0
	v_mul_lo_u32 v65, v10, s8
	v_mul_lo_u32 v66, v9, s9
	v_mad_u64_u32 v[59:60], null, v9, s8, 0
	v_mov_b32_e32 v117, 1
	v_mov_b32_e32 v118, 0
	v_add3_u32 v58, v58, v62, v61
	s_mov_b32 s23, exec_lo
	s_delay_alu instid0(VALU_DEP_4) | instskip(NEXT) | instid1(VALU_DEP_2)
	v_add3_u32 v60, v60, v66, v65
	v_lshlrev_b64 v[57:58], 2, v[57:58]
	s_delay_alu instid0(VALU_DEP_2) | instskip(NEXT) | instid1(VALU_DEP_2)
	v_lshlrev_b64 v[61:62], 2, v[59:60]
	v_add_co_u32 v59, vcc_lo, s10, v57
	s_delay_alu instid0(VALU_DEP_3) | instskip(NEXT) | instid1(VALU_DEP_3)
	v_add_co_ci_u32_e32 v60, vcc_lo, s11, v58, vcc_lo
	v_add_co_u32 v57, vcc_lo, s10, v61
	s_delay_alu instid0(VALU_DEP_4)
	v_add_co_ci_u32_e32 v58, vcc_lo, s11, v62, vcc_lo
	s_clause 0x1
	global_load_b32 v61, v[59:60], off
	global_load_b32 v62, v[57:58], off
	s_waitcnt vmcnt(0)
	v_cmpx_eq_u32_e64 v61, v62
	s_cbranch_execz .LBB1537_375
; %bb.368:
	v_add_co_u32 v57, vcc_lo, v57, 4
	v_add_co_ci_u32_e32 v58, vcc_lo, 0, v58, vcc_lo
	v_add_co_u32 v59, vcc_lo, v59, 4
	v_add_co_ci_u32_e32 v60, vcc_lo, 0, v60, vcc_lo
	s_add_u32 s14, s8, -1
	s_addc_u32 s15, s9, -1
	s_mov_b64 s[20:21], 0
	s_mov_b32 s24, 0
                                        ; implicit-def: $sgpr25
	s_set_inst_prefetch_distance 0x1
	s_branch .LBB1537_371
	.p2align	6
.LBB1537_369:                           ;   in Loop: Header=BB1537_371 Depth=1
	global_load_b32 v61, v[59:60], off
	global_load_b32 v62, v[57:58], off
	v_add_co_u32 v57, vcc_lo, v57, 4
	v_add_co_ci_u32_e32 v58, vcc_lo, 0, v58, vcc_lo
	v_add_co_u32 v59, s0, v59, 4
	s_delay_alu instid0(VALU_DEP_1)
	v_add_co_ci_u32_e64 v60, s0, 0, v60, s0
	s_add_u32 s20, s20, 1
	s_addc_u32 s21, s21, 0
	s_and_not1_b32 s0, s25, exec_lo
	s_waitcnt vmcnt(0)
	v_cmp_ne_u32_e32 vcc_lo, v61, v62
	s_and_b32 s25, vcc_lo, exec_lo
	s_delay_alu instid0(SALU_CYCLE_1)
	s_or_b32 s25, s0, s25
.LBB1537_370:                           ;   in Loop: Header=BB1537_371 Depth=1
	v_dual_mov_b32 v62, s21 :: v_dual_mov_b32 v61, s20
	s_and_b32 s0, exec_lo, s25
	s_delay_alu instid0(SALU_CYCLE_1) | instskip(NEXT) | instid1(SALU_CYCLE_1)
	s_or_b32 s24, s0, s24
	s_and_not1_b32 exec_lo, exec_lo, s24
	s_cbranch_execz .LBB1537_374
.LBB1537_371:                           ; =>This Inner Loop Header: Depth=1
	s_or_b32 s25, s25, exec_lo
	s_cmp_eq_u64 s[14:15], s[20:21]
	s_cbranch_scc0 .LBB1537_369
; %bb.372:                              ;   in Loop: Header=BB1537_371 Depth=1
	s_mov_b64 s[20:21], s[8:9]
                                        ; implicit-def: $vgpr57_vgpr58
                                        ; implicit-def: $vgpr59_vgpr60
	s_branch .LBB1537_370
.LBB1537_373:
	v_mov_b32_e32 v117, 0
	v_mov_b32_e32 v118, 0
	s_branch .LBB1537_376
.LBB1537_374:
	s_set_inst_prefetch_distance 0x2
	s_or_b32 exec_lo, exec_lo, s24
	v_cmp_gt_i64_e32 vcc_lo, s[8:9], v[61:62]
	s_mov_b32 s0, 0
	s_delay_alu instid0(SALU_CYCLE_1)
	v_mov_b32_e32 v118, s0
	v_cndmask_b32_e64 v117, 0, 1, vcc_lo
.LBB1537_375:
	s_or_b32 exec_lo, exec_lo, s23
.LBB1537_376:
	s_delay_alu instid0(SALU_CYCLE_1) | instskip(SKIP_3) | instid1(VALU_DEP_2)
	s_or_b32 exec_lo, exec_lo, s22
	v_dual_mov_b32 v120, v10 :: v_dual_add_nc_u32 v57, 24, v64
	v_mov_b32_e32 v119, v9
	s_mov_b32 s22, exec_lo
	v_cmpx_gt_u32_e64 s3, v57
	s_cbranch_execz .LBB1537_387
; %bb.377:
	v_cmp_ne_u32_e32 vcc_lo, 1, v63
	s_cbranch_vccnz .LBB1537_384
; %bb.378:
	v_mul_lo_u32 v61, v10, s8
	v_mul_lo_u32 v62, v9, s9
	v_mad_u64_u32 v[57:58], null, v9, s8, 0
	v_mul_lo_u32 v65, v56, s8
	v_mul_lo_u32 v66, v55, s9
	v_mad_u64_u32 v[59:60], null, v55, s8, 0
	v_mov_b32_e32 v119, 1
	v_mov_b32_e32 v120, 0
	v_add3_u32 v58, v58, v62, v61
	s_mov_b32 s23, exec_lo
	s_delay_alu instid0(VALU_DEP_4) | instskip(NEXT) | instid1(VALU_DEP_2)
	v_add3_u32 v60, v60, v66, v65
	v_lshlrev_b64 v[57:58], 2, v[57:58]
	s_delay_alu instid0(VALU_DEP_2) | instskip(NEXT) | instid1(VALU_DEP_2)
	v_lshlrev_b64 v[61:62], 2, v[59:60]
	v_add_co_u32 v59, vcc_lo, s10, v57
	s_delay_alu instid0(VALU_DEP_3) | instskip(NEXT) | instid1(VALU_DEP_3)
	v_add_co_ci_u32_e32 v60, vcc_lo, s11, v58, vcc_lo
	v_add_co_u32 v57, vcc_lo, s10, v61
	s_delay_alu instid0(VALU_DEP_4)
	v_add_co_ci_u32_e32 v58, vcc_lo, s11, v62, vcc_lo
	s_clause 0x1
	global_load_b32 v61, v[59:60], off
	global_load_b32 v62, v[57:58], off
	s_waitcnt vmcnt(0)
	v_cmpx_eq_u32_e64 v61, v62
	s_cbranch_execz .LBB1537_386
; %bb.379:
	v_add_co_u32 v57, vcc_lo, v57, 4
	v_add_co_ci_u32_e32 v58, vcc_lo, 0, v58, vcc_lo
	v_add_co_u32 v59, vcc_lo, v59, 4
	v_add_co_ci_u32_e32 v60, vcc_lo, 0, v60, vcc_lo
	s_add_u32 s14, s8, -1
	s_addc_u32 s15, s9, -1
	s_mov_b64 s[20:21], 0
	s_mov_b32 s24, 0
                                        ; implicit-def: $sgpr25
	s_set_inst_prefetch_distance 0x1
	s_branch .LBB1537_382
	.p2align	6
.LBB1537_380:                           ;   in Loop: Header=BB1537_382 Depth=1
	global_load_b32 v61, v[59:60], off
	global_load_b32 v62, v[57:58], off
	v_add_co_u32 v57, vcc_lo, v57, 4
	v_add_co_ci_u32_e32 v58, vcc_lo, 0, v58, vcc_lo
	v_add_co_u32 v59, s0, v59, 4
	s_delay_alu instid0(VALU_DEP_1)
	v_add_co_ci_u32_e64 v60, s0, 0, v60, s0
	s_add_u32 s20, s20, 1
	s_addc_u32 s21, s21, 0
	s_and_not1_b32 s0, s25, exec_lo
	s_waitcnt vmcnt(0)
	v_cmp_ne_u32_e32 vcc_lo, v61, v62
	s_and_b32 s25, vcc_lo, exec_lo
	s_delay_alu instid0(SALU_CYCLE_1)
	s_or_b32 s25, s0, s25
.LBB1537_381:                           ;   in Loop: Header=BB1537_382 Depth=1
	v_dual_mov_b32 v62, s21 :: v_dual_mov_b32 v61, s20
	s_and_b32 s0, exec_lo, s25
	s_delay_alu instid0(SALU_CYCLE_1) | instskip(NEXT) | instid1(SALU_CYCLE_1)
	s_or_b32 s24, s0, s24
	s_and_not1_b32 exec_lo, exec_lo, s24
	s_cbranch_execz .LBB1537_385
.LBB1537_382:                           ; =>This Inner Loop Header: Depth=1
	s_or_b32 s25, s25, exec_lo
	s_cmp_eq_u64 s[14:15], s[20:21]
	s_cbranch_scc0 .LBB1537_380
; %bb.383:                              ;   in Loop: Header=BB1537_382 Depth=1
	s_mov_b64 s[20:21], s[8:9]
                                        ; implicit-def: $vgpr57_vgpr58
                                        ; implicit-def: $vgpr59_vgpr60
	s_branch .LBB1537_381
.LBB1537_384:
	v_mov_b32_e32 v119, 0
	v_mov_b32_e32 v120, 0
	s_branch .LBB1537_387
.LBB1537_385:
	s_set_inst_prefetch_distance 0x2
	s_or_b32 exec_lo, exec_lo, s24
	v_cmp_gt_i64_e32 vcc_lo, s[8:9], v[61:62]
	s_mov_b32 s0, 0
	s_delay_alu instid0(SALU_CYCLE_1)
	v_mov_b32_e32 v120, s0
	v_cndmask_b32_e64 v119, 0, 1, vcc_lo
.LBB1537_386:
	s_or_b32 exec_lo, exec_lo, s23
.LBB1537_387:
	s_delay_alu instid0(SALU_CYCLE_1) | instskip(SKIP_3) | instid1(VALU_DEP_2)
	s_or_b32 exec_lo, exec_lo, s22
	v_dual_mov_b32 v122, v56 :: v_dual_add_nc_u32 v57, 23, v64
	v_mov_b32_e32 v121, v55
	s_mov_b32 s22, exec_lo
	v_cmpx_gt_u32_e64 s3, v57
	s_cbranch_execz .LBB1537_398
; %bb.388:
	v_cmp_ne_u32_e32 vcc_lo, 1, v63
	s_cbranch_vccnz .LBB1537_395
; %bb.389:
	v_mul_lo_u32 v61, v56, s8
	v_mul_lo_u32 v62, v55, s9
	v_mad_u64_u32 v[57:58], null, v55, s8, 0
	v_mul_lo_u32 v65, v54, s8
	v_mul_lo_u32 v66, v53, s9
	v_mad_u64_u32 v[59:60], null, v53, s8, 0
	v_mov_b32_e32 v121, 1
	v_mov_b32_e32 v122, 0
	v_add3_u32 v58, v58, v62, v61
	s_mov_b32 s23, exec_lo
	s_delay_alu instid0(VALU_DEP_4) | instskip(NEXT) | instid1(VALU_DEP_2)
	v_add3_u32 v60, v60, v66, v65
	v_lshlrev_b64 v[57:58], 2, v[57:58]
	s_delay_alu instid0(VALU_DEP_2) | instskip(NEXT) | instid1(VALU_DEP_2)
	v_lshlrev_b64 v[61:62], 2, v[59:60]
	v_add_co_u32 v59, vcc_lo, s10, v57
	s_delay_alu instid0(VALU_DEP_3) | instskip(NEXT) | instid1(VALU_DEP_3)
	v_add_co_ci_u32_e32 v60, vcc_lo, s11, v58, vcc_lo
	v_add_co_u32 v57, vcc_lo, s10, v61
	s_delay_alu instid0(VALU_DEP_4)
	v_add_co_ci_u32_e32 v58, vcc_lo, s11, v62, vcc_lo
	s_clause 0x1
	global_load_b32 v61, v[59:60], off
	global_load_b32 v62, v[57:58], off
	s_waitcnt vmcnt(0)
	v_cmpx_eq_u32_e64 v61, v62
	s_cbranch_execz .LBB1537_397
; %bb.390:
	v_add_co_u32 v57, vcc_lo, v57, 4
	v_add_co_ci_u32_e32 v58, vcc_lo, 0, v58, vcc_lo
	v_add_co_u32 v59, vcc_lo, v59, 4
	v_add_co_ci_u32_e32 v60, vcc_lo, 0, v60, vcc_lo
	s_add_u32 s14, s8, -1
	s_addc_u32 s15, s9, -1
	s_mov_b64 s[20:21], 0
	s_mov_b32 s24, 0
                                        ; implicit-def: $sgpr25
	s_set_inst_prefetch_distance 0x1
	s_branch .LBB1537_393
	.p2align	6
.LBB1537_391:                           ;   in Loop: Header=BB1537_393 Depth=1
	global_load_b32 v61, v[59:60], off
	global_load_b32 v62, v[57:58], off
	v_add_co_u32 v57, vcc_lo, v57, 4
	v_add_co_ci_u32_e32 v58, vcc_lo, 0, v58, vcc_lo
	v_add_co_u32 v59, s0, v59, 4
	s_delay_alu instid0(VALU_DEP_1)
	v_add_co_ci_u32_e64 v60, s0, 0, v60, s0
	s_add_u32 s20, s20, 1
	s_addc_u32 s21, s21, 0
	s_and_not1_b32 s0, s25, exec_lo
	s_waitcnt vmcnt(0)
	v_cmp_ne_u32_e32 vcc_lo, v61, v62
	s_and_b32 s25, vcc_lo, exec_lo
	s_delay_alu instid0(SALU_CYCLE_1)
	s_or_b32 s25, s0, s25
.LBB1537_392:                           ;   in Loop: Header=BB1537_393 Depth=1
	v_dual_mov_b32 v62, s21 :: v_dual_mov_b32 v61, s20
	s_and_b32 s0, exec_lo, s25
	s_delay_alu instid0(SALU_CYCLE_1) | instskip(NEXT) | instid1(SALU_CYCLE_1)
	s_or_b32 s24, s0, s24
	s_and_not1_b32 exec_lo, exec_lo, s24
	s_cbranch_execz .LBB1537_396
.LBB1537_393:                           ; =>This Inner Loop Header: Depth=1
	s_or_b32 s25, s25, exec_lo
	s_cmp_eq_u64 s[14:15], s[20:21]
	s_cbranch_scc0 .LBB1537_391
; %bb.394:                              ;   in Loop: Header=BB1537_393 Depth=1
	s_mov_b64 s[20:21], s[8:9]
                                        ; implicit-def: $vgpr57_vgpr58
                                        ; implicit-def: $vgpr59_vgpr60
	s_branch .LBB1537_392
.LBB1537_395:
	v_mov_b32_e32 v121, 0
	v_mov_b32_e32 v122, 0
	s_branch .LBB1537_398
.LBB1537_396:
	s_set_inst_prefetch_distance 0x2
	s_or_b32 exec_lo, exec_lo, s24
	v_cmp_gt_i64_e32 vcc_lo, s[8:9], v[61:62]
	s_mov_b32 s0, 0
	s_delay_alu instid0(SALU_CYCLE_1)
	v_mov_b32_e32 v122, s0
	v_cndmask_b32_e64 v121, 0, 1, vcc_lo
.LBB1537_397:
	s_or_b32 exec_lo, exec_lo, s23
.LBB1537_398:
	s_delay_alu instid0(SALU_CYCLE_1) | instskip(SKIP_3) | instid1(VALU_DEP_2)
	s_or_b32 exec_lo, exec_lo, s22
	v_dual_mov_b32 v124, v54 :: v_dual_add_nc_u32 v57, 22, v64
	v_mov_b32_e32 v123, v53
	s_mov_b32 s22, exec_lo
	v_cmpx_gt_u32_e64 s3, v57
	s_cbranch_execz .LBB1537_409
; %bb.399:
	v_cmp_ne_u32_e32 vcc_lo, 1, v63
	s_cbranch_vccnz .LBB1537_406
; %bb.400:
	v_mul_lo_u32 v61, v54, s8
	v_mul_lo_u32 v62, v53, s9
	v_mad_u64_u32 v[57:58], null, v53, s8, 0
	v_mul_lo_u32 v65, v52, s8
	v_mul_lo_u32 v66, v51, s9
	v_mad_u64_u32 v[59:60], null, v51, s8, 0
	v_mov_b32_e32 v123, 1
	v_mov_b32_e32 v124, 0
	v_add3_u32 v58, v58, v62, v61
	s_mov_b32 s23, exec_lo
	s_delay_alu instid0(VALU_DEP_4) | instskip(NEXT) | instid1(VALU_DEP_2)
	v_add3_u32 v60, v60, v66, v65
	v_lshlrev_b64 v[57:58], 2, v[57:58]
	s_delay_alu instid0(VALU_DEP_2) | instskip(NEXT) | instid1(VALU_DEP_2)
	v_lshlrev_b64 v[61:62], 2, v[59:60]
	v_add_co_u32 v59, vcc_lo, s10, v57
	s_delay_alu instid0(VALU_DEP_3) | instskip(NEXT) | instid1(VALU_DEP_3)
	v_add_co_ci_u32_e32 v60, vcc_lo, s11, v58, vcc_lo
	v_add_co_u32 v57, vcc_lo, s10, v61
	s_delay_alu instid0(VALU_DEP_4)
	v_add_co_ci_u32_e32 v58, vcc_lo, s11, v62, vcc_lo
	s_clause 0x1
	global_load_b32 v61, v[59:60], off
	global_load_b32 v62, v[57:58], off
	s_waitcnt vmcnt(0)
	v_cmpx_eq_u32_e64 v61, v62
	s_cbranch_execz .LBB1537_408
; %bb.401:
	v_add_co_u32 v57, vcc_lo, v57, 4
	v_add_co_ci_u32_e32 v58, vcc_lo, 0, v58, vcc_lo
	v_add_co_u32 v59, vcc_lo, v59, 4
	v_add_co_ci_u32_e32 v60, vcc_lo, 0, v60, vcc_lo
	s_add_u32 s14, s8, -1
	s_addc_u32 s15, s9, -1
	s_mov_b64 s[20:21], 0
	s_mov_b32 s24, 0
                                        ; implicit-def: $sgpr25
	s_set_inst_prefetch_distance 0x1
	s_branch .LBB1537_404
	.p2align	6
.LBB1537_402:                           ;   in Loop: Header=BB1537_404 Depth=1
	global_load_b32 v61, v[59:60], off
	global_load_b32 v62, v[57:58], off
	v_add_co_u32 v57, vcc_lo, v57, 4
	v_add_co_ci_u32_e32 v58, vcc_lo, 0, v58, vcc_lo
	v_add_co_u32 v59, s0, v59, 4
	s_delay_alu instid0(VALU_DEP_1)
	v_add_co_ci_u32_e64 v60, s0, 0, v60, s0
	s_add_u32 s20, s20, 1
	s_addc_u32 s21, s21, 0
	s_and_not1_b32 s0, s25, exec_lo
	s_waitcnt vmcnt(0)
	v_cmp_ne_u32_e32 vcc_lo, v61, v62
	s_and_b32 s25, vcc_lo, exec_lo
	s_delay_alu instid0(SALU_CYCLE_1)
	s_or_b32 s25, s0, s25
.LBB1537_403:                           ;   in Loop: Header=BB1537_404 Depth=1
	v_dual_mov_b32 v62, s21 :: v_dual_mov_b32 v61, s20
	s_and_b32 s0, exec_lo, s25
	s_delay_alu instid0(SALU_CYCLE_1) | instskip(NEXT) | instid1(SALU_CYCLE_1)
	s_or_b32 s24, s0, s24
	s_and_not1_b32 exec_lo, exec_lo, s24
	s_cbranch_execz .LBB1537_407
.LBB1537_404:                           ; =>This Inner Loop Header: Depth=1
	s_or_b32 s25, s25, exec_lo
	s_cmp_eq_u64 s[14:15], s[20:21]
	s_cbranch_scc0 .LBB1537_402
; %bb.405:                              ;   in Loop: Header=BB1537_404 Depth=1
	s_mov_b64 s[20:21], s[8:9]
                                        ; implicit-def: $vgpr57_vgpr58
                                        ; implicit-def: $vgpr59_vgpr60
	s_branch .LBB1537_403
.LBB1537_406:
	v_mov_b32_e32 v123, 0
	v_mov_b32_e32 v124, 0
	s_branch .LBB1537_409
.LBB1537_407:
	s_set_inst_prefetch_distance 0x2
	s_or_b32 exec_lo, exec_lo, s24
	v_cmp_gt_i64_e32 vcc_lo, s[8:9], v[61:62]
	s_mov_b32 s0, 0
	s_delay_alu instid0(SALU_CYCLE_1)
	v_mov_b32_e32 v124, s0
	v_cndmask_b32_e64 v123, 0, 1, vcc_lo
.LBB1537_408:
	s_or_b32 exec_lo, exec_lo, s23
.LBB1537_409:
	s_delay_alu instid0(SALU_CYCLE_1) | instskip(SKIP_3) | instid1(VALU_DEP_2)
	s_or_b32 exec_lo, exec_lo, s22
	v_dual_mov_b32 v126, v52 :: v_dual_add_nc_u32 v57, 21, v64
	v_mov_b32_e32 v125, v51
	s_mov_b32 s22, exec_lo
	v_cmpx_gt_u32_e64 s3, v57
	s_cbranch_execz .LBB1537_420
; %bb.410:
	v_cmp_ne_u32_e32 vcc_lo, 1, v63
	s_cbranch_vccnz .LBB1537_417
; %bb.411:
	v_mul_lo_u32 v61, v52, s8
	v_mul_lo_u32 v62, v51, s9
	v_mad_u64_u32 v[57:58], null, v51, s8, 0
	v_mul_lo_u32 v65, v50, s8
	v_mul_lo_u32 v66, v49, s9
	v_mad_u64_u32 v[59:60], null, v49, s8, 0
	v_mov_b32_e32 v125, 1
	v_mov_b32_e32 v126, 0
	v_add3_u32 v58, v58, v62, v61
	s_mov_b32 s23, exec_lo
	s_delay_alu instid0(VALU_DEP_4) | instskip(NEXT) | instid1(VALU_DEP_2)
	v_add3_u32 v60, v60, v66, v65
	v_lshlrev_b64 v[57:58], 2, v[57:58]
	s_delay_alu instid0(VALU_DEP_2) | instskip(NEXT) | instid1(VALU_DEP_2)
	v_lshlrev_b64 v[61:62], 2, v[59:60]
	v_add_co_u32 v59, vcc_lo, s10, v57
	s_delay_alu instid0(VALU_DEP_3) | instskip(NEXT) | instid1(VALU_DEP_3)
	v_add_co_ci_u32_e32 v60, vcc_lo, s11, v58, vcc_lo
	v_add_co_u32 v57, vcc_lo, s10, v61
	s_delay_alu instid0(VALU_DEP_4)
	v_add_co_ci_u32_e32 v58, vcc_lo, s11, v62, vcc_lo
	s_clause 0x1
	global_load_b32 v61, v[59:60], off
	global_load_b32 v62, v[57:58], off
	s_waitcnt vmcnt(0)
	v_cmpx_eq_u32_e64 v61, v62
	s_cbranch_execz .LBB1537_419
; %bb.412:
	v_add_co_u32 v57, vcc_lo, v57, 4
	v_add_co_ci_u32_e32 v58, vcc_lo, 0, v58, vcc_lo
	v_add_co_u32 v59, vcc_lo, v59, 4
	v_add_co_ci_u32_e32 v60, vcc_lo, 0, v60, vcc_lo
	s_add_u32 s14, s8, -1
	s_addc_u32 s15, s9, -1
	s_mov_b64 s[20:21], 0
	s_mov_b32 s24, 0
                                        ; implicit-def: $sgpr25
	s_set_inst_prefetch_distance 0x1
	s_branch .LBB1537_415
	.p2align	6
.LBB1537_413:                           ;   in Loop: Header=BB1537_415 Depth=1
	global_load_b32 v61, v[59:60], off
	global_load_b32 v62, v[57:58], off
	v_add_co_u32 v57, vcc_lo, v57, 4
	v_add_co_ci_u32_e32 v58, vcc_lo, 0, v58, vcc_lo
	v_add_co_u32 v59, s0, v59, 4
	s_delay_alu instid0(VALU_DEP_1)
	v_add_co_ci_u32_e64 v60, s0, 0, v60, s0
	s_add_u32 s20, s20, 1
	s_addc_u32 s21, s21, 0
	s_and_not1_b32 s0, s25, exec_lo
	s_waitcnt vmcnt(0)
	v_cmp_ne_u32_e32 vcc_lo, v61, v62
	s_and_b32 s25, vcc_lo, exec_lo
	s_delay_alu instid0(SALU_CYCLE_1)
	s_or_b32 s25, s0, s25
.LBB1537_414:                           ;   in Loop: Header=BB1537_415 Depth=1
	v_dual_mov_b32 v62, s21 :: v_dual_mov_b32 v61, s20
	s_and_b32 s0, exec_lo, s25
	s_delay_alu instid0(SALU_CYCLE_1) | instskip(NEXT) | instid1(SALU_CYCLE_1)
	s_or_b32 s24, s0, s24
	s_and_not1_b32 exec_lo, exec_lo, s24
	s_cbranch_execz .LBB1537_418
.LBB1537_415:                           ; =>This Inner Loop Header: Depth=1
	s_or_b32 s25, s25, exec_lo
	s_cmp_eq_u64 s[14:15], s[20:21]
	s_cbranch_scc0 .LBB1537_413
; %bb.416:                              ;   in Loop: Header=BB1537_415 Depth=1
	s_mov_b64 s[20:21], s[8:9]
                                        ; implicit-def: $vgpr57_vgpr58
                                        ; implicit-def: $vgpr59_vgpr60
	s_branch .LBB1537_414
.LBB1537_417:
	v_mov_b32_e32 v125, 0
	v_mov_b32_e32 v126, 0
	s_branch .LBB1537_420
.LBB1537_418:
	s_set_inst_prefetch_distance 0x2
	s_or_b32 exec_lo, exec_lo, s24
	v_cmp_gt_i64_e32 vcc_lo, s[8:9], v[61:62]
	s_mov_b32 s0, 0
	s_delay_alu instid0(SALU_CYCLE_1)
	v_mov_b32_e32 v126, s0
	v_cndmask_b32_e64 v125, 0, 1, vcc_lo
.LBB1537_419:
	s_or_b32 exec_lo, exec_lo, s23
.LBB1537_420:
	s_delay_alu instid0(SALU_CYCLE_1) | instskip(SKIP_3) | instid1(VALU_DEP_2)
	s_or_b32 exec_lo, exec_lo, s22
	v_dual_mov_b32 v128, v50 :: v_dual_add_nc_u32 v57, 20, v64
	v_mov_b32_e32 v127, v49
	s_mov_b32 s22, exec_lo
	v_cmpx_gt_u32_e64 s3, v57
	s_cbranch_execz .LBB1537_431
; %bb.421:
	v_cmp_ne_u32_e32 vcc_lo, 1, v63
	s_cbranch_vccnz .LBB1537_428
; %bb.422:
	v_mul_lo_u32 v61, v50, s8
	v_mul_lo_u32 v62, v49, s9
	v_mad_u64_u32 v[57:58], null, v49, s8, 0
	v_mul_lo_u32 v65, v48, s8
	v_mul_lo_u32 v66, v47, s9
	v_mad_u64_u32 v[59:60], null, v47, s8, 0
	v_mov_b32_e32 v127, 1
	v_mov_b32_e32 v128, 0
	v_add3_u32 v58, v58, v62, v61
	s_mov_b32 s23, exec_lo
	s_delay_alu instid0(VALU_DEP_4) | instskip(NEXT) | instid1(VALU_DEP_2)
	v_add3_u32 v60, v60, v66, v65
	v_lshlrev_b64 v[57:58], 2, v[57:58]
	s_delay_alu instid0(VALU_DEP_2) | instskip(NEXT) | instid1(VALU_DEP_2)
	v_lshlrev_b64 v[61:62], 2, v[59:60]
	v_add_co_u32 v59, vcc_lo, s10, v57
	s_delay_alu instid0(VALU_DEP_3) | instskip(NEXT) | instid1(VALU_DEP_3)
	v_add_co_ci_u32_e32 v60, vcc_lo, s11, v58, vcc_lo
	v_add_co_u32 v57, vcc_lo, s10, v61
	s_delay_alu instid0(VALU_DEP_4)
	v_add_co_ci_u32_e32 v58, vcc_lo, s11, v62, vcc_lo
	s_clause 0x1
	global_load_b32 v61, v[59:60], off
	global_load_b32 v62, v[57:58], off
	s_waitcnt vmcnt(0)
	v_cmpx_eq_u32_e64 v61, v62
	s_cbranch_execz .LBB1537_430
; %bb.423:
	v_add_co_u32 v57, vcc_lo, v57, 4
	v_add_co_ci_u32_e32 v58, vcc_lo, 0, v58, vcc_lo
	v_add_co_u32 v59, vcc_lo, v59, 4
	v_add_co_ci_u32_e32 v60, vcc_lo, 0, v60, vcc_lo
	s_add_u32 s14, s8, -1
	s_addc_u32 s15, s9, -1
	s_mov_b64 s[20:21], 0
	s_mov_b32 s24, 0
                                        ; implicit-def: $sgpr25
	s_set_inst_prefetch_distance 0x1
	s_branch .LBB1537_426
	.p2align	6
.LBB1537_424:                           ;   in Loop: Header=BB1537_426 Depth=1
	global_load_b32 v61, v[59:60], off
	global_load_b32 v62, v[57:58], off
	v_add_co_u32 v57, vcc_lo, v57, 4
	v_add_co_ci_u32_e32 v58, vcc_lo, 0, v58, vcc_lo
	v_add_co_u32 v59, s0, v59, 4
	s_delay_alu instid0(VALU_DEP_1)
	v_add_co_ci_u32_e64 v60, s0, 0, v60, s0
	s_add_u32 s20, s20, 1
	s_addc_u32 s21, s21, 0
	s_and_not1_b32 s0, s25, exec_lo
	s_waitcnt vmcnt(0)
	v_cmp_ne_u32_e32 vcc_lo, v61, v62
	s_and_b32 s25, vcc_lo, exec_lo
	s_delay_alu instid0(SALU_CYCLE_1)
	s_or_b32 s25, s0, s25
.LBB1537_425:                           ;   in Loop: Header=BB1537_426 Depth=1
	v_dual_mov_b32 v62, s21 :: v_dual_mov_b32 v61, s20
	s_and_b32 s0, exec_lo, s25
	s_delay_alu instid0(SALU_CYCLE_1) | instskip(NEXT) | instid1(SALU_CYCLE_1)
	s_or_b32 s24, s0, s24
	s_and_not1_b32 exec_lo, exec_lo, s24
	s_cbranch_execz .LBB1537_429
.LBB1537_426:                           ; =>This Inner Loop Header: Depth=1
	s_or_b32 s25, s25, exec_lo
	s_cmp_eq_u64 s[14:15], s[20:21]
	s_cbranch_scc0 .LBB1537_424
; %bb.427:                              ;   in Loop: Header=BB1537_426 Depth=1
	s_mov_b64 s[20:21], s[8:9]
                                        ; implicit-def: $vgpr57_vgpr58
                                        ; implicit-def: $vgpr59_vgpr60
	s_branch .LBB1537_425
.LBB1537_428:
	v_mov_b32_e32 v127, 0
	v_mov_b32_e32 v128, 0
	s_branch .LBB1537_431
.LBB1537_429:
	s_set_inst_prefetch_distance 0x2
	s_or_b32 exec_lo, exec_lo, s24
	v_cmp_gt_i64_e32 vcc_lo, s[8:9], v[61:62]
	s_mov_b32 s0, 0
	s_delay_alu instid0(SALU_CYCLE_1)
	v_mov_b32_e32 v128, s0
	v_cndmask_b32_e64 v127, 0, 1, vcc_lo
.LBB1537_430:
	s_or_b32 exec_lo, exec_lo, s23
.LBB1537_431:
	s_delay_alu instid0(SALU_CYCLE_1) | instskip(SKIP_3) | instid1(VALU_DEP_2)
	s_or_b32 exec_lo, exec_lo, s22
	v_dual_mov_b32 v130, v48 :: v_dual_add_nc_u32 v57, 19, v64
	v_mov_b32_e32 v129, v47
	s_mov_b32 s22, exec_lo
	v_cmpx_gt_u32_e64 s3, v57
	s_cbranch_execz .LBB1537_442
; %bb.432:
	v_cmp_ne_u32_e32 vcc_lo, 1, v63
	s_cbranch_vccnz .LBB1537_439
; %bb.433:
	v_mul_lo_u32 v61, v48, s8
	v_mul_lo_u32 v62, v47, s9
	v_mad_u64_u32 v[57:58], null, v47, s8, 0
	v_mul_lo_u32 v65, v46, s8
	v_mul_lo_u32 v66, v45, s9
	v_mad_u64_u32 v[59:60], null, v45, s8, 0
	v_mov_b32_e32 v129, 1
	v_mov_b32_e32 v130, 0
	v_add3_u32 v58, v58, v62, v61
	s_mov_b32 s23, exec_lo
	s_delay_alu instid0(VALU_DEP_4) | instskip(NEXT) | instid1(VALU_DEP_2)
	v_add3_u32 v60, v60, v66, v65
	v_lshlrev_b64 v[57:58], 2, v[57:58]
	s_delay_alu instid0(VALU_DEP_2) | instskip(NEXT) | instid1(VALU_DEP_2)
	v_lshlrev_b64 v[61:62], 2, v[59:60]
	v_add_co_u32 v59, vcc_lo, s10, v57
	s_delay_alu instid0(VALU_DEP_3) | instskip(NEXT) | instid1(VALU_DEP_3)
	v_add_co_ci_u32_e32 v60, vcc_lo, s11, v58, vcc_lo
	v_add_co_u32 v57, vcc_lo, s10, v61
	s_delay_alu instid0(VALU_DEP_4)
	v_add_co_ci_u32_e32 v58, vcc_lo, s11, v62, vcc_lo
	s_clause 0x1
	global_load_b32 v61, v[59:60], off
	global_load_b32 v62, v[57:58], off
	s_waitcnt vmcnt(0)
	v_cmpx_eq_u32_e64 v61, v62
	s_cbranch_execz .LBB1537_441
; %bb.434:
	v_add_co_u32 v57, vcc_lo, v57, 4
	v_add_co_ci_u32_e32 v58, vcc_lo, 0, v58, vcc_lo
	v_add_co_u32 v59, vcc_lo, v59, 4
	v_add_co_ci_u32_e32 v60, vcc_lo, 0, v60, vcc_lo
	s_add_u32 s14, s8, -1
	s_addc_u32 s15, s9, -1
	s_mov_b64 s[20:21], 0
	s_mov_b32 s24, 0
                                        ; implicit-def: $sgpr25
	s_set_inst_prefetch_distance 0x1
	s_branch .LBB1537_437
	.p2align	6
.LBB1537_435:                           ;   in Loop: Header=BB1537_437 Depth=1
	global_load_b32 v61, v[59:60], off
	global_load_b32 v62, v[57:58], off
	v_add_co_u32 v57, vcc_lo, v57, 4
	v_add_co_ci_u32_e32 v58, vcc_lo, 0, v58, vcc_lo
	v_add_co_u32 v59, s0, v59, 4
	s_delay_alu instid0(VALU_DEP_1)
	v_add_co_ci_u32_e64 v60, s0, 0, v60, s0
	s_add_u32 s20, s20, 1
	s_addc_u32 s21, s21, 0
	s_and_not1_b32 s0, s25, exec_lo
	s_waitcnt vmcnt(0)
	v_cmp_ne_u32_e32 vcc_lo, v61, v62
	s_and_b32 s25, vcc_lo, exec_lo
	s_delay_alu instid0(SALU_CYCLE_1)
	s_or_b32 s25, s0, s25
.LBB1537_436:                           ;   in Loop: Header=BB1537_437 Depth=1
	v_dual_mov_b32 v62, s21 :: v_dual_mov_b32 v61, s20
	s_and_b32 s0, exec_lo, s25
	s_delay_alu instid0(SALU_CYCLE_1) | instskip(NEXT) | instid1(SALU_CYCLE_1)
	s_or_b32 s24, s0, s24
	s_and_not1_b32 exec_lo, exec_lo, s24
	s_cbranch_execz .LBB1537_440
.LBB1537_437:                           ; =>This Inner Loop Header: Depth=1
	s_or_b32 s25, s25, exec_lo
	s_cmp_eq_u64 s[14:15], s[20:21]
	s_cbranch_scc0 .LBB1537_435
; %bb.438:                              ;   in Loop: Header=BB1537_437 Depth=1
	s_mov_b64 s[20:21], s[8:9]
                                        ; implicit-def: $vgpr57_vgpr58
                                        ; implicit-def: $vgpr59_vgpr60
	s_branch .LBB1537_436
.LBB1537_439:
	v_mov_b32_e32 v129, 0
	v_mov_b32_e32 v130, 0
	s_branch .LBB1537_442
.LBB1537_440:
	s_set_inst_prefetch_distance 0x2
	s_or_b32 exec_lo, exec_lo, s24
	v_cmp_gt_i64_e32 vcc_lo, s[8:9], v[61:62]
	s_mov_b32 s0, 0
	s_delay_alu instid0(SALU_CYCLE_1)
	v_mov_b32_e32 v130, s0
	v_cndmask_b32_e64 v129, 0, 1, vcc_lo
.LBB1537_441:
	s_or_b32 exec_lo, exec_lo, s23
.LBB1537_442:
	s_delay_alu instid0(SALU_CYCLE_1) | instskip(SKIP_3) | instid1(VALU_DEP_2)
	s_or_b32 exec_lo, exec_lo, s22
	v_dual_mov_b32 v132, v46 :: v_dual_add_nc_u32 v57, 18, v64
	v_mov_b32_e32 v131, v45
	s_mov_b32 s22, exec_lo
	v_cmpx_gt_u32_e64 s3, v57
	s_cbranch_execz .LBB1537_453
; %bb.443:
	v_cmp_ne_u32_e32 vcc_lo, 1, v63
	s_cbranch_vccnz .LBB1537_450
; %bb.444:
	v_mul_lo_u32 v61, v46, s8
	v_mul_lo_u32 v62, v45, s9
	v_mad_u64_u32 v[57:58], null, v45, s8, 0
	v_mul_lo_u32 v65, v44, s8
	v_mul_lo_u32 v66, v43, s9
	v_mad_u64_u32 v[59:60], null, v43, s8, 0
	v_mov_b32_e32 v131, 1
	v_mov_b32_e32 v132, 0
	v_add3_u32 v58, v58, v62, v61
	s_mov_b32 s23, exec_lo
	s_delay_alu instid0(VALU_DEP_4) | instskip(NEXT) | instid1(VALU_DEP_2)
	v_add3_u32 v60, v60, v66, v65
	v_lshlrev_b64 v[57:58], 2, v[57:58]
	s_delay_alu instid0(VALU_DEP_2) | instskip(NEXT) | instid1(VALU_DEP_2)
	v_lshlrev_b64 v[61:62], 2, v[59:60]
	v_add_co_u32 v59, vcc_lo, s10, v57
	s_delay_alu instid0(VALU_DEP_3) | instskip(NEXT) | instid1(VALU_DEP_3)
	v_add_co_ci_u32_e32 v60, vcc_lo, s11, v58, vcc_lo
	v_add_co_u32 v57, vcc_lo, s10, v61
	s_delay_alu instid0(VALU_DEP_4)
	v_add_co_ci_u32_e32 v58, vcc_lo, s11, v62, vcc_lo
	s_clause 0x1
	global_load_b32 v61, v[59:60], off
	global_load_b32 v62, v[57:58], off
	s_waitcnt vmcnt(0)
	v_cmpx_eq_u32_e64 v61, v62
	s_cbranch_execz .LBB1537_452
; %bb.445:
	v_add_co_u32 v57, vcc_lo, v57, 4
	v_add_co_ci_u32_e32 v58, vcc_lo, 0, v58, vcc_lo
	v_add_co_u32 v59, vcc_lo, v59, 4
	v_add_co_ci_u32_e32 v60, vcc_lo, 0, v60, vcc_lo
	s_add_u32 s14, s8, -1
	s_addc_u32 s15, s9, -1
	s_mov_b64 s[20:21], 0
	s_mov_b32 s24, 0
                                        ; implicit-def: $sgpr25
	s_set_inst_prefetch_distance 0x1
	s_branch .LBB1537_448
	.p2align	6
.LBB1537_446:                           ;   in Loop: Header=BB1537_448 Depth=1
	global_load_b32 v61, v[59:60], off
	global_load_b32 v62, v[57:58], off
	v_add_co_u32 v57, vcc_lo, v57, 4
	v_add_co_ci_u32_e32 v58, vcc_lo, 0, v58, vcc_lo
	v_add_co_u32 v59, s0, v59, 4
	s_delay_alu instid0(VALU_DEP_1)
	v_add_co_ci_u32_e64 v60, s0, 0, v60, s0
	s_add_u32 s20, s20, 1
	s_addc_u32 s21, s21, 0
	s_and_not1_b32 s0, s25, exec_lo
	s_waitcnt vmcnt(0)
	v_cmp_ne_u32_e32 vcc_lo, v61, v62
	s_and_b32 s25, vcc_lo, exec_lo
	s_delay_alu instid0(SALU_CYCLE_1)
	s_or_b32 s25, s0, s25
.LBB1537_447:                           ;   in Loop: Header=BB1537_448 Depth=1
	v_dual_mov_b32 v62, s21 :: v_dual_mov_b32 v61, s20
	s_and_b32 s0, exec_lo, s25
	s_delay_alu instid0(SALU_CYCLE_1) | instskip(NEXT) | instid1(SALU_CYCLE_1)
	s_or_b32 s24, s0, s24
	s_and_not1_b32 exec_lo, exec_lo, s24
	s_cbranch_execz .LBB1537_451
.LBB1537_448:                           ; =>This Inner Loop Header: Depth=1
	s_or_b32 s25, s25, exec_lo
	s_cmp_eq_u64 s[14:15], s[20:21]
	s_cbranch_scc0 .LBB1537_446
; %bb.449:                              ;   in Loop: Header=BB1537_448 Depth=1
	s_mov_b64 s[20:21], s[8:9]
                                        ; implicit-def: $vgpr57_vgpr58
                                        ; implicit-def: $vgpr59_vgpr60
	s_branch .LBB1537_447
.LBB1537_450:
	v_mov_b32_e32 v131, 0
	v_mov_b32_e32 v132, 0
	s_branch .LBB1537_453
.LBB1537_451:
	s_set_inst_prefetch_distance 0x2
	s_or_b32 exec_lo, exec_lo, s24
	v_cmp_gt_i64_e32 vcc_lo, s[8:9], v[61:62]
	s_mov_b32 s0, 0
	s_delay_alu instid0(SALU_CYCLE_1)
	v_mov_b32_e32 v132, s0
	v_cndmask_b32_e64 v131, 0, 1, vcc_lo
.LBB1537_452:
	s_or_b32 exec_lo, exec_lo, s23
.LBB1537_453:
	s_delay_alu instid0(SALU_CYCLE_1) | instskip(SKIP_3) | instid1(VALU_DEP_2)
	s_or_b32 exec_lo, exec_lo, s22
	v_dual_mov_b32 v134, v44 :: v_dual_add_nc_u32 v57, 17, v64
	v_mov_b32_e32 v133, v43
	s_mov_b32 s22, exec_lo
	v_cmpx_gt_u32_e64 s3, v57
	s_cbranch_execz .LBB1537_464
; %bb.454:
	v_cmp_ne_u32_e32 vcc_lo, 1, v63
	s_cbranch_vccnz .LBB1537_461
; %bb.455:
	v_mul_lo_u32 v61, v44, s8
	v_mul_lo_u32 v62, v43, s9
	v_mad_u64_u32 v[57:58], null, v43, s8, 0
	v_mul_lo_u32 v65, v42, s8
	v_mul_lo_u32 v66, v41, s9
	v_mad_u64_u32 v[59:60], null, v41, s8, 0
	v_mov_b32_e32 v133, 1
	v_mov_b32_e32 v134, 0
	v_add3_u32 v58, v58, v62, v61
	s_mov_b32 s23, exec_lo
	s_delay_alu instid0(VALU_DEP_4) | instskip(NEXT) | instid1(VALU_DEP_2)
	v_add3_u32 v60, v60, v66, v65
	v_lshlrev_b64 v[57:58], 2, v[57:58]
	s_delay_alu instid0(VALU_DEP_2) | instskip(NEXT) | instid1(VALU_DEP_2)
	v_lshlrev_b64 v[61:62], 2, v[59:60]
	v_add_co_u32 v59, vcc_lo, s10, v57
	s_delay_alu instid0(VALU_DEP_3) | instskip(NEXT) | instid1(VALU_DEP_3)
	v_add_co_ci_u32_e32 v60, vcc_lo, s11, v58, vcc_lo
	v_add_co_u32 v57, vcc_lo, s10, v61
	s_delay_alu instid0(VALU_DEP_4)
	v_add_co_ci_u32_e32 v58, vcc_lo, s11, v62, vcc_lo
	s_clause 0x1
	global_load_b32 v61, v[59:60], off
	global_load_b32 v62, v[57:58], off
	s_waitcnt vmcnt(0)
	v_cmpx_eq_u32_e64 v61, v62
	s_cbranch_execz .LBB1537_463
; %bb.456:
	v_add_co_u32 v57, vcc_lo, v57, 4
	v_add_co_ci_u32_e32 v58, vcc_lo, 0, v58, vcc_lo
	v_add_co_u32 v59, vcc_lo, v59, 4
	v_add_co_ci_u32_e32 v60, vcc_lo, 0, v60, vcc_lo
	s_add_u32 s14, s8, -1
	s_addc_u32 s15, s9, -1
	s_mov_b64 s[20:21], 0
	s_mov_b32 s24, 0
                                        ; implicit-def: $sgpr25
	s_set_inst_prefetch_distance 0x1
	s_branch .LBB1537_459
	.p2align	6
.LBB1537_457:                           ;   in Loop: Header=BB1537_459 Depth=1
	global_load_b32 v61, v[59:60], off
	global_load_b32 v62, v[57:58], off
	v_add_co_u32 v57, vcc_lo, v57, 4
	v_add_co_ci_u32_e32 v58, vcc_lo, 0, v58, vcc_lo
	v_add_co_u32 v59, s0, v59, 4
	s_delay_alu instid0(VALU_DEP_1)
	v_add_co_ci_u32_e64 v60, s0, 0, v60, s0
	s_add_u32 s20, s20, 1
	s_addc_u32 s21, s21, 0
	s_and_not1_b32 s0, s25, exec_lo
	s_waitcnt vmcnt(0)
	v_cmp_ne_u32_e32 vcc_lo, v61, v62
	s_and_b32 s25, vcc_lo, exec_lo
	s_delay_alu instid0(SALU_CYCLE_1)
	s_or_b32 s25, s0, s25
.LBB1537_458:                           ;   in Loop: Header=BB1537_459 Depth=1
	v_dual_mov_b32 v62, s21 :: v_dual_mov_b32 v61, s20
	s_and_b32 s0, exec_lo, s25
	s_delay_alu instid0(SALU_CYCLE_1) | instskip(NEXT) | instid1(SALU_CYCLE_1)
	s_or_b32 s24, s0, s24
	s_and_not1_b32 exec_lo, exec_lo, s24
	s_cbranch_execz .LBB1537_462
.LBB1537_459:                           ; =>This Inner Loop Header: Depth=1
	s_or_b32 s25, s25, exec_lo
	s_cmp_eq_u64 s[14:15], s[20:21]
	s_cbranch_scc0 .LBB1537_457
; %bb.460:                              ;   in Loop: Header=BB1537_459 Depth=1
	s_mov_b64 s[20:21], s[8:9]
                                        ; implicit-def: $vgpr57_vgpr58
                                        ; implicit-def: $vgpr59_vgpr60
	s_branch .LBB1537_458
.LBB1537_461:
	v_mov_b32_e32 v133, 0
	v_mov_b32_e32 v134, 0
	s_branch .LBB1537_464
.LBB1537_462:
	s_set_inst_prefetch_distance 0x2
	s_or_b32 exec_lo, exec_lo, s24
	v_cmp_gt_i64_e32 vcc_lo, s[8:9], v[61:62]
	s_mov_b32 s0, 0
	s_delay_alu instid0(SALU_CYCLE_1)
	v_mov_b32_e32 v134, s0
	v_cndmask_b32_e64 v133, 0, 1, vcc_lo
.LBB1537_463:
	s_or_b32 exec_lo, exec_lo, s23
.LBB1537_464:
	s_delay_alu instid0(SALU_CYCLE_1) | instskip(SKIP_3) | instid1(VALU_DEP_2)
	s_or_b32 exec_lo, exec_lo, s22
	v_dual_mov_b32 v136, v42 :: v_dual_add_nc_u32 v57, 16, v64
	v_mov_b32_e32 v135, v41
	s_mov_b32 s22, exec_lo
	v_cmpx_gt_u32_e64 s3, v57
	s_cbranch_execz .LBB1537_475
; %bb.465:
	v_cmp_ne_u32_e32 vcc_lo, 1, v63
	s_cbranch_vccnz .LBB1537_472
; %bb.466:
	v_mul_lo_u32 v61, v42, s8
	v_mul_lo_u32 v62, v41, s9
	v_mad_u64_u32 v[57:58], null, v41, s8, 0
	v_mul_lo_u32 v65, v40, s8
	v_mul_lo_u32 v66, v39, s9
	v_mad_u64_u32 v[59:60], null, v39, s8, 0
	v_mov_b32_e32 v135, 1
	v_mov_b32_e32 v136, 0
	v_add3_u32 v58, v58, v62, v61
	s_mov_b32 s23, exec_lo
	s_delay_alu instid0(VALU_DEP_4) | instskip(NEXT) | instid1(VALU_DEP_2)
	v_add3_u32 v60, v60, v66, v65
	v_lshlrev_b64 v[57:58], 2, v[57:58]
	s_delay_alu instid0(VALU_DEP_2) | instskip(NEXT) | instid1(VALU_DEP_2)
	v_lshlrev_b64 v[61:62], 2, v[59:60]
	v_add_co_u32 v59, vcc_lo, s10, v57
	s_delay_alu instid0(VALU_DEP_3) | instskip(NEXT) | instid1(VALU_DEP_3)
	v_add_co_ci_u32_e32 v60, vcc_lo, s11, v58, vcc_lo
	v_add_co_u32 v57, vcc_lo, s10, v61
	s_delay_alu instid0(VALU_DEP_4)
	v_add_co_ci_u32_e32 v58, vcc_lo, s11, v62, vcc_lo
	s_clause 0x1
	global_load_b32 v61, v[59:60], off
	global_load_b32 v62, v[57:58], off
	s_waitcnt vmcnt(0)
	v_cmpx_eq_u32_e64 v61, v62
	s_cbranch_execz .LBB1537_474
; %bb.467:
	v_add_co_u32 v57, vcc_lo, v57, 4
	v_add_co_ci_u32_e32 v58, vcc_lo, 0, v58, vcc_lo
	v_add_co_u32 v59, vcc_lo, v59, 4
	v_add_co_ci_u32_e32 v60, vcc_lo, 0, v60, vcc_lo
	s_add_u32 s14, s8, -1
	s_addc_u32 s15, s9, -1
	s_mov_b64 s[20:21], 0
	s_mov_b32 s24, 0
                                        ; implicit-def: $sgpr25
	s_set_inst_prefetch_distance 0x1
	s_branch .LBB1537_470
	.p2align	6
.LBB1537_468:                           ;   in Loop: Header=BB1537_470 Depth=1
	global_load_b32 v61, v[59:60], off
	global_load_b32 v62, v[57:58], off
	v_add_co_u32 v57, vcc_lo, v57, 4
	v_add_co_ci_u32_e32 v58, vcc_lo, 0, v58, vcc_lo
	v_add_co_u32 v59, s0, v59, 4
	s_delay_alu instid0(VALU_DEP_1)
	v_add_co_ci_u32_e64 v60, s0, 0, v60, s0
	s_add_u32 s20, s20, 1
	s_addc_u32 s21, s21, 0
	s_and_not1_b32 s0, s25, exec_lo
	s_waitcnt vmcnt(0)
	v_cmp_ne_u32_e32 vcc_lo, v61, v62
	s_and_b32 s25, vcc_lo, exec_lo
	s_delay_alu instid0(SALU_CYCLE_1)
	s_or_b32 s25, s0, s25
.LBB1537_469:                           ;   in Loop: Header=BB1537_470 Depth=1
	v_dual_mov_b32 v62, s21 :: v_dual_mov_b32 v61, s20
	s_and_b32 s0, exec_lo, s25
	s_delay_alu instid0(SALU_CYCLE_1) | instskip(NEXT) | instid1(SALU_CYCLE_1)
	s_or_b32 s24, s0, s24
	s_and_not1_b32 exec_lo, exec_lo, s24
	s_cbranch_execz .LBB1537_473
.LBB1537_470:                           ; =>This Inner Loop Header: Depth=1
	s_or_b32 s25, s25, exec_lo
	s_cmp_eq_u64 s[14:15], s[20:21]
	s_cbranch_scc0 .LBB1537_468
; %bb.471:                              ;   in Loop: Header=BB1537_470 Depth=1
	s_mov_b64 s[20:21], s[8:9]
                                        ; implicit-def: $vgpr57_vgpr58
                                        ; implicit-def: $vgpr59_vgpr60
	s_branch .LBB1537_469
.LBB1537_472:
	v_mov_b32_e32 v135, 0
	v_mov_b32_e32 v136, 0
	s_branch .LBB1537_475
.LBB1537_473:
	s_set_inst_prefetch_distance 0x2
	s_or_b32 exec_lo, exec_lo, s24
	v_cmp_gt_i64_e32 vcc_lo, s[8:9], v[61:62]
	s_mov_b32 s0, 0
	s_delay_alu instid0(SALU_CYCLE_1)
	v_mov_b32_e32 v136, s0
	v_cndmask_b32_e64 v135, 0, 1, vcc_lo
.LBB1537_474:
	s_or_b32 exec_lo, exec_lo, s23
.LBB1537_475:
	s_delay_alu instid0(SALU_CYCLE_1) | instskip(SKIP_3) | instid1(VALU_DEP_2)
	s_or_b32 exec_lo, exec_lo, s22
	v_dual_mov_b32 v138, v40 :: v_dual_add_nc_u32 v57, 15, v64
	v_mov_b32_e32 v137, v39
	s_mov_b32 s22, exec_lo
	v_cmpx_gt_u32_e64 s3, v57
	s_cbranch_execz .LBB1537_486
; %bb.476:
	v_cmp_ne_u32_e32 vcc_lo, 1, v63
	s_cbranch_vccnz .LBB1537_483
; %bb.477:
	v_mul_lo_u32 v61, v40, s8
	v_mul_lo_u32 v62, v39, s9
	v_mad_u64_u32 v[57:58], null, v39, s8, 0
	v_mul_lo_u32 v65, v38, s8
	v_mul_lo_u32 v66, v37, s9
	v_mad_u64_u32 v[59:60], null, v37, s8, 0
	v_mov_b32_e32 v137, 1
	v_mov_b32_e32 v138, 0
	v_add3_u32 v58, v58, v62, v61
	s_mov_b32 s23, exec_lo
	s_delay_alu instid0(VALU_DEP_4) | instskip(NEXT) | instid1(VALU_DEP_2)
	v_add3_u32 v60, v60, v66, v65
	v_lshlrev_b64 v[57:58], 2, v[57:58]
	s_delay_alu instid0(VALU_DEP_2) | instskip(NEXT) | instid1(VALU_DEP_2)
	v_lshlrev_b64 v[61:62], 2, v[59:60]
	v_add_co_u32 v59, vcc_lo, s10, v57
	s_delay_alu instid0(VALU_DEP_3) | instskip(NEXT) | instid1(VALU_DEP_3)
	v_add_co_ci_u32_e32 v60, vcc_lo, s11, v58, vcc_lo
	v_add_co_u32 v57, vcc_lo, s10, v61
	s_delay_alu instid0(VALU_DEP_4)
	v_add_co_ci_u32_e32 v58, vcc_lo, s11, v62, vcc_lo
	s_clause 0x1
	global_load_b32 v61, v[59:60], off
	global_load_b32 v62, v[57:58], off
	s_waitcnt vmcnt(0)
	v_cmpx_eq_u32_e64 v61, v62
	s_cbranch_execz .LBB1537_485
; %bb.478:
	v_add_co_u32 v57, vcc_lo, v57, 4
	v_add_co_ci_u32_e32 v58, vcc_lo, 0, v58, vcc_lo
	v_add_co_u32 v59, vcc_lo, v59, 4
	v_add_co_ci_u32_e32 v60, vcc_lo, 0, v60, vcc_lo
	s_add_u32 s14, s8, -1
	s_addc_u32 s15, s9, -1
	s_mov_b64 s[20:21], 0
	s_mov_b32 s24, 0
                                        ; implicit-def: $sgpr25
	s_set_inst_prefetch_distance 0x1
	s_branch .LBB1537_481
	.p2align	6
.LBB1537_479:                           ;   in Loop: Header=BB1537_481 Depth=1
	global_load_b32 v61, v[59:60], off
	global_load_b32 v62, v[57:58], off
	v_add_co_u32 v57, vcc_lo, v57, 4
	v_add_co_ci_u32_e32 v58, vcc_lo, 0, v58, vcc_lo
	v_add_co_u32 v59, s0, v59, 4
	s_delay_alu instid0(VALU_DEP_1)
	v_add_co_ci_u32_e64 v60, s0, 0, v60, s0
	s_add_u32 s20, s20, 1
	s_addc_u32 s21, s21, 0
	s_and_not1_b32 s0, s25, exec_lo
	s_waitcnt vmcnt(0)
	v_cmp_ne_u32_e32 vcc_lo, v61, v62
	s_and_b32 s25, vcc_lo, exec_lo
	s_delay_alu instid0(SALU_CYCLE_1)
	s_or_b32 s25, s0, s25
.LBB1537_480:                           ;   in Loop: Header=BB1537_481 Depth=1
	v_dual_mov_b32 v62, s21 :: v_dual_mov_b32 v61, s20
	s_and_b32 s0, exec_lo, s25
	s_delay_alu instid0(SALU_CYCLE_1) | instskip(NEXT) | instid1(SALU_CYCLE_1)
	s_or_b32 s24, s0, s24
	s_and_not1_b32 exec_lo, exec_lo, s24
	s_cbranch_execz .LBB1537_484
.LBB1537_481:                           ; =>This Inner Loop Header: Depth=1
	s_or_b32 s25, s25, exec_lo
	s_cmp_eq_u64 s[14:15], s[20:21]
	s_cbranch_scc0 .LBB1537_479
; %bb.482:                              ;   in Loop: Header=BB1537_481 Depth=1
	s_mov_b64 s[20:21], s[8:9]
                                        ; implicit-def: $vgpr57_vgpr58
                                        ; implicit-def: $vgpr59_vgpr60
	s_branch .LBB1537_480
.LBB1537_483:
	v_mov_b32_e32 v137, 0
	v_mov_b32_e32 v138, 0
	s_branch .LBB1537_486
.LBB1537_484:
	s_set_inst_prefetch_distance 0x2
	s_or_b32 exec_lo, exec_lo, s24
	v_cmp_gt_i64_e32 vcc_lo, s[8:9], v[61:62]
	s_mov_b32 s0, 0
	s_delay_alu instid0(SALU_CYCLE_1)
	v_mov_b32_e32 v138, s0
	v_cndmask_b32_e64 v137, 0, 1, vcc_lo
.LBB1537_485:
	s_or_b32 exec_lo, exec_lo, s23
.LBB1537_486:
	s_delay_alu instid0(SALU_CYCLE_1) | instskip(SKIP_3) | instid1(VALU_DEP_2)
	s_or_b32 exec_lo, exec_lo, s22
	v_dual_mov_b32 v140, v38 :: v_dual_add_nc_u32 v57, 14, v64
	v_mov_b32_e32 v139, v37
	s_mov_b32 s22, exec_lo
	v_cmpx_gt_u32_e64 s3, v57
	s_cbranch_execz .LBB1537_497
; %bb.487:
	v_cmp_ne_u32_e32 vcc_lo, 1, v63
	s_cbranch_vccnz .LBB1537_494
; %bb.488:
	v_mul_lo_u32 v61, v38, s8
	v_mul_lo_u32 v62, v37, s9
	v_mad_u64_u32 v[57:58], null, v37, s8, 0
	v_mul_lo_u32 v65, v36, s8
	v_mul_lo_u32 v66, v35, s9
	v_mad_u64_u32 v[59:60], null, v35, s8, 0
	v_mov_b32_e32 v139, 1
	v_mov_b32_e32 v140, 0
	v_add3_u32 v58, v58, v62, v61
	s_mov_b32 s23, exec_lo
	s_delay_alu instid0(VALU_DEP_4) | instskip(NEXT) | instid1(VALU_DEP_2)
	v_add3_u32 v60, v60, v66, v65
	v_lshlrev_b64 v[57:58], 2, v[57:58]
	s_delay_alu instid0(VALU_DEP_2) | instskip(NEXT) | instid1(VALU_DEP_2)
	v_lshlrev_b64 v[61:62], 2, v[59:60]
	v_add_co_u32 v59, vcc_lo, s10, v57
	s_delay_alu instid0(VALU_DEP_3) | instskip(NEXT) | instid1(VALU_DEP_3)
	v_add_co_ci_u32_e32 v60, vcc_lo, s11, v58, vcc_lo
	v_add_co_u32 v57, vcc_lo, s10, v61
	s_delay_alu instid0(VALU_DEP_4)
	v_add_co_ci_u32_e32 v58, vcc_lo, s11, v62, vcc_lo
	s_clause 0x1
	global_load_b32 v61, v[59:60], off
	global_load_b32 v62, v[57:58], off
	s_waitcnt vmcnt(0)
	v_cmpx_eq_u32_e64 v61, v62
	s_cbranch_execz .LBB1537_496
; %bb.489:
	v_add_co_u32 v57, vcc_lo, v57, 4
	v_add_co_ci_u32_e32 v58, vcc_lo, 0, v58, vcc_lo
	v_add_co_u32 v59, vcc_lo, v59, 4
	v_add_co_ci_u32_e32 v60, vcc_lo, 0, v60, vcc_lo
	s_add_u32 s14, s8, -1
	s_addc_u32 s15, s9, -1
	s_mov_b64 s[20:21], 0
	s_mov_b32 s24, 0
                                        ; implicit-def: $sgpr25
	s_set_inst_prefetch_distance 0x1
	s_branch .LBB1537_492
	.p2align	6
.LBB1537_490:                           ;   in Loop: Header=BB1537_492 Depth=1
	global_load_b32 v61, v[59:60], off
	global_load_b32 v62, v[57:58], off
	v_add_co_u32 v57, vcc_lo, v57, 4
	v_add_co_ci_u32_e32 v58, vcc_lo, 0, v58, vcc_lo
	v_add_co_u32 v59, s0, v59, 4
	s_delay_alu instid0(VALU_DEP_1)
	v_add_co_ci_u32_e64 v60, s0, 0, v60, s0
	s_add_u32 s20, s20, 1
	s_addc_u32 s21, s21, 0
	s_and_not1_b32 s0, s25, exec_lo
	s_waitcnt vmcnt(0)
	v_cmp_ne_u32_e32 vcc_lo, v61, v62
	s_and_b32 s25, vcc_lo, exec_lo
	s_delay_alu instid0(SALU_CYCLE_1)
	s_or_b32 s25, s0, s25
.LBB1537_491:                           ;   in Loop: Header=BB1537_492 Depth=1
	v_dual_mov_b32 v62, s21 :: v_dual_mov_b32 v61, s20
	s_and_b32 s0, exec_lo, s25
	s_delay_alu instid0(SALU_CYCLE_1) | instskip(NEXT) | instid1(SALU_CYCLE_1)
	s_or_b32 s24, s0, s24
	s_and_not1_b32 exec_lo, exec_lo, s24
	s_cbranch_execz .LBB1537_495
.LBB1537_492:                           ; =>This Inner Loop Header: Depth=1
	s_or_b32 s25, s25, exec_lo
	s_cmp_eq_u64 s[14:15], s[20:21]
	s_cbranch_scc0 .LBB1537_490
; %bb.493:                              ;   in Loop: Header=BB1537_492 Depth=1
	s_mov_b64 s[20:21], s[8:9]
                                        ; implicit-def: $vgpr57_vgpr58
                                        ; implicit-def: $vgpr59_vgpr60
	s_branch .LBB1537_491
.LBB1537_494:
	v_mov_b32_e32 v139, 0
	v_mov_b32_e32 v140, 0
	s_branch .LBB1537_497
.LBB1537_495:
	s_set_inst_prefetch_distance 0x2
	s_or_b32 exec_lo, exec_lo, s24
	v_cmp_gt_i64_e32 vcc_lo, s[8:9], v[61:62]
	s_mov_b32 s0, 0
	s_delay_alu instid0(SALU_CYCLE_1)
	v_mov_b32_e32 v140, s0
	v_cndmask_b32_e64 v139, 0, 1, vcc_lo
.LBB1537_496:
	s_or_b32 exec_lo, exec_lo, s23
.LBB1537_497:
	s_delay_alu instid0(SALU_CYCLE_1) | instskip(SKIP_3) | instid1(VALU_DEP_2)
	s_or_b32 exec_lo, exec_lo, s22
	v_dual_mov_b32 v142, v36 :: v_dual_add_nc_u32 v57, 13, v64
	v_mov_b32_e32 v141, v35
	s_mov_b32 s22, exec_lo
	v_cmpx_gt_u32_e64 s3, v57
	s_cbranch_execz .LBB1537_508
; %bb.498:
	v_cmp_ne_u32_e32 vcc_lo, 1, v63
	s_cbranch_vccnz .LBB1537_505
; %bb.499:
	v_mul_lo_u32 v61, v36, s8
	v_mul_lo_u32 v62, v35, s9
	v_mad_u64_u32 v[57:58], null, v35, s8, 0
	v_mul_lo_u32 v65, v34, s8
	v_mul_lo_u32 v66, v33, s9
	v_mad_u64_u32 v[59:60], null, v33, s8, 0
	v_mov_b32_e32 v141, 1
	v_mov_b32_e32 v142, 0
	v_add3_u32 v58, v58, v62, v61
	s_mov_b32 s23, exec_lo
	s_delay_alu instid0(VALU_DEP_4) | instskip(NEXT) | instid1(VALU_DEP_2)
	v_add3_u32 v60, v60, v66, v65
	v_lshlrev_b64 v[57:58], 2, v[57:58]
	s_delay_alu instid0(VALU_DEP_2) | instskip(NEXT) | instid1(VALU_DEP_2)
	v_lshlrev_b64 v[61:62], 2, v[59:60]
	v_add_co_u32 v59, vcc_lo, s10, v57
	s_delay_alu instid0(VALU_DEP_3) | instskip(NEXT) | instid1(VALU_DEP_3)
	v_add_co_ci_u32_e32 v60, vcc_lo, s11, v58, vcc_lo
	v_add_co_u32 v57, vcc_lo, s10, v61
	s_delay_alu instid0(VALU_DEP_4)
	v_add_co_ci_u32_e32 v58, vcc_lo, s11, v62, vcc_lo
	s_clause 0x1
	global_load_b32 v61, v[59:60], off
	global_load_b32 v62, v[57:58], off
	s_waitcnt vmcnt(0)
	v_cmpx_eq_u32_e64 v61, v62
	s_cbranch_execz .LBB1537_507
; %bb.500:
	v_add_co_u32 v57, vcc_lo, v57, 4
	v_add_co_ci_u32_e32 v58, vcc_lo, 0, v58, vcc_lo
	v_add_co_u32 v59, vcc_lo, v59, 4
	v_add_co_ci_u32_e32 v60, vcc_lo, 0, v60, vcc_lo
	s_add_u32 s14, s8, -1
	s_addc_u32 s15, s9, -1
	s_mov_b64 s[20:21], 0
	s_mov_b32 s24, 0
                                        ; implicit-def: $sgpr25
	s_set_inst_prefetch_distance 0x1
	s_branch .LBB1537_503
	.p2align	6
.LBB1537_501:                           ;   in Loop: Header=BB1537_503 Depth=1
	global_load_b32 v61, v[59:60], off
	global_load_b32 v62, v[57:58], off
	v_add_co_u32 v57, vcc_lo, v57, 4
	v_add_co_ci_u32_e32 v58, vcc_lo, 0, v58, vcc_lo
	v_add_co_u32 v59, s0, v59, 4
	s_delay_alu instid0(VALU_DEP_1)
	v_add_co_ci_u32_e64 v60, s0, 0, v60, s0
	s_add_u32 s20, s20, 1
	s_addc_u32 s21, s21, 0
	s_and_not1_b32 s0, s25, exec_lo
	s_waitcnt vmcnt(0)
	v_cmp_ne_u32_e32 vcc_lo, v61, v62
	s_and_b32 s25, vcc_lo, exec_lo
	s_delay_alu instid0(SALU_CYCLE_1)
	s_or_b32 s25, s0, s25
.LBB1537_502:                           ;   in Loop: Header=BB1537_503 Depth=1
	v_dual_mov_b32 v62, s21 :: v_dual_mov_b32 v61, s20
	s_and_b32 s0, exec_lo, s25
	s_delay_alu instid0(SALU_CYCLE_1) | instskip(NEXT) | instid1(SALU_CYCLE_1)
	s_or_b32 s24, s0, s24
	s_and_not1_b32 exec_lo, exec_lo, s24
	s_cbranch_execz .LBB1537_506
.LBB1537_503:                           ; =>This Inner Loop Header: Depth=1
	s_or_b32 s25, s25, exec_lo
	s_cmp_eq_u64 s[14:15], s[20:21]
	s_cbranch_scc0 .LBB1537_501
; %bb.504:                              ;   in Loop: Header=BB1537_503 Depth=1
	s_mov_b64 s[20:21], s[8:9]
                                        ; implicit-def: $vgpr57_vgpr58
                                        ; implicit-def: $vgpr59_vgpr60
	s_branch .LBB1537_502
.LBB1537_505:
	v_mov_b32_e32 v141, 0
	v_mov_b32_e32 v142, 0
	s_branch .LBB1537_508
.LBB1537_506:
	s_set_inst_prefetch_distance 0x2
	s_or_b32 exec_lo, exec_lo, s24
	v_cmp_gt_i64_e32 vcc_lo, s[8:9], v[61:62]
	s_mov_b32 s0, 0
	s_delay_alu instid0(SALU_CYCLE_1)
	v_mov_b32_e32 v142, s0
	v_cndmask_b32_e64 v141, 0, 1, vcc_lo
.LBB1537_507:
	s_or_b32 exec_lo, exec_lo, s23
.LBB1537_508:
	s_delay_alu instid0(SALU_CYCLE_1) | instskip(SKIP_3) | instid1(VALU_DEP_2)
	s_or_b32 exec_lo, exec_lo, s22
	v_dual_mov_b32 v144, v34 :: v_dual_add_nc_u32 v57, 12, v64
	v_mov_b32_e32 v143, v33
	s_mov_b32 s22, exec_lo
	v_cmpx_gt_u32_e64 s3, v57
	s_cbranch_execz .LBB1537_519
; %bb.509:
	v_cmp_ne_u32_e32 vcc_lo, 1, v63
	s_cbranch_vccnz .LBB1537_516
; %bb.510:
	v_mul_lo_u32 v61, v34, s8
	v_mul_lo_u32 v62, v33, s9
	v_mad_u64_u32 v[57:58], null, v33, s8, 0
	v_mul_lo_u32 v65, v32, s8
	v_mul_lo_u32 v66, v31, s9
	v_mad_u64_u32 v[59:60], null, v31, s8, 0
	v_mov_b32_e32 v143, 1
	v_mov_b32_e32 v144, 0
	v_add3_u32 v58, v58, v62, v61
	s_mov_b32 s23, exec_lo
	s_delay_alu instid0(VALU_DEP_4) | instskip(NEXT) | instid1(VALU_DEP_2)
	v_add3_u32 v60, v60, v66, v65
	v_lshlrev_b64 v[57:58], 2, v[57:58]
	s_delay_alu instid0(VALU_DEP_2) | instskip(NEXT) | instid1(VALU_DEP_2)
	v_lshlrev_b64 v[61:62], 2, v[59:60]
	v_add_co_u32 v59, vcc_lo, s10, v57
	s_delay_alu instid0(VALU_DEP_3) | instskip(NEXT) | instid1(VALU_DEP_3)
	v_add_co_ci_u32_e32 v60, vcc_lo, s11, v58, vcc_lo
	v_add_co_u32 v57, vcc_lo, s10, v61
	s_delay_alu instid0(VALU_DEP_4)
	v_add_co_ci_u32_e32 v58, vcc_lo, s11, v62, vcc_lo
	s_clause 0x1
	global_load_b32 v61, v[59:60], off
	global_load_b32 v62, v[57:58], off
	s_waitcnt vmcnt(0)
	v_cmpx_eq_u32_e64 v61, v62
	s_cbranch_execz .LBB1537_518
; %bb.511:
	v_add_co_u32 v57, vcc_lo, v57, 4
	v_add_co_ci_u32_e32 v58, vcc_lo, 0, v58, vcc_lo
	v_add_co_u32 v59, vcc_lo, v59, 4
	v_add_co_ci_u32_e32 v60, vcc_lo, 0, v60, vcc_lo
	s_add_u32 s14, s8, -1
	s_addc_u32 s15, s9, -1
	s_mov_b64 s[20:21], 0
	s_mov_b32 s24, 0
                                        ; implicit-def: $sgpr25
	s_set_inst_prefetch_distance 0x1
	s_branch .LBB1537_514
	.p2align	6
.LBB1537_512:                           ;   in Loop: Header=BB1537_514 Depth=1
	global_load_b32 v61, v[59:60], off
	global_load_b32 v62, v[57:58], off
	v_add_co_u32 v57, vcc_lo, v57, 4
	v_add_co_ci_u32_e32 v58, vcc_lo, 0, v58, vcc_lo
	v_add_co_u32 v59, s0, v59, 4
	s_delay_alu instid0(VALU_DEP_1)
	v_add_co_ci_u32_e64 v60, s0, 0, v60, s0
	s_add_u32 s20, s20, 1
	s_addc_u32 s21, s21, 0
	s_and_not1_b32 s0, s25, exec_lo
	s_waitcnt vmcnt(0)
	v_cmp_ne_u32_e32 vcc_lo, v61, v62
	s_and_b32 s25, vcc_lo, exec_lo
	s_delay_alu instid0(SALU_CYCLE_1)
	s_or_b32 s25, s0, s25
.LBB1537_513:                           ;   in Loop: Header=BB1537_514 Depth=1
	v_dual_mov_b32 v62, s21 :: v_dual_mov_b32 v61, s20
	s_and_b32 s0, exec_lo, s25
	s_delay_alu instid0(SALU_CYCLE_1) | instskip(NEXT) | instid1(SALU_CYCLE_1)
	s_or_b32 s24, s0, s24
	s_and_not1_b32 exec_lo, exec_lo, s24
	s_cbranch_execz .LBB1537_517
.LBB1537_514:                           ; =>This Inner Loop Header: Depth=1
	s_or_b32 s25, s25, exec_lo
	s_cmp_eq_u64 s[14:15], s[20:21]
	s_cbranch_scc0 .LBB1537_512
; %bb.515:                              ;   in Loop: Header=BB1537_514 Depth=1
	s_mov_b64 s[20:21], s[8:9]
                                        ; implicit-def: $vgpr57_vgpr58
                                        ; implicit-def: $vgpr59_vgpr60
	s_branch .LBB1537_513
.LBB1537_516:
	v_mov_b32_e32 v143, 0
	v_mov_b32_e32 v144, 0
	s_branch .LBB1537_519
.LBB1537_517:
	s_set_inst_prefetch_distance 0x2
	s_or_b32 exec_lo, exec_lo, s24
	v_cmp_gt_i64_e32 vcc_lo, s[8:9], v[61:62]
	s_mov_b32 s0, 0
	s_delay_alu instid0(SALU_CYCLE_1)
	v_mov_b32_e32 v144, s0
	v_cndmask_b32_e64 v143, 0, 1, vcc_lo
.LBB1537_518:
	s_or_b32 exec_lo, exec_lo, s23
.LBB1537_519:
	s_delay_alu instid0(SALU_CYCLE_1) | instskip(SKIP_3) | instid1(VALU_DEP_2)
	s_or_b32 exec_lo, exec_lo, s22
	v_dual_mov_b32 v146, v32 :: v_dual_add_nc_u32 v57, 11, v64
	v_mov_b32_e32 v145, v31
	s_mov_b32 s22, exec_lo
	v_cmpx_gt_u32_e64 s3, v57
	s_cbranch_execz .LBB1537_530
; %bb.520:
	v_cmp_ne_u32_e32 vcc_lo, 1, v63
	s_cbranch_vccnz .LBB1537_527
; %bb.521:
	v_mul_lo_u32 v61, v32, s8
	v_mul_lo_u32 v62, v31, s9
	v_mad_u64_u32 v[57:58], null, v31, s8, 0
	v_mul_lo_u32 v65, v30, s8
	v_mul_lo_u32 v66, v29, s9
	v_mad_u64_u32 v[59:60], null, v29, s8, 0
	v_mov_b32_e32 v145, 1
	v_mov_b32_e32 v146, 0
	v_add3_u32 v58, v58, v62, v61
	s_mov_b32 s23, exec_lo
	s_delay_alu instid0(VALU_DEP_4) | instskip(NEXT) | instid1(VALU_DEP_2)
	v_add3_u32 v60, v60, v66, v65
	v_lshlrev_b64 v[57:58], 2, v[57:58]
	s_delay_alu instid0(VALU_DEP_2) | instskip(NEXT) | instid1(VALU_DEP_2)
	v_lshlrev_b64 v[61:62], 2, v[59:60]
	v_add_co_u32 v59, vcc_lo, s10, v57
	s_delay_alu instid0(VALU_DEP_3) | instskip(NEXT) | instid1(VALU_DEP_3)
	v_add_co_ci_u32_e32 v60, vcc_lo, s11, v58, vcc_lo
	v_add_co_u32 v57, vcc_lo, s10, v61
	s_delay_alu instid0(VALU_DEP_4)
	v_add_co_ci_u32_e32 v58, vcc_lo, s11, v62, vcc_lo
	s_clause 0x1
	global_load_b32 v61, v[59:60], off
	global_load_b32 v62, v[57:58], off
	s_waitcnt vmcnt(0)
	v_cmpx_eq_u32_e64 v61, v62
	s_cbranch_execz .LBB1537_529
; %bb.522:
	v_add_co_u32 v57, vcc_lo, v57, 4
	v_add_co_ci_u32_e32 v58, vcc_lo, 0, v58, vcc_lo
	v_add_co_u32 v59, vcc_lo, v59, 4
	v_add_co_ci_u32_e32 v60, vcc_lo, 0, v60, vcc_lo
	s_add_u32 s14, s8, -1
	s_addc_u32 s15, s9, -1
	s_mov_b64 s[20:21], 0
	s_mov_b32 s24, 0
                                        ; implicit-def: $sgpr25
	s_set_inst_prefetch_distance 0x1
	s_branch .LBB1537_525
	.p2align	6
.LBB1537_523:                           ;   in Loop: Header=BB1537_525 Depth=1
	global_load_b32 v61, v[59:60], off
	global_load_b32 v62, v[57:58], off
	v_add_co_u32 v57, vcc_lo, v57, 4
	v_add_co_ci_u32_e32 v58, vcc_lo, 0, v58, vcc_lo
	v_add_co_u32 v59, s0, v59, 4
	s_delay_alu instid0(VALU_DEP_1)
	v_add_co_ci_u32_e64 v60, s0, 0, v60, s0
	s_add_u32 s20, s20, 1
	s_addc_u32 s21, s21, 0
	s_and_not1_b32 s0, s25, exec_lo
	s_waitcnt vmcnt(0)
	v_cmp_ne_u32_e32 vcc_lo, v61, v62
	s_and_b32 s25, vcc_lo, exec_lo
	s_delay_alu instid0(SALU_CYCLE_1)
	s_or_b32 s25, s0, s25
.LBB1537_524:                           ;   in Loop: Header=BB1537_525 Depth=1
	v_dual_mov_b32 v62, s21 :: v_dual_mov_b32 v61, s20
	s_and_b32 s0, exec_lo, s25
	s_delay_alu instid0(SALU_CYCLE_1) | instskip(NEXT) | instid1(SALU_CYCLE_1)
	s_or_b32 s24, s0, s24
	s_and_not1_b32 exec_lo, exec_lo, s24
	s_cbranch_execz .LBB1537_528
.LBB1537_525:                           ; =>This Inner Loop Header: Depth=1
	s_or_b32 s25, s25, exec_lo
	s_cmp_eq_u64 s[14:15], s[20:21]
	s_cbranch_scc0 .LBB1537_523
; %bb.526:                              ;   in Loop: Header=BB1537_525 Depth=1
	s_mov_b64 s[20:21], s[8:9]
                                        ; implicit-def: $vgpr57_vgpr58
                                        ; implicit-def: $vgpr59_vgpr60
	s_branch .LBB1537_524
.LBB1537_527:
	v_mov_b32_e32 v145, 0
	v_mov_b32_e32 v146, 0
	s_branch .LBB1537_530
.LBB1537_528:
	s_set_inst_prefetch_distance 0x2
	s_or_b32 exec_lo, exec_lo, s24
	v_cmp_gt_i64_e32 vcc_lo, s[8:9], v[61:62]
	s_mov_b32 s0, 0
	s_delay_alu instid0(SALU_CYCLE_1)
	v_mov_b32_e32 v146, s0
	v_cndmask_b32_e64 v145, 0, 1, vcc_lo
.LBB1537_529:
	s_or_b32 exec_lo, exec_lo, s23
.LBB1537_530:
	s_delay_alu instid0(SALU_CYCLE_1) | instskip(SKIP_3) | instid1(VALU_DEP_2)
	s_or_b32 exec_lo, exec_lo, s22
	v_dual_mov_b32 v148, v30 :: v_dual_add_nc_u32 v57, 10, v64
	v_mov_b32_e32 v147, v29
	s_mov_b32 s22, exec_lo
	v_cmpx_gt_u32_e64 s3, v57
	s_cbranch_execz .LBB1537_541
; %bb.531:
	v_cmp_ne_u32_e32 vcc_lo, 1, v63
	s_cbranch_vccnz .LBB1537_538
; %bb.532:
	v_mul_lo_u32 v61, v30, s8
	v_mul_lo_u32 v62, v29, s9
	v_mad_u64_u32 v[57:58], null, v29, s8, 0
	v_mul_lo_u32 v65, v28, s8
	v_mul_lo_u32 v66, v27, s9
	v_mad_u64_u32 v[59:60], null, v27, s8, 0
	v_mov_b32_e32 v147, 1
	v_mov_b32_e32 v148, 0
	v_add3_u32 v58, v58, v62, v61
	s_mov_b32 s23, exec_lo
	s_delay_alu instid0(VALU_DEP_4) | instskip(NEXT) | instid1(VALU_DEP_2)
	v_add3_u32 v60, v60, v66, v65
	v_lshlrev_b64 v[57:58], 2, v[57:58]
	s_delay_alu instid0(VALU_DEP_2) | instskip(NEXT) | instid1(VALU_DEP_2)
	v_lshlrev_b64 v[61:62], 2, v[59:60]
	v_add_co_u32 v59, vcc_lo, s10, v57
	s_delay_alu instid0(VALU_DEP_3) | instskip(NEXT) | instid1(VALU_DEP_3)
	v_add_co_ci_u32_e32 v60, vcc_lo, s11, v58, vcc_lo
	v_add_co_u32 v57, vcc_lo, s10, v61
	s_delay_alu instid0(VALU_DEP_4)
	v_add_co_ci_u32_e32 v58, vcc_lo, s11, v62, vcc_lo
	s_clause 0x1
	global_load_b32 v61, v[59:60], off
	global_load_b32 v62, v[57:58], off
	s_waitcnt vmcnt(0)
	v_cmpx_eq_u32_e64 v61, v62
	s_cbranch_execz .LBB1537_540
; %bb.533:
	v_add_co_u32 v57, vcc_lo, v57, 4
	v_add_co_ci_u32_e32 v58, vcc_lo, 0, v58, vcc_lo
	v_add_co_u32 v59, vcc_lo, v59, 4
	v_add_co_ci_u32_e32 v60, vcc_lo, 0, v60, vcc_lo
	s_add_u32 s14, s8, -1
	s_addc_u32 s15, s9, -1
	s_mov_b64 s[20:21], 0
	s_mov_b32 s24, 0
                                        ; implicit-def: $sgpr25
	s_set_inst_prefetch_distance 0x1
	s_branch .LBB1537_536
	.p2align	6
.LBB1537_534:                           ;   in Loop: Header=BB1537_536 Depth=1
	global_load_b32 v61, v[59:60], off
	global_load_b32 v62, v[57:58], off
	v_add_co_u32 v57, vcc_lo, v57, 4
	v_add_co_ci_u32_e32 v58, vcc_lo, 0, v58, vcc_lo
	v_add_co_u32 v59, s0, v59, 4
	s_delay_alu instid0(VALU_DEP_1)
	v_add_co_ci_u32_e64 v60, s0, 0, v60, s0
	s_add_u32 s20, s20, 1
	s_addc_u32 s21, s21, 0
	s_and_not1_b32 s0, s25, exec_lo
	s_waitcnt vmcnt(0)
	v_cmp_ne_u32_e32 vcc_lo, v61, v62
	s_and_b32 s25, vcc_lo, exec_lo
	s_delay_alu instid0(SALU_CYCLE_1)
	s_or_b32 s25, s0, s25
.LBB1537_535:                           ;   in Loop: Header=BB1537_536 Depth=1
	v_dual_mov_b32 v62, s21 :: v_dual_mov_b32 v61, s20
	s_and_b32 s0, exec_lo, s25
	s_delay_alu instid0(SALU_CYCLE_1) | instskip(NEXT) | instid1(SALU_CYCLE_1)
	s_or_b32 s24, s0, s24
	s_and_not1_b32 exec_lo, exec_lo, s24
	s_cbranch_execz .LBB1537_539
.LBB1537_536:                           ; =>This Inner Loop Header: Depth=1
	s_or_b32 s25, s25, exec_lo
	s_cmp_eq_u64 s[14:15], s[20:21]
	s_cbranch_scc0 .LBB1537_534
; %bb.537:                              ;   in Loop: Header=BB1537_536 Depth=1
	s_mov_b64 s[20:21], s[8:9]
                                        ; implicit-def: $vgpr57_vgpr58
                                        ; implicit-def: $vgpr59_vgpr60
	s_branch .LBB1537_535
.LBB1537_538:
	v_mov_b32_e32 v147, 0
	v_mov_b32_e32 v148, 0
	s_branch .LBB1537_541
.LBB1537_539:
	s_set_inst_prefetch_distance 0x2
	s_or_b32 exec_lo, exec_lo, s24
	v_cmp_gt_i64_e32 vcc_lo, s[8:9], v[61:62]
	s_mov_b32 s0, 0
	s_delay_alu instid0(SALU_CYCLE_1)
	v_mov_b32_e32 v148, s0
	v_cndmask_b32_e64 v147, 0, 1, vcc_lo
.LBB1537_540:
	s_or_b32 exec_lo, exec_lo, s23
.LBB1537_541:
	s_delay_alu instid0(SALU_CYCLE_1) | instskip(SKIP_3) | instid1(VALU_DEP_2)
	s_or_b32 exec_lo, exec_lo, s22
	v_dual_mov_b32 v150, v28 :: v_dual_add_nc_u32 v57, 9, v64
	v_mov_b32_e32 v149, v27
	s_mov_b32 s22, exec_lo
	v_cmpx_gt_u32_e64 s3, v57
	s_cbranch_execz .LBB1537_552
; %bb.542:
	v_cmp_ne_u32_e32 vcc_lo, 1, v63
	s_cbranch_vccnz .LBB1537_549
; %bb.543:
	v_mul_lo_u32 v61, v28, s8
	v_mul_lo_u32 v62, v27, s9
	v_mad_u64_u32 v[57:58], null, v27, s8, 0
	v_mul_lo_u32 v65, v26, s8
	v_mul_lo_u32 v66, v25, s9
	v_mad_u64_u32 v[59:60], null, v25, s8, 0
	v_mov_b32_e32 v149, 1
	v_mov_b32_e32 v150, 0
	v_add3_u32 v58, v58, v62, v61
	s_mov_b32 s23, exec_lo
	s_delay_alu instid0(VALU_DEP_4) | instskip(NEXT) | instid1(VALU_DEP_2)
	v_add3_u32 v60, v60, v66, v65
	v_lshlrev_b64 v[57:58], 2, v[57:58]
	s_delay_alu instid0(VALU_DEP_2) | instskip(NEXT) | instid1(VALU_DEP_2)
	v_lshlrev_b64 v[61:62], 2, v[59:60]
	v_add_co_u32 v59, vcc_lo, s10, v57
	s_delay_alu instid0(VALU_DEP_3) | instskip(NEXT) | instid1(VALU_DEP_3)
	v_add_co_ci_u32_e32 v60, vcc_lo, s11, v58, vcc_lo
	v_add_co_u32 v57, vcc_lo, s10, v61
	s_delay_alu instid0(VALU_DEP_4)
	v_add_co_ci_u32_e32 v58, vcc_lo, s11, v62, vcc_lo
	s_clause 0x1
	global_load_b32 v61, v[59:60], off
	global_load_b32 v62, v[57:58], off
	s_waitcnt vmcnt(0)
	v_cmpx_eq_u32_e64 v61, v62
	s_cbranch_execz .LBB1537_551
; %bb.544:
	v_add_co_u32 v57, vcc_lo, v57, 4
	v_add_co_ci_u32_e32 v58, vcc_lo, 0, v58, vcc_lo
	v_add_co_u32 v59, vcc_lo, v59, 4
	v_add_co_ci_u32_e32 v60, vcc_lo, 0, v60, vcc_lo
	s_add_u32 s14, s8, -1
	s_addc_u32 s15, s9, -1
	s_mov_b64 s[20:21], 0
	s_mov_b32 s24, 0
                                        ; implicit-def: $sgpr25
	s_set_inst_prefetch_distance 0x1
	s_branch .LBB1537_547
	.p2align	6
.LBB1537_545:                           ;   in Loop: Header=BB1537_547 Depth=1
	global_load_b32 v61, v[59:60], off
	global_load_b32 v62, v[57:58], off
	v_add_co_u32 v57, vcc_lo, v57, 4
	v_add_co_ci_u32_e32 v58, vcc_lo, 0, v58, vcc_lo
	v_add_co_u32 v59, s0, v59, 4
	s_delay_alu instid0(VALU_DEP_1)
	v_add_co_ci_u32_e64 v60, s0, 0, v60, s0
	s_add_u32 s20, s20, 1
	s_addc_u32 s21, s21, 0
	s_and_not1_b32 s0, s25, exec_lo
	s_waitcnt vmcnt(0)
	v_cmp_ne_u32_e32 vcc_lo, v61, v62
	s_and_b32 s25, vcc_lo, exec_lo
	s_delay_alu instid0(SALU_CYCLE_1)
	s_or_b32 s25, s0, s25
.LBB1537_546:                           ;   in Loop: Header=BB1537_547 Depth=1
	v_dual_mov_b32 v62, s21 :: v_dual_mov_b32 v61, s20
	s_and_b32 s0, exec_lo, s25
	s_delay_alu instid0(SALU_CYCLE_1) | instskip(NEXT) | instid1(SALU_CYCLE_1)
	s_or_b32 s24, s0, s24
	s_and_not1_b32 exec_lo, exec_lo, s24
	s_cbranch_execz .LBB1537_550
.LBB1537_547:                           ; =>This Inner Loop Header: Depth=1
	s_or_b32 s25, s25, exec_lo
	s_cmp_eq_u64 s[14:15], s[20:21]
	s_cbranch_scc0 .LBB1537_545
; %bb.548:                              ;   in Loop: Header=BB1537_547 Depth=1
	s_mov_b64 s[20:21], s[8:9]
                                        ; implicit-def: $vgpr57_vgpr58
                                        ; implicit-def: $vgpr59_vgpr60
	s_branch .LBB1537_546
.LBB1537_549:
	v_mov_b32_e32 v149, 0
	v_mov_b32_e32 v150, 0
	s_branch .LBB1537_552
.LBB1537_550:
	s_set_inst_prefetch_distance 0x2
	s_or_b32 exec_lo, exec_lo, s24
	v_cmp_gt_i64_e32 vcc_lo, s[8:9], v[61:62]
	s_mov_b32 s0, 0
	s_delay_alu instid0(SALU_CYCLE_1)
	v_mov_b32_e32 v150, s0
	v_cndmask_b32_e64 v149, 0, 1, vcc_lo
.LBB1537_551:
	s_or_b32 exec_lo, exec_lo, s23
.LBB1537_552:
	s_delay_alu instid0(SALU_CYCLE_1) | instskip(SKIP_3) | instid1(VALU_DEP_2)
	s_or_b32 exec_lo, exec_lo, s22
	v_dual_mov_b32 v152, v26 :: v_dual_add_nc_u32 v57, 8, v64
	v_mov_b32_e32 v151, v25
	s_mov_b32 s22, exec_lo
	v_cmpx_gt_u32_e64 s3, v57
	s_cbranch_execz .LBB1537_563
; %bb.553:
	v_cmp_ne_u32_e32 vcc_lo, 1, v63
	s_cbranch_vccnz .LBB1537_560
; %bb.554:
	v_mul_lo_u32 v61, v26, s8
	v_mul_lo_u32 v62, v25, s9
	v_mad_u64_u32 v[57:58], null, v25, s8, 0
	v_mul_lo_u32 v65, v24, s8
	v_mul_lo_u32 v66, v23, s9
	v_mad_u64_u32 v[59:60], null, v23, s8, 0
	v_mov_b32_e32 v151, 1
	v_mov_b32_e32 v152, 0
	v_add3_u32 v58, v58, v62, v61
	s_mov_b32 s23, exec_lo
	s_delay_alu instid0(VALU_DEP_4) | instskip(NEXT) | instid1(VALU_DEP_2)
	v_add3_u32 v60, v60, v66, v65
	v_lshlrev_b64 v[57:58], 2, v[57:58]
	s_delay_alu instid0(VALU_DEP_2) | instskip(NEXT) | instid1(VALU_DEP_2)
	v_lshlrev_b64 v[61:62], 2, v[59:60]
	v_add_co_u32 v59, vcc_lo, s10, v57
	s_delay_alu instid0(VALU_DEP_3) | instskip(NEXT) | instid1(VALU_DEP_3)
	v_add_co_ci_u32_e32 v60, vcc_lo, s11, v58, vcc_lo
	v_add_co_u32 v57, vcc_lo, s10, v61
	s_delay_alu instid0(VALU_DEP_4)
	v_add_co_ci_u32_e32 v58, vcc_lo, s11, v62, vcc_lo
	s_clause 0x1
	global_load_b32 v61, v[59:60], off
	global_load_b32 v62, v[57:58], off
	s_waitcnt vmcnt(0)
	v_cmpx_eq_u32_e64 v61, v62
	s_cbranch_execz .LBB1537_562
; %bb.555:
	v_add_co_u32 v57, vcc_lo, v57, 4
	v_add_co_ci_u32_e32 v58, vcc_lo, 0, v58, vcc_lo
	v_add_co_u32 v59, vcc_lo, v59, 4
	v_add_co_ci_u32_e32 v60, vcc_lo, 0, v60, vcc_lo
	s_add_u32 s14, s8, -1
	s_addc_u32 s15, s9, -1
	s_mov_b64 s[20:21], 0
	s_mov_b32 s24, 0
                                        ; implicit-def: $sgpr25
	s_set_inst_prefetch_distance 0x1
	s_branch .LBB1537_558
	.p2align	6
.LBB1537_556:                           ;   in Loop: Header=BB1537_558 Depth=1
	global_load_b32 v61, v[59:60], off
	global_load_b32 v62, v[57:58], off
	v_add_co_u32 v57, vcc_lo, v57, 4
	v_add_co_ci_u32_e32 v58, vcc_lo, 0, v58, vcc_lo
	v_add_co_u32 v59, s0, v59, 4
	s_delay_alu instid0(VALU_DEP_1)
	v_add_co_ci_u32_e64 v60, s0, 0, v60, s0
	s_add_u32 s20, s20, 1
	s_addc_u32 s21, s21, 0
	s_and_not1_b32 s0, s25, exec_lo
	s_waitcnt vmcnt(0)
	v_cmp_ne_u32_e32 vcc_lo, v61, v62
	s_and_b32 s25, vcc_lo, exec_lo
	s_delay_alu instid0(SALU_CYCLE_1)
	s_or_b32 s25, s0, s25
.LBB1537_557:                           ;   in Loop: Header=BB1537_558 Depth=1
	v_dual_mov_b32 v62, s21 :: v_dual_mov_b32 v61, s20
	s_and_b32 s0, exec_lo, s25
	s_delay_alu instid0(SALU_CYCLE_1) | instskip(NEXT) | instid1(SALU_CYCLE_1)
	s_or_b32 s24, s0, s24
	s_and_not1_b32 exec_lo, exec_lo, s24
	s_cbranch_execz .LBB1537_561
.LBB1537_558:                           ; =>This Inner Loop Header: Depth=1
	s_or_b32 s25, s25, exec_lo
	s_cmp_eq_u64 s[14:15], s[20:21]
	s_cbranch_scc0 .LBB1537_556
; %bb.559:                              ;   in Loop: Header=BB1537_558 Depth=1
	s_mov_b64 s[20:21], s[8:9]
                                        ; implicit-def: $vgpr57_vgpr58
                                        ; implicit-def: $vgpr59_vgpr60
	s_branch .LBB1537_557
.LBB1537_560:
	v_mov_b32_e32 v151, 0
	v_mov_b32_e32 v152, 0
	s_branch .LBB1537_563
.LBB1537_561:
	s_set_inst_prefetch_distance 0x2
	s_or_b32 exec_lo, exec_lo, s24
	v_cmp_gt_i64_e32 vcc_lo, s[8:9], v[61:62]
	s_mov_b32 s0, 0
	s_delay_alu instid0(SALU_CYCLE_1)
	v_mov_b32_e32 v152, s0
	v_cndmask_b32_e64 v151, 0, 1, vcc_lo
.LBB1537_562:
	s_or_b32 exec_lo, exec_lo, s23
.LBB1537_563:
	s_delay_alu instid0(SALU_CYCLE_1) | instskip(SKIP_3) | instid1(VALU_DEP_2)
	s_or_b32 exec_lo, exec_lo, s22
	v_dual_mov_b32 v154, v24 :: v_dual_add_nc_u32 v57, 7, v64
	v_mov_b32_e32 v153, v23
	s_mov_b32 s22, exec_lo
	v_cmpx_gt_u32_e64 s3, v57
	s_cbranch_execz .LBB1537_574
; %bb.564:
	v_cmp_ne_u32_e32 vcc_lo, 1, v63
	s_cbranch_vccnz .LBB1537_571
; %bb.565:
	v_mul_lo_u32 v61, v24, s8
	v_mul_lo_u32 v62, v23, s9
	v_mad_u64_u32 v[57:58], null, v23, s8, 0
	v_mul_lo_u32 v65, v22, s8
	v_mul_lo_u32 v66, v21, s9
	v_mad_u64_u32 v[59:60], null, v21, s8, 0
	v_mov_b32_e32 v153, 1
	v_mov_b32_e32 v154, 0
	v_add3_u32 v58, v58, v62, v61
	s_mov_b32 s23, exec_lo
	s_delay_alu instid0(VALU_DEP_4) | instskip(NEXT) | instid1(VALU_DEP_2)
	v_add3_u32 v60, v60, v66, v65
	v_lshlrev_b64 v[57:58], 2, v[57:58]
	s_delay_alu instid0(VALU_DEP_2) | instskip(NEXT) | instid1(VALU_DEP_2)
	v_lshlrev_b64 v[61:62], 2, v[59:60]
	v_add_co_u32 v59, vcc_lo, s10, v57
	s_delay_alu instid0(VALU_DEP_3) | instskip(NEXT) | instid1(VALU_DEP_3)
	v_add_co_ci_u32_e32 v60, vcc_lo, s11, v58, vcc_lo
	v_add_co_u32 v57, vcc_lo, s10, v61
	s_delay_alu instid0(VALU_DEP_4)
	v_add_co_ci_u32_e32 v58, vcc_lo, s11, v62, vcc_lo
	s_clause 0x1
	global_load_b32 v61, v[59:60], off
	global_load_b32 v62, v[57:58], off
	s_waitcnt vmcnt(0)
	v_cmpx_eq_u32_e64 v61, v62
	s_cbranch_execz .LBB1537_573
; %bb.566:
	v_add_co_u32 v57, vcc_lo, v57, 4
	v_add_co_ci_u32_e32 v58, vcc_lo, 0, v58, vcc_lo
	v_add_co_u32 v59, vcc_lo, v59, 4
	v_add_co_ci_u32_e32 v60, vcc_lo, 0, v60, vcc_lo
	s_add_u32 s14, s8, -1
	s_addc_u32 s15, s9, -1
	s_mov_b64 s[20:21], 0
	s_mov_b32 s24, 0
                                        ; implicit-def: $sgpr25
	s_set_inst_prefetch_distance 0x1
	s_branch .LBB1537_569
	.p2align	6
.LBB1537_567:                           ;   in Loop: Header=BB1537_569 Depth=1
	global_load_b32 v61, v[59:60], off
	global_load_b32 v62, v[57:58], off
	v_add_co_u32 v57, vcc_lo, v57, 4
	v_add_co_ci_u32_e32 v58, vcc_lo, 0, v58, vcc_lo
	v_add_co_u32 v59, s0, v59, 4
	s_delay_alu instid0(VALU_DEP_1)
	v_add_co_ci_u32_e64 v60, s0, 0, v60, s0
	s_add_u32 s20, s20, 1
	s_addc_u32 s21, s21, 0
	s_and_not1_b32 s0, s25, exec_lo
	s_waitcnt vmcnt(0)
	v_cmp_ne_u32_e32 vcc_lo, v61, v62
	s_and_b32 s25, vcc_lo, exec_lo
	s_delay_alu instid0(SALU_CYCLE_1)
	s_or_b32 s25, s0, s25
.LBB1537_568:                           ;   in Loop: Header=BB1537_569 Depth=1
	v_dual_mov_b32 v62, s21 :: v_dual_mov_b32 v61, s20
	s_and_b32 s0, exec_lo, s25
	s_delay_alu instid0(SALU_CYCLE_1) | instskip(NEXT) | instid1(SALU_CYCLE_1)
	s_or_b32 s24, s0, s24
	s_and_not1_b32 exec_lo, exec_lo, s24
	s_cbranch_execz .LBB1537_572
.LBB1537_569:                           ; =>This Inner Loop Header: Depth=1
	s_or_b32 s25, s25, exec_lo
	s_cmp_eq_u64 s[14:15], s[20:21]
	s_cbranch_scc0 .LBB1537_567
; %bb.570:                              ;   in Loop: Header=BB1537_569 Depth=1
	s_mov_b64 s[20:21], s[8:9]
                                        ; implicit-def: $vgpr57_vgpr58
                                        ; implicit-def: $vgpr59_vgpr60
	s_branch .LBB1537_568
.LBB1537_571:
	v_mov_b32_e32 v153, 0
	v_mov_b32_e32 v154, 0
	s_branch .LBB1537_574
.LBB1537_572:
	s_set_inst_prefetch_distance 0x2
	s_or_b32 exec_lo, exec_lo, s24
	v_cmp_gt_i64_e32 vcc_lo, s[8:9], v[61:62]
	s_mov_b32 s0, 0
	s_delay_alu instid0(SALU_CYCLE_1)
	v_mov_b32_e32 v154, s0
	v_cndmask_b32_e64 v153, 0, 1, vcc_lo
.LBB1537_573:
	s_or_b32 exec_lo, exec_lo, s23
.LBB1537_574:
	s_delay_alu instid0(SALU_CYCLE_1) | instskip(SKIP_3) | instid1(VALU_DEP_2)
	s_or_b32 exec_lo, exec_lo, s22
	v_dual_mov_b32 v156, v22 :: v_dual_add_nc_u32 v57, 6, v64
	v_mov_b32_e32 v155, v21
	s_mov_b32 s22, exec_lo
	v_cmpx_gt_u32_e64 s3, v57
	s_cbranch_execz .LBB1537_585
; %bb.575:
	v_cmp_ne_u32_e32 vcc_lo, 1, v63
	s_cbranch_vccnz .LBB1537_582
; %bb.576:
	v_mul_lo_u32 v61, v22, s8
	v_mul_lo_u32 v62, v21, s9
	v_mad_u64_u32 v[57:58], null, v21, s8, 0
	v_mul_lo_u32 v65, v20, s8
	v_mul_lo_u32 v66, v19, s9
	v_mad_u64_u32 v[59:60], null, v19, s8, 0
	v_mov_b32_e32 v155, 1
	v_mov_b32_e32 v156, 0
	v_add3_u32 v58, v58, v62, v61
	s_mov_b32 s23, exec_lo
	s_delay_alu instid0(VALU_DEP_4) | instskip(NEXT) | instid1(VALU_DEP_2)
	v_add3_u32 v60, v60, v66, v65
	v_lshlrev_b64 v[57:58], 2, v[57:58]
	s_delay_alu instid0(VALU_DEP_2) | instskip(NEXT) | instid1(VALU_DEP_2)
	v_lshlrev_b64 v[61:62], 2, v[59:60]
	v_add_co_u32 v59, vcc_lo, s10, v57
	s_delay_alu instid0(VALU_DEP_3) | instskip(NEXT) | instid1(VALU_DEP_3)
	v_add_co_ci_u32_e32 v60, vcc_lo, s11, v58, vcc_lo
	v_add_co_u32 v57, vcc_lo, s10, v61
	s_delay_alu instid0(VALU_DEP_4)
	v_add_co_ci_u32_e32 v58, vcc_lo, s11, v62, vcc_lo
	s_clause 0x1
	global_load_b32 v61, v[59:60], off
	global_load_b32 v62, v[57:58], off
	s_waitcnt vmcnt(0)
	v_cmpx_eq_u32_e64 v61, v62
	s_cbranch_execz .LBB1537_584
; %bb.577:
	v_add_co_u32 v57, vcc_lo, v57, 4
	v_add_co_ci_u32_e32 v58, vcc_lo, 0, v58, vcc_lo
	v_add_co_u32 v59, vcc_lo, v59, 4
	v_add_co_ci_u32_e32 v60, vcc_lo, 0, v60, vcc_lo
	s_add_u32 s14, s8, -1
	s_addc_u32 s15, s9, -1
	s_mov_b64 s[20:21], 0
	s_mov_b32 s24, 0
                                        ; implicit-def: $sgpr25
	s_set_inst_prefetch_distance 0x1
	s_branch .LBB1537_580
	.p2align	6
.LBB1537_578:                           ;   in Loop: Header=BB1537_580 Depth=1
	global_load_b32 v61, v[59:60], off
	global_load_b32 v62, v[57:58], off
	v_add_co_u32 v57, vcc_lo, v57, 4
	v_add_co_ci_u32_e32 v58, vcc_lo, 0, v58, vcc_lo
	v_add_co_u32 v59, s0, v59, 4
	s_delay_alu instid0(VALU_DEP_1)
	v_add_co_ci_u32_e64 v60, s0, 0, v60, s0
	s_add_u32 s20, s20, 1
	s_addc_u32 s21, s21, 0
	s_and_not1_b32 s0, s25, exec_lo
	s_waitcnt vmcnt(0)
	v_cmp_ne_u32_e32 vcc_lo, v61, v62
	s_and_b32 s25, vcc_lo, exec_lo
	s_delay_alu instid0(SALU_CYCLE_1)
	s_or_b32 s25, s0, s25
.LBB1537_579:                           ;   in Loop: Header=BB1537_580 Depth=1
	v_dual_mov_b32 v62, s21 :: v_dual_mov_b32 v61, s20
	s_and_b32 s0, exec_lo, s25
	s_delay_alu instid0(SALU_CYCLE_1) | instskip(NEXT) | instid1(SALU_CYCLE_1)
	s_or_b32 s24, s0, s24
	s_and_not1_b32 exec_lo, exec_lo, s24
	s_cbranch_execz .LBB1537_583
.LBB1537_580:                           ; =>This Inner Loop Header: Depth=1
	s_or_b32 s25, s25, exec_lo
	s_cmp_eq_u64 s[14:15], s[20:21]
	s_cbranch_scc0 .LBB1537_578
; %bb.581:                              ;   in Loop: Header=BB1537_580 Depth=1
	s_mov_b64 s[20:21], s[8:9]
                                        ; implicit-def: $vgpr57_vgpr58
                                        ; implicit-def: $vgpr59_vgpr60
	s_branch .LBB1537_579
.LBB1537_582:
	v_mov_b32_e32 v155, 0
	v_mov_b32_e32 v156, 0
	s_branch .LBB1537_585
.LBB1537_583:
	s_set_inst_prefetch_distance 0x2
	s_or_b32 exec_lo, exec_lo, s24
	v_cmp_gt_i64_e32 vcc_lo, s[8:9], v[61:62]
	s_mov_b32 s0, 0
	s_delay_alu instid0(SALU_CYCLE_1)
	v_mov_b32_e32 v156, s0
	v_cndmask_b32_e64 v155, 0, 1, vcc_lo
.LBB1537_584:
	s_or_b32 exec_lo, exec_lo, s23
.LBB1537_585:
	s_delay_alu instid0(SALU_CYCLE_1) | instskip(SKIP_3) | instid1(VALU_DEP_2)
	s_or_b32 exec_lo, exec_lo, s22
	v_dual_mov_b32 v158, v20 :: v_dual_add_nc_u32 v57, 5, v64
	v_mov_b32_e32 v157, v19
	s_mov_b32 s22, exec_lo
	v_cmpx_gt_u32_e64 s3, v57
	s_cbranch_execz .LBB1537_596
; %bb.586:
	v_cmp_ne_u32_e32 vcc_lo, 1, v63
	s_cbranch_vccnz .LBB1537_593
; %bb.587:
	v_mul_lo_u32 v61, v20, s8
	v_mul_lo_u32 v62, v19, s9
	v_mad_u64_u32 v[57:58], null, v19, s8, 0
	v_mul_lo_u32 v65, v18, s8
	v_mul_lo_u32 v66, v17, s9
	v_mad_u64_u32 v[59:60], null, v17, s8, 0
	v_mov_b32_e32 v157, 1
	v_mov_b32_e32 v158, 0
	v_add3_u32 v58, v58, v62, v61
	s_mov_b32 s23, exec_lo
	s_delay_alu instid0(VALU_DEP_4) | instskip(NEXT) | instid1(VALU_DEP_2)
	v_add3_u32 v60, v60, v66, v65
	v_lshlrev_b64 v[57:58], 2, v[57:58]
	s_delay_alu instid0(VALU_DEP_2) | instskip(NEXT) | instid1(VALU_DEP_2)
	v_lshlrev_b64 v[61:62], 2, v[59:60]
	v_add_co_u32 v59, vcc_lo, s10, v57
	s_delay_alu instid0(VALU_DEP_3) | instskip(NEXT) | instid1(VALU_DEP_3)
	v_add_co_ci_u32_e32 v60, vcc_lo, s11, v58, vcc_lo
	v_add_co_u32 v57, vcc_lo, s10, v61
	s_delay_alu instid0(VALU_DEP_4)
	v_add_co_ci_u32_e32 v58, vcc_lo, s11, v62, vcc_lo
	s_clause 0x1
	global_load_b32 v61, v[59:60], off
	global_load_b32 v62, v[57:58], off
	s_waitcnt vmcnt(0)
	v_cmpx_eq_u32_e64 v61, v62
	s_cbranch_execz .LBB1537_595
; %bb.588:
	v_add_co_u32 v57, vcc_lo, v57, 4
	v_add_co_ci_u32_e32 v58, vcc_lo, 0, v58, vcc_lo
	v_add_co_u32 v59, vcc_lo, v59, 4
	v_add_co_ci_u32_e32 v60, vcc_lo, 0, v60, vcc_lo
	s_add_u32 s14, s8, -1
	s_addc_u32 s15, s9, -1
	s_mov_b64 s[20:21], 0
	s_mov_b32 s24, 0
                                        ; implicit-def: $sgpr25
	s_set_inst_prefetch_distance 0x1
	s_branch .LBB1537_591
	.p2align	6
.LBB1537_589:                           ;   in Loop: Header=BB1537_591 Depth=1
	global_load_b32 v61, v[59:60], off
	global_load_b32 v62, v[57:58], off
	v_add_co_u32 v57, vcc_lo, v57, 4
	v_add_co_ci_u32_e32 v58, vcc_lo, 0, v58, vcc_lo
	v_add_co_u32 v59, s0, v59, 4
	s_delay_alu instid0(VALU_DEP_1)
	v_add_co_ci_u32_e64 v60, s0, 0, v60, s0
	s_add_u32 s20, s20, 1
	s_addc_u32 s21, s21, 0
	s_and_not1_b32 s0, s25, exec_lo
	s_waitcnt vmcnt(0)
	v_cmp_ne_u32_e32 vcc_lo, v61, v62
	s_and_b32 s25, vcc_lo, exec_lo
	s_delay_alu instid0(SALU_CYCLE_1)
	s_or_b32 s25, s0, s25
.LBB1537_590:                           ;   in Loop: Header=BB1537_591 Depth=1
	v_dual_mov_b32 v62, s21 :: v_dual_mov_b32 v61, s20
	s_and_b32 s0, exec_lo, s25
	s_delay_alu instid0(SALU_CYCLE_1) | instskip(NEXT) | instid1(SALU_CYCLE_1)
	s_or_b32 s24, s0, s24
	s_and_not1_b32 exec_lo, exec_lo, s24
	s_cbranch_execz .LBB1537_594
.LBB1537_591:                           ; =>This Inner Loop Header: Depth=1
	s_or_b32 s25, s25, exec_lo
	s_cmp_eq_u64 s[14:15], s[20:21]
	s_cbranch_scc0 .LBB1537_589
; %bb.592:                              ;   in Loop: Header=BB1537_591 Depth=1
	s_mov_b64 s[20:21], s[8:9]
                                        ; implicit-def: $vgpr57_vgpr58
                                        ; implicit-def: $vgpr59_vgpr60
	s_branch .LBB1537_590
.LBB1537_593:
	v_mov_b32_e32 v157, 0
	v_mov_b32_e32 v158, 0
	s_branch .LBB1537_596
.LBB1537_594:
	s_set_inst_prefetch_distance 0x2
	s_or_b32 exec_lo, exec_lo, s24
	v_cmp_gt_i64_e32 vcc_lo, s[8:9], v[61:62]
	s_mov_b32 s0, 0
	s_delay_alu instid0(SALU_CYCLE_1)
	v_mov_b32_e32 v158, s0
	v_cndmask_b32_e64 v157, 0, 1, vcc_lo
.LBB1537_595:
	s_or_b32 exec_lo, exec_lo, s23
.LBB1537_596:
	s_delay_alu instid0(SALU_CYCLE_1) | instskip(SKIP_3) | instid1(VALU_DEP_2)
	s_or_b32 exec_lo, exec_lo, s22
	v_dual_mov_b32 v160, v18 :: v_dual_add_nc_u32 v57, 4, v64
	v_mov_b32_e32 v159, v17
	s_mov_b32 s22, exec_lo
	v_cmpx_gt_u32_e64 s3, v57
	s_cbranch_execz .LBB1537_607
; %bb.597:
	v_cmp_ne_u32_e32 vcc_lo, 1, v63
	s_cbranch_vccnz .LBB1537_604
; %bb.598:
	v_mul_lo_u32 v61, v18, s8
	v_mul_lo_u32 v62, v17, s9
	v_mad_u64_u32 v[57:58], null, v17, s8, 0
	v_mul_lo_u32 v65, v16, s8
	v_mul_lo_u32 v66, v15, s9
	v_mad_u64_u32 v[59:60], null, v15, s8, 0
	v_mov_b32_e32 v159, 1
	v_mov_b32_e32 v160, 0
	v_add3_u32 v58, v58, v62, v61
	s_mov_b32 s23, exec_lo
	s_delay_alu instid0(VALU_DEP_4) | instskip(NEXT) | instid1(VALU_DEP_2)
	v_add3_u32 v60, v60, v66, v65
	v_lshlrev_b64 v[57:58], 2, v[57:58]
	s_delay_alu instid0(VALU_DEP_2) | instskip(NEXT) | instid1(VALU_DEP_2)
	v_lshlrev_b64 v[61:62], 2, v[59:60]
	v_add_co_u32 v59, vcc_lo, s10, v57
	s_delay_alu instid0(VALU_DEP_3) | instskip(NEXT) | instid1(VALU_DEP_3)
	v_add_co_ci_u32_e32 v60, vcc_lo, s11, v58, vcc_lo
	v_add_co_u32 v57, vcc_lo, s10, v61
	s_delay_alu instid0(VALU_DEP_4)
	v_add_co_ci_u32_e32 v58, vcc_lo, s11, v62, vcc_lo
	s_clause 0x1
	global_load_b32 v61, v[59:60], off
	global_load_b32 v62, v[57:58], off
	s_waitcnt vmcnt(0)
	v_cmpx_eq_u32_e64 v61, v62
	s_cbranch_execz .LBB1537_606
; %bb.599:
	v_add_co_u32 v57, vcc_lo, v57, 4
	v_add_co_ci_u32_e32 v58, vcc_lo, 0, v58, vcc_lo
	v_add_co_u32 v59, vcc_lo, v59, 4
	v_add_co_ci_u32_e32 v60, vcc_lo, 0, v60, vcc_lo
	s_add_u32 s14, s8, -1
	s_addc_u32 s15, s9, -1
	s_mov_b64 s[20:21], 0
	s_mov_b32 s24, 0
                                        ; implicit-def: $sgpr25
	s_set_inst_prefetch_distance 0x1
	s_branch .LBB1537_602
	.p2align	6
.LBB1537_600:                           ;   in Loop: Header=BB1537_602 Depth=1
	global_load_b32 v61, v[59:60], off
	global_load_b32 v62, v[57:58], off
	v_add_co_u32 v57, vcc_lo, v57, 4
	v_add_co_ci_u32_e32 v58, vcc_lo, 0, v58, vcc_lo
	v_add_co_u32 v59, s0, v59, 4
	s_delay_alu instid0(VALU_DEP_1)
	v_add_co_ci_u32_e64 v60, s0, 0, v60, s0
	s_add_u32 s20, s20, 1
	s_addc_u32 s21, s21, 0
	s_and_not1_b32 s0, s25, exec_lo
	s_waitcnt vmcnt(0)
	v_cmp_ne_u32_e32 vcc_lo, v61, v62
	s_and_b32 s25, vcc_lo, exec_lo
	s_delay_alu instid0(SALU_CYCLE_1)
	s_or_b32 s25, s0, s25
.LBB1537_601:                           ;   in Loop: Header=BB1537_602 Depth=1
	v_dual_mov_b32 v62, s21 :: v_dual_mov_b32 v61, s20
	s_and_b32 s0, exec_lo, s25
	s_delay_alu instid0(SALU_CYCLE_1) | instskip(NEXT) | instid1(SALU_CYCLE_1)
	s_or_b32 s24, s0, s24
	s_and_not1_b32 exec_lo, exec_lo, s24
	s_cbranch_execz .LBB1537_605
.LBB1537_602:                           ; =>This Inner Loop Header: Depth=1
	s_or_b32 s25, s25, exec_lo
	s_cmp_eq_u64 s[14:15], s[20:21]
	s_cbranch_scc0 .LBB1537_600
; %bb.603:                              ;   in Loop: Header=BB1537_602 Depth=1
	s_mov_b64 s[20:21], s[8:9]
                                        ; implicit-def: $vgpr57_vgpr58
                                        ; implicit-def: $vgpr59_vgpr60
	s_branch .LBB1537_601
.LBB1537_604:
	v_mov_b32_e32 v159, 0
	v_mov_b32_e32 v160, 0
	s_branch .LBB1537_607
.LBB1537_605:
	s_set_inst_prefetch_distance 0x2
	s_or_b32 exec_lo, exec_lo, s24
	v_cmp_gt_i64_e32 vcc_lo, s[8:9], v[61:62]
	s_mov_b32 s0, 0
	s_delay_alu instid0(SALU_CYCLE_1)
	v_mov_b32_e32 v160, s0
	v_cndmask_b32_e64 v159, 0, 1, vcc_lo
.LBB1537_606:
	s_or_b32 exec_lo, exec_lo, s23
.LBB1537_607:
	s_delay_alu instid0(SALU_CYCLE_1) | instskip(SKIP_3) | instid1(VALU_DEP_2)
	s_or_b32 exec_lo, exec_lo, s22
	v_dual_mov_b32 v162, v16 :: v_dual_add_nc_u32 v57, 3, v64
	v_mov_b32_e32 v161, v15
	s_mov_b32 s22, exec_lo
	v_cmpx_gt_u32_e64 s3, v57
	s_cbranch_execz .LBB1537_618
; %bb.608:
	v_cmp_ne_u32_e32 vcc_lo, 1, v63
	s_cbranch_vccnz .LBB1537_615
; %bb.609:
	v_mul_lo_u32 v61, v16, s8
	v_mul_lo_u32 v62, v15, s9
	v_mad_u64_u32 v[57:58], null, v15, s8, 0
	v_mul_lo_u32 v65, v14, s8
	v_mul_lo_u32 v66, v13, s9
	v_mad_u64_u32 v[59:60], null, v13, s8, 0
	v_mov_b32_e32 v161, 1
	v_mov_b32_e32 v162, 0
	v_add3_u32 v58, v58, v62, v61
	s_mov_b32 s23, exec_lo
	s_delay_alu instid0(VALU_DEP_4) | instskip(NEXT) | instid1(VALU_DEP_2)
	v_add3_u32 v60, v60, v66, v65
	v_lshlrev_b64 v[57:58], 2, v[57:58]
	s_delay_alu instid0(VALU_DEP_2) | instskip(NEXT) | instid1(VALU_DEP_2)
	v_lshlrev_b64 v[61:62], 2, v[59:60]
	v_add_co_u32 v59, vcc_lo, s10, v57
	s_delay_alu instid0(VALU_DEP_3) | instskip(NEXT) | instid1(VALU_DEP_3)
	v_add_co_ci_u32_e32 v60, vcc_lo, s11, v58, vcc_lo
	v_add_co_u32 v57, vcc_lo, s10, v61
	s_delay_alu instid0(VALU_DEP_4)
	v_add_co_ci_u32_e32 v58, vcc_lo, s11, v62, vcc_lo
	s_clause 0x1
	global_load_b32 v61, v[59:60], off
	global_load_b32 v62, v[57:58], off
	s_waitcnt vmcnt(0)
	v_cmpx_eq_u32_e64 v61, v62
	s_cbranch_execz .LBB1537_617
; %bb.610:
	v_add_co_u32 v57, vcc_lo, v57, 4
	v_add_co_ci_u32_e32 v58, vcc_lo, 0, v58, vcc_lo
	v_add_co_u32 v59, vcc_lo, v59, 4
	v_add_co_ci_u32_e32 v60, vcc_lo, 0, v60, vcc_lo
	s_add_u32 s14, s8, -1
	s_addc_u32 s15, s9, -1
	s_mov_b64 s[20:21], 0
	s_mov_b32 s24, 0
                                        ; implicit-def: $sgpr25
	s_set_inst_prefetch_distance 0x1
	s_branch .LBB1537_613
	.p2align	6
.LBB1537_611:                           ;   in Loop: Header=BB1537_613 Depth=1
	global_load_b32 v61, v[59:60], off
	global_load_b32 v62, v[57:58], off
	v_add_co_u32 v57, vcc_lo, v57, 4
	v_add_co_ci_u32_e32 v58, vcc_lo, 0, v58, vcc_lo
	v_add_co_u32 v59, s0, v59, 4
	s_delay_alu instid0(VALU_DEP_1)
	v_add_co_ci_u32_e64 v60, s0, 0, v60, s0
	s_add_u32 s20, s20, 1
	s_addc_u32 s21, s21, 0
	s_and_not1_b32 s0, s25, exec_lo
	s_waitcnt vmcnt(0)
	v_cmp_ne_u32_e32 vcc_lo, v61, v62
	s_and_b32 s25, vcc_lo, exec_lo
	s_delay_alu instid0(SALU_CYCLE_1)
	s_or_b32 s25, s0, s25
.LBB1537_612:                           ;   in Loop: Header=BB1537_613 Depth=1
	v_dual_mov_b32 v62, s21 :: v_dual_mov_b32 v61, s20
	s_and_b32 s0, exec_lo, s25
	s_delay_alu instid0(SALU_CYCLE_1) | instskip(NEXT) | instid1(SALU_CYCLE_1)
	s_or_b32 s24, s0, s24
	s_and_not1_b32 exec_lo, exec_lo, s24
	s_cbranch_execz .LBB1537_616
.LBB1537_613:                           ; =>This Inner Loop Header: Depth=1
	s_or_b32 s25, s25, exec_lo
	s_cmp_eq_u64 s[14:15], s[20:21]
	s_cbranch_scc0 .LBB1537_611
; %bb.614:                              ;   in Loop: Header=BB1537_613 Depth=1
	s_mov_b64 s[20:21], s[8:9]
                                        ; implicit-def: $vgpr57_vgpr58
                                        ; implicit-def: $vgpr59_vgpr60
	s_branch .LBB1537_612
.LBB1537_615:
	v_mov_b32_e32 v161, 0
	v_mov_b32_e32 v162, 0
	s_branch .LBB1537_618
.LBB1537_616:
	s_set_inst_prefetch_distance 0x2
	s_or_b32 exec_lo, exec_lo, s24
	v_cmp_gt_i64_e32 vcc_lo, s[8:9], v[61:62]
	s_mov_b32 s0, 0
	s_delay_alu instid0(SALU_CYCLE_1)
	v_mov_b32_e32 v162, s0
	v_cndmask_b32_e64 v161, 0, 1, vcc_lo
.LBB1537_617:
	s_or_b32 exec_lo, exec_lo, s23
.LBB1537_618:
	s_delay_alu instid0(SALU_CYCLE_1) | instskip(SKIP_3) | instid1(VALU_DEP_2)
	s_or_b32 exec_lo, exec_lo, s22
	v_dual_mov_b32 v164, v14 :: v_dual_add_nc_u32 v57, 2, v64
	v_mov_b32_e32 v163, v13
	s_mov_b32 s22, exec_lo
	v_cmpx_gt_u32_e64 s3, v57
	s_cbranch_execz .LBB1537_629
; %bb.619:
	v_cmp_ne_u32_e32 vcc_lo, 1, v63
	s_cbranch_vccnz .LBB1537_626
; %bb.620:
	v_mul_lo_u32 v61, v14, s8
	v_mul_lo_u32 v62, v13, s9
	v_mad_u64_u32 v[57:58], null, v13, s8, 0
	v_mul_lo_u32 v65, v4, s8
	v_mul_lo_u32 v66, v3, s9
	v_mad_u64_u32 v[59:60], null, v3, s8, 0
	v_mov_b32_e32 v163, 1
	v_mov_b32_e32 v164, 0
	v_add3_u32 v58, v58, v62, v61
	s_mov_b32 s23, exec_lo
	s_delay_alu instid0(VALU_DEP_4) | instskip(NEXT) | instid1(VALU_DEP_2)
	v_add3_u32 v60, v60, v66, v65
	v_lshlrev_b64 v[57:58], 2, v[57:58]
	s_delay_alu instid0(VALU_DEP_2) | instskip(NEXT) | instid1(VALU_DEP_2)
	v_lshlrev_b64 v[61:62], 2, v[59:60]
	v_add_co_u32 v59, vcc_lo, s10, v57
	s_delay_alu instid0(VALU_DEP_3) | instskip(NEXT) | instid1(VALU_DEP_3)
	v_add_co_ci_u32_e32 v60, vcc_lo, s11, v58, vcc_lo
	v_add_co_u32 v57, vcc_lo, s10, v61
	s_delay_alu instid0(VALU_DEP_4)
	v_add_co_ci_u32_e32 v58, vcc_lo, s11, v62, vcc_lo
	s_clause 0x1
	global_load_b32 v61, v[59:60], off
	global_load_b32 v62, v[57:58], off
	s_waitcnt vmcnt(0)
	v_cmpx_eq_u32_e64 v61, v62
	s_cbranch_execz .LBB1537_628
; %bb.621:
	v_add_co_u32 v57, vcc_lo, v57, 4
	v_add_co_ci_u32_e32 v58, vcc_lo, 0, v58, vcc_lo
	v_add_co_u32 v59, vcc_lo, v59, 4
	v_add_co_ci_u32_e32 v60, vcc_lo, 0, v60, vcc_lo
	s_add_u32 s14, s8, -1
	s_addc_u32 s15, s9, -1
	s_mov_b64 s[20:21], 0
	s_mov_b32 s24, 0
                                        ; implicit-def: $sgpr25
	s_set_inst_prefetch_distance 0x1
	s_branch .LBB1537_624
	.p2align	6
.LBB1537_622:                           ;   in Loop: Header=BB1537_624 Depth=1
	global_load_b32 v61, v[59:60], off
	global_load_b32 v62, v[57:58], off
	v_add_co_u32 v57, vcc_lo, v57, 4
	v_add_co_ci_u32_e32 v58, vcc_lo, 0, v58, vcc_lo
	v_add_co_u32 v59, s0, v59, 4
	s_delay_alu instid0(VALU_DEP_1)
	v_add_co_ci_u32_e64 v60, s0, 0, v60, s0
	s_add_u32 s20, s20, 1
	s_addc_u32 s21, s21, 0
	s_and_not1_b32 s0, s25, exec_lo
	s_waitcnt vmcnt(0)
	v_cmp_ne_u32_e32 vcc_lo, v61, v62
	s_and_b32 s25, vcc_lo, exec_lo
	s_delay_alu instid0(SALU_CYCLE_1)
	s_or_b32 s25, s0, s25
.LBB1537_623:                           ;   in Loop: Header=BB1537_624 Depth=1
	v_dual_mov_b32 v62, s21 :: v_dual_mov_b32 v61, s20
	s_and_b32 s0, exec_lo, s25
	s_delay_alu instid0(SALU_CYCLE_1) | instskip(NEXT) | instid1(SALU_CYCLE_1)
	s_or_b32 s24, s0, s24
	s_and_not1_b32 exec_lo, exec_lo, s24
	s_cbranch_execz .LBB1537_627
.LBB1537_624:                           ; =>This Inner Loop Header: Depth=1
	s_or_b32 s25, s25, exec_lo
	s_cmp_eq_u64 s[14:15], s[20:21]
	s_cbranch_scc0 .LBB1537_622
; %bb.625:                              ;   in Loop: Header=BB1537_624 Depth=1
	s_mov_b64 s[20:21], s[8:9]
                                        ; implicit-def: $vgpr57_vgpr58
                                        ; implicit-def: $vgpr59_vgpr60
	s_branch .LBB1537_623
.LBB1537_626:
	v_mov_b32_e32 v163, 0
	v_mov_b32_e32 v164, 0
	s_branch .LBB1537_629
.LBB1537_627:
	s_set_inst_prefetch_distance 0x2
	s_or_b32 exec_lo, exec_lo, s24
	v_cmp_gt_i64_e32 vcc_lo, s[8:9], v[61:62]
	s_mov_b32 s0, 0
	s_delay_alu instid0(SALU_CYCLE_1)
	v_mov_b32_e32 v164, s0
	v_cndmask_b32_e64 v163, 0, 1, vcc_lo
.LBB1537_628:
	s_or_b32 exec_lo, exec_lo, s23
.LBB1537_629:
	s_delay_alu instid0(SALU_CYCLE_1) | instskip(SKIP_3) | instid1(VALU_DEP_2)
	s_or_b32 exec_lo, exec_lo, s22
	v_dual_mov_b32 v166, v4 :: v_dual_add_nc_u32 v57, 1, v64
	v_mov_b32_e32 v165, v3
	s_mov_b32 s22, exec_lo
	v_cmpx_gt_u32_e64 s3, v57
	s_cbranch_execz .LBB1537_640
; %bb.630:
	v_cmp_ne_u32_e32 vcc_lo, 1, v63
	s_cbranch_vccnz .LBB1537_637
; %bb.631:
	v_mul_lo_u32 v61, v4, s8
	v_mul_lo_u32 v62, v3, s9
	v_mad_u64_u32 v[57:58], null, v3, s8, 0
	v_mul_lo_u32 v65, v2, s8
	v_mul_lo_u32 v66, v1, s9
	v_mad_u64_u32 v[59:60], null, v1, s8, 0
	v_mov_b32_e32 v165, 1
	v_mov_b32_e32 v166, 0
	v_add3_u32 v58, v58, v62, v61
	s_mov_b32 s23, exec_lo
	s_delay_alu instid0(VALU_DEP_4) | instskip(NEXT) | instid1(VALU_DEP_2)
	v_add3_u32 v60, v60, v66, v65
	v_lshlrev_b64 v[57:58], 2, v[57:58]
	s_delay_alu instid0(VALU_DEP_2) | instskip(NEXT) | instid1(VALU_DEP_2)
	v_lshlrev_b64 v[61:62], 2, v[59:60]
	v_add_co_u32 v59, vcc_lo, s10, v57
	s_delay_alu instid0(VALU_DEP_3) | instskip(NEXT) | instid1(VALU_DEP_3)
	v_add_co_ci_u32_e32 v60, vcc_lo, s11, v58, vcc_lo
	v_add_co_u32 v57, vcc_lo, s10, v61
	s_delay_alu instid0(VALU_DEP_4)
	v_add_co_ci_u32_e32 v58, vcc_lo, s11, v62, vcc_lo
	s_clause 0x1
	global_load_b32 v61, v[59:60], off
	global_load_b32 v62, v[57:58], off
	s_waitcnt vmcnt(0)
	v_cmpx_eq_u32_e64 v61, v62
	s_cbranch_execz .LBB1537_639
; %bb.632:
	v_add_co_u32 v57, vcc_lo, v57, 4
	v_add_co_ci_u32_e32 v58, vcc_lo, 0, v58, vcc_lo
	v_add_co_u32 v59, vcc_lo, v59, 4
	v_add_co_ci_u32_e32 v60, vcc_lo, 0, v60, vcc_lo
	s_add_u32 s14, s8, -1
	s_addc_u32 s15, s9, -1
	s_mov_b64 s[20:21], 0
	s_mov_b32 s24, 0
                                        ; implicit-def: $sgpr25
	s_set_inst_prefetch_distance 0x1
	s_branch .LBB1537_635
	.p2align	6
.LBB1537_633:                           ;   in Loop: Header=BB1537_635 Depth=1
	global_load_b32 v61, v[59:60], off
	global_load_b32 v62, v[57:58], off
	v_add_co_u32 v57, vcc_lo, v57, 4
	v_add_co_ci_u32_e32 v58, vcc_lo, 0, v58, vcc_lo
	v_add_co_u32 v59, s0, v59, 4
	s_delay_alu instid0(VALU_DEP_1)
	v_add_co_ci_u32_e64 v60, s0, 0, v60, s0
	s_add_u32 s20, s20, 1
	s_addc_u32 s21, s21, 0
	s_and_not1_b32 s0, s25, exec_lo
	s_waitcnt vmcnt(0)
	v_cmp_ne_u32_e32 vcc_lo, v61, v62
	s_and_b32 s25, vcc_lo, exec_lo
	s_delay_alu instid0(SALU_CYCLE_1)
	s_or_b32 s25, s0, s25
.LBB1537_634:                           ;   in Loop: Header=BB1537_635 Depth=1
	v_dual_mov_b32 v62, s21 :: v_dual_mov_b32 v61, s20
	s_and_b32 s0, exec_lo, s25
	s_delay_alu instid0(SALU_CYCLE_1) | instskip(NEXT) | instid1(SALU_CYCLE_1)
	s_or_b32 s24, s0, s24
	s_and_not1_b32 exec_lo, exec_lo, s24
	s_cbranch_execz .LBB1537_638
.LBB1537_635:                           ; =>This Inner Loop Header: Depth=1
	s_or_b32 s25, s25, exec_lo
	s_cmp_eq_u64 s[14:15], s[20:21]
	s_cbranch_scc0 .LBB1537_633
; %bb.636:                              ;   in Loop: Header=BB1537_635 Depth=1
	s_mov_b64 s[20:21], s[8:9]
                                        ; implicit-def: $vgpr57_vgpr58
                                        ; implicit-def: $vgpr59_vgpr60
	s_branch .LBB1537_634
.LBB1537_637:
	v_mov_b32_e32 v165, 0
	v_mov_b32_e32 v166, 0
	s_branch .LBB1537_640
.LBB1537_638:
	s_set_inst_prefetch_distance 0x2
	s_or_b32 exec_lo, exec_lo, s24
	v_cmp_gt_i64_e32 vcc_lo, s[8:9], v[61:62]
	s_mov_b32 s0, 0
	s_delay_alu instid0(SALU_CYCLE_1)
	v_mov_b32_e32 v166, s0
	v_cndmask_b32_e64 v165, 0, 1, vcc_lo
.LBB1537_639:
	s_or_b32 exec_lo, exec_lo, s23
.LBB1537_640:
	s_delay_alu instid0(SALU_CYCLE_1)
	s_or_b32 exec_lo, exec_lo, s22
	v_dual_mov_b32 v58, s13 :: v_dual_mov_b32 v57, s12
	s_mov_b32 s0, exec_lo
	s_waitcnt lgkmcnt(0)
	s_barrier
	buffer_gl0_inv
	v_cmpx_ne_u32_e32 0, v0
	s_cbranch_execz .LBB1537_642
; %bb.641:
	v_add_nc_u32_e32 v57, -8, v195
	ds_load_b64 v[57:58], v57
.LBB1537_642:
	s_or_b32 exec_lo, exec_lo, s0
	v_cmp_gt_u32_e32 vcc_lo, s3, v64
                                        ; implicit-def: $sgpr0
	s_and_saveexec_b32 s3, vcc_lo
	s_cbranch_execz .LBB1537_654
; %bb.643:
	v_cmp_ne_u32_e32 vcc_lo, 1, v63
	s_cbranch_vccnz .LBB1537_650
; %bb.644:
	v_mul_lo_u32 v63, v2, s8
	v_mul_lo_u32 v64, v1, s9
	v_mad_u64_u32 v[59:60], null, v1, s8, 0
	s_waitcnt lgkmcnt(0)
	v_mul_lo_u32 v58, v58, s8
	v_mul_lo_u32 v65, v57, s9
	v_mad_u64_u32 v[61:62], null, v57, s8, 0
	s_mov_b32 s0, -1
	s_mov_b32 s20, exec_lo
	s_delay_alu instid0(VALU_DEP_4) | instskip(NEXT) | instid1(VALU_DEP_2)
	v_add3_u32 v60, v60, v64, v63
	v_add3_u32 v62, v62, v65, v58
	s_delay_alu instid0(VALU_DEP_2) | instskip(NEXT) | instid1(VALU_DEP_2)
	v_lshlrev_b64 v[57:58], 2, v[59:60]
	v_lshlrev_b64 v[61:62], 2, v[61:62]
	s_delay_alu instid0(VALU_DEP_2) | instskip(NEXT) | instid1(VALU_DEP_3)
	v_add_co_u32 v59, vcc_lo, s10, v57
	v_add_co_ci_u32_e32 v60, vcc_lo, s11, v58, vcc_lo
	s_delay_alu instid0(VALU_DEP_3) | instskip(NEXT) | instid1(VALU_DEP_4)
	v_add_co_u32 v57, vcc_lo, s10, v61
	v_add_co_ci_u32_e32 v58, vcc_lo, s11, v62, vcc_lo
	s_clause 0x1
	global_load_b32 v61, v[59:60], off
	global_load_b32 v62, v[57:58], off
	s_waitcnt vmcnt(0)
	v_cmpx_eq_u32_e64 v61, v62
	s_cbranch_execz .LBB1537_652
; %bb.645:
	v_add_co_u32 v57, vcc_lo, v57, 4
	v_add_co_ci_u32_e32 v58, vcc_lo, 0, v58, vcc_lo
	v_add_co_u32 v59, vcc_lo, v59, 4
	v_add_co_ci_u32_e32 v60, vcc_lo, 0, v60, vcc_lo
	s_add_u32 s12, s8, -1
	s_addc_u32 s13, s9, -1
	s_mov_b64 s[14:15], 0
	s_mov_b32 s21, 0
                                        ; implicit-def: $sgpr22
	s_set_inst_prefetch_distance 0x1
	s_branch .LBB1537_648
	.p2align	6
.LBB1537_646:                           ;   in Loop: Header=BB1537_648 Depth=1
	global_load_b32 v61, v[59:60], off
	global_load_b32 v62, v[57:58], off
	v_add_co_u32 v57, vcc_lo, v57, 4
	v_add_co_ci_u32_e32 v58, vcc_lo, 0, v58, vcc_lo
	v_add_co_u32 v59, s0, v59, 4
	s_delay_alu instid0(VALU_DEP_1)
	v_add_co_ci_u32_e64 v60, s0, 0, v60, s0
	s_add_u32 s14, s14, 1
	s_addc_u32 s15, s15, 0
	s_and_not1_b32 s0, s22, exec_lo
	s_waitcnt vmcnt(0)
	v_cmp_ne_u32_e32 vcc_lo, v61, v62
	s_and_b32 s22, vcc_lo, exec_lo
	s_delay_alu instid0(SALU_CYCLE_1)
	s_or_b32 s22, s0, s22
.LBB1537_647:                           ;   in Loop: Header=BB1537_648 Depth=1
	v_dual_mov_b32 v62, s15 :: v_dual_mov_b32 v61, s14
	s_and_b32 s0, exec_lo, s22
	s_delay_alu instid0(SALU_CYCLE_1) | instskip(NEXT) | instid1(SALU_CYCLE_1)
	s_or_b32 s21, s0, s21
	s_and_not1_b32 exec_lo, exec_lo, s21
	s_cbranch_execz .LBB1537_651
.LBB1537_648:                           ; =>This Inner Loop Header: Depth=1
	s_or_b32 s22, s22, exec_lo
	s_cmp_eq_u64 s[12:13], s[14:15]
	s_cbranch_scc0 .LBB1537_646
; %bb.649:                              ;   in Loop: Header=BB1537_648 Depth=1
	s_mov_b64 s[14:15], s[8:9]
                                        ; implicit-def: $vgpr57_vgpr58
                                        ; implicit-def: $vgpr59_vgpr60
	s_branch .LBB1537_647
.LBB1537_650:
	s_mov_b32 s0, 0
	s_branch .LBB1537_653
.LBB1537_651:
	s_set_inst_prefetch_distance 0x2
	s_or_b32 exec_lo, exec_lo, s21
	v_cmp_gt_i64_e32 vcc_lo, s[8:9], v[61:62]
	s_or_not1_b32 s0, vcc_lo, exec_lo
.LBB1537_652:
	s_or_b32 exec_lo, exec_lo, s20
.LBB1537_653:
	s_delay_alu instid0(SALU_CYCLE_1)
	s_and_b32 s0, s0, exec_lo
	s_or_b32 s1, s1, exec_lo
.LBB1537_654:
	s_or_b32 exec_lo, exec_lo, s3
	v_dual_mov_b32 v182, v166 :: v_dual_mov_b32 v181, v165
	v_dual_mov_b32 v168, v164 :: v_dual_mov_b32 v167, v163
	;; [unrolled: 1-line block ×27, first 2 shown]
	s_branch .LBB1537_1243
.LBB1537_655:
	s_cmp_lg_u64 s[18:19], 1
	s_cbranch_scc0 .LBB1537_663
; %bb.656:
	v_mul_lo_u32 v59, v8, s8
	v_mul_lo_u32 v60, v7, s9
	s_waitcnt lgkmcnt(0)
	v_mad_u64_u32 v[57:58], null, v7, s8, 0
	v_mov_b32_e32 v113, 0
	v_mov_b32_e32 v114, 0
	v_cmp_lt_i64_e64 s0, s[8:9], 1
	v_cmp_gt_i64_e64 s3, s[8:9], 0
	s_delay_alu instid0(VALU_DEP_4) | instskip(SKIP_4) | instid1(VALU_DEP_1)
	v_mov_b32_e32 v111, v113
	ds_store_b64 v195, v[109:110]
	v_mov_b32_e32 v112, v114
	v_add3_u32 v58, v58, v60, v59
	s_and_b32 vcc_lo, exec_lo, s0
	v_lshlrev_b64 v[57:58], 2, v[57:58]
	s_cbranch_vccnz .LBB1537_666
; %bb.657:
	v_mul_lo_u32 v61, v110, s8
	v_mul_lo_u32 v62, v109, s9
	v_mad_u64_u32 v[59:60], null, v109, s8, 0
	v_mov_b32_e32 v111, 1
	v_mov_b32_e32 v112, 0
	s_mov_b32 s18, exec_lo
	s_delay_alu instid0(VALU_DEP_3) | instskip(NEXT) | instid1(VALU_DEP_1)
	v_add3_u32 v60, v60, v62, v61
	v_lshlrev_b64 v[59:60], 2, v[59:60]
	s_delay_alu instid0(VALU_DEP_1) | instskip(NEXT) | instid1(VALU_DEP_2)
	v_add_co_u32 v61, vcc_lo, s10, v59
	v_add_co_ci_u32_e32 v62, vcc_lo, s11, v60, vcc_lo
	v_add_co_u32 v59, vcc_lo, s10, v57
	v_add_co_ci_u32_e32 v60, vcc_lo, s11, v58, vcc_lo
	s_clause 0x1
	global_load_b32 v63, v[61:62], off
	global_load_b32 v64, v[59:60], off
	s_waitcnt vmcnt(0)
	v_cmpx_eq_u32_e64 v63, v64
	s_cbranch_execz .LBB1537_665
; %bb.658:
	v_add_co_u32 v59, vcc_lo, v59, 4
	v_add_co_ci_u32_e32 v60, vcc_lo, 0, v60, vcc_lo
	v_add_co_u32 v61, vcc_lo, v61, 4
	v_add_co_ci_u32_e32 v62, vcc_lo, 0, v62, vcc_lo
	s_add_u32 s12, s8, -1
	s_addc_u32 s13, s9, -1
	s_mov_b64 s[14:15], 0
	s_mov_b32 s19, 0
                                        ; implicit-def: $sgpr20
	s_set_inst_prefetch_distance 0x1
	s_branch .LBB1537_661
	.p2align	6
.LBB1537_659:                           ;   in Loop: Header=BB1537_661 Depth=1
	global_load_b32 v63, v[61:62], off
	global_load_b32 v64, v[59:60], off
	v_add_co_u32 v59, vcc_lo, v59, 4
	v_add_co_ci_u32_e32 v60, vcc_lo, 0, v60, vcc_lo
	v_add_co_u32 v61, s0, v61, 4
	s_delay_alu instid0(VALU_DEP_1)
	v_add_co_ci_u32_e64 v62, s0, 0, v62, s0
	s_add_u32 s14, s14, 1
	s_addc_u32 s15, s15, 0
	s_and_not1_b32 s0, s20, exec_lo
	s_waitcnt vmcnt(0)
	v_cmp_ne_u32_e32 vcc_lo, v63, v64
	s_and_b32 s20, vcc_lo, exec_lo
	s_delay_alu instid0(SALU_CYCLE_1)
	s_or_b32 s20, s0, s20
.LBB1537_660:                           ;   in Loop: Header=BB1537_661 Depth=1
	v_dual_mov_b32 v64, s15 :: v_dual_mov_b32 v63, s14
	s_and_b32 s0, exec_lo, s20
	s_delay_alu instid0(SALU_CYCLE_1) | instskip(NEXT) | instid1(SALU_CYCLE_1)
	s_or_b32 s19, s0, s19
	s_and_not1_b32 exec_lo, exec_lo, s19
	s_cbranch_execz .LBB1537_664
.LBB1537_661:                           ; =>This Inner Loop Header: Depth=1
	s_or_b32 s20, s20, exec_lo
	s_cmp_eq_u64 s[12:13], s[14:15]
	s_cbranch_scc0 .LBB1537_659
; %bb.662:                              ;   in Loop: Header=BB1537_661 Depth=1
	s_mov_b64 s[14:15], s[8:9]
                                        ; implicit-def: $vgpr59_vgpr60
                                        ; implicit-def: $vgpr61_vgpr62
	s_branch .LBB1537_660
.LBB1537_663:
                                        ; implicit-def: $sgpr0
                                        ; implicit-def: $vgpr165_vgpr166
                                        ; implicit-def: $vgpr163_vgpr164
                                        ; implicit-def: $vgpr161_vgpr162
                                        ; implicit-def: $vgpr159_vgpr160
                                        ; implicit-def: $vgpr157_vgpr158
                                        ; implicit-def: $vgpr155_vgpr156
                                        ; implicit-def: $vgpr153_vgpr154
                                        ; implicit-def: $vgpr151_vgpr152
                                        ; implicit-def: $vgpr149_vgpr150
                                        ; implicit-def: $vgpr147_vgpr148
                                        ; implicit-def: $vgpr145_vgpr146
                                        ; implicit-def: $vgpr143_vgpr144
                                        ; implicit-def: $vgpr141_vgpr142
                                        ; implicit-def: $vgpr139_vgpr140
                                        ; implicit-def: $vgpr137_vgpr138
                                        ; implicit-def: $vgpr135_vgpr136
                                        ; implicit-def: $vgpr133_vgpr134
                                        ; implicit-def: $vgpr131_vgpr132
                                        ; implicit-def: $vgpr129_vgpr130
                                        ; implicit-def: $vgpr127_vgpr128
                                        ; implicit-def: $vgpr125_vgpr126
                                        ; implicit-def: $vgpr123_vgpr124
                                        ; implicit-def: $vgpr121_vgpr122
                                        ; implicit-def: $vgpr119_vgpr120
                                        ; implicit-def: $vgpr117_vgpr118
                                        ; implicit-def: $vgpr113_vgpr114
                                        ; implicit-def: $vgpr115_vgpr116
                                        ; implicit-def: $vgpr111_vgpr112
                                        ; implicit-def: $vgpr181_vgpr182
                                        ; implicit-def: $vgpr167_vgpr168
                                        ; implicit-def: $vgpr169_vgpr170
                                        ; implicit-def: $vgpr171_vgpr172
                                        ; implicit-def: $vgpr173_vgpr174
                                        ; implicit-def: $vgpr175_vgpr176
                                        ; implicit-def: $vgpr177_vgpr178
                                        ; implicit-def: $vgpr179_vgpr180
                                        ; implicit-def: $vgpr183_vgpr184
                                        ; implicit-def: $vgpr185_vgpr186
                                        ; implicit-def: $vgpr187_vgpr188
                                        ; implicit-def: $vgpr189_vgpr190
                                        ; implicit-def: $vgpr191_vgpr192
                                        ; implicit-def: $vgpr193_vgpr194
                                        ; implicit-def: $vgpr57_vgpr58_vgpr59_vgpr60
                                        ; implicit-def: $vgpr61_vgpr62_vgpr63_vgpr64
                                        ; implicit-def: $vgpr65_vgpr66_vgpr67_vgpr68
                                        ; implicit-def: $vgpr69_vgpr70_vgpr71_vgpr72
                                        ; implicit-def: $vgpr73_vgpr74_vgpr75_vgpr76
                                        ; implicit-def: $vgpr77_vgpr78_vgpr79_vgpr80
                                        ; implicit-def: $vgpr81_vgpr82_vgpr83_vgpr84
                                        ; implicit-def: $vgpr85_vgpr86_vgpr87_vgpr88
                                        ; implicit-def: $vgpr89_vgpr90_vgpr91_vgpr92
                                        ; implicit-def: $vgpr93_vgpr94_vgpr95_vgpr96
                                        ; implicit-def: $vgpr97_vgpr98_vgpr99_vgpr100
                                        ; implicit-def: $vgpr101_vgpr102_vgpr103_vgpr104
                                        ; implicit-def: $vgpr105_vgpr106_vgpr107_vgpr108
	s_cbranch_execnz .LBB1537_923
	s_branch .LBB1537_1243
.LBB1537_664:
	s_set_inst_prefetch_distance 0x2
	s_or_b32 exec_lo, exec_lo, s19
	v_cmp_gt_i64_e32 vcc_lo, s[8:9], v[63:64]
	s_mov_b32 s0, 0
	s_delay_alu instid0(SALU_CYCLE_1)
	v_mov_b32_e32 v112, s0
	v_cndmask_b32_e64 v111, 0, 1, vcc_lo
.LBB1537_665:
	s_or_b32 exec_lo, exec_lo, s18
.LBB1537_666:
	v_mul_lo_u32 v61, v6, s8
	v_mul_lo_u32 v62, v5, s9
	v_mad_u64_u32 v[59:60], null, v5, s8, 0
	v_cndmask_b32_e64 v65, 0, 1, s3
	v_dual_mov_b32 v116, v114 :: v_dual_mov_b32 v115, v113
	s_and_not1_b32 vcc_lo, exec_lo, s3
	s_delay_alu instid0(VALU_DEP_3) | instskip(NEXT) | instid1(VALU_DEP_1)
	v_add3_u32 v60, v60, v62, v61
	v_lshlrev_b64 v[59:60], 2, v[59:60]
	s_cbranch_vccnz .LBB1537_675
; %bb.667:
	v_add_co_u32 v61, vcc_lo, s10, v57
	v_add_co_ci_u32_e32 v62, vcc_lo, s11, v58, vcc_lo
	s_delay_alu instid0(VALU_DEP_3) | instskip(NEXT) | instid1(VALU_DEP_4)
	v_add_co_u32 v57, vcc_lo, s10, v59
	v_add_co_ci_u32_e32 v58, vcc_lo, s11, v60, vcc_lo
	v_mov_b32_e32 v115, 1
	s_clause 0x1
	global_load_b32 v63, v[61:62], off
	global_load_b32 v64, v[57:58], off
	v_mov_b32_e32 v116, 0
	s_mov_b32 s3, exec_lo
	s_waitcnt vmcnt(0)
	v_cmpx_eq_u32_e64 v63, v64
	s_cbranch_execz .LBB1537_674
; %bb.668:
	v_add_co_u32 v57, vcc_lo, v57, 4
	v_add_co_ci_u32_e32 v58, vcc_lo, 0, v58, vcc_lo
	v_add_co_u32 v61, vcc_lo, v61, 4
	v_add_co_ci_u32_e32 v62, vcc_lo, 0, v62, vcc_lo
	s_add_u32 s12, s8, -1
	s_addc_u32 s13, s9, -1
	s_mov_b64 s[14:15], 0
	s_mov_b32 s18, 0
                                        ; implicit-def: $sgpr19
	s_set_inst_prefetch_distance 0x1
	s_branch .LBB1537_671
	.p2align	6
.LBB1537_669:                           ;   in Loop: Header=BB1537_671 Depth=1
	global_load_b32 v63, v[61:62], off
	global_load_b32 v64, v[57:58], off
	v_add_co_u32 v57, vcc_lo, v57, 4
	v_add_co_ci_u32_e32 v58, vcc_lo, 0, v58, vcc_lo
	v_add_co_u32 v61, s0, v61, 4
	s_delay_alu instid0(VALU_DEP_1)
	v_add_co_ci_u32_e64 v62, s0, 0, v62, s0
	s_add_u32 s14, s14, 1
	s_addc_u32 s15, s15, 0
	s_and_not1_b32 s0, s19, exec_lo
	s_waitcnt vmcnt(0)
	v_cmp_ne_u32_e32 vcc_lo, v63, v64
	s_and_b32 s19, vcc_lo, exec_lo
	s_delay_alu instid0(SALU_CYCLE_1)
	s_or_b32 s19, s0, s19
.LBB1537_670:                           ;   in Loop: Header=BB1537_671 Depth=1
	v_dual_mov_b32 v64, s15 :: v_dual_mov_b32 v63, s14
	s_and_b32 s0, exec_lo, s19
	s_delay_alu instid0(SALU_CYCLE_1) | instskip(NEXT) | instid1(SALU_CYCLE_1)
	s_or_b32 s18, s0, s18
	s_and_not1_b32 exec_lo, exec_lo, s18
	s_cbranch_execz .LBB1537_673
.LBB1537_671:                           ; =>This Inner Loop Header: Depth=1
	s_or_b32 s19, s19, exec_lo
	s_cmp_eq_u64 s[12:13], s[14:15]
	s_cbranch_scc0 .LBB1537_669
; %bb.672:                              ;   in Loop: Header=BB1537_671 Depth=1
	s_mov_b64 s[14:15], s[8:9]
                                        ; implicit-def: $vgpr57_vgpr58
                                        ; implicit-def: $vgpr61_vgpr62
	s_branch .LBB1537_670
.LBB1537_673:
	s_set_inst_prefetch_distance 0x2
	s_or_b32 exec_lo, exec_lo, s18
	v_cmp_gt_i64_e32 vcc_lo, s[8:9], v[63:64]
	s_mov_b32 s0, 0
	s_delay_alu instid0(SALU_CYCLE_1)
	v_mov_b32_e32 v116, s0
	v_cndmask_b32_e64 v115, 0, 1, vcc_lo
.LBB1537_674:
	s_or_b32 exec_lo, exec_lo, s3
.LBB1537_675:
	v_mul_lo_u32 v61, v12, s8
	v_mul_lo_u32 v62, v11, s9
	v_mad_u64_u32 v[57:58], null, v11, s8, 0
	v_cmp_ne_u32_e32 vcc_lo, 1, v65
	s_delay_alu instid0(VALU_DEP_2) | instskip(NEXT) | instid1(VALU_DEP_1)
	v_add3_u32 v58, v58, v62, v61
	v_lshlrev_b64 v[57:58], 2, v[57:58]
	s_cbranch_vccnz .LBB1537_684
; %bb.676:
	v_add_co_u32 v61, vcc_lo, s10, v59
	v_add_co_ci_u32_e32 v62, vcc_lo, s11, v60, vcc_lo
	s_delay_alu instid0(VALU_DEP_3) | instskip(NEXT) | instid1(VALU_DEP_4)
	v_add_co_u32 v59, vcc_lo, s10, v57
	v_add_co_ci_u32_e32 v60, vcc_lo, s11, v58, vcc_lo
	v_mov_b32_e32 v113, 1
	s_clause 0x1
	global_load_b32 v63, v[61:62], off
	global_load_b32 v64, v[59:60], off
	v_mov_b32_e32 v114, 0
	s_mov_b32 s3, exec_lo
	s_waitcnt vmcnt(0)
	v_cmpx_eq_u32_e64 v63, v64
	s_cbranch_execz .LBB1537_683
; %bb.677:
	v_add_co_u32 v59, vcc_lo, v59, 4
	v_add_co_ci_u32_e32 v60, vcc_lo, 0, v60, vcc_lo
	v_add_co_u32 v61, vcc_lo, v61, 4
	v_add_co_ci_u32_e32 v62, vcc_lo, 0, v62, vcc_lo
	s_add_u32 s12, s8, -1
	s_addc_u32 s13, s9, -1
	s_mov_b64 s[14:15], 0
	s_mov_b32 s18, 0
                                        ; implicit-def: $sgpr19
	s_set_inst_prefetch_distance 0x1
	s_branch .LBB1537_680
	.p2align	6
.LBB1537_678:                           ;   in Loop: Header=BB1537_680 Depth=1
	global_load_b32 v63, v[61:62], off
	global_load_b32 v64, v[59:60], off
	v_add_co_u32 v59, vcc_lo, v59, 4
	v_add_co_ci_u32_e32 v60, vcc_lo, 0, v60, vcc_lo
	v_add_co_u32 v61, s0, v61, 4
	s_delay_alu instid0(VALU_DEP_1)
	v_add_co_ci_u32_e64 v62, s0, 0, v62, s0
	s_add_u32 s14, s14, 1
	s_addc_u32 s15, s15, 0
	s_and_not1_b32 s0, s19, exec_lo
	s_waitcnt vmcnt(0)
	v_cmp_ne_u32_e32 vcc_lo, v63, v64
	s_and_b32 s19, vcc_lo, exec_lo
	s_delay_alu instid0(SALU_CYCLE_1)
	s_or_b32 s19, s0, s19
.LBB1537_679:                           ;   in Loop: Header=BB1537_680 Depth=1
	v_dual_mov_b32 v64, s15 :: v_dual_mov_b32 v63, s14
	s_and_b32 s0, exec_lo, s19
	s_delay_alu instid0(SALU_CYCLE_1) | instskip(NEXT) | instid1(SALU_CYCLE_1)
	s_or_b32 s18, s0, s18
	s_and_not1_b32 exec_lo, exec_lo, s18
	s_cbranch_execz .LBB1537_682
.LBB1537_680:                           ; =>This Inner Loop Header: Depth=1
	s_or_b32 s19, s19, exec_lo
	s_cmp_eq_u64 s[12:13], s[14:15]
	s_cbranch_scc0 .LBB1537_678
; %bb.681:                              ;   in Loop: Header=BB1537_680 Depth=1
	s_mov_b64 s[14:15], s[8:9]
                                        ; implicit-def: $vgpr59_vgpr60
                                        ; implicit-def: $vgpr61_vgpr62
	s_branch .LBB1537_679
.LBB1537_682:
	s_set_inst_prefetch_distance 0x2
	s_or_b32 exec_lo, exec_lo, s18
	v_cmp_gt_i64_e32 vcc_lo, s[8:9], v[63:64]
	s_mov_b32 s0, 0
	s_delay_alu instid0(SALU_CYCLE_1)
	v_mov_b32_e32 v114, s0
	v_cndmask_b32_e64 v113, 0, 1, vcc_lo
.LBB1537_683:
	s_or_b32 exec_lo, exec_lo, s3
.LBB1537_684:
	v_mul_lo_u32 v61, v10, s8
	v_mul_lo_u32 v62, v9, s9
	v_mad_u64_u32 v[59:60], null, v9, s8, 0
	v_mov_b32_e32 v119, 0
	v_mov_b32_e32 v120, 0
	v_cmp_ne_u32_e32 vcc_lo, 1, v65
	s_delay_alu instid0(VALU_DEP_2) | instskip(SKIP_1) | instid1(VALU_DEP_1)
	v_dual_mov_b32 v117, v119 :: v_dual_mov_b32 v118, v120
	v_add3_u32 v60, v60, v62, v61
	v_lshlrev_b64 v[59:60], 2, v[59:60]
	s_cbranch_vccnz .LBB1537_693
; %bb.685:
	v_add_co_u32 v61, vcc_lo, s10, v57
	v_add_co_ci_u32_e32 v62, vcc_lo, s11, v58, vcc_lo
	s_delay_alu instid0(VALU_DEP_3) | instskip(NEXT) | instid1(VALU_DEP_4)
	v_add_co_u32 v57, vcc_lo, s10, v59
	v_add_co_ci_u32_e32 v58, vcc_lo, s11, v60, vcc_lo
	v_mov_b32_e32 v117, 1
	s_clause 0x1
	global_load_b32 v63, v[61:62], off
	global_load_b32 v64, v[57:58], off
	v_mov_b32_e32 v118, 0
	s_mov_b32 s3, exec_lo
	s_waitcnt vmcnt(0)
	v_cmpx_eq_u32_e64 v63, v64
	s_cbranch_execz .LBB1537_692
; %bb.686:
	v_add_co_u32 v57, vcc_lo, v57, 4
	v_add_co_ci_u32_e32 v58, vcc_lo, 0, v58, vcc_lo
	v_add_co_u32 v61, vcc_lo, v61, 4
	v_add_co_ci_u32_e32 v62, vcc_lo, 0, v62, vcc_lo
	s_add_u32 s12, s8, -1
	s_addc_u32 s13, s9, -1
	s_mov_b64 s[14:15], 0
	s_mov_b32 s18, 0
                                        ; implicit-def: $sgpr19
	s_set_inst_prefetch_distance 0x1
	s_branch .LBB1537_689
	.p2align	6
.LBB1537_687:                           ;   in Loop: Header=BB1537_689 Depth=1
	global_load_b32 v63, v[61:62], off
	global_load_b32 v64, v[57:58], off
	v_add_co_u32 v57, vcc_lo, v57, 4
	v_add_co_ci_u32_e32 v58, vcc_lo, 0, v58, vcc_lo
	v_add_co_u32 v61, s0, v61, 4
	s_delay_alu instid0(VALU_DEP_1)
	v_add_co_ci_u32_e64 v62, s0, 0, v62, s0
	s_add_u32 s14, s14, 1
	s_addc_u32 s15, s15, 0
	s_and_not1_b32 s0, s19, exec_lo
	s_waitcnt vmcnt(0)
	v_cmp_ne_u32_e32 vcc_lo, v63, v64
	s_and_b32 s19, vcc_lo, exec_lo
	s_delay_alu instid0(SALU_CYCLE_1)
	s_or_b32 s19, s0, s19
.LBB1537_688:                           ;   in Loop: Header=BB1537_689 Depth=1
	v_dual_mov_b32 v64, s15 :: v_dual_mov_b32 v63, s14
	s_and_b32 s0, exec_lo, s19
	s_delay_alu instid0(SALU_CYCLE_1) | instskip(NEXT) | instid1(SALU_CYCLE_1)
	s_or_b32 s18, s0, s18
	s_and_not1_b32 exec_lo, exec_lo, s18
	s_cbranch_execz .LBB1537_691
.LBB1537_689:                           ; =>This Inner Loop Header: Depth=1
	s_or_b32 s19, s19, exec_lo
	s_cmp_eq_u64 s[12:13], s[14:15]
	s_cbranch_scc0 .LBB1537_687
; %bb.690:                              ;   in Loop: Header=BB1537_689 Depth=1
	s_mov_b64 s[14:15], s[8:9]
                                        ; implicit-def: $vgpr57_vgpr58
                                        ; implicit-def: $vgpr61_vgpr62
	s_branch .LBB1537_688
.LBB1537_691:
	s_set_inst_prefetch_distance 0x2
	s_or_b32 exec_lo, exec_lo, s18
	v_cmp_gt_i64_e32 vcc_lo, s[8:9], v[63:64]
	s_mov_b32 s0, 0
	s_delay_alu instid0(SALU_CYCLE_1)
	v_mov_b32_e32 v118, s0
	v_cndmask_b32_e64 v117, 0, 1, vcc_lo
.LBB1537_692:
	s_or_b32 exec_lo, exec_lo, s3
.LBB1537_693:
	v_mul_lo_u32 v61, v56, s8
	v_mul_lo_u32 v62, v55, s9
	v_mad_u64_u32 v[57:58], null, v55, s8, 0
	v_cmp_ne_u32_e32 vcc_lo, 1, v65
	s_delay_alu instid0(VALU_DEP_2) | instskip(NEXT) | instid1(VALU_DEP_1)
	v_add3_u32 v58, v58, v62, v61
	v_lshlrev_b64 v[57:58], 2, v[57:58]
	s_cbranch_vccnz .LBB1537_702
; %bb.694:
	v_add_co_u32 v61, vcc_lo, s10, v59
	v_add_co_ci_u32_e32 v62, vcc_lo, s11, v60, vcc_lo
	s_delay_alu instid0(VALU_DEP_3) | instskip(NEXT) | instid1(VALU_DEP_4)
	v_add_co_u32 v59, vcc_lo, s10, v57
	v_add_co_ci_u32_e32 v60, vcc_lo, s11, v58, vcc_lo
	v_mov_b32_e32 v119, 1
	s_clause 0x1
	global_load_b32 v63, v[61:62], off
	global_load_b32 v64, v[59:60], off
	v_mov_b32_e32 v120, 0
	s_mov_b32 s3, exec_lo
	s_waitcnt vmcnt(0)
	v_cmpx_eq_u32_e64 v63, v64
	s_cbranch_execz .LBB1537_701
; %bb.695:
	v_add_co_u32 v59, vcc_lo, v59, 4
	v_add_co_ci_u32_e32 v60, vcc_lo, 0, v60, vcc_lo
	v_add_co_u32 v61, vcc_lo, v61, 4
	v_add_co_ci_u32_e32 v62, vcc_lo, 0, v62, vcc_lo
	s_add_u32 s12, s8, -1
	s_addc_u32 s13, s9, -1
	s_mov_b64 s[14:15], 0
	s_mov_b32 s18, 0
                                        ; implicit-def: $sgpr19
	s_set_inst_prefetch_distance 0x1
	s_branch .LBB1537_698
	.p2align	6
.LBB1537_696:                           ;   in Loop: Header=BB1537_698 Depth=1
	global_load_b32 v63, v[61:62], off
	global_load_b32 v64, v[59:60], off
	v_add_co_u32 v59, vcc_lo, v59, 4
	v_add_co_ci_u32_e32 v60, vcc_lo, 0, v60, vcc_lo
	v_add_co_u32 v61, s0, v61, 4
	s_delay_alu instid0(VALU_DEP_1)
	v_add_co_ci_u32_e64 v62, s0, 0, v62, s0
	s_add_u32 s14, s14, 1
	s_addc_u32 s15, s15, 0
	s_and_not1_b32 s0, s19, exec_lo
	s_waitcnt vmcnt(0)
	v_cmp_ne_u32_e32 vcc_lo, v63, v64
	s_and_b32 s19, vcc_lo, exec_lo
	s_delay_alu instid0(SALU_CYCLE_1)
	s_or_b32 s19, s0, s19
.LBB1537_697:                           ;   in Loop: Header=BB1537_698 Depth=1
	v_dual_mov_b32 v64, s15 :: v_dual_mov_b32 v63, s14
	s_and_b32 s0, exec_lo, s19
	s_delay_alu instid0(SALU_CYCLE_1) | instskip(NEXT) | instid1(SALU_CYCLE_1)
	s_or_b32 s18, s0, s18
	s_and_not1_b32 exec_lo, exec_lo, s18
	s_cbranch_execz .LBB1537_700
.LBB1537_698:                           ; =>This Inner Loop Header: Depth=1
	s_or_b32 s19, s19, exec_lo
	s_cmp_eq_u64 s[12:13], s[14:15]
	s_cbranch_scc0 .LBB1537_696
; %bb.699:                              ;   in Loop: Header=BB1537_698 Depth=1
	s_mov_b64 s[14:15], s[8:9]
                                        ; implicit-def: $vgpr59_vgpr60
                                        ; implicit-def: $vgpr61_vgpr62
	s_branch .LBB1537_697
.LBB1537_700:
	s_set_inst_prefetch_distance 0x2
	s_or_b32 exec_lo, exec_lo, s18
	v_cmp_gt_i64_e32 vcc_lo, s[8:9], v[63:64]
	s_mov_b32 s0, 0
	s_delay_alu instid0(SALU_CYCLE_1)
	v_mov_b32_e32 v120, s0
	v_cndmask_b32_e64 v119, 0, 1, vcc_lo
.LBB1537_701:
	s_or_b32 exec_lo, exec_lo, s3
.LBB1537_702:
	v_mul_lo_u32 v61, v54, s8
	v_mul_lo_u32 v62, v53, s9
	v_mad_u64_u32 v[59:60], null, v53, s8, 0
	v_mov_b32_e32 v123, 0
	v_mov_b32_e32 v124, 0
	v_cmp_ne_u32_e32 vcc_lo, 1, v65
	s_delay_alu instid0(VALU_DEP_2) | instskip(SKIP_1) | instid1(VALU_DEP_1)
	v_dual_mov_b32 v121, v123 :: v_dual_mov_b32 v122, v124
	v_add3_u32 v60, v60, v62, v61
	v_lshlrev_b64 v[59:60], 2, v[59:60]
	s_cbranch_vccnz .LBB1537_711
; %bb.703:
	v_add_co_u32 v61, vcc_lo, s10, v57
	v_add_co_ci_u32_e32 v62, vcc_lo, s11, v58, vcc_lo
	s_delay_alu instid0(VALU_DEP_3) | instskip(NEXT) | instid1(VALU_DEP_4)
	v_add_co_u32 v57, vcc_lo, s10, v59
	v_add_co_ci_u32_e32 v58, vcc_lo, s11, v60, vcc_lo
	v_mov_b32_e32 v121, 1
	s_clause 0x1
	global_load_b32 v63, v[61:62], off
	global_load_b32 v64, v[57:58], off
	v_mov_b32_e32 v122, 0
	s_mov_b32 s3, exec_lo
	s_waitcnt vmcnt(0)
	v_cmpx_eq_u32_e64 v63, v64
	s_cbranch_execz .LBB1537_710
; %bb.704:
	v_add_co_u32 v57, vcc_lo, v57, 4
	v_add_co_ci_u32_e32 v58, vcc_lo, 0, v58, vcc_lo
	v_add_co_u32 v61, vcc_lo, v61, 4
	v_add_co_ci_u32_e32 v62, vcc_lo, 0, v62, vcc_lo
	s_add_u32 s12, s8, -1
	s_addc_u32 s13, s9, -1
	s_mov_b64 s[14:15], 0
	s_mov_b32 s18, 0
                                        ; implicit-def: $sgpr19
	s_set_inst_prefetch_distance 0x1
	s_branch .LBB1537_707
	.p2align	6
.LBB1537_705:                           ;   in Loop: Header=BB1537_707 Depth=1
	global_load_b32 v63, v[61:62], off
	global_load_b32 v64, v[57:58], off
	v_add_co_u32 v57, vcc_lo, v57, 4
	v_add_co_ci_u32_e32 v58, vcc_lo, 0, v58, vcc_lo
	v_add_co_u32 v61, s0, v61, 4
	s_delay_alu instid0(VALU_DEP_1)
	v_add_co_ci_u32_e64 v62, s0, 0, v62, s0
	s_add_u32 s14, s14, 1
	s_addc_u32 s15, s15, 0
	s_and_not1_b32 s0, s19, exec_lo
	s_waitcnt vmcnt(0)
	v_cmp_ne_u32_e32 vcc_lo, v63, v64
	s_and_b32 s19, vcc_lo, exec_lo
	s_delay_alu instid0(SALU_CYCLE_1)
	s_or_b32 s19, s0, s19
.LBB1537_706:                           ;   in Loop: Header=BB1537_707 Depth=1
	v_dual_mov_b32 v64, s15 :: v_dual_mov_b32 v63, s14
	s_and_b32 s0, exec_lo, s19
	s_delay_alu instid0(SALU_CYCLE_1) | instskip(NEXT) | instid1(SALU_CYCLE_1)
	s_or_b32 s18, s0, s18
	s_and_not1_b32 exec_lo, exec_lo, s18
	s_cbranch_execz .LBB1537_709
.LBB1537_707:                           ; =>This Inner Loop Header: Depth=1
	s_or_b32 s19, s19, exec_lo
	s_cmp_eq_u64 s[12:13], s[14:15]
	s_cbranch_scc0 .LBB1537_705
; %bb.708:                              ;   in Loop: Header=BB1537_707 Depth=1
	s_mov_b64 s[14:15], s[8:9]
                                        ; implicit-def: $vgpr57_vgpr58
                                        ; implicit-def: $vgpr61_vgpr62
	s_branch .LBB1537_706
.LBB1537_709:
	s_set_inst_prefetch_distance 0x2
	s_or_b32 exec_lo, exec_lo, s18
	v_cmp_gt_i64_e32 vcc_lo, s[8:9], v[63:64]
	s_mov_b32 s0, 0
	s_delay_alu instid0(SALU_CYCLE_1)
	v_mov_b32_e32 v122, s0
	v_cndmask_b32_e64 v121, 0, 1, vcc_lo
.LBB1537_710:
	s_or_b32 exec_lo, exec_lo, s3
.LBB1537_711:
	v_mul_lo_u32 v61, v52, s8
	v_mul_lo_u32 v62, v51, s9
	v_mad_u64_u32 v[57:58], null, v51, s8, 0
	v_cmp_ne_u32_e32 vcc_lo, 1, v65
	s_delay_alu instid0(VALU_DEP_2) | instskip(NEXT) | instid1(VALU_DEP_1)
	v_add3_u32 v58, v58, v62, v61
	v_lshlrev_b64 v[57:58], 2, v[57:58]
	s_cbranch_vccnz .LBB1537_720
; %bb.712:
	v_add_co_u32 v61, vcc_lo, s10, v59
	v_add_co_ci_u32_e32 v62, vcc_lo, s11, v60, vcc_lo
	s_delay_alu instid0(VALU_DEP_3) | instskip(NEXT) | instid1(VALU_DEP_4)
	v_add_co_u32 v59, vcc_lo, s10, v57
	v_add_co_ci_u32_e32 v60, vcc_lo, s11, v58, vcc_lo
	v_mov_b32_e32 v123, 1
	s_clause 0x1
	global_load_b32 v63, v[61:62], off
	global_load_b32 v64, v[59:60], off
	v_mov_b32_e32 v124, 0
	s_mov_b32 s3, exec_lo
	s_waitcnt vmcnt(0)
	v_cmpx_eq_u32_e64 v63, v64
	s_cbranch_execz .LBB1537_719
; %bb.713:
	v_add_co_u32 v59, vcc_lo, v59, 4
	v_add_co_ci_u32_e32 v60, vcc_lo, 0, v60, vcc_lo
	v_add_co_u32 v61, vcc_lo, v61, 4
	v_add_co_ci_u32_e32 v62, vcc_lo, 0, v62, vcc_lo
	s_add_u32 s12, s8, -1
	s_addc_u32 s13, s9, -1
	s_mov_b64 s[14:15], 0
	s_mov_b32 s18, 0
                                        ; implicit-def: $sgpr19
	s_set_inst_prefetch_distance 0x1
	s_branch .LBB1537_716
	.p2align	6
.LBB1537_714:                           ;   in Loop: Header=BB1537_716 Depth=1
	global_load_b32 v63, v[61:62], off
	global_load_b32 v64, v[59:60], off
	v_add_co_u32 v59, vcc_lo, v59, 4
	v_add_co_ci_u32_e32 v60, vcc_lo, 0, v60, vcc_lo
	v_add_co_u32 v61, s0, v61, 4
	s_delay_alu instid0(VALU_DEP_1)
	v_add_co_ci_u32_e64 v62, s0, 0, v62, s0
	s_add_u32 s14, s14, 1
	s_addc_u32 s15, s15, 0
	s_and_not1_b32 s0, s19, exec_lo
	s_waitcnt vmcnt(0)
	v_cmp_ne_u32_e32 vcc_lo, v63, v64
	s_and_b32 s19, vcc_lo, exec_lo
	s_delay_alu instid0(SALU_CYCLE_1)
	s_or_b32 s19, s0, s19
.LBB1537_715:                           ;   in Loop: Header=BB1537_716 Depth=1
	v_dual_mov_b32 v64, s15 :: v_dual_mov_b32 v63, s14
	s_and_b32 s0, exec_lo, s19
	s_delay_alu instid0(SALU_CYCLE_1) | instskip(NEXT) | instid1(SALU_CYCLE_1)
	s_or_b32 s18, s0, s18
	s_and_not1_b32 exec_lo, exec_lo, s18
	s_cbranch_execz .LBB1537_718
.LBB1537_716:                           ; =>This Inner Loop Header: Depth=1
	s_or_b32 s19, s19, exec_lo
	s_cmp_eq_u64 s[12:13], s[14:15]
	s_cbranch_scc0 .LBB1537_714
; %bb.717:                              ;   in Loop: Header=BB1537_716 Depth=1
	s_mov_b64 s[14:15], s[8:9]
                                        ; implicit-def: $vgpr59_vgpr60
                                        ; implicit-def: $vgpr61_vgpr62
	s_branch .LBB1537_715
.LBB1537_718:
	s_set_inst_prefetch_distance 0x2
	s_or_b32 exec_lo, exec_lo, s18
	v_cmp_gt_i64_e32 vcc_lo, s[8:9], v[63:64]
	s_mov_b32 s0, 0
	s_delay_alu instid0(SALU_CYCLE_1)
	v_mov_b32_e32 v124, s0
	v_cndmask_b32_e64 v123, 0, 1, vcc_lo
.LBB1537_719:
	s_or_b32 exec_lo, exec_lo, s3
.LBB1537_720:
	v_mul_lo_u32 v61, v50, s8
	v_mul_lo_u32 v62, v49, s9
	v_mad_u64_u32 v[59:60], null, v49, s8, 0
	v_mov_b32_e32 v127, 0
	v_mov_b32_e32 v128, 0
	v_cmp_ne_u32_e32 vcc_lo, 1, v65
	s_delay_alu instid0(VALU_DEP_2) | instskip(SKIP_1) | instid1(VALU_DEP_1)
	v_dual_mov_b32 v125, v127 :: v_dual_mov_b32 v126, v128
	v_add3_u32 v60, v60, v62, v61
	v_lshlrev_b64 v[59:60], 2, v[59:60]
	s_cbranch_vccnz .LBB1537_729
; %bb.721:
	v_add_co_u32 v61, vcc_lo, s10, v57
	v_add_co_ci_u32_e32 v62, vcc_lo, s11, v58, vcc_lo
	s_delay_alu instid0(VALU_DEP_3) | instskip(NEXT) | instid1(VALU_DEP_4)
	v_add_co_u32 v57, vcc_lo, s10, v59
	v_add_co_ci_u32_e32 v58, vcc_lo, s11, v60, vcc_lo
	v_mov_b32_e32 v125, 1
	s_clause 0x1
	global_load_b32 v63, v[61:62], off
	global_load_b32 v64, v[57:58], off
	v_mov_b32_e32 v126, 0
	s_mov_b32 s3, exec_lo
	s_waitcnt vmcnt(0)
	v_cmpx_eq_u32_e64 v63, v64
	s_cbranch_execz .LBB1537_728
; %bb.722:
	v_add_co_u32 v57, vcc_lo, v57, 4
	v_add_co_ci_u32_e32 v58, vcc_lo, 0, v58, vcc_lo
	v_add_co_u32 v61, vcc_lo, v61, 4
	v_add_co_ci_u32_e32 v62, vcc_lo, 0, v62, vcc_lo
	s_add_u32 s12, s8, -1
	s_addc_u32 s13, s9, -1
	s_mov_b64 s[14:15], 0
	s_mov_b32 s18, 0
                                        ; implicit-def: $sgpr19
	s_set_inst_prefetch_distance 0x1
	s_branch .LBB1537_725
	.p2align	6
.LBB1537_723:                           ;   in Loop: Header=BB1537_725 Depth=1
	global_load_b32 v63, v[61:62], off
	global_load_b32 v64, v[57:58], off
	v_add_co_u32 v57, vcc_lo, v57, 4
	v_add_co_ci_u32_e32 v58, vcc_lo, 0, v58, vcc_lo
	v_add_co_u32 v61, s0, v61, 4
	s_delay_alu instid0(VALU_DEP_1)
	v_add_co_ci_u32_e64 v62, s0, 0, v62, s0
	s_add_u32 s14, s14, 1
	s_addc_u32 s15, s15, 0
	s_and_not1_b32 s0, s19, exec_lo
	s_waitcnt vmcnt(0)
	v_cmp_ne_u32_e32 vcc_lo, v63, v64
	s_and_b32 s19, vcc_lo, exec_lo
	s_delay_alu instid0(SALU_CYCLE_1)
	s_or_b32 s19, s0, s19
.LBB1537_724:                           ;   in Loop: Header=BB1537_725 Depth=1
	v_dual_mov_b32 v64, s15 :: v_dual_mov_b32 v63, s14
	s_and_b32 s0, exec_lo, s19
	s_delay_alu instid0(SALU_CYCLE_1) | instskip(NEXT) | instid1(SALU_CYCLE_1)
	s_or_b32 s18, s0, s18
	s_and_not1_b32 exec_lo, exec_lo, s18
	s_cbranch_execz .LBB1537_727
.LBB1537_725:                           ; =>This Inner Loop Header: Depth=1
	s_or_b32 s19, s19, exec_lo
	s_cmp_eq_u64 s[12:13], s[14:15]
	s_cbranch_scc0 .LBB1537_723
; %bb.726:                              ;   in Loop: Header=BB1537_725 Depth=1
	s_mov_b64 s[14:15], s[8:9]
                                        ; implicit-def: $vgpr57_vgpr58
                                        ; implicit-def: $vgpr61_vgpr62
	s_branch .LBB1537_724
.LBB1537_727:
	s_set_inst_prefetch_distance 0x2
	s_or_b32 exec_lo, exec_lo, s18
	v_cmp_gt_i64_e32 vcc_lo, s[8:9], v[63:64]
	s_mov_b32 s0, 0
	s_delay_alu instid0(SALU_CYCLE_1)
	v_mov_b32_e32 v126, s0
	v_cndmask_b32_e64 v125, 0, 1, vcc_lo
.LBB1537_728:
	s_or_b32 exec_lo, exec_lo, s3
.LBB1537_729:
	v_mul_lo_u32 v61, v48, s8
	v_mul_lo_u32 v62, v47, s9
	v_mad_u64_u32 v[57:58], null, v47, s8, 0
	v_cmp_ne_u32_e32 vcc_lo, 1, v65
	s_delay_alu instid0(VALU_DEP_2) | instskip(NEXT) | instid1(VALU_DEP_1)
	v_add3_u32 v58, v58, v62, v61
	v_lshlrev_b64 v[57:58], 2, v[57:58]
	s_cbranch_vccnz .LBB1537_738
; %bb.730:
	v_add_co_u32 v61, vcc_lo, s10, v59
	v_add_co_ci_u32_e32 v62, vcc_lo, s11, v60, vcc_lo
	s_delay_alu instid0(VALU_DEP_3) | instskip(NEXT) | instid1(VALU_DEP_4)
	v_add_co_u32 v59, vcc_lo, s10, v57
	v_add_co_ci_u32_e32 v60, vcc_lo, s11, v58, vcc_lo
	v_mov_b32_e32 v127, 1
	s_clause 0x1
	global_load_b32 v63, v[61:62], off
	global_load_b32 v64, v[59:60], off
	v_mov_b32_e32 v128, 0
	s_mov_b32 s3, exec_lo
	s_waitcnt vmcnt(0)
	v_cmpx_eq_u32_e64 v63, v64
	s_cbranch_execz .LBB1537_737
; %bb.731:
	v_add_co_u32 v59, vcc_lo, v59, 4
	v_add_co_ci_u32_e32 v60, vcc_lo, 0, v60, vcc_lo
	v_add_co_u32 v61, vcc_lo, v61, 4
	v_add_co_ci_u32_e32 v62, vcc_lo, 0, v62, vcc_lo
	s_add_u32 s12, s8, -1
	s_addc_u32 s13, s9, -1
	s_mov_b64 s[14:15], 0
	s_mov_b32 s18, 0
                                        ; implicit-def: $sgpr19
	s_set_inst_prefetch_distance 0x1
	s_branch .LBB1537_734
	.p2align	6
.LBB1537_732:                           ;   in Loop: Header=BB1537_734 Depth=1
	global_load_b32 v63, v[61:62], off
	global_load_b32 v64, v[59:60], off
	v_add_co_u32 v59, vcc_lo, v59, 4
	v_add_co_ci_u32_e32 v60, vcc_lo, 0, v60, vcc_lo
	v_add_co_u32 v61, s0, v61, 4
	s_delay_alu instid0(VALU_DEP_1)
	v_add_co_ci_u32_e64 v62, s0, 0, v62, s0
	s_add_u32 s14, s14, 1
	s_addc_u32 s15, s15, 0
	s_and_not1_b32 s0, s19, exec_lo
	s_waitcnt vmcnt(0)
	v_cmp_ne_u32_e32 vcc_lo, v63, v64
	s_and_b32 s19, vcc_lo, exec_lo
	s_delay_alu instid0(SALU_CYCLE_1)
	s_or_b32 s19, s0, s19
.LBB1537_733:                           ;   in Loop: Header=BB1537_734 Depth=1
	v_dual_mov_b32 v64, s15 :: v_dual_mov_b32 v63, s14
	s_and_b32 s0, exec_lo, s19
	s_delay_alu instid0(SALU_CYCLE_1) | instskip(NEXT) | instid1(SALU_CYCLE_1)
	s_or_b32 s18, s0, s18
	s_and_not1_b32 exec_lo, exec_lo, s18
	s_cbranch_execz .LBB1537_736
.LBB1537_734:                           ; =>This Inner Loop Header: Depth=1
	s_or_b32 s19, s19, exec_lo
	s_cmp_eq_u64 s[12:13], s[14:15]
	s_cbranch_scc0 .LBB1537_732
; %bb.735:                              ;   in Loop: Header=BB1537_734 Depth=1
	s_mov_b64 s[14:15], s[8:9]
                                        ; implicit-def: $vgpr59_vgpr60
                                        ; implicit-def: $vgpr61_vgpr62
	s_branch .LBB1537_733
.LBB1537_736:
	s_set_inst_prefetch_distance 0x2
	s_or_b32 exec_lo, exec_lo, s18
	v_cmp_gt_i64_e32 vcc_lo, s[8:9], v[63:64]
	s_mov_b32 s0, 0
	s_delay_alu instid0(SALU_CYCLE_1)
	v_mov_b32_e32 v128, s0
	v_cndmask_b32_e64 v127, 0, 1, vcc_lo
.LBB1537_737:
	s_or_b32 exec_lo, exec_lo, s3
.LBB1537_738:
	v_mul_lo_u32 v61, v46, s8
	v_mul_lo_u32 v62, v45, s9
	v_mad_u64_u32 v[59:60], null, v45, s8, 0
	v_mov_b32_e32 v131, 0
	v_mov_b32_e32 v132, 0
	v_cmp_ne_u32_e32 vcc_lo, 1, v65
	s_delay_alu instid0(VALU_DEP_2) | instskip(SKIP_1) | instid1(VALU_DEP_1)
	v_dual_mov_b32 v129, v131 :: v_dual_mov_b32 v130, v132
	v_add3_u32 v60, v60, v62, v61
	v_lshlrev_b64 v[59:60], 2, v[59:60]
	s_cbranch_vccnz .LBB1537_747
; %bb.739:
	v_add_co_u32 v61, vcc_lo, s10, v57
	v_add_co_ci_u32_e32 v62, vcc_lo, s11, v58, vcc_lo
	s_delay_alu instid0(VALU_DEP_3) | instskip(NEXT) | instid1(VALU_DEP_4)
	v_add_co_u32 v57, vcc_lo, s10, v59
	v_add_co_ci_u32_e32 v58, vcc_lo, s11, v60, vcc_lo
	v_mov_b32_e32 v129, 1
	s_clause 0x1
	global_load_b32 v63, v[61:62], off
	global_load_b32 v64, v[57:58], off
	v_mov_b32_e32 v130, 0
	s_mov_b32 s3, exec_lo
	s_waitcnt vmcnt(0)
	v_cmpx_eq_u32_e64 v63, v64
	s_cbranch_execz .LBB1537_746
; %bb.740:
	v_add_co_u32 v57, vcc_lo, v57, 4
	v_add_co_ci_u32_e32 v58, vcc_lo, 0, v58, vcc_lo
	v_add_co_u32 v61, vcc_lo, v61, 4
	v_add_co_ci_u32_e32 v62, vcc_lo, 0, v62, vcc_lo
	s_add_u32 s12, s8, -1
	s_addc_u32 s13, s9, -1
	s_mov_b64 s[14:15], 0
	s_mov_b32 s18, 0
                                        ; implicit-def: $sgpr19
	s_set_inst_prefetch_distance 0x1
	s_branch .LBB1537_743
	.p2align	6
.LBB1537_741:                           ;   in Loop: Header=BB1537_743 Depth=1
	global_load_b32 v63, v[61:62], off
	global_load_b32 v64, v[57:58], off
	v_add_co_u32 v57, vcc_lo, v57, 4
	v_add_co_ci_u32_e32 v58, vcc_lo, 0, v58, vcc_lo
	v_add_co_u32 v61, s0, v61, 4
	s_delay_alu instid0(VALU_DEP_1)
	v_add_co_ci_u32_e64 v62, s0, 0, v62, s0
	s_add_u32 s14, s14, 1
	s_addc_u32 s15, s15, 0
	s_and_not1_b32 s0, s19, exec_lo
	s_waitcnt vmcnt(0)
	v_cmp_ne_u32_e32 vcc_lo, v63, v64
	s_and_b32 s19, vcc_lo, exec_lo
	s_delay_alu instid0(SALU_CYCLE_1)
	s_or_b32 s19, s0, s19
.LBB1537_742:                           ;   in Loop: Header=BB1537_743 Depth=1
	v_dual_mov_b32 v64, s15 :: v_dual_mov_b32 v63, s14
	s_and_b32 s0, exec_lo, s19
	s_delay_alu instid0(SALU_CYCLE_1) | instskip(NEXT) | instid1(SALU_CYCLE_1)
	s_or_b32 s18, s0, s18
	s_and_not1_b32 exec_lo, exec_lo, s18
	s_cbranch_execz .LBB1537_745
.LBB1537_743:                           ; =>This Inner Loop Header: Depth=1
	s_or_b32 s19, s19, exec_lo
	s_cmp_eq_u64 s[12:13], s[14:15]
	s_cbranch_scc0 .LBB1537_741
; %bb.744:                              ;   in Loop: Header=BB1537_743 Depth=1
	s_mov_b64 s[14:15], s[8:9]
                                        ; implicit-def: $vgpr57_vgpr58
                                        ; implicit-def: $vgpr61_vgpr62
	s_branch .LBB1537_742
.LBB1537_745:
	s_set_inst_prefetch_distance 0x2
	s_or_b32 exec_lo, exec_lo, s18
	v_cmp_gt_i64_e32 vcc_lo, s[8:9], v[63:64]
	s_mov_b32 s0, 0
	s_delay_alu instid0(SALU_CYCLE_1)
	v_mov_b32_e32 v130, s0
	v_cndmask_b32_e64 v129, 0, 1, vcc_lo
.LBB1537_746:
	s_or_b32 exec_lo, exec_lo, s3
.LBB1537_747:
	v_mul_lo_u32 v61, v44, s8
	v_mul_lo_u32 v62, v43, s9
	v_mad_u64_u32 v[57:58], null, v43, s8, 0
	v_cmp_ne_u32_e32 vcc_lo, 1, v65
	s_delay_alu instid0(VALU_DEP_2) | instskip(NEXT) | instid1(VALU_DEP_1)
	v_add3_u32 v58, v58, v62, v61
	v_lshlrev_b64 v[57:58], 2, v[57:58]
	s_cbranch_vccnz .LBB1537_756
; %bb.748:
	v_add_co_u32 v61, vcc_lo, s10, v59
	v_add_co_ci_u32_e32 v62, vcc_lo, s11, v60, vcc_lo
	s_delay_alu instid0(VALU_DEP_3) | instskip(NEXT) | instid1(VALU_DEP_4)
	v_add_co_u32 v59, vcc_lo, s10, v57
	v_add_co_ci_u32_e32 v60, vcc_lo, s11, v58, vcc_lo
	v_mov_b32_e32 v131, 1
	s_clause 0x1
	global_load_b32 v63, v[61:62], off
	global_load_b32 v64, v[59:60], off
	v_mov_b32_e32 v132, 0
	s_mov_b32 s3, exec_lo
	s_waitcnt vmcnt(0)
	v_cmpx_eq_u32_e64 v63, v64
	s_cbranch_execz .LBB1537_755
; %bb.749:
	v_add_co_u32 v59, vcc_lo, v59, 4
	v_add_co_ci_u32_e32 v60, vcc_lo, 0, v60, vcc_lo
	v_add_co_u32 v61, vcc_lo, v61, 4
	v_add_co_ci_u32_e32 v62, vcc_lo, 0, v62, vcc_lo
	s_add_u32 s12, s8, -1
	s_addc_u32 s13, s9, -1
	s_mov_b64 s[14:15], 0
	s_mov_b32 s18, 0
                                        ; implicit-def: $sgpr19
	s_set_inst_prefetch_distance 0x1
	s_branch .LBB1537_752
	.p2align	6
.LBB1537_750:                           ;   in Loop: Header=BB1537_752 Depth=1
	global_load_b32 v63, v[61:62], off
	global_load_b32 v64, v[59:60], off
	v_add_co_u32 v59, vcc_lo, v59, 4
	v_add_co_ci_u32_e32 v60, vcc_lo, 0, v60, vcc_lo
	v_add_co_u32 v61, s0, v61, 4
	s_delay_alu instid0(VALU_DEP_1)
	v_add_co_ci_u32_e64 v62, s0, 0, v62, s0
	s_add_u32 s14, s14, 1
	s_addc_u32 s15, s15, 0
	s_and_not1_b32 s0, s19, exec_lo
	s_waitcnt vmcnt(0)
	v_cmp_ne_u32_e32 vcc_lo, v63, v64
	s_and_b32 s19, vcc_lo, exec_lo
	s_delay_alu instid0(SALU_CYCLE_1)
	s_or_b32 s19, s0, s19
.LBB1537_751:                           ;   in Loop: Header=BB1537_752 Depth=1
	v_dual_mov_b32 v64, s15 :: v_dual_mov_b32 v63, s14
	s_and_b32 s0, exec_lo, s19
	s_delay_alu instid0(SALU_CYCLE_1) | instskip(NEXT) | instid1(SALU_CYCLE_1)
	s_or_b32 s18, s0, s18
	s_and_not1_b32 exec_lo, exec_lo, s18
	s_cbranch_execz .LBB1537_754
.LBB1537_752:                           ; =>This Inner Loop Header: Depth=1
	s_or_b32 s19, s19, exec_lo
	s_cmp_eq_u64 s[12:13], s[14:15]
	s_cbranch_scc0 .LBB1537_750
; %bb.753:                              ;   in Loop: Header=BB1537_752 Depth=1
	s_mov_b64 s[14:15], s[8:9]
                                        ; implicit-def: $vgpr59_vgpr60
                                        ; implicit-def: $vgpr61_vgpr62
	s_branch .LBB1537_751
.LBB1537_754:
	s_set_inst_prefetch_distance 0x2
	s_or_b32 exec_lo, exec_lo, s18
	v_cmp_gt_i64_e32 vcc_lo, s[8:9], v[63:64]
	s_mov_b32 s0, 0
	s_delay_alu instid0(SALU_CYCLE_1)
	v_mov_b32_e32 v132, s0
	v_cndmask_b32_e64 v131, 0, 1, vcc_lo
.LBB1537_755:
	s_or_b32 exec_lo, exec_lo, s3
.LBB1537_756:
	v_mul_lo_u32 v61, v42, s8
	v_mul_lo_u32 v62, v41, s9
	v_mad_u64_u32 v[59:60], null, v41, s8, 0
	v_mov_b32_e32 v135, 0
	v_mov_b32_e32 v136, 0
	v_cmp_ne_u32_e32 vcc_lo, 1, v65
	s_delay_alu instid0(VALU_DEP_2) | instskip(SKIP_1) | instid1(VALU_DEP_1)
	v_dual_mov_b32 v133, v135 :: v_dual_mov_b32 v134, v136
	v_add3_u32 v60, v60, v62, v61
	v_lshlrev_b64 v[59:60], 2, v[59:60]
	s_cbranch_vccnz .LBB1537_765
; %bb.757:
	v_add_co_u32 v61, vcc_lo, s10, v57
	v_add_co_ci_u32_e32 v62, vcc_lo, s11, v58, vcc_lo
	s_delay_alu instid0(VALU_DEP_3) | instskip(NEXT) | instid1(VALU_DEP_4)
	v_add_co_u32 v57, vcc_lo, s10, v59
	v_add_co_ci_u32_e32 v58, vcc_lo, s11, v60, vcc_lo
	v_mov_b32_e32 v133, 1
	s_clause 0x1
	global_load_b32 v63, v[61:62], off
	global_load_b32 v64, v[57:58], off
	v_mov_b32_e32 v134, 0
	s_mov_b32 s3, exec_lo
	s_waitcnt vmcnt(0)
	v_cmpx_eq_u32_e64 v63, v64
	s_cbranch_execz .LBB1537_764
; %bb.758:
	v_add_co_u32 v57, vcc_lo, v57, 4
	v_add_co_ci_u32_e32 v58, vcc_lo, 0, v58, vcc_lo
	v_add_co_u32 v61, vcc_lo, v61, 4
	v_add_co_ci_u32_e32 v62, vcc_lo, 0, v62, vcc_lo
	s_add_u32 s12, s8, -1
	s_addc_u32 s13, s9, -1
	s_mov_b64 s[14:15], 0
	s_mov_b32 s18, 0
                                        ; implicit-def: $sgpr19
	s_set_inst_prefetch_distance 0x1
	s_branch .LBB1537_761
	.p2align	6
.LBB1537_759:                           ;   in Loop: Header=BB1537_761 Depth=1
	global_load_b32 v63, v[61:62], off
	global_load_b32 v64, v[57:58], off
	v_add_co_u32 v57, vcc_lo, v57, 4
	v_add_co_ci_u32_e32 v58, vcc_lo, 0, v58, vcc_lo
	v_add_co_u32 v61, s0, v61, 4
	s_delay_alu instid0(VALU_DEP_1)
	v_add_co_ci_u32_e64 v62, s0, 0, v62, s0
	s_add_u32 s14, s14, 1
	s_addc_u32 s15, s15, 0
	s_and_not1_b32 s0, s19, exec_lo
	s_waitcnt vmcnt(0)
	v_cmp_ne_u32_e32 vcc_lo, v63, v64
	s_and_b32 s19, vcc_lo, exec_lo
	s_delay_alu instid0(SALU_CYCLE_1)
	s_or_b32 s19, s0, s19
.LBB1537_760:                           ;   in Loop: Header=BB1537_761 Depth=1
	v_dual_mov_b32 v64, s15 :: v_dual_mov_b32 v63, s14
	s_and_b32 s0, exec_lo, s19
	s_delay_alu instid0(SALU_CYCLE_1) | instskip(NEXT) | instid1(SALU_CYCLE_1)
	s_or_b32 s18, s0, s18
	s_and_not1_b32 exec_lo, exec_lo, s18
	s_cbranch_execz .LBB1537_763
.LBB1537_761:                           ; =>This Inner Loop Header: Depth=1
	s_or_b32 s19, s19, exec_lo
	s_cmp_eq_u64 s[12:13], s[14:15]
	s_cbranch_scc0 .LBB1537_759
; %bb.762:                              ;   in Loop: Header=BB1537_761 Depth=1
	s_mov_b64 s[14:15], s[8:9]
                                        ; implicit-def: $vgpr57_vgpr58
                                        ; implicit-def: $vgpr61_vgpr62
	s_branch .LBB1537_760
.LBB1537_763:
	s_set_inst_prefetch_distance 0x2
	s_or_b32 exec_lo, exec_lo, s18
	v_cmp_gt_i64_e32 vcc_lo, s[8:9], v[63:64]
	s_mov_b32 s0, 0
	s_delay_alu instid0(SALU_CYCLE_1)
	v_mov_b32_e32 v134, s0
	v_cndmask_b32_e64 v133, 0, 1, vcc_lo
.LBB1537_764:
	s_or_b32 exec_lo, exec_lo, s3
.LBB1537_765:
	v_mul_lo_u32 v61, v40, s8
	v_mul_lo_u32 v62, v39, s9
	v_mad_u64_u32 v[57:58], null, v39, s8, 0
	v_cmp_ne_u32_e32 vcc_lo, 1, v65
	s_delay_alu instid0(VALU_DEP_2) | instskip(NEXT) | instid1(VALU_DEP_1)
	v_add3_u32 v58, v58, v62, v61
	v_lshlrev_b64 v[57:58], 2, v[57:58]
	s_cbranch_vccnz .LBB1537_774
; %bb.766:
	v_add_co_u32 v61, vcc_lo, s10, v59
	v_add_co_ci_u32_e32 v62, vcc_lo, s11, v60, vcc_lo
	s_delay_alu instid0(VALU_DEP_3) | instskip(NEXT) | instid1(VALU_DEP_4)
	v_add_co_u32 v59, vcc_lo, s10, v57
	v_add_co_ci_u32_e32 v60, vcc_lo, s11, v58, vcc_lo
	v_mov_b32_e32 v135, 1
	s_clause 0x1
	global_load_b32 v63, v[61:62], off
	global_load_b32 v64, v[59:60], off
	v_mov_b32_e32 v136, 0
	s_mov_b32 s3, exec_lo
	s_waitcnt vmcnt(0)
	v_cmpx_eq_u32_e64 v63, v64
	s_cbranch_execz .LBB1537_773
; %bb.767:
	v_add_co_u32 v59, vcc_lo, v59, 4
	v_add_co_ci_u32_e32 v60, vcc_lo, 0, v60, vcc_lo
	v_add_co_u32 v61, vcc_lo, v61, 4
	v_add_co_ci_u32_e32 v62, vcc_lo, 0, v62, vcc_lo
	s_add_u32 s12, s8, -1
	s_addc_u32 s13, s9, -1
	s_mov_b64 s[14:15], 0
	s_mov_b32 s18, 0
                                        ; implicit-def: $sgpr19
	s_set_inst_prefetch_distance 0x1
	s_branch .LBB1537_770
	.p2align	6
.LBB1537_768:                           ;   in Loop: Header=BB1537_770 Depth=1
	global_load_b32 v63, v[61:62], off
	global_load_b32 v64, v[59:60], off
	v_add_co_u32 v59, vcc_lo, v59, 4
	v_add_co_ci_u32_e32 v60, vcc_lo, 0, v60, vcc_lo
	v_add_co_u32 v61, s0, v61, 4
	s_delay_alu instid0(VALU_DEP_1)
	v_add_co_ci_u32_e64 v62, s0, 0, v62, s0
	s_add_u32 s14, s14, 1
	s_addc_u32 s15, s15, 0
	s_and_not1_b32 s0, s19, exec_lo
	s_waitcnt vmcnt(0)
	v_cmp_ne_u32_e32 vcc_lo, v63, v64
	s_and_b32 s19, vcc_lo, exec_lo
	s_delay_alu instid0(SALU_CYCLE_1)
	s_or_b32 s19, s0, s19
.LBB1537_769:                           ;   in Loop: Header=BB1537_770 Depth=1
	v_dual_mov_b32 v64, s15 :: v_dual_mov_b32 v63, s14
	s_and_b32 s0, exec_lo, s19
	s_delay_alu instid0(SALU_CYCLE_1) | instskip(NEXT) | instid1(SALU_CYCLE_1)
	s_or_b32 s18, s0, s18
	s_and_not1_b32 exec_lo, exec_lo, s18
	s_cbranch_execz .LBB1537_772
.LBB1537_770:                           ; =>This Inner Loop Header: Depth=1
	s_or_b32 s19, s19, exec_lo
	s_cmp_eq_u64 s[12:13], s[14:15]
	s_cbranch_scc0 .LBB1537_768
; %bb.771:                              ;   in Loop: Header=BB1537_770 Depth=1
	s_mov_b64 s[14:15], s[8:9]
                                        ; implicit-def: $vgpr59_vgpr60
                                        ; implicit-def: $vgpr61_vgpr62
	s_branch .LBB1537_769
.LBB1537_772:
	s_set_inst_prefetch_distance 0x2
	s_or_b32 exec_lo, exec_lo, s18
	v_cmp_gt_i64_e32 vcc_lo, s[8:9], v[63:64]
	s_mov_b32 s0, 0
	s_delay_alu instid0(SALU_CYCLE_1)
	v_mov_b32_e32 v136, s0
	v_cndmask_b32_e64 v135, 0, 1, vcc_lo
.LBB1537_773:
	s_or_b32 exec_lo, exec_lo, s3
.LBB1537_774:
	v_mul_lo_u32 v61, v38, s8
	v_mul_lo_u32 v62, v37, s9
	v_mad_u64_u32 v[59:60], null, v37, s8, 0
	v_mov_b32_e32 v139, 0
	v_mov_b32_e32 v140, 0
	v_cmp_ne_u32_e32 vcc_lo, 1, v65
	s_delay_alu instid0(VALU_DEP_2) | instskip(SKIP_1) | instid1(VALU_DEP_1)
	v_dual_mov_b32 v137, v139 :: v_dual_mov_b32 v138, v140
	v_add3_u32 v60, v60, v62, v61
	v_lshlrev_b64 v[59:60], 2, v[59:60]
	s_cbranch_vccnz .LBB1537_783
; %bb.775:
	v_add_co_u32 v61, vcc_lo, s10, v57
	v_add_co_ci_u32_e32 v62, vcc_lo, s11, v58, vcc_lo
	s_delay_alu instid0(VALU_DEP_3) | instskip(NEXT) | instid1(VALU_DEP_4)
	v_add_co_u32 v57, vcc_lo, s10, v59
	v_add_co_ci_u32_e32 v58, vcc_lo, s11, v60, vcc_lo
	v_mov_b32_e32 v137, 1
	s_clause 0x1
	global_load_b32 v63, v[61:62], off
	global_load_b32 v64, v[57:58], off
	v_mov_b32_e32 v138, 0
	s_mov_b32 s3, exec_lo
	s_waitcnt vmcnt(0)
	v_cmpx_eq_u32_e64 v63, v64
	s_cbranch_execz .LBB1537_782
; %bb.776:
	v_add_co_u32 v57, vcc_lo, v57, 4
	v_add_co_ci_u32_e32 v58, vcc_lo, 0, v58, vcc_lo
	v_add_co_u32 v61, vcc_lo, v61, 4
	v_add_co_ci_u32_e32 v62, vcc_lo, 0, v62, vcc_lo
	s_add_u32 s12, s8, -1
	s_addc_u32 s13, s9, -1
	s_mov_b64 s[14:15], 0
	s_mov_b32 s18, 0
                                        ; implicit-def: $sgpr19
	s_set_inst_prefetch_distance 0x1
	s_branch .LBB1537_779
	.p2align	6
.LBB1537_777:                           ;   in Loop: Header=BB1537_779 Depth=1
	global_load_b32 v63, v[61:62], off
	global_load_b32 v64, v[57:58], off
	v_add_co_u32 v57, vcc_lo, v57, 4
	v_add_co_ci_u32_e32 v58, vcc_lo, 0, v58, vcc_lo
	v_add_co_u32 v61, s0, v61, 4
	s_delay_alu instid0(VALU_DEP_1)
	v_add_co_ci_u32_e64 v62, s0, 0, v62, s0
	s_add_u32 s14, s14, 1
	s_addc_u32 s15, s15, 0
	s_and_not1_b32 s0, s19, exec_lo
	s_waitcnt vmcnt(0)
	v_cmp_ne_u32_e32 vcc_lo, v63, v64
	s_and_b32 s19, vcc_lo, exec_lo
	s_delay_alu instid0(SALU_CYCLE_1)
	s_or_b32 s19, s0, s19
.LBB1537_778:                           ;   in Loop: Header=BB1537_779 Depth=1
	v_dual_mov_b32 v64, s15 :: v_dual_mov_b32 v63, s14
	s_and_b32 s0, exec_lo, s19
	s_delay_alu instid0(SALU_CYCLE_1) | instskip(NEXT) | instid1(SALU_CYCLE_1)
	s_or_b32 s18, s0, s18
	s_and_not1_b32 exec_lo, exec_lo, s18
	s_cbranch_execz .LBB1537_781
.LBB1537_779:                           ; =>This Inner Loop Header: Depth=1
	s_or_b32 s19, s19, exec_lo
	s_cmp_eq_u64 s[12:13], s[14:15]
	s_cbranch_scc0 .LBB1537_777
; %bb.780:                              ;   in Loop: Header=BB1537_779 Depth=1
	s_mov_b64 s[14:15], s[8:9]
                                        ; implicit-def: $vgpr57_vgpr58
                                        ; implicit-def: $vgpr61_vgpr62
	s_branch .LBB1537_778
.LBB1537_781:
	s_set_inst_prefetch_distance 0x2
	s_or_b32 exec_lo, exec_lo, s18
	v_cmp_gt_i64_e32 vcc_lo, s[8:9], v[63:64]
	s_mov_b32 s0, 0
	s_delay_alu instid0(SALU_CYCLE_1)
	v_mov_b32_e32 v138, s0
	v_cndmask_b32_e64 v137, 0, 1, vcc_lo
.LBB1537_782:
	s_or_b32 exec_lo, exec_lo, s3
.LBB1537_783:
	v_mul_lo_u32 v61, v36, s8
	v_mul_lo_u32 v62, v35, s9
	v_mad_u64_u32 v[57:58], null, v35, s8, 0
	v_cmp_ne_u32_e32 vcc_lo, 1, v65
	s_delay_alu instid0(VALU_DEP_2) | instskip(NEXT) | instid1(VALU_DEP_1)
	v_add3_u32 v58, v58, v62, v61
	v_lshlrev_b64 v[57:58], 2, v[57:58]
	s_cbranch_vccnz .LBB1537_792
; %bb.784:
	v_add_co_u32 v61, vcc_lo, s10, v59
	v_add_co_ci_u32_e32 v62, vcc_lo, s11, v60, vcc_lo
	s_delay_alu instid0(VALU_DEP_3) | instskip(NEXT) | instid1(VALU_DEP_4)
	v_add_co_u32 v59, vcc_lo, s10, v57
	v_add_co_ci_u32_e32 v60, vcc_lo, s11, v58, vcc_lo
	v_mov_b32_e32 v139, 1
	s_clause 0x1
	global_load_b32 v63, v[61:62], off
	global_load_b32 v64, v[59:60], off
	v_mov_b32_e32 v140, 0
	s_mov_b32 s3, exec_lo
	s_waitcnt vmcnt(0)
	v_cmpx_eq_u32_e64 v63, v64
	s_cbranch_execz .LBB1537_791
; %bb.785:
	v_add_co_u32 v59, vcc_lo, v59, 4
	v_add_co_ci_u32_e32 v60, vcc_lo, 0, v60, vcc_lo
	v_add_co_u32 v61, vcc_lo, v61, 4
	v_add_co_ci_u32_e32 v62, vcc_lo, 0, v62, vcc_lo
	s_add_u32 s12, s8, -1
	s_addc_u32 s13, s9, -1
	s_mov_b64 s[14:15], 0
	s_mov_b32 s18, 0
                                        ; implicit-def: $sgpr19
	s_set_inst_prefetch_distance 0x1
	s_branch .LBB1537_788
	.p2align	6
.LBB1537_786:                           ;   in Loop: Header=BB1537_788 Depth=1
	global_load_b32 v63, v[61:62], off
	global_load_b32 v64, v[59:60], off
	v_add_co_u32 v59, vcc_lo, v59, 4
	v_add_co_ci_u32_e32 v60, vcc_lo, 0, v60, vcc_lo
	v_add_co_u32 v61, s0, v61, 4
	s_delay_alu instid0(VALU_DEP_1)
	v_add_co_ci_u32_e64 v62, s0, 0, v62, s0
	s_add_u32 s14, s14, 1
	s_addc_u32 s15, s15, 0
	s_and_not1_b32 s0, s19, exec_lo
	s_waitcnt vmcnt(0)
	v_cmp_ne_u32_e32 vcc_lo, v63, v64
	s_and_b32 s19, vcc_lo, exec_lo
	s_delay_alu instid0(SALU_CYCLE_1)
	s_or_b32 s19, s0, s19
.LBB1537_787:                           ;   in Loop: Header=BB1537_788 Depth=1
	v_dual_mov_b32 v64, s15 :: v_dual_mov_b32 v63, s14
	s_and_b32 s0, exec_lo, s19
	s_delay_alu instid0(SALU_CYCLE_1) | instskip(NEXT) | instid1(SALU_CYCLE_1)
	s_or_b32 s18, s0, s18
	s_and_not1_b32 exec_lo, exec_lo, s18
	s_cbranch_execz .LBB1537_790
.LBB1537_788:                           ; =>This Inner Loop Header: Depth=1
	s_or_b32 s19, s19, exec_lo
	s_cmp_eq_u64 s[12:13], s[14:15]
	s_cbranch_scc0 .LBB1537_786
; %bb.789:                              ;   in Loop: Header=BB1537_788 Depth=1
	s_mov_b64 s[14:15], s[8:9]
                                        ; implicit-def: $vgpr59_vgpr60
                                        ; implicit-def: $vgpr61_vgpr62
	s_branch .LBB1537_787
.LBB1537_790:
	s_set_inst_prefetch_distance 0x2
	s_or_b32 exec_lo, exec_lo, s18
	v_cmp_gt_i64_e32 vcc_lo, s[8:9], v[63:64]
	s_mov_b32 s0, 0
	s_delay_alu instid0(SALU_CYCLE_1)
	v_mov_b32_e32 v140, s0
	v_cndmask_b32_e64 v139, 0, 1, vcc_lo
.LBB1537_791:
	s_or_b32 exec_lo, exec_lo, s3
.LBB1537_792:
	v_mul_lo_u32 v61, v34, s8
	v_mul_lo_u32 v62, v33, s9
	v_mad_u64_u32 v[59:60], null, v33, s8, 0
	v_mov_b32_e32 v143, 0
	v_mov_b32_e32 v144, 0
	v_cmp_ne_u32_e32 vcc_lo, 1, v65
	s_delay_alu instid0(VALU_DEP_2) | instskip(SKIP_1) | instid1(VALU_DEP_1)
	v_dual_mov_b32 v141, v143 :: v_dual_mov_b32 v142, v144
	v_add3_u32 v60, v60, v62, v61
	v_lshlrev_b64 v[59:60], 2, v[59:60]
	s_cbranch_vccnz .LBB1537_801
; %bb.793:
	v_add_co_u32 v61, vcc_lo, s10, v57
	v_add_co_ci_u32_e32 v62, vcc_lo, s11, v58, vcc_lo
	s_delay_alu instid0(VALU_DEP_3) | instskip(NEXT) | instid1(VALU_DEP_4)
	v_add_co_u32 v57, vcc_lo, s10, v59
	v_add_co_ci_u32_e32 v58, vcc_lo, s11, v60, vcc_lo
	v_mov_b32_e32 v141, 1
	s_clause 0x1
	global_load_b32 v63, v[61:62], off
	global_load_b32 v64, v[57:58], off
	v_mov_b32_e32 v142, 0
	s_mov_b32 s3, exec_lo
	s_waitcnt vmcnt(0)
	v_cmpx_eq_u32_e64 v63, v64
	s_cbranch_execz .LBB1537_800
; %bb.794:
	v_add_co_u32 v57, vcc_lo, v57, 4
	v_add_co_ci_u32_e32 v58, vcc_lo, 0, v58, vcc_lo
	v_add_co_u32 v61, vcc_lo, v61, 4
	v_add_co_ci_u32_e32 v62, vcc_lo, 0, v62, vcc_lo
	s_add_u32 s12, s8, -1
	s_addc_u32 s13, s9, -1
	s_mov_b64 s[14:15], 0
	s_mov_b32 s18, 0
                                        ; implicit-def: $sgpr19
	s_set_inst_prefetch_distance 0x1
	s_branch .LBB1537_797
	.p2align	6
.LBB1537_795:                           ;   in Loop: Header=BB1537_797 Depth=1
	global_load_b32 v63, v[61:62], off
	global_load_b32 v64, v[57:58], off
	v_add_co_u32 v57, vcc_lo, v57, 4
	v_add_co_ci_u32_e32 v58, vcc_lo, 0, v58, vcc_lo
	v_add_co_u32 v61, s0, v61, 4
	s_delay_alu instid0(VALU_DEP_1)
	v_add_co_ci_u32_e64 v62, s0, 0, v62, s0
	s_add_u32 s14, s14, 1
	s_addc_u32 s15, s15, 0
	s_and_not1_b32 s0, s19, exec_lo
	s_waitcnt vmcnt(0)
	v_cmp_ne_u32_e32 vcc_lo, v63, v64
	s_and_b32 s19, vcc_lo, exec_lo
	s_delay_alu instid0(SALU_CYCLE_1)
	s_or_b32 s19, s0, s19
.LBB1537_796:                           ;   in Loop: Header=BB1537_797 Depth=1
	v_dual_mov_b32 v64, s15 :: v_dual_mov_b32 v63, s14
	s_and_b32 s0, exec_lo, s19
	s_delay_alu instid0(SALU_CYCLE_1) | instskip(NEXT) | instid1(SALU_CYCLE_1)
	s_or_b32 s18, s0, s18
	s_and_not1_b32 exec_lo, exec_lo, s18
	s_cbranch_execz .LBB1537_799
.LBB1537_797:                           ; =>This Inner Loop Header: Depth=1
	s_or_b32 s19, s19, exec_lo
	s_cmp_eq_u64 s[12:13], s[14:15]
	s_cbranch_scc0 .LBB1537_795
; %bb.798:                              ;   in Loop: Header=BB1537_797 Depth=1
	s_mov_b64 s[14:15], s[8:9]
                                        ; implicit-def: $vgpr57_vgpr58
                                        ; implicit-def: $vgpr61_vgpr62
	s_branch .LBB1537_796
.LBB1537_799:
	s_set_inst_prefetch_distance 0x2
	s_or_b32 exec_lo, exec_lo, s18
	v_cmp_gt_i64_e32 vcc_lo, s[8:9], v[63:64]
	s_mov_b32 s0, 0
	s_delay_alu instid0(SALU_CYCLE_1)
	v_mov_b32_e32 v142, s0
	v_cndmask_b32_e64 v141, 0, 1, vcc_lo
.LBB1537_800:
	s_or_b32 exec_lo, exec_lo, s3
.LBB1537_801:
	v_mul_lo_u32 v61, v32, s8
	v_mul_lo_u32 v62, v31, s9
	v_mad_u64_u32 v[57:58], null, v31, s8, 0
	v_cmp_ne_u32_e32 vcc_lo, 1, v65
	s_delay_alu instid0(VALU_DEP_2) | instskip(NEXT) | instid1(VALU_DEP_1)
	v_add3_u32 v58, v58, v62, v61
	v_lshlrev_b64 v[57:58], 2, v[57:58]
	s_cbranch_vccnz .LBB1537_810
; %bb.802:
	v_add_co_u32 v61, vcc_lo, s10, v59
	v_add_co_ci_u32_e32 v62, vcc_lo, s11, v60, vcc_lo
	s_delay_alu instid0(VALU_DEP_3) | instskip(NEXT) | instid1(VALU_DEP_4)
	v_add_co_u32 v59, vcc_lo, s10, v57
	v_add_co_ci_u32_e32 v60, vcc_lo, s11, v58, vcc_lo
	v_mov_b32_e32 v143, 1
	s_clause 0x1
	global_load_b32 v63, v[61:62], off
	global_load_b32 v64, v[59:60], off
	v_mov_b32_e32 v144, 0
	s_mov_b32 s3, exec_lo
	s_waitcnt vmcnt(0)
	v_cmpx_eq_u32_e64 v63, v64
	s_cbranch_execz .LBB1537_809
; %bb.803:
	v_add_co_u32 v59, vcc_lo, v59, 4
	v_add_co_ci_u32_e32 v60, vcc_lo, 0, v60, vcc_lo
	v_add_co_u32 v61, vcc_lo, v61, 4
	v_add_co_ci_u32_e32 v62, vcc_lo, 0, v62, vcc_lo
	s_add_u32 s12, s8, -1
	s_addc_u32 s13, s9, -1
	s_mov_b64 s[14:15], 0
	s_mov_b32 s18, 0
                                        ; implicit-def: $sgpr19
	s_set_inst_prefetch_distance 0x1
	s_branch .LBB1537_806
	.p2align	6
.LBB1537_804:                           ;   in Loop: Header=BB1537_806 Depth=1
	global_load_b32 v63, v[61:62], off
	global_load_b32 v64, v[59:60], off
	v_add_co_u32 v59, vcc_lo, v59, 4
	v_add_co_ci_u32_e32 v60, vcc_lo, 0, v60, vcc_lo
	v_add_co_u32 v61, s0, v61, 4
	s_delay_alu instid0(VALU_DEP_1)
	v_add_co_ci_u32_e64 v62, s0, 0, v62, s0
	s_add_u32 s14, s14, 1
	s_addc_u32 s15, s15, 0
	s_and_not1_b32 s0, s19, exec_lo
	s_waitcnt vmcnt(0)
	v_cmp_ne_u32_e32 vcc_lo, v63, v64
	s_and_b32 s19, vcc_lo, exec_lo
	s_delay_alu instid0(SALU_CYCLE_1)
	s_or_b32 s19, s0, s19
.LBB1537_805:                           ;   in Loop: Header=BB1537_806 Depth=1
	v_dual_mov_b32 v64, s15 :: v_dual_mov_b32 v63, s14
	s_and_b32 s0, exec_lo, s19
	s_delay_alu instid0(SALU_CYCLE_1) | instskip(NEXT) | instid1(SALU_CYCLE_1)
	s_or_b32 s18, s0, s18
	s_and_not1_b32 exec_lo, exec_lo, s18
	s_cbranch_execz .LBB1537_808
.LBB1537_806:                           ; =>This Inner Loop Header: Depth=1
	s_or_b32 s19, s19, exec_lo
	s_cmp_eq_u64 s[12:13], s[14:15]
	s_cbranch_scc0 .LBB1537_804
; %bb.807:                              ;   in Loop: Header=BB1537_806 Depth=1
	s_mov_b64 s[14:15], s[8:9]
                                        ; implicit-def: $vgpr59_vgpr60
                                        ; implicit-def: $vgpr61_vgpr62
	s_branch .LBB1537_805
.LBB1537_808:
	s_set_inst_prefetch_distance 0x2
	s_or_b32 exec_lo, exec_lo, s18
	v_cmp_gt_i64_e32 vcc_lo, s[8:9], v[63:64]
	s_mov_b32 s0, 0
	s_delay_alu instid0(SALU_CYCLE_1)
	v_mov_b32_e32 v144, s0
	v_cndmask_b32_e64 v143, 0, 1, vcc_lo
.LBB1537_809:
	s_or_b32 exec_lo, exec_lo, s3
.LBB1537_810:
	v_mul_lo_u32 v61, v30, s8
	v_mul_lo_u32 v62, v29, s9
	v_mad_u64_u32 v[59:60], null, v29, s8, 0
	v_mov_b32_e32 v147, 0
	v_mov_b32_e32 v148, 0
	v_cmp_ne_u32_e32 vcc_lo, 1, v65
	s_delay_alu instid0(VALU_DEP_2) | instskip(SKIP_1) | instid1(VALU_DEP_1)
	v_dual_mov_b32 v145, v147 :: v_dual_mov_b32 v146, v148
	v_add3_u32 v60, v60, v62, v61
	v_lshlrev_b64 v[59:60], 2, v[59:60]
	s_cbranch_vccnz .LBB1537_819
; %bb.811:
	v_add_co_u32 v61, vcc_lo, s10, v57
	v_add_co_ci_u32_e32 v62, vcc_lo, s11, v58, vcc_lo
	s_delay_alu instid0(VALU_DEP_3) | instskip(NEXT) | instid1(VALU_DEP_4)
	v_add_co_u32 v57, vcc_lo, s10, v59
	v_add_co_ci_u32_e32 v58, vcc_lo, s11, v60, vcc_lo
	v_mov_b32_e32 v145, 1
	s_clause 0x1
	global_load_b32 v63, v[61:62], off
	global_load_b32 v64, v[57:58], off
	v_mov_b32_e32 v146, 0
	s_mov_b32 s3, exec_lo
	s_waitcnt vmcnt(0)
	v_cmpx_eq_u32_e64 v63, v64
	s_cbranch_execz .LBB1537_818
; %bb.812:
	v_add_co_u32 v57, vcc_lo, v57, 4
	v_add_co_ci_u32_e32 v58, vcc_lo, 0, v58, vcc_lo
	v_add_co_u32 v61, vcc_lo, v61, 4
	v_add_co_ci_u32_e32 v62, vcc_lo, 0, v62, vcc_lo
	s_add_u32 s12, s8, -1
	s_addc_u32 s13, s9, -1
	s_mov_b64 s[14:15], 0
	s_mov_b32 s18, 0
                                        ; implicit-def: $sgpr19
	s_set_inst_prefetch_distance 0x1
	s_branch .LBB1537_815
	.p2align	6
.LBB1537_813:                           ;   in Loop: Header=BB1537_815 Depth=1
	global_load_b32 v63, v[61:62], off
	global_load_b32 v64, v[57:58], off
	v_add_co_u32 v57, vcc_lo, v57, 4
	v_add_co_ci_u32_e32 v58, vcc_lo, 0, v58, vcc_lo
	v_add_co_u32 v61, s0, v61, 4
	s_delay_alu instid0(VALU_DEP_1)
	v_add_co_ci_u32_e64 v62, s0, 0, v62, s0
	s_add_u32 s14, s14, 1
	s_addc_u32 s15, s15, 0
	s_and_not1_b32 s0, s19, exec_lo
	s_waitcnt vmcnt(0)
	v_cmp_ne_u32_e32 vcc_lo, v63, v64
	s_and_b32 s19, vcc_lo, exec_lo
	s_delay_alu instid0(SALU_CYCLE_1)
	s_or_b32 s19, s0, s19
.LBB1537_814:                           ;   in Loop: Header=BB1537_815 Depth=1
	v_dual_mov_b32 v64, s15 :: v_dual_mov_b32 v63, s14
	s_and_b32 s0, exec_lo, s19
	s_delay_alu instid0(SALU_CYCLE_1) | instskip(NEXT) | instid1(SALU_CYCLE_1)
	s_or_b32 s18, s0, s18
	s_and_not1_b32 exec_lo, exec_lo, s18
	s_cbranch_execz .LBB1537_817
.LBB1537_815:                           ; =>This Inner Loop Header: Depth=1
	s_or_b32 s19, s19, exec_lo
	s_cmp_eq_u64 s[12:13], s[14:15]
	s_cbranch_scc0 .LBB1537_813
; %bb.816:                              ;   in Loop: Header=BB1537_815 Depth=1
	s_mov_b64 s[14:15], s[8:9]
                                        ; implicit-def: $vgpr57_vgpr58
                                        ; implicit-def: $vgpr61_vgpr62
	s_branch .LBB1537_814
.LBB1537_817:
	s_set_inst_prefetch_distance 0x2
	s_or_b32 exec_lo, exec_lo, s18
	v_cmp_gt_i64_e32 vcc_lo, s[8:9], v[63:64]
	s_mov_b32 s0, 0
	s_delay_alu instid0(SALU_CYCLE_1)
	v_mov_b32_e32 v146, s0
	v_cndmask_b32_e64 v145, 0, 1, vcc_lo
.LBB1537_818:
	s_or_b32 exec_lo, exec_lo, s3
.LBB1537_819:
	v_mul_lo_u32 v61, v28, s8
	v_mul_lo_u32 v62, v27, s9
	v_mad_u64_u32 v[57:58], null, v27, s8, 0
	v_cmp_ne_u32_e32 vcc_lo, 1, v65
	s_delay_alu instid0(VALU_DEP_2) | instskip(NEXT) | instid1(VALU_DEP_1)
	v_add3_u32 v58, v58, v62, v61
	v_lshlrev_b64 v[57:58], 2, v[57:58]
	s_cbranch_vccnz .LBB1537_828
; %bb.820:
	v_add_co_u32 v61, vcc_lo, s10, v59
	v_add_co_ci_u32_e32 v62, vcc_lo, s11, v60, vcc_lo
	s_delay_alu instid0(VALU_DEP_3) | instskip(NEXT) | instid1(VALU_DEP_4)
	v_add_co_u32 v59, vcc_lo, s10, v57
	v_add_co_ci_u32_e32 v60, vcc_lo, s11, v58, vcc_lo
	v_mov_b32_e32 v147, 1
	s_clause 0x1
	global_load_b32 v63, v[61:62], off
	global_load_b32 v64, v[59:60], off
	v_mov_b32_e32 v148, 0
	s_mov_b32 s3, exec_lo
	s_waitcnt vmcnt(0)
	v_cmpx_eq_u32_e64 v63, v64
	s_cbranch_execz .LBB1537_827
; %bb.821:
	v_add_co_u32 v59, vcc_lo, v59, 4
	v_add_co_ci_u32_e32 v60, vcc_lo, 0, v60, vcc_lo
	v_add_co_u32 v61, vcc_lo, v61, 4
	v_add_co_ci_u32_e32 v62, vcc_lo, 0, v62, vcc_lo
	s_add_u32 s12, s8, -1
	s_addc_u32 s13, s9, -1
	s_mov_b64 s[14:15], 0
	s_mov_b32 s18, 0
                                        ; implicit-def: $sgpr19
	s_set_inst_prefetch_distance 0x1
	s_branch .LBB1537_824
	.p2align	6
.LBB1537_822:                           ;   in Loop: Header=BB1537_824 Depth=1
	global_load_b32 v63, v[61:62], off
	global_load_b32 v64, v[59:60], off
	v_add_co_u32 v59, vcc_lo, v59, 4
	v_add_co_ci_u32_e32 v60, vcc_lo, 0, v60, vcc_lo
	v_add_co_u32 v61, s0, v61, 4
	s_delay_alu instid0(VALU_DEP_1)
	v_add_co_ci_u32_e64 v62, s0, 0, v62, s0
	s_add_u32 s14, s14, 1
	s_addc_u32 s15, s15, 0
	s_and_not1_b32 s0, s19, exec_lo
	s_waitcnt vmcnt(0)
	v_cmp_ne_u32_e32 vcc_lo, v63, v64
	s_and_b32 s19, vcc_lo, exec_lo
	s_delay_alu instid0(SALU_CYCLE_1)
	s_or_b32 s19, s0, s19
.LBB1537_823:                           ;   in Loop: Header=BB1537_824 Depth=1
	v_dual_mov_b32 v64, s15 :: v_dual_mov_b32 v63, s14
	s_and_b32 s0, exec_lo, s19
	s_delay_alu instid0(SALU_CYCLE_1) | instskip(NEXT) | instid1(SALU_CYCLE_1)
	s_or_b32 s18, s0, s18
	s_and_not1_b32 exec_lo, exec_lo, s18
	s_cbranch_execz .LBB1537_826
.LBB1537_824:                           ; =>This Inner Loop Header: Depth=1
	s_or_b32 s19, s19, exec_lo
	s_cmp_eq_u64 s[12:13], s[14:15]
	s_cbranch_scc0 .LBB1537_822
; %bb.825:                              ;   in Loop: Header=BB1537_824 Depth=1
	s_mov_b64 s[14:15], s[8:9]
                                        ; implicit-def: $vgpr59_vgpr60
                                        ; implicit-def: $vgpr61_vgpr62
	s_branch .LBB1537_823
.LBB1537_826:
	s_set_inst_prefetch_distance 0x2
	s_or_b32 exec_lo, exec_lo, s18
	v_cmp_gt_i64_e32 vcc_lo, s[8:9], v[63:64]
	s_mov_b32 s0, 0
	s_delay_alu instid0(SALU_CYCLE_1)
	v_mov_b32_e32 v148, s0
	v_cndmask_b32_e64 v147, 0, 1, vcc_lo
.LBB1537_827:
	s_or_b32 exec_lo, exec_lo, s3
.LBB1537_828:
	v_mul_lo_u32 v61, v26, s8
	v_mul_lo_u32 v62, v25, s9
	v_mad_u64_u32 v[59:60], null, v25, s8, 0
	v_mov_b32_e32 v151, 0
	v_mov_b32_e32 v152, 0
	v_cmp_ne_u32_e32 vcc_lo, 1, v65
	s_delay_alu instid0(VALU_DEP_2) | instskip(SKIP_1) | instid1(VALU_DEP_1)
	v_dual_mov_b32 v149, v151 :: v_dual_mov_b32 v150, v152
	v_add3_u32 v60, v60, v62, v61
	v_lshlrev_b64 v[59:60], 2, v[59:60]
	s_cbranch_vccnz .LBB1537_837
; %bb.829:
	v_add_co_u32 v61, vcc_lo, s10, v57
	v_add_co_ci_u32_e32 v62, vcc_lo, s11, v58, vcc_lo
	s_delay_alu instid0(VALU_DEP_3) | instskip(NEXT) | instid1(VALU_DEP_4)
	v_add_co_u32 v57, vcc_lo, s10, v59
	v_add_co_ci_u32_e32 v58, vcc_lo, s11, v60, vcc_lo
	v_mov_b32_e32 v149, 1
	s_clause 0x1
	global_load_b32 v63, v[61:62], off
	global_load_b32 v64, v[57:58], off
	v_mov_b32_e32 v150, 0
	s_mov_b32 s3, exec_lo
	s_waitcnt vmcnt(0)
	v_cmpx_eq_u32_e64 v63, v64
	s_cbranch_execz .LBB1537_836
; %bb.830:
	v_add_co_u32 v57, vcc_lo, v57, 4
	v_add_co_ci_u32_e32 v58, vcc_lo, 0, v58, vcc_lo
	v_add_co_u32 v61, vcc_lo, v61, 4
	v_add_co_ci_u32_e32 v62, vcc_lo, 0, v62, vcc_lo
	s_add_u32 s12, s8, -1
	s_addc_u32 s13, s9, -1
	s_mov_b64 s[14:15], 0
	s_mov_b32 s18, 0
                                        ; implicit-def: $sgpr19
	s_set_inst_prefetch_distance 0x1
	s_branch .LBB1537_833
	.p2align	6
.LBB1537_831:                           ;   in Loop: Header=BB1537_833 Depth=1
	global_load_b32 v63, v[61:62], off
	global_load_b32 v64, v[57:58], off
	v_add_co_u32 v57, vcc_lo, v57, 4
	v_add_co_ci_u32_e32 v58, vcc_lo, 0, v58, vcc_lo
	v_add_co_u32 v61, s0, v61, 4
	s_delay_alu instid0(VALU_DEP_1)
	v_add_co_ci_u32_e64 v62, s0, 0, v62, s0
	s_add_u32 s14, s14, 1
	s_addc_u32 s15, s15, 0
	s_and_not1_b32 s0, s19, exec_lo
	s_waitcnt vmcnt(0)
	v_cmp_ne_u32_e32 vcc_lo, v63, v64
	s_and_b32 s19, vcc_lo, exec_lo
	s_delay_alu instid0(SALU_CYCLE_1)
	s_or_b32 s19, s0, s19
.LBB1537_832:                           ;   in Loop: Header=BB1537_833 Depth=1
	v_dual_mov_b32 v64, s15 :: v_dual_mov_b32 v63, s14
	s_and_b32 s0, exec_lo, s19
	s_delay_alu instid0(SALU_CYCLE_1) | instskip(NEXT) | instid1(SALU_CYCLE_1)
	s_or_b32 s18, s0, s18
	s_and_not1_b32 exec_lo, exec_lo, s18
	s_cbranch_execz .LBB1537_835
.LBB1537_833:                           ; =>This Inner Loop Header: Depth=1
	s_or_b32 s19, s19, exec_lo
	s_cmp_eq_u64 s[12:13], s[14:15]
	s_cbranch_scc0 .LBB1537_831
; %bb.834:                              ;   in Loop: Header=BB1537_833 Depth=1
	s_mov_b64 s[14:15], s[8:9]
                                        ; implicit-def: $vgpr57_vgpr58
                                        ; implicit-def: $vgpr61_vgpr62
	s_branch .LBB1537_832
.LBB1537_835:
	s_set_inst_prefetch_distance 0x2
	s_or_b32 exec_lo, exec_lo, s18
	v_cmp_gt_i64_e32 vcc_lo, s[8:9], v[63:64]
	s_mov_b32 s0, 0
	s_delay_alu instid0(SALU_CYCLE_1)
	v_mov_b32_e32 v150, s0
	v_cndmask_b32_e64 v149, 0, 1, vcc_lo
.LBB1537_836:
	s_or_b32 exec_lo, exec_lo, s3
.LBB1537_837:
	v_mul_lo_u32 v61, v24, s8
	v_mul_lo_u32 v62, v23, s9
	v_mad_u64_u32 v[57:58], null, v23, s8, 0
	v_cmp_ne_u32_e32 vcc_lo, 1, v65
	s_delay_alu instid0(VALU_DEP_2) | instskip(NEXT) | instid1(VALU_DEP_1)
	v_add3_u32 v58, v58, v62, v61
	v_lshlrev_b64 v[57:58], 2, v[57:58]
	s_cbranch_vccnz .LBB1537_846
; %bb.838:
	v_add_co_u32 v61, vcc_lo, s10, v59
	v_add_co_ci_u32_e32 v62, vcc_lo, s11, v60, vcc_lo
	s_delay_alu instid0(VALU_DEP_3) | instskip(NEXT) | instid1(VALU_DEP_4)
	v_add_co_u32 v59, vcc_lo, s10, v57
	v_add_co_ci_u32_e32 v60, vcc_lo, s11, v58, vcc_lo
	v_mov_b32_e32 v151, 1
	s_clause 0x1
	global_load_b32 v63, v[61:62], off
	global_load_b32 v64, v[59:60], off
	v_mov_b32_e32 v152, 0
	s_mov_b32 s3, exec_lo
	s_waitcnt vmcnt(0)
	v_cmpx_eq_u32_e64 v63, v64
	s_cbranch_execz .LBB1537_845
; %bb.839:
	v_add_co_u32 v59, vcc_lo, v59, 4
	v_add_co_ci_u32_e32 v60, vcc_lo, 0, v60, vcc_lo
	v_add_co_u32 v61, vcc_lo, v61, 4
	v_add_co_ci_u32_e32 v62, vcc_lo, 0, v62, vcc_lo
	s_add_u32 s12, s8, -1
	s_addc_u32 s13, s9, -1
	s_mov_b64 s[14:15], 0
	s_mov_b32 s18, 0
                                        ; implicit-def: $sgpr19
	s_set_inst_prefetch_distance 0x1
	s_branch .LBB1537_842
	.p2align	6
.LBB1537_840:                           ;   in Loop: Header=BB1537_842 Depth=1
	global_load_b32 v63, v[61:62], off
	global_load_b32 v64, v[59:60], off
	v_add_co_u32 v59, vcc_lo, v59, 4
	v_add_co_ci_u32_e32 v60, vcc_lo, 0, v60, vcc_lo
	v_add_co_u32 v61, s0, v61, 4
	s_delay_alu instid0(VALU_DEP_1)
	v_add_co_ci_u32_e64 v62, s0, 0, v62, s0
	s_add_u32 s14, s14, 1
	s_addc_u32 s15, s15, 0
	s_and_not1_b32 s0, s19, exec_lo
	s_waitcnt vmcnt(0)
	v_cmp_ne_u32_e32 vcc_lo, v63, v64
	s_and_b32 s19, vcc_lo, exec_lo
	s_delay_alu instid0(SALU_CYCLE_1)
	s_or_b32 s19, s0, s19
.LBB1537_841:                           ;   in Loop: Header=BB1537_842 Depth=1
	v_dual_mov_b32 v64, s15 :: v_dual_mov_b32 v63, s14
	s_and_b32 s0, exec_lo, s19
	s_delay_alu instid0(SALU_CYCLE_1) | instskip(NEXT) | instid1(SALU_CYCLE_1)
	s_or_b32 s18, s0, s18
	s_and_not1_b32 exec_lo, exec_lo, s18
	s_cbranch_execz .LBB1537_844
.LBB1537_842:                           ; =>This Inner Loop Header: Depth=1
	s_or_b32 s19, s19, exec_lo
	s_cmp_eq_u64 s[12:13], s[14:15]
	s_cbranch_scc0 .LBB1537_840
; %bb.843:                              ;   in Loop: Header=BB1537_842 Depth=1
	s_mov_b64 s[14:15], s[8:9]
                                        ; implicit-def: $vgpr59_vgpr60
                                        ; implicit-def: $vgpr61_vgpr62
	s_branch .LBB1537_841
.LBB1537_844:
	s_set_inst_prefetch_distance 0x2
	s_or_b32 exec_lo, exec_lo, s18
	v_cmp_gt_i64_e32 vcc_lo, s[8:9], v[63:64]
	s_mov_b32 s0, 0
	s_delay_alu instid0(SALU_CYCLE_1)
	v_mov_b32_e32 v152, s0
	v_cndmask_b32_e64 v151, 0, 1, vcc_lo
.LBB1537_845:
	s_or_b32 exec_lo, exec_lo, s3
.LBB1537_846:
	v_mul_lo_u32 v61, v22, s8
	v_mul_lo_u32 v62, v21, s9
	v_mad_u64_u32 v[59:60], null, v21, s8, 0
	v_mov_b32_e32 v155, 0
	v_mov_b32_e32 v156, 0
	v_cmp_ne_u32_e32 vcc_lo, 1, v65
	s_delay_alu instid0(VALU_DEP_2) | instskip(SKIP_1) | instid1(VALU_DEP_1)
	v_dual_mov_b32 v153, v155 :: v_dual_mov_b32 v154, v156
	v_add3_u32 v60, v60, v62, v61
	v_lshlrev_b64 v[59:60], 2, v[59:60]
	s_cbranch_vccnz .LBB1537_855
; %bb.847:
	v_add_co_u32 v61, vcc_lo, s10, v57
	v_add_co_ci_u32_e32 v62, vcc_lo, s11, v58, vcc_lo
	s_delay_alu instid0(VALU_DEP_3) | instskip(NEXT) | instid1(VALU_DEP_4)
	v_add_co_u32 v57, vcc_lo, s10, v59
	v_add_co_ci_u32_e32 v58, vcc_lo, s11, v60, vcc_lo
	v_mov_b32_e32 v153, 1
	s_clause 0x1
	global_load_b32 v63, v[61:62], off
	global_load_b32 v64, v[57:58], off
	v_mov_b32_e32 v154, 0
	s_mov_b32 s3, exec_lo
	s_waitcnt vmcnt(0)
	v_cmpx_eq_u32_e64 v63, v64
	s_cbranch_execz .LBB1537_854
; %bb.848:
	v_add_co_u32 v57, vcc_lo, v57, 4
	v_add_co_ci_u32_e32 v58, vcc_lo, 0, v58, vcc_lo
	v_add_co_u32 v61, vcc_lo, v61, 4
	v_add_co_ci_u32_e32 v62, vcc_lo, 0, v62, vcc_lo
	s_add_u32 s12, s8, -1
	s_addc_u32 s13, s9, -1
	s_mov_b64 s[14:15], 0
	s_mov_b32 s18, 0
                                        ; implicit-def: $sgpr19
	s_set_inst_prefetch_distance 0x1
	s_branch .LBB1537_851
	.p2align	6
.LBB1537_849:                           ;   in Loop: Header=BB1537_851 Depth=1
	global_load_b32 v63, v[61:62], off
	global_load_b32 v64, v[57:58], off
	v_add_co_u32 v57, vcc_lo, v57, 4
	v_add_co_ci_u32_e32 v58, vcc_lo, 0, v58, vcc_lo
	v_add_co_u32 v61, s0, v61, 4
	s_delay_alu instid0(VALU_DEP_1)
	v_add_co_ci_u32_e64 v62, s0, 0, v62, s0
	s_add_u32 s14, s14, 1
	s_addc_u32 s15, s15, 0
	s_and_not1_b32 s0, s19, exec_lo
	s_waitcnt vmcnt(0)
	v_cmp_ne_u32_e32 vcc_lo, v63, v64
	s_and_b32 s19, vcc_lo, exec_lo
	s_delay_alu instid0(SALU_CYCLE_1)
	s_or_b32 s19, s0, s19
.LBB1537_850:                           ;   in Loop: Header=BB1537_851 Depth=1
	v_dual_mov_b32 v64, s15 :: v_dual_mov_b32 v63, s14
	s_and_b32 s0, exec_lo, s19
	s_delay_alu instid0(SALU_CYCLE_1) | instskip(NEXT) | instid1(SALU_CYCLE_1)
	s_or_b32 s18, s0, s18
	s_and_not1_b32 exec_lo, exec_lo, s18
	s_cbranch_execz .LBB1537_853
.LBB1537_851:                           ; =>This Inner Loop Header: Depth=1
	s_or_b32 s19, s19, exec_lo
	s_cmp_eq_u64 s[12:13], s[14:15]
	s_cbranch_scc0 .LBB1537_849
; %bb.852:                              ;   in Loop: Header=BB1537_851 Depth=1
	s_mov_b64 s[14:15], s[8:9]
                                        ; implicit-def: $vgpr57_vgpr58
                                        ; implicit-def: $vgpr61_vgpr62
	s_branch .LBB1537_850
.LBB1537_853:
	s_set_inst_prefetch_distance 0x2
	s_or_b32 exec_lo, exec_lo, s18
	v_cmp_gt_i64_e32 vcc_lo, s[8:9], v[63:64]
	s_mov_b32 s0, 0
	s_delay_alu instid0(SALU_CYCLE_1)
	v_mov_b32_e32 v154, s0
	v_cndmask_b32_e64 v153, 0, 1, vcc_lo
.LBB1537_854:
	s_or_b32 exec_lo, exec_lo, s3
.LBB1537_855:
	v_mul_lo_u32 v61, v20, s8
	v_mul_lo_u32 v62, v19, s9
	v_mad_u64_u32 v[57:58], null, v19, s8, 0
	v_cmp_ne_u32_e32 vcc_lo, 1, v65
	s_delay_alu instid0(VALU_DEP_2) | instskip(NEXT) | instid1(VALU_DEP_1)
	v_add3_u32 v58, v58, v62, v61
	v_lshlrev_b64 v[57:58], 2, v[57:58]
	s_cbranch_vccnz .LBB1537_864
; %bb.856:
	v_add_co_u32 v61, vcc_lo, s10, v59
	v_add_co_ci_u32_e32 v62, vcc_lo, s11, v60, vcc_lo
	s_delay_alu instid0(VALU_DEP_3) | instskip(NEXT) | instid1(VALU_DEP_4)
	v_add_co_u32 v59, vcc_lo, s10, v57
	v_add_co_ci_u32_e32 v60, vcc_lo, s11, v58, vcc_lo
	v_mov_b32_e32 v155, 1
	s_clause 0x1
	global_load_b32 v63, v[61:62], off
	global_load_b32 v64, v[59:60], off
	v_mov_b32_e32 v156, 0
	s_mov_b32 s3, exec_lo
	s_waitcnt vmcnt(0)
	v_cmpx_eq_u32_e64 v63, v64
	s_cbranch_execz .LBB1537_863
; %bb.857:
	v_add_co_u32 v59, vcc_lo, v59, 4
	v_add_co_ci_u32_e32 v60, vcc_lo, 0, v60, vcc_lo
	v_add_co_u32 v61, vcc_lo, v61, 4
	v_add_co_ci_u32_e32 v62, vcc_lo, 0, v62, vcc_lo
	s_add_u32 s12, s8, -1
	s_addc_u32 s13, s9, -1
	s_mov_b64 s[14:15], 0
	s_mov_b32 s18, 0
                                        ; implicit-def: $sgpr19
	s_set_inst_prefetch_distance 0x1
	s_branch .LBB1537_860
	.p2align	6
.LBB1537_858:                           ;   in Loop: Header=BB1537_860 Depth=1
	global_load_b32 v63, v[61:62], off
	global_load_b32 v64, v[59:60], off
	v_add_co_u32 v59, vcc_lo, v59, 4
	v_add_co_ci_u32_e32 v60, vcc_lo, 0, v60, vcc_lo
	v_add_co_u32 v61, s0, v61, 4
	s_delay_alu instid0(VALU_DEP_1)
	v_add_co_ci_u32_e64 v62, s0, 0, v62, s0
	s_add_u32 s14, s14, 1
	s_addc_u32 s15, s15, 0
	s_and_not1_b32 s0, s19, exec_lo
	s_waitcnt vmcnt(0)
	v_cmp_ne_u32_e32 vcc_lo, v63, v64
	s_and_b32 s19, vcc_lo, exec_lo
	s_delay_alu instid0(SALU_CYCLE_1)
	s_or_b32 s19, s0, s19
.LBB1537_859:                           ;   in Loop: Header=BB1537_860 Depth=1
	v_dual_mov_b32 v64, s15 :: v_dual_mov_b32 v63, s14
	s_and_b32 s0, exec_lo, s19
	s_delay_alu instid0(SALU_CYCLE_1) | instskip(NEXT) | instid1(SALU_CYCLE_1)
	s_or_b32 s18, s0, s18
	s_and_not1_b32 exec_lo, exec_lo, s18
	s_cbranch_execz .LBB1537_862
.LBB1537_860:                           ; =>This Inner Loop Header: Depth=1
	s_or_b32 s19, s19, exec_lo
	s_cmp_eq_u64 s[12:13], s[14:15]
	s_cbranch_scc0 .LBB1537_858
; %bb.861:                              ;   in Loop: Header=BB1537_860 Depth=1
	s_mov_b64 s[14:15], s[8:9]
                                        ; implicit-def: $vgpr59_vgpr60
                                        ; implicit-def: $vgpr61_vgpr62
	s_branch .LBB1537_859
.LBB1537_862:
	s_set_inst_prefetch_distance 0x2
	s_or_b32 exec_lo, exec_lo, s18
	v_cmp_gt_i64_e32 vcc_lo, s[8:9], v[63:64]
	s_mov_b32 s0, 0
	s_delay_alu instid0(SALU_CYCLE_1)
	v_mov_b32_e32 v156, s0
	v_cndmask_b32_e64 v155, 0, 1, vcc_lo
.LBB1537_863:
	s_or_b32 exec_lo, exec_lo, s3
.LBB1537_864:
	v_mul_lo_u32 v61, v18, s8
	v_mul_lo_u32 v62, v17, s9
	v_mad_u64_u32 v[59:60], null, v17, s8, 0
	v_mov_b32_e32 v159, 0
	v_mov_b32_e32 v160, 0
	v_cmp_ne_u32_e32 vcc_lo, 1, v65
	s_delay_alu instid0(VALU_DEP_2) | instskip(SKIP_1) | instid1(VALU_DEP_1)
	v_dual_mov_b32 v157, v159 :: v_dual_mov_b32 v158, v160
	v_add3_u32 v60, v60, v62, v61
	v_lshlrev_b64 v[59:60], 2, v[59:60]
	s_cbranch_vccnz .LBB1537_873
; %bb.865:
	v_add_co_u32 v61, vcc_lo, s10, v57
	v_add_co_ci_u32_e32 v62, vcc_lo, s11, v58, vcc_lo
	s_delay_alu instid0(VALU_DEP_3) | instskip(NEXT) | instid1(VALU_DEP_4)
	v_add_co_u32 v57, vcc_lo, s10, v59
	v_add_co_ci_u32_e32 v58, vcc_lo, s11, v60, vcc_lo
	v_mov_b32_e32 v157, 1
	s_clause 0x1
	global_load_b32 v63, v[61:62], off
	global_load_b32 v64, v[57:58], off
	v_mov_b32_e32 v158, 0
	s_mov_b32 s3, exec_lo
	s_waitcnt vmcnt(0)
	v_cmpx_eq_u32_e64 v63, v64
	s_cbranch_execz .LBB1537_872
; %bb.866:
	v_add_co_u32 v57, vcc_lo, v57, 4
	v_add_co_ci_u32_e32 v58, vcc_lo, 0, v58, vcc_lo
	v_add_co_u32 v61, vcc_lo, v61, 4
	v_add_co_ci_u32_e32 v62, vcc_lo, 0, v62, vcc_lo
	s_add_u32 s12, s8, -1
	s_addc_u32 s13, s9, -1
	s_mov_b64 s[14:15], 0
	s_mov_b32 s18, 0
                                        ; implicit-def: $sgpr19
	s_set_inst_prefetch_distance 0x1
	s_branch .LBB1537_869
	.p2align	6
.LBB1537_867:                           ;   in Loop: Header=BB1537_869 Depth=1
	global_load_b32 v63, v[61:62], off
	global_load_b32 v64, v[57:58], off
	v_add_co_u32 v57, vcc_lo, v57, 4
	v_add_co_ci_u32_e32 v58, vcc_lo, 0, v58, vcc_lo
	v_add_co_u32 v61, s0, v61, 4
	s_delay_alu instid0(VALU_DEP_1)
	v_add_co_ci_u32_e64 v62, s0, 0, v62, s0
	s_add_u32 s14, s14, 1
	s_addc_u32 s15, s15, 0
	s_and_not1_b32 s0, s19, exec_lo
	s_waitcnt vmcnt(0)
	v_cmp_ne_u32_e32 vcc_lo, v63, v64
	s_and_b32 s19, vcc_lo, exec_lo
	s_delay_alu instid0(SALU_CYCLE_1)
	s_or_b32 s19, s0, s19
.LBB1537_868:                           ;   in Loop: Header=BB1537_869 Depth=1
	v_dual_mov_b32 v64, s15 :: v_dual_mov_b32 v63, s14
	s_and_b32 s0, exec_lo, s19
	s_delay_alu instid0(SALU_CYCLE_1) | instskip(NEXT) | instid1(SALU_CYCLE_1)
	s_or_b32 s18, s0, s18
	s_and_not1_b32 exec_lo, exec_lo, s18
	s_cbranch_execz .LBB1537_871
.LBB1537_869:                           ; =>This Inner Loop Header: Depth=1
	s_or_b32 s19, s19, exec_lo
	s_cmp_eq_u64 s[12:13], s[14:15]
	s_cbranch_scc0 .LBB1537_867
; %bb.870:                              ;   in Loop: Header=BB1537_869 Depth=1
	s_mov_b64 s[14:15], s[8:9]
                                        ; implicit-def: $vgpr57_vgpr58
                                        ; implicit-def: $vgpr61_vgpr62
	s_branch .LBB1537_868
.LBB1537_871:
	s_set_inst_prefetch_distance 0x2
	s_or_b32 exec_lo, exec_lo, s18
	v_cmp_gt_i64_e32 vcc_lo, s[8:9], v[63:64]
	s_mov_b32 s0, 0
	s_delay_alu instid0(SALU_CYCLE_1)
	v_mov_b32_e32 v158, s0
	v_cndmask_b32_e64 v157, 0, 1, vcc_lo
.LBB1537_872:
	s_or_b32 exec_lo, exec_lo, s3
.LBB1537_873:
	v_mul_lo_u32 v61, v16, s8
	v_mul_lo_u32 v62, v15, s9
	v_mad_u64_u32 v[57:58], null, v15, s8, 0
	v_cmp_ne_u32_e32 vcc_lo, 1, v65
	s_delay_alu instid0(VALU_DEP_2) | instskip(NEXT) | instid1(VALU_DEP_1)
	v_add3_u32 v58, v58, v62, v61
	v_lshlrev_b64 v[57:58], 2, v[57:58]
	s_cbranch_vccnz .LBB1537_882
; %bb.874:
	v_add_co_u32 v61, vcc_lo, s10, v59
	v_add_co_ci_u32_e32 v62, vcc_lo, s11, v60, vcc_lo
	s_delay_alu instid0(VALU_DEP_3) | instskip(NEXT) | instid1(VALU_DEP_4)
	v_add_co_u32 v59, vcc_lo, s10, v57
	v_add_co_ci_u32_e32 v60, vcc_lo, s11, v58, vcc_lo
	v_mov_b32_e32 v159, 1
	s_clause 0x1
	global_load_b32 v63, v[61:62], off
	global_load_b32 v64, v[59:60], off
	v_mov_b32_e32 v160, 0
	s_mov_b32 s3, exec_lo
	s_waitcnt vmcnt(0)
	v_cmpx_eq_u32_e64 v63, v64
	s_cbranch_execz .LBB1537_881
; %bb.875:
	v_add_co_u32 v59, vcc_lo, v59, 4
	v_add_co_ci_u32_e32 v60, vcc_lo, 0, v60, vcc_lo
	v_add_co_u32 v61, vcc_lo, v61, 4
	v_add_co_ci_u32_e32 v62, vcc_lo, 0, v62, vcc_lo
	s_add_u32 s12, s8, -1
	s_addc_u32 s13, s9, -1
	s_mov_b64 s[14:15], 0
	s_mov_b32 s18, 0
                                        ; implicit-def: $sgpr19
	s_set_inst_prefetch_distance 0x1
	s_branch .LBB1537_878
	.p2align	6
.LBB1537_876:                           ;   in Loop: Header=BB1537_878 Depth=1
	global_load_b32 v63, v[61:62], off
	global_load_b32 v64, v[59:60], off
	v_add_co_u32 v59, vcc_lo, v59, 4
	v_add_co_ci_u32_e32 v60, vcc_lo, 0, v60, vcc_lo
	v_add_co_u32 v61, s0, v61, 4
	s_delay_alu instid0(VALU_DEP_1)
	v_add_co_ci_u32_e64 v62, s0, 0, v62, s0
	s_add_u32 s14, s14, 1
	s_addc_u32 s15, s15, 0
	s_and_not1_b32 s0, s19, exec_lo
	s_waitcnt vmcnt(0)
	v_cmp_ne_u32_e32 vcc_lo, v63, v64
	s_and_b32 s19, vcc_lo, exec_lo
	s_delay_alu instid0(SALU_CYCLE_1)
	s_or_b32 s19, s0, s19
.LBB1537_877:                           ;   in Loop: Header=BB1537_878 Depth=1
	v_dual_mov_b32 v64, s15 :: v_dual_mov_b32 v63, s14
	s_and_b32 s0, exec_lo, s19
	s_delay_alu instid0(SALU_CYCLE_1) | instskip(NEXT) | instid1(SALU_CYCLE_1)
	s_or_b32 s18, s0, s18
	s_and_not1_b32 exec_lo, exec_lo, s18
	s_cbranch_execz .LBB1537_880
.LBB1537_878:                           ; =>This Inner Loop Header: Depth=1
	s_or_b32 s19, s19, exec_lo
	s_cmp_eq_u64 s[12:13], s[14:15]
	s_cbranch_scc0 .LBB1537_876
; %bb.879:                              ;   in Loop: Header=BB1537_878 Depth=1
	s_mov_b64 s[14:15], s[8:9]
                                        ; implicit-def: $vgpr59_vgpr60
                                        ; implicit-def: $vgpr61_vgpr62
	s_branch .LBB1537_877
.LBB1537_880:
	s_set_inst_prefetch_distance 0x2
	s_or_b32 exec_lo, exec_lo, s18
	v_cmp_gt_i64_e32 vcc_lo, s[8:9], v[63:64]
	s_mov_b32 s0, 0
	s_delay_alu instid0(SALU_CYCLE_1)
	v_mov_b32_e32 v160, s0
	v_cndmask_b32_e64 v159, 0, 1, vcc_lo
.LBB1537_881:
	s_or_b32 exec_lo, exec_lo, s3
.LBB1537_882:
	v_mul_lo_u32 v61, v14, s8
	v_mul_lo_u32 v62, v13, s9
	v_mad_u64_u32 v[59:60], null, v13, s8, 0
	v_mov_b32_e32 v163, 0
	v_mov_b32_e32 v164, 0
	v_cmp_ne_u32_e32 vcc_lo, 1, v65
	s_delay_alu instid0(VALU_DEP_2) | instskip(SKIP_1) | instid1(VALU_DEP_1)
	v_dual_mov_b32 v161, v163 :: v_dual_mov_b32 v162, v164
	v_add3_u32 v60, v60, v62, v61
	v_lshlrev_b64 v[59:60], 2, v[59:60]
	s_cbranch_vccnz .LBB1537_891
; %bb.883:
	v_add_co_u32 v61, vcc_lo, s10, v57
	v_add_co_ci_u32_e32 v62, vcc_lo, s11, v58, vcc_lo
	s_delay_alu instid0(VALU_DEP_3) | instskip(NEXT) | instid1(VALU_DEP_4)
	v_add_co_u32 v57, vcc_lo, s10, v59
	v_add_co_ci_u32_e32 v58, vcc_lo, s11, v60, vcc_lo
	v_mov_b32_e32 v161, 1
	s_clause 0x1
	global_load_b32 v63, v[61:62], off
	global_load_b32 v64, v[57:58], off
	v_mov_b32_e32 v162, 0
	s_mov_b32 s3, exec_lo
	s_waitcnt vmcnt(0)
	v_cmpx_eq_u32_e64 v63, v64
	s_cbranch_execz .LBB1537_890
; %bb.884:
	v_add_co_u32 v57, vcc_lo, v57, 4
	v_add_co_ci_u32_e32 v58, vcc_lo, 0, v58, vcc_lo
	v_add_co_u32 v61, vcc_lo, v61, 4
	v_add_co_ci_u32_e32 v62, vcc_lo, 0, v62, vcc_lo
	s_add_u32 s12, s8, -1
	s_addc_u32 s13, s9, -1
	s_mov_b64 s[14:15], 0
	s_mov_b32 s18, 0
                                        ; implicit-def: $sgpr19
	s_set_inst_prefetch_distance 0x1
	s_branch .LBB1537_887
	.p2align	6
.LBB1537_885:                           ;   in Loop: Header=BB1537_887 Depth=1
	global_load_b32 v63, v[61:62], off
	global_load_b32 v64, v[57:58], off
	v_add_co_u32 v57, vcc_lo, v57, 4
	v_add_co_ci_u32_e32 v58, vcc_lo, 0, v58, vcc_lo
	v_add_co_u32 v61, s0, v61, 4
	s_delay_alu instid0(VALU_DEP_1)
	v_add_co_ci_u32_e64 v62, s0, 0, v62, s0
	s_add_u32 s14, s14, 1
	s_addc_u32 s15, s15, 0
	s_and_not1_b32 s0, s19, exec_lo
	s_waitcnt vmcnt(0)
	v_cmp_ne_u32_e32 vcc_lo, v63, v64
	s_and_b32 s19, vcc_lo, exec_lo
	s_delay_alu instid0(SALU_CYCLE_1)
	s_or_b32 s19, s0, s19
.LBB1537_886:                           ;   in Loop: Header=BB1537_887 Depth=1
	v_dual_mov_b32 v64, s15 :: v_dual_mov_b32 v63, s14
	s_and_b32 s0, exec_lo, s19
	s_delay_alu instid0(SALU_CYCLE_1) | instskip(NEXT) | instid1(SALU_CYCLE_1)
	s_or_b32 s18, s0, s18
	s_and_not1_b32 exec_lo, exec_lo, s18
	s_cbranch_execz .LBB1537_889
.LBB1537_887:                           ; =>This Inner Loop Header: Depth=1
	s_or_b32 s19, s19, exec_lo
	s_cmp_eq_u64 s[12:13], s[14:15]
	s_cbranch_scc0 .LBB1537_885
; %bb.888:                              ;   in Loop: Header=BB1537_887 Depth=1
	s_mov_b64 s[14:15], s[8:9]
                                        ; implicit-def: $vgpr57_vgpr58
                                        ; implicit-def: $vgpr61_vgpr62
	s_branch .LBB1537_886
.LBB1537_889:
	s_set_inst_prefetch_distance 0x2
	s_or_b32 exec_lo, exec_lo, s18
	v_cmp_gt_i64_e32 vcc_lo, s[8:9], v[63:64]
	s_mov_b32 s0, 0
	s_delay_alu instid0(SALU_CYCLE_1)
	v_mov_b32_e32 v162, s0
	v_cndmask_b32_e64 v161, 0, 1, vcc_lo
.LBB1537_890:
	s_or_b32 exec_lo, exec_lo, s3
.LBB1537_891:
	v_mul_lo_u32 v61, v4, s8
	v_mul_lo_u32 v62, v3, s9
	v_mad_u64_u32 v[57:58], null, v3, s8, 0
	v_cmp_ne_u32_e32 vcc_lo, 1, v65
	s_delay_alu instid0(VALU_DEP_2) | instskip(NEXT) | instid1(VALU_DEP_1)
	v_add3_u32 v58, v58, v62, v61
	v_lshlrev_b64 v[57:58], 2, v[57:58]
	s_cbranch_vccnz .LBB1537_900
; %bb.892:
	v_add_co_u32 v61, vcc_lo, s10, v59
	v_add_co_ci_u32_e32 v62, vcc_lo, s11, v60, vcc_lo
	s_delay_alu instid0(VALU_DEP_3) | instskip(NEXT) | instid1(VALU_DEP_4)
	v_add_co_u32 v59, vcc_lo, s10, v57
	v_add_co_ci_u32_e32 v60, vcc_lo, s11, v58, vcc_lo
	v_mov_b32_e32 v163, 1
	s_clause 0x1
	global_load_b32 v63, v[61:62], off
	global_load_b32 v64, v[59:60], off
	v_mov_b32_e32 v164, 0
	s_mov_b32 s3, exec_lo
	s_waitcnt vmcnt(0)
	v_cmpx_eq_u32_e64 v63, v64
	s_cbranch_execz .LBB1537_899
; %bb.893:
	v_add_co_u32 v59, vcc_lo, v59, 4
	v_add_co_ci_u32_e32 v60, vcc_lo, 0, v60, vcc_lo
	v_add_co_u32 v61, vcc_lo, v61, 4
	v_add_co_ci_u32_e32 v62, vcc_lo, 0, v62, vcc_lo
	s_add_u32 s12, s8, -1
	s_addc_u32 s13, s9, -1
	s_mov_b64 s[14:15], 0
	s_mov_b32 s18, 0
                                        ; implicit-def: $sgpr19
	s_set_inst_prefetch_distance 0x1
	s_branch .LBB1537_896
	.p2align	6
.LBB1537_894:                           ;   in Loop: Header=BB1537_896 Depth=1
	global_load_b32 v63, v[61:62], off
	global_load_b32 v64, v[59:60], off
	v_add_co_u32 v59, vcc_lo, v59, 4
	v_add_co_ci_u32_e32 v60, vcc_lo, 0, v60, vcc_lo
	v_add_co_u32 v61, s0, v61, 4
	s_delay_alu instid0(VALU_DEP_1)
	v_add_co_ci_u32_e64 v62, s0, 0, v62, s0
	s_add_u32 s14, s14, 1
	s_addc_u32 s15, s15, 0
	s_and_not1_b32 s0, s19, exec_lo
	s_waitcnt vmcnt(0)
	v_cmp_ne_u32_e32 vcc_lo, v63, v64
	s_and_b32 s19, vcc_lo, exec_lo
	s_delay_alu instid0(SALU_CYCLE_1)
	s_or_b32 s19, s0, s19
.LBB1537_895:                           ;   in Loop: Header=BB1537_896 Depth=1
	v_dual_mov_b32 v64, s15 :: v_dual_mov_b32 v63, s14
	s_and_b32 s0, exec_lo, s19
	s_delay_alu instid0(SALU_CYCLE_1) | instskip(NEXT) | instid1(SALU_CYCLE_1)
	s_or_b32 s18, s0, s18
	s_and_not1_b32 exec_lo, exec_lo, s18
	s_cbranch_execz .LBB1537_898
.LBB1537_896:                           ; =>This Inner Loop Header: Depth=1
	s_or_b32 s19, s19, exec_lo
	s_cmp_eq_u64 s[12:13], s[14:15]
	s_cbranch_scc0 .LBB1537_894
; %bb.897:                              ;   in Loop: Header=BB1537_896 Depth=1
	s_mov_b64 s[14:15], s[8:9]
                                        ; implicit-def: $vgpr59_vgpr60
                                        ; implicit-def: $vgpr61_vgpr62
	s_branch .LBB1537_895
.LBB1537_898:
	s_set_inst_prefetch_distance 0x2
	s_or_b32 exec_lo, exec_lo, s18
	v_cmp_gt_i64_e32 vcc_lo, s[8:9], v[63:64]
	s_mov_b32 s0, 0
	s_delay_alu instid0(SALU_CYCLE_1)
	v_mov_b32_e32 v164, s0
	v_cndmask_b32_e64 v163, 0, 1, vcc_lo
.LBB1537_899:
	s_or_b32 exec_lo, exec_lo, s3
.LBB1537_900:
	v_cmp_ne_u32_e32 vcc_lo, 1, v65
	s_cbranch_vccnz .LBB1537_907
; %bb.901:
	v_mul_lo_u32 v61, v2, s8
	v_mul_lo_u32 v62, v1, s9
	v_mad_u64_u32 v[59:60], null, v1, s8, 0
	v_mov_b32_e32 v165, 1
	v_mov_b32_e32 v166, 0
	s_mov_b32 s3, exec_lo
	s_delay_alu instid0(VALU_DEP_3) | instskip(NEXT) | instid1(VALU_DEP_1)
	v_add3_u32 v60, v60, v62, v61
	v_lshlrev_b64 v[61:62], 2, v[59:60]
	v_add_co_u32 v59, vcc_lo, s10, v57
	v_add_co_ci_u32_e32 v60, vcc_lo, s11, v58, vcc_lo
	s_delay_alu instid0(VALU_DEP_3) | instskip(NEXT) | instid1(VALU_DEP_4)
	v_add_co_u32 v57, vcc_lo, s10, v61
	v_add_co_ci_u32_e32 v58, vcc_lo, s11, v62, vcc_lo
	s_clause 0x1
	global_load_b32 v61, v[59:60], off
	global_load_b32 v62, v[57:58], off
	s_waitcnt vmcnt(0)
	v_cmpx_eq_u32_e64 v61, v62
	s_cbranch_execz .LBB1537_909
; %bb.902:
	v_add_co_u32 v57, vcc_lo, v57, 4
	v_add_co_ci_u32_e32 v58, vcc_lo, 0, v58, vcc_lo
	v_add_co_u32 v59, vcc_lo, v59, 4
	v_add_co_ci_u32_e32 v60, vcc_lo, 0, v60, vcc_lo
	s_add_u32 s12, s8, -1
	s_addc_u32 s13, s9, -1
	s_mov_b64 s[14:15], 0
	s_mov_b32 s18, 0
                                        ; implicit-def: $sgpr19
	s_set_inst_prefetch_distance 0x1
	s_branch .LBB1537_905
	.p2align	6
.LBB1537_903:                           ;   in Loop: Header=BB1537_905 Depth=1
	global_load_b32 v61, v[59:60], off
	global_load_b32 v62, v[57:58], off
	v_add_co_u32 v57, vcc_lo, v57, 4
	v_add_co_ci_u32_e32 v58, vcc_lo, 0, v58, vcc_lo
	v_add_co_u32 v59, s0, v59, 4
	s_delay_alu instid0(VALU_DEP_1)
	v_add_co_ci_u32_e64 v60, s0, 0, v60, s0
	s_add_u32 s14, s14, 1
	s_addc_u32 s15, s15, 0
	s_and_not1_b32 s0, s19, exec_lo
	s_waitcnt vmcnt(0)
	v_cmp_ne_u32_e32 vcc_lo, v61, v62
	s_and_b32 s19, vcc_lo, exec_lo
	s_delay_alu instid0(SALU_CYCLE_1)
	s_or_b32 s19, s0, s19
.LBB1537_904:                           ;   in Loop: Header=BB1537_905 Depth=1
	v_dual_mov_b32 v62, s15 :: v_dual_mov_b32 v61, s14
	s_and_b32 s0, exec_lo, s19
	s_delay_alu instid0(SALU_CYCLE_1) | instskip(NEXT) | instid1(SALU_CYCLE_1)
	s_or_b32 s18, s0, s18
	s_and_not1_b32 exec_lo, exec_lo, s18
	s_cbranch_execz .LBB1537_908
.LBB1537_905:                           ; =>This Inner Loop Header: Depth=1
	s_or_b32 s19, s19, exec_lo
	s_cmp_eq_u64 s[12:13], s[14:15]
	s_cbranch_scc0 .LBB1537_903
; %bb.906:                              ;   in Loop: Header=BB1537_905 Depth=1
	s_mov_b64 s[14:15], s[8:9]
                                        ; implicit-def: $vgpr57_vgpr58
                                        ; implicit-def: $vgpr59_vgpr60
	s_branch .LBB1537_904
.LBB1537_907:
	v_mov_b32_e32 v165, 0
	v_mov_b32_e32 v166, 0
	s_branch .LBB1537_910
.LBB1537_908:
	s_set_inst_prefetch_distance 0x2
	s_or_b32 exec_lo, exec_lo, s18
	v_cmp_gt_i64_e32 vcc_lo, s[8:9], v[61:62]
	s_mov_b32 s0, 0
	s_delay_alu instid0(SALU_CYCLE_1)
	v_mov_b32_e32 v166, s0
	v_cndmask_b32_e64 v165, 0, 1, vcc_lo
.LBB1537_909:
	s_or_b32 exec_lo, exec_lo, s3
.LBB1537_910:
	s_mov_b32 s3, 0
	s_mov_b32 s18, exec_lo
	s_waitcnt lgkmcnt(0)
	s_barrier
	buffer_gl0_inv
                                        ; implicit-def: $sgpr0
	v_cmpx_ne_u32_e32 0, v0
	s_cbranch_execz .LBB1537_922
; %bb.911:
	v_cmp_ne_u32_e32 vcc_lo, 1, v65
	s_cbranch_vccnz .LBB1537_918
; %bb.912:
	v_add_nc_u32_e32 v57, -8, v195
	v_mul_lo_u32 v63, v2, s8
	v_mul_lo_u32 v64, v1, s9
	v_mad_u64_u32 v[59:60], null, v1, s8, 0
	ds_load_b64 v[57:58], v57
	s_mov_b32 s0, -1
	s_mov_b32 s19, exec_lo
	v_add3_u32 v60, v60, v64, v63
	s_waitcnt lgkmcnt(0)
	v_mul_lo_u32 v58, v58, s8
	v_mul_lo_u32 v65, v57, s9
	v_mad_u64_u32 v[61:62], null, v57, s8, 0
	s_delay_alu instid0(VALU_DEP_1) | instskip(SKIP_1) | instid1(VALU_DEP_2)
	v_add3_u32 v62, v62, v65, v58
	v_lshlrev_b64 v[57:58], 2, v[59:60]
	v_lshlrev_b64 v[61:62], 2, v[61:62]
	s_delay_alu instid0(VALU_DEP_2) | instskip(NEXT) | instid1(VALU_DEP_3)
	v_add_co_u32 v59, vcc_lo, s10, v57
	v_add_co_ci_u32_e32 v60, vcc_lo, s11, v58, vcc_lo
	s_delay_alu instid0(VALU_DEP_3) | instskip(NEXT) | instid1(VALU_DEP_4)
	v_add_co_u32 v57, vcc_lo, s10, v61
	v_add_co_ci_u32_e32 v58, vcc_lo, s11, v62, vcc_lo
	s_clause 0x1
	global_load_b32 v61, v[59:60], off
	global_load_b32 v62, v[57:58], off
	s_waitcnt vmcnt(0)
	v_cmpx_eq_u32_e64 v61, v62
	s_cbranch_execz .LBB1537_920
; %bb.913:
	v_add_co_u32 v57, vcc_lo, v57, 4
	v_add_co_ci_u32_e32 v58, vcc_lo, 0, v58, vcc_lo
	v_add_co_u32 v59, vcc_lo, v59, 4
	v_add_co_ci_u32_e32 v60, vcc_lo, 0, v60, vcc_lo
	s_add_u32 s12, s8, -1
	s_addc_u32 s13, s9, -1
	s_mov_b64 s[14:15], 0
	s_mov_b32 s20, 0
                                        ; implicit-def: $sgpr21
	s_set_inst_prefetch_distance 0x1
	s_branch .LBB1537_916
	.p2align	6
.LBB1537_914:                           ;   in Loop: Header=BB1537_916 Depth=1
	global_load_b32 v61, v[59:60], off
	global_load_b32 v62, v[57:58], off
	v_add_co_u32 v57, vcc_lo, v57, 4
	v_add_co_ci_u32_e32 v58, vcc_lo, 0, v58, vcc_lo
	v_add_co_u32 v59, s0, v59, 4
	s_delay_alu instid0(VALU_DEP_1)
	v_add_co_ci_u32_e64 v60, s0, 0, v60, s0
	s_add_u32 s14, s14, 1
	s_addc_u32 s15, s15, 0
	s_and_not1_b32 s0, s21, exec_lo
	s_waitcnt vmcnt(0)
	v_cmp_ne_u32_e32 vcc_lo, v61, v62
	s_and_b32 s21, vcc_lo, exec_lo
	s_delay_alu instid0(SALU_CYCLE_1)
	s_or_b32 s21, s0, s21
.LBB1537_915:                           ;   in Loop: Header=BB1537_916 Depth=1
	v_dual_mov_b32 v62, s15 :: v_dual_mov_b32 v61, s14
	s_and_b32 s0, exec_lo, s21
	s_delay_alu instid0(SALU_CYCLE_1) | instskip(NEXT) | instid1(SALU_CYCLE_1)
	s_or_b32 s20, s0, s20
	s_and_not1_b32 exec_lo, exec_lo, s20
	s_cbranch_execz .LBB1537_919
.LBB1537_916:                           ; =>This Inner Loop Header: Depth=1
	s_or_b32 s21, s21, exec_lo
	s_cmp_eq_u64 s[12:13], s[14:15]
	s_cbranch_scc0 .LBB1537_914
; %bb.917:                              ;   in Loop: Header=BB1537_916 Depth=1
	s_mov_b64 s[14:15], s[8:9]
                                        ; implicit-def: $vgpr57_vgpr58
                                        ; implicit-def: $vgpr59_vgpr60
	s_branch .LBB1537_915
.LBB1537_918:
	s_mov_b32 s0, 0
	s_branch .LBB1537_921
.LBB1537_919:
	s_set_inst_prefetch_distance 0x2
	s_or_b32 exec_lo, exec_lo, s20
	v_cmp_gt_i64_e32 vcc_lo, s[8:9], v[61:62]
	s_or_not1_b32 s0, vcc_lo, exec_lo
.LBB1537_920:
	s_or_b32 exec_lo, exec_lo, s19
.LBB1537_921:
	s_delay_alu instid0(SALU_CYCLE_1)
	s_and_b32 s0, s0, exec_lo
	s_or_b32 s1, s1, exec_lo
.LBB1537_922:
	s_or_b32 exec_lo, exec_lo, s18
	v_dual_mov_b32 v182, v166 :: v_dual_mov_b32 v181, v165
	v_dual_mov_b32 v168, v164 :: v_dual_mov_b32 v167, v163
	;; [unrolled: 1-line block ×27, first 2 shown]
	s_and_b32 vcc_lo, exec_lo, s3
	s_cbranch_vccz .LBB1537_1243
.LBB1537_923:
	v_cmp_gt_i64_e64 s0, s[8:9], 0
	s_waitcnt lgkmcnt(0)
	v_mad_u32_u24 v57, v0, 29, 28
	v_mul_u32_u24_e32 v64, 29, v0
	s_mov_b32 s3, exec_lo
	ds_store_b64 v195, v[109:110]
	v_cndmask_b32_e64 v63, 0, 1, s0
	v_cmpx_gt_u32_e64 s6, v57
	s_cbranch_execz .LBB1537_934
; %bb.924:
	s_and_not1_b32 vcc_lo, exec_lo, s0
	s_cbranch_vccnz .LBB1537_931
; %bb.925:
	v_mul_lo_u32 v61, v110, s8
	v_mul_lo_u32 v62, v109, s9
	v_mad_u64_u32 v[57:58], null, v109, s8, 0
	v_mul_lo_u32 v65, v8, s8
	v_mul_lo_u32 v66, v7, s9
	v_mad_u64_u32 v[59:60], null, v7, s8, 0
	v_mov_b32_e32 v109, 1
	v_mov_b32_e32 v110, 0
	v_add3_u32 v58, v58, v62, v61
	s_mov_b32 s18, exec_lo
	s_delay_alu instid0(VALU_DEP_4) | instskip(NEXT) | instid1(VALU_DEP_2)
	v_add3_u32 v60, v60, v66, v65
	v_lshlrev_b64 v[57:58], 2, v[57:58]
	s_delay_alu instid0(VALU_DEP_2) | instskip(NEXT) | instid1(VALU_DEP_2)
	v_lshlrev_b64 v[61:62], 2, v[59:60]
	v_add_co_u32 v59, vcc_lo, s10, v57
	s_delay_alu instid0(VALU_DEP_3) | instskip(NEXT) | instid1(VALU_DEP_3)
	v_add_co_ci_u32_e32 v60, vcc_lo, s11, v58, vcc_lo
	v_add_co_u32 v57, vcc_lo, s10, v61
	s_delay_alu instid0(VALU_DEP_4)
	v_add_co_ci_u32_e32 v58, vcc_lo, s11, v62, vcc_lo
	s_clause 0x1
	global_load_b32 v61, v[59:60], off
	global_load_b32 v62, v[57:58], off
	s_waitcnt vmcnt(0)
	v_cmpx_eq_u32_e64 v61, v62
	s_cbranch_execz .LBB1537_933
; %bb.926:
	v_add_co_u32 v57, vcc_lo, v57, 4
	v_add_co_ci_u32_e32 v58, vcc_lo, 0, v58, vcc_lo
	v_add_co_u32 v59, vcc_lo, v59, 4
	v_add_co_ci_u32_e32 v60, vcc_lo, 0, v60, vcc_lo
	s_add_u32 s12, s8, -1
	s_addc_u32 s13, s9, -1
	s_mov_b64 s[14:15], 0
	s_mov_b32 s19, 0
                                        ; implicit-def: $sgpr20
	s_set_inst_prefetch_distance 0x1
	s_branch .LBB1537_929
	.p2align	6
.LBB1537_927:                           ;   in Loop: Header=BB1537_929 Depth=1
	global_load_b32 v61, v[59:60], off
	global_load_b32 v62, v[57:58], off
	v_add_co_u32 v57, vcc_lo, v57, 4
	v_add_co_ci_u32_e32 v58, vcc_lo, 0, v58, vcc_lo
	v_add_co_u32 v59, s0, v59, 4
	s_delay_alu instid0(VALU_DEP_1)
	v_add_co_ci_u32_e64 v60, s0, 0, v60, s0
	s_add_u32 s14, s14, 1
	s_addc_u32 s15, s15, 0
	s_and_not1_b32 s0, s20, exec_lo
	s_waitcnt vmcnt(0)
	v_cmp_ne_u32_e32 vcc_lo, v61, v62
	s_and_b32 s20, vcc_lo, exec_lo
	s_delay_alu instid0(SALU_CYCLE_1)
	s_or_b32 s20, s0, s20
.LBB1537_928:                           ;   in Loop: Header=BB1537_929 Depth=1
	v_dual_mov_b32 v62, s15 :: v_dual_mov_b32 v61, s14
	s_and_b32 s0, exec_lo, s20
	s_delay_alu instid0(SALU_CYCLE_1) | instskip(NEXT) | instid1(SALU_CYCLE_1)
	s_or_b32 s19, s0, s19
	s_and_not1_b32 exec_lo, exec_lo, s19
	s_cbranch_execz .LBB1537_932
.LBB1537_929:                           ; =>This Inner Loop Header: Depth=1
	s_or_b32 s20, s20, exec_lo
	s_cmp_eq_u64 s[12:13], s[14:15]
	s_cbranch_scc0 .LBB1537_927
; %bb.930:                              ;   in Loop: Header=BB1537_929 Depth=1
	s_mov_b64 s[14:15], s[8:9]
                                        ; implicit-def: $vgpr57_vgpr58
                                        ; implicit-def: $vgpr59_vgpr60
	s_branch .LBB1537_928
.LBB1537_931:
	v_mov_b32_e32 v109, 0
	v_mov_b32_e32 v110, 0
	s_branch .LBB1537_934
.LBB1537_932:
	s_set_inst_prefetch_distance 0x2
	s_or_b32 exec_lo, exec_lo, s19
	v_cmp_gt_i64_e32 vcc_lo, s[8:9], v[61:62]
	s_mov_b32 s0, 0
	s_delay_alu instid0(SALU_CYCLE_1)
	v_mov_b32_e32 v110, s0
	v_cndmask_b32_e64 v109, 0, 1, vcc_lo
.LBB1537_933:
	s_or_b32 exec_lo, exec_lo, s18
.LBB1537_934:
	s_delay_alu instid0(SALU_CYCLE_1) | instskip(SKIP_2) | instid1(VALU_DEP_1)
	s_or_b32 exec_lo, exec_lo, s3
	v_add_nc_u32_e32 v57, 27, v64
	s_mov_b32 s3, exec_lo
	v_cmpx_gt_u32_e64 s6, v57
	s_cbranch_execz .LBB1537_945
; %bb.935:
	v_cmp_ne_u32_e32 vcc_lo, 1, v63
	s_cbranch_vccnz .LBB1537_942
; %bb.936:
	v_mul_lo_u32 v59, v8, s8
	v_mul_lo_u32 v60, v7, s9
	v_mad_u64_u32 v[57:58], null, v7, s8, 0
	v_mul_lo_u32 v61, v6, s8
	v_mul_lo_u32 v62, v5, s9
	v_mad_u64_u32 v[7:8], null, v5, s8, 0
	s_mov_b32 s18, exec_lo
	s_delay_alu instid0(VALU_DEP_4) | instskip(NEXT) | instid1(VALU_DEP_2)
	v_add3_u32 v58, v58, v60, v59
	v_add3_u32 v8, v8, v62, v61
	s_delay_alu instid0(VALU_DEP_2) | instskip(NEXT) | instid1(VALU_DEP_2)
	v_lshlrev_b64 v[57:58], 2, v[57:58]
	v_lshlrev_b64 v[7:8], 2, v[7:8]
	s_delay_alu instid0(VALU_DEP_2) | instskip(NEXT) | instid1(VALU_DEP_3)
	v_add_co_u32 v57, vcc_lo, s10, v57
	v_add_co_ci_u32_e32 v58, vcc_lo, s11, v58, vcc_lo
	s_delay_alu instid0(VALU_DEP_3) | instskip(NEXT) | instid1(VALU_DEP_4)
	v_add_co_u32 v59, vcc_lo, s10, v7
	v_add_co_ci_u32_e32 v60, vcc_lo, s11, v8, vcc_lo
	s_clause 0x1
	global_load_b32 v61, v[57:58], off
	global_load_b32 v62, v[59:60], off
	v_mov_b32_e32 v7, 1
	v_mov_b32_e32 v8, 0
	s_waitcnt vmcnt(0)
	v_cmpx_eq_u32_e64 v61, v62
	s_cbranch_execz .LBB1537_944
; %bb.937:
	v_add_co_u32 v7, vcc_lo, v59, 4
	v_add_co_ci_u32_e32 v8, vcc_lo, 0, v60, vcc_lo
	v_add_co_u32 v57, vcc_lo, v57, 4
	v_add_co_ci_u32_e32 v58, vcc_lo, 0, v58, vcc_lo
	s_add_u32 s12, s8, -1
	s_addc_u32 s13, s9, -1
	s_mov_b64 s[14:15], 0
	s_mov_b32 s19, 0
                                        ; implicit-def: $sgpr20
	s_set_inst_prefetch_distance 0x1
	s_branch .LBB1537_940
	.p2align	6
.LBB1537_938:                           ;   in Loop: Header=BB1537_940 Depth=1
	global_load_b32 v59, v[57:58], off
	global_load_b32 v60, v[7:8], off
	v_add_co_u32 v7, vcc_lo, v7, 4
	v_add_co_ci_u32_e32 v8, vcc_lo, 0, v8, vcc_lo
	v_add_co_u32 v57, s0, v57, 4
	s_delay_alu instid0(VALU_DEP_1)
	v_add_co_ci_u32_e64 v58, s0, 0, v58, s0
	s_add_u32 s14, s14, 1
	s_addc_u32 s15, s15, 0
	s_and_not1_b32 s0, s20, exec_lo
	s_waitcnt vmcnt(0)
	v_cmp_ne_u32_e32 vcc_lo, v59, v60
	s_and_b32 s20, vcc_lo, exec_lo
	s_delay_alu instid0(SALU_CYCLE_1)
	s_or_b32 s20, s0, s20
.LBB1537_939:                           ;   in Loop: Header=BB1537_940 Depth=1
	v_dual_mov_b32 v60, s15 :: v_dual_mov_b32 v59, s14
	s_and_b32 s0, exec_lo, s20
	s_delay_alu instid0(SALU_CYCLE_1) | instskip(NEXT) | instid1(SALU_CYCLE_1)
	s_or_b32 s19, s0, s19
	s_and_not1_b32 exec_lo, exec_lo, s19
	s_cbranch_execz .LBB1537_943
.LBB1537_940:                           ; =>This Inner Loop Header: Depth=1
	s_or_b32 s20, s20, exec_lo
	s_cmp_eq_u64 s[12:13], s[14:15]
	s_cbranch_scc0 .LBB1537_938
; %bb.941:                              ;   in Loop: Header=BB1537_940 Depth=1
	s_mov_b64 s[14:15], s[8:9]
                                        ; implicit-def: $vgpr7_vgpr8
                                        ; implicit-def: $vgpr57_vgpr58
	s_branch .LBB1537_939
.LBB1537_942:
	v_mov_b32_e32 v7, 0
	v_mov_b32_e32 v8, 0
	s_branch .LBB1537_945
.LBB1537_943:
	s_set_inst_prefetch_distance 0x2
	s_or_b32 exec_lo, exec_lo, s19
	v_cmp_gt_i64_e32 vcc_lo, s[8:9], v[59:60]
	s_mov_b32 s0, 0
	s_delay_alu instid0(SALU_CYCLE_1)
	v_mov_b32_e32 v8, s0
	v_cndmask_b32_e64 v7, 0, 1, vcc_lo
.LBB1537_944:
	s_or_b32 exec_lo, exec_lo, s18
.LBB1537_945:
	s_delay_alu instid0(SALU_CYCLE_1) | instskip(SKIP_2) | instid1(VALU_DEP_1)
	s_or_b32 exec_lo, exec_lo, s3
	v_add_nc_u32_e32 v57, 26, v64
	s_mov_b32 s3, exec_lo
	v_cmpx_gt_u32_e64 s6, v57
	s_cbranch_execz .LBB1537_956
; %bb.946:
	v_cmp_ne_u32_e32 vcc_lo, 1, v63
	s_cbranch_vccnz .LBB1537_953
; %bb.947:
	v_mul_lo_u32 v59, v6, s8
	v_mul_lo_u32 v60, v5, s9
	v_mad_u64_u32 v[57:58], null, v5, s8, 0
	v_mul_lo_u32 v61, v12, s8
	v_mul_lo_u32 v62, v11, s9
	v_mad_u64_u32 v[5:6], null, v11, s8, 0
	s_mov_b32 s18, exec_lo
	s_delay_alu instid0(VALU_DEP_4) | instskip(NEXT) | instid1(VALU_DEP_2)
	v_add3_u32 v58, v58, v60, v59
	v_add3_u32 v6, v6, v62, v61
	s_delay_alu instid0(VALU_DEP_2) | instskip(NEXT) | instid1(VALU_DEP_2)
	v_lshlrev_b64 v[57:58], 2, v[57:58]
	v_lshlrev_b64 v[5:6], 2, v[5:6]
	s_delay_alu instid0(VALU_DEP_2) | instskip(NEXT) | instid1(VALU_DEP_3)
	v_add_co_u32 v57, vcc_lo, s10, v57
	v_add_co_ci_u32_e32 v58, vcc_lo, s11, v58, vcc_lo
	s_delay_alu instid0(VALU_DEP_3) | instskip(NEXT) | instid1(VALU_DEP_4)
	v_add_co_u32 v59, vcc_lo, s10, v5
	v_add_co_ci_u32_e32 v60, vcc_lo, s11, v6, vcc_lo
	s_clause 0x1
	global_load_b32 v61, v[57:58], off
	global_load_b32 v62, v[59:60], off
	v_mov_b32_e32 v5, 1
	v_mov_b32_e32 v6, 0
	s_waitcnt vmcnt(0)
	v_cmpx_eq_u32_e64 v61, v62
	s_cbranch_execz .LBB1537_955
; %bb.948:
	v_add_co_u32 v5, vcc_lo, v59, 4
	v_add_co_ci_u32_e32 v6, vcc_lo, 0, v60, vcc_lo
	v_add_co_u32 v57, vcc_lo, v57, 4
	v_add_co_ci_u32_e32 v58, vcc_lo, 0, v58, vcc_lo
	s_add_u32 s12, s8, -1
	s_addc_u32 s13, s9, -1
	s_mov_b64 s[14:15], 0
	s_mov_b32 s19, 0
                                        ; implicit-def: $sgpr20
	s_set_inst_prefetch_distance 0x1
	s_branch .LBB1537_951
	.p2align	6
.LBB1537_949:                           ;   in Loop: Header=BB1537_951 Depth=1
	global_load_b32 v59, v[57:58], off
	global_load_b32 v60, v[5:6], off
	v_add_co_u32 v5, vcc_lo, v5, 4
	v_add_co_ci_u32_e32 v6, vcc_lo, 0, v6, vcc_lo
	v_add_co_u32 v57, s0, v57, 4
	s_delay_alu instid0(VALU_DEP_1)
	v_add_co_ci_u32_e64 v58, s0, 0, v58, s0
	s_add_u32 s14, s14, 1
	s_addc_u32 s15, s15, 0
	s_and_not1_b32 s0, s20, exec_lo
	s_waitcnt vmcnt(0)
	v_cmp_ne_u32_e32 vcc_lo, v59, v60
	s_and_b32 s20, vcc_lo, exec_lo
	s_delay_alu instid0(SALU_CYCLE_1)
	s_or_b32 s20, s0, s20
.LBB1537_950:                           ;   in Loop: Header=BB1537_951 Depth=1
	v_dual_mov_b32 v60, s15 :: v_dual_mov_b32 v59, s14
	s_and_b32 s0, exec_lo, s20
	s_delay_alu instid0(SALU_CYCLE_1) | instskip(NEXT) | instid1(SALU_CYCLE_1)
	s_or_b32 s19, s0, s19
	s_and_not1_b32 exec_lo, exec_lo, s19
	s_cbranch_execz .LBB1537_954
.LBB1537_951:                           ; =>This Inner Loop Header: Depth=1
	s_or_b32 s20, s20, exec_lo
	s_cmp_eq_u64 s[12:13], s[14:15]
	s_cbranch_scc0 .LBB1537_949
; %bb.952:                              ;   in Loop: Header=BB1537_951 Depth=1
	s_mov_b64 s[14:15], s[8:9]
                                        ; implicit-def: $vgpr5_vgpr6
                                        ; implicit-def: $vgpr57_vgpr58
	s_branch .LBB1537_950
.LBB1537_953:
	v_mov_b32_e32 v5, 0
	v_mov_b32_e32 v6, 0
	s_branch .LBB1537_956
.LBB1537_954:
	s_set_inst_prefetch_distance 0x2
	s_or_b32 exec_lo, exec_lo, s19
	v_cmp_gt_i64_e32 vcc_lo, s[8:9], v[59:60]
	s_mov_b32 s0, 0
	s_delay_alu instid0(SALU_CYCLE_1)
	v_mov_b32_e32 v6, s0
	v_cndmask_b32_e64 v5, 0, 1, vcc_lo
.LBB1537_955:
	s_or_b32 exec_lo, exec_lo, s18
.LBB1537_956:
	s_delay_alu instid0(SALU_CYCLE_1) | instskip(SKIP_2) | instid1(VALU_DEP_1)
	s_or_b32 exec_lo, exec_lo, s3
	v_add_nc_u32_e32 v57, 25, v64
	s_mov_b32 s3, exec_lo
	v_cmpx_gt_u32_e64 s6, v57
	s_cbranch_execz .LBB1537_967
; %bb.957:
	v_cmp_ne_u32_e32 vcc_lo, 1, v63
	s_cbranch_vccnz .LBB1537_964
; %bb.958:
	v_mul_lo_u32 v59, v12, s8
	v_mul_lo_u32 v60, v11, s9
	v_mad_u64_u32 v[57:58], null, v11, s8, 0
	v_mul_lo_u32 v61, v10, s8
	v_mul_lo_u32 v62, v9, s9
	v_mad_u64_u32 v[11:12], null, v9, s8, 0
	s_mov_b32 s18, exec_lo
	s_delay_alu instid0(VALU_DEP_4) | instskip(NEXT) | instid1(VALU_DEP_2)
	v_add3_u32 v58, v58, v60, v59
	v_add3_u32 v12, v12, v62, v61
	s_delay_alu instid0(VALU_DEP_2) | instskip(NEXT) | instid1(VALU_DEP_2)
	v_lshlrev_b64 v[57:58], 2, v[57:58]
	v_lshlrev_b64 v[11:12], 2, v[11:12]
	s_delay_alu instid0(VALU_DEP_2) | instskip(NEXT) | instid1(VALU_DEP_3)
	v_add_co_u32 v57, vcc_lo, s10, v57
	v_add_co_ci_u32_e32 v58, vcc_lo, s11, v58, vcc_lo
	s_delay_alu instid0(VALU_DEP_3) | instskip(NEXT) | instid1(VALU_DEP_4)
	v_add_co_u32 v59, vcc_lo, s10, v11
	v_add_co_ci_u32_e32 v60, vcc_lo, s11, v12, vcc_lo
	s_clause 0x1
	global_load_b32 v61, v[57:58], off
	global_load_b32 v62, v[59:60], off
	v_mov_b32_e32 v11, 1
	v_mov_b32_e32 v12, 0
	s_waitcnt vmcnt(0)
	v_cmpx_eq_u32_e64 v61, v62
	s_cbranch_execz .LBB1537_966
; %bb.959:
	v_add_co_u32 v11, vcc_lo, v59, 4
	v_add_co_ci_u32_e32 v12, vcc_lo, 0, v60, vcc_lo
	v_add_co_u32 v57, vcc_lo, v57, 4
	v_add_co_ci_u32_e32 v58, vcc_lo, 0, v58, vcc_lo
	s_add_u32 s12, s8, -1
	s_addc_u32 s13, s9, -1
	s_mov_b64 s[14:15], 0
	s_mov_b32 s19, 0
                                        ; implicit-def: $sgpr20
	s_set_inst_prefetch_distance 0x1
	s_branch .LBB1537_962
	.p2align	6
.LBB1537_960:                           ;   in Loop: Header=BB1537_962 Depth=1
	global_load_b32 v59, v[57:58], off
	global_load_b32 v60, v[11:12], off
	v_add_co_u32 v11, vcc_lo, v11, 4
	v_add_co_ci_u32_e32 v12, vcc_lo, 0, v12, vcc_lo
	v_add_co_u32 v57, s0, v57, 4
	s_delay_alu instid0(VALU_DEP_1)
	v_add_co_ci_u32_e64 v58, s0, 0, v58, s0
	s_add_u32 s14, s14, 1
	s_addc_u32 s15, s15, 0
	s_and_not1_b32 s0, s20, exec_lo
	s_waitcnt vmcnt(0)
	v_cmp_ne_u32_e32 vcc_lo, v59, v60
	s_and_b32 s20, vcc_lo, exec_lo
	s_delay_alu instid0(SALU_CYCLE_1)
	s_or_b32 s20, s0, s20
.LBB1537_961:                           ;   in Loop: Header=BB1537_962 Depth=1
	v_dual_mov_b32 v60, s15 :: v_dual_mov_b32 v59, s14
	s_and_b32 s0, exec_lo, s20
	s_delay_alu instid0(SALU_CYCLE_1) | instskip(NEXT) | instid1(SALU_CYCLE_1)
	s_or_b32 s19, s0, s19
	s_and_not1_b32 exec_lo, exec_lo, s19
	s_cbranch_execz .LBB1537_965
.LBB1537_962:                           ; =>This Inner Loop Header: Depth=1
	s_or_b32 s20, s20, exec_lo
	s_cmp_eq_u64 s[12:13], s[14:15]
	s_cbranch_scc0 .LBB1537_960
; %bb.963:                              ;   in Loop: Header=BB1537_962 Depth=1
	s_mov_b64 s[14:15], s[8:9]
                                        ; implicit-def: $vgpr11_vgpr12
                                        ; implicit-def: $vgpr57_vgpr58
	s_branch .LBB1537_961
.LBB1537_964:
	v_mov_b32_e32 v11, 0
	v_mov_b32_e32 v12, 0
	s_branch .LBB1537_967
.LBB1537_965:
	s_set_inst_prefetch_distance 0x2
	s_or_b32 exec_lo, exec_lo, s19
	v_cmp_gt_i64_e32 vcc_lo, s[8:9], v[59:60]
	s_mov_b32 s0, 0
	s_delay_alu instid0(SALU_CYCLE_1)
	v_mov_b32_e32 v12, s0
	v_cndmask_b32_e64 v11, 0, 1, vcc_lo
.LBB1537_966:
	s_or_b32 exec_lo, exec_lo, s18
.LBB1537_967:
	s_delay_alu instid0(SALU_CYCLE_1) | instskip(SKIP_2) | instid1(VALU_DEP_1)
	s_or_b32 exec_lo, exec_lo, s3
	v_add_nc_u32_e32 v57, 24, v64
	s_mov_b32 s3, exec_lo
	v_cmpx_gt_u32_e64 s6, v57
	s_cbranch_execz .LBB1537_978
; %bb.968:
	v_cmp_ne_u32_e32 vcc_lo, 1, v63
	s_cbranch_vccnz .LBB1537_975
; %bb.969:
	v_mul_lo_u32 v59, v10, s8
	v_mul_lo_u32 v60, v9, s9
	v_mad_u64_u32 v[57:58], null, v9, s8, 0
	v_mul_lo_u32 v61, v56, s8
	v_mul_lo_u32 v62, v55, s9
	v_mad_u64_u32 v[9:10], null, v55, s8, 0
	s_mov_b32 s18, exec_lo
	s_delay_alu instid0(VALU_DEP_4) | instskip(NEXT) | instid1(VALU_DEP_2)
	v_add3_u32 v58, v58, v60, v59
	v_add3_u32 v10, v10, v62, v61
	s_delay_alu instid0(VALU_DEP_2) | instskip(NEXT) | instid1(VALU_DEP_2)
	v_lshlrev_b64 v[57:58], 2, v[57:58]
	v_lshlrev_b64 v[9:10], 2, v[9:10]
	s_delay_alu instid0(VALU_DEP_2) | instskip(NEXT) | instid1(VALU_DEP_3)
	v_add_co_u32 v57, vcc_lo, s10, v57
	v_add_co_ci_u32_e32 v58, vcc_lo, s11, v58, vcc_lo
	s_delay_alu instid0(VALU_DEP_3) | instskip(NEXT) | instid1(VALU_DEP_4)
	v_add_co_u32 v59, vcc_lo, s10, v9
	v_add_co_ci_u32_e32 v60, vcc_lo, s11, v10, vcc_lo
	s_clause 0x1
	global_load_b32 v61, v[57:58], off
	global_load_b32 v62, v[59:60], off
	v_mov_b32_e32 v9, 1
	v_mov_b32_e32 v10, 0
	s_waitcnt vmcnt(0)
	v_cmpx_eq_u32_e64 v61, v62
	s_cbranch_execz .LBB1537_977
; %bb.970:
	v_add_co_u32 v9, vcc_lo, v59, 4
	v_add_co_ci_u32_e32 v10, vcc_lo, 0, v60, vcc_lo
	v_add_co_u32 v57, vcc_lo, v57, 4
	v_add_co_ci_u32_e32 v58, vcc_lo, 0, v58, vcc_lo
	s_add_u32 s12, s8, -1
	s_addc_u32 s13, s9, -1
	s_mov_b64 s[14:15], 0
	s_mov_b32 s19, 0
                                        ; implicit-def: $sgpr20
	s_set_inst_prefetch_distance 0x1
	s_branch .LBB1537_973
	.p2align	6
.LBB1537_971:                           ;   in Loop: Header=BB1537_973 Depth=1
	global_load_b32 v59, v[57:58], off
	global_load_b32 v60, v[9:10], off
	v_add_co_u32 v9, vcc_lo, v9, 4
	v_add_co_ci_u32_e32 v10, vcc_lo, 0, v10, vcc_lo
	v_add_co_u32 v57, s0, v57, 4
	s_delay_alu instid0(VALU_DEP_1)
	v_add_co_ci_u32_e64 v58, s0, 0, v58, s0
	s_add_u32 s14, s14, 1
	s_addc_u32 s15, s15, 0
	s_and_not1_b32 s0, s20, exec_lo
	s_waitcnt vmcnt(0)
	v_cmp_ne_u32_e32 vcc_lo, v59, v60
	s_and_b32 s20, vcc_lo, exec_lo
	s_delay_alu instid0(SALU_CYCLE_1)
	s_or_b32 s20, s0, s20
.LBB1537_972:                           ;   in Loop: Header=BB1537_973 Depth=1
	v_dual_mov_b32 v60, s15 :: v_dual_mov_b32 v59, s14
	s_and_b32 s0, exec_lo, s20
	s_delay_alu instid0(SALU_CYCLE_1) | instskip(NEXT) | instid1(SALU_CYCLE_1)
	s_or_b32 s19, s0, s19
	s_and_not1_b32 exec_lo, exec_lo, s19
	s_cbranch_execz .LBB1537_976
.LBB1537_973:                           ; =>This Inner Loop Header: Depth=1
	s_or_b32 s20, s20, exec_lo
	s_cmp_eq_u64 s[12:13], s[14:15]
	s_cbranch_scc0 .LBB1537_971
; %bb.974:                              ;   in Loop: Header=BB1537_973 Depth=1
	s_mov_b64 s[14:15], s[8:9]
                                        ; implicit-def: $vgpr9_vgpr10
                                        ; implicit-def: $vgpr57_vgpr58
	s_branch .LBB1537_972
.LBB1537_975:
	v_mov_b32_e32 v9, 0
	v_mov_b32_e32 v10, 0
	s_branch .LBB1537_978
.LBB1537_976:
	s_set_inst_prefetch_distance 0x2
	s_or_b32 exec_lo, exec_lo, s19
	v_cmp_gt_i64_e32 vcc_lo, s[8:9], v[59:60]
	s_mov_b32 s0, 0
	s_delay_alu instid0(SALU_CYCLE_1)
	v_mov_b32_e32 v10, s0
	v_cndmask_b32_e64 v9, 0, 1, vcc_lo
.LBB1537_977:
	s_or_b32 exec_lo, exec_lo, s18
.LBB1537_978:
	s_delay_alu instid0(SALU_CYCLE_1) | instskip(SKIP_2) | instid1(VALU_DEP_1)
	s_or_b32 exec_lo, exec_lo, s3
	v_add_nc_u32_e32 v57, 23, v64
	s_mov_b32 s3, exec_lo
	v_cmpx_gt_u32_e64 s6, v57
	s_cbranch_execz .LBB1537_989
; %bb.979:
	v_cmp_ne_u32_e32 vcc_lo, 1, v63
	s_cbranch_vccnz .LBB1537_986
; %bb.980:
	v_mul_lo_u32 v60, v56, s8
	v_mul_lo_u32 v61, v55, s9
	v_mad_u64_u32 v[56:57], null, v55, s8, 0
	v_mul_lo_u32 v55, v54, s8
	v_mul_lo_u32 v62, v53, s9
	v_mad_u64_u32 v[58:59], null, v53, s8, 0
	s_mov_b32 s18, exec_lo
	s_delay_alu instid0(VALU_DEP_4) | instskip(NEXT) | instid1(VALU_DEP_2)
	v_add3_u32 v57, v57, v61, v60
	v_add3_u32 v59, v59, v62, v55
	s_delay_alu instid0(VALU_DEP_2) | instskip(NEXT) | instid1(VALU_DEP_2)
	v_lshlrev_b64 v[55:56], 2, v[56:57]
	v_lshlrev_b64 v[59:60], 2, v[58:59]
	s_delay_alu instid0(VALU_DEP_2) | instskip(NEXT) | instid1(VALU_DEP_3)
	v_add_co_u32 v57, vcc_lo, s10, v55
	v_add_co_ci_u32_e32 v58, vcc_lo, s11, v56, vcc_lo
	s_delay_alu instid0(VALU_DEP_3) | instskip(NEXT) | instid1(VALU_DEP_4)
	v_add_co_u32 v59, vcc_lo, s10, v59
	v_add_co_ci_u32_e32 v60, vcc_lo, s11, v60, vcc_lo
	s_clause 0x1
	global_load_b32 v61, v[57:58], off
	global_load_b32 v62, v[59:60], off
	v_mov_b32_e32 v55, 1
	v_mov_b32_e32 v56, 0
	s_waitcnt vmcnt(0)
	v_cmpx_eq_u32_e64 v61, v62
	s_cbranch_execz .LBB1537_988
; %bb.981:
	v_add_co_u32 v55, vcc_lo, v59, 4
	v_add_co_ci_u32_e32 v56, vcc_lo, 0, v60, vcc_lo
	v_add_co_u32 v57, vcc_lo, v57, 4
	v_add_co_ci_u32_e32 v58, vcc_lo, 0, v58, vcc_lo
	s_add_u32 s12, s8, -1
	s_addc_u32 s13, s9, -1
	s_mov_b64 s[14:15], 0
	s_mov_b32 s19, 0
                                        ; implicit-def: $sgpr20
	s_set_inst_prefetch_distance 0x1
	s_branch .LBB1537_984
	.p2align	6
.LBB1537_982:                           ;   in Loop: Header=BB1537_984 Depth=1
	global_load_b32 v59, v[57:58], off
	global_load_b32 v60, v[55:56], off
	v_add_co_u32 v55, vcc_lo, v55, 4
	v_add_co_ci_u32_e32 v56, vcc_lo, 0, v56, vcc_lo
	v_add_co_u32 v57, s0, v57, 4
	s_delay_alu instid0(VALU_DEP_1)
	v_add_co_ci_u32_e64 v58, s0, 0, v58, s0
	s_add_u32 s14, s14, 1
	s_addc_u32 s15, s15, 0
	s_and_not1_b32 s0, s20, exec_lo
	s_waitcnt vmcnt(0)
	v_cmp_ne_u32_e32 vcc_lo, v59, v60
	s_and_b32 s20, vcc_lo, exec_lo
	s_delay_alu instid0(SALU_CYCLE_1)
	s_or_b32 s20, s0, s20
.LBB1537_983:                           ;   in Loop: Header=BB1537_984 Depth=1
	v_dual_mov_b32 v60, s15 :: v_dual_mov_b32 v59, s14
	s_and_b32 s0, exec_lo, s20
	s_delay_alu instid0(SALU_CYCLE_1) | instskip(NEXT) | instid1(SALU_CYCLE_1)
	s_or_b32 s19, s0, s19
	s_and_not1_b32 exec_lo, exec_lo, s19
	s_cbranch_execz .LBB1537_987
.LBB1537_984:                           ; =>This Inner Loop Header: Depth=1
	s_or_b32 s20, s20, exec_lo
	s_cmp_eq_u64 s[12:13], s[14:15]
	s_cbranch_scc0 .LBB1537_982
; %bb.985:                              ;   in Loop: Header=BB1537_984 Depth=1
	s_mov_b64 s[14:15], s[8:9]
                                        ; implicit-def: $vgpr55_vgpr56
                                        ; implicit-def: $vgpr57_vgpr58
	s_branch .LBB1537_983
.LBB1537_986:
	v_mov_b32_e32 v55, 0
	v_mov_b32_e32 v56, 0
	s_branch .LBB1537_989
.LBB1537_987:
	s_set_inst_prefetch_distance 0x2
	s_or_b32 exec_lo, exec_lo, s19
	v_cmp_gt_i64_e32 vcc_lo, s[8:9], v[59:60]
	s_mov_b32 s0, 0
	s_delay_alu instid0(SALU_CYCLE_1)
	v_mov_b32_e32 v56, s0
	v_cndmask_b32_e64 v55, 0, 1, vcc_lo
.LBB1537_988:
	s_or_b32 exec_lo, exec_lo, s18
.LBB1537_989:
	s_delay_alu instid0(SALU_CYCLE_1) | instskip(SKIP_2) | instid1(VALU_DEP_1)
	s_or_b32 exec_lo, exec_lo, s3
	v_add_nc_u32_e32 v57, 22, v64
	s_mov_b32 s3, exec_lo
	v_cmpx_gt_u32_e64 s6, v57
	s_cbranch_execz .LBB1537_1000
; %bb.990:
	v_cmp_ne_u32_e32 vcc_lo, 1, v63
	s_cbranch_vccnz .LBB1537_997
; %bb.991:
	v_mul_lo_u32 v59, v54, s8
	v_mul_lo_u32 v60, v53, s9
	v_mad_u64_u32 v[57:58], null, v53, s8, 0
	v_mul_lo_u32 v61, v52, s8
	v_mul_lo_u32 v62, v51, s9
	v_mad_u64_u32 v[53:54], null, v51, s8, 0
	s_mov_b32 s18, exec_lo
	s_delay_alu instid0(VALU_DEP_4) | instskip(NEXT) | instid1(VALU_DEP_2)
	v_add3_u32 v58, v58, v60, v59
	v_add3_u32 v54, v54, v62, v61
	s_delay_alu instid0(VALU_DEP_2) | instskip(NEXT) | instid1(VALU_DEP_2)
	v_lshlrev_b64 v[57:58], 2, v[57:58]
	v_lshlrev_b64 v[53:54], 2, v[53:54]
	s_delay_alu instid0(VALU_DEP_2) | instskip(NEXT) | instid1(VALU_DEP_3)
	v_add_co_u32 v57, vcc_lo, s10, v57
	v_add_co_ci_u32_e32 v58, vcc_lo, s11, v58, vcc_lo
	s_delay_alu instid0(VALU_DEP_3) | instskip(NEXT) | instid1(VALU_DEP_4)
	v_add_co_u32 v59, vcc_lo, s10, v53
	v_add_co_ci_u32_e32 v60, vcc_lo, s11, v54, vcc_lo
	s_clause 0x1
	global_load_b32 v61, v[57:58], off
	global_load_b32 v62, v[59:60], off
	v_mov_b32_e32 v53, 1
	v_mov_b32_e32 v54, 0
	s_waitcnt vmcnt(0)
	v_cmpx_eq_u32_e64 v61, v62
	s_cbranch_execz .LBB1537_999
; %bb.992:
	v_add_co_u32 v53, vcc_lo, v59, 4
	v_add_co_ci_u32_e32 v54, vcc_lo, 0, v60, vcc_lo
	v_add_co_u32 v57, vcc_lo, v57, 4
	v_add_co_ci_u32_e32 v58, vcc_lo, 0, v58, vcc_lo
	s_add_u32 s12, s8, -1
	s_addc_u32 s13, s9, -1
	s_mov_b64 s[14:15], 0
	s_mov_b32 s19, 0
                                        ; implicit-def: $sgpr20
	s_set_inst_prefetch_distance 0x1
	s_branch .LBB1537_995
	.p2align	6
.LBB1537_993:                           ;   in Loop: Header=BB1537_995 Depth=1
	global_load_b32 v59, v[57:58], off
	global_load_b32 v60, v[53:54], off
	v_add_co_u32 v53, vcc_lo, v53, 4
	v_add_co_ci_u32_e32 v54, vcc_lo, 0, v54, vcc_lo
	v_add_co_u32 v57, s0, v57, 4
	s_delay_alu instid0(VALU_DEP_1)
	v_add_co_ci_u32_e64 v58, s0, 0, v58, s0
	s_add_u32 s14, s14, 1
	s_addc_u32 s15, s15, 0
	s_and_not1_b32 s0, s20, exec_lo
	s_waitcnt vmcnt(0)
	v_cmp_ne_u32_e32 vcc_lo, v59, v60
	s_and_b32 s20, vcc_lo, exec_lo
	s_delay_alu instid0(SALU_CYCLE_1)
	s_or_b32 s20, s0, s20
.LBB1537_994:                           ;   in Loop: Header=BB1537_995 Depth=1
	v_dual_mov_b32 v60, s15 :: v_dual_mov_b32 v59, s14
	s_and_b32 s0, exec_lo, s20
	s_delay_alu instid0(SALU_CYCLE_1) | instskip(NEXT) | instid1(SALU_CYCLE_1)
	s_or_b32 s19, s0, s19
	s_and_not1_b32 exec_lo, exec_lo, s19
	s_cbranch_execz .LBB1537_998
.LBB1537_995:                           ; =>This Inner Loop Header: Depth=1
	s_or_b32 s20, s20, exec_lo
	s_cmp_eq_u64 s[12:13], s[14:15]
	s_cbranch_scc0 .LBB1537_993
; %bb.996:                              ;   in Loop: Header=BB1537_995 Depth=1
	s_mov_b64 s[14:15], s[8:9]
                                        ; implicit-def: $vgpr53_vgpr54
                                        ; implicit-def: $vgpr57_vgpr58
	s_branch .LBB1537_994
.LBB1537_997:
	v_mov_b32_e32 v53, 0
	v_mov_b32_e32 v54, 0
	s_branch .LBB1537_1000
.LBB1537_998:
	s_set_inst_prefetch_distance 0x2
	s_or_b32 exec_lo, exec_lo, s19
	v_cmp_gt_i64_e32 vcc_lo, s[8:9], v[59:60]
	s_mov_b32 s0, 0
	s_delay_alu instid0(SALU_CYCLE_1)
	v_mov_b32_e32 v54, s0
	v_cndmask_b32_e64 v53, 0, 1, vcc_lo
.LBB1537_999:
	s_or_b32 exec_lo, exec_lo, s18
.LBB1537_1000:
	s_delay_alu instid0(SALU_CYCLE_1) | instskip(SKIP_2) | instid1(VALU_DEP_1)
	s_or_b32 exec_lo, exec_lo, s3
	v_add_nc_u32_e32 v57, 21, v64
	s_mov_b32 s3, exec_lo
	v_cmpx_gt_u32_e64 s6, v57
	s_cbranch_execz .LBB1537_1011
; %bb.1001:
	v_cmp_ne_u32_e32 vcc_lo, 1, v63
	s_cbranch_vccnz .LBB1537_1008
; %bb.1002:
	v_mul_lo_u32 v59, v52, s8
	v_mul_lo_u32 v60, v51, s9
	v_mad_u64_u32 v[57:58], null, v51, s8, 0
	v_mul_lo_u32 v61, v50, s8
	v_mul_lo_u32 v62, v49, s9
	v_mad_u64_u32 v[51:52], null, v49, s8, 0
	s_mov_b32 s18, exec_lo
	s_delay_alu instid0(VALU_DEP_4) | instskip(NEXT) | instid1(VALU_DEP_2)
	v_add3_u32 v58, v58, v60, v59
	v_add3_u32 v52, v52, v62, v61
	s_delay_alu instid0(VALU_DEP_2) | instskip(NEXT) | instid1(VALU_DEP_2)
	v_lshlrev_b64 v[57:58], 2, v[57:58]
	v_lshlrev_b64 v[51:52], 2, v[51:52]
	s_delay_alu instid0(VALU_DEP_2) | instskip(NEXT) | instid1(VALU_DEP_3)
	v_add_co_u32 v57, vcc_lo, s10, v57
	v_add_co_ci_u32_e32 v58, vcc_lo, s11, v58, vcc_lo
	s_delay_alu instid0(VALU_DEP_3) | instskip(NEXT) | instid1(VALU_DEP_4)
	v_add_co_u32 v59, vcc_lo, s10, v51
	v_add_co_ci_u32_e32 v60, vcc_lo, s11, v52, vcc_lo
	s_clause 0x1
	global_load_b32 v61, v[57:58], off
	global_load_b32 v62, v[59:60], off
	v_mov_b32_e32 v51, 1
	v_mov_b32_e32 v52, 0
	s_waitcnt vmcnt(0)
	v_cmpx_eq_u32_e64 v61, v62
	s_cbranch_execz .LBB1537_1010
; %bb.1003:
	v_add_co_u32 v51, vcc_lo, v59, 4
	v_add_co_ci_u32_e32 v52, vcc_lo, 0, v60, vcc_lo
	v_add_co_u32 v57, vcc_lo, v57, 4
	v_add_co_ci_u32_e32 v58, vcc_lo, 0, v58, vcc_lo
	s_add_u32 s12, s8, -1
	s_addc_u32 s13, s9, -1
	s_mov_b64 s[14:15], 0
	s_mov_b32 s19, 0
                                        ; implicit-def: $sgpr20
	s_set_inst_prefetch_distance 0x1
	s_branch .LBB1537_1006
	.p2align	6
.LBB1537_1004:                          ;   in Loop: Header=BB1537_1006 Depth=1
	global_load_b32 v59, v[57:58], off
	global_load_b32 v60, v[51:52], off
	v_add_co_u32 v51, vcc_lo, v51, 4
	v_add_co_ci_u32_e32 v52, vcc_lo, 0, v52, vcc_lo
	v_add_co_u32 v57, s0, v57, 4
	s_delay_alu instid0(VALU_DEP_1)
	v_add_co_ci_u32_e64 v58, s0, 0, v58, s0
	s_add_u32 s14, s14, 1
	s_addc_u32 s15, s15, 0
	s_and_not1_b32 s0, s20, exec_lo
	s_waitcnt vmcnt(0)
	v_cmp_ne_u32_e32 vcc_lo, v59, v60
	s_and_b32 s20, vcc_lo, exec_lo
	s_delay_alu instid0(SALU_CYCLE_1)
	s_or_b32 s20, s0, s20
.LBB1537_1005:                          ;   in Loop: Header=BB1537_1006 Depth=1
	v_dual_mov_b32 v60, s15 :: v_dual_mov_b32 v59, s14
	s_and_b32 s0, exec_lo, s20
	s_delay_alu instid0(SALU_CYCLE_1) | instskip(NEXT) | instid1(SALU_CYCLE_1)
	s_or_b32 s19, s0, s19
	s_and_not1_b32 exec_lo, exec_lo, s19
	s_cbranch_execz .LBB1537_1009
.LBB1537_1006:                          ; =>This Inner Loop Header: Depth=1
	s_or_b32 s20, s20, exec_lo
	s_cmp_eq_u64 s[12:13], s[14:15]
	s_cbranch_scc0 .LBB1537_1004
; %bb.1007:                             ;   in Loop: Header=BB1537_1006 Depth=1
	s_mov_b64 s[14:15], s[8:9]
                                        ; implicit-def: $vgpr51_vgpr52
                                        ; implicit-def: $vgpr57_vgpr58
	s_branch .LBB1537_1005
.LBB1537_1008:
	v_mov_b32_e32 v51, 0
	v_mov_b32_e32 v52, 0
	s_branch .LBB1537_1011
.LBB1537_1009:
	s_set_inst_prefetch_distance 0x2
	s_or_b32 exec_lo, exec_lo, s19
	v_cmp_gt_i64_e32 vcc_lo, s[8:9], v[59:60]
	s_mov_b32 s0, 0
	s_delay_alu instid0(SALU_CYCLE_1)
	v_mov_b32_e32 v52, s0
	v_cndmask_b32_e64 v51, 0, 1, vcc_lo
.LBB1537_1010:
	s_or_b32 exec_lo, exec_lo, s18
.LBB1537_1011:
	s_delay_alu instid0(SALU_CYCLE_1) | instskip(SKIP_2) | instid1(VALU_DEP_1)
	s_or_b32 exec_lo, exec_lo, s3
	v_add_nc_u32_e32 v57, 20, v64
	s_mov_b32 s3, exec_lo
	v_cmpx_gt_u32_e64 s6, v57
	s_cbranch_execz .LBB1537_1022
; %bb.1012:
	v_cmp_ne_u32_e32 vcc_lo, 1, v63
	s_cbranch_vccnz .LBB1537_1019
; %bb.1013:
	v_mul_lo_u32 v59, v50, s8
	v_mul_lo_u32 v60, v49, s9
	v_mad_u64_u32 v[57:58], null, v49, s8, 0
	v_mul_lo_u32 v61, v48, s8
	v_mul_lo_u32 v62, v47, s9
	v_mad_u64_u32 v[49:50], null, v47, s8, 0
	s_mov_b32 s18, exec_lo
	s_delay_alu instid0(VALU_DEP_4) | instskip(NEXT) | instid1(VALU_DEP_2)
	v_add3_u32 v58, v58, v60, v59
	v_add3_u32 v50, v50, v62, v61
	s_delay_alu instid0(VALU_DEP_2) | instskip(NEXT) | instid1(VALU_DEP_2)
	v_lshlrev_b64 v[57:58], 2, v[57:58]
	v_lshlrev_b64 v[49:50], 2, v[49:50]
	s_delay_alu instid0(VALU_DEP_2) | instskip(NEXT) | instid1(VALU_DEP_3)
	v_add_co_u32 v57, vcc_lo, s10, v57
	v_add_co_ci_u32_e32 v58, vcc_lo, s11, v58, vcc_lo
	s_delay_alu instid0(VALU_DEP_3) | instskip(NEXT) | instid1(VALU_DEP_4)
	v_add_co_u32 v59, vcc_lo, s10, v49
	v_add_co_ci_u32_e32 v60, vcc_lo, s11, v50, vcc_lo
	s_clause 0x1
	global_load_b32 v61, v[57:58], off
	global_load_b32 v62, v[59:60], off
	v_mov_b32_e32 v49, 1
	v_mov_b32_e32 v50, 0
	s_waitcnt vmcnt(0)
	v_cmpx_eq_u32_e64 v61, v62
	s_cbranch_execz .LBB1537_1021
; %bb.1014:
	v_add_co_u32 v49, vcc_lo, v59, 4
	v_add_co_ci_u32_e32 v50, vcc_lo, 0, v60, vcc_lo
	v_add_co_u32 v57, vcc_lo, v57, 4
	v_add_co_ci_u32_e32 v58, vcc_lo, 0, v58, vcc_lo
	s_add_u32 s12, s8, -1
	s_addc_u32 s13, s9, -1
	s_mov_b64 s[14:15], 0
	s_mov_b32 s19, 0
                                        ; implicit-def: $sgpr20
	s_set_inst_prefetch_distance 0x1
	s_branch .LBB1537_1017
	.p2align	6
.LBB1537_1015:                          ;   in Loop: Header=BB1537_1017 Depth=1
	global_load_b32 v59, v[57:58], off
	global_load_b32 v60, v[49:50], off
	v_add_co_u32 v49, vcc_lo, v49, 4
	v_add_co_ci_u32_e32 v50, vcc_lo, 0, v50, vcc_lo
	v_add_co_u32 v57, s0, v57, 4
	s_delay_alu instid0(VALU_DEP_1)
	v_add_co_ci_u32_e64 v58, s0, 0, v58, s0
	s_add_u32 s14, s14, 1
	s_addc_u32 s15, s15, 0
	s_and_not1_b32 s0, s20, exec_lo
	s_waitcnt vmcnt(0)
	v_cmp_ne_u32_e32 vcc_lo, v59, v60
	s_and_b32 s20, vcc_lo, exec_lo
	s_delay_alu instid0(SALU_CYCLE_1)
	s_or_b32 s20, s0, s20
.LBB1537_1016:                          ;   in Loop: Header=BB1537_1017 Depth=1
	v_dual_mov_b32 v60, s15 :: v_dual_mov_b32 v59, s14
	s_and_b32 s0, exec_lo, s20
	s_delay_alu instid0(SALU_CYCLE_1) | instskip(NEXT) | instid1(SALU_CYCLE_1)
	s_or_b32 s19, s0, s19
	s_and_not1_b32 exec_lo, exec_lo, s19
	s_cbranch_execz .LBB1537_1020
.LBB1537_1017:                          ; =>This Inner Loop Header: Depth=1
	s_or_b32 s20, s20, exec_lo
	s_cmp_eq_u64 s[12:13], s[14:15]
	s_cbranch_scc0 .LBB1537_1015
; %bb.1018:                             ;   in Loop: Header=BB1537_1017 Depth=1
	s_mov_b64 s[14:15], s[8:9]
                                        ; implicit-def: $vgpr49_vgpr50
                                        ; implicit-def: $vgpr57_vgpr58
	s_branch .LBB1537_1016
.LBB1537_1019:
	v_mov_b32_e32 v49, 0
	v_mov_b32_e32 v50, 0
	s_branch .LBB1537_1022
.LBB1537_1020:
	s_set_inst_prefetch_distance 0x2
	s_or_b32 exec_lo, exec_lo, s19
	v_cmp_gt_i64_e32 vcc_lo, s[8:9], v[59:60]
	s_mov_b32 s0, 0
	s_delay_alu instid0(SALU_CYCLE_1)
	v_mov_b32_e32 v50, s0
	v_cndmask_b32_e64 v49, 0, 1, vcc_lo
.LBB1537_1021:
	s_or_b32 exec_lo, exec_lo, s18
.LBB1537_1022:
	s_delay_alu instid0(SALU_CYCLE_1) | instskip(SKIP_2) | instid1(VALU_DEP_1)
	s_or_b32 exec_lo, exec_lo, s3
	v_add_nc_u32_e32 v57, 19, v64
	s_mov_b32 s3, exec_lo
	v_cmpx_gt_u32_e64 s6, v57
	s_cbranch_execz .LBB1537_1033
; %bb.1023:
	v_cmp_ne_u32_e32 vcc_lo, 1, v63
	s_cbranch_vccnz .LBB1537_1030
; %bb.1024:
	v_mul_lo_u32 v59, v48, s8
	v_mul_lo_u32 v60, v47, s9
	v_mad_u64_u32 v[57:58], null, v47, s8, 0
	v_mul_lo_u32 v61, v46, s8
	v_mul_lo_u32 v62, v45, s9
	v_mad_u64_u32 v[47:48], null, v45, s8, 0
	s_mov_b32 s18, exec_lo
	s_delay_alu instid0(VALU_DEP_4) | instskip(NEXT) | instid1(VALU_DEP_2)
	v_add3_u32 v58, v58, v60, v59
	v_add3_u32 v48, v48, v62, v61
	s_delay_alu instid0(VALU_DEP_2) | instskip(NEXT) | instid1(VALU_DEP_2)
	v_lshlrev_b64 v[57:58], 2, v[57:58]
	v_lshlrev_b64 v[47:48], 2, v[47:48]
	s_delay_alu instid0(VALU_DEP_2) | instskip(NEXT) | instid1(VALU_DEP_3)
	v_add_co_u32 v57, vcc_lo, s10, v57
	v_add_co_ci_u32_e32 v58, vcc_lo, s11, v58, vcc_lo
	s_delay_alu instid0(VALU_DEP_3) | instskip(NEXT) | instid1(VALU_DEP_4)
	v_add_co_u32 v59, vcc_lo, s10, v47
	v_add_co_ci_u32_e32 v60, vcc_lo, s11, v48, vcc_lo
	s_clause 0x1
	global_load_b32 v61, v[57:58], off
	global_load_b32 v62, v[59:60], off
	v_mov_b32_e32 v47, 1
	v_mov_b32_e32 v48, 0
	s_waitcnt vmcnt(0)
	v_cmpx_eq_u32_e64 v61, v62
	s_cbranch_execz .LBB1537_1032
; %bb.1025:
	v_add_co_u32 v47, vcc_lo, v59, 4
	v_add_co_ci_u32_e32 v48, vcc_lo, 0, v60, vcc_lo
	v_add_co_u32 v57, vcc_lo, v57, 4
	v_add_co_ci_u32_e32 v58, vcc_lo, 0, v58, vcc_lo
	s_add_u32 s12, s8, -1
	s_addc_u32 s13, s9, -1
	s_mov_b64 s[14:15], 0
	s_mov_b32 s19, 0
                                        ; implicit-def: $sgpr20
	s_set_inst_prefetch_distance 0x1
	s_branch .LBB1537_1028
	.p2align	6
.LBB1537_1026:                          ;   in Loop: Header=BB1537_1028 Depth=1
	global_load_b32 v59, v[57:58], off
	global_load_b32 v60, v[47:48], off
	v_add_co_u32 v47, vcc_lo, v47, 4
	v_add_co_ci_u32_e32 v48, vcc_lo, 0, v48, vcc_lo
	v_add_co_u32 v57, s0, v57, 4
	s_delay_alu instid0(VALU_DEP_1)
	v_add_co_ci_u32_e64 v58, s0, 0, v58, s0
	s_add_u32 s14, s14, 1
	s_addc_u32 s15, s15, 0
	s_and_not1_b32 s0, s20, exec_lo
	s_waitcnt vmcnt(0)
	v_cmp_ne_u32_e32 vcc_lo, v59, v60
	s_and_b32 s20, vcc_lo, exec_lo
	s_delay_alu instid0(SALU_CYCLE_1)
	s_or_b32 s20, s0, s20
.LBB1537_1027:                          ;   in Loop: Header=BB1537_1028 Depth=1
	v_dual_mov_b32 v60, s15 :: v_dual_mov_b32 v59, s14
	s_and_b32 s0, exec_lo, s20
	s_delay_alu instid0(SALU_CYCLE_1) | instskip(NEXT) | instid1(SALU_CYCLE_1)
	s_or_b32 s19, s0, s19
	s_and_not1_b32 exec_lo, exec_lo, s19
	s_cbranch_execz .LBB1537_1031
.LBB1537_1028:                          ; =>This Inner Loop Header: Depth=1
	s_or_b32 s20, s20, exec_lo
	s_cmp_eq_u64 s[12:13], s[14:15]
	s_cbranch_scc0 .LBB1537_1026
; %bb.1029:                             ;   in Loop: Header=BB1537_1028 Depth=1
	s_mov_b64 s[14:15], s[8:9]
                                        ; implicit-def: $vgpr47_vgpr48
                                        ; implicit-def: $vgpr57_vgpr58
	s_branch .LBB1537_1027
.LBB1537_1030:
	v_mov_b32_e32 v47, 0
	v_mov_b32_e32 v48, 0
	s_branch .LBB1537_1033
.LBB1537_1031:
	s_set_inst_prefetch_distance 0x2
	s_or_b32 exec_lo, exec_lo, s19
	v_cmp_gt_i64_e32 vcc_lo, s[8:9], v[59:60]
	s_mov_b32 s0, 0
	s_delay_alu instid0(SALU_CYCLE_1)
	v_mov_b32_e32 v48, s0
	v_cndmask_b32_e64 v47, 0, 1, vcc_lo
.LBB1537_1032:
	s_or_b32 exec_lo, exec_lo, s18
.LBB1537_1033:
	s_delay_alu instid0(SALU_CYCLE_1) | instskip(SKIP_2) | instid1(VALU_DEP_1)
	s_or_b32 exec_lo, exec_lo, s3
	v_add_nc_u32_e32 v57, 18, v64
	s_mov_b32 s3, exec_lo
	v_cmpx_gt_u32_e64 s6, v57
	s_cbranch_execz .LBB1537_1044
; %bb.1034:
	v_cmp_ne_u32_e32 vcc_lo, 1, v63
	s_cbranch_vccnz .LBB1537_1041
; %bb.1035:
	v_mul_lo_u32 v59, v46, s8
	v_mul_lo_u32 v60, v45, s9
	v_mad_u64_u32 v[57:58], null, v45, s8, 0
	v_mul_lo_u32 v61, v44, s8
	v_mul_lo_u32 v62, v43, s9
	v_mad_u64_u32 v[45:46], null, v43, s8, 0
	s_mov_b32 s18, exec_lo
	s_delay_alu instid0(VALU_DEP_4) | instskip(NEXT) | instid1(VALU_DEP_2)
	v_add3_u32 v58, v58, v60, v59
	v_add3_u32 v46, v46, v62, v61
	s_delay_alu instid0(VALU_DEP_2) | instskip(NEXT) | instid1(VALU_DEP_2)
	v_lshlrev_b64 v[57:58], 2, v[57:58]
	v_lshlrev_b64 v[45:46], 2, v[45:46]
	s_delay_alu instid0(VALU_DEP_2) | instskip(NEXT) | instid1(VALU_DEP_3)
	v_add_co_u32 v57, vcc_lo, s10, v57
	v_add_co_ci_u32_e32 v58, vcc_lo, s11, v58, vcc_lo
	s_delay_alu instid0(VALU_DEP_3) | instskip(NEXT) | instid1(VALU_DEP_4)
	v_add_co_u32 v59, vcc_lo, s10, v45
	v_add_co_ci_u32_e32 v60, vcc_lo, s11, v46, vcc_lo
	s_clause 0x1
	global_load_b32 v61, v[57:58], off
	global_load_b32 v62, v[59:60], off
	v_mov_b32_e32 v45, 1
	v_mov_b32_e32 v46, 0
	s_waitcnt vmcnt(0)
	v_cmpx_eq_u32_e64 v61, v62
	s_cbranch_execz .LBB1537_1043
; %bb.1036:
	v_add_co_u32 v45, vcc_lo, v59, 4
	v_add_co_ci_u32_e32 v46, vcc_lo, 0, v60, vcc_lo
	v_add_co_u32 v57, vcc_lo, v57, 4
	v_add_co_ci_u32_e32 v58, vcc_lo, 0, v58, vcc_lo
	s_add_u32 s12, s8, -1
	s_addc_u32 s13, s9, -1
	s_mov_b64 s[14:15], 0
	s_mov_b32 s19, 0
                                        ; implicit-def: $sgpr20
	s_set_inst_prefetch_distance 0x1
	s_branch .LBB1537_1039
	.p2align	6
.LBB1537_1037:                          ;   in Loop: Header=BB1537_1039 Depth=1
	global_load_b32 v59, v[57:58], off
	global_load_b32 v60, v[45:46], off
	v_add_co_u32 v45, vcc_lo, v45, 4
	v_add_co_ci_u32_e32 v46, vcc_lo, 0, v46, vcc_lo
	v_add_co_u32 v57, s0, v57, 4
	s_delay_alu instid0(VALU_DEP_1)
	v_add_co_ci_u32_e64 v58, s0, 0, v58, s0
	s_add_u32 s14, s14, 1
	s_addc_u32 s15, s15, 0
	s_and_not1_b32 s0, s20, exec_lo
	s_waitcnt vmcnt(0)
	v_cmp_ne_u32_e32 vcc_lo, v59, v60
	s_and_b32 s20, vcc_lo, exec_lo
	s_delay_alu instid0(SALU_CYCLE_1)
	s_or_b32 s20, s0, s20
.LBB1537_1038:                          ;   in Loop: Header=BB1537_1039 Depth=1
	v_dual_mov_b32 v60, s15 :: v_dual_mov_b32 v59, s14
	s_and_b32 s0, exec_lo, s20
	s_delay_alu instid0(SALU_CYCLE_1) | instskip(NEXT) | instid1(SALU_CYCLE_1)
	s_or_b32 s19, s0, s19
	s_and_not1_b32 exec_lo, exec_lo, s19
	s_cbranch_execz .LBB1537_1042
.LBB1537_1039:                          ; =>This Inner Loop Header: Depth=1
	s_or_b32 s20, s20, exec_lo
	s_cmp_eq_u64 s[12:13], s[14:15]
	s_cbranch_scc0 .LBB1537_1037
; %bb.1040:                             ;   in Loop: Header=BB1537_1039 Depth=1
	s_mov_b64 s[14:15], s[8:9]
                                        ; implicit-def: $vgpr45_vgpr46
                                        ; implicit-def: $vgpr57_vgpr58
	s_branch .LBB1537_1038
.LBB1537_1041:
	v_mov_b32_e32 v45, 0
	v_mov_b32_e32 v46, 0
	s_branch .LBB1537_1044
.LBB1537_1042:
	s_set_inst_prefetch_distance 0x2
	s_or_b32 exec_lo, exec_lo, s19
	v_cmp_gt_i64_e32 vcc_lo, s[8:9], v[59:60]
	s_mov_b32 s0, 0
	s_delay_alu instid0(SALU_CYCLE_1)
	v_mov_b32_e32 v46, s0
	v_cndmask_b32_e64 v45, 0, 1, vcc_lo
.LBB1537_1043:
	s_or_b32 exec_lo, exec_lo, s18
.LBB1537_1044:
	s_delay_alu instid0(SALU_CYCLE_1) | instskip(SKIP_2) | instid1(VALU_DEP_1)
	s_or_b32 exec_lo, exec_lo, s3
	v_add_nc_u32_e32 v57, 17, v64
	s_mov_b32 s3, exec_lo
	v_cmpx_gt_u32_e64 s6, v57
	s_cbranch_execz .LBB1537_1055
; %bb.1045:
	v_cmp_ne_u32_e32 vcc_lo, 1, v63
	s_cbranch_vccnz .LBB1537_1052
; %bb.1046:
	v_mul_lo_u32 v59, v44, s8
	v_mul_lo_u32 v60, v43, s9
	v_mad_u64_u32 v[57:58], null, v43, s8, 0
	v_mul_lo_u32 v61, v42, s8
	v_mul_lo_u32 v62, v41, s9
	v_mad_u64_u32 v[43:44], null, v41, s8, 0
	s_mov_b32 s18, exec_lo
	s_delay_alu instid0(VALU_DEP_4) | instskip(NEXT) | instid1(VALU_DEP_2)
	v_add3_u32 v58, v58, v60, v59
	v_add3_u32 v44, v44, v62, v61
	s_delay_alu instid0(VALU_DEP_2) | instskip(NEXT) | instid1(VALU_DEP_2)
	v_lshlrev_b64 v[57:58], 2, v[57:58]
	v_lshlrev_b64 v[43:44], 2, v[43:44]
	s_delay_alu instid0(VALU_DEP_2) | instskip(NEXT) | instid1(VALU_DEP_3)
	v_add_co_u32 v57, vcc_lo, s10, v57
	v_add_co_ci_u32_e32 v58, vcc_lo, s11, v58, vcc_lo
	s_delay_alu instid0(VALU_DEP_3) | instskip(NEXT) | instid1(VALU_DEP_4)
	v_add_co_u32 v59, vcc_lo, s10, v43
	v_add_co_ci_u32_e32 v60, vcc_lo, s11, v44, vcc_lo
	s_clause 0x1
	global_load_b32 v61, v[57:58], off
	global_load_b32 v62, v[59:60], off
	v_mov_b32_e32 v43, 1
	v_mov_b32_e32 v44, 0
	s_waitcnt vmcnt(0)
	v_cmpx_eq_u32_e64 v61, v62
	s_cbranch_execz .LBB1537_1054
; %bb.1047:
	v_add_co_u32 v43, vcc_lo, v59, 4
	v_add_co_ci_u32_e32 v44, vcc_lo, 0, v60, vcc_lo
	v_add_co_u32 v57, vcc_lo, v57, 4
	v_add_co_ci_u32_e32 v58, vcc_lo, 0, v58, vcc_lo
	s_add_u32 s12, s8, -1
	s_addc_u32 s13, s9, -1
	s_mov_b64 s[14:15], 0
	s_mov_b32 s19, 0
                                        ; implicit-def: $sgpr20
	s_set_inst_prefetch_distance 0x1
	s_branch .LBB1537_1050
	.p2align	6
.LBB1537_1048:                          ;   in Loop: Header=BB1537_1050 Depth=1
	global_load_b32 v59, v[57:58], off
	global_load_b32 v60, v[43:44], off
	v_add_co_u32 v43, vcc_lo, v43, 4
	v_add_co_ci_u32_e32 v44, vcc_lo, 0, v44, vcc_lo
	v_add_co_u32 v57, s0, v57, 4
	s_delay_alu instid0(VALU_DEP_1)
	v_add_co_ci_u32_e64 v58, s0, 0, v58, s0
	s_add_u32 s14, s14, 1
	s_addc_u32 s15, s15, 0
	s_and_not1_b32 s0, s20, exec_lo
	s_waitcnt vmcnt(0)
	v_cmp_ne_u32_e32 vcc_lo, v59, v60
	s_and_b32 s20, vcc_lo, exec_lo
	s_delay_alu instid0(SALU_CYCLE_1)
	s_or_b32 s20, s0, s20
.LBB1537_1049:                          ;   in Loop: Header=BB1537_1050 Depth=1
	v_dual_mov_b32 v60, s15 :: v_dual_mov_b32 v59, s14
	s_and_b32 s0, exec_lo, s20
	s_delay_alu instid0(SALU_CYCLE_1) | instskip(NEXT) | instid1(SALU_CYCLE_1)
	s_or_b32 s19, s0, s19
	s_and_not1_b32 exec_lo, exec_lo, s19
	s_cbranch_execz .LBB1537_1053
.LBB1537_1050:                          ; =>This Inner Loop Header: Depth=1
	s_or_b32 s20, s20, exec_lo
	s_cmp_eq_u64 s[12:13], s[14:15]
	s_cbranch_scc0 .LBB1537_1048
; %bb.1051:                             ;   in Loop: Header=BB1537_1050 Depth=1
	s_mov_b64 s[14:15], s[8:9]
                                        ; implicit-def: $vgpr43_vgpr44
                                        ; implicit-def: $vgpr57_vgpr58
	s_branch .LBB1537_1049
.LBB1537_1052:
	v_mov_b32_e32 v43, 0
	v_mov_b32_e32 v44, 0
	s_branch .LBB1537_1055
.LBB1537_1053:
	s_set_inst_prefetch_distance 0x2
	s_or_b32 exec_lo, exec_lo, s19
	v_cmp_gt_i64_e32 vcc_lo, s[8:9], v[59:60]
	s_mov_b32 s0, 0
	s_delay_alu instid0(SALU_CYCLE_1)
	v_mov_b32_e32 v44, s0
	v_cndmask_b32_e64 v43, 0, 1, vcc_lo
.LBB1537_1054:
	s_or_b32 exec_lo, exec_lo, s18
.LBB1537_1055:
	s_delay_alu instid0(SALU_CYCLE_1) | instskip(SKIP_2) | instid1(VALU_DEP_1)
	s_or_b32 exec_lo, exec_lo, s3
	v_add_nc_u32_e32 v57, 16, v64
	s_mov_b32 s3, exec_lo
	v_cmpx_gt_u32_e64 s6, v57
	s_cbranch_execz .LBB1537_1066
; %bb.1056:
	v_cmp_ne_u32_e32 vcc_lo, 1, v63
	s_cbranch_vccnz .LBB1537_1063
; %bb.1057:
	v_mul_lo_u32 v59, v42, s8
	v_mul_lo_u32 v60, v41, s9
	v_mad_u64_u32 v[57:58], null, v41, s8, 0
	v_mul_lo_u32 v61, v40, s8
	v_mul_lo_u32 v62, v39, s9
	v_mad_u64_u32 v[41:42], null, v39, s8, 0
	s_mov_b32 s18, exec_lo
	s_delay_alu instid0(VALU_DEP_4) | instskip(NEXT) | instid1(VALU_DEP_2)
	v_add3_u32 v58, v58, v60, v59
	v_add3_u32 v42, v42, v62, v61
	s_delay_alu instid0(VALU_DEP_2) | instskip(NEXT) | instid1(VALU_DEP_2)
	v_lshlrev_b64 v[57:58], 2, v[57:58]
	v_lshlrev_b64 v[41:42], 2, v[41:42]
	s_delay_alu instid0(VALU_DEP_2) | instskip(NEXT) | instid1(VALU_DEP_3)
	v_add_co_u32 v57, vcc_lo, s10, v57
	v_add_co_ci_u32_e32 v58, vcc_lo, s11, v58, vcc_lo
	s_delay_alu instid0(VALU_DEP_3) | instskip(NEXT) | instid1(VALU_DEP_4)
	v_add_co_u32 v59, vcc_lo, s10, v41
	v_add_co_ci_u32_e32 v60, vcc_lo, s11, v42, vcc_lo
	s_clause 0x1
	global_load_b32 v61, v[57:58], off
	global_load_b32 v62, v[59:60], off
	v_mov_b32_e32 v41, 1
	v_mov_b32_e32 v42, 0
	s_waitcnt vmcnt(0)
	v_cmpx_eq_u32_e64 v61, v62
	s_cbranch_execz .LBB1537_1065
; %bb.1058:
	v_add_co_u32 v41, vcc_lo, v59, 4
	v_add_co_ci_u32_e32 v42, vcc_lo, 0, v60, vcc_lo
	v_add_co_u32 v57, vcc_lo, v57, 4
	v_add_co_ci_u32_e32 v58, vcc_lo, 0, v58, vcc_lo
	s_add_u32 s12, s8, -1
	s_addc_u32 s13, s9, -1
	s_mov_b64 s[14:15], 0
	s_mov_b32 s19, 0
                                        ; implicit-def: $sgpr20
	s_set_inst_prefetch_distance 0x1
	s_branch .LBB1537_1061
	.p2align	6
.LBB1537_1059:                          ;   in Loop: Header=BB1537_1061 Depth=1
	global_load_b32 v59, v[57:58], off
	global_load_b32 v60, v[41:42], off
	v_add_co_u32 v41, vcc_lo, v41, 4
	v_add_co_ci_u32_e32 v42, vcc_lo, 0, v42, vcc_lo
	v_add_co_u32 v57, s0, v57, 4
	s_delay_alu instid0(VALU_DEP_1)
	v_add_co_ci_u32_e64 v58, s0, 0, v58, s0
	s_add_u32 s14, s14, 1
	s_addc_u32 s15, s15, 0
	s_and_not1_b32 s0, s20, exec_lo
	s_waitcnt vmcnt(0)
	v_cmp_ne_u32_e32 vcc_lo, v59, v60
	s_and_b32 s20, vcc_lo, exec_lo
	s_delay_alu instid0(SALU_CYCLE_1)
	s_or_b32 s20, s0, s20
.LBB1537_1060:                          ;   in Loop: Header=BB1537_1061 Depth=1
	v_dual_mov_b32 v60, s15 :: v_dual_mov_b32 v59, s14
	s_and_b32 s0, exec_lo, s20
	s_delay_alu instid0(SALU_CYCLE_1) | instskip(NEXT) | instid1(SALU_CYCLE_1)
	s_or_b32 s19, s0, s19
	s_and_not1_b32 exec_lo, exec_lo, s19
	s_cbranch_execz .LBB1537_1064
.LBB1537_1061:                          ; =>This Inner Loop Header: Depth=1
	s_or_b32 s20, s20, exec_lo
	s_cmp_eq_u64 s[12:13], s[14:15]
	s_cbranch_scc0 .LBB1537_1059
; %bb.1062:                             ;   in Loop: Header=BB1537_1061 Depth=1
	s_mov_b64 s[14:15], s[8:9]
                                        ; implicit-def: $vgpr41_vgpr42
                                        ; implicit-def: $vgpr57_vgpr58
	s_branch .LBB1537_1060
.LBB1537_1063:
	v_mov_b32_e32 v41, 0
	v_mov_b32_e32 v42, 0
	s_branch .LBB1537_1066
.LBB1537_1064:
	s_set_inst_prefetch_distance 0x2
	s_or_b32 exec_lo, exec_lo, s19
	v_cmp_gt_i64_e32 vcc_lo, s[8:9], v[59:60]
	s_mov_b32 s0, 0
	s_delay_alu instid0(SALU_CYCLE_1)
	v_mov_b32_e32 v42, s0
	v_cndmask_b32_e64 v41, 0, 1, vcc_lo
.LBB1537_1065:
	s_or_b32 exec_lo, exec_lo, s18
.LBB1537_1066:
	s_delay_alu instid0(SALU_CYCLE_1) | instskip(SKIP_2) | instid1(VALU_DEP_1)
	s_or_b32 exec_lo, exec_lo, s3
	v_add_nc_u32_e32 v57, 15, v64
	s_mov_b32 s3, exec_lo
	v_cmpx_gt_u32_e64 s6, v57
	s_cbranch_execz .LBB1537_1077
; %bb.1067:
	v_cmp_ne_u32_e32 vcc_lo, 1, v63
	s_cbranch_vccnz .LBB1537_1074
; %bb.1068:
	v_mul_lo_u32 v59, v40, s8
	v_mul_lo_u32 v60, v39, s9
	v_mad_u64_u32 v[57:58], null, v39, s8, 0
	v_mul_lo_u32 v61, v38, s8
	v_mul_lo_u32 v62, v37, s9
	v_mad_u64_u32 v[39:40], null, v37, s8, 0
	s_mov_b32 s18, exec_lo
	s_delay_alu instid0(VALU_DEP_4) | instskip(NEXT) | instid1(VALU_DEP_2)
	v_add3_u32 v58, v58, v60, v59
	v_add3_u32 v40, v40, v62, v61
	s_delay_alu instid0(VALU_DEP_2) | instskip(NEXT) | instid1(VALU_DEP_2)
	v_lshlrev_b64 v[57:58], 2, v[57:58]
	v_lshlrev_b64 v[39:40], 2, v[39:40]
	s_delay_alu instid0(VALU_DEP_2) | instskip(NEXT) | instid1(VALU_DEP_3)
	v_add_co_u32 v57, vcc_lo, s10, v57
	v_add_co_ci_u32_e32 v58, vcc_lo, s11, v58, vcc_lo
	s_delay_alu instid0(VALU_DEP_3) | instskip(NEXT) | instid1(VALU_DEP_4)
	v_add_co_u32 v59, vcc_lo, s10, v39
	v_add_co_ci_u32_e32 v60, vcc_lo, s11, v40, vcc_lo
	s_clause 0x1
	global_load_b32 v61, v[57:58], off
	global_load_b32 v62, v[59:60], off
	v_mov_b32_e32 v39, 1
	v_mov_b32_e32 v40, 0
	s_waitcnt vmcnt(0)
	v_cmpx_eq_u32_e64 v61, v62
	s_cbranch_execz .LBB1537_1076
; %bb.1069:
	v_add_co_u32 v39, vcc_lo, v59, 4
	v_add_co_ci_u32_e32 v40, vcc_lo, 0, v60, vcc_lo
	v_add_co_u32 v57, vcc_lo, v57, 4
	v_add_co_ci_u32_e32 v58, vcc_lo, 0, v58, vcc_lo
	s_add_u32 s12, s8, -1
	s_addc_u32 s13, s9, -1
	s_mov_b64 s[14:15], 0
	s_mov_b32 s19, 0
                                        ; implicit-def: $sgpr20
	s_set_inst_prefetch_distance 0x1
	s_branch .LBB1537_1072
	.p2align	6
.LBB1537_1070:                          ;   in Loop: Header=BB1537_1072 Depth=1
	global_load_b32 v59, v[57:58], off
	global_load_b32 v60, v[39:40], off
	v_add_co_u32 v39, vcc_lo, v39, 4
	v_add_co_ci_u32_e32 v40, vcc_lo, 0, v40, vcc_lo
	v_add_co_u32 v57, s0, v57, 4
	s_delay_alu instid0(VALU_DEP_1)
	v_add_co_ci_u32_e64 v58, s0, 0, v58, s0
	s_add_u32 s14, s14, 1
	s_addc_u32 s15, s15, 0
	s_and_not1_b32 s0, s20, exec_lo
	s_waitcnt vmcnt(0)
	v_cmp_ne_u32_e32 vcc_lo, v59, v60
	s_and_b32 s20, vcc_lo, exec_lo
	s_delay_alu instid0(SALU_CYCLE_1)
	s_or_b32 s20, s0, s20
.LBB1537_1071:                          ;   in Loop: Header=BB1537_1072 Depth=1
	v_dual_mov_b32 v60, s15 :: v_dual_mov_b32 v59, s14
	s_and_b32 s0, exec_lo, s20
	s_delay_alu instid0(SALU_CYCLE_1) | instskip(NEXT) | instid1(SALU_CYCLE_1)
	s_or_b32 s19, s0, s19
	s_and_not1_b32 exec_lo, exec_lo, s19
	s_cbranch_execz .LBB1537_1075
.LBB1537_1072:                          ; =>This Inner Loop Header: Depth=1
	s_or_b32 s20, s20, exec_lo
	s_cmp_eq_u64 s[12:13], s[14:15]
	s_cbranch_scc0 .LBB1537_1070
; %bb.1073:                             ;   in Loop: Header=BB1537_1072 Depth=1
	s_mov_b64 s[14:15], s[8:9]
                                        ; implicit-def: $vgpr39_vgpr40
                                        ; implicit-def: $vgpr57_vgpr58
	s_branch .LBB1537_1071
.LBB1537_1074:
	v_mov_b32_e32 v39, 0
	v_mov_b32_e32 v40, 0
	s_branch .LBB1537_1077
.LBB1537_1075:
	s_set_inst_prefetch_distance 0x2
	s_or_b32 exec_lo, exec_lo, s19
	v_cmp_gt_i64_e32 vcc_lo, s[8:9], v[59:60]
	s_mov_b32 s0, 0
	s_delay_alu instid0(SALU_CYCLE_1)
	v_mov_b32_e32 v40, s0
	v_cndmask_b32_e64 v39, 0, 1, vcc_lo
.LBB1537_1076:
	s_or_b32 exec_lo, exec_lo, s18
.LBB1537_1077:
	s_delay_alu instid0(SALU_CYCLE_1) | instskip(SKIP_2) | instid1(VALU_DEP_1)
	s_or_b32 exec_lo, exec_lo, s3
	v_add_nc_u32_e32 v57, 14, v64
	s_mov_b32 s3, exec_lo
	v_cmpx_gt_u32_e64 s6, v57
	s_cbranch_execz .LBB1537_1088
; %bb.1078:
	v_cmp_ne_u32_e32 vcc_lo, 1, v63
	s_cbranch_vccnz .LBB1537_1085
; %bb.1079:
	v_mul_lo_u32 v59, v38, s8
	v_mul_lo_u32 v60, v37, s9
	v_mad_u64_u32 v[57:58], null, v37, s8, 0
	v_mul_lo_u32 v61, v36, s8
	v_mul_lo_u32 v62, v35, s9
	v_mad_u64_u32 v[37:38], null, v35, s8, 0
	s_mov_b32 s18, exec_lo
	s_delay_alu instid0(VALU_DEP_4) | instskip(NEXT) | instid1(VALU_DEP_2)
	v_add3_u32 v58, v58, v60, v59
	v_add3_u32 v38, v38, v62, v61
	s_delay_alu instid0(VALU_DEP_2) | instskip(NEXT) | instid1(VALU_DEP_2)
	v_lshlrev_b64 v[57:58], 2, v[57:58]
	v_lshlrev_b64 v[37:38], 2, v[37:38]
	s_delay_alu instid0(VALU_DEP_2) | instskip(NEXT) | instid1(VALU_DEP_3)
	v_add_co_u32 v57, vcc_lo, s10, v57
	v_add_co_ci_u32_e32 v58, vcc_lo, s11, v58, vcc_lo
	s_delay_alu instid0(VALU_DEP_3) | instskip(NEXT) | instid1(VALU_DEP_4)
	v_add_co_u32 v59, vcc_lo, s10, v37
	v_add_co_ci_u32_e32 v60, vcc_lo, s11, v38, vcc_lo
	s_clause 0x1
	global_load_b32 v61, v[57:58], off
	global_load_b32 v62, v[59:60], off
	v_mov_b32_e32 v37, 1
	v_mov_b32_e32 v38, 0
	s_waitcnt vmcnt(0)
	v_cmpx_eq_u32_e64 v61, v62
	s_cbranch_execz .LBB1537_1087
; %bb.1080:
	v_add_co_u32 v37, vcc_lo, v59, 4
	v_add_co_ci_u32_e32 v38, vcc_lo, 0, v60, vcc_lo
	v_add_co_u32 v57, vcc_lo, v57, 4
	v_add_co_ci_u32_e32 v58, vcc_lo, 0, v58, vcc_lo
	s_add_u32 s12, s8, -1
	s_addc_u32 s13, s9, -1
	s_mov_b64 s[14:15], 0
	s_mov_b32 s19, 0
                                        ; implicit-def: $sgpr20
	s_set_inst_prefetch_distance 0x1
	s_branch .LBB1537_1083
	.p2align	6
.LBB1537_1081:                          ;   in Loop: Header=BB1537_1083 Depth=1
	global_load_b32 v59, v[57:58], off
	global_load_b32 v60, v[37:38], off
	v_add_co_u32 v37, vcc_lo, v37, 4
	v_add_co_ci_u32_e32 v38, vcc_lo, 0, v38, vcc_lo
	v_add_co_u32 v57, s0, v57, 4
	s_delay_alu instid0(VALU_DEP_1)
	v_add_co_ci_u32_e64 v58, s0, 0, v58, s0
	s_add_u32 s14, s14, 1
	s_addc_u32 s15, s15, 0
	s_and_not1_b32 s0, s20, exec_lo
	s_waitcnt vmcnt(0)
	v_cmp_ne_u32_e32 vcc_lo, v59, v60
	s_and_b32 s20, vcc_lo, exec_lo
	s_delay_alu instid0(SALU_CYCLE_1)
	s_or_b32 s20, s0, s20
.LBB1537_1082:                          ;   in Loop: Header=BB1537_1083 Depth=1
	v_dual_mov_b32 v60, s15 :: v_dual_mov_b32 v59, s14
	s_and_b32 s0, exec_lo, s20
	s_delay_alu instid0(SALU_CYCLE_1) | instskip(NEXT) | instid1(SALU_CYCLE_1)
	s_or_b32 s19, s0, s19
	s_and_not1_b32 exec_lo, exec_lo, s19
	s_cbranch_execz .LBB1537_1086
.LBB1537_1083:                          ; =>This Inner Loop Header: Depth=1
	s_or_b32 s20, s20, exec_lo
	s_cmp_eq_u64 s[12:13], s[14:15]
	s_cbranch_scc0 .LBB1537_1081
; %bb.1084:                             ;   in Loop: Header=BB1537_1083 Depth=1
	s_mov_b64 s[14:15], s[8:9]
                                        ; implicit-def: $vgpr37_vgpr38
                                        ; implicit-def: $vgpr57_vgpr58
	s_branch .LBB1537_1082
.LBB1537_1085:
	v_mov_b32_e32 v37, 0
	v_mov_b32_e32 v38, 0
	s_branch .LBB1537_1088
.LBB1537_1086:
	s_set_inst_prefetch_distance 0x2
	s_or_b32 exec_lo, exec_lo, s19
	v_cmp_gt_i64_e32 vcc_lo, s[8:9], v[59:60]
	s_mov_b32 s0, 0
	s_delay_alu instid0(SALU_CYCLE_1)
	v_mov_b32_e32 v38, s0
	v_cndmask_b32_e64 v37, 0, 1, vcc_lo
.LBB1537_1087:
	s_or_b32 exec_lo, exec_lo, s18
.LBB1537_1088:
	s_delay_alu instid0(SALU_CYCLE_1) | instskip(SKIP_2) | instid1(VALU_DEP_1)
	s_or_b32 exec_lo, exec_lo, s3
	v_add_nc_u32_e32 v57, 13, v64
	s_mov_b32 s3, exec_lo
	v_cmpx_gt_u32_e64 s6, v57
	s_cbranch_execz .LBB1537_1099
; %bb.1089:
	v_cmp_ne_u32_e32 vcc_lo, 1, v63
	s_cbranch_vccnz .LBB1537_1096
; %bb.1090:
	v_mul_lo_u32 v59, v36, s8
	v_mul_lo_u32 v60, v35, s9
	v_mad_u64_u32 v[57:58], null, v35, s8, 0
	v_mul_lo_u32 v61, v34, s8
	v_mul_lo_u32 v62, v33, s9
	v_mad_u64_u32 v[35:36], null, v33, s8, 0
	s_mov_b32 s18, exec_lo
	s_delay_alu instid0(VALU_DEP_4) | instskip(NEXT) | instid1(VALU_DEP_2)
	v_add3_u32 v58, v58, v60, v59
	v_add3_u32 v36, v36, v62, v61
	s_delay_alu instid0(VALU_DEP_2) | instskip(NEXT) | instid1(VALU_DEP_2)
	v_lshlrev_b64 v[57:58], 2, v[57:58]
	v_lshlrev_b64 v[35:36], 2, v[35:36]
	s_delay_alu instid0(VALU_DEP_2) | instskip(NEXT) | instid1(VALU_DEP_3)
	v_add_co_u32 v57, vcc_lo, s10, v57
	v_add_co_ci_u32_e32 v58, vcc_lo, s11, v58, vcc_lo
	s_delay_alu instid0(VALU_DEP_3) | instskip(NEXT) | instid1(VALU_DEP_4)
	v_add_co_u32 v59, vcc_lo, s10, v35
	v_add_co_ci_u32_e32 v60, vcc_lo, s11, v36, vcc_lo
	s_clause 0x1
	global_load_b32 v61, v[57:58], off
	global_load_b32 v62, v[59:60], off
	v_mov_b32_e32 v35, 1
	v_mov_b32_e32 v36, 0
	s_waitcnt vmcnt(0)
	v_cmpx_eq_u32_e64 v61, v62
	s_cbranch_execz .LBB1537_1098
; %bb.1091:
	v_add_co_u32 v35, vcc_lo, v59, 4
	v_add_co_ci_u32_e32 v36, vcc_lo, 0, v60, vcc_lo
	v_add_co_u32 v57, vcc_lo, v57, 4
	v_add_co_ci_u32_e32 v58, vcc_lo, 0, v58, vcc_lo
	s_add_u32 s12, s8, -1
	s_addc_u32 s13, s9, -1
	s_mov_b64 s[14:15], 0
	s_mov_b32 s19, 0
                                        ; implicit-def: $sgpr20
	s_set_inst_prefetch_distance 0x1
	s_branch .LBB1537_1094
	.p2align	6
.LBB1537_1092:                          ;   in Loop: Header=BB1537_1094 Depth=1
	global_load_b32 v59, v[57:58], off
	global_load_b32 v60, v[35:36], off
	v_add_co_u32 v35, vcc_lo, v35, 4
	v_add_co_ci_u32_e32 v36, vcc_lo, 0, v36, vcc_lo
	v_add_co_u32 v57, s0, v57, 4
	s_delay_alu instid0(VALU_DEP_1)
	v_add_co_ci_u32_e64 v58, s0, 0, v58, s0
	s_add_u32 s14, s14, 1
	s_addc_u32 s15, s15, 0
	s_and_not1_b32 s0, s20, exec_lo
	s_waitcnt vmcnt(0)
	v_cmp_ne_u32_e32 vcc_lo, v59, v60
	s_and_b32 s20, vcc_lo, exec_lo
	s_delay_alu instid0(SALU_CYCLE_1)
	s_or_b32 s20, s0, s20
.LBB1537_1093:                          ;   in Loop: Header=BB1537_1094 Depth=1
	v_dual_mov_b32 v60, s15 :: v_dual_mov_b32 v59, s14
	s_and_b32 s0, exec_lo, s20
	s_delay_alu instid0(SALU_CYCLE_1) | instskip(NEXT) | instid1(SALU_CYCLE_1)
	s_or_b32 s19, s0, s19
	s_and_not1_b32 exec_lo, exec_lo, s19
	s_cbranch_execz .LBB1537_1097
.LBB1537_1094:                          ; =>This Inner Loop Header: Depth=1
	s_or_b32 s20, s20, exec_lo
	s_cmp_eq_u64 s[12:13], s[14:15]
	s_cbranch_scc0 .LBB1537_1092
; %bb.1095:                             ;   in Loop: Header=BB1537_1094 Depth=1
	s_mov_b64 s[14:15], s[8:9]
                                        ; implicit-def: $vgpr35_vgpr36
                                        ; implicit-def: $vgpr57_vgpr58
	s_branch .LBB1537_1093
.LBB1537_1096:
	v_mov_b32_e32 v35, 0
	v_mov_b32_e32 v36, 0
	s_branch .LBB1537_1099
.LBB1537_1097:
	s_set_inst_prefetch_distance 0x2
	s_or_b32 exec_lo, exec_lo, s19
	v_cmp_gt_i64_e32 vcc_lo, s[8:9], v[59:60]
	s_mov_b32 s0, 0
	s_delay_alu instid0(SALU_CYCLE_1)
	v_mov_b32_e32 v36, s0
	v_cndmask_b32_e64 v35, 0, 1, vcc_lo
.LBB1537_1098:
	s_or_b32 exec_lo, exec_lo, s18
.LBB1537_1099:
	s_delay_alu instid0(SALU_CYCLE_1) | instskip(SKIP_2) | instid1(VALU_DEP_1)
	s_or_b32 exec_lo, exec_lo, s3
	v_add_nc_u32_e32 v57, 12, v64
	s_mov_b32 s3, exec_lo
	v_cmpx_gt_u32_e64 s6, v57
	s_cbranch_execz .LBB1537_1110
; %bb.1100:
	v_cmp_ne_u32_e32 vcc_lo, 1, v63
	s_cbranch_vccnz .LBB1537_1107
; %bb.1101:
	v_mul_lo_u32 v59, v34, s8
	v_mul_lo_u32 v60, v33, s9
	v_mad_u64_u32 v[57:58], null, v33, s8, 0
	v_mul_lo_u32 v61, v32, s8
	v_mul_lo_u32 v62, v31, s9
	v_mad_u64_u32 v[33:34], null, v31, s8, 0
	s_mov_b32 s18, exec_lo
	s_delay_alu instid0(VALU_DEP_4) | instskip(NEXT) | instid1(VALU_DEP_2)
	v_add3_u32 v58, v58, v60, v59
	v_add3_u32 v34, v34, v62, v61
	s_delay_alu instid0(VALU_DEP_2) | instskip(NEXT) | instid1(VALU_DEP_2)
	v_lshlrev_b64 v[57:58], 2, v[57:58]
	v_lshlrev_b64 v[33:34], 2, v[33:34]
	s_delay_alu instid0(VALU_DEP_2) | instskip(NEXT) | instid1(VALU_DEP_3)
	v_add_co_u32 v57, vcc_lo, s10, v57
	v_add_co_ci_u32_e32 v58, vcc_lo, s11, v58, vcc_lo
	s_delay_alu instid0(VALU_DEP_3) | instskip(NEXT) | instid1(VALU_DEP_4)
	v_add_co_u32 v59, vcc_lo, s10, v33
	v_add_co_ci_u32_e32 v60, vcc_lo, s11, v34, vcc_lo
	s_clause 0x1
	global_load_b32 v61, v[57:58], off
	global_load_b32 v62, v[59:60], off
	v_mov_b32_e32 v33, 1
	v_mov_b32_e32 v34, 0
	s_waitcnt vmcnt(0)
	v_cmpx_eq_u32_e64 v61, v62
	s_cbranch_execz .LBB1537_1109
; %bb.1102:
	v_add_co_u32 v33, vcc_lo, v59, 4
	v_add_co_ci_u32_e32 v34, vcc_lo, 0, v60, vcc_lo
	v_add_co_u32 v57, vcc_lo, v57, 4
	v_add_co_ci_u32_e32 v58, vcc_lo, 0, v58, vcc_lo
	s_add_u32 s12, s8, -1
	s_addc_u32 s13, s9, -1
	s_mov_b64 s[14:15], 0
	s_mov_b32 s19, 0
                                        ; implicit-def: $sgpr20
	s_set_inst_prefetch_distance 0x1
	s_branch .LBB1537_1105
	.p2align	6
.LBB1537_1103:                          ;   in Loop: Header=BB1537_1105 Depth=1
	global_load_b32 v59, v[57:58], off
	global_load_b32 v60, v[33:34], off
	v_add_co_u32 v33, vcc_lo, v33, 4
	v_add_co_ci_u32_e32 v34, vcc_lo, 0, v34, vcc_lo
	v_add_co_u32 v57, s0, v57, 4
	s_delay_alu instid0(VALU_DEP_1)
	v_add_co_ci_u32_e64 v58, s0, 0, v58, s0
	s_add_u32 s14, s14, 1
	s_addc_u32 s15, s15, 0
	s_and_not1_b32 s0, s20, exec_lo
	s_waitcnt vmcnt(0)
	v_cmp_ne_u32_e32 vcc_lo, v59, v60
	s_and_b32 s20, vcc_lo, exec_lo
	s_delay_alu instid0(SALU_CYCLE_1)
	s_or_b32 s20, s0, s20
.LBB1537_1104:                          ;   in Loop: Header=BB1537_1105 Depth=1
	v_dual_mov_b32 v60, s15 :: v_dual_mov_b32 v59, s14
	s_and_b32 s0, exec_lo, s20
	s_delay_alu instid0(SALU_CYCLE_1) | instskip(NEXT) | instid1(SALU_CYCLE_1)
	s_or_b32 s19, s0, s19
	s_and_not1_b32 exec_lo, exec_lo, s19
	s_cbranch_execz .LBB1537_1108
.LBB1537_1105:                          ; =>This Inner Loop Header: Depth=1
	s_or_b32 s20, s20, exec_lo
	s_cmp_eq_u64 s[12:13], s[14:15]
	s_cbranch_scc0 .LBB1537_1103
; %bb.1106:                             ;   in Loop: Header=BB1537_1105 Depth=1
	s_mov_b64 s[14:15], s[8:9]
                                        ; implicit-def: $vgpr33_vgpr34
                                        ; implicit-def: $vgpr57_vgpr58
	s_branch .LBB1537_1104
.LBB1537_1107:
	v_mov_b32_e32 v33, 0
	v_mov_b32_e32 v34, 0
	s_branch .LBB1537_1110
.LBB1537_1108:
	s_set_inst_prefetch_distance 0x2
	s_or_b32 exec_lo, exec_lo, s19
	v_cmp_gt_i64_e32 vcc_lo, s[8:9], v[59:60]
	s_mov_b32 s0, 0
	s_delay_alu instid0(SALU_CYCLE_1)
	v_mov_b32_e32 v34, s0
	v_cndmask_b32_e64 v33, 0, 1, vcc_lo
.LBB1537_1109:
	s_or_b32 exec_lo, exec_lo, s18
.LBB1537_1110:
	s_delay_alu instid0(SALU_CYCLE_1) | instskip(SKIP_2) | instid1(VALU_DEP_1)
	s_or_b32 exec_lo, exec_lo, s3
	v_add_nc_u32_e32 v57, 11, v64
	s_mov_b32 s3, exec_lo
	v_cmpx_gt_u32_e64 s6, v57
	s_cbranch_execz .LBB1537_1121
; %bb.1111:
	v_cmp_ne_u32_e32 vcc_lo, 1, v63
	s_cbranch_vccnz .LBB1537_1118
; %bb.1112:
	v_mul_lo_u32 v59, v32, s8
	v_mul_lo_u32 v60, v31, s9
	v_mad_u64_u32 v[57:58], null, v31, s8, 0
	v_mul_lo_u32 v61, v30, s8
	v_mul_lo_u32 v62, v29, s9
	v_mad_u64_u32 v[31:32], null, v29, s8, 0
	s_mov_b32 s18, exec_lo
	s_delay_alu instid0(VALU_DEP_4) | instskip(NEXT) | instid1(VALU_DEP_2)
	v_add3_u32 v58, v58, v60, v59
	v_add3_u32 v32, v32, v62, v61
	s_delay_alu instid0(VALU_DEP_2) | instskip(NEXT) | instid1(VALU_DEP_2)
	v_lshlrev_b64 v[57:58], 2, v[57:58]
	v_lshlrev_b64 v[31:32], 2, v[31:32]
	s_delay_alu instid0(VALU_DEP_2) | instskip(NEXT) | instid1(VALU_DEP_3)
	v_add_co_u32 v57, vcc_lo, s10, v57
	v_add_co_ci_u32_e32 v58, vcc_lo, s11, v58, vcc_lo
	s_delay_alu instid0(VALU_DEP_3) | instskip(NEXT) | instid1(VALU_DEP_4)
	v_add_co_u32 v59, vcc_lo, s10, v31
	v_add_co_ci_u32_e32 v60, vcc_lo, s11, v32, vcc_lo
	s_clause 0x1
	global_load_b32 v61, v[57:58], off
	global_load_b32 v62, v[59:60], off
	v_mov_b32_e32 v31, 1
	v_mov_b32_e32 v32, 0
	s_waitcnt vmcnt(0)
	v_cmpx_eq_u32_e64 v61, v62
	s_cbranch_execz .LBB1537_1120
; %bb.1113:
	v_add_co_u32 v31, vcc_lo, v59, 4
	v_add_co_ci_u32_e32 v32, vcc_lo, 0, v60, vcc_lo
	v_add_co_u32 v57, vcc_lo, v57, 4
	v_add_co_ci_u32_e32 v58, vcc_lo, 0, v58, vcc_lo
	s_add_u32 s12, s8, -1
	s_addc_u32 s13, s9, -1
	s_mov_b64 s[14:15], 0
	s_mov_b32 s19, 0
                                        ; implicit-def: $sgpr20
	s_set_inst_prefetch_distance 0x1
	s_branch .LBB1537_1116
	.p2align	6
.LBB1537_1114:                          ;   in Loop: Header=BB1537_1116 Depth=1
	global_load_b32 v59, v[57:58], off
	global_load_b32 v60, v[31:32], off
	v_add_co_u32 v31, vcc_lo, v31, 4
	v_add_co_ci_u32_e32 v32, vcc_lo, 0, v32, vcc_lo
	v_add_co_u32 v57, s0, v57, 4
	s_delay_alu instid0(VALU_DEP_1)
	v_add_co_ci_u32_e64 v58, s0, 0, v58, s0
	s_add_u32 s14, s14, 1
	s_addc_u32 s15, s15, 0
	s_and_not1_b32 s0, s20, exec_lo
	s_waitcnt vmcnt(0)
	v_cmp_ne_u32_e32 vcc_lo, v59, v60
	s_and_b32 s20, vcc_lo, exec_lo
	s_delay_alu instid0(SALU_CYCLE_1)
	s_or_b32 s20, s0, s20
.LBB1537_1115:                          ;   in Loop: Header=BB1537_1116 Depth=1
	v_dual_mov_b32 v60, s15 :: v_dual_mov_b32 v59, s14
	s_and_b32 s0, exec_lo, s20
	s_delay_alu instid0(SALU_CYCLE_1) | instskip(NEXT) | instid1(SALU_CYCLE_1)
	s_or_b32 s19, s0, s19
	s_and_not1_b32 exec_lo, exec_lo, s19
	s_cbranch_execz .LBB1537_1119
.LBB1537_1116:                          ; =>This Inner Loop Header: Depth=1
	s_or_b32 s20, s20, exec_lo
	s_cmp_eq_u64 s[12:13], s[14:15]
	s_cbranch_scc0 .LBB1537_1114
; %bb.1117:                             ;   in Loop: Header=BB1537_1116 Depth=1
	s_mov_b64 s[14:15], s[8:9]
                                        ; implicit-def: $vgpr31_vgpr32
                                        ; implicit-def: $vgpr57_vgpr58
	s_branch .LBB1537_1115
.LBB1537_1118:
	v_mov_b32_e32 v31, 0
	v_mov_b32_e32 v32, 0
	s_branch .LBB1537_1121
.LBB1537_1119:
	s_set_inst_prefetch_distance 0x2
	s_or_b32 exec_lo, exec_lo, s19
	v_cmp_gt_i64_e32 vcc_lo, s[8:9], v[59:60]
	s_mov_b32 s0, 0
	s_delay_alu instid0(SALU_CYCLE_1)
	v_mov_b32_e32 v32, s0
	v_cndmask_b32_e64 v31, 0, 1, vcc_lo
.LBB1537_1120:
	s_or_b32 exec_lo, exec_lo, s18
.LBB1537_1121:
	s_delay_alu instid0(SALU_CYCLE_1) | instskip(SKIP_2) | instid1(VALU_DEP_1)
	s_or_b32 exec_lo, exec_lo, s3
	v_add_nc_u32_e32 v57, 10, v64
	s_mov_b32 s3, exec_lo
	v_cmpx_gt_u32_e64 s6, v57
	s_cbranch_execz .LBB1537_1132
; %bb.1122:
	v_cmp_ne_u32_e32 vcc_lo, 1, v63
	s_cbranch_vccnz .LBB1537_1129
; %bb.1123:
	v_mul_lo_u32 v59, v30, s8
	v_mul_lo_u32 v60, v29, s9
	v_mad_u64_u32 v[57:58], null, v29, s8, 0
	v_mul_lo_u32 v61, v28, s8
	v_mul_lo_u32 v62, v27, s9
	v_mad_u64_u32 v[29:30], null, v27, s8, 0
	s_mov_b32 s18, exec_lo
	s_delay_alu instid0(VALU_DEP_4) | instskip(NEXT) | instid1(VALU_DEP_2)
	v_add3_u32 v58, v58, v60, v59
	v_add3_u32 v30, v30, v62, v61
	s_delay_alu instid0(VALU_DEP_2) | instskip(NEXT) | instid1(VALU_DEP_2)
	v_lshlrev_b64 v[57:58], 2, v[57:58]
	v_lshlrev_b64 v[29:30], 2, v[29:30]
	s_delay_alu instid0(VALU_DEP_2) | instskip(NEXT) | instid1(VALU_DEP_3)
	v_add_co_u32 v57, vcc_lo, s10, v57
	v_add_co_ci_u32_e32 v58, vcc_lo, s11, v58, vcc_lo
	s_delay_alu instid0(VALU_DEP_3) | instskip(NEXT) | instid1(VALU_DEP_4)
	v_add_co_u32 v59, vcc_lo, s10, v29
	v_add_co_ci_u32_e32 v60, vcc_lo, s11, v30, vcc_lo
	s_clause 0x1
	global_load_b32 v61, v[57:58], off
	global_load_b32 v62, v[59:60], off
	v_mov_b32_e32 v29, 1
	v_mov_b32_e32 v30, 0
	s_waitcnt vmcnt(0)
	v_cmpx_eq_u32_e64 v61, v62
	s_cbranch_execz .LBB1537_1131
; %bb.1124:
	v_add_co_u32 v29, vcc_lo, v59, 4
	v_add_co_ci_u32_e32 v30, vcc_lo, 0, v60, vcc_lo
	v_add_co_u32 v57, vcc_lo, v57, 4
	v_add_co_ci_u32_e32 v58, vcc_lo, 0, v58, vcc_lo
	s_add_u32 s12, s8, -1
	s_addc_u32 s13, s9, -1
	s_mov_b64 s[14:15], 0
	s_mov_b32 s19, 0
                                        ; implicit-def: $sgpr20
	s_set_inst_prefetch_distance 0x1
	s_branch .LBB1537_1127
	.p2align	6
.LBB1537_1125:                          ;   in Loop: Header=BB1537_1127 Depth=1
	global_load_b32 v59, v[57:58], off
	global_load_b32 v60, v[29:30], off
	v_add_co_u32 v29, vcc_lo, v29, 4
	v_add_co_ci_u32_e32 v30, vcc_lo, 0, v30, vcc_lo
	v_add_co_u32 v57, s0, v57, 4
	s_delay_alu instid0(VALU_DEP_1)
	v_add_co_ci_u32_e64 v58, s0, 0, v58, s0
	s_add_u32 s14, s14, 1
	s_addc_u32 s15, s15, 0
	s_and_not1_b32 s0, s20, exec_lo
	s_waitcnt vmcnt(0)
	v_cmp_ne_u32_e32 vcc_lo, v59, v60
	s_and_b32 s20, vcc_lo, exec_lo
	s_delay_alu instid0(SALU_CYCLE_1)
	s_or_b32 s20, s0, s20
.LBB1537_1126:                          ;   in Loop: Header=BB1537_1127 Depth=1
	v_dual_mov_b32 v60, s15 :: v_dual_mov_b32 v59, s14
	s_and_b32 s0, exec_lo, s20
	s_delay_alu instid0(SALU_CYCLE_1) | instskip(NEXT) | instid1(SALU_CYCLE_1)
	s_or_b32 s19, s0, s19
	s_and_not1_b32 exec_lo, exec_lo, s19
	s_cbranch_execz .LBB1537_1130
.LBB1537_1127:                          ; =>This Inner Loop Header: Depth=1
	s_or_b32 s20, s20, exec_lo
	s_cmp_eq_u64 s[12:13], s[14:15]
	s_cbranch_scc0 .LBB1537_1125
; %bb.1128:                             ;   in Loop: Header=BB1537_1127 Depth=1
	s_mov_b64 s[14:15], s[8:9]
                                        ; implicit-def: $vgpr29_vgpr30
                                        ; implicit-def: $vgpr57_vgpr58
	s_branch .LBB1537_1126
.LBB1537_1129:
	v_mov_b32_e32 v29, 0
	v_mov_b32_e32 v30, 0
	s_branch .LBB1537_1132
.LBB1537_1130:
	s_set_inst_prefetch_distance 0x2
	s_or_b32 exec_lo, exec_lo, s19
	v_cmp_gt_i64_e32 vcc_lo, s[8:9], v[59:60]
	s_mov_b32 s0, 0
	s_delay_alu instid0(SALU_CYCLE_1)
	v_mov_b32_e32 v30, s0
	v_cndmask_b32_e64 v29, 0, 1, vcc_lo
.LBB1537_1131:
	s_or_b32 exec_lo, exec_lo, s18
.LBB1537_1132:
	s_delay_alu instid0(SALU_CYCLE_1) | instskip(SKIP_2) | instid1(VALU_DEP_1)
	s_or_b32 exec_lo, exec_lo, s3
	v_add_nc_u32_e32 v57, 9, v64
	s_mov_b32 s3, exec_lo
	v_cmpx_gt_u32_e64 s6, v57
	s_cbranch_execz .LBB1537_1143
; %bb.1133:
	v_cmp_ne_u32_e32 vcc_lo, 1, v63
	s_cbranch_vccnz .LBB1537_1140
; %bb.1134:
	v_mul_lo_u32 v59, v28, s8
	v_mul_lo_u32 v60, v27, s9
	v_mad_u64_u32 v[57:58], null, v27, s8, 0
	v_mul_lo_u32 v61, v26, s8
	v_mul_lo_u32 v62, v25, s9
	v_mad_u64_u32 v[27:28], null, v25, s8, 0
	s_mov_b32 s18, exec_lo
	s_delay_alu instid0(VALU_DEP_4) | instskip(NEXT) | instid1(VALU_DEP_2)
	v_add3_u32 v58, v58, v60, v59
	v_add3_u32 v28, v28, v62, v61
	s_delay_alu instid0(VALU_DEP_2) | instskip(NEXT) | instid1(VALU_DEP_2)
	v_lshlrev_b64 v[57:58], 2, v[57:58]
	v_lshlrev_b64 v[27:28], 2, v[27:28]
	s_delay_alu instid0(VALU_DEP_2) | instskip(NEXT) | instid1(VALU_DEP_3)
	v_add_co_u32 v57, vcc_lo, s10, v57
	v_add_co_ci_u32_e32 v58, vcc_lo, s11, v58, vcc_lo
	s_delay_alu instid0(VALU_DEP_3) | instskip(NEXT) | instid1(VALU_DEP_4)
	v_add_co_u32 v59, vcc_lo, s10, v27
	v_add_co_ci_u32_e32 v60, vcc_lo, s11, v28, vcc_lo
	s_clause 0x1
	global_load_b32 v61, v[57:58], off
	global_load_b32 v62, v[59:60], off
	v_mov_b32_e32 v27, 1
	v_mov_b32_e32 v28, 0
	s_waitcnt vmcnt(0)
	v_cmpx_eq_u32_e64 v61, v62
	s_cbranch_execz .LBB1537_1142
; %bb.1135:
	v_add_co_u32 v27, vcc_lo, v59, 4
	v_add_co_ci_u32_e32 v28, vcc_lo, 0, v60, vcc_lo
	v_add_co_u32 v57, vcc_lo, v57, 4
	v_add_co_ci_u32_e32 v58, vcc_lo, 0, v58, vcc_lo
	s_add_u32 s12, s8, -1
	s_addc_u32 s13, s9, -1
	s_mov_b64 s[14:15], 0
	s_mov_b32 s19, 0
                                        ; implicit-def: $sgpr20
	s_set_inst_prefetch_distance 0x1
	s_branch .LBB1537_1138
	.p2align	6
.LBB1537_1136:                          ;   in Loop: Header=BB1537_1138 Depth=1
	global_load_b32 v59, v[57:58], off
	global_load_b32 v60, v[27:28], off
	v_add_co_u32 v27, vcc_lo, v27, 4
	v_add_co_ci_u32_e32 v28, vcc_lo, 0, v28, vcc_lo
	v_add_co_u32 v57, s0, v57, 4
	s_delay_alu instid0(VALU_DEP_1)
	v_add_co_ci_u32_e64 v58, s0, 0, v58, s0
	s_add_u32 s14, s14, 1
	s_addc_u32 s15, s15, 0
	s_and_not1_b32 s0, s20, exec_lo
	s_waitcnt vmcnt(0)
	v_cmp_ne_u32_e32 vcc_lo, v59, v60
	s_and_b32 s20, vcc_lo, exec_lo
	s_delay_alu instid0(SALU_CYCLE_1)
	s_or_b32 s20, s0, s20
.LBB1537_1137:                          ;   in Loop: Header=BB1537_1138 Depth=1
	v_dual_mov_b32 v60, s15 :: v_dual_mov_b32 v59, s14
	s_and_b32 s0, exec_lo, s20
	s_delay_alu instid0(SALU_CYCLE_1) | instskip(NEXT) | instid1(SALU_CYCLE_1)
	s_or_b32 s19, s0, s19
	s_and_not1_b32 exec_lo, exec_lo, s19
	s_cbranch_execz .LBB1537_1141
.LBB1537_1138:                          ; =>This Inner Loop Header: Depth=1
	s_or_b32 s20, s20, exec_lo
	s_cmp_eq_u64 s[12:13], s[14:15]
	s_cbranch_scc0 .LBB1537_1136
; %bb.1139:                             ;   in Loop: Header=BB1537_1138 Depth=1
	s_mov_b64 s[14:15], s[8:9]
                                        ; implicit-def: $vgpr27_vgpr28
                                        ; implicit-def: $vgpr57_vgpr58
	s_branch .LBB1537_1137
.LBB1537_1140:
	v_mov_b32_e32 v27, 0
	v_mov_b32_e32 v28, 0
	s_branch .LBB1537_1143
.LBB1537_1141:
	s_set_inst_prefetch_distance 0x2
	s_or_b32 exec_lo, exec_lo, s19
	v_cmp_gt_i64_e32 vcc_lo, s[8:9], v[59:60]
	s_mov_b32 s0, 0
	s_delay_alu instid0(SALU_CYCLE_1)
	v_mov_b32_e32 v28, s0
	v_cndmask_b32_e64 v27, 0, 1, vcc_lo
.LBB1537_1142:
	s_or_b32 exec_lo, exec_lo, s18
.LBB1537_1143:
	s_delay_alu instid0(SALU_CYCLE_1) | instskip(SKIP_2) | instid1(VALU_DEP_1)
	s_or_b32 exec_lo, exec_lo, s3
	v_add_nc_u32_e32 v57, 8, v64
	s_mov_b32 s3, exec_lo
	v_cmpx_gt_u32_e64 s6, v57
	s_cbranch_execz .LBB1537_1154
; %bb.1144:
	v_cmp_ne_u32_e32 vcc_lo, 1, v63
	s_cbranch_vccnz .LBB1537_1151
; %bb.1145:
	v_mul_lo_u32 v59, v26, s8
	v_mul_lo_u32 v60, v25, s9
	v_mad_u64_u32 v[57:58], null, v25, s8, 0
	v_mul_lo_u32 v61, v24, s8
	v_mul_lo_u32 v62, v23, s9
	v_mad_u64_u32 v[25:26], null, v23, s8, 0
	s_mov_b32 s18, exec_lo
	s_delay_alu instid0(VALU_DEP_4) | instskip(NEXT) | instid1(VALU_DEP_2)
	v_add3_u32 v58, v58, v60, v59
	v_add3_u32 v26, v26, v62, v61
	s_delay_alu instid0(VALU_DEP_2) | instskip(NEXT) | instid1(VALU_DEP_2)
	v_lshlrev_b64 v[57:58], 2, v[57:58]
	v_lshlrev_b64 v[25:26], 2, v[25:26]
	s_delay_alu instid0(VALU_DEP_2) | instskip(NEXT) | instid1(VALU_DEP_3)
	v_add_co_u32 v57, vcc_lo, s10, v57
	v_add_co_ci_u32_e32 v58, vcc_lo, s11, v58, vcc_lo
	s_delay_alu instid0(VALU_DEP_3) | instskip(NEXT) | instid1(VALU_DEP_4)
	v_add_co_u32 v59, vcc_lo, s10, v25
	v_add_co_ci_u32_e32 v60, vcc_lo, s11, v26, vcc_lo
	s_clause 0x1
	global_load_b32 v61, v[57:58], off
	global_load_b32 v62, v[59:60], off
	v_mov_b32_e32 v25, 1
	v_mov_b32_e32 v26, 0
	s_waitcnt vmcnt(0)
	v_cmpx_eq_u32_e64 v61, v62
	s_cbranch_execz .LBB1537_1153
; %bb.1146:
	v_add_co_u32 v25, vcc_lo, v59, 4
	v_add_co_ci_u32_e32 v26, vcc_lo, 0, v60, vcc_lo
	v_add_co_u32 v57, vcc_lo, v57, 4
	v_add_co_ci_u32_e32 v58, vcc_lo, 0, v58, vcc_lo
	s_add_u32 s12, s8, -1
	s_addc_u32 s13, s9, -1
	s_mov_b64 s[14:15], 0
	s_mov_b32 s19, 0
                                        ; implicit-def: $sgpr20
	s_set_inst_prefetch_distance 0x1
	s_branch .LBB1537_1149
	.p2align	6
.LBB1537_1147:                          ;   in Loop: Header=BB1537_1149 Depth=1
	global_load_b32 v59, v[57:58], off
	global_load_b32 v60, v[25:26], off
	v_add_co_u32 v25, vcc_lo, v25, 4
	v_add_co_ci_u32_e32 v26, vcc_lo, 0, v26, vcc_lo
	v_add_co_u32 v57, s0, v57, 4
	s_delay_alu instid0(VALU_DEP_1)
	v_add_co_ci_u32_e64 v58, s0, 0, v58, s0
	s_add_u32 s14, s14, 1
	s_addc_u32 s15, s15, 0
	s_and_not1_b32 s0, s20, exec_lo
	s_waitcnt vmcnt(0)
	v_cmp_ne_u32_e32 vcc_lo, v59, v60
	s_and_b32 s20, vcc_lo, exec_lo
	s_delay_alu instid0(SALU_CYCLE_1)
	s_or_b32 s20, s0, s20
.LBB1537_1148:                          ;   in Loop: Header=BB1537_1149 Depth=1
	v_dual_mov_b32 v60, s15 :: v_dual_mov_b32 v59, s14
	s_and_b32 s0, exec_lo, s20
	s_delay_alu instid0(SALU_CYCLE_1) | instskip(NEXT) | instid1(SALU_CYCLE_1)
	s_or_b32 s19, s0, s19
	s_and_not1_b32 exec_lo, exec_lo, s19
	s_cbranch_execz .LBB1537_1152
.LBB1537_1149:                          ; =>This Inner Loop Header: Depth=1
	s_or_b32 s20, s20, exec_lo
	s_cmp_eq_u64 s[12:13], s[14:15]
	s_cbranch_scc0 .LBB1537_1147
; %bb.1150:                             ;   in Loop: Header=BB1537_1149 Depth=1
	s_mov_b64 s[14:15], s[8:9]
                                        ; implicit-def: $vgpr25_vgpr26
                                        ; implicit-def: $vgpr57_vgpr58
	s_branch .LBB1537_1148
.LBB1537_1151:
	v_mov_b32_e32 v25, 0
	v_mov_b32_e32 v26, 0
	s_branch .LBB1537_1154
.LBB1537_1152:
	s_set_inst_prefetch_distance 0x2
	s_or_b32 exec_lo, exec_lo, s19
	v_cmp_gt_i64_e32 vcc_lo, s[8:9], v[59:60]
	s_mov_b32 s0, 0
	s_delay_alu instid0(SALU_CYCLE_1)
	v_mov_b32_e32 v26, s0
	v_cndmask_b32_e64 v25, 0, 1, vcc_lo
.LBB1537_1153:
	s_or_b32 exec_lo, exec_lo, s18
.LBB1537_1154:
	s_delay_alu instid0(SALU_CYCLE_1) | instskip(SKIP_2) | instid1(VALU_DEP_1)
	s_or_b32 exec_lo, exec_lo, s3
	v_add_nc_u32_e32 v57, 7, v64
	s_mov_b32 s3, exec_lo
	v_cmpx_gt_u32_e64 s6, v57
	s_cbranch_execz .LBB1537_1165
; %bb.1155:
	v_cmp_ne_u32_e32 vcc_lo, 1, v63
	s_cbranch_vccnz .LBB1537_1162
; %bb.1156:
	v_mul_lo_u32 v59, v24, s8
	v_mul_lo_u32 v60, v23, s9
	v_mad_u64_u32 v[57:58], null, v23, s8, 0
	v_mul_lo_u32 v61, v22, s8
	v_mul_lo_u32 v62, v21, s9
	v_mad_u64_u32 v[23:24], null, v21, s8, 0
	s_mov_b32 s18, exec_lo
	s_delay_alu instid0(VALU_DEP_4) | instskip(NEXT) | instid1(VALU_DEP_2)
	v_add3_u32 v58, v58, v60, v59
	v_add3_u32 v24, v24, v62, v61
	s_delay_alu instid0(VALU_DEP_2) | instskip(NEXT) | instid1(VALU_DEP_2)
	v_lshlrev_b64 v[57:58], 2, v[57:58]
	v_lshlrev_b64 v[23:24], 2, v[23:24]
	s_delay_alu instid0(VALU_DEP_2) | instskip(NEXT) | instid1(VALU_DEP_3)
	v_add_co_u32 v57, vcc_lo, s10, v57
	v_add_co_ci_u32_e32 v58, vcc_lo, s11, v58, vcc_lo
	s_delay_alu instid0(VALU_DEP_3) | instskip(NEXT) | instid1(VALU_DEP_4)
	v_add_co_u32 v59, vcc_lo, s10, v23
	v_add_co_ci_u32_e32 v60, vcc_lo, s11, v24, vcc_lo
	s_clause 0x1
	global_load_b32 v61, v[57:58], off
	global_load_b32 v62, v[59:60], off
	v_mov_b32_e32 v23, 1
	v_mov_b32_e32 v24, 0
	s_waitcnt vmcnt(0)
	v_cmpx_eq_u32_e64 v61, v62
	s_cbranch_execz .LBB1537_1164
; %bb.1157:
	v_add_co_u32 v23, vcc_lo, v59, 4
	v_add_co_ci_u32_e32 v24, vcc_lo, 0, v60, vcc_lo
	v_add_co_u32 v57, vcc_lo, v57, 4
	v_add_co_ci_u32_e32 v58, vcc_lo, 0, v58, vcc_lo
	s_add_u32 s12, s8, -1
	s_addc_u32 s13, s9, -1
	s_mov_b64 s[14:15], 0
	s_mov_b32 s19, 0
                                        ; implicit-def: $sgpr20
	s_set_inst_prefetch_distance 0x1
	s_branch .LBB1537_1160
	.p2align	6
.LBB1537_1158:                          ;   in Loop: Header=BB1537_1160 Depth=1
	global_load_b32 v59, v[57:58], off
	global_load_b32 v60, v[23:24], off
	v_add_co_u32 v23, vcc_lo, v23, 4
	v_add_co_ci_u32_e32 v24, vcc_lo, 0, v24, vcc_lo
	v_add_co_u32 v57, s0, v57, 4
	s_delay_alu instid0(VALU_DEP_1)
	v_add_co_ci_u32_e64 v58, s0, 0, v58, s0
	s_add_u32 s14, s14, 1
	s_addc_u32 s15, s15, 0
	s_and_not1_b32 s0, s20, exec_lo
	s_waitcnt vmcnt(0)
	v_cmp_ne_u32_e32 vcc_lo, v59, v60
	s_and_b32 s20, vcc_lo, exec_lo
	s_delay_alu instid0(SALU_CYCLE_1)
	s_or_b32 s20, s0, s20
.LBB1537_1159:                          ;   in Loop: Header=BB1537_1160 Depth=1
	v_dual_mov_b32 v60, s15 :: v_dual_mov_b32 v59, s14
	s_and_b32 s0, exec_lo, s20
	s_delay_alu instid0(SALU_CYCLE_1) | instskip(NEXT) | instid1(SALU_CYCLE_1)
	s_or_b32 s19, s0, s19
	s_and_not1_b32 exec_lo, exec_lo, s19
	s_cbranch_execz .LBB1537_1163
.LBB1537_1160:                          ; =>This Inner Loop Header: Depth=1
	s_or_b32 s20, s20, exec_lo
	s_cmp_eq_u64 s[12:13], s[14:15]
	s_cbranch_scc0 .LBB1537_1158
; %bb.1161:                             ;   in Loop: Header=BB1537_1160 Depth=1
	s_mov_b64 s[14:15], s[8:9]
                                        ; implicit-def: $vgpr23_vgpr24
                                        ; implicit-def: $vgpr57_vgpr58
	s_branch .LBB1537_1159
.LBB1537_1162:
	v_mov_b32_e32 v23, 0
	v_mov_b32_e32 v24, 0
	s_branch .LBB1537_1165
.LBB1537_1163:
	s_set_inst_prefetch_distance 0x2
	s_or_b32 exec_lo, exec_lo, s19
	v_cmp_gt_i64_e32 vcc_lo, s[8:9], v[59:60]
	s_mov_b32 s0, 0
	s_delay_alu instid0(SALU_CYCLE_1)
	v_mov_b32_e32 v24, s0
	v_cndmask_b32_e64 v23, 0, 1, vcc_lo
.LBB1537_1164:
	s_or_b32 exec_lo, exec_lo, s18
.LBB1537_1165:
	s_delay_alu instid0(SALU_CYCLE_1) | instskip(SKIP_2) | instid1(VALU_DEP_1)
	s_or_b32 exec_lo, exec_lo, s3
	v_add_nc_u32_e32 v57, 6, v64
	s_mov_b32 s3, exec_lo
	v_cmpx_gt_u32_e64 s6, v57
	s_cbranch_execz .LBB1537_1176
; %bb.1166:
	v_cmp_ne_u32_e32 vcc_lo, 1, v63
	s_cbranch_vccnz .LBB1537_1173
; %bb.1167:
	v_mul_lo_u32 v59, v22, s8
	v_mul_lo_u32 v60, v21, s9
	v_mad_u64_u32 v[57:58], null, v21, s8, 0
	v_mul_lo_u32 v61, v20, s8
	v_mul_lo_u32 v62, v19, s9
	v_mad_u64_u32 v[21:22], null, v19, s8, 0
	s_mov_b32 s18, exec_lo
	s_delay_alu instid0(VALU_DEP_4) | instskip(NEXT) | instid1(VALU_DEP_2)
	v_add3_u32 v58, v58, v60, v59
	v_add3_u32 v22, v22, v62, v61
	s_delay_alu instid0(VALU_DEP_2) | instskip(NEXT) | instid1(VALU_DEP_2)
	v_lshlrev_b64 v[57:58], 2, v[57:58]
	v_lshlrev_b64 v[21:22], 2, v[21:22]
	s_delay_alu instid0(VALU_DEP_2) | instskip(NEXT) | instid1(VALU_DEP_3)
	v_add_co_u32 v57, vcc_lo, s10, v57
	v_add_co_ci_u32_e32 v58, vcc_lo, s11, v58, vcc_lo
	s_delay_alu instid0(VALU_DEP_3) | instskip(NEXT) | instid1(VALU_DEP_4)
	v_add_co_u32 v59, vcc_lo, s10, v21
	v_add_co_ci_u32_e32 v60, vcc_lo, s11, v22, vcc_lo
	s_clause 0x1
	global_load_b32 v61, v[57:58], off
	global_load_b32 v62, v[59:60], off
	v_mov_b32_e32 v21, 1
	v_mov_b32_e32 v22, 0
	s_waitcnt vmcnt(0)
	v_cmpx_eq_u32_e64 v61, v62
	s_cbranch_execz .LBB1537_1175
; %bb.1168:
	v_add_co_u32 v21, vcc_lo, v59, 4
	v_add_co_ci_u32_e32 v22, vcc_lo, 0, v60, vcc_lo
	v_add_co_u32 v57, vcc_lo, v57, 4
	v_add_co_ci_u32_e32 v58, vcc_lo, 0, v58, vcc_lo
	s_add_u32 s12, s8, -1
	s_addc_u32 s13, s9, -1
	s_mov_b64 s[14:15], 0
	s_mov_b32 s19, 0
                                        ; implicit-def: $sgpr20
	s_set_inst_prefetch_distance 0x1
	s_branch .LBB1537_1171
	.p2align	6
.LBB1537_1169:                          ;   in Loop: Header=BB1537_1171 Depth=1
	global_load_b32 v59, v[57:58], off
	global_load_b32 v60, v[21:22], off
	v_add_co_u32 v21, vcc_lo, v21, 4
	v_add_co_ci_u32_e32 v22, vcc_lo, 0, v22, vcc_lo
	v_add_co_u32 v57, s0, v57, 4
	s_delay_alu instid0(VALU_DEP_1)
	v_add_co_ci_u32_e64 v58, s0, 0, v58, s0
	s_add_u32 s14, s14, 1
	s_addc_u32 s15, s15, 0
	s_and_not1_b32 s0, s20, exec_lo
	s_waitcnt vmcnt(0)
	v_cmp_ne_u32_e32 vcc_lo, v59, v60
	s_and_b32 s20, vcc_lo, exec_lo
	s_delay_alu instid0(SALU_CYCLE_1)
	s_or_b32 s20, s0, s20
.LBB1537_1170:                          ;   in Loop: Header=BB1537_1171 Depth=1
	v_dual_mov_b32 v60, s15 :: v_dual_mov_b32 v59, s14
	s_and_b32 s0, exec_lo, s20
	s_delay_alu instid0(SALU_CYCLE_1) | instskip(NEXT) | instid1(SALU_CYCLE_1)
	s_or_b32 s19, s0, s19
	s_and_not1_b32 exec_lo, exec_lo, s19
	s_cbranch_execz .LBB1537_1174
.LBB1537_1171:                          ; =>This Inner Loop Header: Depth=1
	s_or_b32 s20, s20, exec_lo
	s_cmp_eq_u64 s[12:13], s[14:15]
	s_cbranch_scc0 .LBB1537_1169
; %bb.1172:                             ;   in Loop: Header=BB1537_1171 Depth=1
	s_mov_b64 s[14:15], s[8:9]
                                        ; implicit-def: $vgpr21_vgpr22
                                        ; implicit-def: $vgpr57_vgpr58
	s_branch .LBB1537_1170
.LBB1537_1173:
	v_mov_b32_e32 v21, 0
	v_mov_b32_e32 v22, 0
	s_branch .LBB1537_1176
.LBB1537_1174:
	s_set_inst_prefetch_distance 0x2
	s_or_b32 exec_lo, exec_lo, s19
	v_cmp_gt_i64_e32 vcc_lo, s[8:9], v[59:60]
	s_mov_b32 s0, 0
	s_delay_alu instid0(SALU_CYCLE_1)
	v_mov_b32_e32 v22, s0
	v_cndmask_b32_e64 v21, 0, 1, vcc_lo
.LBB1537_1175:
	s_or_b32 exec_lo, exec_lo, s18
.LBB1537_1176:
	s_delay_alu instid0(SALU_CYCLE_1) | instskip(SKIP_2) | instid1(VALU_DEP_1)
	s_or_b32 exec_lo, exec_lo, s3
	v_add_nc_u32_e32 v57, 5, v64
	s_mov_b32 s3, exec_lo
	v_cmpx_gt_u32_e64 s6, v57
	s_cbranch_execz .LBB1537_1187
; %bb.1177:
	v_cmp_ne_u32_e32 vcc_lo, 1, v63
	s_cbranch_vccnz .LBB1537_1184
; %bb.1178:
	v_mul_lo_u32 v59, v20, s8
	v_mul_lo_u32 v60, v19, s9
	v_mad_u64_u32 v[57:58], null, v19, s8, 0
	v_mul_lo_u32 v61, v18, s8
	v_mul_lo_u32 v62, v17, s9
	v_mad_u64_u32 v[19:20], null, v17, s8, 0
	s_mov_b32 s18, exec_lo
	s_delay_alu instid0(VALU_DEP_4) | instskip(NEXT) | instid1(VALU_DEP_2)
	v_add3_u32 v58, v58, v60, v59
	v_add3_u32 v20, v20, v62, v61
	s_delay_alu instid0(VALU_DEP_2) | instskip(NEXT) | instid1(VALU_DEP_2)
	v_lshlrev_b64 v[57:58], 2, v[57:58]
	v_lshlrev_b64 v[19:20], 2, v[19:20]
	s_delay_alu instid0(VALU_DEP_2) | instskip(NEXT) | instid1(VALU_DEP_3)
	v_add_co_u32 v57, vcc_lo, s10, v57
	v_add_co_ci_u32_e32 v58, vcc_lo, s11, v58, vcc_lo
	s_delay_alu instid0(VALU_DEP_3) | instskip(NEXT) | instid1(VALU_DEP_4)
	v_add_co_u32 v59, vcc_lo, s10, v19
	v_add_co_ci_u32_e32 v60, vcc_lo, s11, v20, vcc_lo
	s_clause 0x1
	global_load_b32 v61, v[57:58], off
	global_load_b32 v62, v[59:60], off
	v_mov_b32_e32 v19, 1
	v_mov_b32_e32 v20, 0
	s_waitcnt vmcnt(0)
	v_cmpx_eq_u32_e64 v61, v62
	s_cbranch_execz .LBB1537_1186
; %bb.1179:
	v_add_co_u32 v19, vcc_lo, v59, 4
	v_add_co_ci_u32_e32 v20, vcc_lo, 0, v60, vcc_lo
	v_add_co_u32 v57, vcc_lo, v57, 4
	v_add_co_ci_u32_e32 v58, vcc_lo, 0, v58, vcc_lo
	s_add_u32 s12, s8, -1
	s_addc_u32 s13, s9, -1
	s_mov_b64 s[14:15], 0
	s_mov_b32 s19, 0
                                        ; implicit-def: $sgpr20
	s_set_inst_prefetch_distance 0x1
	s_branch .LBB1537_1182
	.p2align	6
.LBB1537_1180:                          ;   in Loop: Header=BB1537_1182 Depth=1
	global_load_b32 v59, v[57:58], off
	global_load_b32 v60, v[19:20], off
	v_add_co_u32 v19, vcc_lo, v19, 4
	v_add_co_ci_u32_e32 v20, vcc_lo, 0, v20, vcc_lo
	v_add_co_u32 v57, s0, v57, 4
	s_delay_alu instid0(VALU_DEP_1)
	v_add_co_ci_u32_e64 v58, s0, 0, v58, s0
	s_add_u32 s14, s14, 1
	s_addc_u32 s15, s15, 0
	s_and_not1_b32 s0, s20, exec_lo
	s_waitcnt vmcnt(0)
	v_cmp_ne_u32_e32 vcc_lo, v59, v60
	s_and_b32 s20, vcc_lo, exec_lo
	s_delay_alu instid0(SALU_CYCLE_1)
	s_or_b32 s20, s0, s20
.LBB1537_1181:                          ;   in Loop: Header=BB1537_1182 Depth=1
	v_dual_mov_b32 v60, s15 :: v_dual_mov_b32 v59, s14
	s_and_b32 s0, exec_lo, s20
	s_delay_alu instid0(SALU_CYCLE_1) | instskip(NEXT) | instid1(SALU_CYCLE_1)
	s_or_b32 s19, s0, s19
	s_and_not1_b32 exec_lo, exec_lo, s19
	s_cbranch_execz .LBB1537_1185
.LBB1537_1182:                          ; =>This Inner Loop Header: Depth=1
	s_or_b32 s20, s20, exec_lo
	s_cmp_eq_u64 s[12:13], s[14:15]
	s_cbranch_scc0 .LBB1537_1180
; %bb.1183:                             ;   in Loop: Header=BB1537_1182 Depth=1
	s_mov_b64 s[14:15], s[8:9]
                                        ; implicit-def: $vgpr19_vgpr20
                                        ; implicit-def: $vgpr57_vgpr58
	s_branch .LBB1537_1181
.LBB1537_1184:
	v_mov_b32_e32 v19, 0
	v_mov_b32_e32 v20, 0
	s_branch .LBB1537_1187
.LBB1537_1185:
	s_set_inst_prefetch_distance 0x2
	s_or_b32 exec_lo, exec_lo, s19
	v_cmp_gt_i64_e32 vcc_lo, s[8:9], v[59:60]
	s_mov_b32 s0, 0
	s_delay_alu instid0(SALU_CYCLE_1)
	v_mov_b32_e32 v20, s0
	v_cndmask_b32_e64 v19, 0, 1, vcc_lo
.LBB1537_1186:
	s_or_b32 exec_lo, exec_lo, s18
.LBB1537_1187:
	s_delay_alu instid0(SALU_CYCLE_1) | instskip(SKIP_2) | instid1(VALU_DEP_1)
	s_or_b32 exec_lo, exec_lo, s3
	v_add_nc_u32_e32 v57, 4, v64
	s_mov_b32 s3, exec_lo
	v_cmpx_gt_u32_e64 s6, v57
	s_cbranch_execz .LBB1537_1198
; %bb.1188:
	v_cmp_ne_u32_e32 vcc_lo, 1, v63
	s_cbranch_vccnz .LBB1537_1195
; %bb.1189:
	v_mul_lo_u32 v59, v18, s8
	v_mul_lo_u32 v60, v17, s9
	v_mad_u64_u32 v[57:58], null, v17, s8, 0
	v_mul_lo_u32 v61, v16, s8
	v_mul_lo_u32 v62, v15, s9
	v_mad_u64_u32 v[17:18], null, v15, s8, 0
	s_mov_b32 s18, exec_lo
	s_delay_alu instid0(VALU_DEP_4) | instskip(NEXT) | instid1(VALU_DEP_2)
	v_add3_u32 v58, v58, v60, v59
	v_add3_u32 v18, v18, v62, v61
	s_delay_alu instid0(VALU_DEP_2) | instskip(NEXT) | instid1(VALU_DEP_2)
	v_lshlrev_b64 v[57:58], 2, v[57:58]
	v_lshlrev_b64 v[17:18], 2, v[17:18]
	s_delay_alu instid0(VALU_DEP_2) | instskip(NEXT) | instid1(VALU_DEP_3)
	v_add_co_u32 v57, vcc_lo, s10, v57
	v_add_co_ci_u32_e32 v58, vcc_lo, s11, v58, vcc_lo
	s_delay_alu instid0(VALU_DEP_3) | instskip(NEXT) | instid1(VALU_DEP_4)
	v_add_co_u32 v59, vcc_lo, s10, v17
	v_add_co_ci_u32_e32 v60, vcc_lo, s11, v18, vcc_lo
	s_clause 0x1
	global_load_b32 v61, v[57:58], off
	global_load_b32 v62, v[59:60], off
	v_mov_b32_e32 v17, 1
	v_mov_b32_e32 v18, 0
	s_waitcnt vmcnt(0)
	v_cmpx_eq_u32_e64 v61, v62
	s_cbranch_execz .LBB1537_1197
; %bb.1190:
	v_add_co_u32 v17, vcc_lo, v59, 4
	v_add_co_ci_u32_e32 v18, vcc_lo, 0, v60, vcc_lo
	v_add_co_u32 v57, vcc_lo, v57, 4
	v_add_co_ci_u32_e32 v58, vcc_lo, 0, v58, vcc_lo
	s_add_u32 s12, s8, -1
	s_addc_u32 s13, s9, -1
	s_mov_b64 s[14:15], 0
	s_mov_b32 s19, 0
                                        ; implicit-def: $sgpr20
	s_set_inst_prefetch_distance 0x1
	s_branch .LBB1537_1193
	.p2align	6
.LBB1537_1191:                          ;   in Loop: Header=BB1537_1193 Depth=1
	global_load_b32 v59, v[57:58], off
	global_load_b32 v60, v[17:18], off
	v_add_co_u32 v17, vcc_lo, v17, 4
	v_add_co_ci_u32_e32 v18, vcc_lo, 0, v18, vcc_lo
	v_add_co_u32 v57, s0, v57, 4
	s_delay_alu instid0(VALU_DEP_1)
	v_add_co_ci_u32_e64 v58, s0, 0, v58, s0
	s_add_u32 s14, s14, 1
	s_addc_u32 s15, s15, 0
	s_and_not1_b32 s0, s20, exec_lo
	s_waitcnt vmcnt(0)
	v_cmp_ne_u32_e32 vcc_lo, v59, v60
	s_and_b32 s20, vcc_lo, exec_lo
	s_delay_alu instid0(SALU_CYCLE_1)
	s_or_b32 s20, s0, s20
.LBB1537_1192:                          ;   in Loop: Header=BB1537_1193 Depth=1
	v_dual_mov_b32 v60, s15 :: v_dual_mov_b32 v59, s14
	s_and_b32 s0, exec_lo, s20
	s_delay_alu instid0(SALU_CYCLE_1) | instskip(NEXT) | instid1(SALU_CYCLE_1)
	s_or_b32 s19, s0, s19
	s_and_not1_b32 exec_lo, exec_lo, s19
	s_cbranch_execz .LBB1537_1196
.LBB1537_1193:                          ; =>This Inner Loop Header: Depth=1
	s_or_b32 s20, s20, exec_lo
	s_cmp_eq_u64 s[12:13], s[14:15]
	s_cbranch_scc0 .LBB1537_1191
; %bb.1194:                             ;   in Loop: Header=BB1537_1193 Depth=1
	s_mov_b64 s[14:15], s[8:9]
                                        ; implicit-def: $vgpr17_vgpr18
                                        ; implicit-def: $vgpr57_vgpr58
	s_branch .LBB1537_1192
.LBB1537_1195:
	v_mov_b32_e32 v17, 0
	v_mov_b32_e32 v18, 0
	s_branch .LBB1537_1198
.LBB1537_1196:
	s_set_inst_prefetch_distance 0x2
	s_or_b32 exec_lo, exec_lo, s19
	v_cmp_gt_i64_e32 vcc_lo, s[8:9], v[59:60]
	s_mov_b32 s0, 0
	s_delay_alu instid0(SALU_CYCLE_1)
	v_mov_b32_e32 v18, s0
	v_cndmask_b32_e64 v17, 0, 1, vcc_lo
.LBB1537_1197:
	s_or_b32 exec_lo, exec_lo, s18
.LBB1537_1198:
	s_delay_alu instid0(SALU_CYCLE_1) | instskip(SKIP_2) | instid1(VALU_DEP_1)
	s_or_b32 exec_lo, exec_lo, s3
	v_add_nc_u32_e32 v57, 3, v64
	s_mov_b32 s3, exec_lo
	v_cmpx_gt_u32_e64 s6, v57
	s_cbranch_execz .LBB1537_1209
; %bb.1199:
	v_cmp_ne_u32_e32 vcc_lo, 1, v63
	s_cbranch_vccnz .LBB1537_1206
; %bb.1200:
	v_mul_lo_u32 v59, v16, s8
	v_mul_lo_u32 v60, v15, s9
	v_mad_u64_u32 v[57:58], null, v15, s8, 0
	v_mul_lo_u32 v61, v14, s8
	v_mul_lo_u32 v62, v13, s9
	v_mad_u64_u32 v[15:16], null, v13, s8, 0
	s_mov_b32 s18, exec_lo
	s_delay_alu instid0(VALU_DEP_4) | instskip(NEXT) | instid1(VALU_DEP_2)
	v_add3_u32 v58, v58, v60, v59
	v_add3_u32 v16, v16, v62, v61
	s_delay_alu instid0(VALU_DEP_2) | instskip(NEXT) | instid1(VALU_DEP_2)
	v_lshlrev_b64 v[57:58], 2, v[57:58]
	v_lshlrev_b64 v[15:16], 2, v[15:16]
	s_delay_alu instid0(VALU_DEP_2) | instskip(NEXT) | instid1(VALU_DEP_3)
	v_add_co_u32 v57, vcc_lo, s10, v57
	v_add_co_ci_u32_e32 v58, vcc_lo, s11, v58, vcc_lo
	s_delay_alu instid0(VALU_DEP_3) | instskip(NEXT) | instid1(VALU_DEP_4)
	v_add_co_u32 v59, vcc_lo, s10, v15
	v_add_co_ci_u32_e32 v60, vcc_lo, s11, v16, vcc_lo
	s_clause 0x1
	global_load_b32 v61, v[57:58], off
	global_load_b32 v62, v[59:60], off
	v_mov_b32_e32 v15, 1
	v_mov_b32_e32 v16, 0
	s_waitcnt vmcnt(0)
	v_cmpx_eq_u32_e64 v61, v62
	s_cbranch_execz .LBB1537_1208
; %bb.1201:
	v_add_co_u32 v15, vcc_lo, v59, 4
	v_add_co_ci_u32_e32 v16, vcc_lo, 0, v60, vcc_lo
	v_add_co_u32 v57, vcc_lo, v57, 4
	v_add_co_ci_u32_e32 v58, vcc_lo, 0, v58, vcc_lo
	s_add_u32 s12, s8, -1
	s_addc_u32 s13, s9, -1
	s_mov_b64 s[14:15], 0
	s_mov_b32 s19, 0
                                        ; implicit-def: $sgpr20
	s_set_inst_prefetch_distance 0x1
	s_branch .LBB1537_1204
	.p2align	6
.LBB1537_1202:                          ;   in Loop: Header=BB1537_1204 Depth=1
	global_load_b32 v59, v[57:58], off
	global_load_b32 v60, v[15:16], off
	v_add_co_u32 v15, vcc_lo, v15, 4
	v_add_co_ci_u32_e32 v16, vcc_lo, 0, v16, vcc_lo
	v_add_co_u32 v57, s0, v57, 4
	s_delay_alu instid0(VALU_DEP_1)
	v_add_co_ci_u32_e64 v58, s0, 0, v58, s0
	s_add_u32 s14, s14, 1
	s_addc_u32 s15, s15, 0
	s_and_not1_b32 s0, s20, exec_lo
	s_waitcnt vmcnt(0)
	v_cmp_ne_u32_e32 vcc_lo, v59, v60
	s_and_b32 s20, vcc_lo, exec_lo
	s_delay_alu instid0(SALU_CYCLE_1)
	s_or_b32 s20, s0, s20
.LBB1537_1203:                          ;   in Loop: Header=BB1537_1204 Depth=1
	v_dual_mov_b32 v60, s15 :: v_dual_mov_b32 v59, s14
	s_and_b32 s0, exec_lo, s20
	s_delay_alu instid0(SALU_CYCLE_1) | instskip(NEXT) | instid1(SALU_CYCLE_1)
	s_or_b32 s19, s0, s19
	s_and_not1_b32 exec_lo, exec_lo, s19
	s_cbranch_execz .LBB1537_1207
.LBB1537_1204:                          ; =>This Inner Loop Header: Depth=1
	s_or_b32 s20, s20, exec_lo
	s_cmp_eq_u64 s[12:13], s[14:15]
	s_cbranch_scc0 .LBB1537_1202
; %bb.1205:                             ;   in Loop: Header=BB1537_1204 Depth=1
	s_mov_b64 s[14:15], s[8:9]
                                        ; implicit-def: $vgpr15_vgpr16
                                        ; implicit-def: $vgpr57_vgpr58
	s_branch .LBB1537_1203
.LBB1537_1206:
	v_mov_b32_e32 v15, 0
	v_mov_b32_e32 v16, 0
	s_branch .LBB1537_1209
.LBB1537_1207:
	s_set_inst_prefetch_distance 0x2
	s_or_b32 exec_lo, exec_lo, s19
	v_cmp_gt_i64_e32 vcc_lo, s[8:9], v[59:60]
	s_mov_b32 s0, 0
	s_delay_alu instid0(SALU_CYCLE_1)
	v_mov_b32_e32 v16, s0
	v_cndmask_b32_e64 v15, 0, 1, vcc_lo
.LBB1537_1208:
	s_or_b32 exec_lo, exec_lo, s18
.LBB1537_1209:
	s_delay_alu instid0(SALU_CYCLE_1) | instskip(SKIP_2) | instid1(VALU_DEP_1)
	s_or_b32 exec_lo, exec_lo, s3
	v_add_nc_u32_e32 v57, 2, v64
	s_mov_b32 s3, exec_lo
	v_cmpx_gt_u32_e64 s6, v57
	s_cbranch_execz .LBB1537_1220
; %bb.1210:
	v_cmp_ne_u32_e32 vcc_lo, 1, v63
	s_cbranch_vccnz .LBB1537_1217
; %bb.1211:
	v_mul_lo_u32 v59, v14, s8
	v_mul_lo_u32 v60, v13, s9
	v_mad_u64_u32 v[57:58], null, v13, s8, 0
	v_mul_lo_u32 v61, v4, s8
	v_mul_lo_u32 v62, v3, s9
	v_mad_u64_u32 v[13:14], null, v3, s8, 0
	s_mov_b32 s18, exec_lo
	s_delay_alu instid0(VALU_DEP_4) | instskip(NEXT) | instid1(VALU_DEP_2)
	v_add3_u32 v58, v58, v60, v59
	v_add3_u32 v14, v14, v62, v61
	s_delay_alu instid0(VALU_DEP_2) | instskip(NEXT) | instid1(VALU_DEP_2)
	v_lshlrev_b64 v[57:58], 2, v[57:58]
	v_lshlrev_b64 v[13:14], 2, v[13:14]
	s_delay_alu instid0(VALU_DEP_2) | instskip(NEXT) | instid1(VALU_DEP_3)
	v_add_co_u32 v57, vcc_lo, s10, v57
	v_add_co_ci_u32_e32 v58, vcc_lo, s11, v58, vcc_lo
	s_delay_alu instid0(VALU_DEP_3) | instskip(NEXT) | instid1(VALU_DEP_4)
	v_add_co_u32 v59, vcc_lo, s10, v13
	v_add_co_ci_u32_e32 v60, vcc_lo, s11, v14, vcc_lo
	s_clause 0x1
	global_load_b32 v61, v[57:58], off
	global_load_b32 v62, v[59:60], off
	v_mov_b32_e32 v13, 1
	v_mov_b32_e32 v14, 0
	s_waitcnt vmcnt(0)
	v_cmpx_eq_u32_e64 v61, v62
	s_cbranch_execz .LBB1537_1219
; %bb.1212:
	v_add_co_u32 v13, vcc_lo, v59, 4
	v_add_co_ci_u32_e32 v14, vcc_lo, 0, v60, vcc_lo
	v_add_co_u32 v57, vcc_lo, v57, 4
	v_add_co_ci_u32_e32 v58, vcc_lo, 0, v58, vcc_lo
	s_add_u32 s12, s8, -1
	s_addc_u32 s13, s9, -1
	s_mov_b64 s[14:15], 0
	s_mov_b32 s19, 0
                                        ; implicit-def: $sgpr20
	s_set_inst_prefetch_distance 0x1
	s_branch .LBB1537_1215
	.p2align	6
.LBB1537_1213:                          ;   in Loop: Header=BB1537_1215 Depth=1
	global_load_b32 v59, v[57:58], off
	global_load_b32 v60, v[13:14], off
	v_add_co_u32 v13, vcc_lo, v13, 4
	v_add_co_ci_u32_e32 v14, vcc_lo, 0, v14, vcc_lo
	v_add_co_u32 v57, s0, v57, 4
	s_delay_alu instid0(VALU_DEP_1)
	v_add_co_ci_u32_e64 v58, s0, 0, v58, s0
	s_add_u32 s14, s14, 1
	s_addc_u32 s15, s15, 0
	s_and_not1_b32 s0, s20, exec_lo
	s_waitcnt vmcnt(0)
	v_cmp_ne_u32_e32 vcc_lo, v59, v60
	s_and_b32 s20, vcc_lo, exec_lo
	s_delay_alu instid0(SALU_CYCLE_1)
	s_or_b32 s20, s0, s20
.LBB1537_1214:                          ;   in Loop: Header=BB1537_1215 Depth=1
	v_dual_mov_b32 v60, s15 :: v_dual_mov_b32 v59, s14
	s_and_b32 s0, exec_lo, s20
	s_delay_alu instid0(SALU_CYCLE_1) | instskip(NEXT) | instid1(SALU_CYCLE_1)
	s_or_b32 s19, s0, s19
	s_and_not1_b32 exec_lo, exec_lo, s19
	s_cbranch_execz .LBB1537_1218
.LBB1537_1215:                          ; =>This Inner Loop Header: Depth=1
	s_or_b32 s20, s20, exec_lo
	s_cmp_eq_u64 s[12:13], s[14:15]
	s_cbranch_scc0 .LBB1537_1213
; %bb.1216:                             ;   in Loop: Header=BB1537_1215 Depth=1
	s_mov_b64 s[14:15], s[8:9]
                                        ; implicit-def: $vgpr13_vgpr14
                                        ; implicit-def: $vgpr57_vgpr58
	s_branch .LBB1537_1214
.LBB1537_1217:
	v_mov_b32_e32 v13, 0
	v_mov_b32_e32 v14, 0
	s_branch .LBB1537_1220
.LBB1537_1218:
	s_set_inst_prefetch_distance 0x2
	s_or_b32 exec_lo, exec_lo, s19
	v_cmp_gt_i64_e32 vcc_lo, s[8:9], v[59:60]
	s_mov_b32 s0, 0
	s_delay_alu instid0(SALU_CYCLE_1)
	v_mov_b32_e32 v14, s0
	v_cndmask_b32_e64 v13, 0, 1, vcc_lo
.LBB1537_1219:
	s_or_b32 exec_lo, exec_lo, s18
.LBB1537_1220:
	s_delay_alu instid0(SALU_CYCLE_1) | instskip(SKIP_2) | instid1(VALU_DEP_1)
	s_or_b32 exec_lo, exec_lo, s3
	v_add_nc_u32_e32 v57, 1, v64
	s_mov_b32 s3, exec_lo
	v_cmpx_gt_u32_e64 s6, v57
	s_cbranch_execz .LBB1537_1231
; %bb.1221:
	v_cmp_ne_u32_e32 vcc_lo, 1, v63
	s_cbranch_vccnz .LBB1537_1228
; %bb.1222:
	v_mul_lo_u32 v59, v4, s8
	v_mul_lo_u32 v60, v3, s9
	v_mad_u64_u32 v[57:58], null, v3, s8, 0
	v_mul_lo_u32 v61, v2, s8
	v_mul_lo_u32 v62, v1, s9
	v_mad_u64_u32 v[3:4], null, v1, s8, 0
	s_mov_b32 s18, exec_lo
	s_delay_alu instid0(VALU_DEP_4) | instskip(NEXT) | instid1(VALU_DEP_2)
	v_add3_u32 v58, v58, v60, v59
	v_add3_u32 v4, v4, v62, v61
	s_delay_alu instid0(VALU_DEP_2) | instskip(NEXT) | instid1(VALU_DEP_2)
	v_lshlrev_b64 v[57:58], 2, v[57:58]
	v_lshlrev_b64 v[3:4], 2, v[3:4]
	s_delay_alu instid0(VALU_DEP_2) | instskip(NEXT) | instid1(VALU_DEP_3)
	v_add_co_u32 v57, vcc_lo, s10, v57
	v_add_co_ci_u32_e32 v58, vcc_lo, s11, v58, vcc_lo
	s_delay_alu instid0(VALU_DEP_3) | instskip(NEXT) | instid1(VALU_DEP_4)
	v_add_co_u32 v59, vcc_lo, s10, v3
	v_add_co_ci_u32_e32 v60, vcc_lo, s11, v4, vcc_lo
	s_clause 0x1
	global_load_b32 v61, v[57:58], off
	global_load_b32 v62, v[59:60], off
	v_mov_b32_e32 v3, 1
	v_mov_b32_e32 v4, 0
	s_waitcnt vmcnt(0)
	v_cmpx_eq_u32_e64 v61, v62
	s_cbranch_execz .LBB1537_1230
; %bb.1223:
	v_add_co_u32 v3, vcc_lo, v59, 4
	v_add_co_ci_u32_e32 v4, vcc_lo, 0, v60, vcc_lo
	v_add_co_u32 v57, vcc_lo, v57, 4
	v_add_co_ci_u32_e32 v58, vcc_lo, 0, v58, vcc_lo
	s_add_u32 s12, s8, -1
	s_addc_u32 s13, s9, -1
	s_mov_b64 s[14:15], 0
	s_mov_b32 s19, 0
                                        ; implicit-def: $sgpr20
	s_set_inst_prefetch_distance 0x1
	s_branch .LBB1537_1226
	.p2align	6
.LBB1537_1224:                          ;   in Loop: Header=BB1537_1226 Depth=1
	global_load_b32 v59, v[57:58], off
	global_load_b32 v60, v[3:4], off
	v_add_co_u32 v3, vcc_lo, v3, 4
	v_add_co_ci_u32_e32 v4, vcc_lo, 0, v4, vcc_lo
	v_add_co_u32 v57, s0, v57, 4
	s_delay_alu instid0(VALU_DEP_1)
	v_add_co_ci_u32_e64 v58, s0, 0, v58, s0
	s_add_u32 s14, s14, 1
	s_addc_u32 s15, s15, 0
	s_and_not1_b32 s0, s20, exec_lo
	s_waitcnt vmcnt(0)
	v_cmp_ne_u32_e32 vcc_lo, v59, v60
	s_and_b32 s20, vcc_lo, exec_lo
	s_delay_alu instid0(SALU_CYCLE_1)
	s_or_b32 s20, s0, s20
.LBB1537_1225:                          ;   in Loop: Header=BB1537_1226 Depth=1
	v_dual_mov_b32 v60, s15 :: v_dual_mov_b32 v59, s14
	s_and_b32 s0, exec_lo, s20
	s_delay_alu instid0(SALU_CYCLE_1) | instskip(NEXT) | instid1(SALU_CYCLE_1)
	s_or_b32 s19, s0, s19
	s_and_not1_b32 exec_lo, exec_lo, s19
	s_cbranch_execz .LBB1537_1229
.LBB1537_1226:                          ; =>This Inner Loop Header: Depth=1
	s_or_b32 s20, s20, exec_lo
	s_cmp_eq_u64 s[12:13], s[14:15]
	s_cbranch_scc0 .LBB1537_1224
; %bb.1227:                             ;   in Loop: Header=BB1537_1226 Depth=1
	s_mov_b64 s[14:15], s[8:9]
                                        ; implicit-def: $vgpr3_vgpr4
                                        ; implicit-def: $vgpr57_vgpr58
	s_branch .LBB1537_1225
.LBB1537_1228:
	v_mov_b32_e32 v3, 0
	v_mov_b32_e32 v4, 0
	s_branch .LBB1537_1231
.LBB1537_1229:
	s_set_inst_prefetch_distance 0x2
	s_or_b32 exec_lo, exec_lo, s19
	v_cmp_gt_i64_e32 vcc_lo, s[8:9], v[59:60]
	s_mov_b32 s0, 0
	s_delay_alu instid0(SALU_CYCLE_1)
	v_mov_b32_e32 v4, s0
	v_cndmask_b32_e64 v3, 0, 1, vcc_lo
.LBB1537_1230:
	s_or_b32 exec_lo, exec_lo, s18
.LBB1537_1231:
	s_delay_alu instid0(SALU_CYCLE_1)
	s_or_b32 exec_lo, exec_lo, s3
	v_cmp_ne_u32_e32 vcc_lo, 0, v0
	v_cmp_gt_u32_e64 s0, s6, v64
	s_mov_b32 s12, 0
	s_waitcnt lgkmcnt(0)
	s_barrier
	buffer_gl0_inv
	s_and_b32 s13, vcc_lo, s0
                                        ; implicit-def: $sgpr0
	s_delay_alu instid0(SALU_CYCLE_1)
	s_and_saveexec_b32 s3, s13
	s_cbranch_execz .LBB1537_1242
; %bb.1232:
	v_cmp_ne_u32_e32 vcc_lo, 1, v63
	s_cbranch_vccnz .LBB1537_1241
; %bb.1233:
	v_add_nc_u32_e32 v57, -8, v195
	v_mul_lo_u32 v61, v2, s8
	v_mul_lo_u32 v62, v1, s9
	v_mad_u64_u32 v[59:60], null, v1, s8, 0
	ds_load_b64 v[57:58], v57
	s_mov_b32 s12, -1
	s_mov_b32 s14, exec_lo
	v_add3_u32 v60, v60, v62, v61
	s_waitcnt lgkmcnt(0)
	v_mul_lo_u32 v58, v58, s8
	v_mul_lo_u32 v63, v57, s9
	v_mad_u64_u32 v[1:2], null, v57, s8, 0
	s_delay_alu instid0(VALU_DEP_1) | instskip(SKIP_1) | instid1(VALU_DEP_2)
	v_add3_u32 v2, v2, v63, v58
	v_lshlrev_b64 v[57:58], 2, v[59:60]
	v_lshlrev_b64 v[1:2], 2, v[1:2]
	s_delay_alu instid0(VALU_DEP_2) | instskip(NEXT) | instid1(VALU_DEP_3)
	v_add_co_u32 v57, vcc_lo, s10, v57
	v_add_co_ci_u32_e32 v58, vcc_lo, s11, v58, vcc_lo
	s_delay_alu instid0(VALU_DEP_3) | instskip(NEXT) | instid1(VALU_DEP_4)
	v_add_co_u32 v1, vcc_lo, s10, v1
	v_add_co_ci_u32_e32 v2, vcc_lo, s11, v2, vcc_lo
	s_clause 0x1
	global_load_b32 v59, v[57:58], off
	global_load_b32 v60, v[1:2], off
	s_waitcnt vmcnt(0)
	v_cmpx_eq_u32_e64 v59, v60
	s_cbranch_execz .LBB1537_1240
; %bb.1234:
	v_add_co_u32 v1, vcc_lo, v1, 4
	v_add_co_ci_u32_e32 v2, vcc_lo, 0, v2, vcc_lo
	v_add_co_u32 v57, vcc_lo, v57, 4
	v_add_co_ci_u32_e32 v58, vcc_lo, 0, v58, vcc_lo
	s_add_u32 s10, s8, -1
	s_addc_u32 s11, s9, -1
	s_mov_b64 s[12:13], 0
	s_mov_b32 s15, 0
                                        ; implicit-def: $sgpr18
	s_set_inst_prefetch_distance 0x1
	s_branch .LBB1537_1237
	.p2align	6
.LBB1537_1235:                          ;   in Loop: Header=BB1537_1237 Depth=1
	global_load_b32 v59, v[57:58], off
	global_load_b32 v60, v[1:2], off
	v_add_co_u32 v1, vcc_lo, v1, 4
	v_add_co_ci_u32_e32 v2, vcc_lo, 0, v2, vcc_lo
	v_add_co_u32 v57, s0, v57, 4
	s_delay_alu instid0(VALU_DEP_1)
	v_add_co_ci_u32_e64 v58, s0, 0, v58, s0
	s_add_u32 s12, s12, 1
	s_addc_u32 s13, s13, 0
	s_and_not1_b32 s0, s18, exec_lo
	s_waitcnt vmcnt(0)
	v_cmp_ne_u32_e32 vcc_lo, v59, v60
	s_and_b32 s18, vcc_lo, exec_lo
	s_delay_alu instid0(SALU_CYCLE_1)
	s_or_b32 s18, s0, s18
.LBB1537_1236:                          ;   in Loop: Header=BB1537_1237 Depth=1
	v_dual_mov_b32 v60, s13 :: v_dual_mov_b32 v59, s12
	s_and_b32 s0, exec_lo, s18
	s_delay_alu instid0(SALU_CYCLE_1) | instskip(NEXT) | instid1(SALU_CYCLE_1)
	s_or_b32 s15, s0, s15
	s_and_not1_b32 exec_lo, exec_lo, s15
	s_cbranch_execz .LBB1537_1239
.LBB1537_1237:                          ; =>This Inner Loop Header: Depth=1
	s_or_b32 s18, s18, exec_lo
	s_cmp_eq_u64 s[10:11], s[12:13]
	s_cbranch_scc0 .LBB1537_1235
; %bb.1238:                             ;   in Loop: Header=BB1537_1237 Depth=1
	s_mov_b64 s[12:13], s[8:9]
                                        ; implicit-def: $vgpr1_vgpr2
                                        ; implicit-def: $vgpr57_vgpr58
	s_branch .LBB1537_1236
.LBB1537_1239:
	s_set_inst_prefetch_distance 0x2
	s_or_b32 exec_lo, exec_lo, s15
	v_cmp_gt_i64_e32 vcc_lo, s[8:9], v[59:60]
	s_or_not1_b32 s12, vcc_lo, exec_lo
.LBB1537_1240:
	s_or_b32 exec_lo, exec_lo, s14
.LBB1537_1241:
	s_delay_alu instid0(SALU_CYCLE_1)
	s_and_b32 s0, s12, exec_lo
	s_or_b32 s1, s1, exec_lo
.LBB1537_1242:
	s_or_b32 exec_lo, exec_lo, s3
	v_dual_mov_b32 v166, v4 :: v_dual_mov_b32 v165, v3
	v_dual_mov_b32 v164, v14 :: v_dual_mov_b32 v163, v13
	;; [unrolled: 1-line block ×55, first 2 shown]
.LBB1537_1243:
	s_and_saveexec_b32 s3, s1
	s_cbranch_execz .LBB1537_1245
; %bb.1244:
	s_mov_b32 s1, 0
	v_dual_mov_b32 v194, v114 :: v_dual_mov_b32 v63, v117
	v_dual_mov_b32 v2, s1 :: v_dual_mov_b32 v59, v115
	;; [unrolled: 1-line block ×13, first 2 shown]
	v_mov_b32_e32 v168, v164
	v_dual_mov_b32 v182, v166 :: v_dual_mov_b32 v181, v165
	v_cndmask_b32_e64 v1, 0, 1, s0
	v_dual_mov_b32 v60, v116 :: v_dual_mov_b32 v193, v113
	v_dual_mov_b32 v64, v118 :: v_dual_mov_b32 v191, v119
	;; [unrolled: 1-line block ×13, first 2 shown]
.LBB1537_1245:
	s_or_b32 exec_lo, exec_lo, s3
	v_mul_u32_u24_e32 v65, 0xe8, v0
	v_mul_i32_i24_e32 v66, 0xffffff20, v0
	s_add_u32 s8, s4, s16
	s_addc_u32 s4, s5, s17
	s_and_b32 vcc_lo, exec_lo, s26
	s_waitcnt lgkmcnt(0)
	s_barrier
	buffer_gl0_inv
	s_cbranch_vccz .LBB1537_1303
; %bb.1246:
	v_dual_mov_b32 v3, v181 :: v_dual_mov_b32 v4, v182
	s_mov_b32 s3, 0
	ds_store_2addr_b64 v65, v[169:170], v[103:104] offset0:4 offset1:5
	ds_store_2addr_b64 v65, v[171:172], v[99:100] offset0:6 offset1:7
	ds_store_2addr_b64 v65, v[1:2], v[3:4] offset1:1
	ds_store_2addr_b64 v65, v[167:168], v[107:108] offset0:2 offset1:3
	ds_store_2addr_b64 v65, v[173:174], v[95:96] offset0:8 offset1:9
	;; [unrolled: 1-line block ×11, first 2 shown]
	v_mad_u32_u24 v3, 0xe8, v0, v66
	ds_store_b64 v65, v[111:112] offset:224
	s_waitcnt lgkmcnt(0)
	s_barrier
	buffer_gl0_inv
	ds_load_2addr_stride64_b64 v[55:58], v3 offset0:2 offset1:4
	ds_load_2addr_stride64_b64 v[51:54], v3 offset0:6 offset1:8
	;; [unrolled: 1-line block ×14, first 2 shown]
	s_lshl_b64 s[0:1], s[2:3], 3
	s_add_i32 s7, s7, s6
	s_add_u32 s0, s8, s0
	s_addc_u32 s1, s4, s1
	v_add_co_u32 v61, s0, s0, v195
	s_delay_alu instid0(VALU_DEP_1)
	v_add_co_ci_u32_e64 v62, null, s1, 0, s0
	s_mov_b32 s0, exec_lo
	v_cmpx_gt_u32_e64 s7, v0
	s_cbranch_execz .LBB1537_1248
; %bb.1247:
	v_add_nc_u32_e32 v69, v65, v66
	ds_load_b64 v[69:70], v69
	s_waitcnt lgkmcnt(0)
	global_store_b64 v[61:62], v[69:70], off
.LBB1537_1248:
	s_or_b32 exec_lo, exec_lo, s0
	v_or_b32_e32 v69, 0x80, v0
	s_mov_b32 s0, exec_lo
	s_delay_alu instid0(VALU_DEP_1)
	v_cmpx_gt_u32_e64 s7, v69
	s_cbranch_execz .LBB1537_1250
; %bb.1249:
	s_waitcnt lgkmcnt(13)
	global_store_b64 v[61:62], v[55:56], off offset:1024
.LBB1537_1250:
	s_or_b32 exec_lo, exec_lo, s0
	s_waitcnt lgkmcnt(13)
	v_or_b32_e32 v55, 0x100, v0
	s_mov_b32 s0, exec_lo
	s_delay_alu instid0(VALU_DEP_1)
	v_cmpx_gt_u32_e64 s7, v55
	s_cbranch_execz .LBB1537_1252
; %bb.1251:
	global_store_b64 v[61:62], v[57:58], off offset:2048
.LBB1537_1252:
	s_or_b32 exec_lo, exec_lo, s0
	v_or_b32_e32 v55, 0x180, v0
	s_mov_b32 s0, exec_lo
	s_delay_alu instid0(VALU_DEP_1)
	v_cmpx_gt_u32_e64 s7, v55
	s_cbranch_execz .LBB1537_1254
; %bb.1253:
	s_waitcnt lgkmcnt(12)
	global_store_b64 v[61:62], v[51:52], off offset:3072
.LBB1537_1254:
	s_or_b32 exec_lo, exec_lo, s0
	s_waitcnt lgkmcnt(12)
	v_or_b32_e32 v51, 0x200, v0
	s_mov_b32 s0, exec_lo
	s_delay_alu instid0(VALU_DEP_1)
	v_cmpx_gt_u32_e64 s7, v51
	s_cbranch_execz .LBB1537_1256
; %bb.1255:
	v_add_co_u32 v51, vcc_lo, 0x1000, v61
	v_add_co_ci_u32_e32 v52, vcc_lo, 0, v62, vcc_lo
	global_store_b64 v[51:52], v[53:54], off
.LBB1537_1256:
	s_or_b32 exec_lo, exec_lo, s0
	v_or_b32_e32 v51, 0x280, v0
	s_mov_b32 s0, exec_lo
	s_delay_alu instid0(VALU_DEP_1)
	v_cmpx_gt_u32_e64 s7, v51
	s_cbranch_execz .LBB1537_1258
; %bb.1257:
	v_add_co_u32 v51, vcc_lo, 0x1000, v61
	v_add_co_ci_u32_e32 v52, vcc_lo, 0, v62, vcc_lo
	s_waitcnt lgkmcnt(11)
	global_store_b64 v[51:52], v[47:48], off offset:1024
.LBB1537_1258:
	s_or_b32 exec_lo, exec_lo, s0
	s_waitcnt lgkmcnt(11)
	v_or_b32_e32 v47, 0x300, v0
	s_mov_b32 s0, exec_lo
	s_delay_alu instid0(VALU_DEP_1)
	v_cmpx_gt_u32_e64 s7, v47
	s_cbranch_execz .LBB1537_1260
; %bb.1259:
	v_add_co_u32 v47, vcc_lo, 0x1000, v61
	v_add_co_ci_u32_e32 v48, vcc_lo, 0, v62, vcc_lo
	global_store_b64 v[47:48], v[49:50], off offset:2048
.LBB1537_1260:
	s_or_b32 exec_lo, exec_lo, s0
	v_or_b32_e32 v47, 0x380, v0
	s_mov_b32 s0, exec_lo
	s_delay_alu instid0(VALU_DEP_1)
	v_cmpx_gt_u32_e64 s7, v47
	s_cbranch_execz .LBB1537_1262
; %bb.1261:
	v_add_co_u32 v47, vcc_lo, 0x1000, v61
	v_add_co_ci_u32_e32 v48, vcc_lo, 0, v62, vcc_lo
	s_waitcnt lgkmcnt(10)
	global_store_b64 v[47:48], v[43:44], off offset:3072
.LBB1537_1262:
	s_or_b32 exec_lo, exec_lo, s0
	s_waitcnt lgkmcnt(10)
	v_or_b32_e32 v43, 0x400, v0
	s_mov_b32 s0, exec_lo
	s_delay_alu instid0(VALU_DEP_1)
	v_cmpx_gt_u32_e64 s7, v43
	s_cbranch_execz .LBB1537_1264
; %bb.1263:
	v_add_co_u32 v43, vcc_lo, 0x2000, v61
	v_add_co_ci_u32_e32 v44, vcc_lo, 0, v62, vcc_lo
	global_store_b64 v[43:44], v[45:46], off
.LBB1537_1264:
	s_or_b32 exec_lo, exec_lo, s0
	v_or_b32_e32 v43, 0x480, v0
	s_mov_b32 s0, exec_lo
	s_delay_alu instid0(VALU_DEP_1)
	v_cmpx_gt_u32_e64 s7, v43
	s_cbranch_execz .LBB1537_1266
; %bb.1265:
	v_add_co_u32 v43, vcc_lo, 0x2000, v61
	v_add_co_ci_u32_e32 v44, vcc_lo, 0, v62, vcc_lo
	s_waitcnt lgkmcnt(9)
	global_store_b64 v[43:44], v[39:40], off offset:1024
.LBB1537_1266:
	s_or_b32 exec_lo, exec_lo, s0
	s_waitcnt lgkmcnt(9)
	v_or_b32_e32 v39, 0x500, v0
	s_mov_b32 s0, exec_lo
	s_delay_alu instid0(VALU_DEP_1)
	v_cmpx_gt_u32_e64 s7, v39
	s_cbranch_execz .LBB1537_1268
; %bb.1267:
	v_add_co_u32 v39, vcc_lo, 0x2000, v61
	v_add_co_ci_u32_e32 v40, vcc_lo, 0, v62, vcc_lo
	global_store_b64 v[39:40], v[41:42], off offset:2048
.LBB1537_1268:
	s_or_b32 exec_lo, exec_lo, s0
	v_or_b32_e32 v39, 0x580, v0
	s_mov_b32 s0, exec_lo
	s_delay_alu instid0(VALU_DEP_1)
	v_cmpx_gt_u32_e64 s7, v39
	s_cbranch_execz .LBB1537_1270
; %bb.1269:
	v_add_co_u32 v39, vcc_lo, 0x2000, v61
	v_add_co_ci_u32_e32 v40, vcc_lo, 0, v62, vcc_lo
	s_waitcnt lgkmcnt(8)
	global_store_b64 v[39:40], v[35:36], off offset:3072
.LBB1537_1270:
	;; [unrolled: 48-line block ×6, first 2 shown]
	s_or_b32 exec_lo, exec_lo, s0
	s_waitcnt lgkmcnt(0)
	v_or_b32_e32 v3, 0xe00, v0
	s_delay_alu instid0(VALU_DEP_1)
	v_cmp_gt_u32_e64 s5, s7, v3
	s_branch .LBB1537_1305
.LBB1537_1303:
	s_mov_b32 s5, 0
                                        ; implicit-def: $vgpr5_vgpr6
                                        ; implicit-def: $vgpr61_vgpr62
	s_cbranch_execz .LBB1537_1305
; %bb.1304:
	v_mad_u32_u24 v4, 0xe8, v0, v66
	ds_store_2addr_b64 v65, v[1:2], v[181:182] offset1:1
	ds_store_2addr_b64 v65, v[167:168], v[107:108] offset0:2 offset1:3
	ds_store_2addr_b64 v65, v[169:170], v[103:104] offset0:4 offset1:5
	;; [unrolled: 1-line block ×13, first 2 shown]
	ds_store_b64 v65, v[111:112] offset:224
	s_waitcnt lgkmcnt(0)
	s_waitcnt_vscnt null, 0x0
	s_barrier
	buffer_gl0_inv
	ds_load_2addr_stride64_b64 v[0:3], v4 offset1:2
	s_mov_b32 s3, 0
	ds_load_2addr_stride64_b64 v[7:10], v4 offset0:4 offset1:6
	ds_load_2addr_stride64_b64 v[11:14], v4 offset0:8 offset1:10
	ds_load_2addr_stride64_b64 v[15:18], v4 offset0:12 offset1:14
	ds_load_2addr_stride64_b64 v[19:22], v4 offset0:16 offset1:18
	ds_load_2addr_stride64_b64 v[23:26], v4 offset0:20 offset1:22
	ds_load_2addr_stride64_b64 v[27:30], v4 offset0:24 offset1:26
	ds_load_2addr_stride64_b64 v[31:34], v4 offset0:28 offset1:30
	ds_load_2addr_stride64_b64 v[35:38], v4 offset0:32 offset1:34
	ds_load_2addr_stride64_b64 v[39:42], v4 offset0:36 offset1:38
	ds_load_2addr_stride64_b64 v[43:46], v4 offset0:40 offset1:42
	ds_load_2addr_stride64_b64 v[47:50], v4 offset0:44 offset1:46
	ds_load_2addr_stride64_b64 v[51:54], v4 offset0:48 offset1:50
	ds_load_2addr_stride64_b64 v[55:58], v4 offset0:52 offset1:54
	ds_load_b64 v[5:6], v4 offset:28672
	s_lshl_b64 s[0:1], s[2:3], 3
	s_delay_alu instid0(SALU_CYCLE_1) | instskip(SKIP_2) | instid1(VALU_DEP_1)
	s_add_u32 s0, s8, s0
	s_addc_u32 s1, s4, s1
	v_add_co_u32 v61, s2, s0, v195
	v_add_co_ci_u32_e64 v62, null, s1, 0, s2
	s_or_b32 s5, s5, exec_lo
	s_waitcnt lgkmcnt(14)
	s_clause 0x1
	global_store_b64 v195, v[0:1], s[0:1]
	global_store_b64 v195, v[2:3], s[0:1] offset:1024
	s_waitcnt lgkmcnt(13)
	s_clause 0x1
	global_store_b64 v195, v[7:8], s[0:1] offset:2048
	global_store_b64 v195, v[9:10], s[0:1] offset:3072
	v_add_co_u32 v0, vcc_lo, 0x1000, v61
	v_add_co_ci_u32_e32 v1, vcc_lo, 0, v62, vcc_lo
	v_add_co_u32 v2, vcc_lo, v61, 0x2000
	v_add_co_ci_u32_e32 v3, vcc_lo, 0, v62, vcc_lo
	;; [unrolled: 2-line block ×3, first 2 shown]
	s_waitcnt lgkmcnt(10)
	s_clause 0x4
	global_store_b64 v[2:3], v[19:20], off
	global_store_b64 v[0:1], v[13:14], off offset:1024
	global_store_b64 v[0:1], v[15:16], off offset:2048
	;; [unrolled: 1-line block ×4, first 2 shown]
	v_add_co_u32 v0, vcc_lo, 0x3000, v61
	v_add_co_ci_u32_e32 v1, vcc_lo, 0, v62, vcc_lo
	v_add_co_u32 v9, vcc_lo, v61, 0x4000
	v_add_co_ci_u32_e32 v10, vcc_lo, 0, v62, vcc_lo
	v_add_co_u32 v13, vcc_lo, 0x4000, v61
	v_add_co_ci_u32_e32 v14, vcc_lo, 0, v62, vcc_lo
	s_waitcnt lgkmcnt(9)
	s_clause 0x1
	global_store_b64 v[7:8], v[23:24], off offset:2048
	global_store_b64 v[7:8], v[25:26], off offset:3072
	s_waitcnt lgkmcnt(8)
	global_store_b64 v[0:1], v[29:30], off offset:1024
	s_waitcnt lgkmcnt(7)
	s_clause 0x1
	global_store_b64 v[0:1], v[31:32], off offset:2048
	global_store_b64 v[0:1], v[33:34], off offset:3072
	s_waitcnt lgkmcnt(6)
	global_store_b64 v[13:14], v[37:38], off offset:1024
	s_waitcnt lgkmcnt(5)
	s_clause 0x1
	global_store_b64 v[13:14], v[39:40], off offset:2048
	global_store_b64 v[13:14], v[41:42], off offset:3072
	v_add_co_u32 v0, vcc_lo, 0x5000, v61
	v_add_co_ci_u32_e32 v1, vcc_lo, 0, v62, vcc_lo
	v_add_co_u32 v7, vcc_lo, v61, 0x6000
	v_add_co_ci_u32_e32 v8, vcc_lo, 0, v62, vcc_lo
	;; [unrolled: 2-line block ×3, first 2 shown]
	s_clause 0x1
	global_store_b64 v[9:10], v[27:28], off offset:-4096
	global_store_b64 v[9:10], v[35:36], off
	s_waitcnt lgkmcnt(4)
	global_store_b64 v[7:8], v[43:44], off offset:-4096
	s_waitcnt lgkmcnt(2)
	s_clause 0x4
	global_store_b64 v[7:8], v[51:52], off
	global_store_b64 v[0:1], v[45:46], off offset:1024
	global_store_b64 v[0:1], v[47:48], off offset:2048
	;; [unrolled: 1-line block ×4, first 2 shown]
	s_waitcnt lgkmcnt(1)
	s_clause 0x2
	global_store_b64 v[13:14], v[55:56], off offset:2048
	global_store_b64 v[2:3], v[11:12], off offset:-4096
	global_store_b64 v[13:14], v[57:58], off offset:3072
.LBB1537_1305:
	s_delay_alu instid0(VALU_DEP_1)
	s_and_saveexec_b32 s0, s5
	s_cbranch_execnz .LBB1537_1307
; %bb.1306:
	s_nop 0
	s_sendmsg sendmsg(MSG_DEALLOC_VGPRS)
	s_endpgm
.LBB1537_1307:
	v_add_co_u32 v0, vcc_lo, 0x7000, v61
	v_add_co_ci_u32_e32 v1, vcc_lo, 0, v62, vcc_lo
	s_waitcnt lgkmcnt(0)
	global_store_b64 v[0:1], v[5:6], off
	s_nop 0
	s_sendmsg sendmsg(MSG_DEALLOC_VGPRS)
	s_endpgm
	.section	.rodata,"a",@progbits
	.p2align	6, 0x0
	.amdhsa_kernel _ZN7rocprim17ROCPRIM_400000_NS6detail17trampoline_kernelINS0_14default_configENS1_35adjacent_difference_config_selectorILb1ElEEZNS1_24adjacent_difference_implIS3_Lb1ELb0EPlS7_ZN2at6native12_GLOBAL__N_124unique_dim_cuda_templateIjEESt5tupleIJNS8_6TensorESD_SD_EERKSD_lbbbEUlllE1_EE10hipError_tPvRmT2_T3_mT4_P12ihipStream_tbEUlT_E_NS1_11comp_targetILNS1_3genE9ELNS1_11target_archE1100ELNS1_3gpuE3ELNS1_3repE0EEENS1_30default_config_static_selectorELNS0_4arch9wavefront6targetE0EEEvT1_
		.amdhsa_group_segment_fixed_size 29696
		.amdhsa_private_segment_fixed_size 0
		.amdhsa_kernarg_size 64
		.amdhsa_user_sgpr_count 15
		.amdhsa_user_sgpr_dispatch_ptr 0
		.amdhsa_user_sgpr_queue_ptr 0
		.amdhsa_user_sgpr_kernarg_segment_ptr 1
		.amdhsa_user_sgpr_dispatch_id 0
		.amdhsa_user_sgpr_private_segment_size 0
		.amdhsa_wavefront_size32 1
		.amdhsa_uses_dynamic_stack 0
		.amdhsa_enable_private_segment 0
		.amdhsa_system_sgpr_workgroup_id_x 1
		.amdhsa_system_sgpr_workgroup_id_y 0
		.amdhsa_system_sgpr_workgroup_id_z 0
		.amdhsa_system_sgpr_workgroup_info 0
		.amdhsa_system_vgpr_workitem_id 0
		.amdhsa_next_free_vgpr 196
		.amdhsa_next_free_sgpr 30
		.amdhsa_reserve_vcc 1
		.amdhsa_float_round_mode_32 0
		.amdhsa_float_round_mode_16_64 0
		.amdhsa_float_denorm_mode_32 3
		.amdhsa_float_denorm_mode_16_64 3
		.amdhsa_dx10_clamp 1
		.amdhsa_ieee_mode 1
		.amdhsa_fp16_overflow 0
		.amdhsa_workgroup_processor_mode 1
		.amdhsa_memory_ordered 1
		.amdhsa_forward_progress 0
		.amdhsa_shared_vgpr_count 0
		.amdhsa_exception_fp_ieee_invalid_op 0
		.amdhsa_exception_fp_denorm_src 0
		.amdhsa_exception_fp_ieee_div_zero 0
		.amdhsa_exception_fp_ieee_overflow 0
		.amdhsa_exception_fp_ieee_underflow 0
		.amdhsa_exception_fp_ieee_inexact 0
		.amdhsa_exception_int_div_zero 0
	.end_amdhsa_kernel
	.section	.text._ZN7rocprim17ROCPRIM_400000_NS6detail17trampoline_kernelINS0_14default_configENS1_35adjacent_difference_config_selectorILb1ElEEZNS1_24adjacent_difference_implIS3_Lb1ELb0EPlS7_ZN2at6native12_GLOBAL__N_124unique_dim_cuda_templateIjEESt5tupleIJNS8_6TensorESD_SD_EERKSD_lbbbEUlllE1_EE10hipError_tPvRmT2_T3_mT4_P12ihipStream_tbEUlT_E_NS1_11comp_targetILNS1_3genE9ELNS1_11target_archE1100ELNS1_3gpuE3ELNS1_3repE0EEENS1_30default_config_static_selectorELNS0_4arch9wavefront6targetE0EEEvT1_,"axG",@progbits,_ZN7rocprim17ROCPRIM_400000_NS6detail17trampoline_kernelINS0_14default_configENS1_35adjacent_difference_config_selectorILb1ElEEZNS1_24adjacent_difference_implIS3_Lb1ELb0EPlS7_ZN2at6native12_GLOBAL__N_124unique_dim_cuda_templateIjEESt5tupleIJNS8_6TensorESD_SD_EERKSD_lbbbEUlllE1_EE10hipError_tPvRmT2_T3_mT4_P12ihipStream_tbEUlT_E_NS1_11comp_targetILNS1_3genE9ELNS1_11target_archE1100ELNS1_3gpuE3ELNS1_3repE0EEENS1_30default_config_static_selectorELNS0_4arch9wavefront6targetE0EEEvT1_,comdat
.Lfunc_end1537:
	.size	_ZN7rocprim17ROCPRIM_400000_NS6detail17trampoline_kernelINS0_14default_configENS1_35adjacent_difference_config_selectorILb1ElEEZNS1_24adjacent_difference_implIS3_Lb1ELb0EPlS7_ZN2at6native12_GLOBAL__N_124unique_dim_cuda_templateIjEESt5tupleIJNS8_6TensorESD_SD_EERKSD_lbbbEUlllE1_EE10hipError_tPvRmT2_T3_mT4_P12ihipStream_tbEUlT_E_NS1_11comp_targetILNS1_3genE9ELNS1_11target_archE1100ELNS1_3gpuE3ELNS1_3repE0EEENS1_30default_config_static_selectorELNS0_4arch9wavefront6targetE0EEEvT1_, .Lfunc_end1537-_ZN7rocprim17ROCPRIM_400000_NS6detail17trampoline_kernelINS0_14default_configENS1_35adjacent_difference_config_selectorILb1ElEEZNS1_24adjacent_difference_implIS3_Lb1ELb0EPlS7_ZN2at6native12_GLOBAL__N_124unique_dim_cuda_templateIjEESt5tupleIJNS8_6TensorESD_SD_EERKSD_lbbbEUlllE1_EE10hipError_tPvRmT2_T3_mT4_P12ihipStream_tbEUlT_E_NS1_11comp_targetILNS1_3genE9ELNS1_11target_archE1100ELNS1_3gpuE3ELNS1_3repE0EEENS1_30default_config_static_selectorELNS0_4arch9wavefront6targetE0EEEvT1_
                                        ; -- End function
	.section	.AMDGPU.csdata,"",@progbits
; Kernel info:
; codeLenInByte = 52496
; NumSgprs: 32
; NumVgprs: 196
; ScratchSize: 0
; MemoryBound: 0
; FloatMode: 240
; IeeeMode: 1
; LDSByteSize: 29696 bytes/workgroup (compile time only)
; SGPRBlocks: 3
; VGPRBlocks: 24
; NumSGPRsForWavesPerEU: 32
; NumVGPRsForWavesPerEU: 196
; Occupancy: 4
; WaveLimiterHint : 1
; COMPUTE_PGM_RSRC2:SCRATCH_EN: 0
; COMPUTE_PGM_RSRC2:USER_SGPR: 15
; COMPUTE_PGM_RSRC2:TRAP_HANDLER: 0
; COMPUTE_PGM_RSRC2:TGID_X_EN: 1
; COMPUTE_PGM_RSRC2:TGID_Y_EN: 0
; COMPUTE_PGM_RSRC2:TGID_Z_EN: 0
; COMPUTE_PGM_RSRC2:TIDIG_COMP_CNT: 0
	.section	.text._ZN7rocprim17ROCPRIM_400000_NS6detail17trampoline_kernelINS0_14default_configENS1_35adjacent_difference_config_selectorILb1ElEEZNS1_24adjacent_difference_implIS3_Lb1ELb0EPlS7_ZN2at6native12_GLOBAL__N_124unique_dim_cuda_templateIjEESt5tupleIJNS8_6TensorESD_SD_EERKSD_lbbbEUlllE1_EE10hipError_tPvRmT2_T3_mT4_P12ihipStream_tbEUlT_E_NS1_11comp_targetILNS1_3genE8ELNS1_11target_archE1030ELNS1_3gpuE2ELNS1_3repE0EEENS1_30default_config_static_selectorELNS0_4arch9wavefront6targetE0EEEvT1_,"axG",@progbits,_ZN7rocprim17ROCPRIM_400000_NS6detail17trampoline_kernelINS0_14default_configENS1_35adjacent_difference_config_selectorILb1ElEEZNS1_24adjacent_difference_implIS3_Lb1ELb0EPlS7_ZN2at6native12_GLOBAL__N_124unique_dim_cuda_templateIjEESt5tupleIJNS8_6TensorESD_SD_EERKSD_lbbbEUlllE1_EE10hipError_tPvRmT2_T3_mT4_P12ihipStream_tbEUlT_E_NS1_11comp_targetILNS1_3genE8ELNS1_11target_archE1030ELNS1_3gpuE2ELNS1_3repE0EEENS1_30default_config_static_selectorELNS0_4arch9wavefront6targetE0EEEvT1_,comdat
	.globl	_ZN7rocprim17ROCPRIM_400000_NS6detail17trampoline_kernelINS0_14default_configENS1_35adjacent_difference_config_selectorILb1ElEEZNS1_24adjacent_difference_implIS3_Lb1ELb0EPlS7_ZN2at6native12_GLOBAL__N_124unique_dim_cuda_templateIjEESt5tupleIJNS8_6TensorESD_SD_EERKSD_lbbbEUlllE1_EE10hipError_tPvRmT2_T3_mT4_P12ihipStream_tbEUlT_E_NS1_11comp_targetILNS1_3genE8ELNS1_11target_archE1030ELNS1_3gpuE2ELNS1_3repE0EEENS1_30default_config_static_selectorELNS0_4arch9wavefront6targetE0EEEvT1_ ; -- Begin function _ZN7rocprim17ROCPRIM_400000_NS6detail17trampoline_kernelINS0_14default_configENS1_35adjacent_difference_config_selectorILb1ElEEZNS1_24adjacent_difference_implIS3_Lb1ELb0EPlS7_ZN2at6native12_GLOBAL__N_124unique_dim_cuda_templateIjEESt5tupleIJNS8_6TensorESD_SD_EERKSD_lbbbEUlllE1_EE10hipError_tPvRmT2_T3_mT4_P12ihipStream_tbEUlT_E_NS1_11comp_targetILNS1_3genE8ELNS1_11target_archE1030ELNS1_3gpuE2ELNS1_3repE0EEENS1_30default_config_static_selectorELNS0_4arch9wavefront6targetE0EEEvT1_
	.p2align	8
	.type	_ZN7rocprim17ROCPRIM_400000_NS6detail17trampoline_kernelINS0_14default_configENS1_35adjacent_difference_config_selectorILb1ElEEZNS1_24adjacent_difference_implIS3_Lb1ELb0EPlS7_ZN2at6native12_GLOBAL__N_124unique_dim_cuda_templateIjEESt5tupleIJNS8_6TensorESD_SD_EERKSD_lbbbEUlllE1_EE10hipError_tPvRmT2_T3_mT4_P12ihipStream_tbEUlT_E_NS1_11comp_targetILNS1_3genE8ELNS1_11target_archE1030ELNS1_3gpuE2ELNS1_3repE0EEENS1_30default_config_static_selectorELNS0_4arch9wavefront6targetE0EEEvT1_,@function
_ZN7rocprim17ROCPRIM_400000_NS6detail17trampoline_kernelINS0_14default_configENS1_35adjacent_difference_config_selectorILb1ElEEZNS1_24adjacent_difference_implIS3_Lb1ELb0EPlS7_ZN2at6native12_GLOBAL__N_124unique_dim_cuda_templateIjEESt5tupleIJNS8_6TensorESD_SD_EERKSD_lbbbEUlllE1_EE10hipError_tPvRmT2_T3_mT4_P12ihipStream_tbEUlT_E_NS1_11comp_targetILNS1_3genE8ELNS1_11target_archE1030ELNS1_3gpuE2ELNS1_3repE0EEENS1_30default_config_static_selectorELNS0_4arch9wavefront6targetE0EEEvT1_: ; @_ZN7rocprim17ROCPRIM_400000_NS6detail17trampoline_kernelINS0_14default_configENS1_35adjacent_difference_config_selectorILb1ElEEZNS1_24adjacent_difference_implIS3_Lb1ELb0EPlS7_ZN2at6native12_GLOBAL__N_124unique_dim_cuda_templateIjEESt5tupleIJNS8_6TensorESD_SD_EERKSD_lbbbEUlllE1_EE10hipError_tPvRmT2_T3_mT4_P12ihipStream_tbEUlT_E_NS1_11comp_targetILNS1_3genE8ELNS1_11target_archE1030ELNS1_3gpuE2ELNS1_3repE0EEENS1_30default_config_static_selectorELNS0_4arch9wavefront6targetE0EEEvT1_
; %bb.0:
	.section	.rodata,"a",@progbits
	.p2align	6, 0x0
	.amdhsa_kernel _ZN7rocprim17ROCPRIM_400000_NS6detail17trampoline_kernelINS0_14default_configENS1_35adjacent_difference_config_selectorILb1ElEEZNS1_24adjacent_difference_implIS3_Lb1ELb0EPlS7_ZN2at6native12_GLOBAL__N_124unique_dim_cuda_templateIjEESt5tupleIJNS8_6TensorESD_SD_EERKSD_lbbbEUlllE1_EE10hipError_tPvRmT2_T3_mT4_P12ihipStream_tbEUlT_E_NS1_11comp_targetILNS1_3genE8ELNS1_11target_archE1030ELNS1_3gpuE2ELNS1_3repE0EEENS1_30default_config_static_selectorELNS0_4arch9wavefront6targetE0EEEvT1_
		.amdhsa_group_segment_fixed_size 0
		.amdhsa_private_segment_fixed_size 0
		.amdhsa_kernarg_size 64
		.amdhsa_user_sgpr_count 15
		.amdhsa_user_sgpr_dispatch_ptr 0
		.amdhsa_user_sgpr_queue_ptr 0
		.amdhsa_user_sgpr_kernarg_segment_ptr 1
		.amdhsa_user_sgpr_dispatch_id 0
		.amdhsa_user_sgpr_private_segment_size 0
		.amdhsa_wavefront_size32 1
		.amdhsa_uses_dynamic_stack 0
		.amdhsa_enable_private_segment 0
		.amdhsa_system_sgpr_workgroup_id_x 1
		.amdhsa_system_sgpr_workgroup_id_y 0
		.amdhsa_system_sgpr_workgroup_id_z 0
		.amdhsa_system_sgpr_workgroup_info 0
		.amdhsa_system_vgpr_workitem_id 0
		.amdhsa_next_free_vgpr 1
		.amdhsa_next_free_sgpr 1
		.amdhsa_reserve_vcc 0
		.amdhsa_float_round_mode_32 0
		.amdhsa_float_round_mode_16_64 0
		.amdhsa_float_denorm_mode_32 3
		.amdhsa_float_denorm_mode_16_64 3
		.amdhsa_dx10_clamp 1
		.amdhsa_ieee_mode 1
		.amdhsa_fp16_overflow 0
		.amdhsa_workgroup_processor_mode 1
		.amdhsa_memory_ordered 1
		.amdhsa_forward_progress 0
		.amdhsa_shared_vgpr_count 0
		.amdhsa_exception_fp_ieee_invalid_op 0
		.amdhsa_exception_fp_denorm_src 0
		.amdhsa_exception_fp_ieee_div_zero 0
		.amdhsa_exception_fp_ieee_overflow 0
		.amdhsa_exception_fp_ieee_underflow 0
		.amdhsa_exception_fp_ieee_inexact 0
		.amdhsa_exception_int_div_zero 0
	.end_amdhsa_kernel
	.section	.text._ZN7rocprim17ROCPRIM_400000_NS6detail17trampoline_kernelINS0_14default_configENS1_35adjacent_difference_config_selectorILb1ElEEZNS1_24adjacent_difference_implIS3_Lb1ELb0EPlS7_ZN2at6native12_GLOBAL__N_124unique_dim_cuda_templateIjEESt5tupleIJNS8_6TensorESD_SD_EERKSD_lbbbEUlllE1_EE10hipError_tPvRmT2_T3_mT4_P12ihipStream_tbEUlT_E_NS1_11comp_targetILNS1_3genE8ELNS1_11target_archE1030ELNS1_3gpuE2ELNS1_3repE0EEENS1_30default_config_static_selectorELNS0_4arch9wavefront6targetE0EEEvT1_,"axG",@progbits,_ZN7rocprim17ROCPRIM_400000_NS6detail17trampoline_kernelINS0_14default_configENS1_35adjacent_difference_config_selectorILb1ElEEZNS1_24adjacent_difference_implIS3_Lb1ELb0EPlS7_ZN2at6native12_GLOBAL__N_124unique_dim_cuda_templateIjEESt5tupleIJNS8_6TensorESD_SD_EERKSD_lbbbEUlllE1_EE10hipError_tPvRmT2_T3_mT4_P12ihipStream_tbEUlT_E_NS1_11comp_targetILNS1_3genE8ELNS1_11target_archE1030ELNS1_3gpuE2ELNS1_3repE0EEENS1_30default_config_static_selectorELNS0_4arch9wavefront6targetE0EEEvT1_,comdat
.Lfunc_end1538:
	.size	_ZN7rocprim17ROCPRIM_400000_NS6detail17trampoline_kernelINS0_14default_configENS1_35adjacent_difference_config_selectorILb1ElEEZNS1_24adjacent_difference_implIS3_Lb1ELb0EPlS7_ZN2at6native12_GLOBAL__N_124unique_dim_cuda_templateIjEESt5tupleIJNS8_6TensorESD_SD_EERKSD_lbbbEUlllE1_EE10hipError_tPvRmT2_T3_mT4_P12ihipStream_tbEUlT_E_NS1_11comp_targetILNS1_3genE8ELNS1_11target_archE1030ELNS1_3gpuE2ELNS1_3repE0EEENS1_30default_config_static_selectorELNS0_4arch9wavefront6targetE0EEEvT1_, .Lfunc_end1538-_ZN7rocprim17ROCPRIM_400000_NS6detail17trampoline_kernelINS0_14default_configENS1_35adjacent_difference_config_selectorILb1ElEEZNS1_24adjacent_difference_implIS3_Lb1ELb0EPlS7_ZN2at6native12_GLOBAL__N_124unique_dim_cuda_templateIjEESt5tupleIJNS8_6TensorESD_SD_EERKSD_lbbbEUlllE1_EE10hipError_tPvRmT2_T3_mT4_P12ihipStream_tbEUlT_E_NS1_11comp_targetILNS1_3genE8ELNS1_11target_archE1030ELNS1_3gpuE2ELNS1_3repE0EEENS1_30default_config_static_selectorELNS0_4arch9wavefront6targetE0EEEvT1_
                                        ; -- End function
	.section	.AMDGPU.csdata,"",@progbits
; Kernel info:
; codeLenInByte = 0
; NumSgprs: 0
; NumVgprs: 0
; ScratchSize: 0
; MemoryBound: 0
; FloatMode: 240
; IeeeMode: 1
; LDSByteSize: 0 bytes/workgroup (compile time only)
; SGPRBlocks: 0
; VGPRBlocks: 0
; NumSGPRsForWavesPerEU: 1
; NumVGPRsForWavesPerEU: 1
; Occupancy: 16
; WaveLimiterHint : 0
; COMPUTE_PGM_RSRC2:SCRATCH_EN: 0
; COMPUTE_PGM_RSRC2:USER_SGPR: 15
; COMPUTE_PGM_RSRC2:TRAP_HANDLER: 0
; COMPUTE_PGM_RSRC2:TGID_X_EN: 1
; COMPUTE_PGM_RSRC2:TGID_Y_EN: 0
; COMPUTE_PGM_RSRC2:TGID_Z_EN: 0
; COMPUTE_PGM_RSRC2:TIDIG_COMP_CNT: 0
	.section	.text._ZN7rocprim17ROCPRIM_400000_NS6detail17trampoline_kernelINS0_14default_configENS1_25partition_config_selectorILNS1_17partition_subalgoE8ElNS0_10empty_typeEbEEZZNS1_14partition_implILS5_8ELb0ES3_jPlPS6_PKS6_NS0_5tupleIJS9_S6_EEENSD_IJSA_SA_EEENS0_18inequality_wrapperIZN2at6native12_GLOBAL__N_124unique_dim_cuda_templateIjEESt5tupleIJNSH_6TensorESM_SM_EERKSM_lbbbEUlllE0_EEPmJS6_EEE10hipError_tPvRmT3_T4_T5_T6_T7_T9_mT8_P12ihipStream_tbDpT10_ENKUlT_T0_E_clISt17integral_constantIbLb0EES1C_EEDaS17_S18_EUlS17_E_NS1_11comp_targetILNS1_3genE0ELNS1_11target_archE4294967295ELNS1_3gpuE0ELNS1_3repE0EEENS1_30default_config_static_selectorELNS0_4arch9wavefront6targetE0EEEvT1_,"axG",@progbits,_ZN7rocprim17ROCPRIM_400000_NS6detail17trampoline_kernelINS0_14default_configENS1_25partition_config_selectorILNS1_17partition_subalgoE8ElNS0_10empty_typeEbEEZZNS1_14partition_implILS5_8ELb0ES3_jPlPS6_PKS6_NS0_5tupleIJS9_S6_EEENSD_IJSA_SA_EEENS0_18inequality_wrapperIZN2at6native12_GLOBAL__N_124unique_dim_cuda_templateIjEESt5tupleIJNSH_6TensorESM_SM_EERKSM_lbbbEUlllE0_EEPmJS6_EEE10hipError_tPvRmT3_T4_T5_T6_T7_T9_mT8_P12ihipStream_tbDpT10_ENKUlT_T0_E_clISt17integral_constantIbLb0EES1C_EEDaS17_S18_EUlS17_E_NS1_11comp_targetILNS1_3genE0ELNS1_11target_archE4294967295ELNS1_3gpuE0ELNS1_3repE0EEENS1_30default_config_static_selectorELNS0_4arch9wavefront6targetE0EEEvT1_,comdat
	.globl	_ZN7rocprim17ROCPRIM_400000_NS6detail17trampoline_kernelINS0_14default_configENS1_25partition_config_selectorILNS1_17partition_subalgoE8ElNS0_10empty_typeEbEEZZNS1_14partition_implILS5_8ELb0ES3_jPlPS6_PKS6_NS0_5tupleIJS9_S6_EEENSD_IJSA_SA_EEENS0_18inequality_wrapperIZN2at6native12_GLOBAL__N_124unique_dim_cuda_templateIjEESt5tupleIJNSH_6TensorESM_SM_EERKSM_lbbbEUlllE0_EEPmJS6_EEE10hipError_tPvRmT3_T4_T5_T6_T7_T9_mT8_P12ihipStream_tbDpT10_ENKUlT_T0_E_clISt17integral_constantIbLb0EES1C_EEDaS17_S18_EUlS17_E_NS1_11comp_targetILNS1_3genE0ELNS1_11target_archE4294967295ELNS1_3gpuE0ELNS1_3repE0EEENS1_30default_config_static_selectorELNS0_4arch9wavefront6targetE0EEEvT1_ ; -- Begin function _ZN7rocprim17ROCPRIM_400000_NS6detail17trampoline_kernelINS0_14default_configENS1_25partition_config_selectorILNS1_17partition_subalgoE8ElNS0_10empty_typeEbEEZZNS1_14partition_implILS5_8ELb0ES3_jPlPS6_PKS6_NS0_5tupleIJS9_S6_EEENSD_IJSA_SA_EEENS0_18inequality_wrapperIZN2at6native12_GLOBAL__N_124unique_dim_cuda_templateIjEESt5tupleIJNSH_6TensorESM_SM_EERKSM_lbbbEUlllE0_EEPmJS6_EEE10hipError_tPvRmT3_T4_T5_T6_T7_T9_mT8_P12ihipStream_tbDpT10_ENKUlT_T0_E_clISt17integral_constantIbLb0EES1C_EEDaS17_S18_EUlS17_E_NS1_11comp_targetILNS1_3genE0ELNS1_11target_archE4294967295ELNS1_3gpuE0ELNS1_3repE0EEENS1_30default_config_static_selectorELNS0_4arch9wavefront6targetE0EEEvT1_
	.p2align	8
	.type	_ZN7rocprim17ROCPRIM_400000_NS6detail17trampoline_kernelINS0_14default_configENS1_25partition_config_selectorILNS1_17partition_subalgoE8ElNS0_10empty_typeEbEEZZNS1_14partition_implILS5_8ELb0ES3_jPlPS6_PKS6_NS0_5tupleIJS9_S6_EEENSD_IJSA_SA_EEENS0_18inequality_wrapperIZN2at6native12_GLOBAL__N_124unique_dim_cuda_templateIjEESt5tupleIJNSH_6TensorESM_SM_EERKSM_lbbbEUlllE0_EEPmJS6_EEE10hipError_tPvRmT3_T4_T5_T6_T7_T9_mT8_P12ihipStream_tbDpT10_ENKUlT_T0_E_clISt17integral_constantIbLb0EES1C_EEDaS17_S18_EUlS17_E_NS1_11comp_targetILNS1_3genE0ELNS1_11target_archE4294967295ELNS1_3gpuE0ELNS1_3repE0EEENS1_30default_config_static_selectorELNS0_4arch9wavefront6targetE0EEEvT1_,@function
_ZN7rocprim17ROCPRIM_400000_NS6detail17trampoline_kernelINS0_14default_configENS1_25partition_config_selectorILNS1_17partition_subalgoE8ElNS0_10empty_typeEbEEZZNS1_14partition_implILS5_8ELb0ES3_jPlPS6_PKS6_NS0_5tupleIJS9_S6_EEENSD_IJSA_SA_EEENS0_18inequality_wrapperIZN2at6native12_GLOBAL__N_124unique_dim_cuda_templateIjEESt5tupleIJNSH_6TensorESM_SM_EERKSM_lbbbEUlllE0_EEPmJS6_EEE10hipError_tPvRmT3_T4_T5_T6_T7_T9_mT8_P12ihipStream_tbDpT10_ENKUlT_T0_E_clISt17integral_constantIbLb0EES1C_EEDaS17_S18_EUlS17_E_NS1_11comp_targetILNS1_3genE0ELNS1_11target_archE4294967295ELNS1_3gpuE0ELNS1_3repE0EEENS1_30default_config_static_selectorELNS0_4arch9wavefront6targetE0EEEvT1_: ; @_ZN7rocprim17ROCPRIM_400000_NS6detail17trampoline_kernelINS0_14default_configENS1_25partition_config_selectorILNS1_17partition_subalgoE8ElNS0_10empty_typeEbEEZZNS1_14partition_implILS5_8ELb0ES3_jPlPS6_PKS6_NS0_5tupleIJS9_S6_EEENSD_IJSA_SA_EEENS0_18inequality_wrapperIZN2at6native12_GLOBAL__N_124unique_dim_cuda_templateIjEESt5tupleIJNSH_6TensorESM_SM_EERKSM_lbbbEUlllE0_EEPmJS6_EEE10hipError_tPvRmT3_T4_T5_T6_T7_T9_mT8_P12ihipStream_tbDpT10_ENKUlT_T0_E_clISt17integral_constantIbLb0EES1C_EEDaS17_S18_EUlS17_E_NS1_11comp_targetILNS1_3genE0ELNS1_11target_archE4294967295ELNS1_3gpuE0ELNS1_3repE0EEENS1_30default_config_static_selectorELNS0_4arch9wavefront6targetE0EEEvT1_
; %bb.0:
	.section	.rodata,"a",@progbits
	.p2align	6, 0x0
	.amdhsa_kernel _ZN7rocprim17ROCPRIM_400000_NS6detail17trampoline_kernelINS0_14default_configENS1_25partition_config_selectorILNS1_17partition_subalgoE8ElNS0_10empty_typeEbEEZZNS1_14partition_implILS5_8ELb0ES3_jPlPS6_PKS6_NS0_5tupleIJS9_S6_EEENSD_IJSA_SA_EEENS0_18inequality_wrapperIZN2at6native12_GLOBAL__N_124unique_dim_cuda_templateIjEESt5tupleIJNSH_6TensorESM_SM_EERKSM_lbbbEUlllE0_EEPmJS6_EEE10hipError_tPvRmT3_T4_T5_T6_T7_T9_mT8_P12ihipStream_tbDpT10_ENKUlT_T0_E_clISt17integral_constantIbLb0EES1C_EEDaS17_S18_EUlS17_E_NS1_11comp_targetILNS1_3genE0ELNS1_11target_archE4294967295ELNS1_3gpuE0ELNS1_3repE0EEENS1_30default_config_static_selectorELNS0_4arch9wavefront6targetE0EEEvT1_
		.amdhsa_group_segment_fixed_size 0
		.amdhsa_private_segment_fixed_size 0
		.amdhsa_kernarg_size 120
		.amdhsa_user_sgpr_count 15
		.amdhsa_user_sgpr_dispatch_ptr 0
		.amdhsa_user_sgpr_queue_ptr 0
		.amdhsa_user_sgpr_kernarg_segment_ptr 1
		.amdhsa_user_sgpr_dispatch_id 0
		.amdhsa_user_sgpr_private_segment_size 0
		.amdhsa_wavefront_size32 1
		.amdhsa_uses_dynamic_stack 0
		.amdhsa_enable_private_segment 0
		.amdhsa_system_sgpr_workgroup_id_x 1
		.amdhsa_system_sgpr_workgroup_id_y 0
		.amdhsa_system_sgpr_workgroup_id_z 0
		.amdhsa_system_sgpr_workgroup_info 0
		.amdhsa_system_vgpr_workitem_id 0
		.amdhsa_next_free_vgpr 1
		.amdhsa_next_free_sgpr 1
		.amdhsa_reserve_vcc 0
		.amdhsa_float_round_mode_32 0
		.amdhsa_float_round_mode_16_64 0
		.amdhsa_float_denorm_mode_32 3
		.amdhsa_float_denorm_mode_16_64 3
		.amdhsa_dx10_clamp 1
		.amdhsa_ieee_mode 1
		.amdhsa_fp16_overflow 0
		.amdhsa_workgroup_processor_mode 1
		.amdhsa_memory_ordered 1
		.amdhsa_forward_progress 0
		.amdhsa_shared_vgpr_count 0
		.amdhsa_exception_fp_ieee_invalid_op 0
		.amdhsa_exception_fp_denorm_src 0
		.amdhsa_exception_fp_ieee_div_zero 0
		.amdhsa_exception_fp_ieee_overflow 0
		.amdhsa_exception_fp_ieee_underflow 0
		.amdhsa_exception_fp_ieee_inexact 0
		.amdhsa_exception_int_div_zero 0
	.end_amdhsa_kernel
	.section	.text._ZN7rocprim17ROCPRIM_400000_NS6detail17trampoline_kernelINS0_14default_configENS1_25partition_config_selectorILNS1_17partition_subalgoE8ElNS0_10empty_typeEbEEZZNS1_14partition_implILS5_8ELb0ES3_jPlPS6_PKS6_NS0_5tupleIJS9_S6_EEENSD_IJSA_SA_EEENS0_18inequality_wrapperIZN2at6native12_GLOBAL__N_124unique_dim_cuda_templateIjEESt5tupleIJNSH_6TensorESM_SM_EERKSM_lbbbEUlllE0_EEPmJS6_EEE10hipError_tPvRmT3_T4_T5_T6_T7_T9_mT8_P12ihipStream_tbDpT10_ENKUlT_T0_E_clISt17integral_constantIbLb0EES1C_EEDaS17_S18_EUlS17_E_NS1_11comp_targetILNS1_3genE0ELNS1_11target_archE4294967295ELNS1_3gpuE0ELNS1_3repE0EEENS1_30default_config_static_selectorELNS0_4arch9wavefront6targetE0EEEvT1_,"axG",@progbits,_ZN7rocprim17ROCPRIM_400000_NS6detail17trampoline_kernelINS0_14default_configENS1_25partition_config_selectorILNS1_17partition_subalgoE8ElNS0_10empty_typeEbEEZZNS1_14partition_implILS5_8ELb0ES3_jPlPS6_PKS6_NS0_5tupleIJS9_S6_EEENSD_IJSA_SA_EEENS0_18inequality_wrapperIZN2at6native12_GLOBAL__N_124unique_dim_cuda_templateIjEESt5tupleIJNSH_6TensorESM_SM_EERKSM_lbbbEUlllE0_EEPmJS6_EEE10hipError_tPvRmT3_T4_T5_T6_T7_T9_mT8_P12ihipStream_tbDpT10_ENKUlT_T0_E_clISt17integral_constantIbLb0EES1C_EEDaS17_S18_EUlS17_E_NS1_11comp_targetILNS1_3genE0ELNS1_11target_archE4294967295ELNS1_3gpuE0ELNS1_3repE0EEENS1_30default_config_static_selectorELNS0_4arch9wavefront6targetE0EEEvT1_,comdat
.Lfunc_end1539:
	.size	_ZN7rocprim17ROCPRIM_400000_NS6detail17trampoline_kernelINS0_14default_configENS1_25partition_config_selectorILNS1_17partition_subalgoE8ElNS0_10empty_typeEbEEZZNS1_14partition_implILS5_8ELb0ES3_jPlPS6_PKS6_NS0_5tupleIJS9_S6_EEENSD_IJSA_SA_EEENS0_18inequality_wrapperIZN2at6native12_GLOBAL__N_124unique_dim_cuda_templateIjEESt5tupleIJNSH_6TensorESM_SM_EERKSM_lbbbEUlllE0_EEPmJS6_EEE10hipError_tPvRmT3_T4_T5_T6_T7_T9_mT8_P12ihipStream_tbDpT10_ENKUlT_T0_E_clISt17integral_constantIbLb0EES1C_EEDaS17_S18_EUlS17_E_NS1_11comp_targetILNS1_3genE0ELNS1_11target_archE4294967295ELNS1_3gpuE0ELNS1_3repE0EEENS1_30default_config_static_selectorELNS0_4arch9wavefront6targetE0EEEvT1_, .Lfunc_end1539-_ZN7rocprim17ROCPRIM_400000_NS6detail17trampoline_kernelINS0_14default_configENS1_25partition_config_selectorILNS1_17partition_subalgoE8ElNS0_10empty_typeEbEEZZNS1_14partition_implILS5_8ELb0ES3_jPlPS6_PKS6_NS0_5tupleIJS9_S6_EEENSD_IJSA_SA_EEENS0_18inequality_wrapperIZN2at6native12_GLOBAL__N_124unique_dim_cuda_templateIjEESt5tupleIJNSH_6TensorESM_SM_EERKSM_lbbbEUlllE0_EEPmJS6_EEE10hipError_tPvRmT3_T4_T5_T6_T7_T9_mT8_P12ihipStream_tbDpT10_ENKUlT_T0_E_clISt17integral_constantIbLb0EES1C_EEDaS17_S18_EUlS17_E_NS1_11comp_targetILNS1_3genE0ELNS1_11target_archE4294967295ELNS1_3gpuE0ELNS1_3repE0EEENS1_30default_config_static_selectorELNS0_4arch9wavefront6targetE0EEEvT1_
                                        ; -- End function
	.section	.AMDGPU.csdata,"",@progbits
; Kernel info:
; codeLenInByte = 0
; NumSgprs: 0
; NumVgprs: 0
; ScratchSize: 0
; MemoryBound: 0
; FloatMode: 240
; IeeeMode: 1
; LDSByteSize: 0 bytes/workgroup (compile time only)
; SGPRBlocks: 0
; VGPRBlocks: 0
; NumSGPRsForWavesPerEU: 1
; NumVGPRsForWavesPerEU: 1
; Occupancy: 16
; WaveLimiterHint : 0
; COMPUTE_PGM_RSRC2:SCRATCH_EN: 0
; COMPUTE_PGM_RSRC2:USER_SGPR: 15
; COMPUTE_PGM_RSRC2:TRAP_HANDLER: 0
; COMPUTE_PGM_RSRC2:TGID_X_EN: 1
; COMPUTE_PGM_RSRC2:TGID_Y_EN: 0
; COMPUTE_PGM_RSRC2:TGID_Z_EN: 0
; COMPUTE_PGM_RSRC2:TIDIG_COMP_CNT: 0
	.section	.text._ZN7rocprim17ROCPRIM_400000_NS6detail17trampoline_kernelINS0_14default_configENS1_25partition_config_selectorILNS1_17partition_subalgoE8ElNS0_10empty_typeEbEEZZNS1_14partition_implILS5_8ELb0ES3_jPlPS6_PKS6_NS0_5tupleIJS9_S6_EEENSD_IJSA_SA_EEENS0_18inequality_wrapperIZN2at6native12_GLOBAL__N_124unique_dim_cuda_templateIjEESt5tupleIJNSH_6TensorESM_SM_EERKSM_lbbbEUlllE0_EEPmJS6_EEE10hipError_tPvRmT3_T4_T5_T6_T7_T9_mT8_P12ihipStream_tbDpT10_ENKUlT_T0_E_clISt17integral_constantIbLb0EES1C_EEDaS17_S18_EUlS17_E_NS1_11comp_targetILNS1_3genE5ELNS1_11target_archE942ELNS1_3gpuE9ELNS1_3repE0EEENS1_30default_config_static_selectorELNS0_4arch9wavefront6targetE0EEEvT1_,"axG",@progbits,_ZN7rocprim17ROCPRIM_400000_NS6detail17trampoline_kernelINS0_14default_configENS1_25partition_config_selectorILNS1_17partition_subalgoE8ElNS0_10empty_typeEbEEZZNS1_14partition_implILS5_8ELb0ES3_jPlPS6_PKS6_NS0_5tupleIJS9_S6_EEENSD_IJSA_SA_EEENS0_18inequality_wrapperIZN2at6native12_GLOBAL__N_124unique_dim_cuda_templateIjEESt5tupleIJNSH_6TensorESM_SM_EERKSM_lbbbEUlllE0_EEPmJS6_EEE10hipError_tPvRmT3_T4_T5_T6_T7_T9_mT8_P12ihipStream_tbDpT10_ENKUlT_T0_E_clISt17integral_constantIbLb0EES1C_EEDaS17_S18_EUlS17_E_NS1_11comp_targetILNS1_3genE5ELNS1_11target_archE942ELNS1_3gpuE9ELNS1_3repE0EEENS1_30default_config_static_selectorELNS0_4arch9wavefront6targetE0EEEvT1_,comdat
	.globl	_ZN7rocprim17ROCPRIM_400000_NS6detail17trampoline_kernelINS0_14default_configENS1_25partition_config_selectorILNS1_17partition_subalgoE8ElNS0_10empty_typeEbEEZZNS1_14partition_implILS5_8ELb0ES3_jPlPS6_PKS6_NS0_5tupleIJS9_S6_EEENSD_IJSA_SA_EEENS0_18inequality_wrapperIZN2at6native12_GLOBAL__N_124unique_dim_cuda_templateIjEESt5tupleIJNSH_6TensorESM_SM_EERKSM_lbbbEUlllE0_EEPmJS6_EEE10hipError_tPvRmT3_T4_T5_T6_T7_T9_mT8_P12ihipStream_tbDpT10_ENKUlT_T0_E_clISt17integral_constantIbLb0EES1C_EEDaS17_S18_EUlS17_E_NS1_11comp_targetILNS1_3genE5ELNS1_11target_archE942ELNS1_3gpuE9ELNS1_3repE0EEENS1_30default_config_static_selectorELNS0_4arch9wavefront6targetE0EEEvT1_ ; -- Begin function _ZN7rocprim17ROCPRIM_400000_NS6detail17trampoline_kernelINS0_14default_configENS1_25partition_config_selectorILNS1_17partition_subalgoE8ElNS0_10empty_typeEbEEZZNS1_14partition_implILS5_8ELb0ES3_jPlPS6_PKS6_NS0_5tupleIJS9_S6_EEENSD_IJSA_SA_EEENS0_18inequality_wrapperIZN2at6native12_GLOBAL__N_124unique_dim_cuda_templateIjEESt5tupleIJNSH_6TensorESM_SM_EERKSM_lbbbEUlllE0_EEPmJS6_EEE10hipError_tPvRmT3_T4_T5_T6_T7_T9_mT8_P12ihipStream_tbDpT10_ENKUlT_T0_E_clISt17integral_constantIbLb0EES1C_EEDaS17_S18_EUlS17_E_NS1_11comp_targetILNS1_3genE5ELNS1_11target_archE942ELNS1_3gpuE9ELNS1_3repE0EEENS1_30default_config_static_selectorELNS0_4arch9wavefront6targetE0EEEvT1_
	.p2align	8
	.type	_ZN7rocprim17ROCPRIM_400000_NS6detail17trampoline_kernelINS0_14default_configENS1_25partition_config_selectorILNS1_17partition_subalgoE8ElNS0_10empty_typeEbEEZZNS1_14partition_implILS5_8ELb0ES3_jPlPS6_PKS6_NS0_5tupleIJS9_S6_EEENSD_IJSA_SA_EEENS0_18inequality_wrapperIZN2at6native12_GLOBAL__N_124unique_dim_cuda_templateIjEESt5tupleIJNSH_6TensorESM_SM_EERKSM_lbbbEUlllE0_EEPmJS6_EEE10hipError_tPvRmT3_T4_T5_T6_T7_T9_mT8_P12ihipStream_tbDpT10_ENKUlT_T0_E_clISt17integral_constantIbLb0EES1C_EEDaS17_S18_EUlS17_E_NS1_11comp_targetILNS1_3genE5ELNS1_11target_archE942ELNS1_3gpuE9ELNS1_3repE0EEENS1_30default_config_static_selectorELNS0_4arch9wavefront6targetE0EEEvT1_,@function
_ZN7rocprim17ROCPRIM_400000_NS6detail17trampoline_kernelINS0_14default_configENS1_25partition_config_selectorILNS1_17partition_subalgoE8ElNS0_10empty_typeEbEEZZNS1_14partition_implILS5_8ELb0ES3_jPlPS6_PKS6_NS0_5tupleIJS9_S6_EEENSD_IJSA_SA_EEENS0_18inequality_wrapperIZN2at6native12_GLOBAL__N_124unique_dim_cuda_templateIjEESt5tupleIJNSH_6TensorESM_SM_EERKSM_lbbbEUlllE0_EEPmJS6_EEE10hipError_tPvRmT3_T4_T5_T6_T7_T9_mT8_P12ihipStream_tbDpT10_ENKUlT_T0_E_clISt17integral_constantIbLb0EES1C_EEDaS17_S18_EUlS17_E_NS1_11comp_targetILNS1_3genE5ELNS1_11target_archE942ELNS1_3gpuE9ELNS1_3repE0EEENS1_30default_config_static_selectorELNS0_4arch9wavefront6targetE0EEEvT1_: ; @_ZN7rocprim17ROCPRIM_400000_NS6detail17trampoline_kernelINS0_14default_configENS1_25partition_config_selectorILNS1_17partition_subalgoE8ElNS0_10empty_typeEbEEZZNS1_14partition_implILS5_8ELb0ES3_jPlPS6_PKS6_NS0_5tupleIJS9_S6_EEENSD_IJSA_SA_EEENS0_18inequality_wrapperIZN2at6native12_GLOBAL__N_124unique_dim_cuda_templateIjEESt5tupleIJNSH_6TensorESM_SM_EERKSM_lbbbEUlllE0_EEPmJS6_EEE10hipError_tPvRmT3_T4_T5_T6_T7_T9_mT8_P12ihipStream_tbDpT10_ENKUlT_T0_E_clISt17integral_constantIbLb0EES1C_EEDaS17_S18_EUlS17_E_NS1_11comp_targetILNS1_3genE5ELNS1_11target_archE942ELNS1_3gpuE9ELNS1_3repE0EEENS1_30default_config_static_selectorELNS0_4arch9wavefront6targetE0EEEvT1_
; %bb.0:
	.section	.rodata,"a",@progbits
	.p2align	6, 0x0
	.amdhsa_kernel _ZN7rocprim17ROCPRIM_400000_NS6detail17trampoline_kernelINS0_14default_configENS1_25partition_config_selectorILNS1_17partition_subalgoE8ElNS0_10empty_typeEbEEZZNS1_14partition_implILS5_8ELb0ES3_jPlPS6_PKS6_NS0_5tupleIJS9_S6_EEENSD_IJSA_SA_EEENS0_18inequality_wrapperIZN2at6native12_GLOBAL__N_124unique_dim_cuda_templateIjEESt5tupleIJNSH_6TensorESM_SM_EERKSM_lbbbEUlllE0_EEPmJS6_EEE10hipError_tPvRmT3_T4_T5_T6_T7_T9_mT8_P12ihipStream_tbDpT10_ENKUlT_T0_E_clISt17integral_constantIbLb0EES1C_EEDaS17_S18_EUlS17_E_NS1_11comp_targetILNS1_3genE5ELNS1_11target_archE942ELNS1_3gpuE9ELNS1_3repE0EEENS1_30default_config_static_selectorELNS0_4arch9wavefront6targetE0EEEvT1_
		.amdhsa_group_segment_fixed_size 0
		.amdhsa_private_segment_fixed_size 0
		.amdhsa_kernarg_size 120
		.amdhsa_user_sgpr_count 15
		.amdhsa_user_sgpr_dispatch_ptr 0
		.amdhsa_user_sgpr_queue_ptr 0
		.amdhsa_user_sgpr_kernarg_segment_ptr 1
		.amdhsa_user_sgpr_dispatch_id 0
		.amdhsa_user_sgpr_private_segment_size 0
		.amdhsa_wavefront_size32 1
		.amdhsa_uses_dynamic_stack 0
		.amdhsa_enable_private_segment 0
		.amdhsa_system_sgpr_workgroup_id_x 1
		.amdhsa_system_sgpr_workgroup_id_y 0
		.amdhsa_system_sgpr_workgroup_id_z 0
		.amdhsa_system_sgpr_workgroup_info 0
		.amdhsa_system_vgpr_workitem_id 0
		.amdhsa_next_free_vgpr 1
		.amdhsa_next_free_sgpr 1
		.amdhsa_reserve_vcc 0
		.amdhsa_float_round_mode_32 0
		.amdhsa_float_round_mode_16_64 0
		.amdhsa_float_denorm_mode_32 3
		.amdhsa_float_denorm_mode_16_64 3
		.amdhsa_dx10_clamp 1
		.amdhsa_ieee_mode 1
		.amdhsa_fp16_overflow 0
		.amdhsa_workgroup_processor_mode 1
		.amdhsa_memory_ordered 1
		.amdhsa_forward_progress 0
		.amdhsa_shared_vgpr_count 0
		.amdhsa_exception_fp_ieee_invalid_op 0
		.amdhsa_exception_fp_denorm_src 0
		.amdhsa_exception_fp_ieee_div_zero 0
		.amdhsa_exception_fp_ieee_overflow 0
		.amdhsa_exception_fp_ieee_underflow 0
		.amdhsa_exception_fp_ieee_inexact 0
		.amdhsa_exception_int_div_zero 0
	.end_amdhsa_kernel
	.section	.text._ZN7rocprim17ROCPRIM_400000_NS6detail17trampoline_kernelINS0_14default_configENS1_25partition_config_selectorILNS1_17partition_subalgoE8ElNS0_10empty_typeEbEEZZNS1_14partition_implILS5_8ELb0ES3_jPlPS6_PKS6_NS0_5tupleIJS9_S6_EEENSD_IJSA_SA_EEENS0_18inequality_wrapperIZN2at6native12_GLOBAL__N_124unique_dim_cuda_templateIjEESt5tupleIJNSH_6TensorESM_SM_EERKSM_lbbbEUlllE0_EEPmJS6_EEE10hipError_tPvRmT3_T4_T5_T6_T7_T9_mT8_P12ihipStream_tbDpT10_ENKUlT_T0_E_clISt17integral_constantIbLb0EES1C_EEDaS17_S18_EUlS17_E_NS1_11comp_targetILNS1_3genE5ELNS1_11target_archE942ELNS1_3gpuE9ELNS1_3repE0EEENS1_30default_config_static_selectorELNS0_4arch9wavefront6targetE0EEEvT1_,"axG",@progbits,_ZN7rocprim17ROCPRIM_400000_NS6detail17trampoline_kernelINS0_14default_configENS1_25partition_config_selectorILNS1_17partition_subalgoE8ElNS0_10empty_typeEbEEZZNS1_14partition_implILS5_8ELb0ES3_jPlPS6_PKS6_NS0_5tupleIJS9_S6_EEENSD_IJSA_SA_EEENS0_18inequality_wrapperIZN2at6native12_GLOBAL__N_124unique_dim_cuda_templateIjEESt5tupleIJNSH_6TensorESM_SM_EERKSM_lbbbEUlllE0_EEPmJS6_EEE10hipError_tPvRmT3_T4_T5_T6_T7_T9_mT8_P12ihipStream_tbDpT10_ENKUlT_T0_E_clISt17integral_constantIbLb0EES1C_EEDaS17_S18_EUlS17_E_NS1_11comp_targetILNS1_3genE5ELNS1_11target_archE942ELNS1_3gpuE9ELNS1_3repE0EEENS1_30default_config_static_selectorELNS0_4arch9wavefront6targetE0EEEvT1_,comdat
.Lfunc_end1540:
	.size	_ZN7rocprim17ROCPRIM_400000_NS6detail17trampoline_kernelINS0_14default_configENS1_25partition_config_selectorILNS1_17partition_subalgoE8ElNS0_10empty_typeEbEEZZNS1_14partition_implILS5_8ELb0ES3_jPlPS6_PKS6_NS0_5tupleIJS9_S6_EEENSD_IJSA_SA_EEENS0_18inequality_wrapperIZN2at6native12_GLOBAL__N_124unique_dim_cuda_templateIjEESt5tupleIJNSH_6TensorESM_SM_EERKSM_lbbbEUlllE0_EEPmJS6_EEE10hipError_tPvRmT3_T4_T5_T6_T7_T9_mT8_P12ihipStream_tbDpT10_ENKUlT_T0_E_clISt17integral_constantIbLb0EES1C_EEDaS17_S18_EUlS17_E_NS1_11comp_targetILNS1_3genE5ELNS1_11target_archE942ELNS1_3gpuE9ELNS1_3repE0EEENS1_30default_config_static_selectorELNS0_4arch9wavefront6targetE0EEEvT1_, .Lfunc_end1540-_ZN7rocprim17ROCPRIM_400000_NS6detail17trampoline_kernelINS0_14default_configENS1_25partition_config_selectorILNS1_17partition_subalgoE8ElNS0_10empty_typeEbEEZZNS1_14partition_implILS5_8ELb0ES3_jPlPS6_PKS6_NS0_5tupleIJS9_S6_EEENSD_IJSA_SA_EEENS0_18inequality_wrapperIZN2at6native12_GLOBAL__N_124unique_dim_cuda_templateIjEESt5tupleIJNSH_6TensorESM_SM_EERKSM_lbbbEUlllE0_EEPmJS6_EEE10hipError_tPvRmT3_T4_T5_T6_T7_T9_mT8_P12ihipStream_tbDpT10_ENKUlT_T0_E_clISt17integral_constantIbLb0EES1C_EEDaS17_S18_EUlS17_E_NS1_11comp_targetILNS1_3genE5ELNS1_11target_archE942ELNS1_3gpuE9ELNS1_3repE0EEENS1_30default_config_static_selectorELNS0_4arch9wavefront6targetE0EEEvT1_
                                        ; -- End function
	.section	.AMDGPU.csdata,"",@progbits
; Kernel info:
; codeLenInByte = 0
; NumSgprs: 0
; NumVgprs: 0
; ScratchSize: 0
; MemoryBound: 0
; FloatMode: 240
; IeeeMode: 1
; LDSByteSize: 0 bytes/workgroup (compile time only)
; SGPRBlocks: 0
; VGPRBlocks: 0
; NumSGPRsForWavesPerEU: 1
; NumVGPRsForWavesPerEU: 1
; Occupancy: 16
; WaveLimiterHint : 0
; COMPUTE_PGM_RSRC2:SCRATCH_EN: 0
; COMPUTE_PGM_RSRC2:USER_SGPR: 15
; COMPUTE_PGM_RSRC2:TRAP_HANDLER: 0
; COMPUTE_PGM_RSRC2:TGID_X_EN: 1
; COMPUTE_PGM_RSRC2:TGID_Y_EN: 0
; COMPUTE_PGM_RSRC2:TGID_Z_EN: 0
; COMPUTE_PGM_RSRC2:TIDIG_COMP_CNT: 0
	.section	.text._ZN7rocprim17ROCPRIM_400000_NS6detail17trampoline_kernelINS0_14default_configENS1_25partition_config_selectorILNS1_17partition_subalgoE8ElNS0_10empty_typeEbEEZZNS1_14partition_implILS5_8ELb0ES3_jPlPS6_PKS6_NS0_5tupleIJS9_S6_EEENSD_IJSA_SA_EEENS0_18inequality_wrapperIZN2at6native12_GLOBAL__N_124unique_dim_cuda_templateIjEESt5tupleIJNSH_6TensorESM_SM_EERKSM_lbbbEUlllE0_EEPmJS6_EEE10hipError_tPvRmT3_T4_T5_T6_T7_T9_mT8_P12ihipStream_tbDpT10_ENKUlT_T0_E_clISt17integral_constantIbLb0EES1C_EEDaS17_S18_EUlS17_E_NS1_11comp_targetILNS1_3genE4ELNS1_11target_archE910ELNS1_3gpuE8ELNS1_3repE0EEENS1_30default_config_static_selectorELNS0_4arch9wavefront6targetE0EEEvT1_,"axG",@progbits,_ZN7rocprim17ROCPRIM_400000_NS6detail17trampoline_kernelINS0_14default_configENS1_25partition_config_selectorILNS1_17partition_subalgoE8ElNS0_10empty_typeEbEEZZNS1_14partition_implILS5_8ELb0ES3_jPlPS6_PKS6_NS0_5tupleIJS9_S6_EEENSD_IJSA_SA_EEENS0_18inequality_wrapperIZN2at6native12_GLOBAL__N_124unique_dim_cuda_templateIjEESt5tupleIJNSH_6TensorESM_SM_EERKSM_lbbbEUlllE0_EEPmJS6_EEE10hipError_tPvRmT3_T4_T5_T6_T7_T9_mT8_P12ihipStream_tbDpT10_ENKUlT_T0_E_clISt17integral_constantIbLb0EES1C_EEDaS17_S18_EUlS17_E_NS1_11comp_targetILNS1_3genE4ELNS1_11target_archE910ELNS1_3gpuE8ELNS1_3repE0EEENS1_30default_config_static_selectorELNS0_4arch9wavefront6targetE0EEEvT1_,comdat
	.globl	_ZN7rocprim17ROCPRIM_400000_NS6detail17trampoline_kernelINS0_14default_configENS1_25partition_config_selectorILNS1_17partition_subalgoE8ElNS0_10empty_typeEbEEZZNS1_14partition_implILS5_8ELb0ES3_jPlPS6_PKS6_NS0_5tupleIJS9_S6_EEENSD_IJSA_SA_EEENS0_18inequality_wrapperIZN2at6native12_GLOBAL__N_124unique_dim_cuda_templateIjEESt5tupleIJNSH_6TensorESM_SM_EERKSM_lbbbEUlllE0_EEPmJS6_EEE10hipError_tPvRmT3_T4_T5_T6_T7_T9_mT8_P12ihipStream_tbDpT10_ENKUlT_T0_E_clISt17integral_constantIbLb0EES1C_EEDaS17_S18_EUlS17_E_NS1_11comp_targetILNS1_3genE4ELNS1_11target_archE910ELNS1_3gpuE8ELNS1_3repE0EEENS1_30default_config_static_selectorELNS0_4arch9wavefront6targetE0EEEvT1_ ; -- Begin function _ZN7rocprim17ROCPRIM_400000_NS6detail17trampoline_kernelINS0_14default_configENS1_25partition_config_selectorILNS1_17partition_subalgoE8ElNS0_10empty_typeEbEEZZNS1_14partition_implILS5_8ELb0ES3_jPlPS6_PKS6_NS0_5tupleIJS9_S6_EEENSD_IJSA_SA_EEENS0_18inequality_wrapperIZN2at6native12_GLOBAL__N_124unique_dim_cuda_templateIjEESt5tupleIJNSH_6TensorESM_SM_EERKSM_lbbbEUlllE0_EEPmJS6_EEE10hipError_tPvRmT3_T4_T5_T6_T7_T9_mT8_P12ihipStream_tbDpT10_ENKUlT_T0_E_clISt17integral_constantIbLb0EES1C_EEDaS17_S18_EUlS17_E_NS1_11comp_targetILNS1_3genE4ELNS1_11target_archE910ELNS1_3gpuE8ELNS1_3repE0EEENS1_30default_config_static_selectorELNS0_4arch9wavefront6targetE0EEEvT1_
	.p2align	8
	.type	_ZN7rocprim17ROCPRIM_400000_NS6detail17trampoline_kernelINS0_14default_configENS1_25partition_config_selectorILNS1_17partition_subalgoE8ElNS0_10empty_typeEbEEZZNS1_14partition_implILS5_8ELb0ES3_jPlPS6_PKS6_NS0_5tupleIJS9_S6_EEENSD_IJSA_SA_EEENS0_18inequality_wrapperIZN2at6native12_GLOBAL__N_124unique_dim_cuda_templateIjEESt5tupleIJNSH_6TensorESM_SM_EERKSM_lbbbEUlllE0_EEPmJS6_EEE10hipError_tPvRmT3_T4_T5_T6_T7_T9_mT8_P12ihipStream_tbDpT10_ENKUlT_T0_E_clISt17integral_constantIbLb0EES1C_EEDaS17_S18_EUlS17_E_NS1_11comp_targetILNS1_3genE4ELNS1_11target_archE910ELNS1_3gpuE8ELNS1_3repE0EEENS1_30default_config_static_selectorELNS0_4arch9wavefront6targetE0EEEvT1_,@function
_ZN7rocprim17ROCPRIM_400000_NS6detail17trampoline_kernelINS0_14default_configENS1_25partition_config_selectorILNS1_17partition_subalgoE8ElNS0_10empty_typeEbEEZZNS1_14partition_implILS5_8ELb0ES3_jPlPS6_PKS6_NS0_5tupleIJS9_S6_EEENSD_IJSA_SA_EEENS0_18inequality_wrapperIZN2at6native12_GLOBAL__N_124unique_dim_cuda_templateIjEESt5tupleIJNSH_6TensorESM_SM_EERKSM_lbbbEUlllE0_EEPmJS6_EEE10hipError_tPvRmT3_T4_T5_T6_T7_T9_mT8_P12ihipStream_tbDpT10_ENKUlT_T0_E_clISt17integral_constantIbLb0EES1C_EEDaS17_S18_EUlS17_E_NS1_11comp_targetILNS1_3genE4ELNS1_11target_archE910ELNS1_3gpuE8ELNS1_3repE0EEENS1_30default_config_static_selectorELNS0_4arch9wavefront6targetE0EEEvT1_: ; @_ZN7rocprim17ROCPRIM_400000_NS6detail17trampoline_kernelINS0_14default_configENS1_25partition_config_selectorILNS1_17partition_subalgoE8ElNS0_10empty_typeEbEEZZNS1_14partition_implILS5_8ELb0ES3_jPlPS6_PKS6_NS0_5tupleIJS9_S6_EEENSD_IJSA_SA_EEENS0_18inequality_wrapperIZN2at6native12_GLOBAL__N_124unique_dim_cuda_templateIjEESt5tupleIJNSH_6TensorESM_SM_EERKSM_lbbbEUlllE0_EEPmJS6_EEE10hipError_tPvRmT3_T4_T5_T6_T7_T9_mT8_P12ihipStream_tbDpT10_ENKUlT_T0_E_clISt17integral_constantIbLb0EES1C_EEDaS17_S18_EUlS17_E_NS1_11comp_targetILNS1_3genE4ELNS1_11target_archE910ELNS1_3gpuE8ELNS1_3repE0EEENS1_30default_config_static_selectorELNS0_4arch9wavefront6targetE0EEEvT1_
; %bb.0:
	.section	.rodata,"a",@progbits
	.p2align	6, 0x0
	.amdhsa_kernel _ZN7rocprim17ROCPRIM_400000_NS6detail17trampoline_kernelINS0_14default_configENS1_25partition_config_selectorILNS1_17partition_subalgoE8ElNS0_10empty_typeEbEEZZNS1_14partition_implILS5_8ELb0ES3_jPlPS6_PKS6_NS0_5tupleIJS9_S6_EEENSD_IJSA_SA_EEENS0_18inequality_wrapperIZN2at6native12_GLOBAL__N_124unique_dim_cuda_templateIjEESt5tupleIJNSH_6TensorESM_SM_EERKSM_lbbbEUlllE0_EEPmJS6_EEE10hipError_tPvRmT3_T4_T5_T6_T7_T9_mT8_P12ihipStream_tbDpT10_ENKUlT_T0_E_clISt17integral_constantIbLb0EES1C_EEDaS17_S18_EUlS17_E_NS1_11comp_targetILNS1_3genE4ELNS1_11target_archE910ELNS1_3gpuE8ELNS1_3repE0EEENS1_30default_config_static_selectorELNS0_4arch9wavefront6targetE0EEEvT1_
		.amdhsa_group_segment_fixed_size 0
		.amdhsa_private_segment_fixed_size 0
		.amdhsa_kernarg_size 120
		.amdhsa_user_sgpr_count 15
		.amdhsa_user_sgpr_dispatch_ptr 0
		.amdhsa_user_sgpr_queue_ptr 0
		.amdhsa_user_sgpr_kernarg_segment_ptr 1
		.amdhsa_user_sgpr_dispatch_id 0
		.amdhsa_user_sgpr_private_segment_size 0
		.amdhsa_wavefront_size32 1
		.amdhsa_uses_dynamic_stack 0
		.amdhsa_enable_private_segment 0
		.amdhsa_system_sgpr_workgroup_id_x 1
		.amdhsa_system_sgpr_workgroup_id_y 0
		.amdhsa_system_sgpr_workgroup_id_z 0
		.amdhsa_system_sgpr_workgroup_info 0
		.amdhsa_system_vgpr_workitem_id 0
		.amdhsa_next_free_vgpr 1
		.amdhsa_next_free_sgpr 1
		.amdhsa_reserve_vcc 0
		.amdhsa_float_round_mode_32 0
		.amdhsa_float_round_mode_16_64 0
		.amdhsa_float_denorm_mode_32 3
		.amdhsa_float_denorm_mode_16_64 3
		.amdhsa_dx10_clamp 1
		.amdhsa_ieee_mode 1
		.amdhsa_fp16_overflow 0
		.amdhsa_workgroup_processor_mode 1
		.amdhsa_memory_ordered 1
		.amdhsa_forward_progress 0
		.amdhsa_shared_vgpr_count 0
		.amdhsa_exception_fp_ieee_invalid_op 0
		.amdhsa_exception_fp_denorm_src 0
		.amdhsa_exception_fp_ieee_div_zero 0
		.amdhsa_exception_fp_ieee_overflow 0
		.amdhsa_exception_fp_ieee_underflow 0
		.amdhsa_exception_fp_ieee_inexact 0
		.amdhsa_exception_int_div_zero 0
	.end_amdhsa_kernel
	.section	.text._ZN7rocprim17ROCPRIM_400000_NS6detail17trampoline_kernelINS0_14default_configENS1_25partition_config_selectorILNS1_17partition_subalgoE8ElNS0_10empty_typeEbEEZZNS1_14partition_implILS5_8ELb0ES3_jPlPS6_PKS6_NS0_5tupleIJS9_S6_EEENSD_IJSA_SA_EEENS0_18inequality_wrapperIZN2at6native12_GLOBAL__N_124unique_dim_cuda_templateIjEESt5tupleIJNSH_6TensorESM_SM_EERKSM_lbbbEUlllE0_EEPmJS6_EEE10hipError_tPvRmT3_T4_T5_T6_T7_T9_mT8_P12ihipStream_tbDpT10_ENKUlT_T0_E_clISt17integral_constantIbLb0EES1C_EEDaS17_S18_EUlS17_E_NS1_11comp_targetILNS1_3genE4ELNS1_11target_archE910ELNS1_3gpuE8ELNS1_3repE0EEENS1_30default_config_static_selectorELNS0_4arch9wavefront6targetE0EEEvT1_,"axG",@progbits,_ZN7rocprim17ROCPRIM_400000_NS6detail17trampoline_kernelINS0_14default_configENS1_25partition_config_selectorILNS1_17partition_subalgoE8ElNS0_10empty_typeEbEEZZNS1_14partition_implILS5_8ELb0ES3_jPlPS6_PKS6_NS0_5tupleIJS9_S6_EEENSD_IJSA_SA_EEENS0_18inequality_wrapperIZN2at6native12_GLOBAL__N_124unique_dim_cuda_templateIjEESt5tupleIJNSH_6TensorESM_SM_EERKSM_lbbbEUlllE0_EEPmJS6_EEE10hipError_tPvRmT3_T4_T5_T6_T7_T9_mT8_P12ihipStream_tbDpT10_ENKUlT_T0_E_clISt17integral_constantIbLb0EES1C_EEDaS17_S18_EUlS17_E_NS1_11comp_targetILNS1_3genE4ELNS1_11target_archE910ELNS1_3gpuE8ELNS1_3repE0EEENS1_30default_config_static_selectorELNS0_4arch9wavefront6targetE0EEEvT1_,comdat
.Lfunc_end1541:
	.size	_ZN7rocprim17ROCPRIM_400000_NS6detail17trampoline_kernelINS0_14default_configENS1_25partition_config_selectorILNS1_17partition_subalgoE8ElNS0_10empty_typeEbEEZZNS1_14partition_implILS5_8ELb0ES3_jPlPS6_PKS6_NS0_5tupleIJS9_S6_EEENSD_IJSA_SA_EEENS0_18inequality_wrapperIZN2at6native12_GLOBAL__N_124unique_dim_cuda_templateIjEESt5tupleIJNSH_6TensorESM_SM_EERKSM_lbbbEUlllE0_EEPmJS6_EEE10hipError_tPvRmT3_T4_T5_T6_T7_T9_mT8_P12ihipStream_tbDpT10_ENKUlT_T0_E_clISt17integral_constantIbLb0EES1C_EEDaS17_S18_EUlS17_E_NS1_11comp_targetILNS1_3genE4ELNS1_11target_archE910ELNS1_3gpuE8ELNS1_3repE0EEENS1_30default_config_static_selectorELNS0_4arch9wavefront6targetE0EEEvT1_, .Lfunc_end1541-_ZN7rocprim17ROCPRIM_400000_NS6detail17trampoline_kernelINS0_14default_configENS1_25partition_config_selectorILNS1_17partition_subalgoE8ElNS0_10empty_typeEbEEZZNS1_14partition_implILS5_8ELb0ES3_jPlPS6_PKS6_NS0_5tupleIJS9_S6_EEENSD_IJSA_SA_EEENS0_18inequality_wrapperIZN2at6native12_GLOBAL__N_124unique_dim_cuda_templateIjEESt5tupleIJNSH_6TensorESM_SM_EERKSM_lbbbEUlllE0_EEPmJS6_EEE10hipError_tPvRmT3_T4_T5_T6_T7_T9_mT8_P12ihipStream_tbDpT10_ENKUlT_T0_E_clISt17integral_constantIbLb0EES1C_EEDaS17_S18_EUlS17_E_NS1_11comp_targetILNS1_3genE4ELNS1_11target_archE910ELNS1_3gpuE8ELNS1_3repE0EEENS1_30default_config_static_selectorELNS0_4arch9wavefront6targetE0EEEvT1_
                                        ; -- End function
	.section	.AMDGPU.csdata,"",@progbits
; Kernel info:
; codeLenInByte = 0
; NumSgprs: 0
; NumVgprs: 0
; ScratchSize: 0
; MemoryBound: 0
; FloatMode: 240
; IeeeMode: 1
; LDSByteSize: 0 bytes/workgroup (compile time only)
; SGPRBlocks: 0
; VGPRBlocks: 0
; NumSGPRsForWavesPerEU: 1
; NumVGPRsForWavesPerEU: 1
; Occupancy: 16
; WaveLimiterHint : 0
; COMPUTE_PGM_RSRC2:SCRATCH_EN: 0
; COMPUTE_PGM_RSRC2:USER_SGPR: 15
; COMPUTE_PGM_RSRC2:TRAP_HANDLER: 0
; COMPUTE_PGM_RSRC2:TGID_X_EN: 1
; COMPUTE_PGM_RSRC2:TGID_Y_EN: 0
; COMPUTE_PGM_RSRC2:TGID_Z_EN: 0
; COMPUTE_PGM_RSRC2:TIDIG_COMP_CNT: 0
	.section	.text._ZN7rocprim17ROCPRIM_400000_NS6detail17trampoline_kernelINS0_14default_configENS1_25partition_config_selectorILNS1_17partition_subalgoE8ElNS0_10empty_typeEbEEZZNS1_14partition_implILS5_8ELb0ES3_jPlPS6_PKS6_NS0_5tupleIJS9_S6_EEENSD_IJSA_SA_EEENS0_18inequality_wrapperIZN2at6native12_GLOBAL__N_124unique_dim_cuda_templateIjEESt5tupleIJNSH_6TensorESM_SM_EERKSM_lbbbEUlllE0_EEPmJS6_EEE10hipError_tPvRmT3_T4_T5_T6_T7_T9_mT8_P12ihipStream_tbDpT10_ENKUlT_T0_E_clISt17integral_constantIbLb0EES1C_EEDaS17_S18_EUlS17_E_NS1_11comp_targetILNS1_3genE3ELNS1_11target_archE908ELNS1_3gpuE7ELNS1_3repE0EEENS1_30default_config_static_selectorELNS0_4arch9wavefront6targetE0EEEvT1_,"axG",@progbits,_ZN7rocprim17ROCPRIM_400000_NS6detail17trampoline_kernelINS0_14default_configENS1_25partition_config_selectorILNS1_17partition_subalgoE8ElNS0_10empty_typeEbEEZZNS1_14partition_implILS5_8ELb0ES3_jPlPS6_PKS6_NS0_5tupleIJS9_S6_EEENSD_IJSA_SA_EEENS0_18inequality_wrapperIZN2at6native12_GLOBAL__N_124unique_dim_cuda_templateIjEESt5tupleIJNSH_6TensorESM_SM_EERKSM_lbbbEUlllE0_EEPmJS6_EEE10hipError_tPvRmT3_T4_T5_T6_T7_T9_mT8_P12ihipStream_tbDpT10_ENKUlT_T0_E_clISt17integral_constantIbLb0EES1C_EEDaS17_S18_EUlS17_E_NS1_11comp_targetILNS1_3genE3ELNS1_11target_archE908ELNS1_3gpuE7ELNS1_3repE0EEENS1_30default_config_static_selectorELNS0_4arch9wavefront6targetE0EEEvT1_,comdat
	.globl	_ZN7rocprim17ROCPRIM_400000_NS6detail17trampoline_kernelINS0_14default_configENS1_25partition_config_selectorILNS1_17partition_subalgoE8ElNS0_10empty_typeEbEEZZNS1_14partition_implILS5_8ELb0ES3_jPlPS6_PKS6_NS0_5tupleIJS9_S6_EEENSD_IJSA_SA_EEENS0_18inequality_wrapperIZN2at6native12_GLOBAL__N_124unique_dim_cuda_templateIjEESt5tupleIJNSH_6TensorESM_SM_EERKSM_lbbbEUlllE0_EEPmJS6_EEE10hipError_tPvRmT3_T4_T5_T6_T7_T9_mT8_P12ihipStream_tbDpT10_ENKUlT_T0_E_clISt17integral_constantIbLb0EES1C_EEDaS17_S18_EUlS17_E_NS1_11comp_targetILNS1_3genE3ELNS1_11target_archE908ELNS1_3gpuE7ELNS1_3repE0EEENS1_30default_config_static_selectorELNS0_4arch9wavefront6targetE0EEEvT1_ ; -- Begin function _ZN7rocprim17ROCPRIM_400000_NS6detail17trampoline_kernelINS0_14default_configENS1_25partition_config_selectorILNS1_17partition_subalgoE8ElNS0_10empty_typeEbEEZZNS1_14partition_implILS5_8ELb0ES3_jPlPS6_PKS6_NS0_5tupleIJS9_S6_EEENSD_IJSA_SA_EEENS0_18inequality_wrapperIZN2at6native12_GLOBAL__N_124unique_dim_cuda_templateIjEESt5tupleIJNSH_6TensorESM_SM_EERKSM_lbbbEUlllE0_EEPmJS6_EEE10hipError_tPvRmT3_T4_T5_T6_T7_T9_mT8_P12ihipStream_tbDpT10_ENKUlT_T0_E_clISt17integral_constantIbLb0EES1C_EEDaS17_S18_EUlS17_E_NS1_11comp_targetILNS1_3genE3ELNS1_11target_archE908ELNS1_3gpuE7ELNS1_3repE0EEENS1_30default_config_static_selectorELNS0_4arch9wavefront6targetE0EEEvT1_
	.p2align	8
	.type	_ZN7rocprim17ROCPRIM_400000_NS6detail17trampoline_kernelINS0_14default_configENS1_25partition_config_selectorILNS1_17partition_subalgoE8ElNS0_10empty_typeEbEEZZNS1_14partition_implILS5_8ELb0ES3_jPlPS6_PKS6_NS0_5tupleIJS9_S6_EEENSD_IJSA_SA_EEENS0_18inequality_wrapperIZN2at6native12_GLOBAL__N_124unique_dim_cuda_templateIjEESt5tupleIJNSH_6TensorESM_SM_EERKSM_lbbbEUlllE0_EEPmJS6_EEE10hipError_tPvRmT3_T4_T5_T6_T7_T9_mT8_P12ihipStream_tbDpT10_ENKUlT_T0_E_clISt17integral_constantIbLb0EES1C_EEDaS17_S18_EUlS17_E_NS1_11comp_targetILNS1_3genE3ELNS1_11target_archE908ELNS1_3gpuE7ELNS1_3repE0EEENS1_30default_config_static_selectorELNS0_4arch9wavefront6targetE0EEEvT1_,@function
_ZN7rocprim17ROCPRIM_400000_NS6detail17trampoline_kernelINS0_14default_configENS1_25partition_config_selectorILNS1_17partition_subalgoE8ElNS0_10empty_typeEbEEZZNS1_14partition_implILS5_8ELb0ES3_jPlPS6_PKS6_NS0_5tupleIJS9_S6_EEENSD_IJSA_SA_EEENS0_18inequality_wrapperIZN2at6native12_GLOBAL__N_124unique_dim_cuda_templateIjEESt5tupleIJNSH_6TensorESM_SM_EERKSM_lbbbEUlllE0_EEPmJS6_EEE10hipError_tPvRmT3_T4_T5_T6_T7_T9_mT8_P12ihipStream_tbDpT10_ENKUlT_T0_E_clISt17integral_constantIbLb0EES1C_EEDaS17_S18_EUlS17_E_NS1_11comp_targetILNS1_3genE3ELNS1_11target_archE908ELNS1_3gpuE7ELNS1_3repE0EEENS1_30default_config_static_selectorELNS0_4arch9wavefront6targetE0EEEvT1_: ; @_ZN7rocprim17ROCPRIM_400000_NS6detail17trampoline_kernelINS0_14default_configENS1_25partition_config_selectorILNS1_17partition_subalgoE8ElNS0_10empty_typeEbEEZZNS1_14partition_implILS5_8ELb0ES3_jPlPS6_PKS6_NS0_5tupleIJS9_S6_EEENSD_IJSA_SA_EEENS0_18inequality_wrapperIZN2at6native12_GLOBAL__N_124unique_dim_cuda_templateIjEESt5tupleIJNSH_6TensorESM_SM_EERKSM_lbbbEUlllE0_EEPmJS6_EEE10hipError_tPvRmT3_T4_T5_T6_T7_T9_mT8_P12ihipStream_tbDpT10_ENKUlT_T0_E_clISt17integral_constantIbLb0EES1C_EEDaS17_S18_EUlS17_E_NS1_11comp_targetILNS1_3genE3ELNS1_11target_archE908ELNS1_3gpuE7ELNS1_3repE0EEENS1_30default_config_static_selectorELNS0_4arch9wavefront6targetE0EEEvT1_
; %bb.0:
	.section	.rodata,"a",@progbits
	.p2align	6, 0x0
	.amdhsa_kernel _ZN7rocprim17ROCPRIM_400000_NS6detail17trampoline_kernelINS0_14default_configENS1_25partition_config_selectorILNS1_17partition_subalgoE8ElNS0_10empty_typeEbEEZZNS1_14partition_implILS5_8ELb0ES3_jPlPS6_PKS6_NS0_5tupleIJS9_S6_EEENSD_IJSA_SA_EEENS0_18inequality_wrapperIZN2at6native12_GLOBAL__N_124unique_dim_cuda_templateIjEESt5tupleIJNSH_6TensorESM_SM_EERKSM_lbbbEUlllE0_EEPmJS6_EEE10hipError_tPvRmT3_T4_T5_T6_T7_T9_mT8_P12ihipStream_tbDpT10_ENKUlT_T0_E_clISt17integral_constantIbLb0EES1C_EEDaS17_S18_EUlS17_E_NS1_11comp_targetILNS1_3genE3ELNS1_11target_archE908ELNS1_3gpuE7ELNS1_3repE0EEENS1_30default_config_static_selectorELNS0_4arch9wavefront6targetE0EEEvT1_
		.amdhsa_group_segment_fixed_size 0
		.amdhsa_private_segment_fixed_size 0
		.amdhsa_kernarg_size 120
		.amdhsa_user_sgpr_count 15
		.amdhsa_user_sgpr_dispatch_ptr 0
		.amdhsa_user_sgpr_queue_ptr 0
		.amdhsa_user_sgpr_kernarg_segment_ptr 1
		.amdhsa_user_sgpr_dispatch_id 0
		.amdhsa_user_sgpr_private_segment_size 0
		.amdhsa_wavefront_size32 1
		.amdhsa_uses_dynamic_stack 0
		.amdhsa_enable_private_segment 0
		.amdhsa_system_sgpr_workgroup_id_x 1
		.amdhsa_system_sgpr_workgroup_id_y 0
		.amdhsa_system_sgpr_workgroup_id_z 0
		.amdhsa_system_sgpr_workgroup_info 0
		.amdhsa_system_vgpr_workitem_id 0
		.amdhsa_next_free_vgpr 1
		.amdhsa_next_free_sgpr 1
		.amdhsa_reserve_vcc 0
		.amdhsa_float_round_mode_32 0
		.amdhsa_float_round_mode_16_64 0
		.amdhsa_float_denorm_mode_32 3
		.amdhsa_float_denorm_mode_16_64 3
		.amdhsa_dx10_clamp 1
		.amdhsa_ieee_mode 1
		.amdhsa_fp16_overflow 0
		.amdhsa_workgroup_processor_mode 1
		.amdhsa_memory_ordered 1
		.amdhsa_forward_progress 0
		.amdhsa_shared_vgpr_count 0
		.amdhsa_exception_fp_ieee_invalid_op 0
		.amdhsa_exception_fp_denorm_src 0
		.amdhsa_exception_fp_ieee_div_zero 0
		.amdhsa_exception_fp_ieee_overflow 0
		.amdhsa_exception_fp_ieee_underflow 0
		.amdhsa_exception_fp_ieee_inexact 0
		.amdhsa_exception_int_div_zero 0
	.end_amdhsa_kernel
	.section	.text._ZN7rocprim17ROCPRIM_400000_NS6detail17trampoline_kernelINS0_14default_configENS1_25partition_config_selectorILNS1_17partition_subalgoE8ElNS0_10empty_typeEbEEZZNS1_14partition_implILS5_8ELb0ES3_jPlPS6_PKS6_NS0_5tupleIJS9_S6_EEENSD_IJSA_SA_EEENS0_18inequality_wrapperIZN2at6native12_GLOBAL__N_124unique_dim_cuda_templateIjEESt5tupleIJNSH_6TensorESM_SM_EERKSM_lbbbEUlllE0_EEPmJS6_EEE10hipError_tPvRmT3_T4_T5_T6_T7_T9_mT8_P12ihipStream_tbDpT10_ENKUlT_T0_E_clISt17integral_constantIbLb0EES1C_EEDaS17_S18_EUlS17_E_NS1_11comp_targetILNS1_3genE3ELNS1_11target_archE908ELNS1_3gpuE7ELNS1_3repE0EEENS1_30default_config_static_selectorELNS0_4arch9wavefront6targetE0EEEvT1_,"axG",@progbits,_ZN7rocprim17ROCPRIM_400000_NS6detail17trampoline_kernelINS0_14default_configENS1_25partition_config_selectorILNS1_17partition_subalgoE8ElNS0_10empty_typeEbEEZZNS1_14partition_implILS5_8ELb0ES3_jPlPS6_PKS6_NS0_5tupleIJS9_S6_EEENSD_IJSA_SA_EEENS0_18inequality_wrapperIZN2at6native12_GLOBAL__N_124unique_dim_cuda_templateIjEESt5tupleIJNSH_6TensorESM_SM_EERKSM_lbbbEUlllE0_EEPmJS6_EEE10hipError_tPvRmT3_T4_T5_T6_T7_T9_mT8_P12ihipStream_tbDpT10_ENKUlT_T0_E_clISt17integral_constantIbLb0EES1C_EEDaS17_S18_EUlS17_E_NS1_11comp_targetILNS1_3genE3ELNS1_11target_archE908ELNS1_3gpuE7ELNS1_3repE0EEENS1_30default_config_static_selectorELNS0_4arch9wavefront6targetE0EEEvT1_,comdat
.Lfunc_end1542:
	.size	_ZN7rocprim17ROCPRIM_400000_NS6detail17trampoline_kernelINS0_14default_configENS1_25partition_config_selectorILNS1_17partition_subalgoE8ElNS0_10empty_typeEbEEZZNS1_14partition_implILS5_8ELb0ES3_jPlPS6_PKS6_NS0_5tupleIJS9_S6_EEENSD_IJSA_SA_EEENS0_18inequality_wrapperIZN2at6native12_GLOBAL__N_124unique_dim_cuda_templateIjEESt5tupleIJNSH_6TensorESM_SM_EERKSM_lbbbEUlllE0_EEPmJS6_EEE10hipError_tPvRmT3_T4_T5_T6_T7_T9_mT8_P12ihipStream_tbDpT10_ENKUlT_T0_E_clISt17integral_constantIbLb0EES1C_EEDaS17_S18_EUlS17_E_NS1_11comp_targetILNS1_3genE3ELNS1_11target_archE908ELNS1_3gpuE7ELNS1_3repE0EEENS1_30default_config_static_selectorELNS0_4arch9wavefront6targetE0EEEvT1_, .Lfunc_end1542-_ZN7rocprim17ROCPRIM_400000_NS6detail17trampoline_kernelINS0_14default_configENS1_25partition_config_selectorILNS1_17partition_subalgoE8ElNS0_10empty_typeEbEEZZNS1_14partition_implILS5_8ELb0ES3_jPlPS6_PKS6_NS0_5tupleIJS9_S6_EEENSD_IJSA_SA_EEENS0_18inequality_wrapperIZN2at6native12_GLOBAL__N_124unique_dim_cuda_templateIjEESt5tupleIJNSH_6TensorESM_SM_EERKSM_lbbbEUlllE0_EEPmJS6_EEE10hipError_tPvRmT3_T4_T5_T6_T7_T9_mT8_P12ihipStream_tbDpT10_ENKUlT_T0_E_clISt17integral_constantIbLb0EES1C_EEDaS17_S18_EUlS17_E_NS1_11comp_targetILNS1_3genE3ELNS1_11target_archE908ELNS1_3gpuE7ELNS1_3repE0EEENS1_30default_config_static_selectorELNS0_4arch9wavefront6targetE0EEEvT1_
                                        ; -- End function
	.section	.AMDGPU.csdata,"",@progbits
; Kernel info:
; codeLenInByte = 0
; NumSgprs: 0
; NumVgprs: 0
; ScratchSize: 0
; MemoryBound: 0
; FloatMode: 240
; IeeeMode: 1
; LDSByteSize: 0 bytes/workgroup (compile time only)
; SGPRBlocks: 0
; VGPRBlocks: 0
; NumSGPRsForWavesPerEU: 1
; NumVGPRsForWavesPerEU: 1
; Occupancy: 16
; WaveLimiterHint : 0
; COMPUTE_PGM_RSRC2:SCRATCH_EN: 0
; COMPUTE_PGM_RSRC2:USER_SGPR: 15
; COMPUTE_PGM_RSRC2:TRAP_HANDLER: 0
; COMPUTE_PGM_RSRC2:TGID_X_EN: 1
; COMPUTE_PGM_RSRC2:TGID_Y_EN: 0
; COMPUTE_PGM_RSRC2:TGID_Z_EN: 0
; COMPUTE_PGM_RSRC2:TIDIG_COMP_CNT: 0
	.section	.text._ZN7rocprim17ROCPRIM_400000_NS6detail17trampoline_kernelINS0_14default_configENS1_25partition_config_selectorILNS1_17partition_subalgoE8ElNS0_10empty_typeEbEEZZNS1_14partition_implILS5_8ELb0ES3_jPlPS6_PKS6_NS0_5tupleIJS9_S6_EEENSD_IJSA_SA_EEENS0_18inequality_wrapperIZN2at6native12_GLOBAL__N_124unique_dim_cuda_templateIjEESt5tupleIJNSH_6TensorESM_SM_EERKSM_lbbbEUlllE0_EEPmJS6_EEE10hipError_tPvRmT3_T4_T5_T6_T7_T9_mT8_P12ihipStream_tbDpT10_ENKUlT_T0_E_clISt17integral_constantIbLb0EES1C_EEDaS17_S18_EUlS17_E_NS1_11comp_targetILNS1_3genE2ELNS1_11target_archE906ELNS1_3gpuE6ELNS1_3repE0EEENS1_30default_config_static_selectorELNS0_4arch9wavefront6targetE0EEEvT1_,"axG",@progbits,_ZN7rocprim17ROCPRIM_400000_NS6detail17trampoline_kernelINS0_14default_configENS1_25partition_config_selectorILNS1_17partition_subalgoE8ElNS0_10empty_typeEbEEZZNS1_14partition_implILS5_8ELb0ES3_jPlPS6_PKS6_NS0_5tupleIJS9_S6_EEENSD_IJSA_SA_EEENS0_18inequality_wrapperIZN2at6native12_GLOBAL__N_124unique_dim_cuda_templateIjEESt5tupleIJNSH_6TensorESM_SM_EERKSM_lbbbEUlllE0_EEPmJS6_EEE10hipError_tPvRmT3_T4_T5_T6_T7_T9_mT8_P12ihipStream_tbDpT10_ENKUlT_T0_E_clISt17integral_constantIbLb0EES1C_EEDaS17_S18_EUlS17_E_NS1_11comp_targetILNS1_3genE2ELNS1_11target_archE906ELNS1_3gpuE6ELNS1_3repE0EEENS1_30default_config_static_selectorELNS0_4arch9wavefront6targetE0EEEvT1_,comdat
	.globl	_ZN7rocprim17ROCPRIM_400000_NS6detail17trampoline_kernelINS0_14default_configENS1_25partition_config_selectorILNS1_17partition_subalgoE8ElNS0_10empty_typeEbEEZZNS1_14partition_implILS5_8ELb0ES3_jPlPS6_PKS6_NS0_5tupleIJS9_S6_EEENSD_IJSA_SA_EEENS0_18inequality_wrapperIZN2at6native12_GLOBAL__N_124unique_dim_cuda_templateIjEESt5tupleIJNSH_6TensorESM_SM_EERKSM_lbbbEUlllE0_EEPmJS6_EEE10hipError_tPvRmT3_T4_T5_T6_T7_T9_mT8_P12ihipStream_tbDpT10_ENKUlT_T0_E_clISt17integral_constantIbLb0EES1C_EEDaS17_S18_EUlS17_E_NS1_11comp_targetILNS1_3genE2ELNS1_11target_archE906ELNS1_3gpuE6ELNS1_3repE0EEENS1_30default_config_static_selectorELNS0_4arch9wavefront6targetE0EEEvT1_ ; -- Begin function _ZN7rocprim17ROCPRIM_400000_NS6detail17trampoline_kernelINS0_14default_configENS1_25partition_config_selectorILNS1_17partition_subalgoE8ElNS0_10empty_typeEbEEZZNS1_14partition_implILS5_8ELb0ES3_jPlPS6_PKS6_NS0_5tupleIJS9_S6_EEENSD_IJSA_SA_EEENS0_18inequality_wrapperIZN2at6native12_GLOBAL__N_124unique_dim_cuda_templateIjEESt5tupleIJNSH_6TensorESM_SM_EERKSM_lbbbEUlllE0_EEPmJS6_EEE10hipError_tPvRmT3_T4_T5_T6_T7_T9_mT8_P12ihipStream_tbDpT10_ENKUlT_T0_E_clISt17integral_constantIbLb0EES1C_EEDaS17_S18_EUlS17_E_NS1_11comp_targetILNS1_3genE2ELNS1_11target_archE906ELNS1_3gpuE6ELNS1_3repE0EEENS1_30default_config_static_selectorELNS0_4arch9wavefront6targetE0EEEvT1_
	.p2align	8
	.type	_ZN7rocprim17ROCPRIM_400000_NS6detail17trampoline_kernelINS0_14default_configENS1_25partition_config_selectorILNS1_17partition_subalgoE8ElNS0_10empty_typeEbEEZZNS1_14partition_implILS5_8ELb0ES3_jPlPS6_PKS6_NS0_5tupleIJS9_S6_EEENSD_IJSA_SA_EEENS0_18inequality_wrapperIZN2at6native12_GLOBAL__N_124unique_dim_cuda_templateIjEESt5tupleIJNSH_6TensorESM_SM_EERKSM_lbbbEUlllE0_EEPmJS6_EEE10hipError_tPvRmT3_T4_T5_T6_T7_T9_mT8_P12ihipStream_tbDpT10_ENKUlT_T0_E_clISt17integral_constantIbLb0EES1C_EEDaS17_S18_EUlS17_E_NS1_11comp_targetILNS1_3genE2ELNS1_11target_archE906ELNS1_3gpuE6ELNS1_3repE0EEENS1_30default_config_static_selectorELNS0_4arch9wavefront6targetE0EEEvT1_,@function
_ZN7rocprim17ROCPRIM_400000_NS6detail17trampoline_kernelINS0_14default_configENS1_25partition_config_selectorILNS1_17partition_subalgoE8ElNS0_10empty_typeEbEEZZNS1_14partition_implILS5_8ELb0ES3_jPlPS6_PKS6_NS0_5tupleIJS9_S6_EEENSD_IJSA_SA_EEENS0_18inequality_wrapperIZN2at6native12_GLOBAL__N_124unique_dim_cuda_templateIjEESt5tupleIJNSH_6TensorESM_SM_EERKSM_lbbbEUlllE0_EEPmJS6_EEE10hipError_tPvRmT3_T4_T5_T6_T7_T9_mT8_P12ihipStream_tbDpT10_ENKUlT_T0_E_clISt17integral_constantIbLb0EES1C_EEDaS17_S18_EUlS17_E_NS1_11comp_targetILNS1_3genE2ELNS1_11target_archE906ELNS1_3gpuE6ELNS1_3repE0EEENS1_30default_config_static_selectorELNS0_4arch9wavefront6targetE0EEEvT1_: ; @_ZN7rocprim17ROCPRIM_400000_NS6detail17trampoline_kernelINS0_14default_configENS1_25partition_config_selectorILNS1_17partition_subalgoE8ElNS0_10empty_typeEbEEZZNS1_14partition_implILS5_8ELb0ES3_jPlPS6_PKS6_NS0_5tupleIJS9_S6_EEENSD_IJSA_SA_EEENS0_18inequality_wrapperIZN2at6native12_GLOBAL__N_124unique_dim_cuda_templateIjEESt5tupleIJNSH_6TensorESM_SM_EERKSM_lbbbEUlllE0_EEPmJS6_EEE10hipError_tPvRmT3_T4_T5_T6_T7_T9_mT8_P12ihipStream_tbDpT10_ENKUlT_T0_E_clISt17integral_constantIbLb0EES1C_EEDaS17_S18_EUlS17_E_NS1_11comp_targetILNS1_3genE2ELNS1_11target_archE906ELNS1_3gpuE6ELNS1_3repE0EEENS1_30default_config_static_selectorELNS0_4arch9wavefront6targetE0EEEvT1_
; %bb.0:
	.section	.rodata,"a",@progbits
	.p2align	6, 0x0
	.amdhsa_kernel _ZN7rocprim17ROCPRIM_400000_NS6detail17trampoline_kernelINS0_14default_configENS1_25partition_config_selectorILNS1_17partition_subalgoE8ElNS0_10empty_typeEbEEZZNS1_14partition_implILS5_8ELb0ES3_jPlPS6_PKS6_NS0_5tupleIJS9_S6_EEENSD_IJSA_SA_EEENS0_18inequality_wrapperIZN2at6native12_GLOBAL__N_124unique_dim_cuda_templateIjEESt5tupleIJNSH_6TensorESM_SM_EERKSM_lbbbEUlllE0_EEPmJS6_EEE10hipError_tPvRmT3_T4_T5_T6_T7_T9_mT8_P12ihipStream_tbDpT10_ENKUlT_T0_E_clISt17integral_constantIbLb0EES1C_EEDaS17_S18_EUlS17_E_NS1_11comp_targetILNS1_3genE2ELNS1_11target_archE906ELNS1_3gpuE6ELNS1_3repE0EEENS1_30default_config_static_selectorELNS0_4arch9wavefront6targetE0EEEvT1_
		.amdhsa_group_segment_fixed_size 0
		.amdhsa_private_segment_fixed_size 0
		.amdhsa_kernarg_size 120
		.amdhsa_user_sgpr_count 15
		.amdhsa_user_sgpr_dispatch_ptr 0
		.amdhsa_user_sgpr_queue_ptr 0
		.amdhsa_user_sgpr_kernarg_segment_ptr 1
		.amdhsa_user_sgpr_dispatch_id 0
		.amdhsa_user_sgpr_private_segment_size 0
		.amdhsa_wavefront_size32 1
		.amdhsa_uses_dynamic_stack 0
		.amdhsa_enable_private_segment 0
		.amdhsa_system_sgpr_workgroup_id_x 1
		.amdhsa_system_sgpr_workgroup_id_y 0
		.amdhsa_system_sgpr_workgroup_id_z 0
		.amdhsa_system_sgpr_workgroup_info 0
		.amdhsa_system_vgpr_workitem_id 0
		.amdhsa_next_free_vgpr 1
		.amdhsa_next_free_sgpr 1
		.amdhsa_reserve_vcc 0
		.amdhsa_float_round_mode_32 0
		.amdhsa_float_round_mode_16_64 0
		.amdhsa_float_denorm_mode_32 3
		.amdhsa_float_denorm_mode_16_64 3
		.amdhsa_dx10_clamp 1
		.amdhsa_ieee_mode 1
		.amdhsa_fp16_overflow 0
		.amdhsa_workgroup_processor_mode 1
		.amdhsa_memory_ordered 1
		.amdhsa_forward_progress 0
		.amdhsa_shared_vgpr_count 0
		.amdhsa_exception_fp_ieee_invalid_op 0
		.amdhsa_exception_fp_denorm_src 0
		.amdhsa_exception_fp_ieee_div_zero 0
		.amdhsa_exception_fp_ieee_overflow 0
		.amdhsa_exception_fp_ieee_underflow 0
		.amdhsa_exception_fp_ieee_inexact 0
		.amdhsa_exception_int_div_zero 0
	.end_amdhsa_kernel
	.section	.text._ZN7rocprim17ROCPRIM_400000_NS6detail17trampoline_kernelINS0_14default_configENS1_25partition_config_selectorILNS1_17partition_subalgoE8ElNS0_10empty_typeEbEEZZNS1_14partition_implILS5_8ELb0ES3_jPlPS6_PKS6_NS0_5tupleIJS9_S6_EEENSD_IJSA_SA_EEENS0_18inequality_wrapperIZN2at6native12_GLOBAL__N_124unique_dim_cuda_templateIjEESt5tupleIJNSH_6TensorESM_SM_EERKSM_lbbbEUlllE0_EEPmJS6_EEE10hipError_tPvRmT3_T4_T5_T6_T7_T9_mT8_P12ihipStream_tbDpT10_ENKUlT_T0_E_clISt17integral_constantIbLb0EES1C_EEDaS17_S18_EUlS17_E_NS1_11comp_targetILNS1_3genE2ELNS1_11target_archE906ELNS1_3gpuE6ELNS1_3repE0EEENS1_30default_config_static_selectorELNS0_4arch9wavefront6targetE0EEEvT1_,"axG",@progbits,_ZN7rocprim17ROCPRIM_400000_NS6detail17trampoline_kernelINS0_14default_configENS1_25partition_config_selectorILNS1_17partition_subalgoE8ElNS0_10empty_typeEbEEZZNS1_14partition_implILS5_8ELb0ES3_jPlPS6_PKS6_NS0_5tupleIJS9_S6_EEENSD_IJSA_SA_EEENS0_18inequality_wrapperIZN2at6native12_GLOBAL__N_124unique_dim_cuda_templateIjEESt5tupleIJNSH_6TensorESM_SM_EERKSM_lbbbEUlllE0_EEPmJS6_EEE10hipError_tPvRmT3_T4_T5_T6_T7_T9_mT8_P12ihipStream_tbDpT10_ENKUlT_T0_E_clISt17integral_constantIbLb0EES1C_EEDaS17_S18_EUlS17_E_NS1_11comp_targetILNS1_3genE2ELNS1_11target_archE906ELNS1_3gpuE6ELNS1_3repE0EEENS1_30default_config_static_selectorELNS0_4arch9wavefront6targetE0EEEvT1_,comdat
.Lfunc_end1543:
	.size	_ZN7rocprim17ROCPRIM_400000_NS6detail17trampoline_kernelINS0_14default_configENS1_25partition_config_selectorILNS1_17partition_subalgoE8ElNS0_10empty_typeEbEEZZNS1_14partition_implILS5_8ELb0ES3_jPlPS6_PKS6_NS0_5tupleIJS9_S6_EEENSD_IJSA_SA_EEENS0_18inequality_wrapperIZN2at6native12_GLOBAL__N_124unique_dim_cuda_templateIjEESt5tupleIJNSH_6TensorESM_SM_EERKSM_lbbbEUlllE0_EEPmJS6_EEE10hipError_tPvRmT3_T4_T5_T6_T7_T9_mT8_P12ihipStream_tbDpT10_ENKUlT_T0_E_clISt17integral_constantIbLb0EES1C_EEDaS17_S18_EUlS17_E_NS1_11comp_targetILNS1_3genE2ELNS1_11target_archE906ELNS1_3gpuE6ELNS1_3repE0EEENS1_30default_config_static_selectorELNS0_4arch9wavefront6targetE0EEEvT1_, .Lfunc_end1543-_ZN7rocprim17ROCPRIM_400000_NS6detail17trampoline_kernelINS0_14default_configENS1_25partition_config_selectorILNS1_17partition_subalgoE8ElNS0_10empty_typeEbEEZZNS1_14partition_implILS5_8ELb0ES3_jPlPS6_PKS6_NS0_5tupleIJS9_S6_EEENSD_IJSA_SA_EEENS0_18inequality_wrapperIZN2at6native12_GLOBAL__N_124unique_dim_cuda_templateIjEESt5tupleIJNSH_6TensorESM_SM_EERKSM_lbbbEUlllE0_EEPmJS6_EEE10hipError_tPvRmT3_T4_T5_T6_T7_T9_mT8_P12ihipStream_tbDpT10_ENKUlT_T0_E_clISt17integral_constantIbLb0EES1C_EEDaS17_S18_EUlS17_E_NS1_11comp_targetILNS1_3genE2ELNS1_11target_archE906ELNS1_3gpuE6ELNS1_3repE0EEENS1_30default_config_static_selectorELNS0_4arch9wavefront6targetE0EEEvT1_
                                        ; -- End function
	.section	.AMDGPU.csdata,"",@progbits
; Kernel info:
; codeLenInByte = 0
; NumSgprs: 0
; NumVgprs: 0
; ScratchSize: 0
; MemoryBound: 0
; FloatMode: 240
; IeeeMode: 1
; LDSByteSize: 0 bytes/workgroup (compile time only)
; SGPRBlocks: 0
; VGPRBlocks: 0
; NumSGPRsForWavesPerEU: 1
; NumVGPRsForWavesPerEU: 1
; Occupancy: 16
; WaveLimiterHint : 0
; COMPUTE_PGM_RSRC2:SCRATCH_EN: 0
; COMPUTE_PGM_RSRC2:USER_SGPR: 15
; COMPUTE_PGM_RSRC2:TRAP_HANDLER: 0
; COMPUTE_PGM_RSRC2:TGID_X_EN: 1
; COMPUTE_PGM_RSRC2:TGID_Y_EN: 0
; COMPUTE_PGM_RSRC2:TGID_Z_EN: 0
; COMPUTE_PGM_RSRC2:TIDIG_COMP_CNT: 0
	.section	.text._ZN7rocprim17ROCPRIM_400000_NS6detail17trampoline_kernelINS0_14default_configENS1_25partition_config_selectorILNS1_17partition_subalgoE8ElNS0_10empty_typeEbEEZZNS1_14partition_implILS5_8ELb0ES3_jPlPS6_PKS6_NS0_5tupleIJS9_S6_EEENSD_IJSA_SA_EEENS0_18inequality_wrapperIZN2at6native12_GLOBAL__N_124unique_dim_cuda_templateIjEESt5tupleIJNSH_6TensorESM_SM_EERKSM_lbbbEUlllE0_EEPmJS6_EEE10hipError_tPvRmT3_T4_T5_T6_T7_T9_mT8_P12ihipStream_tbDpT10_ENKUlT_T0_E_clISt17integral_constantIbLb0EES1C_EEDaS17_S18_EUlS17_E_NS1_11comp_targetILNS1_3genE10ELNS1_11target_archE1200ELNS1_3gpuE4ELNS1_3repE0EEENS1_30default_config_static_selectorELNS0_4arch9wavefront6targetE0EEEvT1_,"axG",@progbits,_ZN7rocprim17ROCPRIM_400000_NS6detail17trampoline_kernelINS0_14default_configENS1_25partition_config_selectorILNS1_17partition_subalgoE8ElNS0_10empty_typeEbEEZZNS1_14partition_implILS5_8ELb0ES3_jPlPS6_PKS6_NS0_5tupleIJS9_S6_EEENSD_IJSA_SA_EEENS0_18inequality_wrapperIZN2at6native12_GLOBAL__N_124unique_dim_cuda_templateIjEESt5tupleIJNSH_6TensorESM_SM_EERKSM_lbbbEUlllE0_EEPmJS6_EEE10hipError_tPvRmT3_T4_T5_T6_T7_T9_mT8_P12ihipStream_tbDpT10_ENKUlT_T0_E_clISt17integral_constantIbLb0EES1C_EEDaS17_S18_EUlS17_E_NS1_11comp_targetILNS1_3genE10ELNS1_11target_archE1200ELNS1_3gpuE4ELNS1_3repE0EEENS1_30default_config_static_selectorELNS0_4arch9wavefront6targetE0EEEvT1_,comdat
	.globl	_ZN7rocprim17ROCPRIM_400000_NS6detail17trampoline_kernelINS0_14default_configENS1_25partition_config_selectorILNS1_17partition_subalgoE8ElNS0_10empty_typeEbEEZZNS1_14partition_implILS5_8ELb0ES3_jPlPS6_PKS6_NS0_5tupleIJS9_S6_EEENSD_IJSA_SA_EEENS0_18inequality_wrapperIZN2at6native12_GLOBAL__N_124unique_dim_cuda_templateIjEESt5tupleIJNSH_6TensorESM_SM_EERKSM_lbbbEUlllE0_EEPmJS6_EEE10hipError_tPvRmT3_T4_T5_T6_T7_T9_mT8_P12ihipStream_tbDpT10_ENKUlT_T0_E_clISt17integral_constantIbLb0EES1C_EEDaS17_S18_EUlS17_E_NS1_11comp_targetILNS1_3genE10ELNS1_11target_archE1200ELNS1_3gpuE4ELNS1_3repE0EEENS1_30default_config_static_selectorELNS0_4arch9wavefront6targetE0EEEvT1_ ; -- Begin function _ZN7rocprim17ROCPRIM_400000_NS6detail17trampoline_kernelINS0_14default_configENS1_25partition_config_selectorILNS1_17partition_subalgoE8ElNS0_10empty_typeEbEEZZNS1_14partition_implILS5_8ELb0ES3_jPlPS6_PKS6_NS0_5tupleIJS9_S6_EEENSD_IJSA_SA_EEENS0_18inequality_wrapperIZN2at6native12_GLOBAL__N_124unique_dim_cuda_templateIjEESt5tupleIJNSH_6TensorESM_SM_EERKSM_lbbbEUlllE0_EEPmJS6_EEE10hipError_tPvRmT3_T4_T5_T6_T7_T9_mT8_P12ihipStream_tbDpT10_ENKUlT_T0_E_clISt17integral_constantIbLb0EES1C_EEDaS17_S18_EUlS17_E_NS1_11comp_targetILNS1_3genE10ELNS1_11target_archE1200ELNS1_3gpuE4ELNS1_3repE0EEENS1_30default_config_static_selectorELNS0_4arch9wavefront6targetE0EEEvT1_
	.p2align	8
	.type	_ZN7rocprim17ROCPRIM_400000_NS6detail17trampoline_kernelINS0_14default_configENS1_25partition_config_selectorILNS1_17partition_subalgoE8ElNS0_10empty_typeEbEEZZNS1_14partition_implILS5_8ELb0ES3_jPlPS6_PKS6_NS0_5tupleIJS9_S6_EEENSD_IJSA_SA_EEENS0_18inequality_wrapperIZN2at6native12_GLOBAL__N_124unique_dim_cuda_templateIjEESt5tupleIJNSH_6TensorESM_SM_EERKSM_lbbbEUlllE0_EEPmJS6_EEE10hipError_tPvRmT3_T4_T5_T6_T7_T9_mT8_P12ihipStream_tbDpT10_ENKUlT_T0_E_clISt17integral_constantIbLb0EES1C_EEDaS17_S18_EUlS17_E_NS1_11comp_targetILNS1_3genE10ELNS1_11target_archE1200ELNS1_3gpuE4ELNS1_3repE0EEENS1_30default_config_static_selectorELNS0_4arch9wavefront6targetE0EEEvT1_,@function
_ZN7rocprim17ROCPRIM_400000_NS6detail17trampoline_kernelINS0_14default_configENS1_25partition_config_selectorILNS1_17partition_subalgoE8ElNS0_10empty_typeEbEEZZNS1_14partition_implILS5_8ELb0ES3_jPlPS6_PKS6_NS0_5tupleIJS9_S6_EEENSD_IJSA_SA_EEENS0_18inequality_wrapperIZN2at6native12_GLOBAL__N_124unique_dim_cuda_templateIjEESt5tupleIJNSH_6TensorESM_SM_EERKSM_lbbbEUlllE0_EEPmJS6_EEE10hipError_tPvRmT3_T4_T5_T6_T7_T9_mT8_P12ihipStream_tbDpT10_ENKUlT_T0_E_clISt17integral_constantIbLb0EES1C_EEDaS17_S18_EUlS17_E_NS1_11comp_targetILNS1_3genE10ELNS1_11target_archE1200ELNS1_3gpuE4ELNS1_3repE0EEENS1_30default_config_static_selectorELNS0_4arch9wavefront6targetE0EEEvT1_: ; @_ZN7rocprim17ROCPRIM_400000_NS6detail17trampoline_kernelINS0_14default_configENS1_25partition_config_selectorILNS1_17partition_subalgoE8ElNS0_10empty_typeEbEEZZNS1_14partition_implILS5_8ELb0ES3_jPlPS6_PKS6_NS0_5tupleIJS9_S6_EEENSD_IJSA_SA_EEENS0_18inequality_wrapperIZN2at6native12_GLOBAL__N_124unique_dim_cuda_templateIjEESt5tupleIJNSH_6TensorESM_SM_EERKSM_lbbbEUlllE0_EEPmJS6_EEE10hipError_tPvRmT3_T4_T5_T6_T7_T9_mT8_P12ihipStream_tbDpT10_ENKUlT_T0_E_clISt17integral_constantIbLb0EES1C_EEDaS17_S18_EUlS17_E_NS1_11comp_targetILNS1_3genE10ELNS1_11target_archE1200ELNS1_3gpuE4ELNS1_3repE0EEENS1_30default_config_static_selectorELNS0_4arch9wavefront6targetE0EEEvT1_
; %bb.0:
	.section	.rodata,"a",@progbits
	.p2align	6, 0x0
	.amdhsa_kernel _ZN7rocprim17ROCPRIM_400000_NS6detail17trampoline_kernelINS0_14default_configENS1_25partition_config_selectorILNS1_17partition_subalgoE8ElNS0_10empty_typeEbEEZZNS1_14partition_implILS5_8ELb0ES3_jPlPS6_PKS6_NS0_5tupleIJS9_S6_EEENSD_IJSA_SA_EEENS0_18inequality_wrapperIZN2at6native12_GLOBAL__N_124unique_dim_cuda_templateIjEESt5tupleIJNSH_6TensorESM_SM_EERKSM_lbbbEUlllE0_EEPmJS6_EEE10hipError_tPvRmT3_T4_T5_T6_T7_T9_mT8_P12ihipStream_tbDpT10_ENKUlT_T0_E_clISt17integral_constantIbLb0EES1C_EEDaS17_S18_EUlS17_E_NS1_11comp_targetILNS1_3genE10ELNS1_11target_archE1200ELNS1_3gpuE4ELNS1_3repE0EEENS1_30default_config_static_selectorELNS0_4arch9wavefront6targetE0EEEvT1_
		.amdhsa_group_segment_fixed_size 0
		.amdhsa_private_segment_fixed_size 0
		.amdhsa_kernarg_size 120
		.amdhsa_user_sgpr_count 15
		.amdhsa_user_sgpr_dispatch_ptr 0
		.amdhsa_user_sgpr_queue_ptr 0
		.amdhsa_user_sgpr_kernarg_segment_ptr 1
		.amdhsa_user_sgpr_dispatch_id 0
		.amdhsa_user_sgpr_private_segment_size 0
		.amdhsa_wavefront_size32 1
		.amdhsa_uses_dynamic_stack 0
		.amdhsa_enable_private_segment 0
		.amdhsa_system_sgpr_workgroup_id_x 1
		.amdhsa_system_sgpr_workgroup_id_y 0
		.amdhsa_system_sgpr_workgroup_id_z 0
		.amdhsa_system_sgpr_workgroup_info 0
		.amdhsa_system_vgpr_workitem_id 0
		.amdhsa_next_free_vgpr 1
		.amdhsa_next_free_sgpr 1
		.amdhsa_reserve_vcc 0
		.amdhsa_float_round_mode_32 0
		.amdhsa_float_round_mode_16_64 0
		.amdhsa_float_denorm_mode_32 3
		.amdhsa_float_denorm_mode_16_64 3
		.amdhsa_dx10_clamp 1
		.amdhsa_ieee_mode 1
		.amdhsa_fp16_overflow 0
		.amdhsa_workgroup_processor_mode 1
		.amdhsa_memory_ordered 1
		.amdhsa_forward_progress 0
		.amdhsa_shared_vgpr_count 0
		.amdhsa_exception_fp_ieee_invalid_op 0
		.amdhsa_exception_fp_denorm_src 0
		.amdhsa_exception_fp_ieee_div_zero 0
		.amdhsa_exception_fp_ieee_overflow 0
		.amdhsa_exception_fp_ieee_underflow 0
		.amdhsa_exception_fp_ieee_inexact 0
		.amdhsa_exception_int_div_zero 0
	.end_amdhsa_kernel
	.section	.text._ZN7rocprim17ROCPRIM_400000_NS6detail17trampoline_kernelINS0_14default_configENS1_25partition_config_selectorILNS1_17partition_subalgoE8ElNS0_10empty_typeEbEEZZNS1_14partition_implILS5_8ELb0ES3_jPlPS6_PKS6_NS0_5tupleIJS9_S6_EEENSD_IJSA_SA_EEENS0_18inequality_wrapperIZN2at6native12_GLOBAL__N_124unique_dim_cuda_templateIjEESt5tupleIJNSH_6TensorESM_SM_EERKSM_lbbbEUlllE0_EEPmJS6_EEE10hipError_tPvRmT3_T4_T5_T6_T7_T9_mT8_P12ihipStream_tbDpT10_ENKUlT_T0_E_clISt17integral_constantIbLb0EES1C_EEDaS17_S18_EUlS17_E_NS1_11comp_targetILNS1_3genE10ELNS1_11target_archE1200ELNS1_3gpuE4ELNS1_3repE0EEENS1_30default_config_static_selectorELNS0_4arch9wavefront6targetE0EEEvT1_,"axG",@progbits,_ZN7rocprim17ROCPRIM_400000_NS6detail17trampoline_kernelINS0_14default_configENS1_25partition_config_selectorILNS1_17partition_subalgoE8ElNS0_10empty_typeEbEEZZNS1_14partition_implILS5_8ELb0ES3_jPlPS6_PKS6_NS0_5tupleIJS9_S6_EEENSD_IJSA_SA_EEENS0_18inequality_wrapperIZN2at6native12_GLOBAL__N_124unique_dim_cuda_templateIjEESt5tupleIJNSH_6TensorESM_SM_EERKSM_lbbbEUlllE0_EEPmJS6_EEE10hipError_tPvRmT3_T4_T5_T6_T7_T9_mT8_P12ihipStream_tbDpT10_ENKUlT_T0_E_clISt17integral_constantIbLb0EES1C_EEDaS17_S18_EUlS17_E_NS1_11comp_targetILNS1_3genE10ELNS1_11target_archE1200ELNS1_3gpuE4ELNS1_3repE0EEENS1_30default_config_static_selectorELNS0_4arch9wavefront6targetE0EEEvT1_,comdat
.Lfunc_end1544:
	.size	_ZN7rocprim17ROCPRIM_400000_NS6detail17trampoline_kernelINS0_14default_configENS1_25partition_config_selectorILNS1_17partition_subalgoE8ElNS0_10empty_typeEbEEZZNS1_14partition_implILS5_8ELb0ES3_jPlPS6_PKS6_NS0_5tupleIJS9_S6_EEENSD_IJSA_SA_EEENS0_18inequality_wrapperIZN2at6native12_GLOBAL__N_124unique_dim_cuda_templateIjEESt5tupleIJNSH_6TensorESM_SM_EERKSM_lbbbEUlllE0_EEPmJS6_EEE10hipError_tPvRmT3_T4_T5_T6_T7_T9_mT8_P12ihipStream_tbDpT10_ENKUlT_T0_E_clISt17integral_constantIbLb0EES1C_EEDaS17_S18_EUlS17_E_NS1_11comp_targetILNS1_3genE10ELNS1_11target_archE1200ELNS1_3gpuE4ELNS1_3repE0EEENS1_30default_config_static_selectorELNS0_4arch9wavefront6targetE0EEEvT1_, .Lfunc_end1544-_ZN7rocprim17ROCPRIM_400000_NS6detail17trampoline_kernelINS0_14default_configENS1_25partition_config_selectorILNS1_17partition_subalgoE8ElNS0_10empty_typeEbEEZZNS1_14partition_implILS5_8ELb0ES3_jPlPS6_PKS6_NS0_5tupleIJS9_S6_EEENSD_IJSA_SA_EEENS0_18inequality_wrapperIZN2at6native12_GLOBAL__N_124unique_dim_cuda_templateIjEESt5tupleIJNSH_6TensorESM_SM_EERKSM_lbbbEUlllE0_EEPmJS6_EEE10hipError_tPvRmT3_T4_T5_T6_T7_T9_mT8_P12ihipStream_tbDpT10_ENKUlT_T0_E_clISt17integral_constantIbLb0EES1C_EEDaS17_S18_EUlS17_E_NS1_11comp_targetILNS1_3genE10ELNS1_11target_archE1200ELNS1_3gpuE4ELNS1_3repE0EEENS1_30default_config_static_selectorELNS0_4arch9wavefront6targetE0EEEvT1_
                                        ; -- End function
	.section	.AMDGPU.csdata,"",@progbits
; Kernel info:
; codeLenInByte = 0
; NumSgprs: 0
; NumVgprs: 0
; ScratchSize: 0
; MemoryBound: 0
; FloatMode: 240
; IeeeMode: 1
; LDSByteSize: 0 bytes/workgroup (compile time only)
; SGPRBlocks: 0
; VGPRBlocks: 0
; NumSGPRsForWavesPerEU: 1
; NumVGPRsForWavesPerEU: 1
; Occupancy: 15
; WaveLimiterHint : 0
; COMPUTE_PGM_RSRC2:SCRATCH_EN: 0
; COMPUTE_PGM_RSRC2:USER_SGPR: 15
; COMPUTE_PGM_RSRC2:TRAP_HANDLER: 0
; COMPUTE_PGM_RSRC2:TGID_X_EN: 1
; COMPUTE_PGM_RSRC2:TGID_Y_EN: 0
; COMPUTE_PGM_RSRC2:TGID_Z_EN: 0
; COMPUTE_PGM_RSRC2:TIDIG_COMP_CNT: 0
	.section	.text._ZN7rocprim17ROCPRIM_400000_NS6detail17trampoline_kernelINS0_14default_configENS1_25partition_config_selectorILNS1_17partition_subalgoE8ElNS0_10empty_typeEbEEZZNS1_14partition_implILS5_8ELb0ES3_jPlPS6_PKS6_NS0_5tupleIJS9_S6_EEENSD_IJSA_SA_EEENS0_18inequality_wrapperIZN2at6native12_GLOBAL__N_124unique_dim_cuda_templateIjEESt5tupleIJNSH_6TensorESM_SM_EERKSM_lbbbEUlllE0_EEPmJS6_EEE10hipError_tPvRmT3_T4_T5_T6_T7_T9_mT8_P12ihipStream_tbDpT10_ENKUlT_T0_E_clISt17integral_constantIbLb0EES1C_EEDaS17_S18_EUlS17_E_NS1_11comp_targetILNS1_3genE9ELNS1_11target_archE1100ELNS1_3gpuE3ELNS1_3repE0EEENS1_30default_config_static_selectorELNS0_4arch9wavefront6targetE0EEEvT1_,"axG",@progbits,_ZN7rocprim17ROCPRIM_400000_NS6detail17trampoline_kernelINS0_14default_configENS1_25partition_config_selectorILNS1_17partition_subalgoE8ElNS0_10empty_typeEbEEZZNS1_14partition_implILS5_8ELb0ES3_jPlPS6_PKS6_NS0_5tupleIJS9_S6_EEENSD_IJSA_SA_EEENS0_18inequality_wrapperIZN2at6native12_GLOBAL__N_124unique_dim_cuda_templateIjEESt5tupleIJNSH_6TensorESM_SM_EERKSM_lbbbEUlllE0_EEPmJS6_EEE10hipError_tPvRmT3_T4_T5_T6_T7_T9_mT8_P12ihipStream_tbDpT10_ENKUlT_T0_E_clISt17integral_constantIbLb0EES1C_EEDaS17_S18_EUlS17_E_NS1_11comp_targetILNS1_3genE9ELNS1_11target_archE1100ELNS1_3gpuE3ELNS1_3repE0EEENS1_30default_config_static_selectorELNS0_4arch9wavefront6targetE0EEEvT1_,comdat
	.globl	_ZN7rocprim17ROCPRIM_400000_NS6detail17trampoline_kernelINS0_14default_configENS1_25partition_config_selectorILNS1_17partition_subalgoE8ElNS0_10empty_typeEbEEZZNS1_14partition_implILS5_8ELb0ES3_jPlPS6_PKS6_NS0_5tupleIJS9_S6_EEENSD_IJSA_SA_EEENS0_18inequality_wrapperIZN2at6native12_GLOBAL__N_124unique_dim_cuda_templateIjEESt5tupleIJNSH_6TensorESM_SM_EERKSM_lbbbEUlllE0_EEPmJS6_EEE10hipError_tPvRmT3_T4_T5_T6_T7_T9_mT8_P12ihipStream_tbDpT10_ENKUlT_T0_E_clISt17integral_constantIbLb0EES1C_EEDaS17_S18_EUlS17_E_NS1_11comp_targetILNS1_3genE9ELNS1_11target_archE1100ELNS1_3gpuE3ELNS1_3repE0EEENS1_30default_config_static_selectorELNS0_4arch9wavefront6targetE0EEEvT1_ ; -- Begin function _ZN7rocprim17ROCPRIM_400000_NS6detail17trampoline_kernelINS0_14default_configENS1_25partition_config_selectorILNS1_17partition_subalgoE8ElNS0_10empty_typeEbEEZZNS1_14partition_implILS5_8ELb0ES3_jPlPS6_PKS6_NS0_5tupleIJS9_S6_EEENSD_IJSA_SA_EEENS0_18inequality_wrapperIZN2at6native12_GLOBAL__N_124unique_dim_cuda_templateIjEESt5tupleIJNSH_6TensorESM_SM_EERKSM_lbbbEUlllE0_EEPmJS6_EEE10hipError_tPvRmT3_T4_T5_T6_T7_T9_mT8_P12ihipStream_tbDpT10_ENKUlT_T0_E_clISt17integral_constantIbLb0EES1C_EEDaS17_S18_EUlS17_E_NS1_11comp_targetILNS1_3genE9ELNS1_11target_archE1100ELNS1_3gpuE3ELNS1_3repE0EEENS1_30default_config_static_selectorELNS0_4arch9wavefront6targetE0EEEvT1_
	.p2align	8
	.type	_ZN7rocprim17ROCPRIM_400000_NS6detail17trampoline_kernelINS0_14default_configENS1_25partition_config_selectorILNS1_17partition_subalgoE8ElNS0_10empty_typeEbEEZZNS1_14partition_implILS5_8ELb0ES3_jPlPS6_PKS6_NS0_5tupleIJS9_S6_EEENSD_IJSA_SA_EEENS0_18inequality_wrapperIZN2at6native12_GLOBAL__N_124unique_dim_cuda_templateIjEESt5tupleIJNSH_6TensorESM_SM_EERKSM_lbbbEUlllE0_EEPmJS6_EEE10hipError_tPvRmT3_T4_T5_T6_T7_T9_mT8_P12ihipStream_tbDpT10_ENKUlT_T0_E_clISt17integral_constantIbLb0EES1C_EEDaS17_S18_EUlS17_E_NS1_11comp_targetILNS1_3genE9ELNS1_11target_archE1100ELNS1_3gpuE3ELNS1_3repE0EEENS1_30default_config_static_selectorELNS0_4arch9wavefront6targetE0EEEvT1_,@function
_ZN7rocprim17ROCPRIM_400000_NS6detail17trampoline_kernelINS0_14default_configENS1_25partition_config_selectorILNS1_17partition_subalgoE8ElNS0_10empty_typeEbEEZZNS1_14partition_implILS5_8ELb0ES3_jPlPS6_PKS6_NS0_5tupleIJS9_S6_EEENSD_IJSA_SA_EEENS0_18inequality_wrapperIZN2at6native12_GLOBAL__N_124unique_dim_cuda_templateIjEESt5tupleIJNSH_6TensorESM_SM_EERKSM_lbbbEUlllE0_EEPmJS6_EEE10hipError_tPvRmT3_T4_T5_T6_T7_T9_mT8_P12ihipStream_tbDpT10_ENKUlT_T0_E_clISt17integral_constantIbLb0EES1C_EEDaS17_S18_EUlS17_E_NS1_11comp_targetILNS1_3genE9ELNS1_11target_archE1100ELNS1_3gpuE3ELNS1_3repE0EEENS1_30default_config_static_selectorELNS0_4arch9wavefront6targetE0EEEvT1_: ; @_ZN7rocprim17ROCPRIM_400000_NS6detail17trampoline_kernelINS0_14default_configENS1_25partition_config_selectorILNS1_17partition_subalgoE8ElNS0_10empty_typeEbEEZZNS1_14partition_implILS5_8ELb0ES3_jPlPS6_PKS6_NS0_5tupleIJS9_S6_EEENSD_IJSA_SA_EEENS0_18inequality_wrapperIZN2at6native12_GLOBAL__N_124unique_dim_cuda_templateIjEESt5tupleIJNSH_6TensorESM_SM_EERKSM_lbbbEUlllE0_EEPmJS6_EEE10hipError_tPvRmT3_T4_T5_T6_T7_T9_mT8_P12ihipStream_tbDpT10_ENKUlT_T0_E_clISt17integral_constantIbLb0EES1C_EEDaS17_S18_EUlS17_E_NS1_11comp_targetILNS1_3genE9ELNS1_11target_archE1100ELNS1_3gpuE3ELNS1_3repE0EEENS1_30default_config_static_selectorELNS0_4arch9wavefront6targetE0EEEvT1_
; %bb.0:
	s_clause 0x3
	s_load_b128 s[4:7], s[0:1], 0x8
	s_load_b256 s[16:23], s[0:1], 0x40
	s_load_b32 s14, s[0:1], 0x70
	s_load_b128 s[8:11], s[0:1], 0x60
	s_mov_b32 s3, 0
	v_lshlrev_b32_e32 v39, 3, v0
	v_lshrrev_b32_e32 v17, 2, v0
	v_or_b32_e32 v24, 0x200, v0
	v_or_b32_e32 v22, 0x400, v0
	;; [unrolled: 1-line block ×7, first 2 shown]
	s_waitcnt lgkmcnt(0)
	s_lshl_b64 s[24:25], s[6:7], 3
	s_load_b64 s[12:13], s[18:19], 0x0
	s_add_u32 s26, s4, s24
	s_addc_u32 s5, s5, s25
	s_add_i32 s24, s14, -1
	s_lshl_b32 s14, s14, 12
	s_lshl_b32 s4, s24, 12
	;; [unrolled: 1-line block ×3, first 2 shown]
	s_add_i32 s4, s6, s4
	s_add_u32 s18, s6, s14
	s_addc_u32 s19, s7, 0
	s_cmp_eq_u32 s15, s24
	v_cmp_ge_u64_e64 s18, s[18:19], s[20:21]
	s_cselect_b32 s14, -1, 0
	s_lshl_b64 s[2:3], s[2:3], 3
	s_delay_alu instid0(VALU_DEP_1) | instskip(NEXT) | instid1(SALU_CYCLE_1)
	s_and_b32 s24, s14, s18
	s_xor_b32 s21, s24, -1
	s_add_u32 s2, s26, s2
	s_addc_u32 s3, s5, s3
	s_and_b32 vcc_lo, exec_lo, s21
	s_mov_b32 s5, -1
	s_cbranch_vccz .LBB1545_2
; %bb.1:
	v_add_co_u32 v9, s5, s2, v39
	s_delay_alu instid0(VALU_DEP_1)
	v_add_co_ci_u32_e64 v10, null, s3, 0, s5
	global_load_b64 v[1:2], v39, s[2:3]
	v_add_co_u32 v3, vcc_lo, v9, 0x2000
	v_add_co_ci_u32_e32 v4, vcc_lo, 0, v10, vcc_lo
	v_add_co_u32 v5, vcc_lo, v9, 0x4000
	v_add_co_ci_u32_e32 v6, vcc_lo, 0, v10, vcc_lo
	;; [unrolled: 2-line block ×4, first 2 shown]
	s_clause 0x6
	global_load_b64 v[11:12], v[3:4], off offset:-4096
	global_load_b64 v[3:4], v[3:4], off
	global_load_b64 v[13:14], v[5:6], off offset:-4096
	global_load_b64 v[5:6], v[5:6], off
	;; [unrolled: 2-line block ×3, first 2 shown]
	global_load_b64 v[9:10], v[9:10], off
	v_lshrrev_b32_e32 v26, 2, v24
	v_lshrrev_b32_e32 v27, 2, v22
	;; [unrolled: 1-line block ×4, first 2 shown]
	v_and_b32_e32 v25, 0x78, v17
	v_lshrrev_b32_e32 v30, 2, v20
	v_lshrrev_b32_e32 v31, 2, v19
	;; [unrolled: 1-line block ×3, first 2 shown]
	v_and_b32_e32 v26, 0xf8, v26
	v_and_b32_e32 v27, 0x178, v27
	;; [unrolled: 1-line block ×4, first 2 shown]
	v_add_nc_u32_e32 v25, v25, v39
	v_and_b32_e32 v30, 0x2f8, v30
	v_and_b32_e32 v31, 0x378, v31
	;; [unrolled: 1-line block ×3, first 2 shown]
	v_add_nc_u32_e32 v26, v26, v39
	v_add_nc_u32_e32 v27, v27, v39
	;; [unrolled: 1-line block ×4, first 2 shown]
	s_mov_b32 s5, 0
	v_add_nc_u32_e32 v30, v30, v39
	v_add_nc_u32_e32 v31, v31, v39
	;; [unrolled: 1-line block ×3, first 2 shown]
	s_waitcnt vmcnt(7)
	ds_store_b64 v25, v[1:2]
	s_waitcnt vmcnt(6)
	ds_store_b64 v26, v[11:12] offset:4096
	s_waitcnt vmcnt(5)
	ds_store_b64 v27, v[3:4] offset:8192
	;; [unrolled: 2-line block ×7, first 2 shown]
	s_waitcnt lgkmcnt(0)
	s_barrier
.LBB1545_2:
	s_and_not1_b32 vcc_lo, exec_lo, s5
	s_sub_i32 s20, s20, s4
	s_cbranch_vccnz .LBB1545_13
; %bb.3:
	s_mov_b32 s4, exec_lo
                                        ; implicit-def: $vgpr1_vgpr2_vgpr3_vgpr4_vgpr5_vgpr6_vgpr7_vgpr8_vgpr9_vgpr10_vgpr11_vgpr12_vgpr13_vgpr14_vgpr15_vgpr16
	v_cmpx_gt_u32_e64 s20, v0
	s_cbranch_execnz .LBB1545_23
; %bb.4:
	s_or_b32 exec_lo, exec_lo, s4
	s_delay_alu instid0(SALU_CYCLE_1)
	s_mov_b32 s4, exec_lo
	v_cmpx_gt_u32_e64 s20, v24
	s_cbranch_execnz .LBB1545_24
.LBB1545_5:
	s_or_b32 exec_lo, exec_lo, s4
	s_delay_alu instid0(SALU_CYCLE_1)
	s_mov_b32 s4, exec_lo
	v_cmpx_gt_u32_e64 s20, v22
	s_cbranch_execnz .LBB1545_25
.LBB1545_6:
	s_or_b32 exec_lo, exec_lo, s4
	s_delay_alu instid0(SALU_CYCLE_1)
	s_mov_b32 s4, exec_lo
	v_cmpx_gt_u32_e64 s20, v23
	s_cbranch_execnz .LBB1545_26
.LBB1545_7:
	s_or_b32 exec_lo, exec_lo, s4
	s_delay_alu instid0(SALU_CYCLE_1)
	s_mov_b32 s4, exec_lo
	v_cmpx_gt_u32_e64 s20, v21
	s_cbranch_execnz .LBB1545_27
.LBB1545_8:
	s_or_b32 exec_lo, exec_lo, s4
	s_delay_alu instid0(SALU_CYCLE_1)
	s_mov_b32 s4, exec_lo
	v_cmpx_gt_u32_e64 s20, v20
	s_cbranch_execnz .LBB1545_28
.LBB1545_9:
	s_or_b32 exec_lo, exec_lo, s4
	s_delay_alu instid0(SALU_CYCLE_1)
	s_mov_b32 s4, exec_lo
	v_cmpx_gt_u32_e64 s20, v19
	s_cbranch_execnz .LBB1545_29
.LBB1545_10:
	s_or_b32 exec_lo, exec_lo, s4
	s_delay_alu instid0(SALU_CYCLE_1)
	s_mov_b32 s4, exec_lo
	v_cmpx_gt_u32_e64 s20, v18
	s_cbranch_execz .LBB1545_12
.LBB1545_11:
	v_lshlrev_b32_e32 v15, 3, v18
	global_load_b64 v[15:16], v15, s[2:3]
.LBB1545_12:
	s_or_b32 exec_lo, exec_lo, s4
	v_lshrrev_b32_e32 v24, 2, v24
	v_lshrrev_b32_e32 v22, 2, v22
	v_lshrrev_b32_e32 v23, 2, v23
	v_lshrrev_b32_e32 v21, 2, v21
	v_and_b32_e32 v25, 0x78, v17
	v_lshrrev_b32_e32 v20, 2, v20
	v_lshrrev_b32_e32 v19, 2, v19
	;; [unrolled: 1-line block ×3, first 2 shown]
	v_and_b32_e32 v24, 0xf8, v24
	v_and_b32_e32 v22, 0x1f8, v22
	;; [unrolled: 1-line block ×4, first 2 shown]
	v_add_nc_u32_e32 v25, v25, v39
	v_and_b32_e32 v20, 0x3f8, v20
	v_and_b32_e32 v19, 0x3f8, v19
	;; [unrolled: 1-line block ×3, first 2 shown]
	v_add_nc_u32_e32 v24, v24, v39
	v_add_nc_u32_e32 v22, v22, v39
	v_add_nc_u32_e32 v23, v23, v39
	v_add_nc_u32_e32 v21, v21, v39
	v_add_nc_u32_e32 v20, v20, v39
	v_add_nc_u32_e32 v19, v19, v39
	v_add_nc_u32_e32 v18, v18, v39
	s_waitcnt vmcnt(0)
	ds_store_b64 v25, v[1:2]
	ds_store_b64 v24, v[3:4] offset:4096
	ds_store_b64 v22, v[5:6] offset:8192
	;; [unrolled: 1-line block ×7, first 2 shown]
	s_waitcnt lgkmcnt(0)
	s_barrier
.LBB1545_13:
	v_add_lshl_u32 v1, v17, v39, 3
	s_waitcnt lgkmcnt(0)
	buffer_gl0_inv
	s_cmp_lg_u32 s15, 0
	v_cmp_gt_i64_e64 s26, s[22:23], 0
	s_cselect_b32 s25, -1, 0
	ds_load_2addr_b64 v[13:16], v1 offset1:1
	ds_load_2addr_b64 v[9:12], v1 offset0:2 offset1:3
	ds_load_2addr_b64 v[5:8], v1 offset0:4 offset1:5
	;; [unrolled: 1-line block ×3, first 2 shown]
	s_cmp_lg_u64 s[6:7], 0
	s_mov_b32 s18, 0
	s_cselect_b32 s4, -1, 0
	s_waitcnt lgkmcnt(0)
	s_or_b32 s4, s25, s4
	s_barrier
	s_and_b32 vcc_lo, exec_lo, s4
	buffer_gl0_inv
	s_cbranch_vccz .LBB1545_22
; %bb.14:
	s_add_u32 s2, s2, -8
	s_addc_u32 s3, s3, -1
	v_cndmask_b32_e64 v25, 0, 1, s26
	s_load_b64 s[4:5], s[2:3], 0x0
	s_and_b32 vcc_lo, exec_lo, s21
	ds_store_b64 v39, v[3:4]
	v_cmp_ne_u32_e64 s2, 1, v25
	s_cbranch_vccz .LBB1545_30
; %bb.15:
	v_mul_lo_u32 v19, v2, s22
	v_mul_lo_u32 v20, v1, s23
	v_mad_u64_u32 v[17:18], null, v1, s22, 0
	s_mov_b32 s3, 0
	s_and_b32 vcc_lo, exec_lo, s2
	s_mov_b32 s27, 0
	s_delay_alu instid0(VALU_DEP_1) | instskip(NEXT) | instid1(VALU_DEP_1)
	v_add3_u32 v18, v18, v20, v19
	v_lshlrev_b64 v[17:18], 2, v[17:18]
	s_cbranch_vccnz .LBB1545_33
; %bb.16:
	v_mul_lo_u32 v21, v4, s22
	v_mul_lo_u32 v22, v3, s23
	v_mad_u64_u32 v[19:20], null, v3, s22, 0
	s_mov_b32 s27, -1
	s_mov_b32 s28, exec_lo
	s_delay_alu instid0(VALU_DEP_1) | instskip(SKIP_2) | instid1(VALU_DEP_3)
	v_add3_u32 v20, v20, v22, v21
	v_add_co_u32 v21, vcc_lo, s8, v17
	v_add_co_ci_u32_e32 v22, vcc_lo, s9, v18, vcc_lo
	v_lshlrev_b64 v[19:20], 2, v[19:20]
	s_delay_alu instid0(VALU_DEP_1) | instskip(NEXT) | instid1(VALU_DEP_2)
	v_add_co_u32 v19, vcc_lo, s8, v19
	v_add_co_ci_u32_e32 v20, vcc_lo, s9, v20, vcc_lo
	s_clause 0x1
	global_load_b32 v23, v[21:22], off
	global_load_b32 v24, v[19:20], off
	s_waitcnt vmcnt(0)
	v_cmpx_eq_u32_e64 v23, v24
	s_cbranch_execz .LBB1545_32
; %bb.17:
	v_add_co_u32 v19, vcc_lo, v19, 4
	v_add_co_ci_u32_e32 v20, vcc_lo, 0, v20, vcc_lo
	v_add_co_u32 v21, vcc_lo, v21, 4
	v_add_co_ci_u32_e32 v22, vcc_lo, 0, v22, vcc_lo
	s_add_u32 s6, s22, -1
	s_addc_u32 s7, s23, -1
	s_mov_b64 s[18:19], 0
	s_mov_b32 s27, 0
                                        ; implicit-def: $sgpr29
	s_set_inst_prefetch_distance 0x1
	s_branch .LBB1545_20
	.p2align	6
.LBB1545_18:                            ;   in Loop: Header=BB1545_20 Depth=1
	global_load_b32 v23, v[21:22], off
	global_load_b32 v24, v[19:20], off
	v_add_co_u32 v19, vcc_lo, v19, 4
	v_add_co_ci_u32_e32 v20, vcc_lo, 0, v20, vcc_lo
	v_add_co_u32 v21, s2, v21, 4
	s_delay_alu instid0(VALU_DEP_1)
	v_add_co_ci_u32_e64 v22, s2, 0, v22, s2
	s_add_u32 s18, s18, 1
	s_addc_u32 s19, s19, 0
	s_and_not1_b32 s2, s29, exec_lo
	s_waitcnt vmcnt(0)
	v_cmp_ne_u32_e32 vcc_lo, v23, v24
	s_and_b32 s29, vcc_lo, exec_lo
	s_delay_alu instid0(SALU_CYCLE_1)
	s_or_b32 s29, s2, s29
.LBB1545_19:                            ;   in Loop: Header=BB1545_20 Depth=1
	v_dual_mov_b32 v24, s19 :: v_dual_mov_b32 v23, s18
	s_and_b32 s2, exec_lo, s29
	s_delay_alu instid0(SALU_CYCLE_1) | instskip(NEXT) | instid1(SALU_CYCLE_1)
	s_or_b32 s27, s2, s27
	s_and_not1_b32 exec_lo, exec_lo, s27
	s_cbranch_execz .LBB1545_31
.LBB1545_20:                            ; =>This Inner Loop Header: Depth=1
	s_or_b32 s29, s29, exec_lo
	s_cmp_eq_u64 s[6:7], s[18:19]
	s_cbranch_scc0 .LBB1545_18
; %bb.21:                               ;   in Loop: Header=BB1545_20 Depth=1
	s_mov_b64 s[18:19], s[22:23]
                                        ; implicit-def: $vgpr19_vgpr20
                                        ; implicit-def: $vgpr21_vgpr22
	s_branch .LBB1545_19
.LBB1545_22:
                                        ; implicit-def: $sgpr2
                                        ; implicit-def: $vgpr18
	s_branch .LBB1545_191
.LBB1545_23:
	global_load_b64 v[1:2], v39, s[2:3]
	s_or_b32 exec_lo, exec_lo, s4
	s_delay_alu instid0(SALU_CYCLE_1)
	s_mov_b32 s4, exec_lo
	v_cmpx_gt_u32_e64 s20, v24
	s_cbranch_execz .LBB1545_5
.LBB1545_24:
	v_lshlrev_b32_e32 v3, 3, v24
	global_load_b64 v[3:4], v3, s[2:3]
	s_or_b32 exec_lo, exec_lo, s4
	s_delay_alu instid0(SALU_CYCLE_1)
	s_mov_b32 s4, exec_lo
	v_cmpx_gt_u32_e64 s20, v22
	s_cbranch_execz .LBB1545_6
.LBB1545_25:
	v_lshlrev_b32_e32 v5, 3, v22
	global_load_b64 v[5:6], v5, s[2:3]
	s_or_b32 exec_lo, exec_lo, s4
	s_delay_alu instid0(SALU_CYCLE_1)
	s_mov_b32 s4, exec_lo
	v_cmpx_gt_u32_e64 s20, v23
	s_cbranch_execz .LBB1545_7
.LBB1545_26:
	v_lshlrev_b32_e32 v7, 3, v23
	global_load_b64 v[7:8], v7, s[2:3]
	s_or_b32 exec_lo, exec_lo, s4
	s_delay_alu instid0(SALU_CYCLE_1)
	s_mov_b32 s4, exec_lo
	v_cmpx_gt_u32_e64 s20, v21
	s_cbranch_execz .LBB1545_8
.LBB1545_27:
	v_lshlrev_b32_e32 v9, 3, v21
	global_load_b64 v[9:10], v9, s[2:3]
	s_or_b32 exec_lo, exec_lo, s4
	s_delay_alu instid0(SALU_CYCLE_1)
	s_mov_b32 s4, exec_lo
	v_cmpx_gt_u32_e64 s20, v20
	s_cbranch_execz .LBB1545_9
.LBB1545_28:
	v_lshlrev_b32_e32 v11, 3, v20
	global_load_b64 v[11:12], v11, s[2:3]
	s_or_b32 exec_lo, exec_lo, s4
	s_delay_alu instid0(SALU_CYCLE_1)
	s_mov_b32 s4, exec_lo
	v_cmpx_gt_u32_e64 s20, v19
	s_cbranch_execz .LBB1545_10
.LBB1545_29:
	v_lshlrev_b32_e32 v13, 3, v19
	global_load_b64 v[13:14], v13, s[2:3]
	s_or_b32 exec_lo, exec_lo, s4
	s_delay_alu instid0(SALU_CYCLE_1)
	s_mov_b32 s4, exec_lo
	v_cmpx_gt_u32_e64 s20, v18
	s_cbranch_execnz .LBB1545_11
	s_branch .LBB1545_12
.LBB1545_30:
                                        ; implicit-def: $sgpr2
                                        ; implicit-def: $vgpr18
	s_cbranch_execnz .LBB1545_99
	s_branch .LBB1545_190
.LBB1545_31:
	s_set_inst_prefetch_distance 0x2
	s_or_b32 exec_lo, exec_lo, s27
	v_cmp_gt_i64_e32 vcc_lo, s[22:23], v[23:24]
	s_or_not1_b32 s27, vcc_lo, exec_lo
.LBB1545_32:
	s_or_b32 exec_lo, exec_lo, s28
.LBB1545_33:
	v_mul_lo_u32 v21, v8, s22
	v_mul_lo_u32 v22, v7, s23
	v_mad_u64_u32 v[19:20], null, v7, s22, 0
	s_and_not1_b32 vcc_lo, exec_lo, s26
	s_delay_alu instid0(VALU_DEP_1) | instskip(NEXT) | instid1(VALU_DEP_1)
	v_add3_u32 v20, v20, v22, v21
	v_lshlrev_b64 v[19:20], 2, v[19:20]
	s_cbranch_vccnz .LBB1545_42
; %bb.34:
	s_delay_alu instid0(VALU_DEP_1) | instskip(NEXT) | instid1(VALU_DEP_2)
	v_add_co_u32 v21, vcc_lo, s8, v19
	v_add_co_ci_u32_e32 v22, vcc_lo, s9, v20, vcc_lo
	v_add_co_u32 v17, vcc_lo, s8, v17
	v_add_co_ci_u32_e32 v18, vcc_lo, s9, v18, vcc_lo
	s_mov_b32 s3, -1
	s_clause 0x1
	global_load_b32 v23, v[21:22], off
	global_load_b32 v24, v[17:18], off
	s_mov_b32 s28, exec_lo
	s_waitcnt vmcnt(0)
	v_cmpx_eq_u32_e64 v23, v24
	s_cbranch_execz .LBB1545_41
; %bb.35:
	v_add_co_u32 v17, vcc_lo, v17, 4
	v_add_co_ci_u32_e32 v18, vcc_lo, 0, v18, vcc_lo
	v_add_co_u32 v21, vcc_lo, v21, 4
	v_add_co_ci_u32_e32 v22, vcc_lo, 0, v22, vcc_lo
	s_add_u32 s6, s22, -1
	s_addc_u32 s7, s23, -1
	s_mov_b64 s[18:19], 0
	s_mov_b32 s3, 0
                                        ; implicit-def: $sgpr29
	s_set_inst_prefetch_distance 0x1
	s_branch .LBB1545_38
	.p2align	6
.LBB1545_36:                            ;   in Loop: Header=BB1545_38 Depth=1
	global_load_b32 v23, v[21:22], off
	global_load_b32 v24, v[17:18], off
	v_add_co_u32 v17, vcc_lo, v17, 4
	v_add_co_ci_u32_e32 v18, vcc_lo, 0, v18, vcc_lo
	v_add_co_u32 v21, s2, v21, 4
	s_delay_alu instid0(VALU_DEP_1)
	v_add_co_ci_u32_e64 v22, s2, 0, v22, s2
	s_add_u32 s18, s18, 1
	s_addc_u32 s19, s19, 0
	s_and_not1_b32 s2, s29, exec_lo
	s_waitcnt vmcnt(0)
	v_cmp_ne_u32_e32 vcc_lo, v23, v24
	s_and_b32 s29, vcc_lo, exec_lo
	s_delay_alu instid0(SALU_CYCLE_1)
	s_or_b32 s29, s2, s29
.LBB1545_37:                            ;   in Loop: Header=BB1545_38 Depth=1
	v_dual_mov_b32 v24, s19 :: v_dual_mov_b32 v23, s18
	s_and_b32 s2, exec_lo, s29
	s_delay_alu instid0(SALU_CYCLE_1) | instskip(NEXT) | instid1(SALU_CYCLE_1)
	s_or_b32 s3, s2, s3
	s_and_not1_b32 exec_lo, exec_lo, s3
	s_cbranch_execz .LBB1545_40
.LBB1545_38:                            ; =>This Inner Loop Header: Depth=1
	s_or_b32 s29, s29, exec_lo
	s_cmp_eq_u64 s[6:7], s[18:19]
	s_cbranch_scc0 .LBB1545_36
; %bb.39:                               ;   in Loop: Header=BB1545_38 Depth=1
	s_mov_b64 s[18:19], s[22:23]
                                        ; implicit-def: $vgpr17_vgpr18
                                        ; implicit-def: $vgpr21_vgpr22
	s_branch .LBB1545_37
.LBB1545_40:
	s_set_inst_prefetch_distance 0x2
	s_or_b32 exec_lo, exec_lo, s3
	v_cmp_gt_i64_e32 vcc_lo, s[22:23], v[23:24]
	s_or_not1_b32 s3, vcc_lo, exec_lo
.LBB1545_41:
	s_or_b32 exec_lo, exec_lo, s28
.LBB1545_42:
	v_mul_lo_u32 v21, v6, s22
	v_mul_lo_u32 v22, v5, s23
	v_mad_u64_u32 v[17:18], null, v5, s22, 0
	s_mov_b32 s28, 0
	s_and_not1_b32 vcc_lo, exec_lo, s26
	s_mov_b32 s29, 0
	s_delay_alu instid0(VALU_DEP_1) | instskip(NEXT) | instid1(VALU_DEP_1)
	v_add3_u32 v18, v18, v22, v21
	v_lshlrev_b64 v[21:22], 2, v[17:18]
	s_cbranch_vccnz .LBB1545_51
; %bb.43:
	s_delay_alu instid0(VALU_DEP_1) | instskip(NEXT) | instid1(VALU_DEP_2)
	v_add_co_u32 v23, vcc_lo, s8, v21
	v_add_co_ci_u32_e32 v24, vcc_lo, s9, v22, vcc_lo
	v_add_co_u32 v17, vcc_lo, s8, v19
	v_add_co_ci_u32_e32 v18, vcc_lo, s9, v20, vcc_lo
	s_mov_b32 s29, -1
	s_clause 0x1
	global_load_b32 v19, v[23:24], off
	global_load_b32 v20, v[17:18], off
	s_mov_b32 s30, exec_lo
	s_waitcnt vmcnt(0)
	v_cmpx_eq_u32_e64 v19, v20
	s_cbranch_execz .LBB1545_50
; %bb.44:
	v_add_co_u32 v17, vcc_lo, v17, 4
	v_add_co_ci_u32_e32 v18, vcc_lo, 0, v18, vcc_lo
	v_add_co_u32 v19, vcc_lo, v23, 4
	v_add_co_ci_u32_e32 v20, vcc_lo, 0, v24, vcc_lo
	s_add_u32 s6, s22, -1
	s_addc_u32 s7, s23, -1
	s_mov_b64 s[18:19], 0
	s_mov_b32 s29, 0
                                        ; implicit-def: $sgpr31
	s_set_inst_prefetch_distance 0x1
	s_branch .LBB1545_47
	.p2align	6
.LBB1545_45:                            ;   in Loop: Header=BB1545_47 Depth=1
	global_load_b32 v23, v[19:20], off
	global_load_b32 v24, v[17:18], off
	v_add_co_u32 v17, vcc_lo, v17, 4
	v_add_co_ci_u32_e32 v18, vcc_lo, 0, v18, vcc_lo
	v_add_co_u32 v19, s2, v19, 4
	s_delay_alu instid0(VALU_DEP_1)
	v_add_co_ci_u32_e64 v20, s2, 0, v20, s2
	s_add_u32 s18, s18, 1
	s_addc_u32 s19, s19, 0
	s_and_not1_b32 s2, s31, exec_lo
	s_waitcnt vmcnt(0)
	v_cmp_ne_u32_e32 vcc_lo, v23, v24
	s_and_b32 s31, vcc_lo, exec_lo
	s_delay_alu instid0(SALU_CYCLE_1)
	s_or_b32 s31, s2, s31
.LBB1545_46:                            ;   in Loop: Header=BB1545_47 Depth=1
	v_dual_mov_b32 v24, s19 :: v_dual_mov_b32 v23, s18
	s_and_b32 s2, exec_lo, s31
	s_delay_alu instid0(SALU_CYCLE_1) | instskip(NEXT) | instid1(SALU_CYCLE_1)
	s_or_b32 s29, s2, s29
	s_and_not1_b32 exec_lo, exec_lo, s29
	s_cbranch_execz .LBB1545_49
.LBB1545_47:                            ; =>This Inner Loop Header: Depth=1
	s_or_b32 s31, s31, exec_lo
	s_cmp_eq_u64 s[6:7], s[18:19]
	s_cbranch_scc0 .LBB1545_45
; %bb.48:                               ;   in Loop: Header=BB1545_47 Depth=1
	s_mov_b64 s[18:19], s[22:23]
                                        ; implicit-def: $vgpr17_vgpr18
                                        ; implicit-def: $vgpr19_vgpr20
	s_branch .LBB1545_46
.LBB1545_49:
	s_set_inst_prefetch_distance 0x2
	s_or_b32 exec_lo, exec_lo, s29
	v_cmp_gt_i64_e32 vcc_lo, s[22:23], v[23:24]
	s_or_not1_b32 s29, vcc_lo, exec_lo
.LBB1545_50:
	s_or_b32 exec_lo, exec_lo, s30
.LBB1545_51:
	v_mul_lo_u32 v19, v12, s22
	v_mul_lo_u32 v20, v11, s23
	v_mad_u64_u32 v[17:18], null, v11, s22, 0
	s_and_not1_b32 vcc_lo, exec_lo, s26
	s_delay_alu instid0(VALU_DEP_1) | instskip(NEXT) | instid1(VALU_DEP_1)
	v_add3_u32 v18, v18, v20, v19
	v_lshlrev_b64 v[17:18], 2, v[17:18]
	s_cbranch_vccnz .LBB1545_60
; %bb.52:
	s_delay_alu instid0(VALU_DEP_1) | instskip(NEXT) | instid1(VALU_DEP_2)
	v_add_co_u32 v23, vcc_lo, s8, v17
	v_add_co_ci_u32_e32 v24, vcc_lo, s9, v18, vcc_lo
	v_add_co_u32 v19, vcc_lo, s8, v21
	v_add_co_ci_u32_e32 v20, vcc_lo, s9, v22, vcc_lo
	s_mov_b32 s28, -1
	s_clause 0x1
	global_load_b32 v21, v[23:24], off
	global_load_b32 v22, v[19:20], off
	s_mov_b32 s30, exec_lo
	s_waitcnt vmcnt(0)
	v_cmpx_eq_u32_e64 v21, v22
	s_cbranch_execz .LBB1545_59
; %bb.53:
	v_add_co_u32 v19, vcc_lo, v19, 4
	v_add_co_ci_u32_e32 v20, vcc_lo, 0, v20, vcc_lo
	v_add_co_u32 v21, vcc_lo, v23, 4
	v_add_co_ci_u32_e32 v22, vcc_lo, 0, v24, vcc_lo
	s_add_u32 s6, s22, -1
	s_addc_u32 s7, s23, -1
	s_mov_b64 s[18:19], 0
	s_mov_b32 s28, 0
                                        ; implicit-def: $sgpr31
	s_set_inst_prefetch_distance 0x1
	s_branch .LBB1545_56
	.p2align	6
.LBB1545_54:                            ;   in Loop: Header=BB1545_56 Depth=1
	global_load_b32 v23, v[21:22], off
	global_load_b32 v24, v[19:20], off
	v_add_co_u32 v19, vcc_lo, v19, 4
	v_add_co_ci_u32_e32 v20, vcc_lo, 0, v20, vcc_lo
	v_add_co_u32 v21, s2, v21, 4
	s_delay_alu instid0(VALU_DEP_1)
	v_add_co_ci_u32_e64 v22, s2, 0, v22, s2
	s_add_u32 s18, s18, 1
	s_addc_u32 s19, s19, 0
	s_and_not1_b32 s2, s31, exec_lo
	s_waitcnt vmcnt(0)
	v_cmp_ne_u32_e32 vcc_lo, v23, v24
	s_and_b32 s31, vcc_lo, exec_lo
	s_delay_alu instid0(SALU_CYCLE_1)
	s_or_b32 s31, s2, s31
.LBB1545_55:                            ;   in Loop: Header=BB1545_56 Depth=1
	v_dual_mov_b32 v24, s19 :: v_dual_mov_b32 v23, s18
	s_and_b32 s2, exec_lo, s31
	s_delay_alu instid0(SALU_CYCLE_1) | instskip(NEXT) | instid1(SALU_CYCLE_1)
	s_or_b32 s28, s2, s28
	s_and_not1_b32 exec_lo, exec_lo, s28
	s_cbranch_execz .LBB1545_58
.LBB1545_56:                            ; =>This Inner Loop Header: Depth=1
	s_or_b32 s31, s31, exec_lo
	s_cmp_eq_u64 s[6:7], s[18:19]
	s_cbranch_scc0 .LBB1545_54
; %bb.57:                               ;   in Loop: Header=BB1545_56 Depth=1
	s_mov_b64 s[18:19], s[22:23]
                                        ; implicit-def: $vgpr19_vgpr20
                                        ; implicit-def: $vgpr21_vgpr22
	s_branch .LBB1545_55
.LBB1545_58:
	s_set_inst_prefetch_distance 0x2
	s_or_b32 exec_lo, exec_lo, s28
	v_cmp_gt_i64_e32 vcc_lo, s[22:23], v[23:24]
	s_or_not1_b32 s28, vcc_lo, exec_lo
.LBB1545_59:
	s_or_b32 exec_lo, exec_lo, s30
.LBB1545_60:
	v_mul_lo_u32 v21, v10, s22
	v_mul_lo_u32 v22, v9, s23
	v_mad_u64_u32 v[19:20], null, v9, s22, 0
	s_mov_b32 s30, 0
	s_and_not1_b32 vcc_lo, exec_lo, s26
	s_mov_b32 s31, 0
	s_delay_alu instid0(VALU_DEP_1) | instskip(NEXT) | instid1(VALU_DEP_1)
	v_add3_u32 v20, v20, v22, v21
	v_lshlrev_b64 v[21:22], 2, v[19:20]
	s_cbranch_vccnz .LBB1545_69
; %bb.61:
	s_delay_alu instid0(VALU_DEP_1) | instskip(NEXT) | instid1(VALU_DEP_2)
	v_add_co_u32 v19, vcc_lo, s8, v21
	v_add_co_ci_u32_e32 v20, vcc_lo, s9, v22, vcc_lo
	v_add_co_u32 v17, vcc_lo, s8, v17
	v_add_co_ci_u32_e32 v18, vcc_lo, s9, v18, vcc_lo
	s_mov_b32 s31, -1
	s_clause 0x1
	global_load_b32 v23, v[19:20], off
	global_load_b32 v24, v[17:18], off
	s_mov_b32 s33, exec_lo
	s_waitcnt vmcnt(0)
	v_cmpx_eq_u32_e64 v23, v24
	s_cbranch_execz .LBB1545_68
; %bb.62:
	v_add_co_u32 v17, vcc_lo, v17, 4
	v_add_co_ci_u32_e32 v18, vcc_lo, 0, v18, vcc_lo
	v_add_co_u32 v19, vcc_lo, v19, 4
	v_add_co_ci_u32_e32 v20, vcc_lo, 0, v20, vcc_lo
	s_add_u32 s6, s22, -1
	s_addc_u32 s7, s23, -1
	s_mov_b64 s[18:19], 0
	s_mov_b32 s31, 0
                                        ; implicit-def: $sgpr34
	s_set_inst_prefetch_distance 0x1
	s_branch .LBB1545_65
	.p2align	6
.LBB1545_63:                            ;   in Loop: Header=BB1545_65 Depth=1
	global_load_b32 v23, v[19:20], off
	global_load_b32 v24, v[17:18], off
	v_add_co_u32 v17, vcc_lo, v17, 4
	v_add_co_ci_u32_e32 v18, vcc_lo, 0, v18, vcc_lo
	v_add_co_u32 v19, s2, v19, 4
	s_delay_alu instid0(VALU_DEP_1)
	v_add_co_ci_u32_e64 v20, s2, 0, v20, s2
	s_add_u32 s18, s18, 1
	s_addc_u32 s19, s19, 0
	s_and_not1_b32 s2, s34, exec_lo
	s_waitcnt vmcnt(0)
	v_cmp_ne_u32_e32 vcc_lo, v23, v24
	s_and_b32 s34, vcc_lo, exec_lo
	s_delay_alu instid0(SALU_CYCLE_1)
	s_or_b32 s34, s2, s34
.LBB1545_64:                            ;   in Loop: Header=BB1545_65 Depth=1
	v_dual_mov_b32 v24, s19 :: v_dual_mov_b32 v23, s18
	s_and_b32 s2, exec_lo, s34
	s_delay_alu instid0(SALU_CYCLE_1) | instskip(NEXT) | instid1(SALU_CYCLE_1)
	s_or_b32 s31, s2, s31
	s_and_not1_b32 exec_lo, exec_lo, s31
	s_cbranch_execz .LBB1545_67
.LBB1545_65:                            ; =>This Inner Loop Header: Depth=1
	s_or_b32 s34, s34, exec_lo
	s_cmp_eq_u64 s[6:7], s[18:19]
	s_cbranch_scc0 .LBB1545_63
; %bb.66:                               ;   in Loop: Header=BB1545_65 Depth=1
	s_mov_b64 s[18:19], s[22:23]
                                        ; implicit-def: $vgpr17_vgpr18
                                        ; implicit-def: $vgpr19_vgpr20
	s_branch .LBB1545_64
.LBB1545_67:
	s_set_inst_prefetch_distance 0x2
	s_or_b32 exec_lo, exec_lo, s31
	v_cmp_gt_i64_e32 vcc_lo, s[22:23], v[23:24]
	s_or_not1_b32 s31, vcc_lo, exec_lo
.LBB1545_68:
	s_or_b32 exec_lo, exec_lo, s33
.LBB1545_69:
	v_mul_lo_u32 v19, v16, s22
	v_mul_lo_u32 v20, v15, s23
	v_mad_u64_u32 v[17:18], null, v15, s22, 0
	s_and_not1_b32 vcc_lo, exec_lo, s26
	s_delay_alu instid0(VALU_DEP_1) | instskip(NEXT) | instid1(VALU_DEP_1)
	v_add3_u32 v18, v18, v20, v19
	v_lshlrev_b64 v[19:20], 2, v[17:18]
	s_cbranch_vccnz .LBB1545_78
; %bb.70:
	s_delay_alu instid0(VALU_DEP_1) | instskip(NEXT) | instid1(VALU_DEP_2)
	v_add_co_u32 v23, vcc_lo, s8, v19
	v_add_co_ci_u32_e32 v24, vcc_lo, s9, v20, vcc_lo
	v_add_co_u32 v17, vcc_lo, s8, v21
	v_add_co_ci_u32_e32 v18, vcc_lo, s9, v22, vcc_lo
	s_mov_b32 s30, -1
	s_clause 0x1
	global_load_b32 v21, v[23:24], off
	global_load_b32 v22, v[17:18], off
	s_mov_b32 s33, exec_lo
	s_waitcnt vmcnt(0)
	v_cmpx_eq_u32_e64 v21, v22
	s_cbranch_execz .LBB1545_77
; %bb.71:
	v_add_co_u32 v17, vcc_lo, v17, 4
	v_add_co_ci_u32_e32 v18, vcc_lo, 0, v18, vcc_lo
	v_add_co_u32 v21, vcc_lo, v23, 4
	v_add_co_ci_u32_e32 v22, vcc_lo, 0, v24, vcc_lo
	s_add_u32 s6, s22, -1
	s_addc_u32 s7, s23, -1
	s_mov_b64 s[18:19], 0
	s_mov_b32 s30, 0
                                        ; implicit-def: $sgpr34
	s_set_inst_prefetch_distance 0x1
	s_branch .LBB1545_74
	.p2align	6
.LBB1545_72:                            ;   in Loop: Header=BB1545_74 Depth=1
	global_load_b32 v23, v[21:22], off
	global_load_b32 v24, v[17:18], off
	v_add_co_u32 v17, vcc_lo, v17, 4
	v_add_co_ci_u32_e32 v18, vcc_lo, 0, v18, vcc_lo
	v_add_co_u32 v21, s2, v21, 4
	s_delay_alu instid0(VALU_DEP_1)
	v_add_co_ci_u32_e64 v22, s2, 0, v22, s2
	s_add_u32 s18, s18, 1
	s_addc_u32 s19, s19, 0
	s_and_not1_b32 s2, s34, exec_lo
	s_waitcnt vmcnt(0)
	v_cmp_ne_u32_e32 vcc_lo, v23, v24
	s_and_b32 s34, vcc_lo, exec_lo
	s_delay_alu instid0(SALU_CYCLE_1)
	s_or_b32 s34, s2, s34
.LBB1545_73:                            ;   in Loop: Header=BB1545_74 Depth=1
	v_dual_mov_b32 v24, s19 :: v_dual_mov_b32 v23, s18
	s_and_b32 s2, exec_lo, s34
	s_delay_alu instid0(SALU_CYCLE_1) | instskip(NEXT) | instid1(SALU_CYCLE_1)
	s_or_b32 s30, s2, s30
	s_and_not1_b32 exec_lo, exec_lo, s30
	s_cbranch_execz .LBB1545_76
.LBB1545_74:                            ; =>This Inner Loop Header: Depth=1
	s_or_b32 s34, s34, exec_lo
	s_cmp_eq_u64 s[6:7], s[18:19]
	s_cbranch_scc0 .LBB1545_72
; %bb.75:                               ;   in Loop: Header=BB1545_74 Depth=1
	s_mov_b64 s[18:19], s[22:23]
                                        ; implicit-def: $vgpr17_vgpr18
                                        ; implicit-def: $vgpr21_vgpr22
	s_branch .LBB1545_73
.LBB1545_76:
	s_set_inst_prefetch_distance 0x2
	s_or_b32 exec_lo, exec_lo, s30
	v_cmp_gt_i64_e32 vcc_lo, s[22:23], v[23:24]
	s_or_not1_b32 s30, vcc_lo, exec_lo
.LBB1545_77:
	s_or_b32 exec_lo, exec_lo, s33
.LBB1545_78:
	v_mul_lo_u32 v21, v14, s22
	v_mul_lo_u32 v22, v13, s23
	v_mad_u64_u32 v[17:18], null, v13, s22, 0
	s_and_not1_b32 vcc_lo, exec_lo, s26
	s_mov_b32 s2, 0
	s_delay_alu instid0(VALU_DEP_1) | instskip(NEXT) | instid1(VALU_DEP_1)
	v_add3_u32 v18, v18, v22, v21
	v_lshlrev_b64 v[17:18], 2, v[17:18]
	s_cbranch_vccnz .LBB1545_87
; %bb.79:
	s_delay_alu instid0(VALU_DEP_1) | instskip(NEXT) | instid1(VALU_DEP_2)
	v_add_co_u32 v21, vcc_lo, s8, v17
	v_add_co_ci_u32_e32 v22, vcc_lo, s9, v18, vcc_lo
	v_add_co_u32 v19, vcc_lo, s8, v19
	v_add_co_ci_u32_e32 v20, vcc_lo, s9, v20, vcc_lo
	s_mov_b32 s2, -1
	s_clause 0x1
	global_load_b32 v23, v[21:22], off
	global_load_b32 v24, v[19:20], off
	s_mov_b32 s33, exec_lo
	s_waitcnt vmcnt(0)
	v_cmpx_eq_u32_e64 v23, v24
	s_cbranch_execz .LBB1545_86
; %bb.80:
	v_add_co_u32 v19, vcc_lo, v19, 4
	v_add_co_ci_u32_e32 v20, vcc_lo, 0, v20, vcc_lo
	v_add_co_u32 v21, vcc_lo, v21, 4
	v_add_co_ci_u32_e32 v22, vcc_lo, 0, v22, vcc_lo
	s_add_u32 s6, s22, -1
	s_addc_u32 s7, s23, -1
	s_mov_b64 s[18:19], 0
	s_mov_b32 s34, 0
                                        ; implicit-def: $sgpr35
	s_set_inst_prefetch_distance 0x1
	s_branch .LBB1545_83
	.p2align	6
.LBB1545_81:                            ;   in Loop: Header=BB1545_83 Depth=1
	global_load_b32 v23, v[21:22], off
	global_load_b32 v24, v[19:20], off
	v_add_co_u32 v19, vcc_lo, v19, 4
	v_add_co_ci_u32_e32 v20, vcc_lo, 0, v20, vcc_lo
	v_add_co_u32 v21, s2, v21, 4
	s_delay_alu instid0(VALU_DEP_1)
	v_add_co_ci_u32_e64 v22, s2, 0, v22, s2
	s_add_u32 s18, s18, 1
	s_addc_u32 s19, s19, 0
	s_and_not1_b32 s2, s35, exec_lo
	s_waitcnt vmcnt(0)
	v_cmp_ne_u32_e32 vcc_lo, v23, v24
	s_and_b32 s35, vcc_lo, exec_lo
	s_delay_alu instid0(SALU_CYCLE_1)
	s_or_b32 s35, s2, s35
.LBB1545_82:                            ;   in Loop: Header=BB1545_83 Depth=1
	v_dual_mov_b32 v24, s19 :: v_dual_mov_b32 v23, s18
	s_and_b32 s2, exec_lo, s35
	s_delay_alu instid0(SALU_CYCLE_1) | instskip(NEXT) | instid1(SALU_CYCLE_1)
	s_or_b32 s34, s2, s34
	s_and_not1_b32 exec_lo, exec_lo, s34
	s_cbranch_execz .LBB1545_85
.LBB1545_83:                            ; =>This Inner Loop Header: Depth=1
	s_or_b32 s35, s35, exec_lo
	s_cmp_eq_u64 s[6:7], s[18:19]
	s_cbranch_scc0 .LBB1545_81
; %bb.84:                               ;   in Loop: Header=BB1545_83 Depth=1
	s_mov_b64 s[18:19], s[22:23]
                                        ; implicit-def: $vgpr19_vgpr20
                                        ; implicit-def: $vgpr21_vgpr22
	s_branch .LBB1545_82
.LBB1545_85:
	s_set_inst_prefetch_distance 0x2
	s_or_b32 exec_lo, exec_lo, s34
	v_cmp_gt_i64_e32 vcc_lo, s[22:23], v[23:24]
	s_or_not1_b32 s2, vcc_lo, exec_lo
.LBB1545_86:
	s_or_b32 exec_lo, exec_lo, s33
.LBB1545_87:
	s_waitcnt lgkmcnt(0)
	v_dual_mov_b32 v20, s5 :: v_dual_mov_b32 v19, s4
	s_mov_b32 s6, exec_lo
	s_barrier
	buffer_gl0_inv
	v_cmpx_ne_u32_e32 0, v0
	s_cbranch_execz .LBB1545_89
; %bb.88:
	v_add_nc_u32_e32 v19, -8, v39
	ds_load_b64 v[19:20], v19
.LBB1545_89:
	s_or_b32 exec_lo, exec_lo, s6
	v_cndmask_b32_e64 v22, 0, 1, s31
	v_cndmask_b32_e64 v24, 0, 1, s29
	;; [unrolled: 1-line block ×7, first 2 shown]
	v_lshlrev_b16 v22, 8, v22
	v_lshlrev_b16 v24, 8, v24
	;; [unrolled: 1-line block ×4, first 2 shown]
	s_mov_b32 s3, 0
	v_or_b32_e32 v21, v21, v22
	v_or_b32_e32 v22, v23, v24
	;; [unrolled: 1-line block ×3, first 2 shown]
	v_and_b32_e32 v23, 0xffff, v27
	s_and_not1_b32 vcc_lo, exec_lo, s26
	v_lshlrev_b32_e32 v24, 16, v21
	v_and_b32_e32 v26, 0xffff, v22
	v_lshlrev_b32_e32 v27, 16, v28
	s_mov_b32 s2, 0
	s_cbranch_vccnz .LBB1545_98
; %bb.90:
	s_waitcnt lgkmcnt(0)
	v_mul_lo_u32 v22, v20, s22
	v_mul_lo_u32 v28, v19, s23
	v_mad_u64_u32 v[20:21], null, v19, s22, 0
	s_mov_b32 s2, -1
	s_mov_b32 s27, exec_lo
	s_delay_alu instid0(VALU_DEP_1) | instskip(NEXT) | instid1(VALU_DEP_1)
	v_add3_u32 v21, v21, v28, v22
	v_lshlrev_b64 v[19:20], 2, v[20:21]
	s_delay_alu instid0(VALU_DEP_1) | instskip(NEXT) | instid1(VALU_DEP_2)
	v_add_co_u32 v19, vcc_lo, s8, v19
	v_add_co_ci_u32_e32 v20, vcc_lo, s9, v20, vcc_lo
	v_add_co_u32 v17, vcc_lo, s8, v17
	v_add_co_ci_u32_e32 v18, vcc_lo, s9, v18, vcc_lo
	s_clause 0x1
	global_load_b32 v21, v[19:20], off
	global_load_b32 v22, v[17:18], off
	s_waitcnt vmcnt(0)
	v_cmpx_eq_u32_e64 v21, v22
	s_cbranch_execz .LBB1545_97
; %bb.91:
	v_add_co_u32 v17, vcc_lo, v17, 4
	v_add_co_ci_u32_e32 v18, vcc_lo, 0, v18, vcc_lo
	v_add_co_u32 v19, vcc_lo, v19, 4
	v_add_co_ci_u32_e32 v20, vcc_lo, 0, v20, vcc_lo
	s_add_u32 s6, s22, -1
	s_addc_u32 s7, s23, -1
	s_mov_b64 s[18:19], 0
	s_mov_b32 s28, 0
                                        ; implicit-def: $sgpr29
	s_set_inst_prefetch_distance 0x1
	s_branch .LBB1545_94
	.p2align	6
.LBB1545_92:                            ;   in Loop: Header=BB1545_94 Depth=1
	global_load_b32 v21, v[19:20], off
	global_load_b32 v22, v[17:18], off
	v_add_co_u32 v17, vcc_lo, v17, 4
	v_add_co_ci_u32_e32 v18, vcc_lo, 0, v18, vcc_lo
	v_add_co_u32 v19, s2, v19, 4
	s_delay_alu instid0(VALU_DEP_1)
	v_add_co_ci_u32_e64 v20, s2, 0, v20, s2
	s_add_u32 s18, s18, 1
	s_addc_u32 s19, s19, 0
	s_and_not1_b32 s2, s29, exec_lo
	s_waitcnt vmcnt(0)
	v_cmp_ne_u32_e32 vcc_lo, v21, v22
	s_and_b32 s29, vcc_lo, exec_lo
	s_delay_alu instid0(SALU_CYCLE_1)
	s_or_b32 s29, s2, s29
.LBB1545_93:                            ;   in Loop: Header=BB1545_94 Depth=1
	v_dual_mov_b32 v22, s19 :: v_dual_mov_b32 v21, s18
	s_and_b32 s2, exec_lo, s29
	s_delay_alu instid0(SALU_CYCLE_1) | instskip(NEXT) | instid1(SALU_CYCLE_1)
	s_or_b32 s28, s2, s28
	s_and_not1_b32 exec_lo, exec_lo, s28
	s_cbranch_execz .LBB1545_96
.LBB1545_94:                            ; =>This Inner Loop Header: Depth=1
	s_or_b32 s29, s29, exec_lo
	s_cmp_eq_u64 s[6:7], s[18:19]
	s_cbranch_scc0 .LBB1545_92
; %bb.95:                               ;   in Loop: Header=BB1545_94 Depth=1
	s_mov_b64 s[18:19], s[22:23]
                                        ; implicit-def: $vgpr17_vgpr18
                                        ; implicit-def: $vgpr19_vgpr20
	s_branch .LBB1545_93
.LBB1545_96:
	s_set_inst_prefetch_distance 0x2
	s_or_b32 exec_lo, exec_lo, s28
	v_cmp_gt_i64_e32 vcc_lo, s[22:23], v[21:22]
	s_or_not1_b32 s2, vcc_lo, exec_lo
.LBB1545_97:
	s_or_b32 exec_lo, exec_lo, s27
.LBB1545_98:
	v_or_b32_e32 v17, v23, v24
	s_delay_alu instid0(VALU_DEP_2)
	v_or_b32_e32 v18, v26, v27
	s_and_b32 vcc_lo, exec_lo, s3
	s_cbranch_vccz .LBB1545_190
.LBB1545_99:
	v_or_b32_e32 v17, 7, v39
	s_mov_b32 s3, 0
	s_mov_b32 s27, 0
	s_mov_b32 s28, exec_lo
	s_delay_alu instid0(VALU_DEP_1)
	v_cmpx_gt_u32_e64 s20, v17
	s_cbranch_execz .LBB1545_110
; %bb.100:
	s_and_not1_b32 vcc_lo, exec_lo, s26
	s_mov_b32 s2, 0
	s_cbranch_vccnz .LBB1545_109
; %bb.101:
	v_mul_lo_u32 v21, v2, s22
	v_mul_lo_u32 v22, v1, s23
	v_mad_u64_u32 v[17:18], null, v1, s22, 0
	v_mul_lo_u32 v23, v4, s22
	v_mul_lo_u32 v24, v3, s23
	s_waitcnt lgkmcnt(0)
	v_mad_u64_u32 v[19:20], null, v3, s22, 0
	s_mov_b32 s2, -1
	s_mov_b32 s26, exec_lo
	s_delay_alu instid0(VALU_DEP_4) | instskip(NEXT) | instid1(VALU_DEP_2)
	v_add3_u32 v18, v18, v22, v21
	v_add3_u32 v20, v20, v24, v23
	s_delay_alu instid0(VALU_DEP_2) | instskip(NEXT) | instid1(VALU_DEP_2)
	v_lshlrev_b64 v[17:18], 2, v[17:18]
	v_lshlrev_b64 v[21:22], 2, v[19:20]
	s_delay_alu instid0(VALU_DEP_2) | instskip(NEXT) | instid1(VALU_DEP_3)
	v_add_co_u32 v19, vcc_lo, s8, v17
	v_add_co_ci_u32_e32 v20, vcc_lo, s9, v18, vcc_lo
	s_delay_alu instid0(VALU_DEP_3) | instskip(NEXT) | instid1(VALU_DEP_4)
	v_add_co_u32 v17, vcc_lo, s8, v21
	v_add_co_ci_u32_e32 v18, vcc_lo, s9, v22, vcc_lo
	s_clause 0x1
	global_load_b32 v21, v[19:20], off
	global_load_b32 v22, v[17:18], off
	s_waitcnt vmcnt(0)
	v_cmpx_eq_u32_e64 v21, v22
	s_cbranch_execz .LBB1545_108
; %bb.102:
	v_add_co_u32 v17, vcc_lo, v17, 4
	v_add_co_ci_u32_e32 v18, vcc_lo, 0, v18, vcc_lo
	v_add_co_u32 v19, vcc_lo, v19, 4
	v_add_co_ci_u32_e32 v20, vcc_lo, 0, v20, vcc_lo
	s_add_u32 s6, s22, -1
	s_addc_u32 s7, s23, -1
	s_mov_b64 s[18:19], 0
                                        ; implicit-def: $sgpr29
	s_set_inst_prefetch_distance 0x1
	s_branch .LBB1545_105
	.p2align	6
.LBB1545_103:                           ;   in Loop: Header=BB1545_105 Depth=1
	global_load_b32 v21, v[19:20], off
	global_load_b32 v22, v[17:18], off
	v_add_co_u32 v17, vcc_lo, v17, 4
	v_add_co_ci_u32_e32 v18, vcc_lo, 0, v18, vcc_lo
	v_add_co_u32 v19, s2, v19, 4
	s_delay_alu instid0(VALU_DEP_1)
	v_add_co_ci_u32_e64 v20, s2, 0, v20, s2
	s_add_u32 s18, s18, 1
	s_addc_u32 s19, s19, 0
	s_and_not1_b32 s2, s29, exec_lo
	s_waitcnt vmcnt(0)
	v_cmp_ne_u32_e32 vcc_lo, v21, v22
	s_and_b32 s29, vcc_lo, exec_lo
	s_delay_alu instid0(SALU_CYCLE_1)
	s_or_b32 s29, s2, s29
.LBB1545_104:                           ;   in Loop: Header=BB1545_105 Depth=1
	v_dual_mov_b32 v22, s19 :: v_dual_mov_b32 v21, s18
	s_and_b32 s2, exec_lo, s29
	s_delay_alu instid0(SALU_CYCLE_1) | instskip(NEXT) | instid1(SALU_CYCLE_1)
	s_or_b32 s27, s2, s27
	s_and_not1_b32 exec_lo, exec_lo, s27
	s_cbranch_execz .LBB1545_107
.LBB1545_105:                           ; =>This Inner Loop Header: Depth=1
	s_or_b32 s29, s29, exec_lo
	s_cmp_eq_u64 s[6:7], s[18:19]
	s_cbranch_scc0 .LBB1545_103
; %bb.106:                              ;   in Loop: Header=BB1545_105 Depth=1
	s_mov_b64 s[18:19], s[22:23]
                                        ; implicit-def: $vgpr17_vgpr18
                                        ; implicit-def: $vgpr19_vgpr20
	s_branch .LBB1545_104
.LBB1545_107:
	s_set_inst_prefetch_distance 0x2
	s_or_b32 exec_lo, exec_lo, s27
	v_cmp_gt_i64_e32 vcc_lo, s[22:23], v[21:22]
	s_or_not1_b32 s2, vcc_lo, exec_lo
.LBB1545_108:
	s_or_b32 exec_lo, exec_lo, s26
.LBB1545_109:
	s_delay_alu instid0(SALU_CYCLE_1)
	s_and_b32 s27, s2, exec_lo
.LBB1545_110:
	s_or_b32 exec_lo, exec_lo, s28
	v_or_b32_e32 v17, 6, v39
	s_mov_b32 s26, exec_lo
	s_delay_alu instid0(VALU_DEP_1)
	v_cmpx_gt_u32_e64 s20, v17
	s_cbranch_execz .LBB1545_121
; %bb.111:
	v_cmp_ne_u32_e32 vcc_lo, 1, v25
	s_mov_b32 s2, 0
	s_cbranch_vccnz .LBB1545_120
; %bb.112:
	v_mul_lo_u32 v21, v8, s22
	v_mul_lo_u32 v22, v7, s23
	v_mad_u64_u32 v[17:18], null, v7, s22, 0
	v_mul_lo_u32 v23, v2, s22
	v_mul_lo_u32 v24, v1, s23
	s_waitcnt lgkmcnt(0)
	v_mad_u64_u32 v[19:20], null, v1, s22, 0
	s_mov_b32 s2, -1
	s_mov_b32 s3, exec_lo
	s_delay_alu instid0(VALU_DEP_4) | instskip(NEXT) | instid1(VALU_DEP_2)
	v_add3_u32 v18, v18, v22, v21
	v_add3_u32 v20, v20, v24, v23
	s_delay_alu instid0(VALU_DEP_2) | instskip(NEXT) | instid1(VALU_DEP_2)
	v_lshlrev_b64 v[17:18], 2, v[17:18]
	v_lshlrev_b64 v[21:22], 2, v[19:20]
	s_delay_alu instid0(VALU_DEP_2) | instskip(NEXT) | instid1(VALU_DEP_3)
	v_add_co_u32 v19, vcc_lo, s8, v17
	v_add_co_ci_u32_e32 v20, vcc_lo, s9, v18, vcc_lo
	s_delay_alu instid0(VALU_DEP_3) | instskip(NEXT) | instid1(VALU_DEP_4)
	v_add_co_u32 v17, vcc_lo, s8, v21
	v_add_co_ci_u32_e32 v18, vcc_lo, s9, v22, vcc_lo
	s_clause 0x1
	global_load_b32 v21, v[19:20], off
	global_load_b32 v22, v[17:18], off
	s_waitcnt vmcnt(0)
	v_cmpx_eq_u32_e64 v21, v22
	s_cbranch_execz .LBB1545_119
; %bb.113:
	v_add_co_u32 v17, vcc_lo, v17, 4
	v_add_co_ci_u32_e32 v18, vcc_lo, 0, v18, vcc_lo
	v_add_co_u32 v19, vcc_lo, v19, 4
	v_add_co_ci_u32_e32 v20, vcc_lo, 0, v20, vcc_lo
	s_add_u32 s6, s22, -1
	s_addc_u32 s7, s23, -1
	s_mov_b64 s[18:19], 0
	s_mov_b32 s28, 0
                                        ; implicit-def: $sgpr29
	s_set_inst_prefetch_distance 0x1
	s_branch .LBB1545_116
	.p2align	6
.LBB1545_114:                           ;   in Loop: Header=BB1545_116 Depth=1
	global_load_b32 v21, v[19:20], off
	global_load_b32 v22, v[17:18], off
	v_add_co_u32 v17, vcc_lo, v17, 4
	v_add_co_ci_u32_e32 v18, vcc_lo, 0, v18, vcc_lo
	v_add_co_u32 v19, s2, v19, 4
	s_delay_alu instid0(VALU_DEP_1)
	v_add_co_ci_u32_e64 v20, s2, 0, v20, s2
	s_add_u32 s18, s18, 1
	s_addc_u32 s19, s19, 0
	s_and_not1_b32 s2, s29, exec_lo
	s_waitcnt vmcnt(0)
	v_cmp_ne_u32_e32 vcc_lo, v21, v22
	s_and_b32 s29, vcc_lo, exec_lo
	s_delay_alu instid0(SALU_CYCLE_1)
	s_or_b32 s29, s2, s29
.LBB1545_115:                           ;   in Loop: Header=BB1545_116 Depth=1
	v_dual_mov_b32 v22, s19 :: v_dual_mov_b32 v21, s18
	s_and_b32 s2, exec_lo, s29
	s_delay_alu instid0(SALU_CYCLE_1) | instskip(NEXT) | instid1(SALU_CYCLE_1)
	s_or_b32 s28, s2, s28
	s_and_not1_b32 exec_lo, exec_lo, s28
	s_cbranch_execz .LBB1545_118
.LBB1545_116:                           ; =>This Inner Loop Header: Depth=1
	s_or_b32 s29, s29, exec_lo
	s_cmp_eq_u64 s[6:7], s[18:19]
	s_cbranch_scc0 .LBB1545_114
; %bb.117:                              ;   in Loop: Header=BB1545_116 Depth=1
	s_mov_b64 s[18:19], s[22:23]
                                        ; implicit-def: $vgpr17_vgpr18
                                        ; implicit-def: $vgpr19_vgpr20
	s_branch .LBB1545_115
.LBB1545_118:
	s_set_inst_prefetch_distance 0x2
	s_or_b32 exec_lo, exec_lo, s28
	v_cmp_gt_i64_e32 vcc_lo, s[22:23], v[21:22]
	s_or_not1_b32 s2, vcc_lo, exec_lo
.LBB1545_119:
	s_or_b32 exec_lo, exec_lo, s3
.LBB1545_120:
	s_delay_alu instid0(SALU_CYCLE_1)
	s_and_b32 s3, s2, exec_lo
.LBB1545_121:
	s_or_b32 exec_lo, exec_lo, s26
	v_or_b32_e32 v17, 5, v39
	s_mov_b32 s28, 0
	s_mov_b32 s26, 0
	s_mov_b32 s29, exec_lo
	s_delay_alu instid0(VALU_DEP_1)
	v_cmpx_gt_u32_e64 s20, v17
	s_cbranch_execz .LBB1545_132
; %bb.122:
	v_cmp_ne_u32_e32 vcc_lo, 1, v25
	s_mov_b32 s2, 0
	s_cbranch_vccnz .LBB1545_131
; %bb.123:
	v_mul_lo_u32 v21, v6, s22
	v_mul_lo_u32 v22, v5, s23
	v_mad_u64_u32 v[17:18], null, v5, s22, 0
	v_mul_lo_u32 v23, v8, s22
	v_mul_lo_u32 v24, v7, s23
	s_waitcnt lgkmcnt(0)
	v_mad_u64_u32 v[19:20], null, v7, s22, 0
	s_mov_b32 s2, -1
	s_mov_b32 s26, exec_lo
	s_delay_alu instid0(VALU_DEP_4) | instskip(NEXT) | instid1(VALU_DEP_2)
	v_add3_u32 v18, v18, v22, v21
	v_add3_u32 v20, v20, v24, v23
	s_delay_alu instid0(VALU_DEP_2) | instskip(NEXT) | instid1(VALU_DEP_2)
	v_lshlrev_b64 v[17:18], 2, v[17:18]
	v_lshlrev_b64 v[21:22], 2, v[19:20]
	s_delay_alu instid0(VALU_DEP_2) | instskip(NEXT) | instid1(VALU_DEP_3)
	v_add_co_u32 v19, vcc_lo, s8, v17
	v_add_co_ci_u32_e32 v20, vcc_lo, s9, v18, vcc_lo
	s_delay_alu instid0(VALU_DEP_3) | instskip(NEXT) | instid1(VALU_DEP_4)
	v_add_co_u32 v17, vcc_lo, s8, v21
	v_add_co_ci_u32_e32 v18, vcc_lo, s9, v22, vcc_lo
	s_clause 0x1
	global_load_b32 v21, v[19:20], off
	global_load_b32 v22, v[17:18], off
	s_waitcnt vmcnt(0)
	v_cmpx_eq_u32_e64 v21, v22
	s_cbranch_execz .LBB1545_130
; %bb.124:
	v_add_co_u32 v17, vcc_lo, v17, 4
	v_add_co_ci_u32_e32 v18, vcc_lo, 0, v18, vcc_lo
	v_add_co_u32 v19, vcc_lo, v19, 4
	v_add_co_ci_u32_e32 v20, vcc_lo, 0, v20, vcc_lo
	s_add_u32 s6, s22, -1
	s_addc_u32 s7, s23, -1
	s_mov_b64 s[18:19], 0
	s_mov_b32 s30, 0
                                        ; implicit-def: $sgpr31
	s_set_inst_prefetch_distance 0x1
	s_branch .LBB1545_127
	.p2align	6
.LBB1545_125:                           ;   in Loop: Header=BB1545_127 Depth=1
	global_load_b32 v21, v[19:20], off
	global_load_b32 v22, v[17:18], off
	v_add_co_u32 v17, vcc_lo, v17, 4
	v_add_co_ci_u32_e32 v18, vcc_lo, 0, v18, vcc_lo
	v_add_co_u32 v19, s2, v19, 4
	s_delay_alu instid0(VALU_DEP_1)
	v_add_co_ci_u32_e64 v20, s2, 0, v20, s2
	s_add_u32 s18, s18, 1
	s_addc_u32 s19, s19, 0
	s_and_not1_b32 s2, s31, exec_lo
	s_waitcnt vmcnt(0)
	v_cmp_ne_u32_e32 vcc_lo, v21, v22
	s_and_b32 s31, vcc_lo, exec_lo
	s_delay_alu instid0(SALU_CYCLE_1)
	s_or_b32 s31, s2, s31
.LBB1545_126:                           ;   in Loop: Header=BB1545_127 Depth=1
	v_dual_mov_b32 v22, s19 :: v_dual_mov_b32 v21, s18
	s_and_b32 s2, exec_lo, s31
	s_delay_alu instid0(SALU_CYCLE_1) | instskip(NEXT) | instid1(SALU_CYCLE_1)
	s_or_b32 s30, s2, s30
	s_and_not1_b32 exec_lo, exec_lo, s30
	s_cbranch_execz .LBB1545_129
.LBB1545_127:                           ; =>This Inner Loop Header: Depth=1
	s_or_b32 s31, s31, exec_lo
	s_cmp_eq_u64 s[6:7], s[18:19]
	s_cbranch_scc0 .LBB1545_125
; %bb.128:                              ;   in Loop: Header=BB1545_127 Depth=1
	s_mov_b64 s[18:19], s[22:23]
                                        ; implicit-def: $vgpr17_vgpr18
                                        ; implicit-def: $vgpr19_vgpr20
	s_branch .LBB1545_126
.LBB1545_129:
	s_set_inst_prefetch_distance 0x2
	s_or_b32 exec_lo, exec_lo, s30
	v_cmp_gt_i64_e32 vcc_lo, s[22:23], v[21:22]
	s_or_not1_b32 s2, vcc_lo, exec_lo
.LBB1545_130:
	s_or_b32 exec_lo, exec_lo, s26
.LBB1545_131:
	s_delay_alu instid0(SALU_CYCLE_1)
	s_and_b32 s26, s2, exec_lo
.LBB1545_132:
	s_or_b32 exec_lo, exec_lo, s29
	v_or_b32_e32 v17, 4, v39
	s_mov_b32 s29, exec_lo
	s_delay_alu instid0(VALU_DEP_1)
	v_cmpx_gt_u32_e64 s20, v17
	s_cbranch_execz .LBB1545_143
; %bb.133:
	v_cmp_ne_u32_e32 vcc_lo, 1, v25
	s_mov_b32 s2, 0
	s_cbranch_vccnz .LBB1545_142
; %bb.134:
	v_mul_lo_u32 v21, v12, s22
	v_mul_lo_u32 v22, v11, s23
	v_mad_u64_u32 v[17:18], null, v11, s22, 0
	v_mul_lo_u32 v23, v6, s22
	v_mul_lo_u32 v24, v5, s23
	s_waitcnt lgkmcnt(0)
	v_mad_u64_u32 v[19:20], null, v5, s22, 0
	s_mov_b32 s2, -1
	s_mov_b32 s28, exec_lo
	s_delay_alu instid0(VALU_DEP_4) | instskip(NEXT) | instid1(VALU_DEP_2)
	v_add3_u32 v18, v18, v22, v21
	v_add3_u32 v20, v20, v24, v23
	s_delay_alu instid0(VALU_DEP_2) | instskip(NEXT) | instid1(VALU_DEP_2)
	v_lshlrev_b64 v[17:18], 2, v[17:18]
	v_lshlrev_b64 v[21:22], 2, v[19:20]
	s_delay_alu instid0(VALU_DEP_2) | instskip(NEXT) | instid1(VALU_DEP_3)
	v_add_co_u32 v19, vcc_lo, s8, v17
	v_add_co_ci_u32_e32 v20, vcc_lo, s9, v18, vcc_lo
	s_delay_alu instid0(VALU_DEP_3) | instskip(NEXT) | instid1(VALU_DEP_4)
	v_add_co_u32 v17, vcc_lo, s8, v21
	v_add_co_ci_u32_e32 v18, vcc_lo, s9, v22, vcc_lo
	s_clause 0x1
	global_load_b32 v21, v[19:20], off
	global_load_b32 v22, v[17:18], off
	s_waitcnt vmcnt(0)
	v_cmpx_eq_u32_e64 v21, v22
	s_cbranch_execz .LBB1545_141
; %bb.135:
	v_add_co_u32 v17, vcc_lo, v17, 4
	v_add_co_ci_u32_e32 v18, vcc_lo, 0, v18, vcc_lo
	v_add_co_u32 v19, vcc_lo, v19, 4
	v_add_co_ci_u32_e32 v20, vcc_lo, 0, v20, vcc_lo
	s_add_u32 s6, s22, -1
	s_addc_u32 s7, s23, -1
	s_mov_b64 s[18:19], 0
	s_mov_b32 s30, 0
                                        ; implicit-def: $sgpr31
	s_set_inst_prefetch_distance 0x1
	s_branch .LBB1545_138
	.p2align	6
.LBB1545_136:                           ;   in Loop: Header=BB1545_138 Depth=1
	global_load_b32 v21, v[19:20], off
	global_load_b32 v22, v[17:18], off
	v_add_co_u32 v17, vcc_lo, v17, 4
	v_add_co_ci_u32_e32 v18, vcc_lo, 0, v18, vcc_lo
	v_add_co_u32 v19, s2, v19, 4
	s_delay_alu instid0(VALU_DEP_1)
	v_add_co_ci_u32_e64 v20, s2, 0, v20, s2
	s_add_u32 s18, s18, 1
	s_addc_u32 s19, s19, 0
	s_and_not1_b32 s2, s31, exec_lo
	s_waitcnt vmcnt(0)
	v_cmp_ne_u32_e32 vcc_lo, v21, v22
	s_and_b32 s31, vcc_lo, exec_lo
	s_delay_alu instid0(SALU_CYCLE_1)
	s_or_b32 s31, s2, s31
.LBB1545_137:                           ;   in Loop: Header=BB1545_138 Depth=1
	v_dual_mov_b32 v22, s19 :: v_dual_mov_b32 v21, s18
	s_and_b32 s2, exec_lo, s31
	s_delay_alu instid0(SALU_CYCLE_1) | instskip(NEXT) | instid1(SALU_CYCLE_1)
	s_or_b32 s30, s2, s30
	s_and_not1_b32 exec_lo, exec_lo, s30
	s_cbranch_execz .LBB1545_140
.LBB1545_138:                           ; =>This Inner Loop Header: Depth=1
	s_or_b32 s31, s31, exec_lo
	s_cmp_eq_u64 s[6:7], s[18:19]
	s_cbranch_scc0 .LBB1545_136
; %bb.139:                              ;   in Loop: Header=BB1545_138 Depth=1
	s_mov_b64 s[18:19], s[22:23]
                                        ; implicit-def: $vgpr17_vgpr18
                                        ; implicit-def: $vgpr19_vgpr20
	s_branch .LBB1545_137
.LBB1545_140:
	s_set_inst_prefetch_distance 0x2
	s_or_b32 exec_lo, exec_lo, s30
	v_cmp_gt_i64_e32 vcc_lo, s[22:23], v[21:22]
	s_or_not1_b32 s2, vcc_lo, exec_lo
.LBB1545_141:
	s_or_b32 exec_lo, exec_lo, s28
.LBB1545_142:
	s_delay_alu instid0(SALU_CYCLE_1)
	s_and_b32 s28, s2, exec_lo
.LBB1545_143:
	s_or_b32 exec_lo, exec_lo, s29
	v_or_b32_e32 v17, 3, v39
	s_mov_b32 s30, 0
	s_mov_b32 s29, 0
	s_mov_b32 s31, exec_lo
	s_delay_alu instid0(VALU_DEP_1)
	v_cmpx_gt_u32_e64 s20, v17
	s_cbranch_execz .LBB1545_154
; %bb.144:
	v_cmp_ne_u32_e32 vcc_lo, 1, v25
	s_mov_b32 s2, 0
	s_cbranch_vccnz .LBB1545_153
; %bb.145:
	v_mul_lo_u32 v21, v10, s22
	v_mul_lo_u32 v22, v9, s23
	v_mad_u64_u32 v[17:18], null, v9, s22, 0
	v_mul_lo_u32 v23, v12, s22
	v_mul_lo_u32 v24, v11, s23
	s_waitcnt lgkmcnt(0)
	v_mad_u64_u32 v[19:20], null, v11, s22, 0
	s_mov_b32 s2, -1
	s_mov_b32 s29, exec_lo
	s_delay_alu instid0(VALU_DEP_4) | instskip(NEXT) | instid1(VALU_DEP_2)
	v_add3_u32 v18, v18, v22, v21
	v_add3_u32 v20, v20, v24, v23
	s_delay_alu instid0(VALU_DEP_2) | instskip(NEXT) | instid1(VALU_DEP_2)
	v_lshlrev_b64 v[17:18], 2, v[17:18]
	v_lshlrev_b64 v[21:22], 2, v[19:20]
	s_delay_alu instid0(VALU_DEP_2) | instskip(NEXT) | instid1(VALU_DEP_3)
	v_add_co_u32 v19, vcc_lo, s8, v17
	v_add_co_ci_u32_e32 v20, vcc_lo, s9, v18, vcc_lo
	s_delay_alu instid0(VALU_DEP_3) | instskip(NEXT) | instid1(VALU_DEP_4)
	v_add_co_u32 v17, vcc_lo, s8, v21
	v_add_co_ci_u32_e32 v18, vcc_lo, s9, v22, vcc_lo
	s_clause 0x1
	global_load_b32 v21, v[19:20], off
	global_load_b32 v22, v[17:18], off
	s_waitcnt vmcnt(0)
	v_cmpx_eq_u32_e64 v21, v22
	s_cbranch_execz .LBB1545_152
; %bb.146:
	v_add_co_u32 v17, vcc_lo, v17, 4
	v_add_co_ci_u32_e32 v18, vcc_lo, 0, v18, vcc_lo
	v_add_co_u32 v19, vcc_lo, v19, 4
	v_add_co_ci_u32_e32 v20, vcc_lo, 0, v20, vcc_lo
	s_add_u32 s6, s22, -1
	s_addc_u32 s7, s23, -1
	s_mov_b64 s[18:19], 0
	s_mov_b32 s33, 0
                                        ; implicit-def: $sgpr34
	s_set_inst_prefetch_distance 0x1
	s_branch .LBB1545_149
	.p2align	6
.LBB1545_147:                           ;   in Loop: Header=BB1545_149 Depth=1
	global_load_b32 v21, v[19:20], off
	global_load_b32 v22, v[17:18], off
	v_add_co_u32 v17, vcc_lo, v17, 4
	v_add_co_ci_u32_e32 v18, vcc_lo, 0, v18, vcc_lo
	v_add_co_u32 v19, s2, v19, 4
	s_delay_alu instid0(VALU_DEP_1)
	v_add_co_ci_u32_e64 v20, s2, 0, v20, s2
	s_add_u32 s18, s18, 1
	s_addc_u32 s19, s19, 0
	s_and_not1_b32 s2, s34, exec_lo
	s_waitcnt vmcnt(0)
	v_cmp_ne_u32_e32 vcc_lo, v21, v22
	s_and_b32 s34, vcc_lo, exec_lo
	s_delay_alu instid0(SALU_CYCLE_1)
	s_or_b32 s34, s2, s34
.LBB1545_148:                           ;   in Loop: Header=BB1545_149 Depth=1
	v_dual_mov_b32 v22, s19 :: v_dual_mov_b32 v21, s18
	s_and_b32 s2, exec_lo, s34
	s_delay_alu instid0(SALU_CYCLE_1) | instskip(NEXT) | instid1(SALU_CYCLE_1)
	s_or_b32 s33, s2, s33
	s_and_not1_b32 exec_lo, exec_lo, s33
	s_cbranch_execz .LBB1545_151
.LBB1545_149:                           ; =>This Inner Loop Header: Depth=1
	s_or_b32 s34, s34, exec_lo
	s_cmp_eq_u64 s[6:7], s[18:19]
	s_cbranch_scc0 .LBB1545_147
; %bb.150:                              ;   in Loop: Header=BB1545_149 Depth=1
	s_mov_b64 s[18:19], s[22:23]
                                        ; implicit-def: $vgpr17_vgpr18
                                        ; implicit-def: $vgpr19_vgpr20
	s_branch .LBB1545_148
.LBB1545_151:
	s_set_inst_prefetch_distance 0x2
	s_or_b32 exec_lo, exec_lo, s33
	v_cmp_gt_i64_e32 vcc_lo, s[22:23], v[21:22]
	s_or_not1_b32 s2, vcc_lo, exec_lo
.LBB1545_152:
	s_or_b32 exec_lo, exec_lo, s29
.LBB1545_153:
	s_delay_alu instid0(SALU_CYCLE_1)
	s_and_b32 s29, s2, exec_lo
.LBB1545_154:
	s_or_b32 exec_lo, exec_lo, s31
	v_or_b32_e32 v17, 2, v39
	s_mov_b32 s31, exec_lo
	s_delay_alu instid0(VALU_DEP_1)
	v_cmpx_gt_u32_e64 s20, v17
	s_cbranch_execz .LBB1545_165
; %bb.155:
	v_cmp_ne_u32_e32 vcc_lo, 1, v25
	s_mov_b32 s2, 0
	s_cbranch_vccnz .LBB1545_164
; %bb.156:
	v_mul_lo_u32 v21, v16, s22
	v_mul_lo_u32 v22, v15, s23
	v_mad_u64_u32 v[17:18], null, v15, s22, 0
	v_mul_lo_u32 v23, v10, s22
	v_mul_lo_u32 v24, v9, s23
	s_waitcnt lgkmcnt(0)
	v_mad_u64_u32 v[19:20], null, v9, s22, 0
	s_mov_b32 s2, -1
	s_mov_b32 s30, exec_lo
	s_delay_alu instid0(VALU_DEP_4) | instskip(NEXT) | instid1(VALU_DEP_2)
	v_add3_u32 v18, v18, v22, v21
	v_add3_u32 v20, v20, v24, v23
	s_delay_alu instid0(VALU_DEP_2) | instskip(NEXT) | instid1(VALU_DEP_2)
	v_lshlrev_b64 v[17:18], 2, v[17:18]
	v_lshlrev_b64 v[21:22], 2, v[19:20]
	s_delay_alu instid0(VALU_DEP_2) | instskip(NEXT) | instid1(VALU_DEP_3)
	v_add_co_u32 v19, vcc_lo, s8, v17
	v_add_co_ci_u32_e32 v20, vcc_lo, s9, v18, vcc_lo
	s_delay_alu instid0(VALU_DEP_3) | instskip(NEXT) | instid1(VALU_DEP_4)
	v_add_co_u32 v17, vcc_lo, s8, v21
	v_add_co_ci_u32_e32 v18, vcc_lo, s9, v22, vcc_lo
	s_clause 0x1
	global_load_b32 v21, v[19:20], off
	global_load_b32 v22, v[17:18], off
	s_waitcnt vmcnt(0)
	v_cmpx_eq_u32_e64 v21, v22
	s_cbranch_execz .LBB1545_163
; %bb.157:
	v_add_co_u32 v17, vcc_lo, v17, 4
	v_add_co_ci_u32_e32 v18, vcc_lo, 0, v18, vcc_lo
	v_add_co_u32 v19, vcc_lo, v19, 4
	v_add_co_ci_u32_e32 v20, vcc_lo, 0, v20, vcc_lo
	s_add_u32 s6, s22, -1
	s_addc_u32 s7, s23, -1
	s_mov_b64 s[18:19], 0
	s_mov_b32 s33, 0
                                        ; implicit-def: $sgpr34
	s_set_inst_prefetch_distance 0x1
	s_branch .LBB1545_160
	.p2align	6
.LBB1545_158:                           ;   in Loop: Header=BB1545_160 Depth=1
	global_load_b32 v21, v[19:20], off
	global_load_b32 v22, v[17:18], off
	v_add_co_u32 v17, vcc_lo, v17, 4
	v_add_co_ci_u32_e32 v18, vcc_lo, 0, v18, vcc_lo
	v_add_co_u32 v19, s2, v19, 4
	s_delay_alu instid0(VALU_DEP_1)
	v_add_co_ci_u32_e64 v20, s2, 0, v20, s2
	s_add_u32 s18, s18, 1
	s_addc_u32 s19, s19, 0
	s_and_not1_b32 s2, s34, exec_lo
	s_waitcnt vmcnt(0)
	v_cmp_ne_u32_e32 vcc_lo, v21, v22
	s_and_b32 s34, vcc_lo, exec_lo
	s_delay_alu instid0(SALU_CYCLE_1)
	s_or_b32 s34, s2, s34
.LBB1545_159:                           ;   in Loop: Header=BB1545_160 Depth=1
	v_dual_mov_b32 v22, s19 :: v_dual_mov_b32 v21, s18
	s_and_b32 s2, exec_lo, s34
	s_delay_alu instid0(SALU_CYCLE_1) | instskip(NEXT) | instid1(SALU_CYCLE_1)
	s_or_b32 s33, s2, s33
	s_and_not1_b32 exec_lo, exec_lo, s33
	s_cbranch_execz .LBB1545_162
.LBB1545_160:                           ; =>This Inner Loop Header: Depth=1
	s_or_b32 s34, s34, exec_lo
	s_cmp_eq_u64 s[6:7], s[18:19]
	s_cbranch_scc0 .LBB1545_158
; %bb.161:                              ;   in Loop: Header=BB1545_160 Depth=1
	s_mov_b64 s[18:19], s[22:23]
                                        ; implicit-def: $vgpr17_vgpr18
                                        ; implicit-def: $vgpr19_vgpr20
	s_branch .LBB1545_159
.LBB1545_162:
	s_set_inst_prefetch_distance 0x2
	s_or_b32 exec_lo, exec_lo, s33
	v_cmp_gt_i64_e32 vcc_lo, s[22:23], v[21:22]
	s_or_not1_b32 s2, vcc_lo, exec_lo
.LBB1545_163:
	s_or_b32 exec_lo, exec_lo, s30
.LBB1545_164:
	s_delay_alu instid0(SALU_CYCLE_1)
	s_and_b32 s30, s2, exec_lo
.LBB1545_165:
	s_or_b32 exec_lo, exec_lo, s31
	v_or_b32_e32 v17, 1, v39
	s_mov_b32 s2, 0
	s_mov_b32 s31, exec_lo
	s_delay_alu instid0(VALU_DEP_1)
	v_cmpx_gt_u32_e64 s20, v17
	s_cbranch_execz .LBB1545_176
; %bb.166:
	v_cmp_ne_u32_e32 vcc_lo, 1, v25
	s_cbranch_vccnz .LBB1545_175
; %bb.167:
	v_mul_lo_u32 v21, v14, s22
	v_mul_lo_u32 v22, v13, s23
	v_mad_u64_u32 v[17:18], null, v13, s22, 0
	v_mul_lo_u32 v23, v16, s22
	v_mul_lo_u32 v24, v15, s23
	s_waitcnt lgkmcnt(0)
	v_mad_u64_u32 v[19:20], null, v15, s22, 0
	s_mov_b32 s2, -1
	s_mov_b32 s33, exec_lo
	s_delay_alu instid0(VALU_DEP_4) | instskip(NEXT) | instid1(VALU_DEP_2)
	v_add3_u32 v18, v18, v22, v21
	v_add3_u32 v20, v20, v24, v23
	s_delay_alu instid0(VALU_DEP_2) | instskip(NEXT) | instid1(VALU_DEP_2)
	v_lshlrev_b64 v[17:18], 2, v[17:18]
	v_lshlrev_b64 v[21:22], 2, v[19:20]
	s_delay_alu instid0(VALU_DEP_2) | instskip(NEXT) | instid1(VALU_DEP_3)
	v_add_co_u32 v19, vcc_lo, s8, v17
	v_add_co_ci_u32_e32 v20, vcc_lo, s9, v18, vcc_lo
	s_delay_alu instid0(VALU_DEP_3) | instskip(NEXT) | instid1(VALU_DEP_4)
	v_add_co_u32 v17, vcc_lo, s8, v21
	v_add_co_ci_u32_e32 v18, vcc_lo, s9, v22, vcc_lo
	s_clause 0x1
	global_load_b32 v21, v[19:20], off
	global_load_b32 v22, v[17:18], off
	s_waitcnt vmcnt(0)
	v_cmpx_eq_u32_e64 v21, v22
	s_cbranch_execz .LBB1545_174
; %bb.168:
	v_add_co_u32 v17, vcc_lo, v17, 4
	v_add_co_ci_u32_e32 v18, vcc_lo, 0, v18, vcc_lo
	v_add_co_u32 v19, vcc_lo, v19, 4
	v_add_co_ci_u32_e32 v20, vcc_lo, 0, v20, vcc_lo
	s_add_u32 s6, s22, -1
	s_addc_u32 s7, s23, -1
	s_mov_b64 s[18:19], 0
	s_mov_b32 s34, 0
                                        ; implicit-def: $sgpr35
	s_set_inst_prefetch_distance 0x1
	s_branch .LBB1545_171
	.p2align	6
.LBB1545_169:                           ;   in Loop: Header=BB1545_171 Depth=1
	global_load_b32 v21, v[19:20], off
	global_load_b32 v22, v[17:18], off
	v_add_co_u32 v17, vcc_lo, v17, 4
	v_add_co_ci_u32_e32 v18, vcc_lo, 0, v18, vcc_lo
	v_add_co_u32 v19, s2, v19, 4
	s_delay_alu instid0(VALU_DEP_1)
	v_add_co_ci_u32_e64 v20, s2, 0, v20, s2
	s_add_u32 s18, s18, 1
	s_addc_u32 s19, s19, 0
	s_and_not1_b32 s2, s35, exec_lo
	s_waitcnt vmcnt(0)
	v_cmp_ne_u32_e32 vcc_lo, v21, v22
	s_and_b32 s35, vcc_lo, exec_lo
	s_delay_alu instid0(SALU_CYCLE_1)
	s_or_b32 s35, s2, s35
.LBB1545_170:                           ;   in Loop: Header=BB1545_171 Depth=1
	v_dual_mov_b32 v22, s19 :: v_dual_mov_b32 v21, s18
	s_and_b32 s2, exec_lo, s35
	s_delay_alu instid0(SALU_CYCLE_1) | instskip(NEXT) | instid1(SALU_CYCLE_1)
	s_or_b32 s34, s2, s34
	s_and_not1_b32 exec_lo, exec_lo, s34
	s_cbranch_execz .LBB1545_173
.LBB1545_171:                           ; =>This Inner Loop Header: Depth=1
	s_or_b32 s35, s35, exec_lo
	s_cmp_eq_u64 s[6:7], s[18:19]
	s_cbranch_scc0 .LBB1545_169
; %bb.172:                              ;   in Loop: Header=BB1545_171 Depth=1
	s_mov_b64 s[18:19], s[22:23]
                                        ; implicit-def: $vgpr17_vgpr18
                                        ; implicit-def: $vgpr19_vgpr20
	s_branch .LBB1545_170
.LBB1545_173:
	s_set_inst_prefetch_distance 0x2
	s_or_b32 exec_lo, exec_lo, s34
	v_cmp_gt_i64_e32 vcc_lo, s[22:23], v[21:22]
	s_or_not1_b32 s2, vcc_lo, exec_lo
.LBB1545_174:
	s_or_b32 exec_lo, exec_lo, s33
.LBB1545_175:
	s_delay_alu instid0(SALU_CYCLE_1)
	s_and_b32 s2, s2, exec_lo
.LBB1545_176:
	s_or_b32 exec_lo, exec_lo, s31
	s_waitcnt lgkmcnt(0)
	v_dual_mov_b32 v18, s5 :: v_dual_mov_b32 v17, s4
	s_mov_b32 s4, exec_lo
	s_barrier
	buffer_gl0_inv
	v_cmpx_ne_u32_e32 0, v0
	s_cbranch_execz .LBB1545_178
; %bb.177:
	v_add_nc_u32_e32 v17, -8, v39
	ds_load_b64 v[17:18], v17
.LBB1545_178:
	s_or_b32 exec_lo, exec_lo, s4
	v_cndmask_b32_e64 v20, 0, 1, s29
	v_cndmask_b32_e64 v22, 0, 1, s26
	v_cndmask_b32_e64 v23, 0, 1, s27
	v_cndmask_b32_e64 v19, 0, 1, s30
	v_cndmask_b32_e64 v21, 0, 1, s28
	v_cndmask_b32_e64 v24, 0, 1, s3
	v_cndmask_b32_e64 v26, 0, 1, s2
	v_lshlrev_b16 v20, 8, v20
	v_lshlrev_b16 v22, 8, v22
	;; [unrolled: 1-line block ×3, first 2 shown]
	s_mov_b32 s2, 0
	v_lshlrev_b16 v26, 8, v26
	v_or_b32_e32 v19, v19, v20
	v_or_b32_e32 v20, v21, v22
	;; [unrolled: 1-line block ×3, first 2 shown]
	s_mov_b32 s3, exec_lo
	v_and_b32_e32 v23, 0xffff, v26
	v_lshlrev_b32_e32 v24, 16, v19
	v_and_b32_e32 v26, 0xffff, v20
	v_lshlrev_b32_e32 v27, 16, v21
	v_cmpx_gt_u32_e64 s20, v39
	s_cbranch_execz .LBB1545_189
; %bb.179:
	v_cmp_ne_u32_e32 vcc_lo, 1, v25
	s_cbranch_vccnz .LBB1545_188
; %bb.180:
	s_waitcnt lgkmcnt(0)
	v_mul_lo_u32 v22, v18, s22
	v_mul_lo_u32 v25, v17, s23
	v_mad_u64_u32 v[18:19], null, v17, s22, 0
	v_mul_lo_u32 v17, v14, s22
	v_mul_lo_u32 v28, v13, s23
	v_mad_u64_u32 v[20:21], null, v13, s22, 0
	s_mov_b32 s2, -1
	s_mov_b32 s18, exec_lo
	s_delay_alu instid0(VALU_DEP_4) | instskip(NEXT) | instid1(VALU_DEP_2)
	v_add3_u32 v19, v19, v25, v22
	v_add3_u32 v21, v21, v28, v17
	s_delay_alu instid0(VALU_DEP_2) | instskip(NEXT) | instid1(VALU_DEP_2)
	v_lshlrev_b64 v[17:18], 2, v[18:19]
	v_lshlrev_b64 v[21:22], 2, v[20:21]
	s_delay_alu instid0(VALU_DEP_2) | instskip(NEXT) | instid1(VALU_DEP_3)
	v_add_co_u32 v19, vcc_lo, s8, v17
	v_add_co_ci_u32_e32 v20, vcc_lo, s9, v18, vcc_lo
	s_delay_alu instid0(VALU_DEP_3) | instskip(NEXT) | instid1(VALU_DEP_4)
	v_add_co_u32 v17, vcc_lo, s8, v21
	v_add_co_ci_u32_e32 v18, vcc_lo, s9, v22, vcc_lo
	s_clause 0x1
	global_load_b32 v21, v[19:20], off
	global_load_b32 v22, v[17:18], off
	s_waitcnt vmcnt(0)
	v_cmpx_eq_u32_e64 v21, v22
	s_cbranch_execz .LBB1545_187
; %bb.181:
	v_add_co_u32 v17, vcc_lo, v17, 4
	v_add_co_ci_u32_e32 v18, vcc_lo, 0, v18, vcc_lo
	v_add_co_u32 v19, vcc_lo, v19, 4
	v_add_co_ci_u32_e32 v20, vcc_lo, 0, v20, vcc_lo
	s_add_u32 s4, s22, -1
	s_addc_u32 s5, s23, -1
	s_mov_b64 s[6:7], 0
	s_mov_b32 s19, 0
                                        ; implicit-def: $sgpr26
	s_set_inst_prefetch_distance 0x1
	s_branch .LBB1545_184
	.p2align	6
.LBB1545_182:                           ;   in Loop: Header=BB1545_184 Depth=1
	global_load_b32 v21, v[19:20], off
	global_load_b32 v22, v[17:18], off
	v_add_co_u32 v17, vcc_lo, v17, 4
	v_add_co_ci_u32_e32 v18, vcc_lo, 0, v18, vcc_lo
	v_add_co_u32 v19, s2, v19, 4
	s_delay_alu instid0(VALU_DEP_1)
	v_add_co_ci_u32_e64 v20, s2, 0, v20, s2
	s_add_u32 s6, s6, 1
	s_addc_u32 s7, s7, 0
	s_and_not1_b32 s2, s26, exec_lo
	s_waitcnt vmcnt(0)
	v_cmp_ne_u32_e32 vcc_lo, v21, v22
	s_and_b32 s26, vcc_lo, exec_lo
	s_delay_alu instid0(SALU_CYCLE_1)
	s_or_b32 s26, s2, s26
.LBB1545_183:                           ;   in Loop: Header=BB1545_184 Depth=1
	v_dual_mov_b32 v22, s7 :: v_dual_mov_b32 v21, s6
	s_and_b32 s2, exec_lo, s26
	s_delay_alu instid0(SALU_CYCLE_1) | instskip(NEXT) | instid1(SALU_CYCLE_1)
	s_or_b32 s19, s2, s19
	s_and_not1_b32 exec_lo, exec_lo, s19
	s_cbranch_execz .LBB1545_186
.LBB1545_184:                           ; =>This Inner Loop Header: Depth=1
	s_or_b32 s26, s26, exec_lo
	s_cmp_eq_u64 s[4:5], s[6:7]
	s_cbranch_scc0 .LBB1545_182
; %bb.185:                              ;   in Loop: Header=BB1545_184 Depth=1
	s_mov_b64 s[6:7], s[22:23]
                                        ; implicit-def: $vgpr17_vgpr18
                                        ; implicit-def: $vgpr19_vgpr20
	s_branch .LBB1545_183
.LBB1545_186:
	s_set_inst_prefetch_distance 0x2
	s_or_b32 exec_lo, exec_lo, s19
	v_cmp_gt_i64_e32 vcc_lo, s[22:23], v[21:22]
	s_or_not1_b32 s2, vcc_lo, exec_lo
.LBB1545_187:
	s_or_b32 exec_lo, exec_lo, s18
.LBB1545_188:
	s_delay_alu instid0(SALU_CYCLE_1)
	s_and_b32 s2, s2, exec_lo
.LBB1545_189:
	s_or_b32 exec_lo, exec_lo, s3
	s_waitcnt lgkmcnt(0)
	v_or_b32_e32 v17, v23, v24
	v_or_b32_e32 v18, v26, v27
.LBB1545_190:
	s_mov_b32 s18, -1
	s_cbranch_execnz .LBB1545_359
.LBB1545_191:
	v_cmp_gt_i64_e64 s3, s[22:23], 0
	s_and_b32 vcc_lo, exec_lo, s21
	ds_store_b64 v39, v[3:4]
	s_cbranch_vccz .LBB1545_199
; %bb.192:
	s_waitcnt lgkmcnt(0)
	v_mul_lo_u32 v19, v2, s22
	v_mul_lo_u32 v20, v1, s23
	v_mad_u64_u32 v[17:18], null, v1, s22, 0
	s_mov_b32 s19, 0
	s_and_not1_b32 vcc_lo, exec_lo, s3
	s_mov_b32 s26, 0
	s_delay_alu instid0(VALU_DEP_1) | instskip(NEXT) | instid1(VALU_DEP_1)
	v_add3_u32 v18, v18, v20, v19
	v_lshlrev_b64 v[17:18], 2, v[17:18]
	s_cbranch_vccnz .LBB1545_202
; %bb.193:
	v_mul_lo_u32 v21, v4, s22
	v_mul_lo_u32 v22, v3, s23
	v_mad_u64_u32 v[19:20], null, v3, s22, 0
	s_mov_b32 s26, -1
	s_mov_b32 s27, exec_lo
	s_delay_alu instid0(VALU_DEP_1) | instskip(SKIP_2) | instid1(VALU_DEP_3)
	v_add3_u32 v20, v20, v22, v21
	v_add_co_u32 v21, vcc_lo, s8, v17
	v_add_co_ci_u32_e32 v22, vcc_lo, s9, v18, vcc_lo
	v_lshlrev_b64 v[19:20], 2, v[19:20]
	s_delay_alu instid0(VALU_DEP_1) | instskip(NEXT) | instid1(VALU_DEP_2)
	v_add_co_u32 v19, vcc_lo, s8, v19
	v_add_co_ci_u32_e32 v20, vcc_lo, s9, v20, vcc_lo
	s_clause 0x1
	global_load_b32 v23, v[21:22], off
	global_load_b32 v24, v[19:20], off
	s_waitcnt vmcnt(0)
	v_cmpx_eq_u32_e64 v23, v24
	s_cbranch_execz .LBB1545_201
; %bb.194:
	v_add_co_u32 v19, vcc_lo, v19, 4
	v_add_co_ci_u32_e32 v20, vcc_lo, 0, v20, vcc_lo
	v_add_co_u32 v21, vcc_lo, v21, 4
	v_add_co_ci_u32_e32 v22, vcc_lo, 0, v22, vcc_lo
	s_add_u32 s4, s22, -1
	s_addc_u32 s5, s23, -1
	s_mov_b64 s[6:7], 0
	s_mov_b32 s26, 0
                                        ; implicit-def: $sgpr28
	s_set_inst_prefetch_distance 0x1
	s_branch .LBB1545_197
	.p2align	6
.LBB1545_195:                           ;   in Loop: Header=BB1545_197 Depth=1
	global_load_b32 v23, v[21:22], off
	global_load_b32 v24, v[19:20], off
	v_add_co_u32 v19, vcc_lo, v19, 4
	v_add_co_ci_u32_e32 v20, vcc_lo, 0, v20, vcc_lo
	v_add_co_u32 v21, s2, v21, 4
	s_delay_alu instid0(VALU_DEP_1)
	v_add_co_ci_u32_e64 v22, s2, 0, v22, s2
	s_add_u32 s6, s6, 1
	s_addc_u32 s7, s7, 0
	s_and_not1_b32 s2, s28, exec_lo
	s_waitcnt vmcnt(0)
	v_cmp_ne_u32_e32 vcc_lo, v23, v24
	s_and_b32 s28, vcc_lo, exec_lo
	s_delay_alu instid0(SALU_CYCLE_1)
	s_or_b32 s28, s2, s28
.LBB1545_196:                           ;   in Loop: Header=BB1545_197 Depth=1
	v_dual_mov_b32 v24, s7 :: v_dual_mov_b32 v23, s6
	s_and_b32 s2, exec_lo, s28
	s_delay_alu instid0(SALU_CYCLE_1) | instskip(NEXT) | instid1(SALU_CYCLE_1)
	s_or_b32 s26, s2, s26
	s_and_not1_b32 exec_lo, exec_lo, s26
	s_cbranch_execz .LBB1545_200
.LBB1545_197:                           ; =>This Inner Loop Header: Depth=1
	s_or_b32 s28, s28, exec_lo
	s_cmp_eq_u64 s[4:5], s[6:7]
	s_cbranch_scc0 .LBB1545_195
; %bb.198:                              ;   in Loop: Header=BB1545_197 Depth=1
	s_mov_b64 s[6:7], s[22:23]
                                        ; implicit-def: $vgpr19_vgpr20
                                        ; implicit-def: $vgpr21_vgpr22
	s_branch .LBB1545_196
.LBB1545_199:
	s_waitcnt lgkmcnt(0)
                                        ; implicit-def: $sgpr2
                                        ; implicit-def: $vgpr18
	s_cbranch_execnz .LBB1545_268
	s_branch .LBB1545_359
.LBB1545_200:
	s_set_inst_prefetch_distance 0x2
	s_or_b32 exec_lo, exec_lo, s26
	v_cmp_gt_i64_e32 vcc_lo, s[22:23], v[23:24]
	s_or_not1_b32 s26, vcc_lo, exec_lo
.LBB1545_201:
	s_or_b32 exec_lo, exec_lo, s27
.LBB1545_202:
	v_mul_lo_u32 v21, v8, s22
	v_mul_lo_u32 v22, v7, s23
	v_mad_u64_u32 v[19:20], null, v7, s22, 0
	s_and_not1_b32 vcc_lo, exec_lo, s3
	s_delay_alu instid0(VALU_DEP_1) | instskip(NEXT) | instid1(VALU_DEP_1)
	v_add3_u32 v20, v20, v22, v21
	v_lshlrev_b64 v[19:20], 2, v[19:20]
	s_cbranch_vccnz .LBB1545_211
; %bb.203:
	s_delay_alu instid0(VALU_DEP_1) | instskip(NEXT) | instid1(VALU_DEP_2)
	v_add_co_u32 v21, vcc_lo, s8, v19
	v_add_co_ci_u32_e32 v22, vcc_lo, s9, v20, vcc_lo
	v_add_co_u32 v17, vcc_lo, s8, v17
	v_add_co_ci_u32_e32 v18, vcc_lo, s9, v18, vcc_lo
	s_mov_b32 s19, -1
	s_clause 0x1
	global_load_b32 v23, v[21:22], off
	global_load_b32 v24, v[17:18], off
	s_mov_b32 s27, exec_lo
	s_waitcnt vmcnt(0)
	v_cmpx_eq_u32_e64 v23, v24
	s_cbranch_execz .LBB1545_210
; %bb.204:
	v_add_co_u32 v17, vcc_lo, v17, 4
	v_add_co_ci_u32_e32 v18, vcc_lo, 0, v18, vcc_lo
	v_add_co_u32 v21, vcc_lo, v21, 4
	v_add_co_ci_u32_e32 v22, vcc_lo, 0, v22, vcc_lo
	s_add_u32 s4, s22, -1
	s_addc_u32 s5, s23, -1
	s_mov_b64 s[6:7], 0
	s_mov_b32 s19, 0
                                        ; implicit-def: $sgpr28
	s_set_inst_prefetch_distance 0x1
	s_branch .LBB1545_207
	.p2align	6
.LBB1545_205:                           ;   in Loop: Header=BB1545_207 Depth=1
	global_load_b32 v23, v[21:22], off
	global_load_b32 v24, v[17:18], off
	v_add_co_u32 v17, vcc_lo, v17, 4
	v_add_co_ci_u32_e32 v18, vcc_lo, 0, v18, vcc_lo
	v_add_co_u32 v21, s2, v21, 4
	s_delay_alu instid0(VALU_DEP_1)
	v_add_co_ci_u32_e64 v22, s2, 0, v22, s2
	s_add_u32 s6, s6, 1
	s_addc_u32 s7, s7, 0
	s_and_not1_b32 s2, s28, exec_lo
	s_waitcnt vmcnt(0)
	v_cmp_ne_u32_e32 vcc_lo, v23, v24
	s_and_b32 s28, vcc_lo, exec_lo
	s_delay_alu instid0(SALU_CYCLE_1)
	s_or_b32 s28, s2, s28
.LBB1545_206:                           ;   in Loop: Header=BB1545_207 Depth=1
	v_dual_mov_b32 v24, s7 :: v_dual_mov_b32 v23, s6
	s_and_b32 s2, exec_lo, s28
	s_delay_alu instid0(SALU_CYCLE_1) | instskip(NEXT) | instid1(SALU_CYCLE_1)
	s_or_b32 s19, s2, s19
	s_and_not1_b32 exec_lo, exec_lo, s19
	s_cbranch_execz .LBB1545_209
.LBB1545_207:                           ; =>This Inner Loop Header: Depth=1
	s_or_b32 s28, s28, exec_lo
	s_cmp_eq_u64 s[4:5], s[6:7]
	s_cbranch_scc0 .LBB1545_205
; %bb.208:                              ;   in Loop: Header=BB1545_207 Depth=1
	s_mov_b64 s[6:7], s[22:23]
                                        ; implicit-def: $vgpr17_vgpr18
                                        ; implicit-def: $vgpr21_vgpr22
	s_branch .LBB1545_206
.LBB1545_209:
	s_set_inst_prefetch_distance 0x2
	s_or_b32 exec_lo, exec_lo, s19
	v_cmp_gt_i64_e32 vcc_lo, s[22:23], v[23:24]
	s_or_not1_b32 s19, vcc_lo, exec_lo
.LBB1545_210:
	s_or_b32 exec_lo, exec_lo, s27
.LBB1545_211:
	v_mul_lo_u32 v21, v6, s22
	v_mul_lo_u32 v22, v5, s23
	v_mad_u64_u32 v[17:18], null, v5, s22, 0
	s_mov_b32 s27, 0
	s_and_not1_b32 vcc_lo, exec_lo, s3
	s_mov_b32 s28, 0
	s_delay_alu instid0(VALU_DEP_1) | instskip(NEXT) | instid1(VALU_DEP_1)
	v_add3_u32 v18, v18, v22, v21
	v_lshlrev_b64 v[21:22], 2, v[17:18]
	s_cbranch_vccnz .LBB1545_220
; %bb.212:
	s_delay_alu instid0(VALU_DEP_1) | instskip(NEXT) | instid1(VALU_DEP_2)
	v_add_co_u32 v23, vcc_lo, s8, v21
	v_add_co_ci_u32_e32 v24, vcc_lo, s9, v22, vcc_lo
	v_add_co_u32 v17, vcc_lo, s8, v19
	v_add_co_ci_u32_e32 v18, vcc_lo, s9, v20, vcc_lo
	s_mov_b32 s28, -1
	s_clause 0x1
	global_load_b32 v19, v[23:24], off
	global_load_b32 v20, v[17:18], off
	s_mov_b32 s29, exec_lo
	s_waitcnt vmcnt(0)
	v_cmpx_eq_u32_e64 v19, v20
	s_cbranch_execz .LBB1545_219
; %bb.213:
	v_add_co_u32 v17, vcc_lo, v17, 4
	v_add_co_ci_u32_e32 v18, vcc_lo, 0, v18, vcc_lo
	v_add_co_u32 v19, vcc_lo, v23, 4
	v_add_co_ci_u32_e32 v20, vcc_lo, 0, v24, vcc_lo
	s_add_u32 s4, s22, -1
	s_addc_u32 s5, s23, -1
	s_mov_b64 s[6:7], 0
	s_mov_b32 s28, 0
                                        ; implicit-def: $sgpr30
	s_set_inst_prefetch_distance 0x1
	s_branch .LBB1545_216
	.p2align	6
.LBB1545_214:                           ;   in Loop: Header=BB1545_216 Depth=1
	global_load_b32 v23, v[19:20], off
	global_load_b32 v24, v[17:18], off
	v_add_co_u32 v17, vcc_lo, v17, 4
	v_add_co_ci_u32_e32 v18, vcc_lo, 0, v18, vcc_lo
	v_add_co_u32 v19, s2, v19, 4
	s_delay_alu instid0(VALU_DEP_1)
	v_add_co_ci_u32_e64 v20, s2, 0, v20, s2
	s_add_u32 s6, s6, 1
	s_addc_u32 s7, s7, 0
	s_and_not1_b32 s2, s30, exec_lo
	s_waitcnt vmcnt(0)
	v_cmp_ne_u32_e32 vcc_lo, v23, v24
	s_and_b32 s30, vcc_lo, exec_lo
	s_delay_alu instid0(SALU_CYCLE_1)
	s_or_b32 s30, s2, s30
.LBB1545_215:                           ;   in Loop: Header=BB1545_216 Depth=1
	v_dual_mov_b32 v24, s7 :: v_dual_mov_b32 v23, s6
	s_and_b32 s2, exec_lo, s30
	s_delay_alu instid0(SALU_CYCLE_1) | instskip(NEXT) | instid1(SALU_CYCLE_1)
	s_or_b32 s28, s2, s28
	s_and_not1_b32 exec_lo, exec_lo, s28
	s_cbranch_execz .LBB1545_218
.LBB1545_216:                           ; =>This Inner Loop Header: Depth=1
	s_or_b32 s30, s30, exec_lo
	s_cmp_eq_u64 s[4:5], s[6:7]
	s_cbranch_scc0 .LBB1545_214
; %bb.217:                              ;   in Loop: Header=BB1545_216 Depth=1
	s_mov_b64 s[6:7], s[22:23]
                                        ; implicit-def: $vgpr17_vgpr18
                                        ; implicit-def: $vgpr19_vgpr20
	s_branch .LBB1545_215
.LBB1545_218:
	s_set_inst_prefetch_distance 0x2
	s_or_b32 exec_lo, exec_lo, s28
	v_cmp_gt_i64_e32 vcc_lo, s[22:23], v[23:24]
	s_or_not1_b32 s28, vcc_lo, exec_lo
.LBB1545_219:
	s_or_b32 exec_lo, exec_lo, s29
.LBB1545_220:
	v_mul_lo_u32 v19, v12, s22
	v_mul_lo_u32 v20, v11, s23
	v_mad_u64_u32 v[17:18], null, v11, s22, 0
	s_and_not1_b32 vcc_lo, exec_lo, s3
	s_delay_alu instid0(VALU_DEP_1) | instskip(NEXT) | instid1(VALU_DEP_1)
	v_add3_u32 v18, v18, v20, v19
	v_lshlrev_b64 v[17:18], 2, v[17:18]
	s_cbranch_vccnz .LBB1545_229
; %bb.221:
	s_delay_alu instid0(VALU_DEP_1) | instskip(NEXT) | instid1(VALU_DEP_2)
	v_add_co_u32 v23, vcc_lo, s8, v17
	v_add_co_ci_u32_e32 v24, vcc_lo, s9, v18, vcc_lo
	v_add_co_u32 v19, vcc_lo, s8, v21
	v_add_co_ci_u32_e32 v20, vcc_lo, s9, v22, vcc_lo
	s_mov_b32 s27, -1
	s_clause 0x1
	global_load_b32 v21, v[23:24], off
	global_load_b32 v22, v[19:20], off
	s_mov_b32 s29, exec_lo
	s_waitcnt vmcnt(0)
	v_cmpx_eq_u32_e64 v21, v22
	s_cbranch_execz .LBB1545_228
; %bb.222:
	v_add_co_u32 v19, vcc_lo, v19, 4
	v_add_co_ci_u32_e32 v20, vcc_lo, 0, v20, vcc_lo
	v_add_co_u32 v21, vcc_lo, v23, 4
	v_add_co_ci_u32_e32 v22, vcc_lo, 0, v24, vcc_lo
	s_add_u32 s4, s22, -1
	s_addc_u32 s5, s23, -1
	s_mov_b64 s[6:7], 0
	s_mov_b32 s27, 0
                                        ; implicit-def: $sgpr30
	s_set_inst_prefetch_distance 0x1
	s_branch .LBB1545_225
	.p2align	6
.LBB1545_223:                           ;   in Loop: Header=BB1545_225 Depth=1
	global_load_b32 v23, v[21:22], off
	global_load_b32 v24, v[19:20], off
	v_add_co_u32 v19, vcc_lo, v19, 4
	v_add_co_ci_u32_e32 v20, vcc_lo, 0, v20, vcc_lo
	v_add_co_u32 v21, s2, v21, 4
	s_delay_alu instid0(VALU_DEP_1)
	v_add_co_ci_u32_e64 v22, s2, 0, v22, s2
	s_add_u32 s6, s6, 1
	s_addc_u32 s7, s7, 0
	s_and_not1_b32 s2, s30, exec_lo
	s_waitcnt vmcnt(0)
	v_cmp_ne_u32_e32 vcc_lo, v23, v24
	s_and_b32 s30, vcc_lo, exec_lo
	s_delay_alu instid0(SALU_CYCLE_1)
	s_or_b32 s30, s2, s30
.LBB1545_224:                           ;   in Loop: Header=BB1545_225 Depth=1
	v_dual_mov_b32 v24, s7 :: v_dual_mov_b32 v23, s6
	s_and_b32 s2, exec_lo, s30
	s_delay_alu instid0(SALU_CYCLE_1) | instskip(NEXT) | instid1(SALU_CYCLE_1)
	s_or_b32 s27, s2, s27
	s_and_not1_b32 exec_lo, exec_lo, s27
	s_cbranch_execz .LBB1545_227
.LBB1545_225:                           ; =>This Inner Loop Header: Depth=1
	s_or_b32 s30, s30, exec_lo
	s_cmp_eq_u64 s[4:5], s[6:7]
	s_cbranch_scc0 .LBB1545_223
; %bb.226:                              ;   in Loop: Header=BB1545_225 Depth=1
	s_mov_b64 s[6:7], s[22:23]
                                        ; implicit-def: $vgpr19_vgpr20
                                        ; implicit-def: $vgpr21_vgpr22
	s_branch .LBB1545_224
.LBB1545_227:
	s_set_inst_prefetch_distance 0x2
	s_or_b32 exec_lo, exec_lo, s27
	v_cmp_gt_i64_e32 vcc_lo, s[22:23], v[23:24]
	s_or_not1_b32 s27, vcc_lo, exec_lo
.LBB1545_228:
	s_or_b32 exec_lo, exec_lo, s29
.LBB1545_229:
	v_mul_lo_u32 v21, v10, s22
	v_mul_lo_u32 v22, v9, s23
	v_mad_u64_u32 v[19:20], null, v9, s22, 0
	s_mov_b32 s29, 0
	s_and_not1_b32 vcc_lo, exec_lo, s3
	s_mov_b32 s30, 0
	s_delay_alu instid0(VALU_DEP_1) | instskip(NEXT) | instid1(VALU_DEP_1)
	v_add3_u32 v20, v20, v22, v21
	v_lshlrev_b64 v[19:20], 2, v[19:20]
	s_cbranch_vccnz .LBB1545_238
; %bb.230:
	s_delay_alu instid0(VALU_DEP_1) | instskip(NEXT) | instid1(VALU_DEP_2)
	v_add_co_u32 v21, vcc_lo, s8, v19
	v_add_co_ci_u32_e32 v22, vcc_lo, s9, v20, vcc_lo
	v_add_co_u32 v17, vcc_lo, s8, v17
	v_add_co_ci_u32_e32 v18, vcc_lo, s9, v18, vcc_lo
	s_mov_b32 s30, -1
	s_clause 0x1
	global_load_b32 v23, v[21:22], off
	global_load_b32 v24, v[17:18], off
	s_mov_b32 s31, exec_lo
	s_waitcnt vmcnt(0)
	v_cmpx_eq_u32_e64 v23, v24
	s_cbranch_execz .LBB1545_237
; %bb.231:
	v_add_co_u32 v17, vcc_lo, v17, 4
	v_add_co_ci_u32_e32 v18, vcc_lo, 0, v18, vcc_lo
	v_add_co_u32 v21, vcc_lo, v21, 4
	v_add_co_ci_u32_e32 v22, vcc_lo, 0, v22, vcc_lo
	s_add_u32 s4, s22, -1
	s_addc_u32 s5, s23, -1
	s_mov_b64 s[6:7], 0
	s_mov_b32 s30, 0
                                        ; implicit-def: $sgpr33
	s_set_inst_prefetch_distance 0x1
	s_branch .LBB1545_234
	.p2align	6
.LBB1545_232:                           ;   in Loop: Header=BB1545_234 Depth=1
	global_load_b32 v23, v[21:22], off
	global_load_b32 v24, v[17:18], off
	v_add_co_u32 v17, vcc_lo, v17, 4
	v_add_co_ci_u32_e32 v18, vcc_lo, 0, v18, vcc_lo
	v_add_co_u32 v21, s2, v21, 4
	s_delay_alu instid0(VALU_DEP_1)
	v_add_co_ci_u32_e64 v22, s2, 0, v22, s2
	s_add_u32 s6, s6, 1
	s_addc_u32 s7, s7, 0
	s_and_not1_b32 s2, s33, exec_lo
	s_waitcnt vmcnt(0)
	v_cmp_ne_u32_e32 vcc_lo, v23, v24
	s_and_b32 s33, vcc_lo, exec_lo
	s_delay_alu instid0(SALU_CYCLE_1)
	s_or_b32 s33, s2, s33
.LBB1545_233:                           ;   in Loop: Header=BB1545_234 Depth=1
	v_dual_mov_b32 v24, s7 :: v_dual_mov_b32 v23, s6
	s_and_b32 s2, exec_lo, s33
	s_delay_alu instid0(SALU_CYCLE_1) | instskip(NEXT) | instid1(SALU_CYCLE_1)
	s_or_b32 s30, s2, s30
	s_and_not1_b32 exec_lo, exec_lo, s30
	s_cbranch_execz .LBB1545_236
.LBB1545_234:                           ; =>This Inner Loop Header: Depth=1
	s_or_b32 s33, s33, exec_lo
	s_cmp_eq_u64 s[4:5], s[6:7]
	s_cbranch_scc0 .LBB1545_232
; %bb.235:                              ;   in Loop: Header=BB1545_234 Depth=1
	s_mov_b64 s[6:7], s[22:23]
                                        ; implicit-def: $vgpr17_vgpr18
                                        ; implicit-def: $vgpr21_vgpr22
	s_branch .LBB1545_233
.LBB1545_236:
	s_set_inst_prefetch_distance 0x2
	s_or_b32 exec_lo, exec_lo, s30
	v_cmp_gt_i64_e32 vcc_lo, s[22:23], v[23:24]
	s_or_not1_b32 s30, vcc_lo, exec_lo
.LBB1545_237:
	s_or_b32 exec_lo, exec_lo, s31
.LBB1545_238:
	v_mul_lo_u32 v21, v16, s22
	v_mul_lo_u32 v22, v15, s23
	v_mad_u64_u32 v[17:18], null, v15, s22, 0
	s_and_not1_b32 vcc_lo, exec_lo, s3
	s_delay_alu instid0(VALU_DEP_1) | instskip(NEXT) | instid1(VALU_DEP_1)
	v_add3_u32 v18, v18, v22, v21
	v_lshlrev_b64 v[17:18], 2, v[17:18]
	s_cbranch_vccnz .LBB1545_247
; %bb.239:
	s_delay_alu instid0(VALU_DEP_1) | instskip(NEXT) | instid1(VALU_DEP_2)
	v_add_co_u32 v21, vcc_lo, s8, v17
	v_add_co_ci_u32_e32 v22, vcc_lo, s9, v18, vcc_lo
	v_add_co_u32 v19, vcc_lo, s8, v19
	v_add_co_ci_u32_e32 v20, vcc_lo, s9, v20, vcc_lo
	s_mov_b32 s29, -1
	s_clause 0x1
	global_load_b32 v23, v[21:22], off
	global_load_b32 v24, v[19:20], off
	s_mov_b32 s31, exec_lo
	s_waitcnt vmcnt(0)
	v_cmpx_eq_u32_e64 v23, v24
	s_cbranch_execz .LBB1545_246
; %bb.240:
	v_add_co_u32 v19, vcc_lo, v19, 4
	v_add_co_ci_u32_e32 v20, vcc_lo, 0, v20, vcc_lo
	v_add_co_u32 v21, vcc_lo, v21, 4
	v_add_co_ci_u32_e32 v22, vcc_lo, 0, v22, vcc_lo
	s_add_u32 s4, s22, -1
	s_addc_u32 s5, s23, -1
	s_mov_b64 s[6:7], 0
	s_mov_b32 s29, 0
                                        ; implicit-def: $sgpr33
	s_set_inst_prefetch_distance 0x1
	s_branch .LBB1545_243
	.p2align	6
.LBB1545_241:                           ;   in Loop: Header=BB1545_243 Depth=1
	global_load_b32 v23, v[21:22], off
	global_load_b32 v24, v[19:20], off
	v_add_co_u32 v19, vcc_lo, v19, 4
	v_add_co_ci_u32_e32 v20, vcc_lo, 0, v20, vcc_lo
	v_add_co_u32 v21, s2, v21, 4
	s_delay_alu instid0(VALU_DEP_1)
	v_add_co_ci_u32_e64 v22, s2, 0, v22, s2
	s_add_u32 s6, s6, 1
	s_addc_u32 s7, s7, 0
	s_and_not1_b32 s2, s33, exec_lo
	s_waitcnt vmcnt(0)
	v_cmp_ne_u32_e32 vcc_lo, v23, v24
	s_and_b32 s33, vcc_lo, exec_lo
	s_delay_alu instid0(SALU_CYCLE_1)
	s_or_b32 s33, s2, s33
.LBB1545_242:                           ;   in Loop: Header=BB1545_243 Depth=1
	v_dual_mov_b32 v24, s7 :: v_dual_mov_b32 v23, s6
	s_and_b32 s2, exec_lo, s33
	s_delay_alu instid0(SALU_CYCLE_1) | instskip(NEXT) | instid1(SALU_CYCLE_1)
	s_or_b32 s29, s2, s29
	s_and_not1_b32 exec_lo, exec_lo, s29
	s_cbranch_execz .LBB1545_245
.LBB1545_243:                           ; =>This Inner Loop Header: Depth=1
	s_or_b32 s33, s33, exec_lo
	s_cmp_eq_u64 s[4:5], s[6:7]
	s_cbranch_scc0 .LBB1545_241
; %bb.244:                              ;   in Loop: Header=BB1545_243 Depth=1
	s_mov_b64 s[6:7], s[22:23]
                                        ; implicit-def: $vgpr19_vgpr20
                                        ; implicit-def: $vgpr21_vgpr22
	s_branch .LBB1545_242
.LBB1545_245:
	s_set_inst_prefetch_distance 0x2
	s_or_b32 exec_lo, exec_lo, s29
	v_cmp_gt_i64_e32 vcc_lo, s[22:23], v[23:24]
	s_or_not1_b32 s29, vcc_lo, exec_lo
.LBB1545_246:
	s_or_b32 exec_lo, exec_lo, s31
.LBB1545_247:
	v_mul_lo_u32 v21, v14, s22
	v_mul_lo_u32 v22, v13, s23
	v_mad_u64_u32 v[19:20], null, v13, s22, 0
	s_and_not1_b32 vcc_lo, exec_lo, s3
	s_mov_b32 s2, 0
	s_delay_alu instid0(VALU_DEP_1)
	v_add3_u32 v20, v20, v22, v21
	s_cbranch_vccnz .LBB1545_256
; %bb.248:
	s_delay_alu instid0(VALU_DEP_1) | instskip(SKIP_2) | instid1(VALU_DEP_1)
	v_lshlrev_b64 v[21:22], 2, v[19:20]
	s_mov_b32 s2, -1
	s_mov_b32 s31, exec_lo
	v_add_co_u32 v21, vcc_lo, s8, v21
	s_delay_alu instid0(VALU_DEP_2)
	v_add_co_ci_u32_e32 v22, vcc_lo, s9, v22, vcc_lo
	v_add_co_u32 v17, vcc_lo, s8, v17
	v_add_co_ci_u32_e32 v18, vcc_lo, s9, v18, vcc_lo
	s_clause 0x1
	global_load_b32 v23, v[21:22], off
	global_load_b32 v24, v[17:18], off
	s_waitcnt vmcnt(0)
	v_cmpx_eq_u32_e64 v23, v24
	s_cbranch_execz .LBB1545_255
; %bb.249:
	v_add_co_u32 v17, vcc_lo, v17, 4
	v_add_co_ci_u32_e32 v18, vcc_lo, 0, v18, vcc_lo
	v_add_co_u32 v21, vcc_lo, v21, 4
	v_add_co_ci_u32_e32 v22, vcc_lo, 0, v22, vcc_lo
	s_add_u32 s4, s22, -1
	s_addc_u32 s5, s23, -1
	s_mov_b64 s[6:7], 0
	s_mov_b32 s33, 0
                                        ; implicit-def: $sgpr34
	s_set_inst_prefetch_distance 0x1
	s_branch .LBB1545_252
	.p2align	6
.LBB1545_250:                           ;   in Loop: Header=BB1545_252 Depth=1
	global_load_b32 v23, v[21:22], off
	global_load_b32 v24, v[17:18], off
	v_add_co_u32 v17, vcc_lo, v17, 4
	v_add_co_ci_u32_e32 v18, vcc_lo, 0, v18, vcc_lo
	v_add_co_u32 v21, s2, v21, 4
	s_delay_alu instid0(VALU_DEP_1)
	v_add_co_ci_u32_e64 v22, s2, 0, v22, s2
	s_add_u32 s6, s6, 1
	s_addc_u32 s7, s7, 0
	s_and_not1_b32 s2, s34, exec_lo
	s_waitcnt vmcnt(0)
	v_cmp_ne_u32_e32 vcc_lo, v23, v24
	s_and_b32 s34, vcc_lo, exec_lo
	s_delay_alu instid0(SALU_CYCLE_1)
	s_or_b32 s34, s2, s34
.LBB1545_251:                           ;   in Loop: Header=BB1545_252 Depth=1
	v_dual_mov_b32 v24, s7 :: v_dual_mov_b32 v23, s6
	s_and_b32 s2, exec_lo, s34
	s_delay_alu instid0(SALU_CYCLE_1) | instskip(NEXT) | instid1(SALU_CYCLE_1)
	s_or_b32 s33, s2, s33
	s_and_not1_b32 exec_lo, exec_lo, s33
	s_cbranch_execz .LBB1545_254
.LBB1545_252:                           ; =>This Inner Loop Header: Depth=1
	s_or_b32 s34, s34, exec_lo
	s_cmp_eq_u64 s[4:5], s[6:7]
	s_cbranch_scc0 .LBB1545_250
; %bb.253:                              ;   in Loop: Header=BB1545_252 Depth=1
	s_mov_b64 s[6:7], s[22:23]
                                        ; implicit-def: $vgpr17_vgpr18
                                        ; implicit-def: $vgpr21_vgpr22
	s_branch .LBB1545_251
.LBB1545_254:
	s_set_inst_prefetch_distance 0x2
	s_or_b32 exec_lo, exec_lo, s33
	v_cmp_gt_i64_e32 vcc_lo, s[22:23], v[23:24]
	s_or_not1_b32 s2, vcc_lo, exec_lo
.LBB1545_255:
	s_or_b32 exec_lo, exec_lo, s31
.LBB1545_256:
	v_cndmask_b32_e64 v18, 0, 1, s30
	v_cndmask_b32_e64 v21, 0, 1, s28
	;; [unrolled: 1-line block ×7, first 2 shown]
	v_lshlrev_b16 v21, 8, v21
	v_lshlrev_b16 v22, 8, v22
	;; [unrolled: 1-line block ×4, first 2 shown]
	s_delay_alu instid0(VALU_DEP_4) | instskip(NEXT) | instid1(VALU_DEP_4)
	v_or_b32_e32 v21, v24, v21
	v_or_b32_e32 v22, v25, v22
	s_delay_alu instid0(VALU_DEP_4) | instskip(NEXT) | instid1(VALU_DEP_4)
	v_or_b32_e32 v23, 1, v23
	v_or_b32_e32 v17, v17, v18
	s_barrier
	v_and_b32_e32 v18, 0xffff, v21
	v_lshlrev_b32_e32 v21, 16, v22
	v_and_b32_e32 v22, 0xffff, v23
	v_lshlrev_b32_e32 v17, 16, v17
	buffer_gl0_inv
                                        ; implicit-def: $sgpr2
	s_mov_b32 s4, exec_lo
	v_or_b32_e32 v18, v18, v21
	v_or_b32_e32 v17, v22, v17
	v_cmpx_ne_u32_e32 0, v0
	s_xor_b32 s19, exec_lo, s4
	s_cbranch_execz .LBB1545_267
; %bb.257:
	s_and_not1_b32 vcc_lo, exec_lo, s3
	s_mov_b32 s2, 0
	s_cbranch_vccnz .LBB1545_266
; %bb.258:
	v_add_nc_u32_e32 v21, -8, v39
	v_lshlrev_b64 v[19:20], 2, v[19:20]
	s_mov_b32 s2, -1
	s_mov_b32 s26, exec_lo
	ds_load_b64 v[21:22], v21
	s_waitcnt lgkmcnt(0)
	v_mul_lo_u32 v24, v22, s22
	v_mul_lo_u32 v25, v21, s23
	v_mad_u64_u32 v[22:23], null, v21, s22, 0
	s_delay_alu instid0(VALU_DEP_1) | instskip(NEXT) | instid1(VALU_DEP_1)
	v_add3_u32 v23, v23, v25, v24
	v_lshlrev_b64 v[21:22], 2, v[22:23]
	s_delay_alu instid0(VALU_DEP_1) | instskip(NEXT) | instid1(VALU_DEP_2)
	v_add_co_u32 v21, vcc_lo, s8, v21
	v_add_co_ci_u32_e32 v22, vcc_lo, s9, v22, vcc_lo
	v_add_co_u32 v19, vcc_lo, s8, v19
	v_add_co_ci_u32_e32 v20, vcc_lo, s9, v20, vcc_lo
	s_clause 0x1
	global_load_b32 v23, v[21:22], off
	global_load_b32 v24, v[19:20], off
	s_waitcnt vmcnt(0)
	v_cmpx_eq_u32_e64 v23, v24
	s_cbranch_execz .LBB1545_265
; %bb.259:
	v_add_co_u32 v19, vcc_lo, v19, 4
	v_add_co_ci_u32_e32 v20, vcc_lo, 0, v20, vcc_lo
	v_add_co_u32 v21, vcc_lo, v21, 4
	v_add_co_ci_u32_e32 v22, vcc_lo, 0, v22, vcc_lo
	s_add_u32 s4, s22, -1
	s_addc_u32 s5, s23, -1
	s_mov_b64 s[6:7], 0
	s_mov_b32 s27, 0
                                        ; implicit-def: $sgpr28
	s_set_inst_prefetch_distance 0x1
	s_branch .LBB1545_262
	.p2align	6
.LBB1545_260:                           ;   in Loop: Header=BB1545_262 Depth=1
	global_load_b32 v23, v[21:22], off
	global_load_b32 v24, v[19:20], off
	v_add_co_u32 v19, vcc_lo, v19, 4
	v_add_co_ci_u32_e32 v20, vcc_lo, 0, v20, vcc_lo
	v_add_co_u32 v21, s2, v21, 4
	s_delay_alu instid0(VALU_DEP_1)
	v_add_co_ci_u32_e64 v22, s2, 0, v22, s2
	s_add_u32 s6, s6, 1
	s_addc_u32 s7, s7, 0
	s_and_not1_b32 s2, s28, exec_lo
	s_waitcnt vmcnt(0)
	v_cmp_ne_u32_e32 vcc_lo, v23, v24
	s_and_b32 s28, vcc_lo, exec_lo
	s_delay_alu instid0(SALU_CYCLE_1)
	s_or_b32 s28, s2, s28
.LBB1545_261:                           ;   in Loop: Header=BB1545_262 Depth=1
	v_dual_mov_b32 v24, s7 :: v_dual_mov_b32 v23, s6
	s_and_b32 s2, exec_lo, s28
	s_delay_alu instid0(SALU_CYCLE_1) | instskip(NEXT) | instid1(SALU_CYCLE_1)
	s_or_b32 s27, s2, s27
	s_and_not1_b32 exec_lo, exec_lo, s27
	s_cbranch_execz .LBB1545_264
.LBB1545_262:                           ; =>This Inner Loop Header: Depth=1
	s_or_b32 s28, s28, exec_lo
	s_cmp_eq_u64 s[4:5], s[6:7]
	s_cbranch_scc0 .LBB1545_260
; %bb.263:                              ;   in Loop: Header=BB1545_262 Depth=1
	s_mov_b64 s[6:7], s[22:23]
                                        ; implicit-def: $vgpr19_vgpr20
                                        ; implicit-def: $vgpr21_vgpr22
	s_branch .LBB1545_261
.LBB1545_264:
	s_set_inst_prefetch_distance 0x2
	s_or_b32 exec_lo, exec_lo, s27
	v_cmp_gt_i64_e32 vcc_lo, s[22:23], v[23:24]
	s_or_not1_b32 s2, vcc_lo, exec_lo
.LBB1545_265:
	s_or_b32 exec_lo, exec_lo, s26
.LBB1545_266:
	s_delay_alu instid0(SALU_CYCLE_1)
	s_and_b32 s2, s2, exec_lo
	s_or_b32 s18, s18, exec_lo
.LBB1545_267:
	s_or_b32 exec_lo, exec_lo, s19
	s_branch .LBB1545_359
.LBB1545_268:
	v_or_b32_e32 v17, 7, v39
	s_mov_b32 s19, 0
	s_mov_b32 s26, 0
	s_mov_b32 s27, exec_lo
	s_delay_alu instid0(VALU_DEP_1)
	v_cmpx_gt_u32_e64 s20, v17
	s_cbranch_execz .LBB1545_279
; %bb.269:
	s_and_not1_b32 vcc_lo, exec_lo, s3
	s_mov_b32 s2, 0
	s_cbranch_vccnz .LBB1545_278
; %bb.270:
	v_mul_lo_u32 v21, v2, s22
	v_mul_lo_u32 v22, v1, s23
	v_mad_u64_u32 v[17:18], null, v1, s22, 0
	v_mul_lo_u32 v23, v4, s22
	v_mul_lo_u32 v24, v3, s23
	v_mad_u64_u32 v[19:20], null, v3, s22, 0
	s_mov_b32 s2, -1
	s_mov_b32 s26, exec_lo
	s_delay_alu instid0(VALU_DEP_4) | instskip(NEXT) | instid1(VALU_DEP_2)
	v_add3_u32 v18, v18, v22, v21
	v_add3_u32 v20, v20, v24, v23
	s_delay_alu instid0(VALU_DEP_2) | instskip(NEXT) | instid1(VALU_DEP_2)
	v_lshlrev_b64 v[17:18], 2, v[17:18]
	v_lshlrev_b64 v[21:22], 2, v[19:20]
	s_delay_alu instid0(VALU_DEP_2) | instskip(NEXT) | instid1(VALU_DEP_3)
	v_add_co_u32 v19, vcc_lo, s8, v17
	v_add_co_ci_u32_e32 v20, vcc_lo, s9, v18, vcc_lo
	s_delay_alu instid0(VALU_DEP_3) | instskip(NEXT) | instid1(VALU_DEP_4)
	v_add_co_u32 v17, vcc_lo, s8, v21
	v_add_co_ci_u32_e32 v18, vcc_lo, s9, v22, vcc_lo
	s_clause 0x1
	global_load_b32 v21, v[19:20], off
	global_load_b32 v22, v[17:18], off
	s_waitcnt vmcnt(0)
	v_cmpx_eq_u32_e64 v21, v22
	s_cbranch_execz .LBB1545_277
; %bb.271:
	v_add_co_u32 v17, vcc_lo, v17, 4
	v_add_co_ci_u32_e32 v18, vcc_lo, 0, v18, vcc_lo
	v_add_co_u32 v19, vcc_lo, v19, 4
	v_add_co_ci_u32_e32 v20, vcc_lo, 0, v20, vcc_lo
	s_add_u32 s4, s22, -1
	s_addc_u32 s5, s23, -1
	s_mov_b64 s[6:7], 0
	s_mov_b32 s28, 0
                                        ; implicit-def: $sgpr29
	s_set_inst_prefetch_distance 0x1
	s_branch .LBB1545_274
	.p2align	6
.LBB1545_272:                           ;   in Loop: Header=BB1545_274 Depth=1
	global_load_b32 v21, v[19:20], off
	global_load_b32 v22, v[17:18], off
	v_add_co_u32 v17, vcc_lo, v17, 4
	v_add_co_ci_u32_e32 v18, vcc_lo, 0, v18, vcc_lo
	v_add_co_u32 v19, s2, v19, 4
	s_delay_alu instid0(VALU_DEP_1)
	v_add_co_ci_u32_e64 v20, s2, 0, v20, s2
	s_add_u32 s6, s6, 1
	s_addc_u32 s7, s7, 0
	s_and_not1_b32 s2, s29, exec_lo
	s_waitcnt vmcnt(0)
	v_cmp_ne_u32_e32 vcc_lo, v21, v22
	s_and_b32 s29, vcc_lo, exec_lo
	s_delay_alu instid0(SALU_CYCLE_1)
	s_or_b32 s29, s2, s29
.LBB1545_273:                           ;   in Loop: Header=BB1545_274 Depth=1
	v_dual_mov_b32 v22, s7 :: v_dual_mov_b32 v21, s6
	s_and_b32 s2, exec_lo, s29
	s_delay_alu instid0(SALU_CYCLE_1) | instskip(NEXT) | instid1(SALU_CYCLE_1)
	s_or_b32 s28, s2, s28
	s_and_not1_b32 exec_lo, exec_lo, s28
	s_cbranch_execz .LBB1545_276
.LBB1545_274:                           ; =>This Inner Loop Header: Depth=1
	s_or_b32 s29, s29, exec_lo
	s_cmp_eq_u64 s[4:5], s[6:7]
	s_cbranch_scc0 .LBB1545_272
; %bb.275:                              ;   in Loop: Header=BB1545_274 Depth=1
	s_mov_b64 s[6:7], s[22:23]
                                        ; implicit-def: $vgpr17_vgpr18
                                        ; implicit-def: $vgpr19_vgpr20
	s_branch .LBB1545_273
.LBB1545_276:
	s_set_inst_prefetch_distance 0x2
	s_or_b32 exec_lo, exec_lo, s28
	v_cmp_gt_i64_e32 vcc_lo, s[22:23], v[21:22]
	s_or_not1_b32 s2, vcc_lo, exec_lo
.LBB1545_277:
	s_or_b32 exec_lo, exec_lo, s26
.LBB1545_278:
	s_delay_alu instid0(SALU_CYCLE_1)
	s_and_b32 s26, s2, exec_lo
.LBB1545_279:
	s_or_b32 exec_lo, exec_lo, s27
	v_or_b32_e32 v17, 6, v39
	s_mov_b32 s27, exec_lo
	s_delay_alu instid0(VALU_DEP_1)
	v_cmpx_gt_u32_e64 s20, v17
	s_cbranch_execz .LBB1545_290
; %bb.280:
	s_and_not1_b32 vcc_lo, exec_lo, s3
	s_mov_b32 s2, 0
	s_cbranch_vccnz .LBB1545_289
; %bb.281:
	v_mul_lo_u32 v21, v8, s22
	v_mul_lo_u32 v22, v7, s23
	v_mad_u64_u32 v[17:18], null, v7, s22, 0
	v_mul_lo_u32 v23, v2, s22
	v_mul_lo_u32 v24, v1, s23
	v_mad_u64_u32 v[19:20], null, v1, s22, 0
	s_mov_b32 s2, -1
	s_mov_b32 s19, exec_lo
	s_delay_alu instid0(VALU_DEP_4) | instskip(NEXT) | instid1(VALU_DEP_2)
	v_add3_u32 v18, v18, v22, v21
	v_add3_u32 v20, v20, v24, v23
	s_delay_alu instid0(VALU_DEP_2) | instskip(NEXT) | instid1(VALU_DEP_2)
	v_lshlrev_b64 v[17:18], 2, v[17:18]
	v_lshlrev_b64 v[21:22], 2, v[19:20]
	s_delay_alu instid0(VALU_DEP_2) | instskip(NEXT) | instid1(VALU_DEP_3)
	v_add_co_u32 v19, vcc_lo, s8, v17
	v_add_co_ci_u32_e32 v20, vcc_lo, s9, v18, vcc_lo
	s_delay_alu instid0(VALU_DEP_3) | instskip(NEXT) | instid1(VALU_DEP_4)
	v_add_co_u32 v17, vcc_lo, s8, v21
	v_add_co_ci_u32_e32 v18, vcc_lo, s9, v22, vcc_lo
	s_clause 0x1
	global_load_b32 v21, v[19:20], off
	global_load_b32 v22, v[17:18], off
	s_waitcnt vmcnt(0)
	v_cmpx_eq_u32_e64 v21, v22
	s_cbranch_execz .LBB1545_288
; %bb.282:
	v_add_co_u32 v17, vcc_lo, v17, 4
	v_add_co_ci_u32_e32 v18, vcc_lo, 0, v18, vcc_lo
	v_add_co_u32 v19, vcc_lo, v19, 4
	v_add_co_ci_u32_e32 v20, vcc_lo, 0, v20, vcc_lo
	s_add_u32 s4, s22, -1
	s_addc_u32 s5, s23, -1
	s_mov_b64 s[6:7], 0
	s_mov_b32 s28, 0
                                        ; implicit-def: $sgpr29
	s_set_inst_prefetch_distance 0x1
	s_branch .LBB1545_285
	.p2align	6
.LBB1545_283:                           ;   in Loop: Header=BB1545_285 Depth=1
	global_load_b32 v21, v[19:20], off
	global_load_b32 v22, v[17:18], off
	v_add_co_u32 v17, vcc_lo, v17, 4
	v_add_co_ci_u32_e32 v18, vcc_lo, 0, v18, vcc_lo
	v_add_co_u32 v19, s2, v19, 4
	s_delay_alu instid0(VALU_DEP_1)
	v_add_co_ci_u32_e64 v20, s2, 0, v20, s2
	s_add_u32 s6, s6, 1
	s_addc_u32 s7, s7, 0
	s_and_not1_b32 s2, s29, exec_lo
	s_waitcnt vmcnt(0)
	v_cmp_ne_u32_e32 vcc_lo, v21, v22
	s_and_b32 s29, vcc_lo, exec_lo
	s_delay_alu instid0(SALU_CYCLE_1)
	s_or_b32 s29, s2, s29
.LBB1545_284:                           ;   in Loop: Header=BB1545_285 Depth=1
	v_dual_mov_b32 v22, s7 :: v_dual_mov_b32 v21, s6
	s_and_b32 s2, exec_lo, s29
	s_delay_alu instid0(SALU_CYCLE_1) | instskip(NEXT) | instid1(SALU_CYCLE_1)
	s_or_b32 s28, s2, s28
	s_and_not1_b32 exec_lo, exec_lo, s28
	s_cbranch_execz .LBB1545_287
.LBB1545_285:                           ; =>This Inner Loop Header: Depth=1
	s_or_b32 s29, s29, exec_lo
	s_cmp_eq_u64 s[4:5], s[6:7]
	s_cbranch_scc0 .LBB1545_283
; %bb.286:                              ;   in Loop: Header=BB1545_285 Depth=1
	s_mov_b64 s[6:7], s[22:23]
                                        ; implicit-def: $vgpr17_vgpr18
                                        ; implicit-def: $vgpr19_vgpr20
	s_branch .LBB1545_284
.LBB1545_287:
	s_set_inst_prefetch_distance 0x2
	s_or_b32 exec_lo, exec_lo, s28
	v_cmp_gt_i64_e32 vcc_lo, s[22:23], v[21:22]
	s_or_not1_b32 s2, vcc_lo, exec_lo
.LBB1545_288:
	s_or_b32 exec_lo, exec_lo, s19
.LBB1545_289:
	s_delay_alu instid0(SALU_CYCLE_1)
	s_and_b32 s19, s2, exec_lo
.LBB1545_290:
	s_or_b32 exec_lo, exec_lo, s27
	v_or_b32_e32 v17, 5, v39
	s_mov_b32 s27, 0
	s_mov_b32 s28, 0
	s_mov_b32 s29, exec_lo
	s_delay_alu instid0(VALU_DEP_1)
	v_cmpx_gt_u32_e64 s20, v17
	s_cbranch_execz .LBB1545_301
; %bb.291:
	s_and_not1_b32 vcc_lo, exec_lo, s3
	s_mov_b32 s2, 0
	s_cbranch_vccnz .LBB1545_300
; %bb.292:
	v_mul_lo_u32 v21, v6, s22
	v_mul_lo_u32 v22, v5, s23
	v_mad_u64_u32 v[17:18], null, v5, s22, 0
	v_mul_lo_u32 v23, v8, s22
	v_mul_lo_u32 v24, v7, s23
	v_mad_u64_u32 v[19:20], null, v7, s22, 0
	s_mov_b32 s2, -1
	s_mov_b32 s28, exec_lo
	s_delay_alu instid0(VALU_DEP_4) | instskip(NEXT) | instid1(VALU_DEP_2)
	v_add3_u32 v18, v18, v22, v21
	v_add3_u32 v20, v20, v24, v23
	s_delay_alu instid0(VALU_DEP_2) | instskip(NEXT) | instid1(VALU_DEP_2)
	v_lshlrev_b64 v[17:18], 2, v[17:18]
	v_lshlrev_b64 v[21:22], 2, v[19:20]
	s_delay_alu instid0(VALU_DEP_2) | instskip(NEXT) | instid1(VALU_DEP_3)
	v_add_co_u32 v19, vcc_lo, s8, v17
	v_add_co_ci_u32_e32 v20, vcc_lo, s9, v18, vcc_lo
	s_delay_alu instid0(VALU_DEP_3) | instskip(NEXT) | instid1(VALU_DEP_4)
	v_add_co_u32 v17, vcc_lo, s8, v21
	v_add_co_ci_u32_e32 v18, vcc_lo, s9, v22, vcc_lo
	s_clause 0x1
	global_load_b32 v21, v[19:20], off
	global_load_b32 v22, v[17:18], off
	s_waitcnt vmcnt(0)
	v_cmpx_eq_u32_e64 v21, v22
	s_cbranch_execz .LBB1545_299
; %bb.293:
	v_add_co_u32 v17, vcc_lo, v17, 4
	v_add_co_ci_u32_e32 v18, vcc_lo, 0, v18, vcc_lo
	v_add_co_u32 v19, vcc_lo, v19, 4
	v_add_co_ci_u32_e32 v20, vcc_lo, 0, v20, vcc_lo
	s_add_u32 s4, s22, -1
	s_addc_u32 s5, s23, -1
	s_mov_b64 s[6:7], 0
	s_mov_b32 s30, 0
                                        ; implicit-def: $sgpr31
	s_set_inst_prefetch_distance 0x1
	s_branch .LBB1545_296
	.p2align	6
.LBB1545_294:                           ;   in Loop: Header=BB1545_296 Depth=1
	global_load_b32 v21, v[19:20], off
	global_load_b32 v22, v[17:18], off
	v_add_co_u32 v17, vcc_lo, v17, 4
	v_add_co_ci_u32_e32 v18, vcc_lo, 0, v18, vcc_lo
	v_add_co_u32 v19, s2, v19, 4
	s_delay_alu instid0(VALU_DEP_1)
	v_add_co_ci_u32_e64 v20, s2, 0, v20, s2
	s_add_u32 s6, s6, 1
	s_addc_u32 s7, s7, 0
	s_and_not1_b32 s2, s31, exec_lo
	s_waitcnt vmcnt(0)
	v_cmp_ne_u32_e32 vcc_lo, v21, v22
	s_and_b32 s31, vcc_lo, exec_lo
	s_delay_alu instid0(SALU_CYCLE_1)
	s_or_b32 s31, s2, s31
.LBB1545_295:                           ;   in Loop: Header=BB1545_296 Depth=1
	v_dual_mov_b32 v22, s7 :: v_dual_mov_b32 v21, s6
	s_and_b32 s2, exec_lo, s31
	s_delay_alu instid0(SALU_CYCLE_1) | instskip(NEXT) | instid1(SALU_CYCLE_1)
	s_or_b32 s30, s2, s30
	s_and_not1_b32 exec_lo, exec_lo, s30
	s_cbranch_execz .LBB1545_298
.LBB1545_296:                           ; =>This Inner Loop Header: Depth=1
	s_or_b32 s31, s31, exec_lo
	s_cmp_eq_u64 s[4:5], s[6:7]
	s_cbranch_scc0 .LBB1545_294
; %bb.297:                              ;   in Loop: Header=BB1545_296 Depth=1
	s_mov_b64 s[6:7], s[22:23]
                                        ; implicit-def: $vgpr17_vgpr18
                                        ; implicit-def: $vgpr19_vgpr20
	s_branch .LBB1545_295
.LBB1545_298:
	s_set_inst_prefetch_distance 0x2
	s_or_b32 exec_lo, exec_lo, s30
	v_cmp_gt_i64_e32 vcc_lo, s[22:23], v[21:22]
	s_or_not1_b32 s2, vcc_lo, exec_lo
.LBB1545_299:
	s_or_b32 exec_lo, exec_lo, s28
.LBB1545_300:
	s_delay_alu instid0(SALU_CYCLE_1)
	s_and_b32 s28, s2, exec_lo
.LBB1545_301:
	s_or_b32 exec_lo, exec_lo, s29
	v_or_b32_e32 v17, 4, v39
	s_mov_b32 s29, exec_lo
	s_delay_alu instid0(VALU_DEP_1)
	v_cmpx_gt_u32_e64 s20, v17
	s_cbranch_execz .LBB1545_312
; %bb.302:
	s_and_not1_b32 vcc_lo, exec_lo, s3
	s_mov_b32 s2, 0
	s_cbranch_vccnz .LBB1545_311
; %bb.303:
	v_mul_lo_u32 v21, v12, s22
	v_mul_lo_u32 v22, v11, s23
	v_mad_u64_u32 v[17:18], null, v11, s22, 0
	v_mul_lo_u32 v23, v6, s22
	v_mul_lo_u32 v24, v5, s23
	v_mad_u64_u32 v[19:20], null, v5, s22, 0
	s_mov_b32 s2, -1
	s_mov_b32 s27, exec_lo
	s_delay_alu instid0(VALU_DEP_4) | instskip(NEXT) | instid1(VALU_DEP_2)
	v_add3_u32 v18, v18, v22, v21
	v_add3_u32 v20, v20, v24, v23
	s_delay_alu instid0(VALU_DEP_2) | instskip(NEXT) | instid1(VALU_DEP_2)
	v_lshlrev_b64 v[17:18], 2, v[17:18]
	v_lshlrev_b64 v[21:22], 2, v[19:20]
	s_delay_alu instid0(VALU_DEP_2) | instskip(NEXT) | instid1(VALU_DEP_3)
	v_add_co_u32 v19, vcc_lo, s8, v17
	v_add_co_ci_u32_e32 v20, vcc_lo, s9, v18, vcc_lo
	s_delay_alu instid0(VALU_DEP_3) | instskip(NEXT) | instid1(VALU_DEP_4)
	v_add_co_u32 v17, vcc_lo, s8, v21
	v_add_co_ci_u32_e32 v18, vcc_lo, s9, v22, vcc_lo
	s_clause 0x1
	global_load_b32 v21, v[19:20], off
	global_load_b32 v22, v[17:18], off
	s_waitcnt vmcnt(0)
	v_cmpx_eq_u32_e64 v21, v22
	s_cbranch_execz .LBB1545_310
; %bb.304:
	v_add_co_u32 v17, vcc_lo, v17, 4
	v_add_co_ci_u32_e32 v18, vcc_lo, 0, v18, vcc_lo
	v_add_co_u32 v19, vcc_lo, v19, 4
	v_add_co_ci_u32_e32 v20, vcc_lo, 0, v20, vcc_lo
	s_add_u32 s4, s22, -1
	s_addc_u32 s5, s23, -1
	s_mov_b64 s[6:7], 0
	s_mov_b32 s30, 0
                                        ; implicit-def: $sgpr31
	s_set_inst_prefetch_distance 0x1
	s_branch .LBB1545_307
	.p2align	6
.LBB1545_305:                           ;   in Loop: Header=BB1545_307 Depth=1
	global_load_b32 v21, v[19:20], off
	global_load_b32 v22, v[17:18], off
	v_add_co_u32 v17, vcc_lo, v17, 4
	v_add_co_ci_u32_e32 v18, vcc_lo, 0, v18, vcc_lo
	v_add_co_u32 v19, s2, v19, 4
	s_delay_alu instid0(VALU_DEP_1)
	v_add_co_ci_u32_e64 v20, s2, 0, v20, s2
	s_add_u32 s6, s6, 1
	s_addc_u32 s7, s7, 0
	s_and_not1_b32 s2, s31, exec_lo
	s_waitcnt vmcnt(0)
	v_cmp_ne_u32_e32 vcc_lo, v21, v22
	s_and_b32 s31, vcc_lo, exec_lo
	s_delay_alu instid0(SALU_CYCLE_1)
	s_or_b32 s31, s2, s31
.LBB1545_306:                           ;   in Loop: Header=BB1545_307 Depth=1
	v_dual_mov_b32 v22, s7 :: v_dual_mov_b32 v21, s6
	s_and_b32 s2, exec_lo, s31
	s_delay_alu instid0(SALU_CYCLE_1) | instskip(NEXT) | instid1(SALU_CYCLE_1)
	s_or_b32 s30, s2, s30
	s_and_not1_b32 exec_lo, exec_lo, s30
	s_cbranch_execz .LBB1545_309
.LBB1545_307:                           ; =>This Inner Loop Header: Depth=1
	s_or_b32 s31, s31, exec_lo
	s_cmp_eq_u64 s[4:5], s[6:7]
	s_cbranch_scc0 .LBB1545_305
; %bb.308:                              ;   in Loop: Header=BB1545_307 Depth=1
	s_mov_b64 s[6:7], s[22:23]
                                        ; implicit-def: $vgpr17_vgpr18
                                        ; implicit-def: $vgpr19_vgpr20
	s_branch .LBB1545_306
.LBB1545_309:
	s_set_inst_prefetch_distance 0x2
	s_or_b32 exec_lo, exec_lo, s30
	v_cmp_gt_i64_e32 vcc_lo, s[22:23], v[21:22]
	s_or_not1_b32 s2, vcc_lo, exec_lo
.LBB1545_310:
	s_or_b32 exec_lo, exec_lo, s27
.LBB1545_311:
	s_delay_alu instid0(SALU_CYCLE_1)
	s_and_b32 s27, s2, exec_lo
.LBB1545_312:
	s_or_b32 exec_lo, exec_lo, s29
	v_or_b32_e32 v17, 3, v39
	s_mov_b32 s30, 0
	s_mov_b32 s29, 0
	s_mov_b32 s31, exec_lo
	s_delay_alu instid0(VALU_DEP_1)
	v_cmpx_gt_u32_e64 s20, v17
	s_cbranch_execz .LBB1545_323
; %bb.313:
	s_and_not1_b32 vcc_lo, exec_lo, s3
	s_mov_b32 s2, 0
	s_cbranch_vccnz .LBB1545_322
; %bb.314:
	v_mul_lo_u32 v21, v10, s22
	v_mul_lo_u32 v22, v9, s23
	v_mad_u64_u32 v[17:18], null, v9, s22, 0
	v_mul_lo_u32 v23, v12, s22
	v_mul_lo_u32 v24, v11, s23
	v_mad_u64_u32 v[19:20], null, v11, s22, 0
	s_mov_b32 s2, -1
	s_mov_b32 s29, exec_lo
	s_delay_alu instid0(VALU_DEP_4) | instskip(NEXT) | instid1(VALU_DEP_2)
	v_add3_u32 v18, v18, v22, v21
	v_add3_u32 v20, v20, v24, v23
	s_delay_alu instid0(VALU_DEP_2) | instskip(NEXT) | instid1(VALU_DEP_2)
	v_lshlrev_b64 v[17:18], 2, v[17:18]
	v_lshlrev_b64 v[21:22], 2, v[19:20]
	s_delay_alu instid0(VALU_DEP_2) | instskip(NEXT) | instid1(VALU_DEP_3)
	v_add_co_u32 v19, vcc_lo, s8, v17
	v_add_co_ci_u32_e32 v20, vcc_lo, s9, v18, vcc_lo
	s_delay_alu instid0(VALU_DEP_3) | instskip(NEXT) | instid1(VALU_DEP_4)
	v_add_co_u32 v17, vcc_lo, s8, v21
	v_add_co_ci_u32_e32 v18, vcc_lo, s9, v22, vcc_lo
	s_clause 0x1
	global_load_b32 v21, v[19:20], off
	global_load_b32 v22, v[17:18], off
	s_waitcnt vmcnt(0)
	v_cmpx_eq_u32_e64 v21, v22
	s_cbranch_execz .LBB1545_321
; %bb.315:
	v_add_co_u32 v17, vcc_lo, v17, 4
	v_add_co_ci_u32_e32 v18, vcc_lo, 0, v18, vcc_lo
	v_add_co_u32 v19, vcc_lo, v19, 4
	v_add_co_ci_u32_e32 v20, vcc_lo, 0, v20, vcc_lo
	s_add_u32 s4, s22, -1
	s_addc_u32 s5, s23, -1
	s_mov_b64 s[6:7], 0
	s_mov_b32 s33, 0
                                        ; implicit-def: $sgpr34
	s_set_inst_prefetch_distance 0x1
	s_branch .LBB1545_318
	.p2align	6
.LBB1545_316:                           ;   in Loop: Header=BB1545_318 Depth=1
	global_load_b32 v21, v[19:20], off
	global_load_b32 v22, v[17:18], off
	v_add_co_u32 v17, vcc_lo, v17, 4
	v_add_co_ci_u32_e32 v18, vcc_lo, 0, v18, vcc_lo
	v_add_co_u32 v19, s2, v19, 4
	s_delay_alu instid0(VALU_DEP_1)
	v_add_co_ci_u32_e64 v20, s2, 0, v20, s2
	s_add_u32 s6, s6, 1
	s_addc_u32 s7, s7, 0
	s_and_not1_b32 s2, s34, exec_lo
	s_waitcnt vmcnt(0)
	v_cmp_ne_u32_e32 vcc_lo, v21, v22
	s_and_b32 s34, vcc_lo, exec_lo
	s_delay_alu instid0(SALU_CYCLE_1)
	s_or_b32 s34, s2, s34
.LBB1545_317:                           ;   in Loop: Header=BB1545_318 Depth=1
	v_dual_mov_b32 v22, s7 :: v_dual_mov_b32 v21, s6
	s_and_b32 s2, exec_lo, s34
	s_delay_alu instid0(SALU_CYCLE_1) | instskip(NEXT) | instid1(SALU_CYCLE_1)
	s_or_b32 s33, s2, s33
	s_and_not1_b32 exec_lo, exec_lo, s33
	s_cbranch_execz .LBB1545_320
.LBB1545_318:                           ; =>This Inner Loop Header: Depth=1
	s_or_b32 s34, s34, exec_lo
	s_cmp_eq_u64 s[4:5], s[6:7]
	s_cbranch_scc0 .LBB1545_316
; %bb.319:                              ;   in Loop: Header=BB1545_318 Depth=1
	s_mov_b64 s[6:7], s[22:23]
                                        ; implicit-def: $vgpr17_vgpr18
                                        ; implicit-def: $vgpr19_vgpr20
	s_branch .LBB1545_317
.LBB1545_320:
	s_set_inst_prefetch_distance 0x2
	s_or_b32 exec_lo, exec_lo, s33
	v_cmp_gt_i64_e32 vcc_lo, s[22:23], v[21:22]
	s_or_not1_b32 s2, vcc_lo, exec_lo
.LBB1545_321:
	s_or_b32 exec_lo, exec_lo, s29
.LBB1545_322:
	s_delay_alu instid0(SALU_CYCLE_1)
	s_and_b32 s29, s2, exec_lo
.LBB1545_323:
	s_or_b32 exec_lo, exec_lo, s31
	v_or_b32_e32 v17, 2, v39
	s_mov_b32 s31, exec_lo
	s_delay_alu instid0(VALU_DEP_1)
	v_cmpx_gt_u32_e64 s20, v17
	s_cbranch_execz .LBB1545_334
; %bb.324:
	s_and_not1_b32 vcc_lo, exec_lo, s3
	s_mov_b32 s2, 0
	s_cbranch_vccnz .LBB1545_333
; %bb.325:
	v_mul_lo_u32 v21, v16, s22
	v_mul_lo_u32 v22, v15, s23
	v_mad_u64_u32 v[17:18], null, v15, s22, 0
	v_mul_lo_u32 v23, v10, s22
	v_mul_lo_u32 v24, v9, s23
	v_mad_u64_u32 v[19:20], null, v9, s22, 0
	s_mov_b32 s2, -1
	s_mov_b32 s30, exec_lo
	s_delay_alu instid0(VALU_DEP_4) | instskip(NEXT) | instid1(VALU_DEP_2)
	v_add3_u32 v18, v18, v22, v21
	v_add3_u32 v20, v20, v24, v23
	s_delay_alu instid0(VALU_DEP_2) | instskip(NEXT) | instid1(VALU_DEP_2)
	v_lshlrev_b64 v[17:18], 2, v[17:18]
	v_lshlrev_b64 v[21:22], 2, v[19:20]
	s_delay_alu instid0(VALU_DEP_2) | instskip(NEXT) | instid1(VALU_DEP_3)
	v_add_co_u32 v19, vcc_lo, s8, v17
	v_add_co_ci_u32_e32 v20, vcc_lo, s9, v18, vcc_lo
	s_delay_alu instid0(VALU_DEP_3) | instskip(NEXT) | instid1(VALU_DEP_4)
	v_add_co_u32 v17, vcc_lo, s8, v21
	v_add_co_ci_u32_e32 v18, vcc_lo, s9, v22, vcc_lo
	s_clause 0x1
	global_load_b32 v21, v[19:20], off
	global_load_b32 v22, v[17:18], off
	s_waitcnt vmcnt(0)
	v_cmpx_eq_u32_e64 v21, v22
	s_cbranch_execz .LBB1545_332
; %bb.326:
	v_add_co_u32 v17, vcc_lo, v17, 4
	v_add_co_ci_u32_e32 v18, vcc_lo, 0, v18, vcc_lo
	v_add_co_u32 v19, vcc_lo, v19, 4
	v_add_co_ci_u32_e32 v20, vcc_lo, 0, v20, vcc_lo
	s_add_u32 s4, s22, -1
	s_addc_u32 s5, s23, -1
	s_mov_b64 s[6:7], 0
	s_mov_b32 s33, 0
                                        ; implicit-def: $sgpr34
	s_set_inst_prefetch_distance 0x1
	s_branch .LBB1545_329
	.p2align	6
.LBB1545_327:                           ;   in Loop: Header=BB1545_329 Depth=1
	global_load_b32 v21, v[19:20], off
	global_load_b32 v22, v[17:18], off
	v_add_co_u32 v17, vcc_lo, v17, 4
	v_add_co_ci_u32_e32 v18, vcc_lo, 0, v18, vcc_lo
	v_add_co_u32 v19, s2, v19, 4
	s_delay_alu instid0(VALU_DEP_1)
	v_add_co_ci_u32_e64 v20, s2, 0, v20, s2
	s_add_u32 s6, s6, 1
	s_addc_u32 s7, s7, 0
	s_and_not1_b32 s2, s34, exec_lo
	s_waitcnt vmcnt(0)
	v_cmp_ne_u32_e32 vcc_lo, v21, v22
	s_and_b32 s34, vcc_lo, exec_lo
	s_delay_alu instid0(SALU_CYCLE_1)
	s_or_b32 s34, s2, s34
.LBB1545_328:                           ;   in Loop: Header=BB1545_329 Depth=1
	v_dual_mov_b32 v22, s7 :: v_dual_mov_b32 v21, s6
	s_and_b32 s2, exec_lo, s34
	s_delay_alu instid0(SALU_CYCLE_1) | instskip(NEXT) | instid1(SALU_CYCLE_1)
	s_or_b32 s33, s2, s33
	s_and_not1_b32 exec_lo, exec_lo, s33
	s_cbranch_execz .LBB1545_331
.LBB1545_329:                           ; =>This Inner Loop Header: Depth=1
	s_or_b32 s34, s34, exec_lo
	s_cmp_eq_u64 s[4:5], s[6:7]
	s_cbranch_scc0 .LBB1545_327
; %bb.330:                              ;   in Loop: Header=BB1545_329 Depth=1
	s_mov_b64 s[6:7], s[22:23]
                                        ; implicit-def: $vgpr17_vgpr18
                                        ; implicit-def: $vgpr19_vgpr20
	s_branch .LBB1545_328
.LBB1545_331:
	s_set_inst_prefetch_distance 0x2
	s_or_b32 exec_lo, exec_lo, s33
	v_cmp_gt_i64_e32 vcc_lo, s[22:23], v[21:22]
	s_or_not1_b32 s2, vcc_lo, exec_lo
.LBB1545_332:
	s_or_b32 exec_lo, exec_lo, s30
.LBB1545_333:
	s_delay_alu instid0(SALU_CYCLE_1)
	s_and_b32 s30, s2, exec_lo
.LBB1545_334:
	s_or_b32 exec_lo, exec_lo, s31
	v_or_b32_e32 v17, 1, v39
	s_mov_b32 s2, 0
	s_mov_b32 s31, exec_lo
	s_delay_alu instid0(VALU_DEP_1)
	v_cmpx_gt_u32_e64 s20, v17
	s_cbranch_execz .LBB1545_345
; %bb.335:
	s_and_not1_b32 vcc_lo, exec_lo, s3
	s_cbranch_vccnz .LBB1545_344
; %bb.336:
	v_mul_lo_u32 v21, v14, s22
	v_mul_lo_u32 v22, v13, s23
	v_mad_u64_u32 v[17:18], null, v13, s22, 0
	v_mul_lo_u32 v23, v16, s22
	v_mul_lo_u32 v24, v15, s23
	v_mad_u64_u32 v[19:20], null, v15, s22, 0
	s_mov_b32 s2, -1
	s_mov_b32 s33, exec_lo
	s_delay_alu instid0(VALU_DEP_4) | instskip(NEXT) | instid1(VALU_DEP_2)
	v_add3_u32 v18, v18, v22, v21
	v_add3_u32 v20, v20, v24, v23
	s_delay_alu instid0(VALU_DEP_2) | instskip(NEXT) | instid1(VALU_DEP_2)
	v_lshlrev_b64 v[17:18], 2, v[17:18]
	v_lshlrev_b64 v[21:22], 2, v[19:20]
	s_delay_alu instid0(VALU_DEP_2) | instskip(NEXT) | instid1(VALU_DEP_3)
	v_add_co_u32 v19, vcc_lo, s8, v17
	v_add_co_ci_u32_e32 v20, vcc_lo, s9, v18, vcc_lo
	s_delay_alu instid0(VALU_DEP_3) | instskip(NEXT) | instid1(VALU_DEP_4)
	v_add_co_u32 v17, vcc_lo, s8, v21
	v_add_co_ci_u32_e32 v18, vcc_lo, s9, v22, vcc_lo
	s_clause 0x1
	global_load_b32 v21, v[19:20], off
	global_load_b32 v22, v[17:18], off
	s_waitcnt vmcnt(0)
	v_cmpx_eq_u32_e64 v21, v22
	s_cbranch_execz .LBB1545_343
; %bb.337:
	v_add_co_u32 v17, vcc_lo, v17, 4
	v_add_co_ci_u32_e32 v18, vcc_lo, 0, v18, vcc_lo
	v_add_co_u32 v19, vcc_lo, v19, 4
	v_add_co_ci_u32_e32 v20, vcc_lo, 0, v20, vcc_lo
	s_add_u32 s4, s22, -1
	s_addc_u32 s5, s23, -1
	s_mov_b64 s[6:7], 0
	s_mov_b32 s34, 0
                                        ; implicit-def: $sgpr35
	s_set_inst_prefetch_distance 0x1
	s_branch .LBB1545_340
	.p2align	6
.LBB1545_338:                           ;   in Loop: Header=BB1545_340 Depth=1
	global_load_b32 v21, v[19:20], off
	global_load_b32 v22, v[17:18], off
	v_add_co_u32 v17, vcc_lo, v17, 4
	v_add_co_ci_u32_e32 v18, vcc_lo, 0, v18, vcc_lo
	v_add_co_u32 v19, s2, v19, 4
	s_delay_alu instid0(VALU_DEP_1)
	v_add_co_ci_u32_e64 v20, s2, 0, v20, s2
	s_add_u32 s6, s6, 1
	s_addc_u32 s7, s7, 0
	s_and_not1_b32 s2, s35, exec_lo
	s_waitcnt vmcnt(0)
	v_cmp_ne_u32_e32 vcc_lo, v21, v22
	s_and_b32 s35, vcc_lo, exec_lo
	s_delay_alu instid0(SALU_CYCLE_1)
	s_or_b32 s35, s2, s35
.LBB1545_339:                           ;   in Loop: Header=BB1545_340 Depth=1
	v_dual_mov_b32 v22, s7 :: v_dual_mov_b32 v21, s6
	s_and_b32 s2, exec_lo, s35
	s_delay_alu instid0(SALU_CYCLE_1) | instskip(NEXT) | instid1(SALU_CYCLE_1)
	s_or_b32 s34, s2, s34
	s_and_not1_b32 exec_lo, exec_lo, s34
	s_cbranch_execz .LBB1545_342
.LBB1545_340:                           ; =>This Inner Loop Header: Depth=1
	s_or_b32 s35, s35, exec_lo
	s_cmp_eq_u64 s[4:5], s[6:7]
	s_cbranch_scc0 .LBB1545_338
; %bb.341:                              ;   in Loop: Header=BB1545_340 Depth=1
	s_mov_b64 s[6:7], s[22:23]
                                        ; implicit-def: $vgpr17_vgpr18
                                        ; implicit-def: $vgpr19_vgpr20
	s_branch .LBB1545_339
.LBB1545_342:
	s_set_inst_prefetch_distance 0x2
	s_or_b32 exec_lo, exec_lo, s34
	v_cmp_gt_i64_e32 vcc_lo, s[22:23], v[21:22]
	s_or_not1_b32 s2, vcc_lo, exec_lo
.LBB1545_343:
	s_or_b32 exec_lo, exec_lo, s33
.LBB1545_344:
	s_delay_alu instid0(SALU_CYCLE_1)
	s_and_b32 s2, s2, exec_lo
.LBB1545_345:
	s_or_b32 exec_lo, exec_lo, s31
	v_cndmask_b32_e64 v18, 0, 1, s29
	v_cndmask_b32_e64 v19, 0, 1, s28
	;; [unrolled: 1-line block ×7, first 2 shown]
	v_lshlrev_b16 v19, 8, v19
	v_lshlrev_b16 v20, 8, v20
	;; [unrolled: 1-line block ×4, first 2 shown]
	s_mov_b32 s19, exec_lo
	v_or_b32_e32 v19, v22, v19
	v_or_b32_e32 v20, v23, v20
	;; [unrolled: 1-line block ×4, first 2 shown]
	s_delay_alu instid0(VALU_DEP_4) | instskip(NEXT) | instid1(VALU_DEP_4)
	v_and_b32_e32 v18, 0xffff, v19
	v_lshlrev_b32_e32 v19, 16, v20
	s_delay_alu instid0(VALU_DEP_4) | instskip(NEXT) | instid1(VALU_DEP_4)
	v_and_b32_e32 v20, 0xffff, v21
	v_lshlrev_b32_e32 v17, 16, v17
	s_barrier
	buffer_gl0_inv
	v_or_b32_e32 v18, v18, v19
                                        ; implicit-def: $sgpr2
	v_or_b32_e32 v17, v20, v17
	v_cmpx_ne_u32_e32 0, v0
	s_cbranch_execz .LBB1545_358
; %bb.346:
	s_mov_b32 s2, 0
	s_mov_b32 s26, exec_lo
	v_cmpx_gt_u32_e64 s20, v39
	s_cbranch_execz .LBB1545_357
; %bb.347:
	s_and_not1_b32 vcc_lo, exec_lo, s3
	s_cbranch_vccnz .LBB1545_356
; %bb.348:
	v_add_nc_u32_e32 v19, -8, v39
	v_mul_lo_u32 v26, v13, s23
	v_mad_u64_u32 v[22:23], null, v13, s22, 0
	s_mov_b32 s2, -1
	ds_load_b64 v[19:20], v19
	s_mov_b32 s3, exec_lo
	s_waitcnt lgkmcnt(0)
	v_mul_lo_u32 v24, v20, s22
	v_mul_lo_u32 v25, v19, s23
	v_mad_u64_u32 v[20:21], null, v19, s22, 0
	v_mul_lo_u32 v19, v14, s22
	s_delay_alu instid0(VALU_DEP_2) | instskip(NEXT) | instid1(VALU_DEP_2)
	v_add3_u32 v21, v21, v25, v24
	v_add3_u32 v23, v23, v26, v19
	s_delay_alu instid0(VALU_DEP_2) | instskip(NEXT) | instid1(VALU_DEP_2)
	v_lshlrev_b64 v[19:20], 2, v[20:21]
	v_lshlrev_b64 v[23:24], 2, v[22:23]
	s_delay_alu instid0(VALU_DEP_2) | instskip(NEXT) | instid1(VALU_DEP_3)
	v_add_co_u32 v21, vcc_lo, s8, v19
	v_add_co_ci_u32_e32 v22, vcc_lo, s9, v20, vcc_lo
	s_delay_alu instid0(VALU_DEP_3) | instskip(NEXT) | instid1(VALU_DEP_4)
	v_add_co_u32 v19, vcc_lo, s8, v23
	v_add_co_ci_u32_e32 v20, vcc_lo, s9, v24, vcc_lo
	s_clause 0x1
	global_load_b32 v23, v[21:22], off
	global_load_b32 v24, v[19:20], off
	s_waitcnt vmcnt(0)
	v_cmpx_eq_u32_e64 v23, v24
	s_cbranch_execz .LBB1545_355
; %bb.349:
	v_add_co_u32 v19, vcc_lo, v19, 4
	v_add_co_ci_u32_e32 v20, vcc_lo, 0, v20, vcc_lo
	v_add_co_u32 v21, vcc_lo, v21, 4
	v_add_co_ci_u32_e32 v22, vcc_lo, 0, v22, vcc_lo
	s_add_u32 s4, s22, -1
	s_addc_u32 s5, s23, -1
	s_mov_b64 s[6:7], 0
	s_mov_b32 s8, 0
                                        ; implicit-def: $sgpr9
	s_set_inst_prefetch_distance 0x1
	s_branch .LBB1545_352
	.p2align	6
.LBB1545_350:                           ;   in Loop: Header=BB1545_352 Depth=1
	global_load_b32 v23, v[21:22], off
	global_load_b32 v24, v[19:20], off
	v_add_co_u32 v19, vcc_lo, v19, 4
	v_add_co_ci_u32_e32 v20, vcc_lo, 0, v20, vcc_lo
	v_add_co_u32 v21, s2, v21, 4
	s_delay_alu instid0(VALU_DEP_1)
	v_add_co_ci_u32_e64 v22, s2, 0, v22, s2
	s_add_u32 s6, s6, 1
	s_addc_u32 s7, s7, 0
	s_and_not1_b32 s2, s9, exec_lo
	s_waitcnt vmcnt(0)
	v_cmp_ne_u32_e32 vcc_lo, v23, v24
	s_and_b32 s9, vcc_lo, exec_lo
	s_delay_alu instid0(SALU_CYCLE_1)
	s_or_b32 s9, s2, s9
.LBB1545_351:                           ;   in Loop: Header=BB1545_352 Depth=1
	v_dual_mov_b32 v24, s7 :: v_dual_mov_b32 v23, s6
	s_and_b32 s2, exec_lo, s9
	s_delay_alu instid0(SALU_CYCLE_1) | instskip(NEXT) | instid1(SALU_CYCLE_1)
	s_or_b32 s8, s2, s8
	s_and_not1_b32 exec_lo, exec_lo, s8
	s_cbranch_execz .LBB1545_354
.LBB1545_352:                           ; =>This Inner Loop Header: Depth=1
	s_or_b32 s9, s9, exec_lo
	s_cmp_eq_u64 s[4:5], s[6:7]
	s_cbranch_scc0 .LBB1545_350
; %bb.353:                              ;   in Loop: Header=BB1545_352 Depth=1
	s_mov_b64 s[6:7], s[22:23]
                                        ; implicit-def: $vgpr19_vgpr20
                                        ; implicit-def: $vgpr21_vgpr22
	s_branch .LBB1545_351
.LBB1545_354:
	s_set_inst_prefetch_distance 0x2
	s_or_b32 exec_lo, exec_lo, s8
	v_cmp_gt_i64_e32 vcc_lo, s[22:23], v[23:24]
	s_or_not1_b32 s2, vcc_lo, exec_lo
.LBB1545_355:
	s_or_b32 exec_lo, exec_lo, s3
.LBB1545_356:
	s_delay_alu instid0(SALU_CYCLE_1)
	s_and_b32 s2, s2, exec_lo
.LBB1545_357:
	s_or_b32 exec_lo, exec_lo, s26
	s_delay_alu instid0(SALU_CYCLE_1)
	s_and_b32 s2, s2, exec_lo
	s_or_b32 s18, s18, exec_lo
.LBB1545_358:
	s_or_b32 exec_lo, exec_lo, s19
.LBB1545_359:
	s_and_saveexec_b32 s3, s18
	s_cbranch_execz .LBB1545_361
; %bb.360:
	s_waitcnt lgkmcnt(0)
	v_and_b32_e32 v19, 0xffffff00, v17
	v_cndmask_b32_e64 v20, 0, 1, s2
	s_delay_alu instid0(VALU_DEP_1) | instskip(NEXT) | instid1(VALU_DEP_1)
	v_or_b32_e32 v19, v20, v19
	v_and_b32_e32 v19, 0xffff, v19
	s_delay_alu instid0(VALU_DEP_1)
	v_and_or_b32 v17, 0xffff0000, v17, v19
.LBB1545_361:
	s_or_b32 exec_lo, exec_lo, s3
	s_delay_alu instid0(SALU_CYCLE_1)
	s_and_not1_b32 vcc_lo, exec_lo, s24
	s_cbranch_vccnz .LBB1545_363
; %bb.362:
	v_cmp_gt_u32_e32 vcc_lo, s20, v39
	s_waitcnt lgkmcnt(0)
	v_or_b32_e32 v20, 1, v39
	v_and_b32_e32 v21, 0xffffff00, v18
	v_or_b32_e32 v22, 2, v39
	v_cndmask_b32_e32 v19, 0, v17, vcc_lo
	s_delay_alu instid0(VALU_DEP_4) | instskip(SKIP_1) | instid1(VALU_DEP_4)
	v_cmp_gt_u32_e32 vcc_lo, s20, v20
	v_or_b32_e32 v20, 4, v39
	v_cmp_gt_u32_e64 s2, s20, v22
	v_or_b32_e32 v22, 3, v39
	v_and_b32_e32 v19, 0xff, v19
	s_delay_alu instid0(VALU_DEP_2) | instskip(NEXT) | instid1(VALU_DEP_2)
	v_cmp_gt_u32_e64 s3, s20, v22
	v_cndmask_b32_e32 v19, v19, v17, vcc_lo
	v_cmp_gt_u32_e32 vcc_lo, s20, v20
	v_cndmask_b32_e32 v20, v21, v18, vcc_lo
	v_or_b32_e32 v21, 5, v39
	s_delay_alu instid0(VALU_DEP_2) | instskip(SKIP_1) | instid1(VALU_DEP_1)
	v_and_b32_e32 v20, 0xffff00ff, v20
	v_and_b32_e32 v19, 0xffff, v19
	v_cndmask_b32_e64 v19, v19, v17, s2
	s_delay_alu instid0(VALU_DEP_4) | instskip(SKIP_1) | instid1(VALU_DEP_3)
	v_cmp_gt_u32_e64 s2, s20, v21
	v_or_b32_e32 v21, 6, v39
	v_and_b32_e32 v19, 0xffffff, v19
	s_delay_alu instid0(VALU_DEP_3) | instskip(NEXT) | instid1(VALU_DEP_2)
	v_cndmask_b32_e64 v20, v20, v18, s2
	v_cndmask_b32_e64 v19, v19, v17, s3
	s_delay_alu instid0(VALU_DEP_1) | instskip(SKIP_2) | instid1(VALU_DEP_3)
	v_dual_cndmask_b32 v19, v19, v17 :: v_dual_and_b32 v20, 0xff00ffff, v20
	v_cmp_gt_u32_e32 vcc_lo, s20, v21
	v_or_b32_e32 v21, 7, v39
	v_cndmask_b32_e64 v19, v19, v17, s2
	s_delay_alu instid0(VALU_DEP_1) | instskip(NEXT) | instid1(VALU_DEP_1)
	v_dual_cndmask_b32 v20, v20, v18 :: v_dual_cndmask_b32 v19, v19, v17
	v_and_b32_e32 v20, 0xffffff, v20
	s_delay_alu instid0(VALU_DEP_4) | instskip(NEXT) | instid1(VALU_DEP_2)
	v_cmp_gt_u32_e32 vcc_lo, s20, v21
	v_dual_cndmask_b32 v18, v20, v18 :: v_dual_cndmask_b32 v17, v19, v17
.LBB1545_363:
	s_delay_alu instid0(VALU_DEP_1) | instskip(SKIP_1) | instid1(VALU_DEP_2)
	v_and_b32_e32 v26, 0xff, v17
	s_waitcnt lgkmcnt(0)
	v_alignbit_b32 v19, v18, v17, 24
	v_bfe_u32 v28, v17, 8, 8
	v_bfe_u32 v30, v17, 16, 8
	v_and_b32_e32 v34, 0xff, v18
	v_bfe_u32 v36, v18, 8, 8
	v_and_b32_e32 v32, 0xff, v19
	v_add_nc_u32_e32 v19, v28, v26
	v_mbcnt_lo_u32_b32 v41, -1, 0
	v_bfe_u32 v38, v18, 16, 8
	v_lshrrev_b32_e32 v40, 24, v18
	v_lshrrev_b32_e32 v42, 5, v0
	v_add3_u32 v19, v19, v30, v32
	v_and_b32_e32 v20, 15, v41
	v_and_b32_e32 v21, 16, v41
	s_and_b32 vcc_lo, exec_lo, s25
	s_mov_b32 s18, -1
	v_add3_u32 v19, v19, v34, v36
	v_cmp_eq_u32_e64 s4, 0, v20
	v_cmp_lt_u32_e64 s2, 1, v20
	v_cmp_lt_u32_e64 s5, 3, v20
	;; [unrolled: 1-line block ×3, first 2 shown]
	v_add3_u32 v43, v19, v38, v40
	v_or_b32_e32 v19, 31, v0
	v_cmp_eq_u32_e64 s7, 0, v21
	s_barrier
	buffer_gl0_inv
	v_cmp_eq_u32_e64 s6, v19, v0
	s_cbranch_vccz .LBB1545_389
; %bb.364:
	v_mov_b32_dpp v19, v43 row_shr:1 row_mask:0xf bank_mask:0xf
	s_delay_alu instid0(VALU_DEP_1) | instskip(NEXT) | instid1(VALU_DEP_1)
	v_cndmask_b32_e64 v19, v19, 0, s4
	v_add_nc_u32_e32 v19, v19, v43
	s_delay_alu instid0(VALU_DEP_1) | instskip(NEXT) | instid1(VALU_DEP_1)
	v_mov_b32_dpp v20, v19 row_shr:2 row_mask:0xf bank_mask:0xf
	v_cndmask_b32_e64 v20, 0, v20, s2
	s_delay_alu instid0(VALU_DEP_1) | instskip(NEXT) | instid1(VALU_DEP_1)
	v_add_nc_u32_e32 v19, v19, v20
	v_mov_b32_dpp v20, v19 row_shr:4 row_mask:0xf bank_mask:0xf
	s_delay_alu instid0(VALU_DEP_1) | instskip(NEXT) | instid1(VALU_DEP_1)
	v_cndmask_b32_e64 v20, 0, v20, s5
	v_add_nc_u32_e32 v19, v19, v20
	s_delay_alu instid0(VALU_DEP_1) | instskip(NEXT) | instid1(VALU_DEP_1)
	v_mov_b32_dpp v20, v19 row_shr:8 row_mask:0xf bank_mask:0xf
	v_cndmask_b32_e64 v20, 0, v20, s3
	s_delay_alu instid0(VALU_DEP_1) | instskip(SKIP_3) | instid1(VALU_DEP_1)
	v_add_nc_u32_e32 v19, v19, v20
	ds_swizzle_b32 v20, v19 offset:swizzle(BROADCAST,32,15)
	s_waitcnt lgkmcnt(0)
	v_cndmask_b32_e64 v20, v20, 0, s7
	v_add_nc_u32_e32 v19, v19, v20
	s_and_saveexec_b32 s8, s6
	s_cbranch_execz .LBB1545_366
; %bb.365:
	v_lshlrev_b32_e32 v20, 2, v42
	ds_store_b32 v20, v19
.LBB1545_366:
	s_or_b32 exec_lo, exec_lo, s8
	s_delay_alu instid0(SALU_CYCLE_1)
	s_mov_b32 s8, exec_lo
	s_waitcnt lgkmcnt(0)
	s_barrier
	buffer_gl0_inv
	v_cmpx_gt_u32_e32 16, v0
	s_cbranch_execz .LBB1545_368
; %bb.367:
	v_lshlrev_b32_e32 v20, 2, v0
	ds_load_b32 v21, v20
	s_waitcnt lgkmcnt(0)
	v_mov_b32_dpp v22, v21 row_shr:1 row_mask:0xf bank_mask:0xf
	s_delay_alu instid0(VALU_DEP_1) | instskip(NEXT) | instid1(VALU_DEP_1)
	v_cndmask_b32_e64 v22, v22, 0, s4
	v_add_nc_u32_e32 v21, v22, v21
	s_delay_alu instid0(VALU_DEP_1) | instskip(NEXT) | instid1(VALU_DEP_1)
	v_mov_b32_dpp v22, v21 row_shr:2 row_mask:0xf bank_mask:0xf
	v_cndmask_b32_e64 v22, 0, v22, s2
	s_delay_alu instid0(VALU_DEP_1) | instskip(NEXT) | instid1(VALU_DEP_1)
	v_add_nc_u32_e32 v21, v21, v22
	v_mov_b32_dpp v22, v21 row_shr:4 row_mask:0xf bank_mask:0xf
	s_delay_alu instid0(VALU_DEP_1) | instskip(NEXT) | instid1(VALU_DEP_1)
	v_cndmask_b32_e64 v22, 0, v22, s5
	v_add_nc_u32_e32 v21, v21, v22
	s_delay_alu instid0(VALU_DEP_1) | instskip(NEXT) | instid1(VALU_DEP_1)
	v_mov_b32_dpp v22, v21 row_shr:8 row_mask:0xf bank_mask:0xf
	v_cndmask_b32_e64 v22, 0, v22, s3
	s_delay_alu instid0(VALU_DEP_1)
	v_add_nc_u32_e32 v21, v21, v22
	ds_store_b32 v20, v21
.LBB1545_368:
	s_or_b32 exec_lo, exec_lo, s8
	v_cmp_gt_u32_e32 vcc_lo, 32, v0
	s_mov_b32 s9, exec_lo
	s_waitcnt lgkmcnt(0)
	s_barrier
	buffer_gl0_inv
                                        ; implicit-def: $vgpr27
	v_cmpx_lt_u32_e32 31, v0
	s_cbranch_execz .LBB1545_370
; %bb.369:
	v_lshl_add_u32 v20, v42, 2, -4
	ds_load_b32 v27, v20
	s_waitcnt lgkmcnt(0)
	v_add_nc_u32_e32 v19, v27, v19
.LBB1545_370:
	s_or_b32 exec_lo, exec_lo, s9
	v_add_nc_u32_e32 v20, -1, v41
	s_delay_alu instid0(VALU_DEP_1) | instskip(NEXT) | instid1(VALU_DEP_1)
	v_cmp_gt_i32_e64 s8, 0, v20
	v_cndmask_b32_e64 v20, v20, v41, s8
	v_cmp_eq_u32_e64 s8, 0, v41
	s_delay_alu instid0(VALU_DEP_2)
	v_lshlrev_b32_e32 v20, 2, v20
	ds_bpermute_b32 v29, v20, v19
	s_and_saveexec_b32 s9, vcc_lo
	s_cbranch_execz .LBB1545_388
; %bb.371:
	v_mov_b32_e32 v22, 0
	ds_load_b32 v19, v22 offset:60
	s_and_saveexec_b32 s18, s8
	s_cbranch_execz .LBB1545_373
; %bb.372:
	s_add_i32 s22, s15, 32
	s_mov_b32 s23, 0
	v_mov_b32_e32 v20, 1
	s_lshl_b64 s[22:23], s[22:23], 3
	s_delay_alu instid0(SALU_CYCLE_1)
	s_add_u32 s22, s10, s22
	s_addc_u32 s23, s11, s23
	s_waitcnt lgkmcnt(0)
	global_store_b64 v22, v[19:20], s[22:23]
.LBB1545_373:
	s_or_b32 exec_lo, exec_lo, s18
	v_xad_u32 v20, v41, -1, s15
	s_mov_b32 s19, 0
	s_mov_b32 s18, exec_lo
	s_delay_alu instid0(VALU_DEP_1) | instskip(NEXT) | instid1(VALU_DEP_1)
	v_add_nc_u32_e32 v21, 32, v20
	v_lshlrev_b64 v[21:22], 3, v[21:22]
	s_delay_alu instid0(VALU_DEP_1) | instskip(NEXT) | instid1(VALU_DEP_2)
	v_add_co_u32 v24, vcc_lo, s10, v21
	v_add_co_ci_u32_e32 v25, vcc_lo, s11, v22, vcc_lo
	global_load_b64 v[22:23], v[24:25], off glc
	s_waitcnt vmcnt(0)
	v_and_b32_e32 v21, 0xff, v23
	s_delay_alu instid0(VALU_DEP_1)
	v_cmpx_eq_u16_e32 0, v21
	s_cbranch_execz .LBB1545_376
.LBB1545_374:                           ; =>This Inner Loop Header: Depth=1
	global_load_b64 v[22:23], v[24:25], off glc
	s_waitcnt vmcnt(0)
	v_and_b32_e32 v21, 0xff, v23
	s_delay_alu instid0(VALU_DEP_1) | instskip(SKIP_1) | instid1(SALU_CYCLE_1)
	v_cmp_ne_u16_e32 vcc_lo, 0, v21
	s_or_b32 s19, vcc_lo, s19
	s_and_not1_b32 exec_lo, exec_lo, s19
	s_cbranch_execnz .LBB1545_374
; %bb.375:
	s_or_b32 exec_lo, exec_lo, s19
.LBB1545_376:
	s_delay_alu instid0(SALU_CYCLE_1)
	s_or_b32 exec_lo, exec_lo, s18
	v_cmp_ne_u32_e32 vcc_lo, 31, v41
	v_lshlrev_b32_e64 v33, v41, -1
	v_add_nc_u32_e32 v37, 2, v41
	v_add_nc_u32_e32 v46, 4, v41
	;; [unrolled: 1-line block ×3, first 2 shown]
	v_add_co_ci_u32_e32 v21, vcc_lo, 0, v41, vcc_lo
	v_add_nc_u32_e32 v50, 16, v41
	s_delay_alu instid0(VALU_DEP_2)
	v_lshlrev_b32_e32 v31, 2, v21
	v_and_b32_e32 v21, 0xff, v23
	ds_bpermute_b32 v24, v31, v22
	v_cmp_eq_u16_e32 vcc_lo, 2, v21
	v_and_or_b32 v21, vcc_lo, v33, 0x80000000
	v_cmp_gt_u32_e32 vcc_lo, 30, v41
	s_delay_alu instid0(VALU_DEP_2) | instskip(SKIP_1) | instid1(VALU_DEP_2)
	v_ctz_i32_b32_e32 v21, v21
	v_cndmask_b32_e64 v25, 0, 1, vcc_lo
	v_cmp_lt_u32_e32 vcc_lo, v41, v21
	s_waitcnt lgkmcnt(0)
	s_delay_alu instid0(VALU_DEP_2) | instskip(NEXT) | instid1(VALU_DEP_1)
	v_dual_cndmask_b32 v24, 0, v24 :: v_dual_lshlrev_b32 v25, 1, v25
	v_add_lshl_u32 v35, v25, v41, 2
	v_cmp_gt_u32_e32 vcc_lo, 28, v41
	s_delay_alu instid0(VALU_DEP_3) | instskip(SKIP_4) | instid1(VALU_DEP_1)
	v_add_nc_u32_e32 v22, v24, v22
	v_cndmask_b32_e64 v25, 0, 1, vcc_lo
	v_cmp_le_u32_e32 vcc_lo, v37, v21
	ds_bpermute_b32 v24, v35, v22
	v_lshlrev_b32_e32 v25, 2, v25
	v_add_lshl_u32 v44, v25, v41, 2
	s_waitcnt lgkmcnt(0)
	v_cndmask_b32_e32 v24, 0, v24, vcc_lo
	v_cmp_gt_u32_e32 vcc_lo, 24, v41
	s_delay_alu instid0(VALU_DEP_2) | instskip(SKIP_4) | instid1(VALU_DEP_1)
	v_add_nc_u32_e32 v22, v22, v24
	v_cndmask_b32_e64 v25, 0, 1, vcc_lo
	v_cmp_le_u32_e32 vcc_lo, v46, v21
	ds_bpermute_b32 v24, v44, v22
	v_lshlrev_b32_e32 v25, 3, v25
	v_add_lshl_u32 v47, v25, v41, 2
	s_waitcnt lgkmcnt(0)
	v_cndmask_b32_e32 v24, 0, v24, vcc_lo
	v_cmp_gt_u32_e32 vcc_lo, 16, v41
	s_delay_alu instid0(VALU_DEP_2) | instskip(SKIP_4) | instid1(VALU_DEP_1)
	v_add_nc_u32_e32 v22, v22, v24
	v_cndmask_b32_e64 v25, 0, 1, vcc_lo
	v_cmp_le_u32_e32 vcc_lo, v48, v21
	ds_bpermute_b32 v24, v47, v22
	v_lshlrev_b32_e32 v25, 4, v25
	v_add_lshl_u32 v49, v25, v41, 2
	s_waitcnt lgkmcnt(0)
	v_cndmask_b32_e32 v24, 0, v24, vcc_lo
	v_cmp_le_u32_e32 vcc_lo, v50, v21
	s_delay_alu instid0(VALU_DEP_2) | instskip(SKIP_3) | instid1(VALU_DEP_1)
	v_add_nc_u32_e32 v22, v22, v24
	ds_bpermute_b32 v24, v49, v22
	s_waitcnt lgkmcnt(0)
	v_cndmask_b32_e32 v21, 0, v24, vcc_lo
	v_dual_mov_b32 v21, 0 :: v_dual_add_nc_u32 v22, v22, v21
	s_branch .LBB1545_378
.LBB1545_377:                           ;   in Loop: Header=BB1545_378 Depth=1
	s_or_b32 exec_lo, exec_lo, s18
	ds_bpermute_b32 v25, v31, v22
	v_and_b32_e32 v24, 0xff, v23
	v_subrev_nc_u32_e32 v20, 32, v20
	s_delay_alu instid0(VALU_DEP_2) | instskip(SKIP_1) | instid1(VALU_DEP_1)
	v_cmp_eq_u16_e32 vcc_lo, 2, v24
	v_and_or_b32 v24, vcc_lo, v33, 0x80000000
	v_ctz_i32_b32_e32 v24, v24
	s_delay_alu instid0(VALU_DEP_1) | instskip(SKIP_3) | instid1(VALU_DEP_2)
	v_cmp_lt_u32_e32 vcc_lo, v41, v24
	s_waitcnt lgkmcnt(0)
	v_cndmask_b32_e32 v25, 0, v25, vcc_lo
	v_cmp_le_u32_e32 vcc_lo, v37, v24
	v_add_nc_u32_e32 v22, v25, v22
	ds_bpermute_b32 v25, v35, v22
	s_waitcnt lgkmcnt(0)
	v_cndmask_b32_e32 v25, 0, v25, vcc_lo
	v_cmp_le_u32_e32 vcc_lo, v46, v24
	s_delay_alu instid0(VALU_DEP_2) | instskip(SKIP_4) | instid1(VALU_DEP_2)
	v_add_nc_u32_e32 v22, v22, v25
	ds_bpermute_b32 v25, v44, v22
	s_waitcnt lgkmcnt(0)
	v_cndmask_b32_e32 v25, 0, v25, vcc_lo
	v_cmp_le_u32_e32 vcc_lo, v48, v24
	v_add_nc_u32_e32 v22, v22, v25
	ds_bpermute_b32 v25, v47, v22
	s_waitcnt lgkmcnt(0)
	v_cndmask_b32_e32 v25, 0, v25, vcc_lo
	v_cmp_le_u32_e32 vcc_lo, v50, v24
	s_delay_alu instid0(VALU_DEP_2) | instskip(SKIP_3) | instid1(VALU_DEP_1)
	v_add_nc_u32_e32 v22, v22, v25
	ds_bpermute_b32 v25, v49, v22
	s_waitcnt lgkmcnt(0)
	v_cndmask_b32_e32 v24, 0, v25, vcc_lo
	v_add3_u32 v22, v24, v45, v22
.LBB1545_378:                           ; =>This Loop Header: Depth=1
                                        ;     Child Loop BB1545_381 Depth 2
	v_and_b32_e32 v23, 0xff, v23
	s_delay_alu instid0(VALU_DEP_2) | instskip(NEXT) | instid1(VALU_DEP_2)
	v_mov_b32_e32 v45, v22
	v_cmp_ne_u16_e32 vcc_lo, 2, v23
	v_cndmask_b32_e64 v23, 0, 1, vcc_lo
	;;#ASMSTART
	;;#ASMEND
	s_delay_alu instid0(VALU_DEP_1)
	v_cmp_ne_u32_e32 vcc_lo, 0, v23
	s_cmp_lg_u32 vcc_lo, exec_lo
	s_cbranch_scc1 .LBB1545_383
; %bb.379:                              ;   in Loop: Header=BB1545_378 Depth=1
	v_lshlrev_b64 v[22:23], 3, v[20:21]
	s_mov_b32 s18, exec_lo
	s_delay_alu instid0(VALU_DEP_1) | instskip(NEXT) | instid1(VALU_DEP_2)
	v_add_co_u32 v24, vcc_lo, s10, v22
	v_add_co_ci_u32_e32 v25, vcc_lo, s11, v23, vcc_lo
	global_load_b64 v[22:23], v[24:25], off glc
	s_waitcnt vmcnt(0)
	v_and_b32_e32 v51, 0xff, v23
	s_delay_alu instid0(VALU_DEP_1)
	v_cmpx_eq_u16_e32 0, v51
	s_cbranch_execz .LBB1545_377
; %bb.380:                              ;   in Loop: Header=BB1545_378 Depth=1
	s_mov_b32 s19, 0
.LBB1545_381:                           ;   Parent Loop BB1545_378 Depth=1
                                        ; =>  This Inner Loop Header: Depth=2
	global_load_b64 v[22:23], v[24:25], off glc
	s_waitcnt vmcnt(0)
	v_and_b32_e32 v51, 0xff, v23
	s_delay_alu instid0(VALU_DEP_1) | instskip(SKIP_1) | instid1(SALU_CYCLE_1)
	v_cmp_ne_u16_e32 vcc_lo, 0, v51
	s_or_b32 s19, vcc_lo, s19
	s_and_not1_b32 exec_lo, exec_lo, s19
	s_cbranch_execnz .LBB1545_381
; %bb.382:                              ;   in Loop: Header=BB1545_378 Depth=1
	s_or_b32 exec_lo, exec_lo, s19
	s_branch .LBB1545_377
.LBB1545_383:                           ;   in Loop: Header=BB1545_378 Depth=1
                                        ; implicit-def: $vgpr22
                                        ; implicit-def: $vgpr23
	s_cbranch_execz .LBB1545_378
; %bb.384:
	s_and_saveexec_b32 s18, s8
	s_cbranch_execz .LBB1545_386
; %bb.385:
	s_add_i32 s22, s15, 32
	s_mov_b32 s23, 0
	v_dual_mov_b32 v21, 2 :: v_dual_add_nc_u32 v20, v45, v19
	s_lshl_b64 s[22:23], s[22:23], 3
	v_mov_b32_e32 v22, 0
	v_add_nc_u32_e64 v23, 0x8400, 0
	s_add_u32 s22, s10, s22
	s_addc_u32 s23, s11, s23
	global_store_b64 v22, v[20:21], s[22:23]
	ds_store_2addr_b32 v23, v19, v45 offset1:2
.LBB1545_386:
	s_or_b32 exec_lo, exec_lo, s18
	v_cmp_eq_u32_e32 vcc_lo, 0, v0
	s_and_b32 exec_lo, exec_lo, vcc_lo
	s_cbranch_execz .LBB1545_388
; %bb.387:
	v_mov_b32_e32 v19, 0
	ds_store_b32 v19, v45 offset:60
.LBB1545_388:
	s_or_b32 exec_lo, exec_lo, s9
	s_waitcnt lgkmcnt(0)
	v_cndmask_b32_e64 v20, v29, v27, s8
	v_cmp_ne_u32_e32 vcc_lo, 0, v0
	v_mov_b32_e32 v19, 0
	s_waitcnt_vscnt null, 0x0
	s_barrier
	buffer_gl0_inv
	v_cndmask_b32_e32 v20, 0, v20, vcc_lo
	ds_load_b32 v19, v19 offset:60
	s_waitcnt lgkmcnt(0)
	s_barrier
	buffer_gl0_inv
	v_add_nc_u32_e32 v37, v19, v20
	v_add_nc_u32_e64 v19, 0x8400, 0
	s_delay_alu instid0(VALU_DEP_2) | instskip(SKIP_2) | instid1(VALU_DEP_1)
	v_add_nc_u32_e32 v35, v37, v26
	ds_load_2addr_b32 v[19:20], v19 offset1:2
	v_add_nc_u32_e32 v33, v35, v28
	v_add_nc_u32_e32 v31, v33, v30
	s_delay_alu instid0(VALU_DEP_1) | instskip(NEXT) | instid1(VALU_DEP_1)
	v_add_nc_u32_e32 v29, v31, v32
	v_add_nc_u32_e32 v27, v29, v34
	s_delay_alu instid0(VALU_DEP_1) | instskip(NEXT) | instid1(VALU_DEP_1)
	v_add_nc_u32_e32 v25, v27, v36
	v_add_nc_u32_e32 v23, v25, v38
	s_load_b64 s[8:9], s[0:1], 0x28
	v_lshrrev_b64 v[21:22], 24, v[17:18]
	s_branch .LBB1545_399
.LBB1545_389:
                                        ; implicit-def: $vgpr23
                                        ; implicit-def: $vgpr25
                                        ; implicit-def: $vgpr27
                                        ; implicit-def: $vgpr29
                                        ; implicit-def: $vgpr31
                                        ; implicit-def: $vgpr33
                                        ; implicit-def: $vgpr35
                                        ; implicit-def: $vgpr37
                                        ; implicit-def: $vgpr20
	s_load_b64 s[8:9], s[0:1], 0x28
	v_lshrrev_b64 v[21:22], 24, v[17:18]
	s_and_b32 vcc_lo, exec_lo, s18
	s_cbranch_vccz .LBB1545_399
; %bb.390:
	s_waitcnt lgkmcnt(0)
	v_mov_b32_dpp v19, v43 row_shr:1 row_mask:0xf bank_mask:0xf
	s_delay_alu instid0(VALU_DEP_1) | instskip(NEXT) | instid1(VALU_DEP_1)
	v_cndmask_b32_e64 v19, v19, 0, s4
	v_add_nc_u32_e32 v19, v19, v43
	s_delay_alu instid0(VALU_DEP_1) | instskip(NEXT) | instid1(VALU_DEP_1)
	v_mov_b32_dpp v20, v19 row_shr:2 row_mask:0xf bank_mask:0xf
	v_cndmask_b32_e64 v20, 0, v20, s2
	s_delay_alu instid0(VALU_DEP_1) | instskip(NEXT) | instid1(VALU_DEP_1)
	v_add_nc_u32_e32 v19, v19, v20
	v_mov_b32_dpp v20, v19 row_shr:4 row_mask:0xf bank_mask:0xf
	s_delay_alu instid0(VALU_DEP_1) | instskip(NEXT) | instid1(VALU_DEP_1)
	v_cndmask_b32_e64 v20, 0, v20, s5
	v_add_nc_u32_e32 v19, v19, v20
	s_delay_alu instid0(VALU_DEP_1) | instskip(NEXT) | instid1(VALU_DEP_1)
	v_mov_b32_dpp v20, v19 row_shr:8 row_mask:0xf bank_mask:0xf
	v_cndmask_b32_e64 v20, 0, v20, s3
	s_delay_alu instid0(VALU_DEP_1) | instskip(SKIP_3) | instid1(VALU_DEP_1)
	v_add_nc_u32_e32 v19, v19, v20
	ds_swizzle_b32 v20, v19 offset:swizzle(BROADCAST,32,15)
	s_waitcnt lgkmcnt(0)
	v_cndmask_b32_e64 v20, v20, 0, s7
	v_add_nc_u32_e32 v19, v19, v20
	s_and_saveexec_b32 s0, s6
	s_cbranch_execz .LBB1545_392
; %bb.391:
	v_lshlrev_b32_e32 v20, 2, v42
	ds_store_b32 v20, v19
.LBB1545_392:
	s_or_b32 exec_lo, exec_lo, s0
	s_delay_alu instid0(SALU_CYCLE_1)
	s_mov_b32 s0, exec_lo
	s_waitcnt lgkmcnt(0)
	s_barrier
	buffer_gl0_inv
	v_cmpx_gt_u32_e32 16, v0
	s_cbranch_execz .LBB1545_394
; %bb.393:
	v_lshlrev_b32_e32 v20, 2, v0
	ds_load_b32 v22, v20
	s_waitcnt lgkmcnt(0)
	v_mov_b32_dpp v23, v22 row_shr:1 row_mask:0xf bank_mask:0xf
	s_delay_alu instid0(VALU_DEP_1) | instskip(NEXT) | instid1(VALU_DEP_1)
	v_cndmask_b32_e64 v23, v23, 0, s4
	v_add_nc_u32_e32 v22, v23, v22
	s_delay_alu instid0(VALU_DEP_1) | instskip(NEXT) | instid1(VALU_DEP_1)
	v_mov_b32_dpp v23, v22 row_shr:2 row_mask:0xf bank_mask:0xf
	v_cndmask_b32_e64 v23, 0, v23, s2
	s_delay_alu instid0(VALU_DEP_1) | instskip(NEXT) | instid1(VALU_DEP_1)
	v_add_nc_u32_e32 v22, v22, v23
	v_mov_b32_dpp v23, v22 row_shr:4 row_mask:0xf bank_mask:0xf
	s_delay_alu instid0(VALU_DEP_1) | instskip(NEXT) | instid1(VALU_DEP_1)
	v_cndmask_b32_e64 v23, 0, v23, s5
	v_add_nc_u32_e32 v22, v22, v23
	s_delay_alu instid0(VALU_DEP_1) | instskip(NEXT) | instid1(VALU_DEP_1)
	v_mov_b32_dpp v23, v22 row_shr:8 row_mask:0xf bank_mask:0xf
	v_cndmask_b32_e64 v23, 0, v23, s3
	s_delay_alu instid0(VALU_DEP_1)
	v_add_nc_u32_e32 v22, v22, v23
	ds_store_b32 v20, v22
.LBB1545_394:
	s_or_b32 exec_lo, exec_lo, s0
	v_mov_b32_e32 v20, 0
	v_mov_b32_e32 v22, 0
	s_mov_b32 s0, exec_lo
	s_waitcnt lgkmcnt(0)
	s_barrier
	buffer_gl0_inv
	v_cmpx_lt_u32_e32 31, v0
	s_cbranch_execz .LBB1545_396
; %bb.395:
	v_lshl_add_u32 v22, v42, 2, -4
	ds_load_b32 v22, v22
.LBB1545_396:
	s_or_b32 exec_lo, exec_lo, s0
	v_add_nc_u32_e32 v23, -1, v41
	s_waitcnt lgkmcnt(0)
	v_add_nc_u32_e32 v19, v22, v19
	s_delay_alu instid0(VALU_DEP_2) | instskip(SKIP_2) | instid1(VALU_DEP_2)
	v_cmp_gt_i32_e32 vcc_lo, 0, v23
	v_cndmask_b32_e32 v23, v23, v41, vcc_lo
	v_cmp_eq_u32_e32 vcc_lo, 0, v0
	v_lshlrev_b32_e32 v23, 2, v23
	ds_bpermute_b32 v23, v23, v19
	ds_load_b32 v19, v20 offset:60
	s_and_saveexec_b32 s0, vcc_lo
	s_cbranch_execz .LBB1545_398
; %bb.397:
	v_mov_b32_e32 v24, 0
	v_mov_b32_e32 v20, 2
	s_waitcnt lgkmcnt(0)
	global_store_b64 v24, v[19:20], s[10:11] offset:256
.LBB1545_398:
	s_or_b32 exec_lo, exec_lo, s0
	v_cmp_eq_u32_e64 s0, 0, v41
	s_waitcnt lgkmcnt(0)
	s_waitcnt_vscnt null, 0x0
	s_barrier
	buffer_gl0_inv
	v_cndmask_b32_e64 v20, v23, v22, s0
	s_delay_alu instid0(VALU_DEP_1) | instskip(NEXT) | instid1(VALU_DEP_1)
	v_cndmask_b32_e64 v37, v20, 0, vcc_lo
	v_dual_mov_b32 v20, 0 :: v_dual_add_nc_u32 v35, v37, v26
	s_delay_alu instid0(VALU_DEP_1) | instskip(NEXT) | instid1(VALU_DEP_1)
	v_add_nc_u32_e32 v33, v35, v28
	v_add_nc_u32_e32 v31, v33, v30
	s_delay_alu instid0(VALU_DEP_1) | instskip(NEXT) | instid1(VALU_DEP_1)
	v_add_nc_u32_e32 v29, v31, v32
	v_add_nc_u32_e32 v27, v29, v34
	;; [unrolled: 3-line block ×3, first 2 shown]
.LBB1545_399:
	s_waitcnt lgkmcnt(0)
	v_cmp_gt_u32_e32 vcc_lo, 0x201, v19
	v_lshrrev_b32_e32 v43, 8, v17
	v_lshrrev_b32_e32 v42, 16, v17
	;; [unrolled: 1-line block ×4, first 2 shown]
	s_mov_b32 s0, -1
	s_cbranch_vccnz .LBB1545_403
; %bb.400:
	s_and_b32 vcc_lo, exec_lo, s0
	s_cbranch_vccnz .LBB1545_428
.LBB1545_401:
	v_cmp_eq_u32_e32 vcc_lo, 0, v0
	s_and_b32 s0, vcc_lo, s14
	s_delay_alu instid0(SALU_CYCLE_1)
	s_and_saveexec_b32 s1, s0
	s_cbranch_execnz .LBB1545_448
.LBB1545_402:
	s_nop 0
	s_sendmsg sendmsg(MSG_DEALLOC_VGPRS)
	s_endpgm
.LBB1545_403:
	v_add_nc_u32_e32 v24, v20, v19
	s_delay_alu instid0(VALU_DEP_1) | instskip(SKIP_1) | instid1(SALU_CYCLE_1)
	v_cmp_lt_u32_e32 vcc_lo, v37, v24
	s_or_b32 s1, s21, vcc_lo
	s_and_saveexec_b32 s0, s1
	s_cbranch_execz .LBB1545_406
; %bb.404:
	v_and_b32_e32 v26, 1, v17
	s_delay_alu instid0(VALU_DEP_1)
	v_cmp_eq_u32_e32 vcc_lo, 1, v26
	s_and_b32 exec_lo, exec_lo, vcc_lo
	s_cbranch_execz .LBB1545_406
; %bb.405:
	v_mov_b32_e32 v38, 0
	s_lshl_b64 s[2:3], s[12:13], 3
	s_delay_alu instid0(SALU_CYCLE_1) | instskip(SKIP_1) | instid1(VALU_DEP_1)
	s_add_u32 s1, s8, s2
	s_addc_u32 s2, s9, s3
	v_lshlrev_b64 v[44:45], 3, v[37:38]
	s_delay_alu instid0(VALU_DEP_1) | instskip(NEXT) | instid1(VALU_DEP_2)
	v_add_co_u32 v44, vcc_lo, s1, v44
	v_add_co_ci_u32_e32 v45, vcc_lo, s2, v45, vcc_lo
	global_store_b64 v[44:45], v[13:14], off
.LBB1545_406:
	s_or_b32 exec_lo, exec_lo, s0
	v_cmp_lt_u32_e32 vcc_lo, v35, v24
	s_or_b32 s1, s21, vcc_lo
	s_delay_alu instid0(SALU_CYCLE_1)
	s_and_saveexec_b32 s0, s1
	s_cbranch_execz .LBB1545_409
; %bb.407:
	v_and_b32_e32 v26, 1, v43
	s_delay_alu instid0(VALU_DEP_1)
	v_cmp_eq_u32_e32 vcc_lo, 1, v26
	s_and_b32 exec_lo, exec_lo, vcc_lo
	s_cbranch_execz .LBB1545_409
; %bb.408:
	v_mov_b32_e32 v36, 0
	s_lshl_b64 s[2:3], s[12:13], 3
	s_delay_alu instid0(SALU_CYCLE_1) | instskip(SKIP_1) | instid1(VALU_DEP_1)
	s_add_u32 s1, s8, s2
	s_addc_u32 s2, s9, s3
	v_lshlrev_b64 v[44:45], 3, v[35:36]
	s_delay_alu instid0(VALU_DEP_1) | instskip(NEXT) | instid1(VALU_DEP_2)
	v_add_co_u32 v44, vcc_lo, s1, v44
	v_add_co_ci_u32_e32 v45, vcc_lo, s2, v45, vcc_lo
	global_store_b64 v[44:45], v[15:16], off
.LBB1545_409:
	s_or_b32 exec_lo, exec_lo, s0
	v_cmp_lt_u32_e32 vcc_lo, v33, v24
	s_or_b32 s1, s21, vcc_lo
	s_delay_alu instid0(SALU_CYCLE_1)
	;; [unrolled: 24-line block ×7, first 2 shown]
	s_and_saveexec_b32 s0, s1
	s_cbranch_execz .LBB1545_427
; %bb.425:
	v_and_b32_e32 v24, 1, v40
	s_delay_alu instid0(VALU_DEP_1)
	v_cmp_eq_u32_e32 vcc_lo, 1, v24
	s_and_b32 exec_lo, exec_lo, vcc_lo
	s_cbranch_execz .LBB1545_427
; %bb.426:
	v_mov_b32_e32 v24, 0
	s_lshl_b64 s[2:3], s[12:13], 3
	s_delay_alu instid0(SALU_CYCLE_1) | instskip(SKIP_1) | instid1(VALU_DEP_1)
	s_add_u32 s1, s8, s2
	s_addc_u32 s2, s9, s3
	v_lshlrev_b64 v[44:45], 3, v[23:24]
	s_delay_alu instid0(VALU_DEP_1) | instskip(NEXT) | instid1(VALU_DEP_2)
	v_add_co_u32 v44, vcc_lo, s1, v44
	v_add_co_ci_u32_e32 v45, vcc_lo, s2, v45, vcc_lo
	global_store_b64 v[44:45], v[3:4], off
.LBB1545_427:
	s_or_b32 exec_lo, exec_lo, s0
	s_branch .LBB1545_401
.LBB1545_428:
	v_and_b32_e32 v17, 1, v17
	s_mov_b32 s0, exec_lo
	s_delay_alu instid0(VALU_DEP_1)
	v_cmpx_eq_u32_e32 1, v17
	s_cbranch_execz .LBB1545_430
; %bb.429:
	v_sub_nc_u32_e32 v17, v37, v20
	s_delay_alu instid0(VALU_DEP_1)
	v_lshlrev_b32_e32 v17, 3, v17
	ds_store_b64 v17, v[13:14]
.LBB1545_430:
	s_or_b32 exec_lo, exec_lo, s0
	v_and_b32_e32 v13, 1, v43
	s_mov_b32 s0, exec_lo
	s_delay_alu instid0(VALU_DEP_1)
	v_cmpx_eq_u32_e32 1, v13
	s_cbranch_execz .LBB1545_432
; %bb.431:
	v_sub_nc_u32_e32 v13, v35, v20
	s_delay_alu instid0(VALU_DEP_1)
	v_lshlrev_b32_e32 v13, 3, v13
	ds_store_b64 v13, v[15:16]
.LBB1545_432:
	s_or_b32 exec_lo, exec_lo, s0
	v_and_b32_e32 v13, 1, v42
	s_mov_b32 s0, exec_lo
	s_delay_alu instid0(VALU_DEP_1)
	v_cmpx_eq_u32_e32 1, v13
	s_cbranch_execz .LBB1545_434
; %bb.433:
	v_sub_nc_u32_e32 v13, v33, v20
	s_delay_alu instid0(VALU_DEP_1)
	v_lshlrev_b32_e32 v13, 3, v13
	ds_store_b64 v13, v[9:10]
.LBB1545_434:
	s_or_b32 exec_lo, exec_lo, s0
	v_and_b32_e32 v9, 1, v21
	s_mov_b32 s0, exec_lo
	s_delay_alu instid0(VALU_DEP_1)
	v_cmpx_eq_u32_e32 1, v9
	s_cbranch_execz .LBB1545_436
; %bb.435:
	v_sub_nc_u32_e32 v9, v31, v20
	s_delay_alu instid0(VALU_DEP_1)
	v_lshlrev_b32_e32 v9, 3, v9
	ds_store_b64 v9, v[11:12]
.LBB1545_436:
	s_or_b32 exec_lo, exec_lo, s0
	v_and_b32_e32 v9, 1, v18
	s_mov_b32 s0, exec_lo
	s_delay_alu instid0(VALU_DEP_1)
	v_cmpx_eq_u32_e32 1, v9
	s_cbranch_execz .LBB1545_438
; %bb.437:
	v_sub_nc_u32_e32 v9, v29, v20
	s_delay_alu instid0(VALU_DEP_1)
	v_lshlrev_b32_e32 v9, 3, v9
	ds_store_b64 v9, v[5:6]
.LBB1545_438:
	s_or_b32 exec_lo, exec_lo, s0
	v_and_b32_e32 v5, 1, v41
	s_mov_b32 s0, exec_lo
	s_delay_alu instid0(VALU_DEP_1)
	v_cmpx_eq_u32_e32 1, v5
	s_cbranch_execz .LBB1545_440
; %bb.439:
	v_sub_nc_u32_e32 v5, v27, v20
	s_delay_alu instid0(VALU_DEP_1)
	v_lshlrev_b32_e32 v5, 3, v5
	ds_store_b64 v5, v[7:8]
.LBB1545_440:
	s_or_b32 exec_lo, exec_lo, s0
	v_and_b32_e32 v5, 1, v22
	s_mov_b32 s0, exec_lo
	s_delay_alu instid0(VALU_DEP_1)
	v_cmpx_eq_u32_e32 1, v5
	s_cbranch_execz .LBB1545_442
; %bb.441:
	v_sub_nc_u32_e32 v5, v25, v20
	s_delay_alu instid0(VALU_DEP_1)
	v_lshlrev_b32_e32 v5, 3, v5
	ds_store_b64 v5, v[1:2]
.LBB1545_442:
	s_or_b32 exec_lo, exec_lo, s0
	v_and_b32_e32 v1, 1, v40
	s_mov_b32 s0, exec_lo
	s_delay_alu instid0(VALU_DEP_1)
	v_cmpx_eq_u32_e32 1, v1
	s_cbranch_execz .LBB1545_444
; %bb.443:
	v_sub_nc_u32_e32 v1, v23, v20
	s_delay_alu instid0(VALU_DEP_1)
	v_lshlrev_b32_e32 v1, 3, v1
	ds_store_b64 v1, v[3:4]
.LBB1545_444:
	s_or_b32 exec_lo, exec_lo, s0
	s_delay_alu instid0(SALU_CYCLE_1)
	s_mov_b32 s1, exec_lo
	s_waitcnt lgkmcnt(0)
	s_waitcnt_vscnt null, 0x0
	s_barrier
	buffer_gl0_inv
	v_cmpx_lt_u32_e64 v0, v19
	s_cbranch_execz .LBB1545_447
; %bb.445:
	v_dual_mov_b32 v2, 0 :: v_dual_mov_b32 v1, v20
	s_lshl_b64 s[2:3], s[12:13], 3
	v_mov_b32_e32 v3, v0
	s_delay_alu instid0(VALU_DEP_2) | instskip(NEXT) | instid1(VALU_DEP_1)
	v_lshlrev_b64 v[1:2], 3, v[1:2]
	v_add_co_u32 v1, vcc_lo, s2, v1
	s_delay_alu instid0(VALU_DEP_2) | instskip(SKIP_1) | instid1(VALU_DEP_2)
	v_add_co_ci_u32_e32 v2, vcc_lo, s3, v2, vcc_lo
	s_mov_b32 s2, 0
	v_add_co_u32 v1, vcc_lo, s8, v1
	s_delay_alu instid0(VALU_DEP_2) | instskip(NEXT) | instid1(VALU_DEP_2)
	v_add_co_ci_u32_e32 v2, vcc_lo, s9, v2, vcc_lo
	v_add_co_u32 v1, vcc_lo, v1, v39
	s_delay_alu instid0(VALU_DEP_2)
	v_add_co_ci_u32_e32 v2, vcc_lo, 0, v2, vcc_lo
	.p2align	6
.LBB1545_446:                           ; =>This Inner Loop Header: Depth=1
	ds_load_b64 v[4:5], v39
	v_add_nc_u32_e32 v3, 0x200, v3
	v_add_nc_u32_e32 v39, 0x1000, v39
	s_delay_alu instid0(VALU_DEP_2) | instskip(SKIP_4) | instid1(VALU_DEP_1)
	v_cmp_ge_u32_e32 vcc_lo, v3, v19
	s_or_b32 s2, vcc_lo, s2
	s_waitcnt lgkmcnt(0)
	global_store_b64 v[1:2], v[4:5], off
	v_add_co_u32 v1, s0, 0x1000, v1
	v_add_co_ci_u32_e64 v2, s0, 0, v2, s0
	s_and_not1_b32 exec_lo, exec_lo, s2
	s_cbranch_execnz .LBB1545_446
.LBB1545_447:
	s_or_b32 exec_lo, exec_lo, s1
	v_cmp_eq_u32_e32 vcc_lo, 0, v0
	s_and_b32 s0, vcc_lo, s14
	s_delay_alu instid0(SALU_CYCLE_1)
	s_and_saveexec_b32 s1, s0
	s_cbranch_execz .LBB1545_402
.LBB1545_448:
	v_add_co_u32 v0, s0, s12, v19
	s_delay_alu instid0(VALU_DEP_1) | instskip(SKIP_1) | instid1(VALU_DEP_3)
	v_add_co_ci_u32_e64 v1, null, s13, 0, s0
	v_mov_b32_e32 v2, 0
	v_add_co_u32 v0, vcc_lo, v0, v20
	s_delay_alu instid0(VALU_DEP_3)
	v_add_co_ci_u32_e32 v1, vcc_lo, 0, v1, vcc_lo
	global_store_b64 v2, v[0:1], s[16:17]
	s_nop 0
	s_sendmsg sendmsg(MSG_DEALLOC_VGPRS)
	s_endpgm
	.section	.rodata,"a",@progbits
	.p2align	6, 0x0
	.amdhsa_kernel _ZN7rocprim17ROCPRIM_400000_NS6detail17trampoline_kernelINS0_14default_configENS1_25partition_config_selectorILNS1_17partition_subalgoE8ElNS0_10empty_typeEbEEZZNS1_14partition_implILS5_8ELb0ES3_jPlPS6_PKS6_NS0_5tupleIJS9_S6_EEENSD_IJSA_SA_EEENS0_18inequality_wrapperIZN2at6native12_GLOBAL__N_124unique_dim_cuda_templateIjEESt5tupleIJNSH_6TensorESM_SM_EERKSM_lbbbEUlllE0_EEPmJS6_EEE10hipError_tPvRmT3_T4_T5_T6_T7_T9_mT8_P12ihipStream_tbDpT10_ENKUlT_T0_E_clISt17integral_constantIbLb0EES1C_EEDaS17_S18_EUlS17_E_NS1_11comp_targetILNS1_3genE9ELNS1_11target_archE1100ELNS1_3gpuE3ELNS1_3repE0EEENS1_30default_config_static_selectorELNS0_4arch9wavefront6targetE0EEEvT1_
		.amdhsa_group_segment_fixed_size 33804
		.amdhsa_private_segment_fixed_size 0
		.amdhsa_kernarg_size 120
		.amdhsa_user_sgpr_count 15
		.amdhsa_user_sgpr_dispatch_ptr 0
		.amdhsa_user_sgpr_queue_ptr 0
		.amdhsa_user_sgpr_kernarg_segment_ptr 1
		.amdhsa_user_sgpr_dispatch_id 0
		.amdhsa_user_sgpr_private_segment_size 0
		.amdhsa_wavefront_size32 1
		.amdhsa_uses_dynamic_stack 0
		.amdhsa_enable_private_segment 0
		.amdhsa_system_sgpr_workgroup_id_x 1
		.amdhsa_system_sgpr_workgroup_id_y 0
		.amdhsa_system_sgpr_workgroup_id_z 0
		.amdhsa_system_sgpr_workgroup_info 0
		.amdhsa_system_vgpr_workitem_id 0
		.amdhsa_next_free_vgpr 52
		.amdhsa_next_free_sgpr 36
		.amdhsa_reserve_vcc 1
		.amdhsa_float_round_mode_32 0
		.amdhsa_float_round_mode_16_64 0
		.amdhsa_float_denorm_mode_32 3
		.amdhsa_float_denorm_mode_16_64 3
		.amdhsa_dx10_clamp 1
		.amdhsa_ieee_mode 1
		.amdhsa_fp16_overflow 0
		.amdhsa_workgroup_processor_mode 1
		.amdhsa_memory_ordered 1
		.amdhsa_forward_progress 0
		.amdhsa_shared_vgpr_count 0
		.amdhsa_exception_fp_ieee_invalid_op 0
		.amdhsa_exception_fp_denorm_src 0
		.amdhsa_exception_fp_ieee_div_zero 0
		.amdhsa_exception_fp_ieee_overflow 0
		.amdhsa_exception_fp_ieee_underflow 0
		.amdhsa_exception_fp_ieee_inexact 0
		.amdhsa_exception_int_div_zero 0
	.end_amdhsa_kernel
	.section	.text._ZN7rocprim17ROCPRIM_400000_NS6detail17trampoline_kernelINS0_14default_configENS1_25partition_config_selectorILNS1_17partition_subalgoE8ElNS0_10empty_typeEbEEZZNS1_14partition_implILS5_8ELb0ES3_jPlPS6_PKS6_NS0_5tupleIJS9_S6_EEENSD_IJSA_SA_EEENS0_18inequality_wrapperIZN2at6native12_GLOBAL__N_124unique_dim_cuda_templateIjEESt5tupleIJNSH_6TensorESM_SM_EERKSM_lbbbEUlllE0_EEPmJS6_EEE10hipError_tPvRmT3_T4_T5_T6_T7_T9_mT8_P12ihipStream_tbDpT10_ENKUlT_T0_E_clISt17integral_constantIbLb0EES1C_EEDaS17_S18_EUlS17_E_NS1_11comp_targetILNS1_3genE9ELNS1_11target_archE1100ELNS1_3gpuE3ELNS1_3repE0EEENS1_30default_config_static_selectorELNS0_4arch9wavefront6targetE0EEEvT1_,"axG",@progbits,_ZN7rocprim17ROCPRIM_400000_NS6detail17trampoline_kernelINS0_14default_configENS1_25partition_config_selectorILNS1_17partition_subalgoE8ElNS0_10empty_typeEbEEZZNS1_14partition_implILS5_8ELb0ES3_jPlPS6_PKS6_NS0_5tupleIJS9_S6_EEENSD_IJSA_SA_EEENS0_18inequality_wrapperIZN2at6native12_GLOBAL__N_124unique_dim_cuda_templateIjEESt5tupleIJNSH_6TensorESM_SM_EERKSM_lbbbEUlllE0_EEPmJS6_EEE10hipError_tPvRmT3_T4_T5_T6_T7_T9_mT8_P12ihipStream_tbDpT10_ENKUlT_T0_E_clISt17integral_constantIbLb0EES1C_EEDaS17_S18_EUlS17_E_NS1_11comp_targetILNS1_3genE9ELNS1_11target_archE1100ELNS1_3gpuE3ELNS1_3repE0EEENS1_30default_config_static_selectorELNS0_4arch9wavefront6targetE0EEEvT1_,comdat
.Lfunc_end1545:
	.size	_ZN7rocprim17ROCPRIM_400000_NS6detail17trampoline_kernelINS0_14default_configENS1_25partition_config_selectorILNS1_17partition_subalgoE8ElNS0_10empty_typeEbEEZZNS1_14partition_implILS5_8ELb0ES3_jPlPS6_PKS6_NS0_5tupleIJS9_S6_EEENSD_IJSA_SA_EEENS0_18inequality_wrapperIZN2at6native12_GLOBAL__N_124unique_dim_cuda_templateIjEESt5tupleIJNSH_6TensorESM_SM_EERKSM_lbbbEUlllE0_EEPmJS6_EEE10hipError_tPvRmT3_T4_T5_T6_T7_T9_mT8_P12ihipStream_tbDpT10_ENKUlT_T0_E_clISt17integral_constantIbLb0EES1C_EEDaS17_S18_EUlS17_E_NS1_11comp_targetILNS1_3genE9ELNS1_11target_archE1100ELNS1_3gpuE3ELNS1_3repE0EEENS1_30default_config_static_selectorELNS0_4arch9wavefront6targetE0EEEvT1_, .Lfunc_end1545-_ZN7rocprim17ROCPRIM_400000_NS6detail17trampoline_kernelINS0_14default_configENS1_25partition_config_selectorILNS1_17partition_subalgoE8ElNS0_10empty_typeEbEEZZNS1_14partition_implILS5_8ELb0ES3_jPlPS6_PKS6_NS0_5tupleIJS9_S6_EEENSD_IJSA_SA_EEENS0_18inequality_wrapperIZN2at6native12_GLOBAL__N_124unique_dim_cuda_templateIjEESt5tupleIJNSH_6TensorESM_SM_EERKSM_lbbbEUlllE0_EEPmJS6_EEE10hipError_tPvRmT3_T4_T5_T6_T7_T9_mT8_P12ihipStream_tbDpT10_ENKUlT_T0_E_clISt17integral_constantIbLb0EES1C_EEDaS17_S18_EUlS17_E_NS1_11comp_targetILNS1_3genE9ELNS1_11target_archE1100ELNS1_3gpuE3ELNS1_3repE0EEENS1_30default_config_static_selectorELNS0_4arch9wavefront6targetE0EEEvT1_
                                        ; -- End function
	.section	.AMDGPU.csdata,"",@progbits
; Kernel info:
; codeLenInByte = 18232
; NumSgprs: 38
; NumVgprs: 52
; ScratchSize: 0
; MemoryBound: 0
; FloatMode: 240
; IeeeMode: 1
; LDSByteSize: 33804 bytes/workgroup (compile time only)
; SGPRBlocks: 4
; VGPRBlocks: 6
; NumSGPRsForWavesPerEU: 38
; NumVGPRsForWavesPerEU: 52
; Occupancy: 12
; WaveLimiterHint : 1
; COMPUTE_PGM_RSRC2:SCRATCH_EN: 0
; COMPUTE_PGM_RSRC2:USER_SGPR: 15
; COMPUTE_PGM_RSRC2:TRAP_HANDLER: 0
; COMPUTE_PGM_RSRC2:TGID_X_EN: 1
; COMPUTE_PGM_RSRC2:TGID_Y_EN: 0
; COMPUTE_PGM_RSRC2:TGID_Z_EN: 0
; COMPUTE_PGM_RSRC2:TIDIG_COMP_CNT: 0
	.section	.text._ZN7rocprim17ROCPRIM_400000_NS6detail17trampoline_kernelINS0_14default_configENS1_25partition_config_selectorILNS1_17partition_subalgoE8ElNS0_10empty_typeEbEEZZNS1_14partition_implILS5_8ELb0ES3_jPlPS6_PKS6_NS0_5tupleIJS9_S6_EEENSD_IJSA_SA_EEENS0_18inequality_wrapperIZN2at6native12_GLOBAL__N_124unique_dim_cuda_templateIjEESt5tupleIJNSH_6TensorESM_SM_EERKSM_lbbbEUlllE0_EEPmJS6_EEE10hipError_tPvRmT3_T4_T5_T6_T7_T9_mT8_P12ihipStream_tbDpT10_ENKUlT_T0_E_clISt17integral_constantIbLb0EES1C_EEDaS17_S18_EUlS17_E_NS1_11comp_targetILNS1_3genE8ELNS1_11target_archE1030ELNS1_3gpuE2ELNS1_3repE0EEENS1_30default_config_static_selectorELNS0_4arch9wavefront6targetE0EEEvT1_,"axG",@progbits,_ZN7rocprim17ROCPRIM_400000_NS6detail17trampoline_kernelINS0_14default_configENS1_25partition_config_selectorILNS1_17partition_subalgoE8ElNS0_10empty_typeEbEEZZNS1_14partition_implILS5_8ELb0ES3_jPlPS6_PKS6_NS0_5tupleIJS9_S6_EEENSD_IJSA_SA_EEENS0_18inequality_wrapperIZN2at6native12_GLOBAL__N_124unique_dim_cuda_templateIjEESt5tupleIJNSH_6TensorESM_SM_EERKSM_lbbbEUlllE0_EEPmJS6_EEE10hipError_tPvRmT3_T4_T5_T6_T7_T9_mT8_P12ihipStream_tbDpT10_ENKUlT_T0_E_clISt17integral_constantIbLb0EES1C_EEDaS17_S18_EUlS17_E_NS1_11comp_targetILNS1_3genE8ELNS1_11target_archE1030ELNS1_3gpuE2ELNS1_3repE0EEENS1_30default_config_static_selectorELNS0_4arch9wavefront6targetE0EEEvT1_,comdat
	.globl	_ZN7rocprim17ROCPRIM_400000_NS6detail17trampoline_kernelINS0_14default_configENS1_25partition_config_selectorILNS1_17partition_subalgoE8ElNS0_10empty_typeEbEEZZNS1_14partition_implILS5_8ELb0ES3_jPlPS6_PKS6_NS0_5tupleIJS9_S6_EEENSD_IJSA_SA_EEENS0_18inequality_wrapperIZN2at6native12_GLOBAL__N_124unique_dim_cuda_templateIjEESt5tupleIJNSH_6TensorESM_SM_EERKSM_lbbbEUlllE0_EEPmJS6_EEE10hipError_tPvRmT3_T4_T5_T6_T7_T9_mT8_P12ihipStream_tbDpT10_ENKUlT_T0_E_clISt17integral_constantIbLb0EES1C_EEDaS17_S18_EUlS17_E_NS1_11comp_targetILNS1_3genE8ELNS1_11target_archE1030ELNS1_3gpuE2ELNS1_3repE0EEENS1_30default_config_static_selectorELNS0_4arch9wavefront6targetE0EEEvT1_ ; -- Begin function _ZN7rocprim17ROCPRIM_400000_NS6detail17trampoline_kernelINS0_14default_configENS1_25partition_config_selectorILNS1_17partition_subalgoE8ElNS0_10empty_typeEbEEZZNS1_14partition_implILS5_8ELb0ES3_jPlPS6_PKS6_NS0_5tupleIJS9_S6_EEENSD_IJSA_SA_EEENS0_18inequality_wrapperIZN2at6native12_GLOBAL__N_124unique_dim_cuda_templateIjEESt5tupleIJNSH_6TensorESM_SM_EERKSM_lbbbEUlllE0_EEPmJS6_EEE10hipError_tPvRmT3_T4_T5_T6_T7_T9_mT8_P12ihipStream_tbDpT10_ENKUlT_T0_E_clISt17integral_constantIbLb0EES1C_EEDaS17_S18_EUlS17_E_NS1_11comp_targetILNS1_3genE8ELNS1_11target_archE1030ELNS1_3gpuE2ELNS1_3repE0EEENS1_30default_config_static_selectorELNS0_4arch9wavefront6targetE0EEEvT1_
	.p2align	8
	.type	_ZN7rocprim17ROCPRIM_400000_NS6detail17trampoline_kernelINS0_14default_configENS1_25partition_config_selectorILNS1_17partition_subalgoE8ElNS0_10empty_typeEbEEZZNS1_14partition_implILS5_8ELb0ES3_jPlPS6_PKS6_NS0_5tupleIJS9_S6_EEENSD_IJSA_SA_EEENS0_18inequality_wrapperIZN2at6native12_GLOBAL__N_124unique_dim_cuda_templateIjEESt5tupleIJNSH_6TensorESM_SM_EERKSM_lbbbEUlllE0_EEPmJS6_EEE10hipError_tPvRmT3_T4_T5_T6_T7_T9_mT8_P12ihipStream_tbDpT10_ENKUlT_T0_E_clISt17integral_constantIbLb0EES1C_EEDaS17_S18_EUlS17_E_NS1_11comp_targetILNS1_3genE8ELNS1_11target_archE1030ELNS1_3gpuE2ELNS1_3repE0EEENS1_30default_config_static_selectorELNS0_4arch9wavefront6targetE0EEEvT1_,@function
_ZN7rocprim17ROCPRIM_400000_NS6detail17trampoline_kernelINS0_14default_configENS1_25partition_config_selectorILNS1_17partition_subalgoE8ElNS0_10empty_typeEbEEZZNS1_14partition_implILS5_8ELb0ES3_jPlPS6_PKS6_NS0_5tupleIJS9_S6_EEENSD_IJSA_SA_EEENS0_18inequality_wrapperIZN2at6native12_GLOBAL__N_124unique_dim_cuda_templateIjEESt5tupleIJNSH_6TensorESM_SM_EERKSM_lbbbEUlllE0_EEPmJS6_EEE10hipError_tPvRmT3_T4_T5_T6_T7_T9_mT8_P12ihipStream_tbDpT10_ENKUlT_T0_E_clISt17integral_constantIbLb0EES1C_EEDaS17_S18_EUlS17_E_NS1_11comp_targetILNS1_3genE8ELNS1_11target_archE1030ELNS1_3gpuE2ELNS1_3repE0EEENS1_30default_config_static_selectorELNS0_4arch9wavefront6targetE0EEEvT1_: ; @_ZN7rocprim17ROCPRIM_400000_NS6detail17trampoline_kernelINS0_14default_configENS1_25partition_config_selectorILNS1_17partition_subalgoE8ElNS0_10empty_typeEbEEZZNS1_14partition_implILS5_8ELb0ES3_jPlPS6_PKS6_NS0_5tupleIJS9_S6_EEENSD_IJSA_SA_EEENS0_18inequality_wrapperIZN2at6native12_GLOBAL__N_124unique_dim_cuda_templateIjEESt5tupleIJNSH_6TensorESM_SM_EERKSM_lbbbEUlllE0_EEPmJS6_EEE10hipError_tPvRmT3_T4_T5_T6_T7_T9_mT8_P12ihipStream_tbDpT10_ENKUlT_T0_E_clISt17integral_constantIbLb0EES1C_EEDaS17_S18_EUlS17_E_NS1_11comp_targetILNS1_3genE8ELNS1_11target_archE1030ELNS1_3gpuE2ELNS1_3repE0EEENS1_30default_config_static_selectorELNS0_4arch9wavefront6targetE0EEEvT1_
; %bb.0:
	.section	.rodata,"a",@progbits
	.p2align	6, 0x0
	.amdhsa_kernel _ZN7rocprim17ROCPRIM_400000_NS6detail17trampoline_kernelINS0_14default_configENS1_25partition_config_selectorILNS1_17partition_subalgoE8ElNS0_10empty_typeEbEEZZNS1_14partition_implILS5_8ELb0ES3_jPlPS6_PKS6_NS0_5tupleIJS9_S6_EEENSD_IJSA_SA_EEENS0_18inequality_wrapperIZN2at6native12_GLOBAL__N_124unique_dim_cuda_templateIjEESt5tupleIJNSH_6TensorESM_SM_EERKSM_lbbbEUlllE0_EEPmJS6_EEE10hipError_tPvRmT3_T4_T5_T6_T7_T9_mT8_P12ihipStream_tbDpT10_ENKUlT_T0_E_clISt17integral_constantIbLb0EES1C_EEDaS17_S18_EUlS17_E_NS1_11comp_targetILNS1_3genE8ELNS1_11target_archE1030ELNS1_3gpuE2ELNS1_3repE0EEENS1_30default_config_static_selectorELNS0_4arch9wavefront6targetE0EEEvT1_
		.amdhsa_group_segment_fixed_size 0
		.amdhsa_private_segment_fixed_size 0
		.amdhsa_kernarg_size 120
		.amdhsa_user_sgpr_count 15
		.amdhsa_user_sgpr_dispatch_ptr 0
		.amdhsa_user_sgpr_queue_ptr 0
		.amdhsa_user_sgpr_kernarg_segment_ptr 1
		.amdhsa_user_sgpr_dispatch_id 0
		.amdhsa_user_sgpr_private_segment_size 0
		.amdhsa_wavefront_size32 1
		.amdhsa_uses_dynamic_stack 0
		.amdhsa_enable_private_segment 0
		.amdhsa_system_sgpr_workgroup_id_x 1
		.amdhsa_system_sgpr_workgroup_id_y 0
		.amdhsa_system_sgpr_workgroup_id_z 0
		.amdhsa_system_sgpr_workgroup_info 0
		.amdhsa_system_vgpr_workitem_id 0
		.amdhsa_next_free_vgpr 1
		.amdhsa_next_free_sgpr 1
		.amdhsa_reserve_vcc 0
		.amdhsa_float_round_mode_32 0
		.amdhsa_float_round_mode_16_64 0
		.amdhsa_float_denorm_mode_32 3
		.amdhsa_float_denorm_mode_16_64 3
		.amdhsa_dx10_clamp 1
		.amdhsa_ieee_mode 1
		.amdhsa_fp16_overflow 0
		.amdhsa_workgroup_processor_mode 1
		.amdhsa_memory_ordered 1
		.amdhsa_forward_progress 0
		.amdhsa_shared_vgpr_count 0
		.amdhsa_exception_fp_ieee_invalid_op 0
		.amdhsa_exception_fp_denorm_src 0
		.amdhsa_exception_fp_ieee_div_zero 0
		.amdhsa_exception_fp_ieee_overflow 0
		.amdhsa_exception_fp_ieee_underflow 0
		.amdhsa_exception_fp_ieee_inexact 0
		.amdhsa_exception_int_div_zero 0
	.end_amdhsa_kernel
	.section	.text._ZN7rocprim17ROCPRIM_400000_NS6detail17trampoline_kernelINS0_14default_configENS1_25partition_config_selectorILNS1_17partition_subalgoE8ElNS0_10empty_typeEbEEZZNS1_14partition_implILS5_8ELb0ES3_jPlPS6_PKS6_NS0_5tupleIJS9_S6_EEENSD_IJSA_SA_EEENS0_18inequality_wrapperIZN2at6native12_GLOBAL__N_124unique_dim_cuda_templateIjEESt5tupleIJNSH_6TensorESM_SM_EERKSM_lbbbEUlllE0_EEPmJS6_EEE10hipError_tPvRmT3_T4_T5_T6_T7_T9_mT8_P12ihipStream_tbDpT10_ENKUlT_T0_E_clISt17integral_constantIbLb0EES1C_EEDaS17_S18_EUlS17_E_NS1_11comp_targetILNS1_3genE8ELNS1_11target_archE1030ELNS1_3gpuE2ELNS1_3repE0EEENS1_30default_config_static_selectorELNS0_4arch9wavefront6targetE0EEEvT1_,"axG",@progbits,_ZN7rocprim17ROCPRIM_400000_NS6detail17trampoline_kernelINS0_14default_configENS1_25partition_config_selectorILNS1_17partition_subalgoE8ElNS0_10empty_typeEbEEZZNS1_14partition_implILS5_8ELb0ES3_jPlPS6_PKS6_NS0_5tupleIJS9_S6_EEENSD_IJSA_SA_EEENS0_18inequality_wrapperIZN2at6native12_GLOBAL__N_124unique_dim_cuda_templateIjEESt5tupleIJNSH_6TensorESM_SM_EERKSM_lbbbEUlllE0_EEPmJS6_EEE10hipError_tPvRmT3_T4_T5_T6_T7_T9_mT8_P12ihipStream_tbDpT10_ENKUlT_T0_E_clISt17integral_constantIbLb0EES1C_EEDaS17_S18_EUlS17_E_NS1_11comp_targetILNS1_3genE8ELNS1_11target_archE1030ELNS1_3gpuE2ELNS1_3repE0EEENS1_30default_config_static_selectorELNS0_4arch9wavefront6targetE0EEEvT1_,comdat
.Lfunc_end1546:
	.size	_ZN7rocprim17ROCPRIM_400000_NS6detail17trampoline_kernelINS0_14default_configENS1_25partition_config_selectorILNS1_17partition_subalgoE8ElNS0_10empty_typeEbEEZZNS1_14partition_implILS5_8ELb0ES3_jPlPS6_PKS6_NS0_5tupleIJS9_S6_EEENSD_IJSA_SA_EEENS0_18inequality_wrapperIZN2at6native12_GLOBAL__N_124unique_dim_cuda_templateIjEESt5tupleIJNSH_6TensorESM_SM_EERKSM_lbbbEUlllE0_EEPmJS6_EEE10hipError_tPvRmT3_T4_T5_T6_T7_T9_mT8_P12ihipStream_tbDpT10_ENKUlT_T0_E_clISt17integral_constantIbLb0EES1C_EEDaS17_S18_EUlS17_E_NS1_11comp_targetILNS1_3genE8ELNS1_11target_archE1030ELNS1_3gpuE2ELNS1_3repE0EEENS1_30default_config_static_selectorELNS0_4arch9wavefront6targetE0EEEvT1_, .Lfunc_end1546-_ZN7rocprim17ROCPRIM_400000_NS6detail17trampoline_kernelINS0_14default_configENS1_25partition_config_selectorILNS1_17partition_subalgoE8ElNS0_10empty_typeEbEEZZNS1_14partition_implILS5_8ELb0ES3_jPlPS6_PKS6_NS0_5tupleIJS9_S6_EEENSD_IJSA_SA_EEENS0_18inequality_wrapperIZN2at6native12_GLOBAL__N_124unique_dim_cuda_templateIjEESt5tupleIJNSH_6TensorESM_SM_EERKSM_lbbbEUlllE0_EEPmJS6_EEE10hipError_tPvRmT3_T4_T5_T6_T7_T9_mT8_P12ihipStream_tbDpT10_ENKUlT_T0_E_clISt17integral_constantIbLb0EES1C_EEDaS17_S18_EUlS17_E_NS1_11comp_targetILNS1_3genE8ELNS1_11target_archE1030ELNS1_3gpuE2ELNS1_3repE0EEENS1_30default_config_static_selectorELNS0_4arch9wavefront6targetE0EEEvT1_
                                        ; -- End function
	.section	.AMDGPU.csdata,"",@progbits
; Kernel info:
; codeLenInByte = 0
; NumSgprs: 0
; NumVgprs: 0
; ScratchSize: 0
; MemoryBound: 0
; FloatMode: 240
; IeeeMode: 1
; LDSByteSize: 0 bytes/workgroup (compile time only)
; SGPRBlocks: 0
; VGPRBlocks: 0
; NumSGPRsForWavesPerEU: 1
; NumVGPRsForWavesPerEU: 1
; Occupancy: 16
; WaveLimiterHint : 0
; COMPUTE_PGM_RSRC2:SCRATCH_EN: 0
; COMPUTE_PGM_RSRC2:USER_SGPR: 15
; COMPUTE_PGM_RSRC2:TRAP_HANDLER: 0
; COMPUTE_PGM_RSRC2:TGID_X_EN: 1
; COMPUTE_PGM_RSRC2:TGID_Y_EN: 0
; COMPUTE_PGM_RSRC2:TGID_Z_EN: 0
; COMPUTE_PGM_RSRC2:TIDIG_COMP_CNT: 0
	.section	.text._ZN7rocprim17ROCPRIM_400000_NS6detail17trampoline_kernelINS0_14default_configENS1_25partition_config_selectorILNS1_17partition_subalgoE8ElNS0_10empty_typeEbEEZZNS1_14partition_implILS5_8ELb0ES3_jPlPS6_PKS6_NS0_5tupleIJS9_S6_EEENSD_IJSA_SA_EEENS0_18inequality_wrapperIZN2at6native12_GLOBAL__N_124unique_dim_cuda_templateIjEESt5tupleIJNSH_6TensorESM_SM_EERKSM_lbbbEUlllE0_EEPmJS6_EEE10hipError_tPvRmT3_T4_T5_T6_T7_T9_mT8_P12ihipStream_tbDpT10_ENKUlT_T0_E_clISt17integral_constantIbLb1EES1C_EEDaS17_S18_EUlS17_E_NS1_11comp_targetILNS1_3genE0ELNS1_11target_archE4294967295ELNS1_3gpuE0ELNS1_3repE0EEENS1_30default_config_static_selectorELNS0_4arch9wavefront6targetE0EEEvT1_,"axG",@progbits,_ZN7rocprim17ROCPRIM_400000_NS6detail17trampoline_kernelINS0_14default_configENS1_25partition_config_selectorILNS1_17partition_subalgoE8ElNS0_10empty_typeEbEEZZNS1_14partition_implILS5_8ELb0ES3_jPlPS6_PKS6_NS0_5tupleIJS9_S6_EEENSD_IJSA_SA_EEENS0_18inequality_wrapperIZN2at6native12_GLOBAL__N_124unique_dim_cuda_templateIjEESt5tupleIJNSH_6TensorESM_SM_EERKSM_lbbbEUlllE0_EEPmJS6_EEE10hipError_tPvRmT3_T4_T5_T6_T7_T9_mT8_P12ihipStream_tbDpT10_ENKUlT_T0_E_clISt17integral_constantIbLb1EES1C_EEDaS17_S18_EUlS17_E_NS1_11comp_targetILNS1_3genE0ELNS1_11target_archE4294967295ELNS1_3gpuE0ELNS1_3repE0EEENS1_30default_config_static_selectorELNS0_4arch9wavefront6targetE0EEEvT1_,comdat
	.globl	_ZN7rocprim17ROCPRIM_400000_NS6detail17trampoline_kernelINS0_14default_configENS1_25partition_config_selectorILNS1_17partition_subalgoE8ElNS0_10empty_typeEbEEZZNS1_14partition_implILS5_8ELb0ES3_jPlPS6_PKS6_NS0_5tupleIJS9_S6_EEENSD_IJSA_SA_EEENS0_18inequality_wrapperIZN2at6native12_GLOBAL__N_124unique_dim_cuda_templateIjEESt5tupleIJNSH_6TensorESM_SM_EERKSM_lbbbEUlllE0_EEPmJS6_EEE10hipError_tPvRmT3_T4_T5_T6_T7_T9_mT8_P12ihipStream_tbDpT10_ENKUlT_T0_E_clISt17integral_constantIbLb1EES1C_EEDaS17_S18_EUlS17_E_NS1_11comp_targetILNS1_3genE0ELNS1_11target_archE4294967295ELNS1_3gpuE0ELNS1_3repE0EEENS1_30default_config_static_selectorELNS0_4arch9wavefront6targetE0EEEvT1_ ; -- Begin function _ZN7rocprim17ROCPRIM_400000_NS6detail17trampoline_kernelINS0_14default_configENS1_25partition_config_selectorILNS1_17partition_subalgoE8ElNS0_10empty_typeEbEEZZNS1_14partition_implILS5_8ELb0ES3_jPlPS6_PKS6_NS0_5tupleIJS9_S6_EEENSD_IJSA_SA_EEENS0_18inequality_wrapperIZN2at6native12_GLOBAL__N_124unique_dim_cuda_templateIjEESt5tupleIJNSH_6TensorESM_SM_EERKSM_lbbbEUlllE0_EEPmJS6_EEE10hipError_tPvRmT3_T4_T5_T6_T7_T9_mT8_P12ihipStream_tbDpT10_ENKUlT_T0_E_clISt17integral_constantIbLb1EES1C_EEDaS17_S18_EUlS17_E_NS1_11comp_targetILNS1_3genE0ELNS1_11target_archE4294967295ELNS1_3gpuE0ELNS1_3repE0EEENS1_30default_config_static_selectorELNS0_4arch9wavefront6targetE0EEEvT1_
	.p2align	8
	.type	_ZN7rocprim17ROCPRIM_400000_NS6detail17trampoline_kernelINS0_14default_configENS1_25partition_config_selectorILNS1_17partition_subalgoE8ElNS0_10empty_typeEbEEZZNS1_14partition_implILS5_8ELb0ES3_jPlPS6_PKS6_NS0_5tupleIJS9_S6_EEENSD_IJSA_SA_EEENS0_18inequality_wrapperIZN2at6native12_GLOBAL__N_124unique_dim_cuda_templateIjEESt5tupleIJNSH_6TensorESM_SM_EERKSM_lbbbEUlllE0_EEPmJS6_EEE10hipError_tPvRmT3_T4_T5_T6_T7_T9_mT8_P12ihipStream_tbDpT10_ENKUlT_T0_E_clISt17integral_constantIbLb1EES1C_EEDaS17_S18_EUlS17_E_NS1_11comp_targetILNS1_3genE0ELNS1_11target_archE4294967295ELNS1_3gpuE0ELNS1_3repE0EEENS1_30default_config_static_selectorELNS0_4arch9wavefront6targetE0EEEvT1_,@function
_ZN7rocprim17ROCPRIM_400000_NS6detail17trampoline_kernelINS0_14default_configENS1_25partition_config_selectorILNS1_17partition_subalgoE8ElNS0_10empty_typeEbEEZZNS1_14partition_implILS5_8ELb0ES3_jPlPS6_PKS6_NS0_5tupleIJS9_S6_EEENSD_IJSA_SA_EEENS0_18inequality_wrapperIZN2at6native12_GLOBAL__N_124unique_dim_cuda_templateIjEESt5tupleIJNSH_6TensorESM_SM_EERKSM_lbbbEUlllE0_EEPmJS6_EEE10hipError_tPvRmT3_T4_T5_T6_T7_T9_mT8_P12ihipStream_tbDpT10_ENKUlT_T0_E_clISt17integral_constantIbLb1EES1C_EEDaS17_S18_EUlS17_E_NS1_11comp_targetILNS1_3genE0ELNS1_11target_archE4294967295ELNS1_3gpuE0ELNS1_3repE0EEENS1_30default_config_static_selectorELNS0_4arch9wavefront6targetE0EEEvT1_: ; @_ZN7rocprim17ROCPRIM_400000_NS6detail17trampoline_kernelINS0_14default_configENS1_25partition_config_selectorILNS1_17partition_subalgoE8ElNS0_10empty_typeEbEEZZNS1_14partition_implILS5_8ELb0ES3_jPlPS6_PKS6_NS0_5tupleIJS9_S6_EEENSD_IJSA_SA_EEENS0_18inequality_wrapperIZN2at6native12_GLOBAL__N_124unique_dim_cuda_templateIjEESt5tupleIJNSH_6TensorESM_SM_EERKSM_lbbbEUlllE0_EEPmJS6_EEE10hipError_tPvRmT3_T4_T5_T6_T7_T9_mT8_P12ihipStream_tbDpT10_ENKUlT_T0_E_clISt17integral_constantIbLb1EES1C_EEDaS17_S18_EUlS17_E_NS1_11comp_targetILNS1_3genE0ELNS1_11target_archE4294967295ELNS1_3gpuE0ELNS1_3repE0EEENS1_30default_config_static_selectorELNS0_4arch9wavefront6targetE0EEEvT1_
; %bb.0:
	.section	.rodata,"a",@progbits
	.p2align	6, 0x0
	.amdhsa_kernel _ZN7rocprim17ROCPRIM_400000_NS6detail17trampoline_kernelINS0_14default_configENS1_25partition_config_selectorILNS1_17partition_subalgoE8ElNS0_10empty_typeEbEEZZNS1_14partition_implILS5_8ELb0ES3_jPlPS6_PKS6_NS0_5tupleIJS9_S6_EEENSD_IJSA_SA_EEENS0_18inequality_wrapperIZN2at6native12_GLOBAL__N_124unique_dim_cuda_templateIjEESt5tupleIJNSH_6TensorESM_SM_EERKSM_lbbbEUlllE0_EEPmJS6_EEE10hipError_tPvRmT3_T4_T5_T6_T7_T9_mT8_P12ihipStream_tbDpT10_ENKUlT_T0_E_clISt17integral_constantIbLb1EES1C_EEDaS17_S18_EUlS17_E_NS1_11comp_targetILNS1_3genE0ELNS1_11target_archE4294967295ELNS1_3gpuE0ELNS1_3repE0EEENS1_30default_config_static_selectorELNS0_4arch9wavefront6targetE0EEEvT1_
		.amdhsa_group_segment_fixed_size 0
		.amdhsa_private_segment_fixed_size 0
		.amdhsa_kernarg_size 136
		.amdhsa_user_sgpr_count 15
		.amdhsa_user_sgpr_dispatch_ptr 0
		.amdhsa_user_sgpr_queue_ptr 0
		.amdhsa_user_sgpr_kernarg_segment_ptr 1
		.amdhsa_user_sgpr_dispatch_id 0
		.amdhsa_user_sgpr_private_segment_size 0
		.amdhsa_wavefront_size32 1
		.amdhsa_uses_dynamic_stack 0
		.amdhsa_enable_private_segment 0
		.amdhsa_system_sgpr_workgroup_id_x 1
		.amdhsa_system_sgpr_workgroup_id_y 0
		.amdhsa_system_sgpr_workgroup_id_z 0
		.amdhsa_system_sgpr_workgroup_info 0
		.amdhsa_system_vgpr_workitem_id 0
		.amdhsa_next_free_vgpr 1
		.amdhsa_next_free_sgpr 1
		.amdhsa_reserve_vcc 0
		.amdhsa_float_round_mode_32 0
		.amdhsa_float_round_mode_16_64 0
		.amdhsa_float_denorm_mode_32 3
		.amdhsa_float_denorm_mode_16_64 3
		.amdhsa_dx10_clamp 1
		.amdhsa_ieee_mode 1
		.amdhsa_fp16_overflow 0
		.amdhsa_workgroup_processor_mode 1
		.amdhsa_memory_ordered 1
		.amdhsa_forward_progress 0
		.amdhsa_shared_vgpr_count 0
		.amdhsa_exception_fp_ieee_invalid_op 0
		.amdhsa_exception_fp_denorm_src 0
		.amdhsa_exception_fp_ieee_div_zero 0
		.amdhsa_exception_fp_ieee_overflow 0
		.amdhsa_exception_fp_ieee_underflow 0
		.amdhsa_exception_fp_ieee_inexact 0
		.amdhsa_exception_int_div_zero 0
	.end_amdhsa_kernel
	.section	.text._ZN7rocprim17ROCPRIM_400000_NS6detail17trampoline_kernelINS0_14default_configENS1_25partition_config_selectorILNS1_17partition_subalgoE8ElNS0_10empty_typeEbEEZZNS1_14partition_implILS5_8ELb0ES3_jPlPS6_PKS6_NS0_5tupleIJS9_S6_EEENSD_IJSA_SA_EEENS0_18inequality_wrapperIZN2at6native12_GLOBAL__N_124unique_dim_cuda_templateIjEESt5tupleIJNSH_6TensorESM_SM_EERKSM_lbbbEUlllE0_EEPmJS6_EEE10hipError_tPvRmT3_T4_T5_T6_T7_T9_mT8_P12ihipStream_tbDpT10_ENKUlT_T0_E_clISt17integral_constantIbLb1EES1C_EEDaS17_S18_EUlS17_E_NS1_11comp_targetILNS1_3genE0ELNS1_11target_archE4294967295ELNS1_3gpuE0ELNS1_3repE0EEENS1_30default_config_static_selectorELNS0_4arch9wavefront6targetE0EEEvT1_,"axG",@progbits,_ZN7rocprim17ROCPRIM_400000_NS6detail17trampoline_kernelINS0_14default_configENS1_25partition_config_selectorILNS1_17partition_subalgoE8ElNS0_10empty_typeEbEEZZNS1_14partition_implILS5_8ELb0ES3_jPlPS6_PKS6_NS0_5tupleIJS9_S6_EEENSD_IJSA_SA_EEENS0_18inequality_wrapperIZN2at6native12_GLOBAL__N_124unique_dim_cuda_templateIjEESt5tupleIJNSH_6TensorESM_SM_EERKSM_lbbbEUlllE0_EEPmJS6_EEE10hipError_tPvRmT3_T4_T5_T6_T7_T9_mT8_P12ihipStream_tbDpT10_ENKUlT_T0_E_clISt17integral_constantIbLb1EES1C_EEDaS17_S18_EUlS17_E_NS1_11comp_targetILNS1_3genE0ELNS1_11target_archE4294967295ELNS1_3gpuE0ELNS1_3repE0EEENS1_30default_config_static_selectorELNS0_4arch9wavefront6targetE0EEEvT1_,comdat
.Lfunc_end1547:
	.size	_ZN7rocprim17ROCPRIM_400000_NS6detail17trampoline_kernelINS0_14default_configENS1_25partition_config_selectorILNS1_17partition_subalgoE8ElNS0_10empty_typeEbEEZZNS1_14partition_implILS5_8ELb0ES3_jPlPS6_PKS6_NS0_5tupleIJS9_S6_EEENSD_IJSA_SA_EEENS0_18inequality_wrapperIZN2at6native12_GLOBAL__N_124unique_dim_cuda_templateIjEESt5tupleIJNSH_6TensorESM_SM_EERKSM_lbbbEUlllE0_EEPmJS6_EEE10hipError_tPvRmT3_T4_T5_T6_T7_T9_mT8_P12ihipStream_tbDpT10_ENKUlT_T0_E_clISt17integral_constantIbLb1EES1C_EEDaS17_S18_EUlS17_E_NS1_11comp_targetILNS1_3genE0ELNS1_11target_archE4294967295ELNS1_3gpuE0ELNS1_3repE0EEENS1_30default_config_static_selectorELNS0_4arch9wavefront6targetE0EEEvT1_, .Lfunc_end1547-_ZN7rocprim17ROCPRIM_400000_NS6detail17trampoline_kernelINS0_14default_configENS1_25partition_config_selectorILNS1_17partition_subalgoE8ElNS0_10empty_typeEbEEZZNS1_14partition_implILS5_8ELb0ES3_jPlPS6_PKS6_NS0_5tupleIJS9_S6_EEENSD_IJSA_SA_EEENS0_18inequality_wrapperIZN2at6native12_GLOBAL__N_124unique_dim_cuda_templateIjEESt5tupleIJNSH_6TensorESM_SM_EERKSM_lbbbEUlllE0_EEPmJS6_EEE10hipError_tPvRmT3_T4_T5_T6_T7_T9_mT8_P12ihipStream_tbDpT10_ENKUlT_T0_E_clISt17integral_constantIbLb1EES1C_EEDaS17_S18_EUlS17_E_NS1_11comp_targetILNS1_3genE0ELNS1_11target_archE4294967295ELNS1_3gpuE0ELNS1_3repE0EEENS1_30default_config_static_selectorELNS0_4arch9wavefront6targetE0EEEvT1_
                                        ; -- End function
	.section	.AMDGPU.csdata,"",@progbits
; Kernel info:
; codeLenInByte = 0
; NumSgprs: 0
; NumVgprs: 0
; ScratchSize: 0
; MemoryBound: 0
; FloatMode: 240
; IeeeMode: 1
; LDSByteSize: 0 bytes/workgroup (compile time only)
; SGPRBlocks: 0
; VGPRBlocks: 0
; NumSGPRsForWavesPerEU: 1
; NumVGPRsForWavesPerEU: 1
; Occupancy: 16
; WaveLimiterHint : 0
; COMPUTE_PGM_RSRC2:SCRATCH_EN: 0
; COMPUTE_PGM_RSRC2:USER_SGPR: 15
; COMPUTE_PGM_RSRC2:TRAP_HANDLER: 0
; COMPUTE_PGM_RSRC2:TGID_X_EN: 1
; COMPUTE_PGM_RSRC2:TGID_Y_EN: 0
; COMPUTE_PGM_RSRC2:TGID_Z_EN: 0
; COMPUTE_PGM_RSRC2:TIDIG_COMP_CNT: 0
	.section	.text._ZN7rocprim17ROCPRIM_400000_NS6detail17trampoline_kernelINS0_14default_configENS1_25partition_config_selectorILNS1_17partition_subalgoE8ElNS0_10empty_typeEbEEZZNS1_14partition_implILS5_8ELb0ES3_jPlPS6_PKS6_NS0_5tupleIJS9_S6_EEENSD_IJSA_SA_EEENS0_18inequality_wrapperIZN2at6native12_GLOBAL__N_124unique_dim_cuda_templateIjEESt5tupleIJNSH_6TensorESM_SM_EERKSM_lbbbEUlllE0_EEPmJS6_EEE10hipError_tPvRmT3_T4_T5_T6_T7_T9_mT8_P12ihipStream_tbDpT10_ENKUlT_T0_E_clISt17integral_constantIbLb1EES1C_EEDaS17_S18_EUlS17_E_NS1_11comp_targetILNS1_3genE5ELNS1_11target_archE942ELNS1_3gpuE9ELNS1_3repE0EEENS1_30default_config_static_selectorELNS0_4arch9wavefront6targetE0EEEvT1_,"axG",@progbits,_ZN7rocprim17ROCPRIM_400000_NS6detail17trampoline_kernelINS0_14default_configENS1_25partition_config_selectorILNS1_17partition_subalgoE8ElNS0_10empty_typeEbEEZZNS1_14partition_implILS5_8ELb0ES3_jPlPS6_PKS6_NS0_5tupleIJS9_S6_EEENSD_IJSA_SA_EEENS0_18inequality_wrapperIZN2at6native12_GLOBAL__N_124unique_dim_cuda_templateIjEESt5tupleIJNSH_6TensorESM_SM_EERKSM_lbbbEUlllE0_EEPmJS6_EEE10hipError_tPvRmT3_T4_T5_T6_T7_T9_mT8_P12ihipStream_tbDpT10_ENKUlT_T0_E_clISt17integral_constantIbLb1EES1C_EEDaS17_S18_EUlS17_E_NS1_11comp_targetILNS1_3genE5ELNS1_11target_archE942ELNS1_3gpuE9ELNS1_3repE0EEENS1_30default_config_static_selectorELNS0_4arch9wavefront6targetE0EEEvT1_,comdat
	.globl	_ZN7rocprim17ROCPRIM_400000_NS6detail17trampoline_kernelINS0_14default_configENS1_25partition_config_selectorILNS1_17partition_subalgoE8ElNS0_10empty_typeEbEEZZNS1_14partition_implILS5_8ELb0ES3_jPlPS6_PKS6_NS0_5tupleIJS9_S6_EEENSD_IJSA_SA_EEENS0_18inequality_wrapperIZN2at6native12_GLOBAL__N_124unique_dim_cuda_templateIjEESt5tupleIJNSH_6TensorESM_SM_EERKSM_lbbbEUlllE0_EEPmJS6_EEE10hipError_tPvRmT3_T4_T5_T6_T7_T9_mT8_P12ihipStream_tbDpT10_ENKUlT_T0_E_clISt17integral_constantIbLb1EES1C_EEDaS17_S18_EUlS17_E_NS1_11comp_targetILNS1_3genE5ELNS1_11target_archE942ELNS1_3gpuE9ELNS1_3repE0EEENS1_30default_config_static_selectorELNS0_4arch9wavefront6targetE0EEEvT1_ ; -- Begin function _ZN7rocprim17ROCPRIM_400000_NS6detail17trampoline_kernelINS0_14default_configENS1_25partition_config_selectorILNS1_17partition_subalgoE8ElNS0_10empty_typeEbEEZZNS1_14partition_implILS5_8ELb0ES3_jPlPS6_PKS6_NS0_5tupleIJS9_S6_EEENSD_IJSA_SA_EEENS0_18inequality_wrapperIZN2at6native12_GLOBAL__N_124unique_dim_cuda_templateIjEESt5tupleIJNSH_6TensorESM_SM_EERKSM_lbbbEUlllE0_EEPmJS6_EEE10hipError_tPvRmT3_T4_T5_T6_T7_T9_mT8_P12ihipStream_tbDpT10_ENKUlT_T0_E_clISt17integral_constantIbLb1EES1C_EEDaS17_S18_EUlS17_E_NS1_11comp_targetILNS1_3genE5ELNS1_11target_archE942ELNS1_3gpuE9ELNS1_3repE0EEENS1_30default_config_static_selectorELNS0_4arch9wavefront6targetE0EEEvT1_
	.p2align	8
	.type	_ZN7rocprim17ROCPRIM_400000_NS6detail17trampoline_kernelINS0_14default_configENS1_25partition_config_selectorILNS1_17partition_subalgoE8ElNS0_10empty_typeEbEEZZNS1_14partition_implILS5_8ELb0ES3_jPlPS6_PKS6_NS0_5tupleIJS9_S6_EEENSD_IJSA_SA_EEENS0_18inequality_wrapperIZN2at6native12_GLOBAL__N_124unique_dim_cuda_templateIjEESt5tupleIJNSH_6TensorESM_SM_EERKSM_lbbbEUlllE0_EEPmJS6_EEE10hipError_tPvRmT3_T4_T5_T6_T7_T9_mT8_P12ihipStream_tbDpT10_ENKUlT_T0_E_clISt17integral_constantIbLb1EES1C_EEDaS17_S18_EUlS17_E_NS1_11comp_targetILNS1_3genE5ELNS1_11target_archE942ELNS1_3gpuE9ELNS1_3repE0EEENS1_30default_config_static_selectorELNS0_4arch9wavefront6targetE0EEEvT1_,@function
_ZN7rocprim17ROCPRIM_400000_NS6detail17trampoline_kernelINS0_14default_configENS1_25partition_config_selectorILNS1_17partition_subalgoE8ElNS0_10empty_typeEbEEZZNS1_14partition_implILS5_8ELb0ES3_jPlPS6_PKS6_NS0_5tupleIJS9_S6_EEENSD_IJSA_SA_EEENS0_18inequality_wrapperIZN2at6native12_GLOBAL__N_124unique_dim_cuda_templateIjEESt5tupleIJNSH_6TensorESM_SM_EERKSM_lbbbEUlllE0_EEPmJS6_EEE10hipError_tPvRmT3_T4_T5_T6_T7_T9_mT8_P12ihipStream_tbDpT10_ENKUlT_T0_E_clISt17integral_constantIbLb1EES1C_EEDaS17_S18_EUlS17_E_NS1_11comp_targetILNS1_3genE5ELNS1_11target_archE942ELNS1_3gpuE9ELNS1_3repE0EEENS1_30default_config_static_selectorELNS0_4arch9wavefront6targetE0EEEvT1_: ; @_ZN7rocprim17ROCPRIM_400000_NS6detail17trampoline_kernelINS0_14default_configENS1_25partition_config_selectorILNS1_17partition_subalgoE8ElNS0_10empty_typeEbEEZZNS1_14partition_implILS5_8ELb0ES3_jPlPS6_PKS6_NS0_5tupleIJS9_S6_EEENSD_IJSA_SA_EEENS0_18inequality_wrapperIZN2at6native12_GLOBAL__N_124unique_dim_cuda_templateIjEESt5tupleIJNSH_6TensorESM_SM_EERKSM_lbbbEUlllE0_EEPmJS6_EEE10hipError_tPvRmT3_T4_T5_T6_T7_T9_mT8_P12ihipStream_tbDpT10_ENKUlT_T0_E_clISt17integral_constantIbLb1EES1C_EEDaS17_S18_EUlS17_E_NS1_11comp_targetILNS1_3genE5ELNS1_11target_archE942ELNS1_3gpuE9ELNS1_3repE0EEENS1_30default_config_static_selectorELNS0_4arch9wavefront6targetE0EEEvT1_
; %bb.0:
	.section	.rodata,"a",@progbits
	.p2align	6, 0x0
	.amdhsa_kernel _ZN7rocprim17ROCPRIM_400000_NS6detail17trampoline_kernelINS0_14default_configENS1_25partition_config_selectorILNS1_17partition_subalgoE8ElNS0_10empty_typeEbEEZZNS1_14partition_implILS5_8ELb0ES3_jPlPS6_PKS6_NS0_5tupleIJS9_S6_EEENSD_IJSA_SA_EEENS0_18inequality_wrapperIZN2at6native12_GLOBAL__N_124unique_dim_cuda_templateIjEESt5tupleIJNSH_6TensorESM_SM_EERKSM_lbbbEUlllE0_EEPmJS6_EEE10hipError_tPvRmT3_T4_T5_T6_T7_T9_mT8_P12ihipStream_tbDpT10_ENKUlT_T0_E_clISt17integral_constantIbLb1EES1C_EEDaS17_S18_EUlS17_E_NS1_11comp_targetILNS1_3genE5ELNS1_11target_archE942ELNS1_3gpuE9ELNS1_3repE0EEENS1_30default_config_static_selectorELNS0_4arch9wavefront6targetE0EEEvT1_
		.amdhsa_group_segment_fixed_size 0
		.amdhsa_private_segment_fixed_size 0
		.amdhsa_kernarg_size 136
		.amdhsa_user_sgpr_count 15
		.amdhsa_user_sgpr_dispatch_ptr 0
		.amdhsa_user_sgpr_queue_ptr 0
		.amdhsa_user_sgpr_kernarg_segment_ptr 1
		.amdhsa_user_sgpr_dispatch_id 0
		.amdhsa_user_sgpr_private_segment_size 0
		.amdhsa_wavefront_size32 1
		.amdhsa_uses_dynamic_stack 0
		.amdhsa_enable_private_segment 0
		.amdhsa_system_sgpr_workgroup_id_x 1
		.amdhsa_system_sgpr_workgroup_id_y 0
		.amdhsa_system_sgpr_workgroup_id_z 0
		.amdhsa_system_sgpr_workgroup_info 0
		.amdhsa_system_vgpr_workitem_id 0
		.amdhsa_next_free_vgpr 1
		.amdhsa_next_free_sgpr 1
		.amdhsa_reserve_vcc 0
		.amdhsa_float_round_mode_32 0
		.amdhsa_float_round_mode_16_64 0
		.amdhsa_float_denorm_mode_32 3
		.amdhsa_float_denorm_mode_16_64 3
		.amdhsa_dx10_clamp 1
		.amdhsa_ieee_mode 1
		.amdhsa_fp16_overflow 0
		.amdhsa_workgroup_processor_mode 1
		.amdhsa_memory_ordered 1
		.amdhsa_forward_progress 0
		.amdhsa_shared_vgpr_count 0
		.amdhsa_exception_fp_ieee_invalid_op 0
		.amdhsa_exception_fp_denorm_src 0
		.amdhsa_exception_fp_ieee_div_zero 0
		.amdhsa_exception_fp_ieee_overflow 0
		.amdhsa_exception_fp_ieee_underflow 0
		.amdhsa_exception_fp_ieee_inexact 0
		.amdhsa_exception_int_div_zero 0
	.end_amdhsa_kernel
	.section	.text._ZN7rocprim17ROCPRIM_400000_NS6detail17trampoline_kernelINS0_14default_configENS1_25partition_config_selectorILNS1_17partition_subalgoE8ElNS0_10empty_typeEbEEZZNS1_14partition_implILS5_8ELb0ES3_jPlPS6_PKS6_NS0_5tupleIJS9_S6_EEENSD_IJSA_SA_EEENS0_18inequality_wrapperIZN2at6native12_GLOBAL__N_124unique_dim_cuda_templateIjEESt5tupleIJNSH_6TensorESM_SM_EERKSM_lbbbEUlllE0_EEPmJS6_EEE10hipError_tPvRmT3_T4_T5_T6_T7_T9_mT8_P12ihipStream_tbDpT10_ENKUlT_T0_E_clISt17integral_constantIbLb1EES1C_EEDaS17_S18_EUlS17_E_NS1_11comp_targetILNS1_3genE5ELNS1_11target_archE942ELNS1_3gpuE9ELNS1_3repE0EEENS1_30default_config_static_selectorELNS0_4arch9wavefront6targetE0EEEvT1_,"axG",@progbits,_ZN7rocprim17ROCPRIM_400000_NS6detail17trampoline_kernelINS0_14default_configENS1_25partition_config_selectorILNS1_17partition_subalgoE8ElNS0_10empty_typeEbEEZZNS1_14partition_implILS5_8ELb0ES3_jPlPS6_PKS6_NS0_5tupleIJS9_S6_EEENSD_IJSA_SA_EEENS0_18inequality_wrapperIZN2at6native12_GLOBAL__N_124unique_dim_cuda_templateIjEESt5tupleIJNSH_6TensorESM_SM_EERKSM_lbbbEUlllE0_EEPmJS6_EEE10hipError_tPvRmT3_T4_T5_T6_T7_T9_mT8_P12ihipStream_tbDpT10_ENKUlT_T0_E_clISt17integral_constantIbLb1EES1C_EEDaS17_S18_EUlS17_E_NS1_11comp_targetILNS1_3genE5ELNS1_11target_archE942ELNS1_3gpuE9ELNS1_3repE0EEENS1_30default_config_static_selectorELNS0_4arch9wavefront6targetE0EEEvT1_,comdat
.Lfunc_end1548:
	.size	_ZN7rocprim17ROCPRIM_400000_NS6detail17trampoline_kernelINS0_14default_configENS1_25partition_config_selectorILNS1_17partition_subalgoE8ElNS0_10empty_typeEbEEZZNS1_14partition_implILS5_8ELb0ES3_jPlPS6_PKS6_NS0_5tupleIJS9_S6_EEENSD_IJSA_SA_EEENS0_18inequality_wrapperIZN2at6native12_GLOBAL__N_124unique_dim_cuda_templateIjEESt5tupleIJNSH_6TensorESM_SM_EERKSM_lbbbEUlllE0_EEPmJS6_EEE10hipError_tPvRmT3_T4_T5_T6_T7_T9_mT8_P12ihipStream_tbDpT10_ENKUlT_T0_E_clISt17integral_constantIbLb1EES1C_EEDaS17_S18_EUlS17_E_NS1_11comp_targetILNS1_3genE5ELNS1_11target_archE942ELNS1_3gpuE9ELNS1_3repE0EEENS1_30default_config_static_selectorELNS0_4arch9wavefront6targetE0EEEvT1_, .Lfunc_end1548-_ZN7rocprim17ROCPRIM_400000_NS6detail17trampoline_kernelINS0_14default_configENS1_25partition_config_selectorILNS1_17partition_subalgoE8ElNS0_10empty_typeEbEEZZNS1_14partition_implILS5_8ELb0ES3_jPlPS6_PKS6_NS0_5tupleIJS9_S6_EEENSD_IJSA_SA_EEENS0_18inequality_wrapperIZN2at6native12_GLOBAL__N_124unique_dim_cuda_templateIjEESt5tupleIJNSH_6TensorESM_SM_EERKSM_lbbbEUlllE0_EEPmJS6_EEE10hipError_tPvRmT3_T4_T5_T6_T7_T9_mT8_P12ihipStream_tbDpT10_ENKUlT_T0_E_clISt17integral_constantIbLb1EES1C_EEDaS17_S18_EUlS17_E_NS1_11comp_targetILNS1_3genE5ELNS1_11target_archE942ELNS1_3gpuE9ELNS1_3repE0EEENS1_30default_config_static_selectorELNS0_4arch9wavefront6targetE0EEEvT1_
                                        ; -- End function
	.section	.AMDGPU.csdata,"",@progbits
; Kernel info:
; codeLenInByte = 0
; NumSgprs: 0
; NumVgprs: 0
; ScratchSize: 0
; MemoryBound: 0
; FloatMode: 240
; IeeeMode: 1
; LDSByteSize: 0 bytes/workgroup (compile time only)
; SGPRBlocks: 0
; VGPRBlocks: 0
; NumSGPRsForWavesPerEU: 1
; NumVGPRsForWavesPerEU: 1
; Occupancy: 16
; WaveLimiterHint : 0
; COMPUTE_PGM_RSRC2:SCRATCH_EN: 0
; COMPUTE_PGM_RSRC2:USER_SGPR: 15
; COMPUTE_PGM_RSRC2:TRAP_HANDLER: 0
; COMPUTE_PGM_RSRC2:TGID_X_EN: 1
; COMPUTE_PGM_RSRC2:TGID_Y_EN: 0
; COMPUTE_PGM_RSRC2:TGID_Z_EN: 0
; COMPUTE_PGM_RSRC2:TIDIG_COMP_CNT: 0
	.section	.text._ZN7rocprim17ROCPRIM_400000_NS6detail17trampoline_kernelINS0_14default_configENS1_25partition_config_selectorILNS1_17partition_subalgoE8ElNS0_10empty_typeEbEEZZNS1_14partition_implILS5_8ELb0ES3_jPlPS6_PKS6_NS0_5tupleIJS9_S6_EEENSD_IJSA_SA_EEENS0_18inequality_wrapperIZN2at6native12_GLOBAL__N_124unique_dim_cuda_templateIjEESt5tupleIJNSH_6TensorESM_SM_EERKSM_lbbbEUlllE0_EEPmJS6_EEE10hipError_tPvRmT3_T4_T5_T6_T7_T9_mT8_P12ihipStream_tbDpT10_ENKUlT_T0_E_clISt17integral_constantIbLb1EES1C_EEDaS17_S18_EUlS17_E_NS1_11comp_targetILNS1_3genE4ELNS1_11target_archE910ELNS1_3gpuE8ELNS1_3repE0EEENS1_30default_config_static_selectorELNS0_4arch9wavefront6targetE0EEEvT1_,"axG",@progbits,_ZN7rocprim17ROCPRIM_400000_NS6detail17trampoline_kernelINS0_14default_configENS1_25partition_config_selectorILNS1_17partition_subalgoE8ElNS0_10empty_typeEbEEZZNS1_14partition_implILS5_8ELb0ES3_jPlPS6_PKS6_NS0_5tupleIJS9_S6_EEENSD_IJSA_SA_EEENS0_18inequality_wrapperIZN2at6native12_GLOBAL__N_124unique_dim_cuda_templateIjEESt5tupleIJNSH_6TensorESM_SM_EERKSM_lbbbEUlllE0_EEPmJS6_EEE10hipError_tPvRmT3_T4_T5_T6_T7_T9_mT8_P12ihipStream_tbDpT10_ENKUlT_T0_E_clISt17integral_constantIbLb1EES1C_EEDaS17_S18_EUlS17_E_NS1_11comp_targetILNS1_3genE4ELNS1_11target_archE910ELNS1_3gpuE8ELNS1_3repE0EEENS1_30default_config_static_selectorELNS0_4arch9wavefront6targetE0EEEvT1_,comdat
	.globl	_ZN7rocprim17ROCPRIM_400000_NS6detail17trampoline_kernelINS0_14default_configENS1_25partition_config_selectorILNS1_17partition_subalgoE8ElNS0_10empty_typeEbEEZZNS1_14partition_implILS5_8ELb0ES3_jPlPS6_PKS6_NS0_5tupleIJS9_S6_EEENSD_IJSA_SA_EEENS0_18inequality_wrapperIZN2at6native12_GLOBAL__N_124unique_dim_cuda_templateIjEESt5tupleIJNSH_6TensorESM_SM_EERKSM_lbbbEUlllE0_EEPmJS6_EEE10hipError_tPvRmT3_T4_T5_T6_T7_T9_mT8_P12ihipStream_tbDpT10_ENKUlT_T0_E_clISt17integral_constantIbLb1EES1C_EEDaS17_S18_EUlS17_E_NS1_11comp_targetILNS1_3genE4ELNS1_11target_archE910ELNS1_3gpuE8ELNS1_3repE0EEENS1_30default_config_static_selectorELNS0_4arch9wavefront6targetE0EEEvT1_ ; -- Begin function _ZN7rocprim17ROCPRIM_400000_NS6detail17trampoline_kernelINS0_14default_configENS1_25partition_config_selectorILNS1_17partition_subalgoE8ElNS0_10empty_typeEbEEZZNS1_14partition_implILS5_8ELb0ES3_jPlPS6_PKS6_NS0_5tupleIJS9_S6_EEENSD_IJSA_SA_EEENS0_18inequality_wrapperIZN2at6native12_GLOBAL__N_124unique_dim_cuda_templateIjEESt5tupleIJNSH_6TensorESM_SM_EERKSM_lbbbEUlllE0_EEPmJS6_EEE10hipError_tPvRmT3_T4_T5_T6_T7_T9_mT8_P12ihipStream_tbDpT10_ENKUlT_T0_E_clISt17integral_constantIbLb1EES1C_EEDaS17_S18_EUlS17_E_NS1_11comp_targetILNS1_3genE4ELNS1_11target_archE910ELNS1_3gpuE8ELNS1_3repE0EEENS1_30default_config_static_selectorELNS0_4arch9wavefront6targetE0EEEvT1_
	.p2align	8
	.type	_ZN7rocprim17ROCPRIM_400000_NS6detail17trampoline_kernelINS0_14default_configENS1_25partition_config_selectorILNS1_17partition_subalgoE8ElNS0_10empty_typeEbEEZZNS1_14partition_implILS5_8ELb0ES3_jPlPS6_PKS6_NS0_5tupleIJS9_S6_EEENSD_IJSA_SA_EEENS0_18inequality_wrapperIZN2at6native12_GLOBAL__N_124unique_dim_cuda_templateIjEESt5tupleIJNSH_6TensorESM_SM_EERKSM_lbbbEUlllE0_EEPmJS6_EEE10hipError_tPvRmT3_T4_T5_T6_T7_T9_mT8_P12ihipStream_tbDpT10_ENKUlT_T0_E_clISt17integral_constantIbLb1EES1C_EEDaS17_S18_EUlS17_E_NS1_11comp_targetILNS1_3genE4ELNS1_11target_archE910ELNS1_3gpuE8ELNS1_3repE0EEENS1_30default_config_static_selectorELNS0_4arch9wavefront6targetE0EEEvT1_,@function
_ZN7rocprim17ROCPRIM_400000_NS6detail17trampoline_kernelINS0_14default_configENS1_25partition_config_selectorILNS1_17partition_subalgoE8ElNS0_10empty_typeEbEEZZNS1_14partition_implILS5_8ELb0ES3_jPlPS6_PKS6_NS0_5tupleIJS9_S6_EEENSD_IJSA_SA_EEENS0_18inequality_wrapperIZN2at6native12_GLOBAL__N_124unique_dim_cuda_templateIjEESt5tupleIJNSH_6TensorESM_SM_EERKSM_lbbbEUlllE0_EEPmJS6_EEE10hipError_tPvRmT3_T4_T5_T6_T7_T9_mT8_P12ihipStream_tbDpT10_ENKUlT_T0_E_clISt17integral_constantIbLb1EES1C_EEDaS17_S18_EUlS17_E_NS1_11comp_targetILNS1_3genE4ELNS1_11target_archE910ELNS1_3gpuE8ELNS1_3repE0EEENS1_30default_config_static_selectorELNS0_4arch9wavefront6targetE0EEEvT1_: ; @_ZN7rocprim17ROCPRIM_400000_NS6detail17trampoline_kernelINS0_14default_configENS1_25partition_config_selectorILNS1_17partition_subalgoE8ElNS0_10empty_typeEbEEZZNS1_14partition_implILS5_8ELb0ES3_jPlPS6_PKS6_NS0_5tupleIJS9_S6_EEENSD_IJSA_SA_EEENS0_18inequality_wrapperIZN2at6native12_GLOBAL__N_124unique_dim_cuda_templateIjEESt5tupleIJNSH_6TensorESM_SM_EERKSM_lbbbEUlllE0_EEPmJS6_EEE10hipError_tPvRmT3_T4_T5_T6_T7_T9_mT8_P12ihipStream_tbDpT10_ENKUlT_T0_E_clISt17integral_constantIbLb1EES1C_EEDaS17_S18_EUlS17_E_NS1_11comp_targetILNS1_3genE4ELNS1_11target_archE910ELNS1_3gpuE8ELNS1_3repE0EEENS1_30default_config_static_selectorELNS0_4arch9wavefront6targetE0EEEvT1_
; %bb.0:
	.section	.rodata,"a",@progbits
	.p2align	6, 0x0
	.amdhsa_kernel _ZN7rocprim17ROCPRIM_400000_NS6detail17trampoline_kernelINS0_14default_configENS1_25partition_config_selectorILNS1_17partition_subalgoE8ElNS0_10empty_typeEbEEZZNS1_14partition_implILS5_8ELb0ES3_jPlPS6_PKS6_NS0_5tupleIJS9_S6_EEENSD_IJSA_SA_EEENS0_18inequality_wrapperIZN2at6native12_GLOBAL__N_124unique_dim_cuda_templateIjEESt5tupleIJNSH_6TensorESM_SM_EERKSM_lbbbEUlllE0_EEPmJS6_EEE10hipError_tPvRmT3_T4_T5_T6_T7_T9_mT8_P12ihipStream_tbDpT10_ENKUlT_T0_E_clISt17integral_constantIbLb1EES1C_EEDaS17_S18_EUlS17_E_NS1_11comp_targetILNS1_3genE4ELNS1_11target_archE910ELNS1_3gpuE8ELNS1_3repE0EEENS1_30default_config_static_selectorELNS0_4arch9wavefront6targetE0EEEvT1_
		.amdhsa_group_segment_fixed_size 0
		.amdhsa_private_segment_fixed_size 0
		.amdhsa_kernarg_size 136
		.amdhsa_user_sgpr_count 15
		.amdhsa_user_sgpr_dispatch_ptr 0
		.amdhsa_user_sgpr_queue_ptr 0
		.amdhsa_user_sgpr_kernarg_segment_ptr 1
		.amdhsa_user_sgpr_dispatch_id 0
		.amdhsa_user_sgpr_private_segment_size 0
		.amdhsa_wavefront_size32 1
		.amdhsa_uses_dynamic_stack 0
		.amdhsa_enable_private_segment 0
		.amdhsa_system_sgpr_workgroup_id_x 1
		.amdhsa_system_sgpr_workgroup_id_y 0
		.amdhsa_system_sgpr_workgroup_id_z 0
		.amdhsa_system_sgpr_workgroup_info 0
		.amdhsa_system_vgpr_workitem_id 0
		.amdhsa_next_free_vgpr 1
		.amdhsa_next_free_sgpr 1
		.amdhsa_reserve_vcc 0
		.amdhsa_float_round_mode_32 0
		.amdhsa_float_round_mode_16_64 0
		.amdhsa_float_denorm_mode_32 3
		.amdhsa_float_denorm_mode_16_64 3
		.amdhsa_dx10_clamp 1
		.amdhsa_ieee_mode 1
		.amdhsa_fp16_overflow 0
		.amdhsa_workgroup_processor_mode 1
		.amdhsa_memory_ordered 1
		.amdhsa_forward_progress 0
		.amdhsa_shared_vgpr_count 0
		.amdhsa_exception_fp_ieee_invalid_op 0
		.amdhsa_exception_fp_denorm_src 0
		.amdhsa_exception_fp_ieee_div_zero 0
		.amdhsa_exception_fp_ieee_overflow 0
		.amdhsa_exception_fp_ieee_underflow 0
		.amdhsa_exception_fp_ieee_inexact 0
		.amdhsa_exception_int_div_zero 0
	.end_amdhsa_kernel
	.section	.text._ZN7rocprim17ROCPRIM_400000_NS6detail17trampoline_kernelINS0_14default_configENS1_25partition_config_selectorILNS1_17partition_subalgoE8ElNS0_10empty_typeEbEEZZNS1_14partition_implILS5_8ELb0ES3_jPlPS6_PKS6_NS0_5tupleIJS9_S6_EEENSD_IJSA_SA_EEENS0_18inequality_wrapperIZN2at6native12_GLOBAL__N_124unique_dim_cuda_templateIjEESt5tupleIJNSH_6TensorESM_SM_EERKSM_lbbbEUlllE0_EEPmJS6_EEE10hipError_tPvRmT3_T4_T5_T6_T7_T9_mT8_P12ihipStream_tbDpT10_ENKUlT_T0_E_clISt17integral_constantIbLb1EES1C_EEDaS17_S18_EUlS17_E_NS1_11comp_targetILNS1_3genE4ELNS1_11target_archE910ELNS1_3gpuE8ELNS1_3repE0EEENS1_30default_config_static_selectorELNS0_4arch9wavefront6targetE0EEEvT1_,"axG",@progbits,_ZN7rocprim17ROCPRIM_400000_NS6detail17trampoline_kernelINS0_14default_configENS1_25partition_config_selectorILNS1_17partition_subalgoE8ElNS0_10empty_typeEbEEZZNS1_14partition_implILS5_8ELb0ES3_jPlPS6_PKS6_NS0_5tupleIJS9_S6_EEENSD_IJSA_SA_EEENS0_18inequality_wrapperIZN2at6native12_GLOBAL__N_124unique_dim_cuda_templateIjEESt5tupleIJNSH_6TensorESM_SM_EERKSM_lbbbEUlllE0_EEPmJS6_EEE10hipError_tPvRmT3_T4_T5_T6_T7_T9_mT8_P12ihipStream_tbDpT10_ENKUlT_T0_E_clISt17integral_constantIbLb1EES1C_EEDaS17_S18_EUlS17_E_NS1_11comp_targetILNS1_3genE4ELNS1_11target_archE910ELNS1_3gpuE8ELNS1_3repE0EEENS1_30default_config_static_selectorELNS0_4arch9wavefront6targetE0EEEvT1_,comdat
.Lfunc_end1549:
	.size	_ZN7rocprim17ROCPRIM_400000_NS6detail17trampoline_kernelINS0_14default_configENS1_25partition_config_selectorILNS1_17partition_subalgoE8ElNS0_10empty_typeEbEEZZNS1_14partition_implILS5_8ELb0ES3_jPlPS6_PKS6_NS0_5tupleIJS9_S6_EEENSD_IJSA_SA_EEENS0_18inequality_wrapperIZN2at6native12_GLOBAL__N_124unique_dim_cuda_templateIjEESt5tupleIJNSH_6TensorESM_SM_EERKSM_lbbbEUlllE0_EEPmJS6_EEE10hipError_tPvRmT3_T4_T5_T6_T7_T9_mT8_P12ihipStream_tbDpT10_ENKUlT_T0_E_clISt17integral_constantIbLb1EES1C_EEDaS17_S18_EUlS17_E_NS1_11comp_targetILNS1_3genE4ELNS1_11target_archE910ELNS1_3gpuE8ELNS1_3repE0EEENS1_30default_config_static_selectorELNS0_4arch9wavefront6targetE0EEEvT1_, .Lfunc_end1549-_ZN7rocprim17ROCPRIM_400000_NS6detail17trampoline_kernelINS0_14default_configENS1_25partition_config_selectorILNS1_17partition_subalgoE8ElNS0_10empty_typeEbEEZZNS1_14partition_implILS5_8ELb0ES3_jPlPS6_PKS6_NS0_5tupleIJS9_S6_EEENSD_IJSA_SA_EEENS0_18inequality_wrapperIZN2at6native12_GLOBAL__N_124unique_dim_cuda_templateIjEESt5tupleIJNSH_6TensorESM_SM_EERKSM_lbbbEUlllE0_EEPmJS6_EEE10hipError_tPvRmT3_T4_T5_T6_T7_T9_mT8_P12ihipStream_tbDpT10_ENKUlT_T0_E_clISt17integral_constantIbLb1EES1C_EEDaS17_S18_EUlS17_E_NS1_11comp_targetILNS1_3genE4ELNS1_11target_archE910ELNS1_3gpuE8ELNS1_3repE0EEENS1_30default_config_static_selectorELNS0_4arch9wavefront6targetE0EEEvT1_
                                        ; -- End function
	.section	.AMDGPU.csdata,"",@progbits
; Kernel info:
; codeLenInByte = 0
; NumSgprs: 0
; NumVgprs: 0
; ScratchSize: 0
; MemoryBound: 0
; FloatMode: 240
; IeeeMode: 1
; LDSByteSize: 0 bytes/workgroup (compile time only)
; SGPRBlocks: 0
; VGPRBlocks: 0
; NumSGPRsForWavesPerEU: 1
; NumVGPRsForWavesPerEU: 1
; Occupancy: 16
; WaveLimiterHint : 0
; COMPUTE_PGM_RSRC2:SCRATCH_EN: 0
; COMPUTE_PGM_RSRC2:USER_SGPR: 15
; COMPUTE_PGM_RSRC2:TRAP_HANDLER: 0
; COMPUTE_PGM_RSRC2:TGID_X_EN: 1
; COMPUTE_PGM_RSRC2:TGID_Y_EN: 0
; COMPUTE_PGM_RSRC2:TGID_Z_EN: 0
; COMPUTE_PGM_RSRC2:TIDIG_COMP_CNT: 0
	.section	.text._ZN7rocprim17ROCPRIM_400000_NS6detail17trampoline_kernelINS0_14default_configENS1_25partition_config_selectorILNS1_17partition_subalgoE8ElNS0_10empty_typeEbEEZZNS1_14partition_implILS5_8ELb0ES3_jPlPS6_PKS6_NS0_5tupleIJS9_S6_EEENSD_IJSA_SA_EEENS0_18inequality_wrapperIZN2at6native12_GLOBAL__N_124unique_dim_cuda_templateIjEESt5tupleIJNSH_6TensorESM_SM_EERKSM_lbbbEUlllE0_EEPmJS6_EEE10hipError_tPvRmT3_T4_T5_T6_T7_T9_mT8_P12ihipStream_tbDpT10_ENKUlT_T0_E_clISt17integral_constantIbLb1EES1C_EEDaS17_S18_EUlS17_E_NS1_11comp_targetILNS1_3genE3ELNS1_11target_archE908ELNS1_3gpuE7ELNS1_3repE0EEENS1_30default_config_static_selectorELNS0_4arch9wavefront6targetE0EEEvT1_,"axG",@progbits,_ZN7rocprim17ROCPRIM_400000_NS6detail17trampoline_kernelINS0_14default_configENS1_25partition_config_selectorILNS1_17partition_subalgoE8ElNS0_10empty_typeEbEEZZNS1_14partition_implILS5_8ELb0ES3_jPlPS6_PKS6_NS0_5tupleIJS9_S6_EEENSD_IJSA_SA_EEENS0_18inequality_wrapperIZN2at6native12_GLOBAL__N_124unique_dim_cuda_templateIjEESt5tupleIJNSH_6TensorESM_SM_EERKSM_lbbbEUlllE0_EEPmJS6_EEE10hipError_tPvRmT3_T4_T5_T6_T7_T9_mT8_P12ihipStream_tbDpT10_ENKUlT_T0_E_clISt17integral_constantIbLb1EES1C_EEDaS17_S18_EUlS17_E_NS1_11comp_targetILNS1_3genE3ELNS1_11target_archE908ELNS1_3gpuE7ELNS1_3repE0EEENS1_30default_config_static_selectorELNS0_4arch9wavefront6targetE0EEEvT1_,comdat
	.globl	_ZN7rocprim17ROCPRIM_400000_NS6detail17trampoline_kernelINS0_14default_configENS1_25partition_config_selectorILNS1_17partition_subalgoE8ElNS0_10empty_typeEbEEZZNS1_14partition_implILS5_8ELb0ES3_jPlPS6_PKS6_NS0_5tupleIJS9_S6_EEENSD_IJSA_SA_EEENS0_18inequality_wrapperIZN2at6native12_GLOBAL__N_124unique_dim_cuda_templateIjEESt5tupleIJNSH_6TensorESM_SM_EERKSM_lbbbEUlllE0_EEPmJS6_EEE10hipError_tPvRmT3_T4_T5_T6_T7_T9_mT8_P12ihipStream_tbDpT10_ENKUlT_T0_E_clISt17integral_constantIbLb1EES1C_EEDaS17_S18_EUlS17_E_NS1_11comp_targetILNS1_3genE3ELNS1_11target_archE908ELNS1_3gpuE7ELNS1_3repE0EEENS1_30default_config_static_selectorELNS0_4arch9wavefront6targetE0EEEvT1_ ; -- Begin function _ZN7rocprim17ROCPRIM_400000_NS6detail17trampoline_kernelINS0_14default_configENS1_25partition_config_selectorILNS1_17partition_subalgoE8ElNS0_10empty_typeEbEEZZNS1_14partition_implILS5_8ELb0ES3_jPlPS6_PKS6_NS0_5tupleIJS9_S6_EEENSD_IJSA_SA_EEENS0_18inequality_wrapperIZN2at6native12_GLOBAL__N_124unique_dim_cuda_templateIjEESt5tupleIJNSH_6TensorESM_SM_EERKSM_lbbbEUlllE0_EEPmJS6_EEE10hipError_tPvRmT3_T4_T5_T6_T7_T9_mT8_P12ihipStream_tbDpT10_ENKUlT_T0_E_clISt17integral_constantIbLb1EES1C_EEDaS17_S18_EUlS17_E_NS1_11comp_targetILNS1_3genE3ELNS1_11target_archE908ELNS1_3gpuE7ELNS1_3repE0EEENS1_30default_config_static_selectorELNS0_4arch9wavefront6targetE0EEEvT1_
	.p2align	8
	.type	_ZN7rocprim17ROCPRIM_400000_NS6detail17trampoline_kernelINS0_14default_configENS1_25partition_config_selectorILNS1_17partition_subalgoE8ElNS0_10empty_typeEbEEZZNS1_14partition_implILS5_8ELb0ES3_jPlPS6_PKS6_NS0_5tupleIJS9_S6_EEENSD_IJSA_SA_EEENS0_18inequality_wrapperIZN2at6native12_GLOBAL__N_124unique_dim_cuda_templateIjEESt5tupleIJNSH_6TensorESM_SM_EERKSM_lbbbEUlllE0_EEPmJS6_EEE10hipError_tPvRmT3_T4_T5_T6_T7_T9_mT8_P12ihipStream_tbDpT10_ENKUlT_T0_E_clISt17integral_constantIbLb1EES1C_EEDaS17_S18_EUlS17_E_NS1_11comp_targetILNS1_3genE3ELNS1_11target_archE908ELNS1_3gpuE7ELNS1_3repE0EEENS1_30default_config_static_selectorELNS0_4arch9wavefront6targetE0EEEvT1_,@function
_ZN7rocprim17ROCPRIM_400000_NS6detail17trampoline_kernelINS0_14default_configENS1_25partition_config_selectorILNS1_17partition_subalgoE8ElNS0_10empty_typeEbEEZZNS1_14partition_implILS5_8ELb0ES3_jPlPS6_PKS6_NS0_5tupleIJS9_S6_EEENSD_IJSA_SA_EEENS0_18inequality_wrapperIZN2at6native12_GLOBAL__N_124unique_dim_cuda_templateIjEESt5tupleIJNSH_6TensorESM_SM_EERKSM_lbbbEUlllE0_EEPmJS6_EEE10hipError_tPvRmT3_T4_T5_T6_T7_T9_mT8_P12ihipStream_tbDpT10_ENKUlT_T0_E_clISt17integral_constantIbLb1EES1C_EEDaS17_S18_EUlS17_E_NS1_11comp_targetILNS1_3genE3ELNS1_11target_archE908ELNS1_3gpuE7ELNS1_3repE0EEENS1_30default_config_static_selectorELNS0_4arch9wavefront6targetE0EEEvT1_: ; @_ZN7rocprim17ROCPRIM_400000_NS6detail17trampoline_kernelINS0_14default_configENS1_25partition_config_selectorILNS1_17partition_subalgoE8ElNS0_10empty_typeEbEEZZNS1_14partition_implILS5_8ELb0ES3_jPlPS6_PKS6_NS0_5tupleIJS9_S6_EEENSD_IJSA_SA_EEENS0_18inequality_wrapperIZN2at6native12_GLOBAL__N_124unique_dim_cuda_templateIjEESt5tupleIJNSH_6TensorESM_SM_EERKSM_lbbbEUlllE0_EEPmJS6_EEE10hipError_tPvRmT3_T4_T5_T6_T7_T9_mT8_P12ihipStream_tbDpT10_ENKUlT_T0_E_clISt17integral_constantIbLb1EES1C_EEDaS17_S18_EUlS17_E_NS1_11comp_targetILNS1_3genE3ELNS1_11target_archE908ELNS1_3gpuE7ELNS1_3repE0EEENS1_30default_config_static_selectorELNS0_4arch9wavefront6targetE0EEEvT1_
; %bb.0:
	.section	.rodata,"a",@progbits
	.p2align	6, 0x0
	.amdhsa_kernel _ZN7rocprim17ROCPRIM_400000_NS6detail17trampoline_kernelINS0_14default_configENS1_25partition_config_selectorILNS1_17partition_subalgoE8ElNS0_10empty_typeEbEEZZNS1_14partition_implILS5_8ELb0ES3_jPlPS6_PKS6_NS0_5tupleIJS9_S6_EEENSD_IJSA_SA_EEENS0_18inequality_wrapperIZN2at6native12_GLOBAL__N_124unique_dim_cuda_templateIjEESt5tupleIJNSH_6TensorESM_SM_EERKSM_lbbbEUlllE0_EEPmJS6_EEE10hipError_tPvRmT3_T4_T5_T6_T7_T9_mT8_P12ihipStream_tbDpT10_ENKUlT_T0_E_clISt17integral_constantIbLb1EES1C_EEDaS17_S18_EUlS17_E_NS1_11comp_targetILNS1_3genE3ELNS1_11target_archE908ELNS1_3gpuE7ELNS1_3repE0EEENS1_30default_config_static_selectorELNS0_4arch9wavefront6targetE0EEEvT1_
		.amdhsa_group_segment_fixed_size 0
		.amdhsa_private_segment_fixed_size 0
		.amdhsa_kernarg_size 136
		.amdhsa_user_sgpr_count 15
		.amdhsa_user_sgpr_dispatch_ptr 0
		.amdhsa_user_sgpr_queue_ptr 0
		.amdhsa_user_sgpr_kernarg_segment_ptr 1
		.amdhsa_user_sgpr_dispatch_id 0
		.amdhsa_user_sgpr_private_segment_size 0
		.amdhsa_wavefront_size32 1
		.amdhsa_uses_dynamic_stack 0
		.amdhsa_enable_private_segment 0
		.amdhsa_system_sgpr_workgroup_id_x 1
		.amdhsa_system_sgpr_workgroup_id_y 0
		.amdhsa_system_sgpr_workgroup_id_z 0
		.amdhsa_system_sgpr_workgroup_info 0
		.amdhsa_system_vgpr_workitem_id 0
		.amdhsa_next_free_vgpr 1
		.amdhsa_next_free_sgpr 1
		.amdhsa_reserve_vcc 0
		.amdhsa_float_round_mode_32 0
		.amdhsa_float_round_mode_16_64 0
		.amdhsa_float_denorm_mode_32 3
		.amdhsa_float_denorm_mode_16_64 3
		.amdhsa_dx10_clamp 1
		.amdhsa_ieee_mode 1
		.amdhsa_fp16_overflow 0
		.amdhsa_workgroup_processor_mode 1
		.amdhsa_memory_ordered 1
		.amdhsa_forward_progress 0
		.amdhsa_shared_vgpr_count 0
		.amdhsa_exception_fp_ieee_invalid_op 0
		.amdhsa_exception_fp_denorm_src 0
		.amdhsa_exception_fp_ieee_div_zero 0
		.amdhsa_exception_fp_ieee_overflow 0
		.amdhsa_exception_fp_ieee_underflow 0
		.amdhsa_exception_fp_ieee_inexact 0
		.amdhsa_exception_int_div_zero 0
	.end_amdhsa_kernel
	.section	.text._ZN7rocprim17ROCPRIM_400000_NS6detail17trampoline_kernelINS0_14default_configENS1_25partition_config_selectorILNS1_17partition_subalgoE8ElNS0_10empty_typeEbEEZZNS1_14partition_implILS5_8ELb0ES3_jPlPS6_PKS6_NS0_5tupleIJS9_S6_EEENSD_IJSA_SA_EEENS0_18inequality_wrapperIZN2at6native12_GLOBAL__N_124unique_dim_cuda_templateIjEESt5tupleIJNSH_6TensorESM_SM_EERKSM_lbbbEUlllE0_EEPmJS6_EEE10hipError_tPvRmT3_T4_T5_T6_T7_T9_mT8_P12ihipStream_tbDpT10_ENKUlT_T0_E_clISt17integral_constantIbLb1EES1C_EEDaS17_S18_EUlS17_E_NS1_11comp_targetILNS1_3genE3ELNS1_11target_archE908ELNS1_3gpuE7ELNS1_3repE0EEENS1_30default_config_static_selectorELNS0_4arch9wavefront6targetE0EEEvT1_,"axG",@progbits,_ZN7rocprim17ROCPRIM_400000_NS6detail17trampoline_kernelINS0_14default_configENS1_25partition_config_selectorILNS1_17partition_subalgoE8ElNS0_10empty_typeEbEEZZNS1_14partition_implILS5_8ELb0ES3_jPlPS6_PKS6_NS0_5tupleIJS9_S6_EEENSD_IJSA_SA_EEENS0_18inequality_wrapperIZN2at6native12_GLOBAL__N_124unique_dim_cuda_templateIjEESt5tupleIJNSH_6TensorESM_SM_EERKSM_lbbbEUlllE0_EEPmJS6_EEE10hipError_tPvRmT3_T4_T5_T6_T7_T9_mT8_P12ihipStream_tbDpT10_ENKUlT_T0_E_clISt17integral_constantIbLb1EES1C_EEDaS17_S18_EUlS17_E_NS1_11comp_targetILNS1_3genE3ELNS1_11target_archE908ELNS1_3gpuE7ELNS1_3repE0EEENS1_30default_config_static_selectorELNS0_4arch9wavefront6targetE0EEEvT1_,comdat
.Lfunc_end1550:
	.size	_ZN7rocprim17ROCPRIM_400000_NS6detail17trampoline_kernelINS0_14default_configENS1_25partition_config_selectorILNS1_17partition_subalgoE8ElNS0_10empty_typeEbEEZZNS1_14partition_implILS5_8ELb0ES3_jPlPS6_PKS6_NS0_5tupleIJS9_S6_EEENSD_IJSA_SA_EEENS0_18inequality_wrapperIZN2at6native12_GLOBAL__N_124unique_dim_cuda_templateIjEESt5tupleIJNSH_6TensorESM_SM_EERKSM_lbbbEUlllE0_EEPmJS6_EEE10hipError_tPvRmT3_T4_T5_T6_T7_T9_mT8_P12ihipStream_tbDpT10_ENKUlT_T0_E_clISt17integral_constantIbLb1EES1C_EEDaS17_S18_EUlS17_E_NS1_11comp_targetILNS1_3genE3ELNS1_11target_archE908ELNS1_3gpuE7ELNS1_3repE0EEENS1_30default_config_static_selectorELNS0_4arch9wavefront6targetE0EEEvT1_, .Lfunc_end1550-_ZN7rocprim17ROCPRIM_400000_NS6detail17trampoline_kernelINS0_14default_configENS1_25partition_config_selectorILNS1_17partition_subalgoE8ElNS0_10empty_typeEbEEZZNS1_14partition_implILS5_8ELb0ES3_jPlPS6_PKS6_NS0_5tupleIJS9_S6_EEENSD_IJSA_SA_EEENS0_18inequality_wrapperIZN2at6native12_GLOBAL__N_124unique_dim_cuda_templateIjEESt5tupleIJNSH_6TensorESM_SM_EERKSM_lbbbEUlllE0_EEPmJS6_EEE10hipError_tPvRmT3_T4_T5_T6_T7_T9_mT8_P12ihipStream_tbDpT10_ENKUlT_T0_E_clISt17integral_constantIbLb1EES1C_EEDaS17_S18_EUlS17_E_NS1_11comp_targetILNS1_3genE3ELNS1_11target_archE908ELNS1_3gpuE7ELNS1_3repE0EEENS1_30default_config_static_selectorELNS0_4arch9wavefront6targetE0EEEvT1_
                                        ; -- End function
	.section	.AMDGPU.csdata,"",@progbits
; Kernel info:
; codeLenInByte = 0
; NumSgprs: 0
; NumVgprs: 0
; ScratchSize: 0
; MemoryBound: 0
; FloatMode: 240
; IeeeMode: 1
; LDSByteSize: 0 bytes/workgroup (compile time only)
; SGPRBlocks: 0
; VGPRBlocks: 0
; NumSGPRsForWavesPerEU: 1
; NumVGPRsForWavesPerEU: 1
; Occupancy: 16
; WaveLimiterHint : 0
; COMPUTE_PGM_RSRC2:SCRATCH_EN: 0
; COMPUTE_PGM_RSRC2:USER_SGPR: 15
; COMPUTE_PGM_RSRC2:TRAP_HANDLER: 0
; COMPUTE_PGM_RSRC2:TGID_X_EN: 1
; COMPUTE_PGM_RSRC2:TGID_Y_EN: 0
; COMPUTE_PGM_RSRC2:TGID_Z_EN: 0
; COMPUTE_PGM_RSRC2:TIDIG_COMP_CNT: 0
	.section	.text._ZN7rocprim17ROCPRIM_400000_NS6detail17trampoline_kernelINS0_14default_configENS1_25partition_config_selectorILNS1_17partition_subalgoE8ElNS0_10empty_typeEbEEZZNS1_14partition_implILS5_8ELb0ES3_jPlPS6_PKS6_NS0_5tupleIJS9_S6_EEENSD_IJSA_SA_EEENS0_18inequality_wrapperIZN2at6native12_GLOBAL__N_124unique_dim_cuda_templateIjEESt5tupleIJNSH_6TensorESM_SM_EERKSM_lbbbEUlllE0_EEPmJS6_EEE10hipError_tPvRmT3_T4_T5_T6_T7_T9_mT8_P12ihipStream_tbDpT10_ENKUlT_T0_E_clISt17integral_constantIbLb1EES1C_EEDaS17_S18_EUlS17_E_NS1_11comp_targetILNS1_3genE2ELNS1_11target_archE906ELNS1_3gpuE6ELNS1_3repE0EEENS1_30default_config_static_selectorELNS0_4arch9wavefront6targetE0EEEvT1_,"axG",@progbits,_ZN7rocprim17ROCPRIM_400000_NS6detail17trampoline_kernelINS0_14default_configENS1_25partition_config_selectorILNS1_17partition_subalgoE8ElNS0_10empty_typeEbEEZZNS1_14partition_implILS5_8ELb0ES3_jPlPS6_PKS6_NS0_5tupleIJS9_S6_EEENSD_IJSA_SA_EEENS0_18inequality_wrapperIZN2at6native12_GLOBAL__N_124unique_dim_cuda_templateIjEESt5tupleIJNSH_6TensorESM_SM_EERKSM_lbbbEUlllE0_EEPmJS6_EEE10hipError_tPvRmT3_T4_T5_T6_T7_T9_mT8_P12ihipStream_tbDpT10_ENKUlT_T0_E_clISt17integral_constantIbLb1EES1C_EEDaS17_S18_EUlS17_E_NS1_11comp_targetILNS1_3genE2ELNS1_11target_archE906ELNS1_3gpuE6ELNS1_3repE0EEENS1_30default_config_static_selectorELNS0_4arch9wavefront6targetE0EEEvT1_,comdat
	.globl	_ZN7rocprim17ROCPRIM_400000_NS6detail17trampoline_kernelINS0_14default_configENS1_25partition_config_selectorILNS1_17partition_subalgoE8ElNS0_10empty_typeEbEEZZNS1_14partition_implILS5_8ELb0ES3_jPlPS6_PKS6_NS0_5tupleIJS9_S6_EEENSD_IJSA_SA_EEENS0_18inequality_wrapperIZN2at6native12_GLOBAL__N_124unique_dim_cuda_templateIjEESt5tupleIJNSH_6TensorESM_SM_EERKSM_lbbbEUlllE0_EEPmJS6_EEE10hipError_tPvRmT3_T4_T5_T6_T7_T9_mT8_P12ihipStream_tbDpT10_ENKUlT_T0_E_clISt17integral_constantIbLb1EES1C_EEDaS17_S18_EUlS17_E_NS1_11comp_targetILNS1_3genE2ELNS1_11target_archE906ELNS1_3gpuE6ELNS1_3repE0EEENS1_30default_config_static_selectorELNS0_4arch9wavefront6targetE0EEEvT1_ ; -- Begin function _ZN7rocprim17ROCPRIM_400000_NS6detail17trampoline_kernelINS0_14default_configENS1_25partition_config_selectorILNS1_17partition_subalgoE8ElNS0_10empty_typeEbEEZZNS1_14partition_implILS5_8ELb0ES3_jPlPS6_PKS6_NS0_5tupleIJS9_S6_EEENSD_IJSA_SA_EEENS0_18inequality_wrapperIZN2at6native12_GLOBAL__N_124unique_dim_cuda_templateIjEESt5tupleIJNSH_6TensorESM_SM_EERKSM_lbbbEUlllE0_EEPmJS6_EEE10hipError_tPvRmT3_T4_T5_T6_T7_T9_mT8_P12ihipStream_tbDpT10_ENKUlT_T0_E_clISt17integral_constantIbLb1EES1C_EEDaS17_S18_EUlS17_E_NS1_11comp_targetILNS1_3genE2ELNS1_11target_archE906ELNS1_3gpuE6ELNS1_3repE0EEENS1_30default_config_static_selectorELNS0_4arch9wavefront6targetE0EEEvT1_
	.p2align	8
	.type	_ZN7rocprim17ROCPRIM_400000_NS6detail17trampoline_kernelINS0_14default_configENS1_25partition_config_selectorILNS1_17partition_subalgoE8ElNS0_10empty_typeEbEEZZNS1_14partition_implILS5_8ELb0ES3_jPlPS6_PKS6_NS0_5tupleIJS9_S6_EEENSD_IJSA_SA_EEENS0_18inequality_wrapperIZN2at6native12_GLOBAL__N_124unique_dim_cuda_templateIjEESt5tupleIJNSH_6TensorESM_SM_EERKSM_lbbbEUlllE0_EEPmJS6_EEE10hipError_tPvRmT3_T4_T5_T6_T7_T9_mT8_P12ihipStream_tbDpT10_ENKUlT_T0_E_clISt17integral_constantIbLb1EES1C_EEDaS17_S18_EUlS17_E_NS1_11comp_targetILNS1_3genE2ELNS1_11target_archE906ELNS1_3gpuE6ELNS1_3repE0EEENS1_30default_config_static_selectorELNS0_4arch9wavefront6targetE0EEEvT1_,@function
_ZN7rocprim17ROCPRIM_400000_NS6detail17trampoline_kernelINS0_14default_configENS1_25partition_config_selectorILNS1_17partition_subalgoE8ElNS0_10empty_typeEbEEZZNS1_14partition_implILS5_8ELb0ES3_jPlPS6_PKS6_NS0_5tupleIJS9_S6_EEENSD_IJSA_SA_EEENS0_18inequality_wrapperIZN2at6native12_GLOBAL__N_124unique_dim_cuda_templateIjEESt5tupleIJNSH_6TensorESM_SM_EERKSM_lbbbEUlllE0_EEPmJS6_EEE10hipError_tPvRmT3_T4_T5_T6_T7_T9_mT8_P12ihipStream_tbDpT10_ENKUlT_T0_E_clISt17integral_constantIbLb1EES1C_EEDaS17_S18_EUlS17_E_NS1_11comp_targetILNS1_3genE2ELNS1_11target_archE906ELNS1_3gpuE6ELNS1_3repE0EEENS1_30default_config_static_selectorELNS0_4arch9wavefront6targetE0EEEvT1_: ; @_ZN7rocprim17ROCPRIM_400000_NS6detail17trampoline_kernelINS0_14default_configENS1_25partition_config_selectorILNS1_17partition_subalgoE8ElNS0_10empty_typeEbEEZZNS1_14partition_implILS5_8ELb0ES3_jPlPS6_PKS6_NS0_5tupleIJS9_S6_EEENSD_IJSA_SA_EEENS0_18inequality_wrapperIZN2at6native12_GLOBAL__N_124unique_dim_cuda_templateIjEESt5tupleIJNSH_6TensorESM_SM_EERKSM_lbbbEUlllE0_EEPmJS6_EEE10hipError_tPvRmT3_T4_T5_T6_T7_T9_mT8_P12ihipStream_tbDpT10_ENKUlT_T0_E_clISt17integral_constantIbLb1EES1C_EEDaS17_S18_EUlS17_E_NS1_11comp_targetILNS1_3genE2ELNS1_11target_archE906ELNS1_3gpuE6ELNS1_3repE0EEENS1_30default_config_static_selectorELNS0_4arch9wavefront6targetE0EEEvT1_
; %bb.0:
	.section	.rodata,"a",@progbits
	.p2align	6, 0x0
	.amdhsa_kernel _ZN7rocprim17ROCPRIM_400000_NS6detail17trampoline_kernelINS0_14default_configENS1_25partition_config_selectorILNS1_17partition_subalgoE8ElNS0_10empty_typeEbEEZZNS1_14partition_implILS5_8ELb0ES3_jPlPS6_PKS6_NS0_5tupleIJS9_S6_EEENSD_IJSA_SA_EEENS0_18inequality_wrapperIZN2at6native12_GLOBAL__N_124unique_dim_cuda_templateIjEESt5tupleIJNSH_6TensorESM_SM_EERKSM_lbbbEUlllE0_EEPmJS6_EEE10hipError_tPvRmT3_T4_T5_T6_T7_T9_mT8_P12ihipStream_tbDpT10_ENKUlT_T0_E_clISt17integral_constantIbLb1EES1C_EEDaS17_S18_EUlS17_E_NS1_11comp_targetILNS1_3genE2ELNS1_11target_archE906ELNS1_3gpuE6ELNS1_3repE0EEENS1_30default_config_static_selectorELNS0_4arch9wavefront6targetE0EEEvT1_
		.amdhsa_group_segment_fixed_size 0
		.amdhsa_private_segment_fixed_size 0
		.amdhsa_kernarg_size 136
		.amdhsa_user_sgpr_count 15
		.amdhsa_user_sgpr_dispatch_ptr 0
		.amdhsa_user_sgpr_queue_ptr 0
		.amdhsa_user_sgpr_kernarg_segment_ptr 1
		.amdhsa_user_sgpr_dispatch_id 0
		.amdhsa_user_sgpr_private_segment_size 0
		.amdhsa_wavefront_size32 1
		.amdhsa_uses_dynamic_stack 0
		.amdhsa_enable_private_segment 0
		.amdhsa_system_sgpr_workgroup_id_x 1
		.amdhsa_system_sgpr_workgroup_id_y 0
		.amdhsa_system_sgpr_workgroup_id_z 0
		.amdhsa_system_sgpr_workgroup_info 0
		.amdhsa_system_vgpr_workitem_id 0
		.amdhsa_next_free_vgpr 1
		.amdhsa_next_free_sgpr 1
		.amdhsa_reserve_vcc 0
		.amdhsa_float_round_mode_32 0
		.amdhsa_float_round_mode_16_64 0
		.amdhsa_float_denorm_mode_32 3
		.amdhsa_float_denorm_mode_16_64 3
		.amdhsa_dx10_clamp 1
		.amdhsa_ieee_mode 1
		.amdhsa_fp16_overflow 0
		.amdhsa_workgroup_processor_mode 1
		.amdhsa_memory_ordered 1
		.amdhsa_forward_progress 0
		.amdhsa_shared_vgpr_count 0
		.amdhsa_exception_fp_ieee_invalid_op 0
		.amdhsa_exception_fp_denorm_src 0
		.amdhsa_exception_fp_ieee_div_zero 0
		.amdhsa_exception_fp_ieee_overflow 0
		.amdhsa_exception_fp_ieee_underflow 0
		.amdhsa_exception_fp_ieee_inexact 0
		.amdhsa_exception_int_div_zero 0
	.end_amdhsa_kernel
	.section	.text._ZN7rocprim17ROCPRIM_400000_NS6detail17trampoline_kernelINS0_14default_configENS1_25partition_config_selectorILNS1_17partition_subalgoE8ElNS0_10empty_typeEbEEZZNS1_14partition_implILS5_8ELb0ES3_jPlPS6_PKS6_NS0_5tupleIJS9_S6_EEENSD_IJSA_SA_EEENS0_18inequality_wrapperIZN2at6native12_GLOBAL__N_124unique_dim_cuda_templateIjEESt5tupleIJNSH_6TensorESM_SM_EERKSM_lbbbEUlllE0_EEPmJS6_EEE10hipError_tPvRmT3_T4_T5_T6_T7_T9_mT8_P12ihipStream_tbDpT10_ENKUlT_T0_E_clISt17integral_constantIbLb1EES1C_EEDaS17_S18_EUlS17_E_NS1_11comp_targetILNS1_3genE2ELNS1_11target_archE906ELNS1_3gpuE6ELNS1_3repE0EEENS1_30default_config_static_selectorELNS0_4arch9wavefront6targetE0EEEvT1_,"axG",@progbits,_ZN7rocprim17ROCPRIM_400000_NS6detail17trampoline_kernelINS0_14default_configENS1_25partition_config_selectorILNS1_17partition_subalgoE8ElNS0_10empty_typeEbEEZZNS1_14partition_implILS5_8ELb0ES3_jPlPS6_PKS6_NS0_5tupleIJS9_S6_EEENSD_IJSA_SA_EEENS0_18inequality_wrapperIZN2at6native12_GLOBAL__N_124unique_dim_cuda_templateIjEESt5tupleIJNSH_6TensorESM_SM_EERKSM_lbbbEUlllE0_EEPmJS6_EEE10hipError_tPvRmT3_T4_T5_T6_T7_T9_mT8_P12ihipStream_tbDpT10_ENKUlT_T0_E_clISt17integral_constantIbLb1EES1C_EEDaS17_S18_EUlS17_E_NS1_11comp_targetILNS1_3genE2ELNS1_11target_archE906ELNS1_3gpuE6ELNS1_3repE0EEENS1_30default_config_static_selectorELNS0_4arch9wavefront6targetE0EEEvT1_,comdat
.Lfunc_end1551:
	.size	_ZN7rocprim17ROCPRIM_400000_NS6detail17trampoline_kernelINS0_14default_configENS1_25partition_config_selectorILNS1_17partition_subalgoE8ElNS0_10empty_typeEbEEZZNS1_14partition_implILS5_8ELb0ES3_jPlPS6_PKS6_NS0_5tupleIJS9_S6_EEENSD_IJSA_SA_EEENS0_18inequality_wrapperIZN2at6native12_GLOBAL__N_124unique_dim_cuda_templateIjEESt5tupleIJNSH_6TensorESM_SM_EERKSM_lbbbEUlllE0_EEPmJS6_EEE10hipError_tPvRmT3_T4_T5_T6_T7_T9_mT8_P12ihipStream_tbDpT10_ENKUlT_T0_E_clISt17integral_constantIbLb1EES1C_EEDaS17_S18_EUlS17_E_NS1_11comp_targetILNS1_3genE2ELNS1_11target_archE906ELNS1_3gpuE6ELNS1_3repE0EEENS1_30default_config_static_selectorELNS0_4arch9wavefront6targetE0EEEvT1_, .Lfunc_end1551-_ZN7rocprim17ROCPRIM_400000_NS6detail17trampoline_kernelINS0_14default_configENS1_25partition_config_selectorILNS1_17partition_subalgoE8ElNS0_10empty_typeEbEEZZNS1_14partition_implILS5_8ELb0ES3_jPlPS6_PKS6_NS0_5tupleIJS9_S6_EEENSD_IJSA_SA_EEENS0_18inequality_wrapperIZN2at6native12_GLOBAL__N_124unique_dim_cuda_templateIjEESt5tupleIJNSH_6TensorESM_SM_EERKSM_lbbbEUlllE0_EEPmJS6_EEE10hipError_tPvRmT3_T4_T5_T6_T7_T9_mT8_P12ihipStream_tbDpT10_ENKUlT_T0_E_clISt17integral_constantIbLb1EES1C_EEDaS17_S18_EUlS17_E_NS1_11comp_targetILNS1_3genE2ELNS1_11target_archE906ELNS1_3gpuE6ELNS1_3repE0EEENS1_30default_config_static_selectorELNS0_4arch9wavefront6targetE0EEEvT1_
                                        ; -- End function
	.section	.AMDGPU.csdata,"",@progbits
; Kernel info:
; codeLenInByte = 0
; NumSgprs: 0
; NumVgprs: 0
; ScratchSize: 0
; MemoryBound: 0
; FloatMode: 240
; IeeeMode: 1
; LDSByteSize: 0 bytes/workgroup (compile time only)
; SGPRBlocks: 0
; VGPRBlocks: 0
; NumSGPRsForWavesPerEU: 1
; NumVGPRsForWavesPerEU: 1
; Occupancy: 16
; WaveLimiterHint : 0
; COMPUTE_PGM_RSRC2:SCRATCH_EN: 0
; COMPUTE_PGM_RSRC2:USER_SGPR: 15
; COMPUTE_PGM_RSRC2:TRAP_HANDLER: 0
; COMPUTE_PGM_RSRC2:TGID_X_EN: 1
; COMPUTE_PGM_RSRC2:TGID_Y_EN: 0
; COMPUTE_PGM_RSRC2:TGID_Z_EN: 0
; COMPUTE_PGM_RSRC2:TIDIG_COMP_CNT: 0
	.section	.text._ZN7rocprim17ROCPRIM_400000_NS6detail17trampoline_kernelINS0_14default_configENS1_25partition_config_selectorILNS1_17partition_subalgoE8ElNS0_10empty_typeEbEEZZNS1_14partition_implILS5_8ELb0ES3_jPlPS6_PKS6_NS0_5tupleIJS9_S6_EEENSD_IJSA_SA_EEENS0_18inequality_wrapperIZN2at6native12_GLOBAL__N_124unique_dim_cuda_templateIjEESt5tupleIJNSH_6TensorESM_SM_EERKSM_lbbbEUlllE0_EEPmJS6_EEE10hipError_tPvRmT3_T4_T5_T6_T7_T9_mT8_P12ihipStream_tbDpT10_ENKUlT_T0_E_clISt17integral_constantIbLb1EES1C_EEDaS17_S18_EUlS17_E_NS1_11comp_targetILNS1_3genE10ELNS1_11target_archE1200ELNS1_3gpuE4ELNS1_3repE0EEENS1_30default_config_static_selectorELNS0_4arch9wavefront6targetE0EEEvT1_,"axG",@progbits,_ZN7rocprim17ROCPRIM_400000_NS6detail17trampoline_kernelINS0_14default_configENS1_25partition_config_selectorILNS1_17partition_subalgoE8ElNS0_10empty_typeEbEEZZNS1_14partition_implILS5_8ELb0ES3_jPlPS6_PKS6_NS0_5tupleIJS9_S6_EEENSD_IJSA_SA_EEENS0_18inequality_wrapperIZN2at6native12_GLOBAL__N_124unique_dim_cuda_templateIjEESt5tupleIJNSH_6TensorESM_SM_EERKSM_lbbbEUlllE0_EEPmJS6_EEE10hipError_tPvRmT3_T4_T5_T6_T7_T9_mT8_P12ihipStream_tbDpT10_ENKUlT_T0_E_clISt17integral_constantIbLb1EES1C_EEDaS17_S18_EUlS17_E_NS1_11comp_targetILNS1_3genE10ELNS1_11target_archE1200ELNS1_3gpuE4ELNS1_3repE0EEENS1_30default_config_static_selectorELNS0_4arch9wavefront6targetE0EEEvT1_,comdat
	.globl	_ZN7rocprim17ROCPRIM_400000_NS6detail17trampoline_kernelINS0_14default_configENS1_25partition_config_selectorILNS1_17partition_subalgoE8ElNS0_10empty_typeEbEEZZNS1_14partition_implILS5_8ELb0ES3_jPlPS6_PKS6_NS0_5tupleIJS9_S6_EEENSD_IJSA_SA_EEENS0_18inequality_wrapperIZN2at6native12_GLOBAL__N_124unique_dim_cuda_templateIjEESt5tupleIJNSH_6TensorESM_SM_EERKSM_lbbbEUlllE0_EEPmJS6_EEE10hipError_tPvRmT3_T4_T5_T6_T7_T9_mT8_P12ihipStream_tbDpT10_ENKUlT_T0_E_clISt17integral_constantIbLb1EES1C_EEDaS17_S18_EUlS17_E_NS1_11comp_targetILNS1_3genE10ELNS1_11target_archE1200ELNS1_3gpuE4ELNS1_3repE0EEENS1_30default_config_static_selectorELNS0_4arch9wavefront6targetE0EEEvT1_ ; -- Begin function _ZN7rocprim17ROCPRIM_400000_NS6detail17trampoline_kernelINS0_14default_configENS1_25partition_config_selectorILNS1_17partition_subalgoE8ElNS0_10empty_typeEbEEZZNS1_14partition_implILS5_8ELb0ES3_jPlPS6_PKS6_NS0_5tupleIJS9_S6_EEENSD_IJSA_SA_EEENS0_18inequality_wrapperIZN2at6native12_GLOBAL__N_124unique_dim_cuda_templateIjEESt5tupleIJNSH_6TensorESM_SM_EERKSM_lbbbEUlllE0_EEPmJS6_EEE10hipError_tPvRmT3_T4_T5_T6_T7_T9_mT8_P12ihipStream_tbDpT10_ENKUlT_T0_E_clISt17integral_constantIbLb1EES1C_EEDaS17_S18_EUlS17_E_NS1_11comp_targetILNS1_3genE10ELNS1_11target_archE1200ELNS1_3gpuE4ELNS1_3repE0EEENS1_30default_config_static_selectorELNS0_4arch9wavefront6targetE0EEEvT1_
	.p2align	8
	.type	_ZN7rocprim17ROCPRIM_400000_NS6detail17trampoline_kernelINS0_14default_configENS1_25partition_config_selectorILNS1_17partition_subalgoE8ElNS0_10empty_typeEbEEZZNS1_14partition_implILS5_8ELb0ES3_jPlPS6_PKS6_NS0_5tupleIJS9_S6_EEENSD_IJSA_SA_EEENS0_18inequality_wrapperIZN2at6native12_GLOBAL__N_124unique_dim_cuda_templateIjEESt5tupleIJNSH_6TensorESM_SM_EERKSM_lbbbEUlllE0_EEPmJS6_EEE10hipError_tPvRmT3_T4_T5_T6_T7_T9_mT8_P12ihipStream_tbDpT10_ENKUlT_T0_E_clISt17integral_constantIbLb1EES1C_EEDaS17_S18_EUlS17_E_NS1_11comp_targetILNS1_3genE10ELNS1_11target_archE1200ELNS1_3gpuE4ELNS1_3repE0EEENS1_30default_config_static_selectorELNS0_4arch9wavefront6targetE0EEEvT1_,@function
_ZN7rocprim17ROCPRIM_400000_NS6detail17trampoline_kernelINS0_14default_configENS1_25partition_config_selectorILNS1_17partition_subalgoE8ElNS0_10empty_typeEbEEZZNS1_14partition_implILS5_8ELb0ES3_jPlPS6_PKS6_NS0_5tupleIJS9_S6_EEENSD_IJSA_SA_EEENS0_18inequality_wrapperIZN2at6native12_GLOBAL__N_124unique_dim_cuda_templateIjEESt5tupleIJNSH_6TensorESM_SM_EERKSM_lbbbEUlllE0_EEPmJS6_EEE10hipError_tPvRmT3_T4_T5_T6_T7_T9_mT8_P12ihipStream_tbDpT10_ENKUlT_T0_E_clISt17integral_constantIbLb1EES1C_EEDaS17_S18_EUlS17_E_NS1_11comp_targetILNS1_3genE10ELNS1_11target_archE1200ELNS1_3gpuE4ELNS1_3repE0EEENS1_30default_config_static_selectorELNS0_4arch9wavefront6targetE0EEEvT1_: ; @_ZN7rocprim17ROCPRIM_400000_NS6detail17trampoline_kernelINS0_14default_configENS1_25partition_config_selectorILNS1_17partition_subalgoE8ElNS0_10empty_typeEbEEZZNS1_14partition_implILS5_8ELb0ES3_jPlPS6_PKS6_NS0_5tupleIJS9_S6_EEENSD_IJSA_SA_EEENS0_18inequality_wrapperIZN2at6native12_GLOBAL__N_124unique_dim_cuda_templateIjEESt5tupleIJNSH_6TensorESM_SM_EERKSM_lbbbEUlllE0_EEPmJS6_EEE10hipError_tPvRmT3_T4_T5_T6_T7_T9_mT8_P12ihipStream_tbDpT10_ENKUlT_T0_E_clISt17integral_constantIbLb1EES1C_EEDaS17_S18_EUlS17_E_NS1_11comp_targetILNS1_3genE10ELNS1_11target_archE1200ELNS1_3gpuE4ELNS1_3repE0EEENS1_30default_config_static_selectorELNS0_4arch9wavefront6targetE0EEEvT1_
; %bb.0:
	.section	.rodata,"a",@progbits
	.p2align	6, 0x0
	.amdhsa_kernel _ZN7rocprim17ROCPRIM_400000_NS6detail17trampoline_kernelINS0_14default_configENS1_25partition_config_selectorILNS1_17partition_subalgoE8ElNS0_10empty_typeEbEEZZNS1_14partition_implILS5_8ELb0ES3_jPlPS6_PKS6_NS0_5tupleIJS9_S6_EEENSD_IJSA_SA_EEENS0_18inequality_wrapperIZN2at6native12_GLOBAL__N_124unique_dim_cuda_templateIjEESt5tupleIJNSH_6TensorESM_SM_EERKSM_lbbbEUlllE0_EEPmJS6_EEE10hipError_tPvRmT3_T4_T5_T6_T7_T9_mT8_P12ihipStream_tbDpT10_ENKUlT_T0_E_clISt17integral_constantIbLb1EES1C_EEDaS17_S18_EUlS17_E_NS1_11comp_targetILNS1_3genE10ELNS1_11target_archE1200ELNS1_3gpuE4ELNS1_3repE0EEENS1_30default_config_static_selectorELNS0_4arch9wavefront6targetE0EEEvT1_
		.amdhsa_group_segment_fixed_size 0
		.amdhsa_private_segment_fixed_size 0
		.amdhsa_kernarg_size 136
		.amdhsa_user_sgpr_count 15
		.amdhsa_user_sgpr_dispatch_ptr 0
		.amdhsa_user_sgpr_queue_ptr 0
		.amdhsa_user_sgpr_kernarg_segment_ptr 1
		.amdhsa_user_sgpr_dispatch_id 0
		.amdhsa_user_sgpr_private_segment_size 0
		.amdhsa_wavefront_size32 1
		.amdhsa_uses_dynamic_stack 0
		.amdhsa_enable_private_segment 0
		.amdhsa_system_sgpr_workgroup_id_x 1
		.amdhsa_system_sgpr_workgroup_id_y 0
		.amdhsa_system_sgpr_workgroup_id_z 0
		.amdhsa_system_sgpr_workgroup_info 0
		.amdhsa_system_vgpr_workitem_id 0
		.amdhsa_next_free_vgpr 1
		.amdhsa_next_free_sgpr 1
		.amdhsa_reserve_vcc 0
		.amdhsa_float_round_mode_32 0
		.amdhsa_float_round_mode_16_64 0
		.amdhsa_float_denorm_mode_32 3
		.amdhsa_float_denorm_mode_16_64 3
		.amdhsa_dx10_clamp 1
		.amdhsa_ieee_mode 1
		.amdhsa_fp16_overflow 0
		.amdhsa_workgroup_processor_mode 1
		.amdhsa_memory_ordered 1
		.amdhsa_forward_progress 0
		.amdhsa_shared_vgpr_count 0
		.amdhsa_exception_fp_ieee_invalid_op 0
		.amdhsa_exception_fp_denorm_src 0
		.amdhsa_exception_fp_ieee_div_zero 0
		.amdhsa_exception_fp_ieee_overflow 0
		.amdhsa_exception_fp_ieee_underflow 0
		.amdhsa_exception_fp_ieee_inexact 0
		.amdhsa_exception_int_div_zero 0
	.end_amdhsa_kernel
	.section	.text._ZN7rocprim17ROCPRIM_400000_NS6detail17trampoline_kernelINS0_14default_configENS1_25partition_config_selectorILNS1_17partition_subalgoE8ElNS0_10empty_typeEbEEZZNS1_14partition_implILS5_8ELb0ES3_jPlPS6_PKS6_NS0_5tupleIJS9_S6_EEENSD_IJSA_SA_EEENS0_18inequality_wrapperIZN2at6native12_GLOBAL__N_124unique_dim_cuda_templateIjEESt5tupleIJNSH_6TensorESM_SM_EERKSM_lbbbEUlllE0_EEPmJS6_EEE10hipError_tPvRmT3_T4_T5_T6_T7_T9_mT8_P12ihipStream_tbDpT10_ENKUlT_T0_E_clISt17integral_constantIbLb1EES1C_EEDaS17_S18_EUlS17_E_NS1_11comp_targetILNS1_3genE10ELNS1_11target_archE1200ELNS1_3gpuE4ELNS1_3repE0EEENS1_30default_config_static_selectorELNS0_4arch9wavefront6targetE0EEEvT1_,"axG",@progbits,_ZN7rocprim17ROCPRIM_400000_NS6detail17trampoline_kernelINS0_14default_configENS1_25partition_config_selectorILNS1_17partition_subalgoE8ElNS0_10empty_typeEbEEZZNS1_14partition_implILS5_8ELb0ES3_jPlPS6_PKS6_NS0_5tupleIJS9_S6_EEENSD_IJSA_SA_EEENS0_18inequality_wrapperIZN2at6native12_GLOBAL__N_124unique_dim_cuda_templateIjEESt5tupleIJNSH_6TensorESM_SM_EERKSM_lbbbEUlllE0_EEPmJS6_EEE10hipError_tPvRmT3_T4_T5_T6_T7_T9_mT8_P12ihipStream_tbDpT10_ENKUlT_T0_E_clISt17integral_constantIbLb1EES1C_EEDaS17_S18_EUlS17_E_NS1_11comp_targetILNS1_3genE10ELNS1_11target_archE1200ELNS1_3gpuE4ELNS1_3repE0EEENS1_30default_config_static_selectorELNS0_4arch9wavefront6targetE0EEEvT1_,comdat
.Lfunc_end1552:
	.size	_ZN7rocprim17ROCPRIM_400000_NS6detail17trampoline_kernelINS0_14default_configENS1_25partition_config_selectorILNS1_17partition_subalgoE8ElNS0_10empty_typeEbEEZZNS1_14partition_implILS5_8ELb0ES3_jPlPS6_PKS6_NS0_5tupleIJS9_S6_EEENSD_IJSA_SA_EEENS0_18inequality_wrapperIZN2at6native12_GLOBAL__N_124unique_dim_cuda_templateIjEESt5tupleIJNSH_6TensorESM_SM_EERKSM_lbbbEUlllE0_EEPmJS6_EEE10hipError_tPvRmT3_T4_T5_T6_T7_T9_mT8_P12ihipStream_tbDpT10_ENKUlT_T0_E_clISt17integral_constantIbLb1EES1C_EEDaS17_S18_EUlS17_E_NS1_11comp_targetILNS1_3genE10ELNS1_11target_archE1200ELNS1_3gpuE4ELNS1_3repE0EEENS1_30default_config_static_selectorELNS0_4arch9wavefront6targetE0EEEvT1_, .Lfunc_end1552-_ZN7rocprim17ROCPRIM_400000_NS6detail17trampoline_kernelINS0_14default_configENS1_25partition_config_selectorILNS1_17partition_subalgoE8ElNS0_10empty_typeEbEEZZNS1_14partition_implILS5_8ELb0ES3_jPlPS6_PKS6_NS0_5tupleIJS9_S6_EEENSD_IJSA_SA_EEENS0_18inequality_wrapperIZN2at6native12_GLOBAL__N_124unique_dim_cuda_templateIjEESt5tupleIJNSH_6TensorESM_SM_EERKSM_lbbbEUlllE0_EEPmJS6_EEE10hipError_tPvRmT3_T4_T5_T6_T7_T9_mT8_P12ihipStream_tbDpT10_ENKUlT_T0_E_clISt17integral_constantIbLb1EES1C_EEDaS17_S18_EUlS17_E_NS1_11comp_targetILNS1_3genE10ELNS1_11target_archE1200ELNS1_3gpuE4ELNS1_3repE0EEENS1_30default_config_static_selectorELNS0_4arch9wavefront6targetE0EEEvT1_
                                        ; -- End function
	.section	.AMDGPU.csdata,"",@progbits
; Kernel info:
; codeLenInByte = 0
; NumSgprs: 0
; NumVgprs: 0
; ScratchSize: 0
; MemoryBound: 0
; FloatMode: 240
; IeeeMode: 1
; LDSByteSize: 0 bytes/workgroup (compile time only)
; SGPRBlocks: 0
; VGPRBlocks: 0
; NumSGPRsForWavesPerEU: 1
; NumVGPRsForWavesPerEU: 1
; Occupancy: 15
; WaveLimiterHint : 0
; COMPUTE_PGM_RSRC2:SCRATCH_EN: 0
; COMPUTE_PGM_RSRC2:USER_SGPR: 15
; COMPUTE_PGM_RSRC2:TRAP_HANDLER: 0
; COMPUTE_PGM_RSRC2:TGID_X_EN: 1
; COMPUTE_PGM_RSRC2:TGID_Y_EN: 0
; COMPUTE_PGM_RSRC2:TGID_Z_EN: 0
; COMPUTE_PGM_RSRC2:TIDIG_COMP_CNT: 0
	.section	.text._ZN7rocprim17ROCPRIM_400000_NS6detail17trampoline_kernelINS0_14default_configENS1_25partition_config_selectorILNS1_17partition_subalgoE8ElNS0_10empty_typeEbEEZZNS1_14partition_implILS5_8ELb0ES3_jPlPS6_PKS6_NS0_5tupleIJS9_S6_EEENSD_IJSA_SA_EEENS0_18inequality_wrapperIZN2at6native12_GLOBAL__N_124unique_dim_cuda_templateIjEESt5tupleIJNSH_6TensorESM_SM_EERKSM_lbbbEUlllE0_EEPmJS6_EEE10hipError_tPvRmT3_T4_T5_T6_T7_T9_mT8_P12ihipStream_tbDpT10_ENKUlT_T0_E_clISt17integral_constantIbLb1EES1C_EEDaS17_S18_EUlS17_E_NS1_11comp_targetILNS1_3genE9ELNS1_11target_archE1100ELNS1_3gpuE3ELNS1_3repE0EEENS1_30default_config_static_selectorELNS0_4arch9wavefront6targetE0EEEvT1_,"axG",@progbits,_ZN7rocprim17ROCPRIM_400000_NS6detail17trampoline_kernelINS0_14default_configENS1_25partition_config_selectorILNS1_17partition_subalgoE8ElNS0_10empty_typeEbEEZZNS1_14partition_implILS5_8ELb0ES3_jPlPS6_PKS6_NS0_5tupleIJS9_S6_EEENSD_IJSA_SA_EEENS0_18inequality_wrapperIZN2at6native12_GLOBAL__N_124unique_dim_cuda_templateIjEESt5tupleIJNSH_6TensorESM_SM_EERKSM_lbbbEUlllE0_EEPmJS6_EEE10hipError_tPvRmT3_T4_T5_T6_T7_T9_mT8_P12ihipStream_tbDpT10_ENKUlT_T0_E_clISt17integral_constantIbLb1EES1C_EEDaS17_S18_EUlS17_E_NS1_11comp_targetILNS1_3genE9ELNS1_11target_archE1100ELNS1_3gpuE3ELNS1_3repE0EEENS1_30default_config_static_selectorELNS0_4arch9wavefront6targetE0EEEvT1_,comdat
	.globl	_ZN7rocprim17ROCPRIM_400000_NS6detail17trampoline_kernelINS0_14default_configENS1_25partition_config_selectorILNS1_17partition_subalgoE8ElNS0_10empty_typeEbEEZZNS1_14partition_implILS5_8ELb0ES3_jPlPS6_PKS6_NS0_5tupleIJS9_S6_EEENSD_IJSA_SA_EEENS0_18inequality_wrapperIZN2at6native12_GLOBAL__N_124unique_dim_cuda_templateIjEESt5tupleIJNSH_6TensorESM_SM_EERKSM_lbbbEUlllE0_EEPmJS6_EEE10hipError_tPvRmT3_T4_T5_T6_T7_T9_mT8_P12ihipStream_tbDpT10_ENKUlT_T0_E_clISt17integral_constantIbLb1EES1C_EEDaS17_S18_EUlS17_E_NS1_11comp_targetILNS1_3genE9ELNS1_11target_archE1100ELNS1_3gpuE3ELNS1_3repE0EEENS1_30default_config_static_selectorELNS0_4arch9wavefront6targetE0EEEvT1_ ; -- Begin function _ZN7rocprim17ROCPRIM_400000_NS6detail17trampoline_kernelINS0_14default_configENS1_25partition_config_selectorILNS1_17partition_subalgoE8ElNS0_10empty_typeEbEEZZNS1_14partition_implILS5_8ELb0ES3_jPlPS6_PKS6_NS0_5tupleIJS9_S6_EEENSD_IJSA_SA_EEENS0_18inequality_wrapperIZN2at6native12_GLOBAL__N_124unique_dim_cuda_templateIjEESt5tupleIJNSH_6TensorESM_SM_EERKSM_lbbbEUlllE0_EEPmJS6_EEE10hipError_tPvRmT3_T4_T5_T6_T7_T9_mT8_P12ihipStream_tbDpT10_ENKUlT_T0_E_clISt17integral_constantIbLb1EES1C_EEDaS17_S18_EUlS17_E_NS1_11comp_targetILNS1_3genE9ELNS1_11target_archE1100ELNS1_3gpuE3ELNS1_3repE0EEENS1_30default_config_static_selectorELNS0_4arch9wavefront6targetE0EEEvT1_
	.p2align	8
	.type	_ZN7rocprim17ROCPRIM_400000_NS6detail17trampoline_kernelINS0_14default_configENS1_25partition_config_selectorILNS1_17partition_subalgoE8ElNS0_10empty_typeEbEEZZNS1_14partition_implILS5_8ELb0ES3_jPlPS6_PKS6_NS0_5tupleIJS9_S6_EEENSD_IJSA_SA_EEENS0_18inequality_wrapperIZN2at6native12_GLOBAL__N_124unique_dim_cuda_templateIjEESt5tupleIJNSH_6TensorESM_SM_EERKSM_lbbbEUlllE0_EEPmJS6_EEE10hipError_tPvRmT3_T4_T5_T6_T7_T9_mT8_P12ihipStream_tbDpT10_ENKUlT_T0_E_clISt17integral_constantIbLb1EES1C_EEDaS17_S18_EUlS17_E_NS1_11comp_targetILNS1_3genE9ELNS1_11target_archE1100ELNS1_3gpuE3ELNS1_3repE0EEENS1_30default_config_static_selectorELNS0_4arch9wavefront6targetE0EEEvT1_,@function
_ZN7rocprim17ROCPRIM_400000_NS6detail17trampoline_kernelINS0_14default_configENS1_25partition_config_selectorILNS1_17partition_subalgoE8ElNS0_10empty_typeEbEEZZNS1_14partition_implILS5_8ELb0ES3_jPlPS6_PKS6_NS0_5tupleIJS9_S6_EEENSD_IJSA_SA_EEENS0_18inequality_wrapperIZN2at6native12_GLOBAL__N_124unique_dim_cuda_templateIjEESt5tupleIJNSH_6TensorESM_SM_EERKSM_lbbbEUlllE0_EEPmJS6_EEE10hipError_tPvRmT3_T4_T5_T6_T7_T9_mT8_P12ihipStream_tbDpT10_ENKUlT_T0_E_clISt17integral_constantIbLb1EES1C_EEDaS17_S18_EUlS17_E_NS1_11comp_targetILNS1_3genE9ELNS1_11target_archE1100ELNS1_3gpuE3ELNS1_3repE0EEENS1_30default_config_static_selectorELNS0_4arch9wavefront6targetE0EEEvT1_: ; @_ZN7rocprim17ROCPRIM_400000_NS6detail17trampoline_kernelINS0_14default_configENS1_25partition_config_selectorILNS1_17partition_subalgoE8ElNS0_10empty_typeEbEEZZNS1_14partition_implILS5_8ELb0ES3_jPlPS6_PKS6_NS0_5tupleIJS9_S6_EEENSD_IJSA_SA_EEENS0_18inequality_wrapperIZN2at6native12_GLOBAL__N_124unique_dim_cuda_templateIjEESt5tupleIJNSH_6TensorESM_SM_EERKSM_lbbbEUlllE0_EEPmJS6_EEE10hipError_tPvRmT3_T4_T5_T6_T7_T9_mT8_P12ihipStream_tbDpT10_ENKUlT_T0_E_clISt17integral_constantIbLb1EES1C_EEDaS17_S18_EUlS17_E_NS1_11comp_targetILNS1_3genE9ELNS1_11target_archE1100ELNS1_3gpuE3ELNS1_3repE0EEENS1_30default_config_static_selectorELNS0_4arch9wavefront6targetE0EEEvT1_
; %bb.0:
	s_clause 0x2
	s_load_b64 s[20:21], s[0:1], 0x28
	s_load_b256 s[8:15], s[0:1], 0x40
	s_load_b128 s[16:19], s[0:1], 0x60
	v_cmp_ne_u32_e64 s3, 0, v0
	v_cmp_eq_u32_e64 s2, 0, v0
	s_delay_alu instid0(VALU_DEP_1)
	s_and_saveexec_b32 s4, s2
	s_cbranch_execz .LBB1553_4
; %bb.1:
	s_mov_b32 s6, exec_lo
	s_mov_b32 s5, exec_lo
	v_mbcnt_lo_u32_b32 v1, s6, 0
                                        ; implicit-def: $vgpr2
	s_delay_alu instid0(VALU_DEP_1)
	v_cmpx_eq_u32_e32 0, v1
	s_cbranch_execz .LBB1553_3
; %bb.2:
	s_load_b64 s[22:23], s[0:1], 0x78
	s_bcnt1_i32_b32 s6, s6
	s_delay_alu instid0(SALU_CYCLE_1)
	v_dual_mov_b32 v2, 0 :: v_dual_mov_b32 v3, s6
	s_waitcnt lgkmcnt(0)
	global_atomic_add_u32 v2, v2, v3, s[22:23] glc
.LBB1553_3:
	s_or_b32 exec_lo, exec_lo, s5
	s_waitcnt vmcnt(0)
	v_readfirstlane_b32 s5, v2
	s_delay_alu instid0(VALU_DEP_1)
	v_dual_mov_b32 v2, 0 :: v_dual_add_nc_u32 v1, s5, v1
	ds_store_b32 v2, v1
.LBB1553_4:
	s_or_b32 exec_lo, exec_lo, s4
	v_dual_mov_b32 v2, 0 :: v_dual_lshlrev_b32 v39, 3, v0
	s_clause 0x1
	s_load_b128 s[4:7], s[0:1], 0x8
	s_load_b32 s0, s[0:1], 0x70
	s_waitcnt lgkmcnt(0)
	s_barrier
	buffer_gl0_inv
	ds_load_b32 v1, v2
	s_waitcnt lgkmcnt(0)
	s_barrier
	buffer_gl0_inv
	global_load_b64 v[3:4], v2, s[10:11]
	v_lshrrev_b32_e32 v19, 2, v0
	v_or_b32_e32 v26, 0x200, v0
	v_or_b32_e32 v25, 0x400, v0
	;; [unrolled: 1-line block ×7, first 2 shown]
	s_lshl_b64 s[10:11], s[6:7], 3
	s_delay_alu instid0(SALU_CYCLE_1)
	s_add_u32 s10, s4, s10
	s_addc_u32 s11, s5, s11
	s_add_i32 s1, s0, -1
	v_readfirstlane_b32 s23, v1
	s_lshl_b32 s4, s1, 12
	v_lshlrev_b32_e32 v1, 12, v1
	s_lshl_b32 s5, s0, 12
	s_add_i32 s0, s6, s4
	s_add_u32 s4, s6, s5
	s_addc_u32 s5, s7, 0
	v_lshlrev_b64 v[1:2], 3, v[1:2]
	v_cmp_ge_u64_e64 s4, s[4:5], s[12:13]
	s_cmp_eq_u32 s23, s1
	s_cselect_b32 s13, -1, 0
	s_delay_alu instid0(VALU_DEP_2) | instskip(NEXT) | instid1(VALU_DEP_2)
	v_add_co_u32 v17, vcc_lo, s10, v1
	s_and_b32 s1, s4, s13
	v_add_co_ci_u32_e32 v18, vcc_lo, s11, v2, vcc_lo
	s_xor_b32 s22, s1, -1
	s_mov_b32 s4, -1
	s_and_b32 vcc_lo, exec_lo, s22
	s_waitcnt vmcnt(0)
	v_readfirstlane_b32 s10, v3
	v_readfirstlane_b32 s11, v4
	s_cbranch_vccz .LBB1553_6
; %bb.5:
	v_add_co_u32 v9, vcc_lo, v17, v39
	v_add_co_ci_u32_e32 v10, vcc_lo, 0, v18, vcc_lo
	v_readfirstlane_b32 s4, v17
	s_delay_alu instid0(VALU_DEP_3) | instskip(NEXT) | instid1(VALU_DEP_3)
	v_add_co_u32 v3, vcc_lo, v9, 0x2000
	v_add_co_ci_u32_e32 v4, vcc_lo, 0, v10, vcc_lo
	v_add_co_u32 v5, vcc_lo, v9, 0x4000
	v_add_co_ci_u32_e32 v6, vcc_lo, 0, v10, vcc_lo
	v_add_co_u32 v7, vcc_lo, v9, 0x6000
	v_readfirstlane_b32 s5, v18
	v_add_co_ci_u32_e32 v8, vcc_lo, 0, v10, vcc_lo
	v_add_co_u32 v9, vcc_lo, 0x7000, v9
	v_add_co_ci_u32_e32 v10, vcc_lo, 0, v10, vcc_lo
	s_clause 0x7
	global_load_b64 v[1:2], v39, s[4:5]
	global_load_b64 v[11:12], v[3:4], off offset:-4096
	global_load_b64 v[3:4], v[3:4], off
	global_load_b64 v[13:14], v[5:6], off offset:-4096
	global_load_b64 v[5:6], v[5:6], off
	global_load_b64 v[15:16], v[7:8], off offset:-4096
	global_load_b64 v[7:8], v[7:8], off
	global_load_b64 v[9:10], v[9:10], off
	v_lshrrev_b32_e32 v28, 2, v26
	v_lshrrev_b32_e32 v29, 2, v25
	;; [unrolled: 1-line block ×4, first 2 shown]
	v_and_b32_e32 v27, 0x78, v19
	v_lshrrev_b32_e32 v32, 2, v22
	v_lshrrev_b32_e32 v33, 2, v21
	;; [unrolled: 1-line block ×3, first 2 shown]
	v_and_b32_e32 v28, 0xf8, v28
	v_and_b32_e32 v29, 0x178, v29
	;; [unrolled: 1-line block ×4, first 2 shown]
	v_add_nc_u32_e32 v27, v27, v39
	v_and_b32_e32 v32, 0x2f8, v32
	v_and_b32_e32 v33, 0x378, v33
	;; [unrolled: 1-line block ×3, first 2 shown]
	v_add_nc_u32_e32 v28, v28, v39
	v_add_nc_u32_e32 v29, v29, v39
	;; [unrolled: 1-line block ×4, first 2 shown]
	s_mov_b32 s4, 0
	v_add_nc_u32_e32 v32, v32, v39
	v_add_nc_u32_e32 v33, v33, v39
	;; [unrolled: 1-line block ×3, first 2 shown]
	s_waitcnt vmcnt(7)
	ds_store_b64 v27, v[1:2]
	s_waitcnt vmcnt(6)
	ds_store_b64 v28, v[11:12] offset:4096
	s_waitcnt vmcnt(5)
	ds_store_b64 v29, v[3:4] offset:8192
	;; [unrolled: 2-line block ×7, first 2 shown]
	s_waitcnt lgkmcnt(0)
	s_barrier
.LBB1553_6:
	s_and_not1_b32 vcc_lo, exec_lo, s4
	s_sub_i32 s12, s12, s0
	s_cbranch_vccnz .LBB1553_17
; %bb.7:
	s_mov_b32 s0, exec_lo
                                        ; implicit-def: $vgpr1_vgpr2_vgpr3_vgpr4_vgpr5_vgpr6_vgpr7_vgpr8_vgpr9_vgpr10_vgpr11_vgpr12_vgpr13_vgpr14_vgpr15_vgpr16
	v_cmpx_gt_u32_e64 s12, v0
	s_cbranch_execnz .LBB1553_27
; %bb.8:
	s_or_b32 exec_lo, exec_lo, s0
	s_delay_alu instid0(SALU_CYCLE_1)
	s_mov_b32 s0, exec_lo
	v_cmpx_gt_u32_e64 s12, v26
	s_cbranch_execnz .LBB1553_28
.LBB1553_9:
	s_or_b32 exec_lo, exec_lo, s0
	s_delay_alu instid0(SALU_CYCLE_1)
	s_mov_b32 s0, exec_lo
	v_cmpx_gt_u32_e64 s12, v25
	s_cbranch_execnz .LBB1553_29
.LBB1553_10:
	s_or_b32 exec_lo, exec_lo, s0
	s_delay_alu instid0(SALU_CYCLE_1)
	s_mov_b32 s0, exec_lo
	v_cmpx_gt_u32_e64 s12, v24
	s_cbranch_execnz .LBB1553_30
.LBB1553_11:
	s_or_b32 exec_lo, exec_lo, s0
	s_delay_alu instid0(SALU_CYCLE_1)
	s_mov_b32 s0, exec_lo
	v_cmpx_gt_u32_e64 s12, v23
	s_cbranch_execnz .LBB1553_31
.LBB1553_12:
	s_or_b32 exec_lo, exec_lo, s0
	s_delay_alu instid0(SALU_CYCLE_1)
	s_mov_b32 s0, exec_lo
	v_cmpx_gt_u32_e64 s12, v22
	s_cbranch_execnz .LBB1553_32
.LBB1553_13:
	s_or_b32 exec_lo, exec_lo, s0
	s_delay_alu instid0(SALU_CYCLE_1)
	s_mov_b32 s0, exec_lo
	v_cmpx_gt_u32_e64 s12, v21
	s_cbranch_execnz .LBB1553_33
.LBB1553_14:
	s_or_b32 exec_lo, exec_lo, s0
	s_delay_alu instid0(SALU_CYCLE_1)
	s_mov_b32 s0, exec_lo
	v_cmpx_gt_u32_e64 s12, v20
	s_cbranch_execz .LBB1553_16
.LBB1553_15:
	v_lshlrev_b32_e32 v15, 3, v20
	v_readfirstlane_b32 s4, v17
	v_readfirstlane_b32 s5, v18
	global_load_b64 v[15:16], v15, s[4:5]
.LBB1553_16:
	s_or_b32 exec_lo, exec_lo, s0
	v_lshrrev_b32_e32 v26, 2, v26
	v_lshrrev_b32_e32 v25, 2, v25
	;; [unrolled: 1-line block ×4, first 2 shown]
	v_and_b32_e32 v27, 0x78, v19
	v_lshrrev_b32_e32 v22, 2, v22
	v_lshrrev_b32_e32 v21, 2, v21
	v_lshrrev_b32_e32 v20, 2, v20
	v_and_b32_e32 v26, 0xf8, v26
	v_and_b32_e32 v25, 0x1f8, v25
	;; [unrolled: 1-line block ×4, first 2 shown]
	v_add_nc_u32_e32 v27, v27, v39
	v_and_b32_e32 v22, 0x3f8, v22
	v_and_b32_e32 v21, 0x3f8, v21
	;; [unrolled: 1-line block ×3, first 2 shown]
	v_add_nc_u32_e32 v26, v26, v39
	v_add_nc_u32_e32 v25, v25, v39
	v_add_nc_u32_e32 v24, v24, v39
	v_add_nc_u32_e32 v23, v23, v39
	v_add_nc_u32_e32 v22, v22, v39
	v_add_nc_u32_e32 v21, v21, v39
	v_add_nc_u32_e32 v20, v20, v39
	s_waitcnt vmcnt(0)
	ds_store_b64 v27, v[1:2]
	ds_store_b64 v26, v[3:4] offset:4096
	ds_store_b64 v25, v[5:6] offset:8192
	;; [unrolled: 1-line block ×7, first 2 shown]
	s_waitcnt lgkmcnt(0)
	s_barrier
.LBB1553_17:
	v_add_lshl_u32 v1, v19, v39, 3
	buffer_gl0_inv
	s_cmp_lg_u32 s23, 0
	v_cmp_gt_i64_e64 s26, s[14:15], 0
	s_cselect_b32 s24, -1, 0
	ds_load_2addr_b64 v[13:16], v1 offset1:1
	ds_load_2addr_b64 v[9:12], v1 offset0:2 offset1:3
	ds_load_2addr_b64 v[5:8], v1 offset0:4 offset1:5
	;; [unrolled: 1-line block ×3, first 2 shown]
	s_cmp_lg_u64 s[6:7], 0
	s_mov_b32 s25, 0
	s_cselect_b32 s0, -1, 0
	s_waitcnt lgkmcnt(0)
	s_or_b32 s0, s0, s24
	s_barrier
	s_and_b32 vcc_lo, exec_lo, s0
	buffer_gl0_inv
	s_cbranch_vccz .LBB1553_26
; %bb.18:
	global_load_b64 v[17:18], v[17:18], off offset:-8
	v_cndmask_b32_e64 v27, 0, 1, s26
	s_and_b32 vcc_lo, exec_lo, s22
	ds_store_b64 v39, v[3:4]
	v_cmp_ne_u32_e64 s0, 1, v27
	s_cbranch_vccz .LBB1553_34
; %bb.19:
	v_mul_lo_u32 v21, v2, s14
	v_mul_lo_u32 v22, v1, s15
	v_mad_u64_u32 v[19:20], null, v1, s14, 0
	s_and_b32 vcc_lo, exec_lo, s0
	s_mov_b32 s27, 0
	s_delay_alu instid0(VALU_DEP_1) | instskip(NEXT) | instid1(VALU_DEP_1)
	v_add3_u32 v20, v20, v22, v21
	v_lshlrev_b64 v[19:20], 2, v[19:20]
	s_cbranch_vccnz .LBB1553_37
; %bb.20:
	v_mul_lo_u32 v23, v4, s14
	v_mul_lo_u32 v24, v3, s15
	v_mad_u64_u32 v[21:22], null, v3, s14, 0
	s_mov_b32 s27, -1
	s_mov_b32 s28, exec_lo
	s_delay_alu instid0(VALU_DEP_1) | instskip(SKIP_2) | instid1(VALU_DEP_3)
	v_add3_u32 v22, v22, v24, v23
	v_add_co_u32 v23, vcc_lo, s16, v19
	v_add_co_ci_u32_e32 v24, vcc_lo, s17, v20, vcc_lo
	v_lshlrev_b64 v[21:22], 2, v[21:22]
	s_delay_alu instid0(VALU_DEP_1) | instskip(NEXT) | instid1(VALU_DEP_2)
	v_add_co_u32 v21, vcc_lo, s16, v21
	v_add_co_ci_u32_e32 v22, vcc_lo, s17, v22, vcc_lo
	s_clause 0x1
	global_load_b32 v25, v[23:24], off
	global_load_b32 v26, v[21:22], off
	s_waitcnt vmcnt(0)
	v_cmpx_eq_u32_e64 v25, v26
	s_cbranch_execz .LBB1553_36
; %bb.21:
	v_add_co_u32 v21, vcc_lo, v21, 4
	v_add_co_ci_u32_e32 v22, vcc_lo, 0, v22, vcc_lo
	v_add_co_u32 v23, vcc_lo, v23, 4
	v_add_co_ci_u32_e32 v24, vcc_lo, 0, v24, vcc_lo
	s_add_u32 s4, s14, -1
	s_addc_u32 s5, s15, -1
	s_mov_b64 s[6:7], 0
	s_mov_b32 s27, 0
                                        ; implicit-def: $sgpr29
	s_set_inst_prefetch_distance 0x1
	s_branch .LBB1553_24
	.p2align	6
.LBB1553_22:                            ;   in Loop: Header=BB1553_24 Depth=1
	global_load_b32 v25, v[23:24], off
	global_load_b32 v26, v[21:22], off
	v_add_co_u32 v21, vcc_lo, v21, 4
	v_add_co_ci_u32_e32 v22, vcc_lo, 0, v22, vcc_lo
	v_add_co_u32 v23, s0, v23, 4
	s_delay_alu instid0(VALU_DEP_1)
	v_add_co_ci_u32_e64 v24, s0, 0, v24, s0
	s_add_u32 s6, s6, 1
	s_addc_u32 s7, s7, 0
	s_and_not1_b32 s0, s29, exec_lo
	s_waitcnt vmcnt(0)
	v_cmp_ne_u32_e32 vcc_lo, v25, v26
	s_and_b32 s29, vcc_lo, exec_lo
	s_delay_alu instid0(SALU_CYCLE_1)
	s_or_b32 s29, s0, s29
.LBB1553_23:                            ;   in Loop: Header=BB1553_24 Depth=1
	v_dual_mov_b32 v26, s7 :: v_dual_mov_b32 v25, s6
	s_and_b32 s0, exec_lo, s29
	s_delay_alu instid0(SALU_CYCLE_1) | instskip(NEXT) | instid1(SALU_CYCLE_1)
	s_or_b32 s27, s0, s27
	s_and_not1_b32 exec_lo, exec_lo, s27
	s_cbranch_execz .LBB1553_35
.LBB1553_24:                            ; =>This Inner Loop Header: Depth=1
	s_or_b32 s29, s29, exec_lo
	s_cmp_eq_u64 s[4:5], s[6:7]
	s_cbranch_scc0 .LBB1553_22
; %bb.25:                               ;   in Loop: Header=BB1553_24 Depth=1
	s_mov_b64 s[6:7], s[14:15]
                                        ; implicit-def: $vgpr21_vgpr22
                                        ; implicit-def: $vgpr23_vgpr24
	s_branch .LBB1553_23
.LBB1553_26:
                                        ; implicit-def: $sgpr0
                                        ; implicit-def: $vgpr20
	s_branch .LBB1553_195
.LBB1553_27:
	v_readfirstlane_b32 s4, v17
	v_readfirstlane_b32 s5, v18
	global_load_b64 v[1:2], v39, s[4:5]
	s_or_b32 exec_lo, exec_lo, s0
	s_delay_alu instid0(SALU_CYCLE_1)
	s_mov_b32 s0, exec_lo
	v_cmpx_gt_u32_e64 s12, v26
	s_cbranch_execz .LBB1553_9
.LBB1553_28:
	v_lshlrev_b32_e32 v3, 3, v26
	v_readfirstlane_b32 s4, v17
	v_readfirstlane_b32 s5, v18
	global_load_b64 v[3:4], v3, s[4:5]
	s_or_b32 exec_lo, exec_lo, s0
	s_delay_alu instid0(SALU_CYCLE_1)
	s_mov_b32 s0, exec_lo
	v_cmpx_gt_u32_e64 s12, v25
	s_cbranch_execz .LBB1553_10
.LBB1553_29:
	v_lshlrev_b32_e32 v5, 3, v25
	v_readfirstlane_b32 s4, v17
	v_readfirstlane_b32 s5, v18
	global_load_b64 v[5:6], v5, s[4:5]
	s_or_b32 exec_lo, exec_lo, s0
	s_delay_alu instid0(SALU_CYCLE_1)
	s_mov_b32 s0, exec_lo
	v_cmpx_gt_u32_e64 s12, v24
	s_cbranch_execz .LBB1553_11
.LBB1553_30:
	v_lshlrev_b32_e32 v7, 3, v24
	v_readfirstlane_b32 s4, v17
	v_readfirstlane_b32 s5, v18
	global_load_b64 v[7:8], v7, s[4:5]
	s_or_b32 exec_lo, exec_lo, s0
	s_delay_alu instid0(SALU_CYCLE_1)
	s_mov_b32 s0, exec_lo
	v_cmpx_gt_u32_e64 s12, v23
	s_cbranch_execz .LBB1553_12
.LBB1553_31:
	v_lshlrev_b32_e32 v9, 3, v23
	v_readfirstlane_b32 s4, v17
	v_readfirstlane_b32 s5, v18
	global_load_b64 v[9:10], v9, s[4:5]
	s_or_b32 exec_lo, exec_lo, s0
	s_delay_alu instid0(SALU_CYCLE_1)
	s_mov_b32 s0, exec_lo
	v_cmpx_gt_u32_e64 s12, v22
	s_cbranch_execz .LBB1553_13
.LBB1553_32:
	v_lshlrev_b32_e32 v11, 3, v22
	v_readfirstlane_b32 s4, v17
	v_readfirstlane_b32 s5, v18
	global_load_b64 v[11:12], v11, s[4:5]
	s_or_b32 exec_lo, exec_lo, s0
	s_delay_alu instid0(SALU_CYCLE_1)
	s_mov_b32 s0, exec_lo
	v_cmpx_gt_u32_e64 s12, v21
	s_cbranch_execz .LBB1553_14
.LBB1553_33:
	v_lshlrev_b32_e32 v13, 3, v21
	v_readfirstlane_b32 s4, v17
	v_readfirstlane_b32 s5, v18
	global_load_b64 v[13:14], v13, s[4:5]
	s_or_b32 exec_lo, exec_lo, s0
	s_delay_alu instid0(SALU_CYCLE_1)
	s_mov_b32 s0, exec_lo
	v_cmpx_gt_u32_e64 s12, v20
	s_cbranch_execnz .LBB1553_15
	s_branch .LBB1553_16
.LBB1553_34:
                                        ; implicit-def: $sgpr0
                                        ; implicit-def: $vgpr20
	s_cbranch_execnz .LBB1553_103
	s_branch .LBB1553_194
.LBB1553_35:
	s_set_inst_prefetch_distance 0x2
	s_or_b32 exec_lo, exec_lo, s27
	v_cmp_gt_i64_e32 vcc_lo, s[14:15], v[25:26]
	s_or_not1_b32 s27, vcc_lo, exec_lo
.LBB1553_36:
	s_or_b32 exec_lo, exec_lo, s28
.LBB1553_37:
	v_mul_lo_u32 v23, v8, s14
	v_mul_lo_u32 v24, v7, s15
	v_mad_u64_u32 v[21:22], null, v7, s14, 0
	s_and_not1_b32 vcc_lo, exec_lo, s26
	s_delay_alu instid0(VALU_DEP_1) | instskip(NEXT) | instid1(VALU_DEP_1)
	v_add3_u32 v22, v22, v24, v23
	v_lshlrev_b64 v[21:22], 2, v[21:22]
	s_cbranch_vccnz .LBB1553_46
; %bb.38:
	s_delay_alu instid0(VALU_DEP_1) | instskip(NEXT) | instid1(VALU_DEP_2)
	v_add_co_u32 v23, vcc_lo, s16, v21
	v_add_co_ci_u32_e32 v24, vcc_lo, s17, v22, vcc_lo
	v_add_co_u32 v19, vcc_lo, s16, v19
	v_add_co_ci_u32_e32 v20, vcc_lo, s17, v20, vcc_lo
	s_mov_b32 s25, -1
	s_clause 0x1
	global_load_b32 v25, v[23:24], off
	global_load_b32 v26, v[19:20], off
	s_mov_b32 s28, exec_lo
	s_waitcnt vmcnt(0)
	v_cmpx_eq_u32_e64 v25, v26
	s_cbranch_execz .LBB1553_45
; %bb.39:
	v_add_co_u32 v19, vcc_lo, v19, 4
	v_add_co_ci_u32_e32 v20, vcc_lo, 0, v20, vcc_lo
	v_add_co_u32 v23, vcc_lo, v23, 4
	v_add_co_ci_u32_e32 v24, vcc_lo, 0, v24, vcc_lo
	s_add_u32 s4, s14, -1
	s_addc_u32 s5, s15, -1
	s_mov_b64 s[6:7], 0
	s_mov_b32 s25, 0
                                        ; implicit-def: $sgpr29
	s_set_inst_prefetch_distance 0x1
	s_branch .LBB1553_42
	.p2align	6
.LBB1553_40:                            ;   in Loop: Header=BB1553_42 Depth=1
	global_load_b32 v25, v[23:24], off
	global_load_b32 v26, v[19:20], off
	v_add_co_u32 v19, vcc_lo, v19, 4
	v_add_co_ci_u32_e32 v20, vcc_lo, 0, v20, vcc_lo
	v_add_co_u32 v23, s0, v23, 4
	s_delay_alu instid0(VALU_DEP_1)
	v_add_co_ci_u32_e64 v24, s0, 0, v24, s0
	s_add_u32 s6, s6, 1
	s_addc_u32 s7, s7, 0
	s_and_not1_b32 s0, s29, exec_lo
	s_waitcnt vmcnt(0)
	v_cmp_ne_u32_e32 vcc_lo, v25, v26
	s_and_b32 s29, vcc_lo, exec_lo
	s_delay_alu instid0(SALU_CYCLE_1)
	s_or_b32 s29, s0, s29
.LBB1553_41:                            ;   in Loop: Header=BB1553_42 Depth=1
	v_dual_mov_b32 v26, s7 :: v_dual_mov_b32 v25, s6
	s_and_b32 s0, exec_lo, s29
	s_delay_alu instid0(SALU_CYCLE_1) | instskip(NEXT) | instid1(SALU_CYCLE_1)
	s_or_b32 s25, s0, s25
	s_and_not1_b32 exec_lo, exec_lo, s25
	s_cbranch_execz .LBB1553_44
.LBB1553_42:                            ; =>This Inner Loop Header: Depth=1
	s_or_b32 s29, s29, exec_lo
	s_cmp_eq_u64 s[4:5], s[6:7]
	s_cbranch_scc0 .LBB1553_40
; %bb.43:                               ;   in Loop: Header=BB1553_42 Depth=1
	s_mov_b64 s[6:7], s[14:15]
                                        ; implicit-def: $vgpr19_vgpr20
                                        ; implicit-def: $vgpr23_vgpr24
	s_branch .LBB1553_41
.LBB1553_44:
	s_set_inst_prefetch_distance 0x2
	s_or_b32 exec_lo, exec_lo, s25
	v_cmp_gt_i64_e32 vcc_lo, s[14:15], v[25:26]
	s_or_not1_b32 s25, vcc_lo, exec_lo
.LBB1553_45:
	s_or_b32 exec_lo, exec_lo, s28
.LBB1553_46:
	v_mul_lo_u32 v23, v6, s14
	v_mul_lo_u32 v24, v5, s15
	v_mad_u64_u32 v[19:20], null, v5, s14, 0
	s_mov_b32 s28, 0
	s_and_not1_b32 vcc_lo, exec_lo, s26
	s_mov_b32 s29, 0
	s_delay_alu instid0(VALU_DEP_1) | instskip(NEXT) | instid1(VALU_DEP_1)
	v_add3_u32 v20, v20, v24, v23
	v_lshlrev_b64 v[23:24], 2, v[19:20]
	s_cbranch_vccnz .LBB1553_55
; %bb.47:
	s_delay_alu instid0(VALU_DEP_1) | instskip(NEXT) | instid1(VALU_DEP_2)
	v_add_co_u32 v25, vcc_lo, s16, v23
	v_add_co_ci_u32_e32 v26, vcc_lo, s17, v24, vcc_lo
	v_add_co_u32 v19, vcc_lo, s16, v21
	v_add_co_ci_u32_e32 v20, vcc_lo, s17, v22, vcc_lo
	s_mov_b32 s29, -1
	s_clause 0x1
	global_load_b32 v21, v[25:26], off
	global_load_b32 v22, v[19:20], off
	s_mov_b32 s30, exec_lo
	s_waitcnt vmcnt(0)
	v_cmpx_eq_u32_e64 v21, v22
	s_cbranch_execz .LBB1553_54
; %bb.48:
	v_add_co_u32 v19, vcc_lo, v19, 4
	v_add_co_ci_u32_e32 v20, vcc_lo, 0, v20, vcc_lo
	v_add_co_u32 v21, vcc_lo, v25, 4
	v_add_co_ci_u32_e32 v22, vcc_lo, 0, v26, vcc_lo
	s_add_u32 s4, s14, -1
	s_addc_u32 s5, s15, -1
	s_mov_b64 s[6:7], 0
	s_mov_b32 s29, 0
                                        ; implicit-def: $sgpr31
	s_set_inst_prefetch_distance 0x1
	s_branch .LBB1553_51
	.p2align	6
.LBB1553_49:                            ;   in Loop: Header=BB1553_51 Depth=1
	global_load_b32 v25, v[21:22], off
	global_load_b32 v26, v[19:20], off
	v_add_co_u32 v19, vcc_lo, v19, 4
	v_add_co_ci_u32_e32 v20, vcc_lo, 0, v20, vcc_lo
	v_add_co_u32 v21, s0, v21, 4
	s_delay_alu instid0(VALU_DEP_1)
	v_add_co_ci_u32_e64 v22, s0, 0, v22, s0
	s_add_u32 s6, s6, 1
	s_addc_u32 s7, s7, 0
	s_and_not1_b32 s0, s31, exec_lo
	s_waitcnt vmcnt(0)
	v_cmp_ne_u32_e32 vcc_lo, v25, v26
	s_and_b32 s31, vcc_lo, exec_lo
	s_delay_alu instid0(SALU_CYCLE_1)
	s_or_b32 s31, s0, s31
.LBB1553_50:                            ;   in Loop: Header=BB1553_51 Depth=1
	v_dual_mov_b32 v26, s7 :: v_dual_mov_b32 v25, s6
	s_and_b32 s0, exec_lo, s31
	s_delay_alu instid0(SALU_CYCLE_1) | instskip(NEXT) | instid1(SALU_CYCLE_1)
	s_or_b32 s29, s0, s29
	s_and_not1_b32 exec_lo, exec_lo, s29
	s_cbranch_execz .LBB1553_53
.LBB1553_51:                            ; =>This Inner Loop Header: Depth=1
	s_or_b32 s31, s31, exec_lo
	s_cmp_eq_u64 s[4:5], s[6:7]
	s_cbranch_scc0 .LBB1553_49
; %bb.52:                               ;   in Loop: Header=BB1553_51 Depth=1
	s_mov_b64 s[6:7], s[14:15]
                                        ; implicit-def: $vgpr19_vgpr20
                                        ; implicit-def: $vgpr21_vgpr22
	s_branch .LBB1553_50
.LBB1553_53:
	s_set_inst_prefetch_distance 0x2
	s_or_b32 exec_lo, exec_lo, s29
	v_cmp_gt_i64_e32 vcc_lo, s[14:15], v[25:26]
	s_or_not1_b32 s29, vcc_lo, exec_lo
.LBB1553_54:
	s_or_b32 exec_lo, exec_lo, s30
.LBB1553_55:
	v_mul_lo_u32 v21, v12, s14
	v_mul_lo_u32 v22, v11, s15
	v_mad_u64_u32 v[19:20], null, v11, s14, 0
	s_and_not1_b32 vcc_lo, exec_lo, s26
	s_delay_alu instid0(VALU_DEP_1) | instskip(NEXT) | instid1(VALU_DEP_1)
	v_add3_u32 v20, v20, v22, v21
	v_lshlrev_b64 v[19:20], 2, v[19:20]
	s_cbranch_vccnz .LBB1553_64
; %bb.56:
	s_delay_alu instid0(VALU_DEP_1) | instskip(NEXT) | instid1(VALU_DEP_2)
	v_add_co_u32 v25, vcc_lo, s16, v19
	v_add_co_ci_u32_e32 v26, vcc_lo, s17, v20, vcc_lo
	v_add_co_u32 v21, vcc_lo, s16, v23
	v_add_co_ci_u32_e32 v22, vcc_lo, s17, v24, vcc_lo
	s_mov_b32 s28, -1
	s_clause 0x1
	global_load_b32 v23, v[25:26], off
	global_load_b32 v24, v[21:22], off
	s_mov_b32 s30, exec_lo
	s_waitcnt vmcnt(0)
	v_cmpx_eq_u32_e64 v23, v24
	s_cbranch_execz .LBB1553_63
; %bb.57:
	v_add_co_u32 v21, vcc_lo, v21, 4
	v_add_co_ci_u32_e32 v22, vcc_lo, 0, v22, vcc_lo
	v_add_co_u32 v23, vcc_lo, v25, 4
	v_add_co_ci_u32_e32 v24, vcc_lo, 0, v26, vcc_lo
	s_add_u32 s4, s14, -1
	s_addc_u32 s5, s15, -1
	s_mov_b64 s[6:7], 0
	s_mov_b32 s28, 0
                                        ; implicit-def: $sgpr31
	s_set_inst_prefetch_distance 0x1
	s_branch .LBB1553_60
	.p2align	6
.LBB1553_58:                            ;   in Loop: Header=BB1553_60 Depth=1
	global_load_b32 v25, v[23:24], off
	global_load_b32 v26, v[21:22], off
	v_add_co_u32 v21, vcc_lo, v21, 4
	v_add_co_ci_u32_e32 v22, vcc_lo, 0, v22, vcc_lo
	v_add_co_u32 v23, s0, v23, 4
	s_delay_alu instid0(VALU_DEP_1)
	v_add_co_ci_u32_e64 v24, s0, 0, v24, s0
	s_add_u32 s6, s6, 1
	s_addc_u32 s7, s7, 0
	s_and_not1_b32 s0, s31, exec_lo
	s_waitcnt vmcnt(0)
	v_cmp_ne_u32_e32 vcc_lo, v25, v26
	s_and_b32 s31, vcc_lo, exec_lo
	s_delay_alu instid0(SALU_CYCLE_1)
	s_or_b32 s31, s0, s31
.LBB1553_59:                            ;   in Loop: Header=BB1553_60 Depth=1
	v_dual_mov_b32 v26, s7 :: v_dual_mov_b32 v25, s6
	s_and_b32 s0, exec_lo, s31
	s_delay_alu instid0(SALU_CYCLE_1) | instskip(NEXT) | instid1(SALU_CYCLE_1)
	s_or_b32 s28, s0, s28
	s_and_not1_b32 exec_lo, exec_lo, s28
	s_cbranch_execz .LBB1553_62
.LBB1553_60:                            ; =>This Inner Loop Header: Depth=1
	s_or_b32 s31, s31, exec_lo
	s_cmp_eq_u64 s[4:5], s[6:7]
	s_cbranch_scc0 .LBB1553_58
; %bb.61:                               ;   in Loop: Header=BB1553_60 Depth=1
	s_mov_b64 s[6:7], s[14:15]
                                        ; implicit-def: $vgpr21_vgpr22
                                        ; implicit-def: $vgpr23_vgpr24
	s_branch .LBB1553_59
.LBB1553_62:
	s_set_inst_prefetch_distance 0x2
	s_or_b32 exec_lo, exec_lo, s28
	v_cmp_gt_i64_e32 vcc_lo, s[14:15], v[25:26]
	s_or_not1_b32 s28, vcc_lo, exec_lo
.LBB1553_63:
	s_or_b32 exec_lo, exec_lo, s30
.LBB1553_64:
	v_mul_lo_u32 v23, v10, s14
	v_mul_lo_u32 v24, v9, s15
	v_mad_u64_u32 v[21:22], null, v9, s14, 0
	s_mov_b32 s30, 0
	s_and_not1_b32 vcc_lo, exec_lo, s26
	s_mov_b32 s31, 0
	s_delay_alu instid0(VALU_DEP_1) | instskip(NEXT) | instid1(VALU_DEP_1)
	v_add3_u32 v22, v22, v24, v23
	v_lshlrev_b64 v[23:24], 2, v[21:22]
	s_cbranch_vccnz .LBB1553_73
; %bb.65:
	s_delay_alu instid0(VALU_DEP_1) | instskip(NEXT) | instid1(VALU_DEP_2)
	v_add_co_u32 v21, vcc_lo, s16, v23
	v_add_co_ci_u32_e32 v22, vcc_lo, s17, v24, vcc_lo
	v_add_co_u32 v19, vcc_lo, s16, v19
	v_add_co_ci_u32_e32 v20, vcc_lo, s17, v20, vcc_lo
	s_mov_b32 s31, -1
	s_clause 0x1
	global_load_b32 v25, v[21:22], off
	global_load_b32 v26, v[19:20], off
	s_mov_b32 s33, exec_lo
	s_waitcnt vmcnt(0)
	v_cmpx_eq_u32_e64 v25, v26
	s_cbranch_execz .LBB1553_72
; %bb.66:
	v_add_co_u32 v19, vcc_lo, v19, 4
	v_add_co_ci_u32_e32 v20, vcc_lo, 0, v20, vcc_lo
	v_add_co_u32 v21, vcc_lo, v21, 4
	v_add_co_ci_u32_e32 v22, vcc_lo, 0, v22, vcc_lo
	s_add_u32 s4, s14, -1
	s_addc_u32 s5, s15, -1
	s_mov_b64 s[6:7], 0
	s_mov_b32 s31, 0
                                        ; implicit-def: $sgpr34
	s_set_inst_prefetch_distance 0x1
	s_branch .LBB1553_69
	.p2align	6
.LBB1553_67:                            ;   in Loop: Header=BB1553_69 Depth=1
	global_load_b32 v25, v[21:22], off
	global_load_b32 v26, v[19:20], off
	v_add_co_u32 v19, vcc_lo, v19, 4
	v_add_co_ci_u32_e32 v20, vcc_lo, 0, v20, vcc_lo
	v_add_co_u32 v21, s0, v21, 4
	s_delay_alu instid0(VALU_DEP_1)
	v_add_co_ci_u32_e64 v22, s0, 0, v22, s0
	s_add_u32 s6, s6, 1
	s_addc_u32 s7, s7, 0
	s_and_not1_b32 s0, s34, exec_lo
	s_waitcnt vmcnt(0)
	v_cmp_ne_u32_e32 vcc_lo, v25, v26
	s_and_b32 s34, vcc_lo, exec_lo
	s_delay_alu instid0(SALU_CYCLE_1)
	s_or_b32 s34, s0, s34
.LBB1553_68:                            ;   in Loop: Header=BB1553_69 Depth=1
	v_dual_mov_b32 v26, s7 :: v_dual_mov_b32 v25, s6
	s_and_b32 s0, exec_lo, s34
	s_delay_alu instid0(SALU_CYCLE_1) | instskip(NEXT) | instid1(SALU_CYCLE_1)
	s_or_b32 s31, s0, s31
	s_and_not1_b32 exec_lo, exec_lo, s31
	s_cbranch_execz .LBB1553_71
.LBB1553_69:                            ; =>This Inner Loop Header: Depth=1
	s_or_b32 s34, s34, exec_lo
	s_cmp_eq_u64 s[4:5], s[6:7]
	s_cbranch_scc0 .LBB1553_67
; %bb.70:                               ;   in Loop: Header=BB1553_69 Depth=1
	s_mov_b64 s[6:7], s[14:15]
                                        ; implicit-def: $vgpr19_vgpr20
                                        ; implicit-def: $vgpr21_vgpr22
	s_branch .LBB1553_68
.LBB1553_71:
	s_set_inst_prefetch_distance 0x2
	s_or_b32 exec_lo, exec_lo, s31
	v_cmp_gt_i64_e32 vcc_lo, s[14:15], v[25:26]
	s_or_not1_b32 s31, vcc_lo, exec_lo
.LBB1553_72:
	s_or_b32 exec_lo, exec_lo, s33
.LBB1553_73:
	v_mul_lo_u32 v21, v16, s14
	v_mul_lo_u32 v22, v15, s15
	v_mad_u64_u32 v[19:20], null, v15, s14, 0
	s_and_not1_b32 vcc_lo, exec_lo, s26
	s_delay_alu instid0(VALU_DEP_1) | instskip(NEXT) | instid1(VALU_DEP_1)
	v_add3_u32 v20, v20, v22, v21
	v_lshlrev_b64 v[21:22], 2, v[19:20]
	s_cbranch_vccnz .LBB1553_82
; %bb.74:
	s_delay_alu instid0(VALU_DEP_1) | instskip(NEXT) | instid1(VALU_DEP_2)
	v_add_co_u32 v25, vcc_lo, s16, v21
	v_add_co_ci_u32_e32 v26, vcc_lo, s17, v22, vcc_lo
	v_add_co_u32 v19, vcc_lo, s16, v23
	v_add_co_ci_u32_e32 v20, vcc_lo, s17, v24, vcc_lo
	s_mov_b32 s30, -1
	s_clause 0x1
	global_load_b32 v23, v[25:26], off
	global_load_b32 v24, v[19:20], off
	s_mov_b32 s33, exec_lo
	s_waitcnt vmcnt(0)
	v_cmpx_eq_u32_e64 v23, v24
	s_cbranch_execz .LBB1553_81
; %bb.75:
	v_add_co_u32 v19, vcc_lo, v19, 4
	v_add_co_ci_u32_e32 v20, vcc_lo, 0, v20, vcc_lo
	v_add_co_u32 v23, vcc_lo, v25, 4
	v_add_co_ci_u32_e32 v24, vcc_lo, 0, v26, vcc_lo
	s_add_u32 s4, s14, -1
	s_addc_u32 s5, s15, -1
	s_mov_b64 s[6:7], 0
	s_mov_b32 s30, 0
                                        ; implicit-def: $sgpr34
	s_set_inst_prefetch_distance 0x1
	s_branch .LBB1553_78
	.p2align	6
.LBB1553_76:                            ;   in Loop: Header=BB1553_78 Depth=1
	global_load_b32 v25, v[23:24], off
	global_load_b32 v26, v[19:20], off
	v_add_co_u32 v19, vcc_lo, v19, 4
	v_add_co_ci_u32_e32 v20, vcc_lo, 0, v20, vcc_lo
	v_add_co_u32 v23, s0, v23, 4
	s_delay_alu instid0(VALU_DEP_1)
	v_add_co_ci_u32_e64 v24, s0, 0, v24, s0
	s_add_u32 s6, s6, 1
	s_addc_u32 s7, s7, 0
	s_and_not1_b32 s0, s34, exec_lo
	s_waitcnt vmcnt(0)
	v_cmp_ne_u32_e32 vcc_lo, v25, v26
	s_and_b32 s34, vcc_lo, exec_lo
	s_delay_alu instid0(SALU_CYCLE_1)
	s_or_b32 s34, s0, s34
.LBB1553_77:                            ;   in Loop: Header=BB1553_78 Depth=1
	v_dual_mov_b32 v26, s7 :: v_dual_mov_b32 v25, s6
	s_and_b32 s0, exec_lo, s34
	s_delay_alu instid0(SALU_CYCLE_1) | instskip(NEXT) | instid1(SALU_CYCLE_1)
	s_or_b32 s30, s0, s30
	s_and_not1_b32 exec_lo, exec_lo, s30
	s_cbranch_execz .LBB1553_80
.LBB1553_78:                            ; =>This Inner Loop Header: Depth=1
	s_or_b32 s34, s34, exec_lo
	s_cmp_eq_u64 s[4:5], s[6:7]
	s_cbranch_scc0 .LBB1553_76
; %bb.79:                               ;   in Loop: Header=BB1553_78 Depth=1
	s_mov_b64 s[6:7], s[14:15]
                                        ; implicit-def: $vgpr19_vgpr20
                                        ; implicit-def: $vgpr23_vgpr24
	s_branch .LBB1553_77
.LBB1553_80:
	s_set_inst_prefetch_distance 0x2
	s_or_b32 exec_lo, exec_lo, s30
	v_cmp_gt_i64_e32 vcc_lo, s[14:15], v[25:26]
	s_or_not1_b32 s30, vcc_lo, exec_lo
.LBB1553_81:
	s_or_b32 exec_lo, exec_lo, s33
.LBB1553_82:
	v_mul_lo_u32 v23, v14, s14
	v_mul_lo_u32 v24, v13, s15
	v_mad_u64_u32 v[19:20], null, v13, s14, 0
	s_and_not1_b32 vcc_lo, exec_lo, s26
	s_mov_b32 s0, 0
	s_delay_alu instid0(VALU_DEP_1) | instskip(NEXT) | instid1(VALU_DEP_1)
	v_add3_u32 v20, v20, v24, v23
	v_lshlrev_b64 v[19:20], 2, v[19:20]
	s_cbranch_vccnz .LBB1553_91
; %bb.83:
	s_delay_alu instid0(VALU_DEP_1) | instskip(NEXT) | instid1(VALU_DEP_2)
	v_add_co_u32 v23, vcc_lo, s16, v19
	v_add_co_ci_u32_e32 v24, vcc_lo, s17, v20, vcc_lo
	v_add_co_u32 v21, vcc_lo, s16, v21
	v_add_co_ci_u32_e32 v22, vcc_lo, s17, v22, vcc_lo
	s_mov_b32 s0, -1
	s_clause 0x1
	global_load_b32 v25, v[23:24], off
	global_load_b32 v26, v[21:22], off
	s_mov_b32 s33, exec_lo
	s_waitcnt vmcnt(0)
	v_cmpx_eq_u32_e64 v25, v26
	s_cbranch_execz .LBB1553_90
; %bb.84:
	v_add_co_u32 v21, vcc_lo, v21, 4
	v_add_co_ci_u32_e32 v22, vcc_lo, 0, v22, vcc_lo
	v_add_co_u32 v23, vcc_lo, v23, 4
	v_add_co_ci_u32_e32 v24, vcc_lo, 0, v24, vcc_lo
	s_add_u32 s4, s14, -1
	s_addc_u32 s5, s15, -1
	s_mov_b64 s[6:7], 0
	s_mov_b32 s34, 0
                                        ; implicit-def: $sgpr35
	s_set_inst_prefetch_distance 0x1
	s_branch .LBB1553_87
	.p2align	6
.LBB1553_85:                            ;   in Loop: Header=BB1553_87 Depth=1
	global_load_b32 v25, v[23:24], off
	global_load_b32 v26, v[21:22], off
	v_add_co_u32 v21, vcc_lo, v21, 4
	v_add_co_ci_u32_e32 v22, vcc_lo, 0, v22, vcc_lo
	v_add_co_u32 v23, s0, v23, 4
	s_delay_alu instid0(VALU_DEP_1)
	v_add_co_ci_u32_e64 v24, s0, 0, v24, s0
	s_add_u32 s6, s6, 1
	s_addc_u32 s7, s7, 0
	s_and_not1_b32 s0, s35, exec_lo
	s_waitcnt vmcnt(0)
	v_cmp_ne_u32_e32 vcc_lo, v25, v26
	s_and_b32 s35, vcc_lo, exec_lo
	s_delay_alu instid0(SALU_CYCLE_1)
	s_or_b32 s35, s0, s35
.LBB1553_86:                            ;   in Loop: Header=BB1553_87 Depth=1
	v_dual_mov_b32 v26, s7 :: v_dual_mov_b32 v25, s6
	s_and_b32 s0, exec_lo, s35
	s_delay_alu instid0(SALU_CYCLE_1) | instskip(NEXT) | instid1(SALU_CYCLE_1)
	s_or_b32 s34, s0, s34
	s_and_not1_b32 exec_lo, exec_lo, s34
	s_cbranch_execz .LBB1553_89
.LBB1553_87:                            ; =>This Inner Loop Header: Depth=1
	s_or_b32 s35, s35, exec_lo
	s_cmp_eq_u64 s[4:5], s[6:7]
	s_cbranch_scc0 .LBB1553_85
; %bb.88:                               ;   in Loop: Header=BB1553_87 Depth=1
	s_mov_b64 s[6:7], s[14:15]
                                        ; implicit-def: $vgpr21_vgpr22
                                        ; implicit-def: $vgpr23_vgpr24
	s_branch .LBB1553_86
.LBB1553_89:
	s_set_inst_prefetch_distance 0x2
	s_or_b32 exec_lo, exec_lo, s34
	v_cmp_gt_i64_e32 vcc_lo, s[14:15], v[25:26]
	s_or_not1_b32 s0, vcc_lo, exec_lo
.LBB1553_90:
	s_or_b32 exec_lo, exec_lo, s33
.LBB1553_91:
	s_waitcnt vmcnt(0)
	v_dual_mov_b32 v22, v18 :: v_dual_mov_b32 v21, v17
	s_waitcnt lgkmcnt(0)
	s_barrier
	buffer_gl0_inv
	s_and_saveexec_b32 s4, s3
	s_cbranch_execz .LBB1553_93
; %bb.92:
	v_add_nc_u32_e32 v21, -8, v39
	ds_load_b64 v[21:22], v21
.LBB1553_93:
	s_or_b32 exec_lo, exec_lo, s4
	v_cndmask_b32_e64 v24, 0, 1, s31
	v_cndmask_b32_e64 v26, 0, 1, s29
	v_cndmask_b32_e64 v28, 0, 1, s27
	v_cndmask_b32_e64 v23, 0, 1, s30
	v_cndmask_b32_e64 v25, 0, 1, s28
	v_cndmask_b32_e64 v29, 0, 1, s0
	v_cndmask_b32_e64 v30, 0, 1, s25
	v_lshlrev_b16 v24, 8, v24
	v_lshlrev_b16 v26, 8, v26
	;; [unrolled: 1-line block ×4, first 2 shown]
	s_mov_b32 s25, 0
	v_or_b32_e32 v23, v23, v24
	v_or_b32_e32 v24, v25, v26
	v_or_b32_e32 v30, v30, v28
	v_and_b32_e32 v25, 0xffff, v29
	s_and_not1_b32 vcc_lo, exec_lo, s26
	v_lshlrev_b32_e32 v26, 16, v23
	v_and_b32_e32 v28, 0xffff, v24
	v_lshlrev_b32_e32 v29, 16, v30
	s_mov_b32 s0, 0
	s_cbranch_vccnz .LBB1553_102
; %bb.94:
	s_waitcnt lgkmcnt(0)
	v_mul_lo_u32 v24, v22, s14
	v_mul_lo_u32 v30, v21, s15
	v_mad_u64_u32 v[22:23], null, v21, s14, 0
	s_mov_b32 s0, -1
	s_mov_b32 s27, exec_lo
	s_delay_alu instid0(VALU_DEP_1) | instskip(NEXT) | instid1(VALU_DEP_1)
	v_add3_u32 v23, v23, v30, v24
	v_lshlrev_b64 v[21:22], 2, v[22:23]
	s_delay_alu instid0(VALU_DEP_1) | instskip(NEXT) | instid1(VALU_DEP_2)
	v_add_co_u32 v21, vcc_lo, s16, v21
	v_add_co_ci_u32_e32 v22, vcc_lo, s17, v22, vcc_lo
	v_add_co_u32 v19, vcc_lo, s16, v19
	v_add_co_ci_u32_e32 v20, vcc_lo, s17, v20, vcc_lo
	s_clause 0x1
	global_load_b32 v23, v[21:22], off
	global_load_b32 v24, v[19:20], off
	s_waitcnt vmcnt(0)
	v_cmpx_eq_u32_e64 v23, v24
	s_cbranch_execz .LBB1553_101
; %bb.95:
	v_add_co_u32 v19, vcc_lo, v19, 4
	v_add_co_ci_u32_e32 v20, vcc_lo, 0, v20, vcc_lo
	v_add_co_u32 v21, vcc_lo, v21, 4
	v_add_co_ci_u32_e32 v22, vcc_lo, 0, v22, vcc_lo
	s_add_u32 s4, s14, -1
	s_addc_u32 s5, s15, -1
	s_mov_b64 s[6:7], 0
	s_mov_b32 s28, 0
                                        ; implicit-def: $sgpr29
	s_set_inst_prefetch_distance 0x1
	s_branch .LBB1553_98
	.p2align	6
.LBB1553_96:                            ;   in Loop: Header=BB1553_98 Depth=1
	global_load_b32 v23, v[21:22], off
	global_load_b32 v24, v[19:20], off
	v_add_co_u32 v19, vcc_lo, v19, 4
	v_add_co_ci_u32_e32 v20, vcc_lo, 0, v20, vcc_lo
	v_add_co_u32 v21, s0, v21, 4
	s_delay_alu instid0(VALU_DEP_1)
	v_add_co_ci_u32_e64 v22, s0, 0, v22, s0
	s_add_u32 s6, s6, 1
	s_addc_u32 s7, s7, 0
	s_and_not1_b32 s0, s29, exec_lo
	s_waitcnt vmcnt(0)
	v_cmp_ne_u32_e32 vcc_lo, v23, v24
	s_and_b32 s29, vcc_lo, exec_lo
	s_delay_alu instid0(SALU_CYCLE_1)
	s_or_b32 s29, s0, s29
.LBB1553_97:                            ;   in Loop: Header=BB1553_98 Depth=1
	v_dual_mov_b32 v24, s7 :: v_dual_mov_b32 v23, s6
	s_and_b32 s0, exec_lo, s29
	s_delay_alu instid0(SALU_CYCLE_1) | instskip(NEXT) | instid1(SALU_CYCLE_1)
	s_or_b32 s28, s0, s28
	s_and_not1_b32 exec_lo, exec_lo, s28
	s_cbranch_execz .LBB1553_100
.LBB1553_98:                            ; =>This Inner Loop Header: Depth=1
	s_or_b32 s29, s29, exec_lo
	s_cmp_eq_u64 s[4:5], s[6:7]
	s_cbranch_scc0 .LBB1553_96
; %bb.99:                               ;   in Loop: Header=BB1553_98 Depth=1
	s_mov_b64 s[6:7], s[14:15]
                                        ; implicit-def: $vgpr19_vgpr20
                                        ; implicit-def: $vgpr21_vgpr22
	s_branch .LBB1553_97
.LBB1553_100:
	s_set_inst_prefetch_distance 0x2
	s_or_b32 exec_lo, exec_lo, s28
	v_cmp_gt_i64_e32 vcc_lo, s[14:15], v[23:24]
	s_or_not1_b32 s0, vcc_lo, exec_lo
.LBB1553_101:
	s_or_b32 exec_lo, exec_lo, s27
.LBB1553_102:
	v_or_b32_e32 v19, v25, v26
	s_delay_alu instid0(VALU_DEP_2)
	v_or_b32_e32 v20, v28, v29
	s_and_b32 vcc_lo, exec_lo, s25
	s_cbranch_vccz .LBB1553_194
.LBB1553_103:
	v_or_b32_e32 v19, 7, v39
	s_mov_b32 s25, 0
	s_mov_b32 s27, 0
	s_mov_b32 s28, exec_lo
	s_delay_alu instid0(VALU_DEP_1)
	v_cmpx_gt_u32_e64 s12, v19
	s_cbranch_execz .LBB1553_114
; %bb.104:
	s_and_not1_b32 vcc_lo, exec_lo, s26
	s_mov_b32 s0, 0
	s_cbranch_vccnz .LBB1553_113
; %bb.105:
	v_mul_lo_u32 v23, v2, s14
	v_mul_lo_u32 v24, v1, s15
	v_mad_u64_u32 v[19:20], null, v1, s14, 0
	v_mul_lo_u32 v25, v4, s14
	v_mul_lo_u32 v26, v3, s15
	s_waitcnt lgkmcnt(0)
	v_mad_u64_u32 v[21:22], null, v3, s14, 0
	s_mov_b32 s0, -1
	s_mov_b32 s26, exec_lo
	s_delay_alu instid0(VALU_DEP_4) | instskip(NEXT) | instid1(VALU_DEP_2)
	v_add3_u32 v20, v20, v24, v23
	v_add3_u32 v22, v22, v26, v25
	s_delay_alu instid0(VALU_DEP_2) | instskip(NEXT) | instid1(VALU_DEP_2)
	v_lshlrev_b64 v[19:20], 2, v[19:20]
	v_lshlrev_b64 v[23:24], 2, v[21:22]
	s_delay_alu instid0(VALU_DEP_2) | instskip(NEXT) | instid1(VALU_DEP_3)
	v_add_co_u32 v21, vcc_lo, s16, v19
	v_add_co_ci_u32_e32 v22, vcc_lo, s17, v20, vcc_lo
	s_delay_alu instid0(VALU_DEP_3) | instskip(NEXT) | instid1(VALU_DEP_4)
	v_add_co_u32 v19, vcc_lo, s16, v23
	v_add_co_ci_u32_e32 v20, vcc_lo, s17, v24, vcc_lo
	s_clause 0x1
	global_load_b32 v23, v[21:22], off
	global_load_b32 v24, v[19:20], off
	s_waitcnt vmcnt(0)
	v_cmpx_eq_u32_e64 v23, v24
	s_cbranch_execz .LBB1553_112
; %bb.106:
	v_add_co_u32 v19, vcc_lo, v19, 4
	v_add_co_ci_u32_e32 v20, vcc_lo, 0, v20, vcc_lo
	v_add_co_u32 v21, vcc_lo, v21, 4
	v_add_co_ci_u32_e32 v22, vcc_lo, 0, v22, vcc_lo
	s_add_u32 s4, s14, -1
	s_addc_u32 s5, s15, -1
	s_mov_b64 s[6:7], 0
                                        ; implicit-def: $sgpr29
	s_set_inst_prefetch_distance 0x1
	s_branch .LBB1553_109
	.p2align	6
.LBB1553_107:                           ;   in Loop: Header=BB1553_109 Depth=1
	global_load_b32 v23, v[21:22], off
	global_load_b32 v24, v[19:20], off
	v_add_co_u32 v19, vcc_lo, v19, 4
	v_add_co_ci_u32_e32 v20, vcc_lo, 0, v20, vcc_lo
	v_add_co_u32 v21, s0, v21, 4
	s_delay_alu instid0(VALU_DEP_1)
	v_add_co_ci_u32_e64 v22, s0, 0, v22, s0
	s_add_u32 s6, s6, 1
	s_addc_u32 s7, s7, 0
	s_and_not1_b32 s0, s29, exec_lo
	s_waitcnt vmcnt(0)
	v_cmp_ne_u32_e32 vcc_lo, v23, v24
	s_and_b32 s29, vcc_lo, exec_lo
	s_delay_alu instid0(SALU_CYCLE_1)
	s_or_b32 s29, s0, s29
.LBB1553_108:                           ;   in Loop: Header=BB1553_109 Depth=1
	v_dual_mov_b32 v24, s7 :: v_dual_mov_b32 v23, s6
	s_and_b32 s0, exec_lo, s29
	s_delay_alu instid0(SALU_CYCLE_1) | instskip(NEXT) | instid1(SALU_CYCLE_1)
	s_or_b32 s27, s0, s27
	s_and_not1_b32 exec_lo, exec_lo, s27
	s_cbranch_execz .LBB1553_111
.LBB1553_109:                           ; =>This Inner Loop Header: Depth=1
	s_or_b32 s29, s29, exec_lo
	s_cmp_eq_u64 s[4:5], s[6:7]
	s_cbranch_scc0 .LBB1553_107
; %bb.110:                              ;   in Loop: Header=BB1553_109 Depth=1
	s_mov_b64 s[6:7], s[14:15]
                                        ; implicit-def: $vgpr19_vgpr20
                                        ; implicit-def: $vgpr21_vgpr22
	s_branch .LBB1553_108
.LBB1553_111:
	s_set_inst_prefetch_distance 0x2
	s_or_b32 exec_lo, exec_lo, s27
	v_cmp_gt_i64_e32 vcc_lo, s[14:15], v[23:24]
	s_or_not1_b32 s0, vcc_lo, exec_lo
.LBB1553_112:
	s_or_b32 exec_lo, exec_lo, s26
.LBB1553_113:
	s_delay_alu instid0(SALU_CYCLE_1)
	s_and_b32 s27, s0, exec_lo
.LBB1553_114:
	s_or_b32 exec_lo, exec_lo, s28
	v_or_b32_e32 v19, 6, v39
	s_mov_b32 s26, exec_lo
	s_delay_alu instid0(VALU_DEP_1)
	v_cmpx_gt_u32_e64 s12, v19
	s_cbranch_execz .LBB1553_125
; %bb.115:
	v_cmp_ne_u32_e32 vcc_lo, 1, v27
	s_mov_b32 s0, 0
	s_cbranch_vccnz .LBB1553_124
; %bb.116:
	v_mul_lo_u32 v23, v8, s14
	v_mul_lo_u32 v24, v7, s15
	v_mad_u64_u32 v[19:20], null, v7, s14, 0
	v_mul_lo_u32 v25, v2, s14
	v_mul_lo_u32 v26, v1, s15
	s_waitcnt lgkmcnt(0)
	v_mad_u64_u32 v[21:22], null, v1, s14, 0
	s_mov_b32 s0, -1
	s_mov_b32 s25, exec_lo
	s_delay_alu instid0(VALU_DEP_4) | instskip(NEXT) | instid1(VALU_DEP_2)
	v_add3_u32 v20, v20, v24, v23
	v_add3_u32 v22, v22, v26, v25
	s_delay_alu instid0(VALU_DEP_2) | instskip(NEXT) | instid1(VALU_DEP_2)
	v_lshlrev_b64 v[19:20], 2, v[19:20]
	v_lshlrev_b64 v[23:24], 2, v[21:22]
	s_delay_alu instid0(VALU_DEP_2) | instskip(NEXT) | instid1(VALU_DEP_3)
	v_add_co_u32 v21, vcc_lo, s16, v19
	v_add_co_ci_u32_e32 v22, vcc_lo, s17, v20, vcc_lo
	s_delay_alu instid0(VALU_DEP_3) | instskip(NEXT) | instid1(VALU_DEP_4)
	v_add_co_u32 v19, vcc_lo, s16, v23
	v_add_co_ci_u32_e32 v20, vcc_lo, s17, v24, vcc_lo
	s_clause 0x1
	global_load_b32 v23, v[21:22], off
	global_load_b32 v24, v[19:20], off
	s_waitcnt vmcnt(0)
	v_cmpx_eq_u32_e64 v23, v24
	s_cbranch_execz .LBB1553_123
; %bb.117:
	v_add_co_u32 v19, vcc_lo, v19, 4
	v_add_co_ci_u32_e32 v20, vcc_lo, 0, v20, vcc_lo
	v_add_co_u32 v21, vcc_lo, v21, 4
	v_add_co_ci_u32_e32 v22, vcc_lo, 0, v22, vcc_lo
	s_add_u32 s4, s14, -1
	s_addc_u32 s5, s15, -1
	s_mov_b64 s[6:7], 0
	s_mov_b32 s28, 0
                                        ; implicit-def: $sgpr29
	s_set_inst_prefetch_distance 0x1
	s_branch .LBB1553_120
	.p2align	6
.LBB1553_118:                           ;   in Loop: Header=BB1553_120 Depth=1
	global_load_b32 v23, v[21:22], off
	global_load_b32 v24, v[19:20], off
	v_add_co_u32 v19, vcc_lo, v19, 4
	v_add_co_ci_u32_e32 v20, vcc_lo, 0, v20, vcc_lo
	v_add_co_u32 v21, s0, v21, 4
	s_delay_alu instid0(VALU_DEP_1)
	v_add_co_ci_u32_e64 v22, s0, 0, v22, s0
	s_add_u32 s6, s6, 1
	s_addc_u32 s7, s7, 0
	s_and_not1_b32 s0, s29, exec_lo
	s_waitcnt vmcnt(0)
	v_cmp_ne_u32_e32 vcc_lo, v23, v24
	s_and_b32 s29, vcc_lo, exec_lo
	s_delay_alu instid0(SALU_CYCLE_1)
	s_or_b32 s29, s0, s29
.LBB1553_119:                           ;   in Loop: Header=BB1553_120 Depth=1
	v_dual_mov_b32 v24, s7 :: v_dual_mov_b32 v23, s6
	s_and_b32 s0, exec_lo, s29
	s_delay_alu instid0(SALU_CYCLE_1) | instskip(NEXT) | instid1(SALU_CYCLE_1)
	s_or_b32 s28, s0, s28
	s_and_not1_b32 exec_lo, exec_lo, s28
	s_cbranch_execz .LBB1553_122
.LBB1553_120:                           ; =>This Inner Loop Header: Depth=1
	s_or_b32 s29, s29, exec_lo
	s_cmp_eq_u64 s[4:5], s[6:7]
	s_cbranch_scc0 .LBB1553_118
; %bb.121:                              ;   in Loop: Header=BB1553_120 Depth=1
	s_mov_b64 s[6:7], s[14:15]
                                        ; implicit-def: $vgpr19_vgpr20
                                        ; implicit-def: $vgpr21_vgpr22
	s_branch .LBB1553_119
.LBB1553_122:
	s_set_inst_prefetch_distance 0x2
	s_or_b32 exec_lo, exec_lo, s28
	v_cmp_gt_i64_e32 vcc_lo, s[14:15], v[23:24]
	s_or_not1_b32 s0, vcc_lo, exec_lo
.LBB1553_123:
	s_or_b32 exec_lo, exec_lo, s25
.LBB1553_124:
	s_delay_alu instid0(SALU_CYCLE_1)
	s_and_b32 s25, s0, exec_lo
.LBB1553_125:
	s_or_b32 exec_lo, exec_lo, s26
	v_or_b32_e32 v19, 5, v39
	s_mov_b32 s28, 0
	s_mov_b32 s26, 0
	s_mov_b32 s29, exec_lo
	s_delay_alu instid0(VALU_DEP_1)
	v_cmpx_gt_u32_e64 s12, v19
	s_cbranch_execz .LBB1553_136
; %bb.126:
	v_cmp_ne_u32_e32 vcc_lo, 1, v27
	s_mov_b32 s0, 0
	s_cbranch_vccnz .LBB1553_135
; %bb.127:
	v_mul_lo_u32 v23, v6, s14
	v_mul_lo_u32 v24, v5, s15
	v_mad_u64_u32 v[19:20], null, v5, s14, 0
	v_mul_lo_u32 v25, v8, s14
	v_mul_lo_u32 v26, v7, s15
	s_waitcnt lgkmcnt(0)
	v_mad_u64_u32 v[21:22], null, v7, s14, 0
	s_mov_b32 s0, -1
	s_mov_b32 s26, exec_lo
	s_delay_alu instid0(VALU_DEP_4) | instskip(NEXT) | instid1(VALU_DEP_2)
	v_add3_u32 v20, v20, v24, v23
	v_add3_u32 v22, v22, v26, v25
	s_delay_alu instid0(VALU_DEP_2) | instskip(NEXT) | instid1(VALU_DEP_2)
	v_lshlrev_b64 v[19:20], 2, v[19:20]
	v_lshlrev_b64 v[23:24], 2, v[21:22]
	s_delay_alu instid0(VALU_DEP_2) | instskip(NEXT) | instid1(VALU_DEP_3)
	v_add_co_u32 v21, vcc_lo, s16, v19
	v_add_co_ci_u32_e32 v22, vcc_lo, s17, v20, vcc_lo
	s_delay_alu instid0(VALU_DEP_3) | instskip(NEXT) | instid1(VALU_DEP_4)
	v_add_co_u32 v19, vcc_lo, s16, v23
	v_add_co_ci_u32_e32 v20, vcc_lo, s17, v24, vcc_lo
	s_clause 0x1
	global_load_b32 v23, v[21:22], off
	global_load_b32 v24, v[19:20], off
	s_waitcnt vmcnt(0)
	v_cmpx_eq_u32_e64 v23, v24
	s_cbranch_execz .LBB1553_134
; %bb.128:
	v_add_co_u32 v19, vcc_lo, v19, 4
	v_add_co_ci_u32_e32 v20, vcc_lo, 0, v20, vcc_lo
	v_add_co_u32 v21, vcc_lo, v21, 4
	v_add_co_ci_u32_e32 v22, vcc_lo, 0, v22, vcc_lo
	s_add_u32 s4, s14, -1
	s_addc_u32 s5, s15, -1
	s_mov_b64 s[6:7], 0
	s_mov_b32 s30, 0
                                        ; implicit-def: $sgpr31
	s_set_inst_prefetch_distance 0x1
	s_branch .LBB1553_131
	.p2align	6
.LBB1553_129:                           ;   in Loop: Header=BB1553_131 Depth=1
	global_load_b32 v23, v[21:22], off
	global_load_b32 v24, v[19:20], off
	v_add_co_u32 v19, vcc_lo, v19, 4
	v_add_co_ci_u32_e32 v20, vcc_lo, 0, v20, vcc_lo
	v_add_co_u32 v21, s0, v21, 4
	s_delay_alu instid0(VALU_DEP_1)
	v_add_co_ci_u32_e64 v22, s0, 0, v22, s0
	s_add_u32 s6, s6, 1
	s_addc_u32 s7, s7, 0
	s_and_not1_b32 s0, s31, exec_lo
	s_waitcnt vmcnt(0)
	v_cmp_ne_u32_e32 vcc_lo, v23, v24
	s_and_b32 s31, vcc_lo, exec_lo
	s_delay_alu instid0(SALU_CYCLE_1)
	s_or_b32 s31, s0, s31
.LBB1553_130:                           ;   in Loop: Header=BB1553_131 Depth=1
	v_dual_mov_b32 v24, s7 :: v_dual_mov_b32 v23, s6
	s_and_b32 s0, exec_lo, s31
	s_delay_alu instid0(SALU_CYCLE_1) | instskip(NEXT) | instid1(SALU_CYCLE_1)
	s_or_b32 s30, s0, s30
	s_and_not1_b32 exec_lo, exec_lo, s30
	s_cbranch_execz .LBB1553_133
.LBB1553_131:                           ; =>This Inner Loop Header: Depth=1
	s_or_b32 s31, s31, exec_lo
	s_cmp_eq_u64 s[4:5], s[6:7]
	s_cbranch_scc0 .LBB1553_129
; %bb.132:                              ;   in Loop: Header=BB1553_131 Depth=1
	s_mov_b64 s[6:7], s[14:15]
                                        ; implicit-def: $vgpr19_vgpr20
                                        ; implicit-def: $vgpr21_vgpr22
	s_branch .LBB1553_130
.LBB1553_133:
	s_set_inst_prefetch_distance 0x2
	s_or_b32 exec_lo, exec_lo, s30
	v_cmp_gt_i64_e32 vcc_lo, s[14:15], v[23:24]
	s_or_not1_b32 s0, vcc_lo, exec_lo
.LBB1553_134:
	s_or_b32 exec_lo, exec_lo, s26
.LBB1553_135:
	s_delay_alu instid0(SALU_CYCLE_1)
	s_and_b32 s26, s0, exec_lo
.LBB1553_136:
	s_or_b32 exec_lo, exec_lo, s29
	v_or_b32_e32 v19, 4, v39
	s_mov_b32 s29, exec_lo
	s_delay_alu instid0(VALU_DEP_1)
	v_cmpx_gt_u32_e64 s12, v19
	s_cbranch_execz .LBB1553_147
; %bb.137:
	v_cmp_ne_u32_e32 vcc_lo, 1, v27
	s_mov_b32 s0, 0
	s_cbranch_vccnz .LBB1553_146
; %bb.138:
	v_mul_lo_u32 v23, v12, s14
	v_mul_lo_u32 v24, v11, s15
	v_mad_u64_u32 v[19:20], null, v11, s14, 0
	v_mul_lo_u32 v25, v6, s14
	v_mul_lo_u32 v26, v5, s15
	s_waitcnt lgkmcnt(0)
	v_mad_u64_u32 v[21:22], null, v5, s14, 0
	s_mov_b32 s0, -1
	s_mov_b32 s28, exec_lo
	s_delay_alu instid0(VALU_DEP_4) | instskip(NEXT) | instid1(VALU_DEP_2)
	v_add3_u32 v20, v20, v24, v23
	v_add3_u32 v22, v22, v26, v25
	s_delay_alu instid0(VALU_DEP_2) | instskip(NEXT) | instid1(VALU_DEP_2)
	v_lshlrev_b64 v[19:20], 2, v[19:20]
	v_lshlrev_b64 v[23:24], 2, v[21:22]
	s_delay_alu instid0(VALU_DEP_2) | instskip(NEXT) | instid1(VALU_DEP_3)
	v_add_co_u32 v21, vcc_lo, s16, v19
	v_add_co_ci_u32_e32 v22, vcc_lo, s17, v20, vcc_lo
	s_delay_alu instid0(VALU_DEP_3) | instskip(NEXT) | instid1(VALU_DEP_4)
	v_add_co_u32 v19, vcc_lo, s16, v23
	v_add_co_ci_u32_e32 v20, vcc_lo, s17, v24, vcc_lo
	s_clause 0x1
	global_load_b32 v23, v[21:22], off
	global_load_b32 v24, v[19:20], off
	s_waitcnt vmcnt(0)
	v_cmpx_eq_u32_e64 v23, v24
	s_cbranch_execz .LBB1553_145
; %bb.139:
	v_add_co_u32 v19, vcc_lo, v19, 4
	v_add_co_ci_u32_e32 v20, vcc_lo, 0, v20, vcc_lo
	v_add_co_u32 v21, vcc_lo, v21, 4
	v_add_co_ci_u32_e32 v22, vcc_lo, 0, v22, vcc_lo
	s_add_u32 s4, s14, -1
	s_addc_u32 s5, s15, -1
	s_mov_b64 s[6:7], 0
	s_mov_b32 s30, 0
                                        ; implicit-def: $sgpr31
	s_set_inst_prefetch_distance 0x1
	s_branch .LBB1553_142
	.p2align	6
.LBB1553_140:                           ;   in Loop: Header=BB1553_142 Depth=1
	global_load_b32 v23, v[21:22], off
	global_load_b32 v24, v[19:20], off
	v_add_co_u32 v19, vcc_lo, v19, 4
	v_add_co_ci_u32_e32 v20, vcc_lo, 0, v20, vcc_lo
	v_add_co_u32 v21, s0, v21, 4
	s_delay_alu instid0(VALU_DEP_1)
	v_add_co_ci_u32_e64 v22, s0, 0, v22, s0
	s_add_u32 s6, s6, 1
	s_addc_u32 s7, s7, 0
	s_and_not1_b32 s0, s31, exec_lo
	s_waitcnt vmcnt(0)
	v_cmp_ne_u32_e32 vcc_lo, v23, v24
	s_and_b32 s31, vcc_lo, exec_lo
	s_delay_alu instid0(SALU_CYCLE_1)
	s_or_b32 s31, s0, s31
.LBB1553_141:                           ;   in Loop: Header=BB1553_142 Depth=1
	v_dual_mov_b32 v24, s7 :: v_dual_mov_b32 v23, s6
	s_and_b32 s0, exec_lo, s31
	s_delay_alu instid0(SALU_CYCLE_1) | instskip(NEXT) | instid1(SALU_CYCLE_1)
	s_or_b32 s30, s0, s30
	s_and_not1_b32 exec_lo, exec_lo, s30
	s_cbranch_execz .LBB1553_144
.LBB1553_142:                           ; =>This Inner Loop Header: Depth=1
	s_or_b32 s31, s31, exec_lo
	s_cmp_eq_u64 s[4:5], s[6:7]
	s_cbranch_scc0 .LBB1553_140
; %bb.143:                              ;   in Loop: Header=BB1553_142 Depth=1
	s_mov_b64 s[6:7], s[14:15]
                                        ; implicit-def: $vgpr19_vgpr20
                                        ; implicit-def: $vgpr21_vgpr22
	s_branch .LBB1553_141
.LBB1553_144:
	s_set_inst_prefetch_distance 0x2
	s_or_b32 exec_lo, exec_lo, s30
	v_cmp_gt_i64_e32 vcc_lo, s[14:15], v[23:24]
	s_or_not1_b32 s0, vcc_lo, exec_lo
.LBB1553_145:
	s_or_b32 exec_lo, exec_lo, s28
.LBB1553_146:
	s_delay_alu instid0(SALU_CYCLE_1)
	s_and_b32 s28, s0, exec_lo
.LBB1553_147:
	s_or_b32 exec_lo, exec_lo, s29
	v_or_b32_e32 v19, 3, v39
	s_mov_b32 s30, 0
	s_mov_b32 s29, 0
	s_mov_b32 s31, exec_lo
	s_delay_alu instid0(VALU_DEP_1)
	v_cmpx_gt_u32_e64 s12, v19
	s_cbranch_execz .LBB1553_158
; %bb.148:
	v_cmp_ne_u32_e32 vcc_lo, 1, v27
	s_mov_b32 s0, 0
	s_cbranch_vccnz .LBB1553_157
; %bb.149:
	v_mul_lo_u32 v23, v10, s14
	v_mul_lo_u32 v24, v9, s15
	v_mad_u64_u32 v[19:20], null, v9, s14, 0
	v_mul_lo_u32 v25, v12, s14
	v_mul_lo_u32 v26, v11, s15
	s_waitcnt lgkmcnt(0)
	v_mad_u64_u32 v[21:22], null, v11, s14, 0
	s_mov_b32 s0, -1
	s_mov_b32 s29, exec_lo
	s_delay_alu instid0(VALU_DEP_4) | instskip(NEXT) | instid1(VALU_DEP_2)
	v_add3_u32 v20, v20, v24, v23
	v_add3_u32 v22, v22, v26, v25
	s_delay_alu instid0(VALU_DEP_2) | instskip(NEXT) | instid1(VALU_DEP_2)
	v_lshlrev_b64 v[19:20], 2, v[19:20]
	v_lshlrev_b64 v[23:24], 2, v[21:22]
	s_delay_alu instid0(VALU_DEP_2) | instskip(NEXT) | instid1(VALU_DEP_3)
	v_add_co_u32 v21, vcc_lo, s16, v19
	v_add_co_ci_u32_e32 v22, vcc_lo, s17, v20, vcc_lo
	s_delay_alu instid0(VALU_DEP_3) | instskip(NEXT) | instid1(VALU_DEP_4)
	v_add_co_u32 v19, vcc_lo, s16, v23
	v_add_co_ci_u32_e32 v20, vcc_lo, s17, v24, vcc_lo
	s_clause 0x1
	global_load_b32 v23, v[21:22], off
	global_load_b32 v24, v[19:20], off
	s_waitcnt vmcnt(0)
	v_cmpx_eq_u32_e64 v23, v24
	s_cbranch_execz .LBB1553_156
; %bb.150:
	v_add_co_u32 v19, vcc_lo, v19, 4
	v_add_co_ci_u32_e32 v20, vcc_lo, 0, v20, vcc_lo
	v_add_co_u32 v21, vcc_lo, v21, 4
	v_add_co_ci_u32_e32 v22, vcc_lo, 0, v22, vcc_lo
	s_add_u32 s4, s14, -1
	s_addc_u32 s5, s15, -1
	s_mov_b64 s[6:7], 0
	s_mov_b32 s33, 0
                                        ; implicit-def: $sgpr34
	s_set_inst_prefetch_distance 0x1
	s_branch .LBB1553_153
	.p2align	6
.LBB1553_151:                           ;   in Loop: Header=BB1553_153 Depth=1
	global_load_b32 v23, v[21:22], off
	global_load_b32 v24, v[19:20], off
	v_add_co_u32 v19, vcc_lo, v19, 4
	v_add_co_ci_u32_e32 v20, vcc_lo, 0, v20, vcc_lo
	v_add_co_u32 v21, s0, v21, 4
	s_delay_alu instid0(VALU_DEP_1)
	v_add_co_ci_u32_e64 v22, s0, 0, v22, s0
	s_add_u32 s6, s6, 1
	s_addc_u32 s7, s7, 0
	s_and_not1_b32 s0, s34, exec_lo
	s_waitcnt vmcnt(0)
	v_cmp_ne_u32_e32 vcc_lo, v23, v24
	s_and_b32 s34, vcc_lo, exec_lo
	s_delay_alu instid0(SALU_CYCLE_1)
	s_or_b32 s34, s0, s34
.LBB1553_152:                           ;   in Loop: Header=BB1553_153 Depth=1
	v_dual_mov_b32 v24, s7 :: v_dual_mov_b32 v23, s6
	s_and_b32 s0, exec_lo, s34
	s_delay_alu instid0(SALU_CYCLE_1) | instskip(NEXT) | instid1(SALU_CYCLE_1)
	s_or_b32 s33, s0, s33
	s_and_not1_b32 exec_lo, exec_lo, s33
	s_cbranch_execz .LBB1553_155
.LBB1553_153:                           ; =>This Inner Loop Header: Depth=1
	s_or_b32 s34, s34, exec_lo
	s_cmp_eq_u64 s[4:5], s[6:7]
	s_cbranch_scc0 .LBB1553_151
; %bb.154:                              ;   in Loop: Header=BB1553_153 Depth=1
	s_mov_b64 s[6:7], s[14:15]
                                        ; implicit-def: $vgpr19_vgpr20
                                        ; implicit-def: $vgpr21_vgpr22
	s_branch .LBB1553_152
.LBB1553_155:
	s_set_inst_prefetch_distance 0x2
	s_or_b32 exec_lo, exec_lo, s33
	v_cmp_gt_i64_e32 vcc_lo, s[14:15], v[23:24]
	s_or_not1_b32 s0, vcc_lo, exec_lo
.LBB1553_156:
	s_or_b32 exec_lo, exec_lo, s29
.LBB1553_157:
	s_delay_alu instid0(SALU_CYCLE_1)
	s_and_b32 s29, s0, exec_lo
.LBB1553_158:
	s_or_b32 exec_lo, exec_lo, s31
	v_or_b32_e32 v19, 2, v39
	s_mov_b32 s31, exec_lo
	s_delay_alu instid0(VALU_DEP_1)
	v_cmpx_gt_u32_e64 s12, v19
	s_cbranch_execz .LBB1553_169
; %bb.159:
	v_cmp_ne_u32_e32 vcc_lo, 1, v27
	s_mov_b32 s0, 0
	s_cbranch_vccnz .LBB1553_168
; %bb.160:
	v_mul_lo_u32 v23, v16, s14
	v_mul_lo_u32 v24, v15, s15
	v_mad_u64_u32 v[19:20], null, v15, s14, 0
	v_mul_lo_u32 v25, v10, s14
	v_mul_lo_u32 v26, v9, s15
	s_waitcnt lgkmcnt(0)
	v_mad_u64_u32 v[21:22], null, v9, s14, 0
	s_mov_b32 s0, -1
	s_mov_b32 s30, exec_lo
	s_delay_alu instid0(VALU_DEP_4) | instskip(NEXT) | instid1(VALU_DEP_2)
	v_add3_u32 v20, v20, v24, v23
	v_add3_u32 v22, v22, v26, v25
	s_delay_alu instid0(VALU_DEP_2) | instskip(NEXT) | instid1(VALU_DEP_2)
	v_lshlrev_b64 v[19:20], 2, v[19:20]
	v_lshlrev_b64 v[23:24], 2, v[21:22]
	s_delay_alu instid0(VALU_DEP_2) | instskip(NEXT) | instid1(VALU_DEP_3)
	v_add_co_u32 v21, vcc_lo, s16, v19
	v_add_co_ci_u32_e32 v22, vcc_lo, s17, v20, vcc_lo
	s_delay_alu instid0(VALU_DEP_3) | instskip(NEXT) | instid1(VALU_DEP_4)
	v_add_co_u32 v19, vcc_lo, s16, v23
	v_add_co_ci_u32_e32 v20, vcc_lo, s17, v24, vcc_lo
	s_clause 0x1
	global_load_b32 v23, v[21:22], off
	global_load_b32 v24, v[19:20], off
	s_waitcnt vmcnt(0)
	v_cmpx_eq_u32_e64 v23, v24
	s_cbranch_execz .LBB1553_167
; %bb.161:
	v_add_co_u32 v19, vcc_lo, v19, 4
	v_add_co_ci_u32_e32 v20, vcc_lo, 0, v20, vcc_lo
	v_add_co_u32 v21, vcc_lo, v21, 4
	v_add_co_ci_u32_e32 v22, vcc_lo, 0, v22, vcc_lo
	s_add_u32 s4, s14, -1
	s_addc_u32 s5, s15, -1
	s_mov_b64 s[6:7], 0
	s_mov_b32 s33, 0
                                        ; implicit-def: $sgpr34
	s_set_inst_prefetch_distance 0x1
	s_branch .LBB1553_164
	.p2align	6
.LBB1553_162:                           ;   in Loop: Header=BB1553_164 Depth=1
	global_load_b32 v23, v[21:22], off
	global_load_b32 v24, v[19:20], off
	v_add_co_u32 v19, vcc_lo, v19, 4
	v_add_co_ci_u32_e32 v20, vcc_lo, 0, v20, vcc_lo
	v_add_co_u32 v21, s0, v21, 4
	s_delay_alu instid0(VALU_DEP_1)
	v_add_co_ci_u32_e64 v22, s0, 0, v22, s0
	s_add_u32 s6, s6, 1
	s_addc_u32 s7, s7, 0
	s_and_not1_b32 s0, s34, exec_lo
	s_waitcnt vmcnt(0)
	v_cmp_ne_u32_e32 vcc_lo, v23, v24
	s_and_b32 s34, vcc_lo, exec_lo
	s_delay_alu instid0(SALU_CYCLE_1)
	s_or_b32 s34, s0, s34
.LBB1553_163:                           ;   in Loop: Header=BB1553_164 Depth=1
	v_dual_mov_b32 v24, s7 :: v_dual_mov_b32 v23, s6
	s_and_b32 s0, exec_lo, s34
	s_delay_alu instid0(SALU_CYCLE_1) | instskip(NEXT) | instid1(SALU_CYCLE_1)
	s_or_b32 s33, s0, s33
	s_and_not1_b32 exec_lo, exec_lo, s33
	s_cbranch_execz .LBB1553_166
.LBB1553_164:                           ; =>This Inner Loop Header: Depth=1
	s_or_b32 s34, s34, exec_lo
	s_cmp_eq_u64 s[4:5], s[6:7]
	s_cbranch_scc0 .LBB1553_162
; %bb.165:                              ;   in Loop: Header=BB1553_164 Depth=1
	s_mov_b64 s[6:7], s[14:15]
                                        ; implicit-def: $vgpr19_vgpr20
                                        ; implicit-def: $vgpr21_vgpr22
	s_branch .LBB1553_163
.LBB1553_166:
	s_set_inst_prefetch_distance 0x2
	s_or_b32 exec_lo, exec_lo, s33
	v_cmp_gt_i64_e32 vcc_lo, s[14:15], v[23:24]
	s_or_not1_b32 s0, vcc_lo, exec_lo
.LBB1553_167:
	s_or_b32 exec_lo, exec_lo, s30
.LBB1553_168:
	s_delay_alu instid0(SALU_CYCLE_1)
	s_and_b32 s30, s0, exec_lo
.LBB1553_169:
	s_or_b32 exec_lo, exec_lo, s31
	v_or_b32_e32 v19, 1, v39
	s_mov_b32 s0, 0
	s_mov_b32 s31, exec_lo
	s_delay_alu instid0(VALU_DEP_1)
	v_cmpx_gt_u32_e64 s12, v19
	s_cbranch_execz .LBB1553_180
; %bb.170:
	v_cmp_ne_u32_e32 vcc_lo, 1, v27
	s_cbranch_vccnz .LBB1553_179
; %bb.171:
	v_mul_lo_u32 v23, v14, s14
	v_mul_lo_u32 v24, v13, s15
	v_mad_u64_u32 v[19:20], null, v13, s14, 0
	v_mul_lo_u32 v25, v16, s14
	v_mul_lo_u32 v26, v15, s15
	s_waitcnt lgkmcnt(0)
	v_mad_u64_u32 v[21:22], null, v15, s14, 0
	s_mov_b32 s0, -1
	s_mov_b32 s33, exec_lo
	s_delay_alu instid0(VALU_DEP_4) | instskip(NEXT) | instid1(VALU_DEP_2)
	v_add3_u32 v20, v20, v24, v23
	v_add3_u32 v22, v22, v26, v25
	s_delay_alu instid0(VALU_DEP_2) | instskip(NEXT) | instid1(VALU_DEP_2)
	v_lshlrev_b64 v[19:20], 2, v[19:20]
	v_lshlrev_b64 v[23:24], 2, v[21:22]
	s_delay_alu instid0(VALU_DEP_2) | instskip(NEXT) | instid1(VALU_DEP_3)
	v_add_co_u32 v21, vcc_lo, s16, v19
	v_add_co_ci_u32_e32 v22, vcc_lo, s17, v20, vcc_lo
	s_delay_alu instid0(VALU_DEP_3) | instskip(NEXT) | instid1(VALU_DEP_4)
	v_add_co_u32 v19, vcc_lo, s16, v23
	v_add_co_ci_u32_e32 v20, vcc_lo, s17, v24, vcc_lo
	s_clause 0x1
	global_load_b32 v23, v[21:22], off
	global_load_b32 v24, v[19:20], off
	s_waitcnt vmcnt(0)
	v_cmpx_eq_u32_e64 v23, v24
	s_cbranch_execz .LBB1553_178
; %bb.172:
	v_add_co_u32 v19, vcc_lo, v19, 4
	v_add_co_ci_u32_e32 v20, vcc_lo, 0, v20, vcc_lo
	v_add_co_u32 v21, vcc_lo, v21, 4
	v_add_co_ci_u32_e32 v22, vcc_lo, 0, v22, vcc_lo
	s_add_u32 s4, s14, -1
	s_addc_u32 s5, s15, -1
	s_mov_b64 s[6:7], 0
	s_mov_b32 s34, 0
                                        ; implicit-def: $sgpr35
	s_set_inst_prefetch_distance 0x1
	s_branch .LBB1553_175
	.p2align	6
.LBB1553_173:                           ;   in Loop: Header=BB1553_175 Depth=1
	global_load_b32 v23, v[21:22], off
	global_load_b32 v24, v[19:20], off
	v_add_co_u32 v19, vcc_lo, v19, 4
	v_add_co_ci_u32_e32 v20, vcc_lo, 0, v20, vcc_lo
	v_add_co_u32 v21, s0, v21, 4
	s_delay_alu instid0(VALU_DEP_1)
	v_add_co_ci_u32_e64 v22, s0, 0, v22, s0
	s_add_u32 s6, s6, 1
	s_addc_u32 s7, s7, 0
	s_and_not1_b32 s0, s35, exec_lo
	s_waitcnt vmcnt(0)
	v_cmp_ne_u32_e32 vcc_lo, v23, v24
	s_and_b32 s35, vcc_lo, exec_lo
	s_delay_alu instid0(SALU_CYCLE_1)
	s_or_b32 s35, s0, s35
.LBB1553_174:                           ;   in Loop: Header=BB1553_175 Depth=1
	v_dual_mov_b32 v24, s7 :: v_dual_mov_b32 v23, s6
	s_and_b32 s0, exec_lo, s35
	s_delay_alu instid0(SALU_CYCLE_1) | instskip(NEXT) | instid1(SALU_CYCLE_1)
	s_or_b32 s34, s0, s34
	s_and_not1_b32 exec_lo, exec_lo, s34
	s_cbranch_execz .LBB1553_177
.LBB1553_175:                           ; =>This Inner Loop Header: Depth=1
	s_or_b32 s35, s35, exec_lo
	s_cmp_eq_u64 s[4:5], s[6:7]
	s_cbranch_scc0 .LBB1553_173
; %bb.176:                              ;   in Loop: Header=BB1553_175 Depth=1
	s_mov_b64 s[6:7], s[14:15]
                                        ; implicit-def: $vgpr19_vgpr20
                                        ; implicit-def: $vgpr21_vgpr22
	s_branch .LBB1553_174
.LBB1553_177:
	s_set_inst_prefetch_distance 0x2
	s_or_b32 exec_lo, exec_lo, s34
	v_cmp_gt_i64_e32 vcc_lo, s[14:15], v[23:24]
	s_or_not1_b32 s0, vcc_lo, exec_lo
.LBB1553_178:
	s_or_b32 exec_lo, exec_lo, s33
.LBB1553_179:
	s_delay_alu instid0(SALU_CYCLE_1)
	s_and_b32 s0, s0, exec_lo
.LBB1553_180:
	s_or_b32 exec_lo, exec_lo, s31
	s_waitcnt vmcnt(0) lgkmcnt(0)
	s_barrier
	buffer_gl0_inv
	s_and_saveexec_b32 s4, s3
	s_cbranch_execz .LBB1553_182
; %bb.181:
	v_add_nc_u32_e32 v17, -8, v39
	ds_load_b64 v[17:18], v17
.LBB1553_182:
	s_or_b32 exec_lo, exec_lo, s4
	v_cndmask_b32_e64 v20, 0, 1, s29
	v_cndmask_b32_e64 v22, 0, 1, s26
	;; [unrolled: 1-line block ×7, first 2 shown]
	v_lshlrev_b16 v20, 8, v20
	v_lshlrev_b16 v22, 8, v22
	;; [unrolled: 1-line block ×3, first 2 shown]
	s_mov_b32 s0, 0
	v_lshlrev_b16 v25, 8, v25
	v_or_b32_e32 v19, v19, v20
	v_or_b32_e32 v20, v21, v22
	;; [unrolled: 1-line block ×3, first 2 shown]
	s_mov_b32 s25, exec_lo
	v_and_b32_e32 v23, 0xffff, v25
	v_lshlrev_b32_e32 v24, 16, v19
	v_and_b32_e32 v25, 0xffff, v20
	v_lshlrev_b32_e32 v26, 16, v21
	v_cmpx_gt_u32_e64 s12, v39
	s_cbranch_execz .LBB1553_193
; %bb.183:
	v_cmp_ne_u32_e32 vcc_lo, 1, v27
	s_cbranch_vccnz .LBB1553_192
; %bb.184:
	s_waitcnt lgkmcnt(0)
	v_mul_lo_u32 v22, v18, s14
	v_mul_lo_u32 v27, v17, s15
	v_mad_u64_u32 v[18:19], null, v17, s14, 0
	v_mul_lo_u32 v17, v14, s14
	v_mul_lo_u32 v28, v13, s15
	v_mad_u64_u32 v[20:21], null, v13, s14, 0
	s_mov_b32 s0, -1
	s_mov_b32 s26, exec_lo
	s_delay_alu instid0(VALU_DEP_4) | instskip(NEXT) | instid1(VALU_DEP_2)
	v_add3_u32 v19, v19, v27, v22
	v_add3_u32 v21, v21, v28, v17
	s_delay_alu instid0(VALU_DEP_2) | instskip(NEXT) | instid1(VALU_DEP_2)
	v_lshlrev_b64 v[17:18], 2, v[18:19]
	v_lshlrev_b64 v[21:22], 2, v[20:21]
	s_delay_alu instid0(VALU_DEP_2) | instskip(NEXT) | instid1(VALU_DEP_3)
	v_add_co_u32 v19, vcc_lo, s16, v17
	v_add_co_ci_u32_e32 v20, vcc_lo, s17, v18, vcc_lo
	s_delay_alu instid0(VALU_DEP_3) | instskip(NEXT) | instid1(VALU_DEP_4)
	v_add_co_u32 v17, vcc_lo, s16, v21
	v_add_co_ci_u32_e32 v18, vcc_lo, s17, v22, vcc_lo
	s_clause 0x1
	global_load_b32 v21, v[19:20], off
	global_load_b32 v22, v[17:18], off
	s_waitcnt vmcnt(0)
	v_cmpx_eq_u32_e64 v21, v22
	s_cbranch_execz .LBB1553_191
; %bb.185:
	v_add_co_u32 v17, vcc_lo, v17, 4
	v_add_co_ci_u32_e32 v18, vcc_lo, 0, v18, vcc_lo
	v_add_co_u32 v19, vcc_lo, v19, 4
	v_add_co_ci_u32_e32 v20, vcc_lo, 0, v20, vcc_lo
	s_add_u32 s4, s14, -1
	s_addc_u32 s5, s15, -1
	s_mov_b64 s[6:7], 0
	s_mov_b32 s27, 0
                                        ; implicit-def: $sgpr28
	s_set_inst_prefetch_distance 0x1
	s_branch .LBB1553_188
	.p2align	6
.LBB1553_186:                           ;   in Loop: Header=BB1553_188 Depth=1
	global_load_b32 v21, v[19:20], off
	global_load_b32 v22, v[17:18], off
	v_add_co_u32 v17, vcc_lo, v17, 4
	v_add_co_ci_u32_e32 v18, vcc_lo, 0, v18, vcc_lo
	v_add_co_u32 v19, s0, v19, 4
	s_delay_alu instid0(VALU_DEP_1)
	v_add_co_ci_u32_e64 v20, s0, 0, v20, s0
	s_add_u32 s6, s6, 1
	s_addc_u32 s7, s7, 0
	s_and_not1_b32 s0, s28, exec_lo
	s_waitcnt vmcnt(0)
	v_cmp_ne_u32_e32 vcc_lo, v21, v22
	s_and_b32 s28, vcc_lo, exec_lo
	s_delay_alu instid0(SALU_CYCLE_1)
	s_or_b32 s28, s0, s28
.LBB1553_187:                           ;   in Loop: Header=BB1553_188 Depth=1
	v_dual_mov_b32 v22, s7 :: v_dual_mov_b32 v21, s6
	s_and_b32 s0, exec_lo, s28
	s_delay_alu instid0(SALU_CYCLE_1) | instskip(NEXT) | instid1(SALU_CYCLE_1)
	s_or_b32 s27, s0, s27
	s_and_not1_b32 exec_lo, exec_lo, s27
	s_cbranch_execz .LBB1553_190
.LBB1553_188:                           ; =>This Inner Loop Header: Depth=1
	s_or_b32 s28, s28, exec_lo
	s_cmp_eq_u64 s[4:5], s[6:7]
	s_cbranch_scc0 .LBB1553_186
; %bb.189:                              ;   in Loop: Header=BB1553_188 Depth=1
	s_mov_b64 s[6:7], s[14:15]
                                        ; implicit-def: $vgpr17_vgpr18
                                        ; implicit-def: $vgpr19_vgpr20
	s_branch .LBB1553_187
.LBB1553_190:
	s_set_inst_prefetch_distance 0x2
	s_or_b32 exec_lo, exec_lo, s27
	v_cmp_gt_i64_e32 vcc_lo, s[14:15], v[21:22]
	s_or_not1_b32 s0, vcc_lo, exec_lo
.LBB1553_191:
	s_or_b32 exec_lo, exec_lo, s26
.LBB1553_192:
	s_delay_alu instid0(SALU_CYCLE_1)
	s_and_b32 s0, s0, exec_lo
.LBB1553_193:
	s_or_b32 exec_lo, exec_lo, s25
	v_or_b32_e32 v19, v23, v24
	v_or_b32_e32 v20, v25, v26
.LBB1553_194:
	s_mov_b32 s25, -1
	s_cbranch_execnz .LBB1553_363
.LBB1553_195:
	v_cmp_gt_i64_e64 s26, s[14:15], 0
	s_and_b32 vcc_lo, exec_lo, s22
	ds_store_b64 v39, v[3:4]
	s_cbranch_vccz .LBB1553_203
; %bb.196:
	v_mul_lo_u32 v19, v2, s14
	v_mul_lo_u32 v20, v1, s15
	s_waitcnt vmcnt(0) lgkmcnt(1)
	v_mad_u64_u32 v[17:18], null, v1, s14, 0
	s_mov_b32 s27, 0
	s_and_not1_b32 vcc_lo, exec_lo, s26
	s_mov_b32 s28, 0
	s_delay_alu instid0(VALU_DEP_1) | instskip(NEXT) | instid1(VALU_DEP_1)
	v_add3_u32 v18, v18, v20, v19
	v_lshlrev_b64 v[17:18], 2, v[17:18]
	s_cbranch_vccnz .LBB1553_206
; %bb.197:
	v_mul_lo_u32 v21, v4, s14
	v_mul_lo_u32 v22, v3, s15
	v_mad_u64_u32 v[19:20], null, v3, s14, 0
	s_mov_b32 s28, -1
	s_mov_b32 s29, exec_lo
	s_delay_alu instid0(VALU_DEP_1) | instskip(SKIP_2) | instid1(VALU_DEP_3)
	v_add3_u32 v20, v20, v22, v21
	v_add_co_u32 v21, vcc_lo, s16, v17
	v_add_co_ci_u32_e32 v22, vcc_lo, s17, v18, vcc_lo
	v_lshlrev_b64 v[19:20], 2, v[19:20]
	s_delay_alu instid0(VALU_DEP_1) | instskip(NEXT) | instid1(VALU_DEP_2)
	v_add_co_u32 v19, vcc_lo, s16, v19
	v_add_co_ci_u32_e32 v20, vcc_lo, s17, v20, vcc_lo
	s_clause 0x1
	global_load_b32 v23, v[21:22], off
	global_load_b32 v24, v[19:20], off
	s_waitcnt vmcnt(0)
	v_cmpx_eq_u32_e64 v23, v24
	s_cbranch_execz .LBB1553_205
; %bb.198:
	v_add_co_u32 v19, vcc_lo, v19, 4
	v_add_co_ci_u32_e32 v20, vcc_lo, 0, v20, vcc_lo
	v_add_co_u32 v21, vcc_lo, v21, 4
	v_add_co_ci_u32_e32 v22, vcc_lo, 0, v22, vcc_lo
	s_add_u32 s4, s14, -1
	s_addc_u32 s5, s15, -1
	s_mov_b64 s[6:7], 0
	s_mov_b32 s28, 0
                                        ; implicit-def: $sgpr30
	s_set_inst_prefetch_distance 0x1
	s_branch .LBB1553_201
	.p2align	6
.LBB1553_199:                           ;   in Loop: Header=BB1553_201 Depth=1
	global_load_b32 v23, v[21:22], off
	global_load_b32 v24, v[19:20], off
	v_add_co_u32 v19, vcc_lo, v19, 4
	v_add_co_ci_u32_e32 v20, vcc_lo, 0, v20, vcc_lo
	v_add_co_u32 v21, s0, v21, 4
	s_delay_alu instid0(VALU_DEP_1)
	v_add_co_ci_u32_e64 v22, s0, 0, v22, s0
	s_add_u32 s6, s6, 1
	s_addc_u32 s7, s7, 0
	s_and_not1_b32 s0, s30, exec_lo
	s_waitcnt vmcnt(0)
	v_cmp_ne_u32_e32 vcc_lo, v23, v24
	s_and_b32 s30, vcc_lo, exec_lo
	s_delay_alu instid0(SALU_CYCLE_1)
	s_or_b32 s30, s0, s30
.LBB1553_200:                           ;   in Loop: Header=BB1553_201 Depth=1
	v_dual_mov_b32 v24, s7 :: v_dual_mov_b32 v23, s6
	s_and_b32 s0, exec_lo, s30
	s_delay_alu instid0(SALU_CYCLE_1) | instskip(NEXT) | instid1(SALU_CYCLE_1)
	s_or_b32 s28, s0, s28
	s_and_not1_b32 exec_lo, exec_lo, s28
	s_cbranch_execz .LBB1553_204
.LBB1553_201:                           ; =>This Inner Loop Header: Depth=1
	s_or_b32 s30, s30, exec_lo
	s_cmp_eq_u64 s[4:5], s[6:7]
	s_cbranch_scc0 .LBB1553_199
; %bb.202:                              ;   in Loop: Header=BB1553_201 Depth=1
	s_mov_b64 s[6:7], s[14:15]
                                        ; implicit-def: $vgpr19_vgpr20
                                        ; implicit-def: $vgpr21_vgpr22
	s_branch .LBB1553_200
.LBB1553_203:
                                        ; implicit-def: $sgpr0
                                        ; implicit-def: $vgpr20
	s_cbranch_execnz .LBB1553_272
	s_branch .LBB1553_363
.LBB1553_204:
	s_set_inst_prefetch_distance 0x2
	s_or_b32 exec_lo, exec_lo, s28
	v_cmp_gt_i64_e32 vcc_lo, s[14:15], v[23:24]
	s_or_not1_b32 s28, vcc_lo, exec_lo
.LBB1553_205:
	s_or_b32 exec_lo, exec_lo, s29
.LBB1553_206:
	v_mul_lo_u32 v21, v8, s14
	v_mul_lo_u32 v22, v7, s15
	v_mad_u64_u32 v[19:20], null, v7, s14, 0
	s_and_not1_b32 vcc_lo, exec_lo, s26
	s_delay_alu instid0(VALU_DEP_1) | instskip(NEXT) | instid1(VALU_DEP_1)
	v_add3_u32 v20, v20, v22, v21
	v_lshlrev_b64 v[19:20], 2, v[19:20]
	s_cbranch_vccnz .LBB1553_215
; %bb.207:
	s_delay_alu instid0(VALU_DEP_1) | instskip(NEXT) | instid1(VALU_DEP_2)
	v_add_co_u32 v21, vcc_lo, s16, v19
	v_add_co_ci_u32_e32 v22, vcc_lo, s17, v20, vcc_lo
	v_add_co_u32 v17, vcc_lo, s16, v17
	v_add_co_ci_u32_e32 v18, vcc_lo, s17, v18, vcc_lo
	s_mov_b32 s27, -1
	s_clause 0x1
	global_load_b32 v23, v[21:22], off
	global_load_b32 v24, v[17:18], off
	s_mov_b32 s29, exec_lo
	s_waitcnt vmcnt(0)
	v_cmpx_eq_u32_e64 v23, v24
	s_cbranch_execz .LBB1553_214
; %bb.208:
	v_add_co_u32 v17, vcc_lo, v17, 4
	v_add_co_ci_u32_e32 v18, vcc_lo, 0, v18, vcc_lo
	v_add_co_u32 v21, vcc_lo, v21, 4
	v_add_co_ci_u32_e32 v22, vcc_lo, 0, v22, vcc_lo
	s_add_u32 s4, s14, -1
	s_addc_u32 s5, s15, -1
	s_mov_b64 s[6:7], 0
	s_mov_b32 s27, 0
                                        ; implicit-def: $sgpr30
	s_set_inst_prefetch_distance 0x1
	s_branch .LBB1553_211
	.p2align	6
.LBB1553_209:                           ;   in Loop: Header=BB1553_211 Depth=1
	global_load_b32 v23, v[21:22], off
	global_load_b32 v24, v[17:18], off
	v_add_co_u32 v17, vcc_lo, v17, 4
	v_add_co_ci_u32_e32 v18, vcc_lo, 0, v18, vcc_lo
	v_add_co_u32 v21, s0, v21, 4
	s_delay_alu instid0(VALU_DEP_1)
	v_add_co_ci_u32_e64 v22, s0, 0, v22, s0
	s_add_u32 s6, s6, 1
	s_addc_u32 s7, s7, 0
	s_and_not1_b32 s0, s30, exec_lo
	s_waitcnt vmcnt(0)
	v_cmp_ne_u32_e32 vcc_lo, v23, v24
	s_and_b32 s30, vcc_lo, exec_lo
	s_delay_alu instid0(SALU_CYCLE_1)
	s_or_b32 s30, s0, s30
.LBB1553_210:                           ;   in Loop: Header=BB1553_211 Depth=1
	v_dual_mov_b32 v24, s7 :: v_dual_mov_b32 v23, s6
	s_and_b32 s0, exec_lo, s30
	s_delay_alu instid0(SALU_CYCLE_1) | instskip(NEXT) | instid1(SALU_CYCLE_1)
	s_or_b32 s27, s0, s27
	s_and_not1_b32 exec_lo, exec_lo, s27
	s_cbranch_execz .LBB1553_213
.LBB1553_211:                           ; =>This Inner Loop Header: Depth=1
	s_or_b32 s30, s30, exec_lo
	s_cmp_eq_u64 s[4:5], s[6:7]
	s_cbranch_scc0 .LBB1553_209
; %bb.212:                              ;   in Loop: Header=BB1553_211 Depth=1
	s_mov_b64 s[6:7], s[14:15]
                                        ; implicit-def: $vgpr17_vgpr18
                                        ; implicit-def: $vgpr21_vgpr22
	s_branch .LBB1553_210
.LBB1553_213:
	s_set_inst_prefetch_distance 0x2
	s_or_b32 exec_lo, exec_lo, s27
	v_cmp_gt_i64_e32 vcc_lo, s[14:15], v[23:24]
	s_or_not1_b32 s27, vcc_lo, exec_lo
.LBB1553_214:
	s_or_b32 exec_lo, exec_lo, s29
.LBB1553_215:
	v_mul_lo_u32 v21, v6, s14
	v_mul_lo_u32 v22, v5, s15
	v_mad_u64_u32 v[17:18], null, v5, s14, 0
	s_mov_b32 s29, 0
	s_and_not1_b32 vcc_lo, exec_lo, s26
	s_mov_b32 s30, 0
	s_delay_alu instid0(VALU_DEP_1) | instskip(NEXT) | instid1(VALU_DEP_1)
	v_add3_u32 v18, v18, v22, v21
	v_lshlrev_b64 v[21:22], 2, v[17:18]
	s_cbranch_vccnz .LBB1553_224
; %bb.216:
	s_delay_alu instid0(VALU_DEP_1) | instskip(NEXT) | instid1(VALU_DEP_2)
	v_add_co_u32 v23, vcc_lo, s16, v21
	v_add_co_ci_u32_e32 v24, vcc_lo, s17, v22, vcc_lo
	v_add_co_u32 v17, vcc_lo, s16, v19
	v_add_co_ci_u32_e32 v18, vcc_lo, s17, v20, vcc_lo
	s_mov_b32 s30, -1
	s_clause 0x1
	global_load_b32 v19, v[23:24], off
	global_load_b32 v20, v[17:18], off
	s_mov_b32 s31, exec_lo
	s_waitcnt vmcnt(0)
	v_cmpx_eq_u32_e64 v19, v20
	s_cbranch_execz .LBB1553_223
; %bb.217:
	v_add_co_u32 v17, vcc_lo, v17, 4
	v_add_co_ci_u32_e32 v18, vcc_lo, 0, v18, vcc_lo
	v_add_co_u32 v19, vcc_lo, v23, 4
	v_add_co_ci_u32_e32 v20, vcc_lo, 0, v24, vcc_lo
	s_add_u32 s4, s14, -1
	s_addc_u32 s5, s15, -1
	s_mov_b64 s[6:7], 0
	s_mov_b32 s30, 0
                                        ; implicit-def: $sgpr33
	s_set_inst_prefetch_distance 0x1
	s_branch .LBB1553_220
	.p2align	6
.LBB1553_218:                           ;   in Loop: Header=BB1553_220 Depth=1
	global_load_b32 v23, v[19:20], off
	global_load_b32 v24, v[17:18], off
	v_add_co_u32 v17, vcc_lo, v17, 4
	v_add_co_ci_u32_e32 v18, vcc_lo, 0, v18, vcc_lo
	v_add_co_u32 v19, s0, v19, 4
	s_delay_alu instid0(VALU_DEP_1)
	v_add_co_ci_u32_e64 v20, s0, 0, v20, s0
	s_add_u32 s6, s6, 1
	s_addc_u32 s7, s7, 0
	s_and_not1_b32 s0, s33, exec_lo
	s_waitcnt vmcnt(0)
	v_cmp_ne_u32_e32 vcc_lo, v23, v24
	s_and_b32 s33, vcc_lo, exec_lo
	s_delay_alu instid0(SALU_CYCLE_1)
	s_or_b32 s33, s0, s33
.LBB1553_219:                           ;   in Loop: Header=BB1553_220 Depth=1
	v_dual_mov_b32 v24, s7 :: v_dual_mov_b32 v23, s6
	s_and_b32 s0, exec_lo, s33
	s_delay_alu instid0(SALU_CYCLE_1) | instskip(NEXT) | instid1(SALU_CYCLE_1)
	s_or_b32 s30, s0, s30
	s_and_not1_b32 exec_lo, exec_lo, s30
	s_cbranch_execz .LBB1553_222
.LBB1553_220:                           ; =>This Inner Loop Header: Depth=1
	s_or_b32 s33, s33, exec_lo
	s_cmp_eq_u64 s[4:5], s[6:7]
	s_cbranch_scc0 .LBB1553_218
; %bb.221:                              ;   in Loop: Header=BB1553_220 Depth=1
	s_mov_b64 s[6:7], s[14:15]
                                        ; implicit-def: $vgpr17_vgpr18
                                        ; implicit-def: $vgpr19_vgpr20
	s_branch .LBB1553_219
.LBB1553_222:
	s_set_inst_prefetch_distance 0x2
	s_or_b32 exec_lo, exec_lo, s30
	v_cmp_gt_i64_e32 vcc_lo, s[14:15], v[23:24]
	s_or_not1_b32 s30, vcc_lo, exec_lo
.LBB1553_223:
	s_or_b32 exec_lo, exec_lo, s31
.LBB1553_224:
	v_mul_lo_u32 v19, v12, s14
	v_mul_lo_u32 v20, v11, s15
	v_mad_u64_u32 v[17:18], null, v11, s14, 0
	s_and_not1_b32 vcc_lo, exec_lo, s26
	s_delay_alu instid0(VALU_DEP_1) | instskip(NEXT) | instid1(VALU_DEP_1)
	v_add3_u32 v18, v18, v20, v19
	v_lshlrev_b64 v[17:18], 2, v[17:18]
	s_cbranch_vccnz .LBB1553_233
; %bb.225:
	s_delay_alu instid0(VALU_DEP_1) | instskip(NEXT) | instid1(VALU_DEP_2)
	v_add_co_u32 v23, vcc_lo, s16, v17
	v_add_co_ci_u32_e32 v24, vcc_lo, s17, v18, vcc_lo
	v_add_co_u32 v19, vcc_lo, s16, v21
	v_add_co_ci_u32_e32 v20, vcc_lo, s17, v22, vcc_lo
	s_mov_b32 s29, -1
	s_clause 0x1
	global_load_b32 v21, v[23:24], off
	global_load_b32 v22, v[19:20], off
	s_mov_b32 s31, exec_lo
	s_waitcnt vmcnt(0)
	v_cmpx_eq_u32_e64 v21, v22
	s_cbranch_execz .LBB1553_232
; %bb.226:
	v_add_co_u32 v19, vcc_lo, v19, 4
	v_add_co_ci_u32_e32 v20, vcc_lo, 0, v20, vcc_lo
	v_add_co_u32 v21, vcc_lo, v23, 4
	v_add_co_ci_u32_e32 v22, vcc_lo, 0, v24, vcc_lo
	s_add_u32 s4, s14, -1
	s_addc_u32 s5, s15, -1
	s_mov_b64 s[6:7], 0
	s_mov_b32 s29, 0
                                        ; implicit-def: $sgpr33
	s_set_inst_prefetch_distance 0x1
	s_branch .LBB1553_229
	.p2align	6
.LBB1553_227:                           ;   in Loop: Header=BB1553_229 Depth=1
	global_load_b32 v23, v[21:22], off
	global_load_b32 v24, v[19:20], off
	v_add_co_u32 v19, vcc_lo, v19, 4
	v_add_co_ci_u32_e32 v20, vcc_lo, 0, v20, vcc_lo
	v_add_co_u32 v21, s0, v21, 4
	s_delay_alu instid0(VALU_DEP_1)
	v_add_co_ci_u32_e64 v22, s0, 0, v22, s0
	s_add_u32 s6, s6, 1
	s_addc_u32 s7, s7, 0
	s_and_not1_b32 s0, s33, exec_lo
	s_waitcnt vmcnt(0)
	v_cmp_ne_u32_e32 vcc_lo, v23, v24
	s_and_b32 s33, vcc_lo, exec_lo
	s_delay_alu instid0(SALU_CYCLE_1)
	s_or_b32 s33, s0, s33
.LBB1553_228:                           ;   in Loop: Header=BB1553_229 Depth=1
	v_dual_mov_b32 v24, s7 :: v_dual_mov_b32 v23, s6
	s_and_b32 s0, exec_lo, s33
	s_delay_alu instid0(SALU_CYCLE_1) | instskip(NEXT) | instid1(SALU_CYCLE_1)
	s_or_b32 s29, s0, s29
	s_and_not1_b32 exec_lo, exec_lo, s29
	s_cbranch_execz .LBB1553_231
.LBB1553_229:                           ; =>This Inner Loop Header: Depth=1
	s_or_b32 s33, s33, exec_lo
	s_cmp_eq_u64 s[4:5], s[6:7]
	s_cbranch_scc0 .LBB1553_227
; %bb.230:                              ;   in Loop: Header=BB1553_229 Depth=1
	s_mov_b64 s[6:7], s[14:15]
                                        ; implicit-def: $vgpr19_vgpr20
                                        ; implicit-def: $vgpr21_vgpr22
	s_branch .LBB1553_228
.LBB1553_231:
	s_set_inst_prefetch_distance 0x2
	s_or_b32 exec_lo, exec_lo, s29
	v_cmp_gt_i64_e32 vcc_lo, s[14:15], v[23:24]
	s_or_not1_b32 s29, vcc_lo, exec_lo
.LBB1553_232:
	s_or_b32 exec_lo, exec_lo, s31
.LBB1553_233:
	v_mul_lo_u32 v21, v10, s14
	v_mul_lo_u32 v22, v9, s15
	v_mad_u64_u32 v[19:20], null, v9, s14, 0
	s_mov_b32 s31, 0
	s_and_not1_b32 vcc_lo, exec_lo, s26
	s_mov_b32 s33, 0
	s_delay_alu instid0(VALU_DEP_1) | instskip(NEXT) | instid1(VALU_DEP_1)
	v_add3_u32 v20, v20, v22, v21
	v_lshlrev_b64 v[21:22], 2, v[19:20]
	s_cbranch_vccnz .LBB1553_242
; %bb.234:
	s_delay_alu instid0(VALU_DEP_1) | instskip(NEXT) | instid1(VALU_DEP_2)
	v_add_co_u32 v19, vcc_lo, s16, v21
	v_add_co_ci_u32_e32 v20, vcc_lo, s17, v22, vcc_lo
	v_add_co_u32 v17, vcc_lo, s16, v17
	v_add_co_ci_u32_e32 v18, vcc_lo, s17, v18, vcc_lo
	s_mov_b32 s33, -1
	s_clause 0x1
	global_load_b32 v23, v[19:20], off
	global_load_b32 v24, v[17:18], off
	s_mov_b32 s34, exec_lo
	s_waitcnt vmcnt(0)
	v_cmpx_eq_u32_e64 v23, v24
	s_cbranch_execz .LBB1553_241
; %bb.235:
	v_add_co_u32 v17, vcc_lo, v17, 4
	v_add_co_ci_u32_e32 v18, vcc_lo, 0, v18, vcc_lo
	v_add_co_u32 v19, vcc_lo, v19, 4
	v_add_co_ci_u32_e32 v20, vcc_lo, 0, v20, vcc_lo
	s_add_u32 s4, s14, -1
	s_addc_u32 s5, s15, -1
	s_mov_b64 s[6:7], 0
	s_mov_b32 s33, 0
                                        ; implicit-def: $sgpr35
	s_set_inst_prefetch_distance 0x1
	s_branch .LBB1553_238
	.p2align	6
.LBB1553_236:                           ;   in Loop: Header=BB1553_238 Depth=1
	global_load_b32 v23, v[19:20], off
	global_load_b32 v24, v[17:18], off
	v_add_co_u32 v17, vcc_lo, v17, 4
	v_add_co_ci_u32_e32 v18, vcc_lo, 0, v18, vcc_lo
	v_add_co_u32 v19, s0, v19, 4
	s_delay_alu instid0(VALU_DEP_1)
	v_add_co_ci_u32_e64 v20, s0, 0, v20, s0
	s_add_u32 s6, s6, 1
	s_addc_u32 s7, s7, 0
	s_and_not1_b32 s0, s35, exec_lo
	s_waitcnt vmcnt(0)
	v_cmp_ne_u32_e32 vcc_lo, v23, v24
	s_and_b32 s35, vcc_lo, exec_lo
	s_delay_alu instid0(SALU_CYCLE_1)
	s_or_b32 s35, s0, s35
.LBB1553_237:                           ;   in Loop: Header=BB1553_238 Depth=1
	v_dual_mov_b32 v24, s7 :: v_dual_mov_b32 v23, s6
	s_and_b32 s0, exec_lo, s35
	s_delay_alu instid0(SALU_CYCLE_1) | instskip(NEXT) | instid1(SALU_CYCLE_1)
	s_or_b32 s33, s0, s33
	s_and_not1_b32 exec_lo, exec_lo, s33
	s_cbranch_execz .LBB1553_240
.LBB1553_238:                           ; =>This Inner Loop Header: Depth=1
	s_or_b32 s35, s35, exec_lo
	s_cmp_eq_u64 s[4:5], s[6:7]
	s_cbranch_scc0 .LBB1553_236
; %bb.239:                              ;   in Loop: Header=BB1553_238 Depth=1
	s_mov_b64 s[6:7], s[14:15]
                                        ; implicit-def: $vgpr17_vgpr18
                                        ; implicit-def: $vgpr19_vgpr20
	s_branch .LBB1553_237
.LBB1553_240:
	s_set_inst_prefetch_distance 0x2
	s_or_b32 exec_lo, exec_lo, s33
	v_cmp_gt_i64_e32 vcc_lo, s[14:15], v[23:24]
	s_or_not1_b32 s33, vcc_lo, exec_lo
.LBB1553_241:
	s_or_b32 exec_lo, exec_lo, s34
.LBB1553_242:
	v_mul_lo_u32 v19, v16, s14
	v_mul_lo_u32 v20, v15, s15
	v_mad_u64_u32 v[17:18], null, v15, s14, 0
	s_and_not1_b32 vcc_lo, exec_lo, s26
	s_delay_alu instid0(VALU_DEP_1) | instskip(NEXT) | instid1(VALU_DEP_1)
	v_add3_u32 v18, v18, v20, v19
	v_lshlrev_b64 v[19:20], 2, v[17:18]
	s_cbranch_vccnz .LBB1553_251
; %bb.243:
	s_delay_alu instid0(VALU_DEP_1) | instskip(NEXT) | instid1(VALU_DEP_2)
	v_add_co_u32 v23, vcc_lo, s16, v19
	v_add_co_ci_u32_e32 v24, vcc_lo, s17, v20, vcc_lo
	v_add_co_u32 v17, vcc_lo, s16, v21
	v_add_co_ci_u32_e32 v18, vcc_lo, s17, v22, vcc_lo
	s_mov_b32 s31, -1
	s_clause 0x1
	global_load_b32 v21, v[23:24], off
	global_load_b32 v22, v[17:18], off
	s_mov_b32 s34, exec_lo
	s_waitcnt vmcnt(0)
	v_cmpx_eq_u32_e64 v21, v22
	s_cbranch_execz .LBB1553_250
; %bb.244:
	v_add_co_u32 v17, vcc_lo, v17, 4
	v_add_co_ci_u32_e32 v18, vcc_lo, 0, v18, vcc_lo
	v_add_co_u32 v21, vcc_lo, v23, 4
	v_add_co_ci_u32_e32 v22, vcc_lo, 0, v24, vcc_lo
	s_add_u32 s4, s14, -1
	s_addc_u32 s5, s15, -1
	s_mov_b64 s[6:7], 0
	s_mov_b32 s31, 0
                                        ; implicit-def: $sgpr35
	s_set_inst_prefetch_distance 0x1
	s_branch .LBB1553_247
	.p2align	6
.LBB1553_245:                           ;   in Loop: Header=BB1553_247 Depth=1
	global_load_b32 v23, v[21:22], off
	global_load_b32 v24, v[17:18], off
	v_add_co_u32 v17, vcc_lo, v17, 4
	v_add_co_ci_u32_e32 v18, vcc_lo, 0, v18, vcc_lo
	v_add_co_u32 v21, s0, v21, 4
	s_delay_alu instid0(VALU_DEP_1)
	v_add_co_ci_u32_e64 v22, s0, 0, v22, s0
	s_add_u32 s6, s6, 1
	s_addc_u32 s7, s7, 0
	s_and_not1_b32 s0, s35, exec_lo
	s_waitcnt vmcnt(0)
	v_cmp_ne_u32_e32 vcc_lo, v23, v24
	s_and_b32 s35, vcc_lo, exec_lo
	s_delay_alu instid0(SALU_CYCLE_1)
	s_or_b32 s35, s0, s35
.LBB1553_246:                           ;   in Loop: Header=BB1553_247 Depth=1
	v_dual_mov_b32 v24, s7 :: v_dual_mov_b32 v23, s6
	s_and_b32 s0, exec_lo, s35
	s_delay_alu instid0(SALU_CYCLE_1) | instskip(NEXT) | instid1(SALU_CYCLE_1)
	s_or_b32 s31, s0, s31
	s_and_not1_b32 exec_lo, exec_lo, s31
	s_cbranch_execz .LBB1553_249
.LBB1553_247:                           ; =>This Inner Loop Header: Depth=1
	s_or_b32 s35, s35, exec_lo
	s_cmp_eq_u64 s[4:5], s[6:7]
	s_cbranch_scc0 .LBB1553_245
; %bb.248:                              ;   in Loop: Header=BB1553_247 Depth=1
	s_mov_b64 s[6:7], s[14:15]
                                        ; implicit-def: $vgpr17_vgpr18
                                        ; implicit-def: $vgpr21_vgpr22
	s_branch .LBB1553_246
.LBB1553_249:
	s_set_inst_prefetch_distance 0x2
	s_or_b32 exec_lo, exec_lo, s31
	v_cmp_gt_i64_e32 vcc_lo, s[14:15], v[23:24]
	s_or_not1_b32 s31, vcc_lo, exec_lo
.LBB1553_250:
	s_or_b32 exec_lo, exec_lo, s34
.LBB1553_251:
	v_mul_lo_u32 v21, v14, s14
	v_mul_lo_u32 v22, v13, s15
	v_mad_u64_u32 v[17:18], null, v13, s14, 0
	s_and_not1_b32 vcc_lo, exec_lo, s26
	s_mov_b32 s0, 0
	s_delay_alu instid0(VALU_DEP_1)
	v_add3_u32 v18, v18, v22, v21
	s_cbranch_vccnz .LBB1553_260
; %bb.252:
	s_delay_alu instid0(VALU_DEP_1) | instskip(SKIP_2) | instid1(VALU_DEP_1)
	v_lshlrev_b64 v[21:22], 2, v[17:18]
	s_mov_b32 s0, -1
	s_mov_b32 s34, exec_lo
	v_add_co_u32 v21, vcc_lo, s16, v21
	s_delay_alu instid0(VALU_DEP_2)
	v_add_co_ci_u32_e32 v22, vcc_lo, s17, v22, vcc_lo
	v_add_co_u32 v19, vcc_lo, s16, v19
	v_add_co_ci_u32_e32 v20, vcc_lo, s17, v20, vcc_lo
	s_clause 0x1
	global_load_b32 v23, v[21:22], off
	global_load_b32 v24, v[19:20], off
	s_waitcnt vmcnt(0)
	v_cmpx_eq_u32_e64 v23, v24
	s_cbranch_execz .LBB1553_259
; %bb.253:
	v_add_co_u32 v19, vcc_lo, v19, 4
	v_add_co_ci_u32_e32 v20, vcc_lo, 0, v20, vcc_lo
	v_add_co_u32 v21, vcc_lo, v21, 4
	v_add_co_ci_u32_e32 v22, vcc_lo, 0, v22, vcc_lo
	s_add_u32 s4, s14, -1
	s_addc_u32 s5, s15, -1
	s_mov_b64 s[6:7], 0
	s_mov_b32 s35, 0
                                        ; implicit-def: $sgpr36
	s_set_inst_prefetch_distance 0x1
	s_branch .LBB1553_256
	.p2align	6
.LBB1553_254:                           ;   in Loop: Header=BB1553_256 Depth=1
	global_load_b32 v23, v[21:22], off
	global_load_b32 v24, v[19:20], off
	v_add_co_u32 v19, vcc_lo, v19, 4
	v_add_co_ci_u32_e32 v20, vcc_lo, 0, v20, vcc_lo
	v_add_co_u32 v21, s0, v21, 4
	s_delay_alu instid0(VALU_DEP_1)
	v_add_co_ci_u32_e64 v22, s0, 0, v22, s0
	s_add_u32 s6, s6, 1
	s_addc_u32 s7, s7, 0
	s_and_not1_b32 s0, s36, exec_lo
	s_waitcnt vmcnt(0)
	v_cmp_ne_u32_e32 vcc_lo, v23, v24
	s_and_b32 s36, vcc_lo, exec_lo
	s_delay_alu instid0(SALU_CYCLE_1)
	s_or_b32 s36, s0, s36
.LBB1553_255:                           ;   in Loop: Header=BB1553_256 Depth=1
	v_dual_mov_b32 v24, s7 :: v_dual_mov_b32 v23, s6
	s_and_b32 s0, exec_lo, s36
	s_delay_alu instid0(SALU_CYCLE_1) | instskip(NEXT) | instid1(SALU_CYCLE_1)
	s_or_b32 s35, s0, s35
	s_and_not1_b32 exec_lo, exec_lo, s35
	s_cbranch_execz .LBB1553_258
.LBB1553_256:                           ; =>This Inner Loop Header: Depth=1
	s_or_b32 s36, s36, exec_lo
	s_cmp_eq_u64 s[4:5], s[6:7]
	s_cbranch_scc0 .LBB1553_254
; %bb.257:                              ;   in Loop: Header=BB1553_256 Depth=1
	s_mov_b64 s[6:7], s[14:15]
                                        ; implicit-def: $vgpr19_vgpr20
                                        ; implicit-def: $vgpr21_vgpr22
	s_branch .LBB1553_255
.LBB1553_258:
	s_set_inst_prefetch_distance 0x2
	s_or_b32 exec_lo, exec_lo, s35
	v_cmp_gt_i64_e32 vcc_lo, s[14:15], v[23:24]
	s_or_not1_b32 s0, vcc_lo, exec_lo
.LBB1553_259:
	s_or_b32 exec_lo, exec_lo, s34
.LBB1553_260:
	v_cndmask_b32_e64 v20, 0, 1, s33
	v_cndmask_b32_e64 v21, 0, 1, s30
	;; [unrolled: 1-line block ×7, first 2 shown]
	v_lshlrev_b16 v21, 8, v21
	v_lshlrev_b16 v22, 8, v22
	;; [unrolled: 1-line block ×4, first 2 shown]
	s_waitcnt lgkmcnt(0)
	v_or_b32_e32 v21, v24, v21
	v_or_b32_e32 v22, v25, v22
	;; [unrolled: 1-line block ×4, first 2 shown]
	s_barrier
	v_and_b32_e32 v20, 0xffff, v21
	v_lshlrev_b32_e32 v21, 16, v22
	v_and_b32_e32 v22, 0xffff, v23
	v_lshlrev_b32_e32 v19, 16, v19
	buffer_gl0_inv
                                        ; implicit-def: $sgpr0
	v_or_b32_e32 v20, v20, v21
	v_or_b32_e32 v19, v22, v19
	s_and_saveexec_b32 s4, s3
	s_delay_alu instid0(SALU_CYCLE_1)
	s_xor_b32 s27, exec_lo, s4
	s_cbranch_execz .LBB1553_271
; %bb.261:
	s_and_not1_b32 vcc_lo, exec_lo, s26
	s_mov_b32 s0, 0
	s_cbranch_vccnz .LBB1553_270
; %bb.262:
	v_add_nc_u32_e32 v21, -8, v39
	v_lshlrev_b64 v[17:18], 2, v[17:18]
	s_mov_b32 s0, -1
	s_mov_b32 s28, exec_lo
	ds_load_b64 v[21:22], v21
	s_waitcnt lgkmcnt(0)
	v_mul_lo_u32 v24, v22, s14
	v_mul_lo_u32 v25, v21, s15
	v_mad_u64_u32 v[22:23], null, v21, s14, 0
	s_delay_alu instid0(VALU_DEP_1) | instskip(NEXT) | instid1(VALU_DEP_1)
	v_add3_u32 v23, v23, v25, v24
	v_lshlrev_b64 v[21:22], 2, v[22:23]
	s_delay_alu instid0(VALU_DEP_1) | instskip(NEXT) | instid1(VALU_DEP_2)
	v_add_co_u32 v21, vcc_lo, s16, v21
	v_add_co_ci_u32_e32 v22, vcc_lo, s17, v22, vcc_lo
	v_add_co_u32 v17, vcc_lo, s16, v17
	v_add_co_ci_u32_e32 v18, vcc_lo, s17, v18, vcc_lo
	s_clause 0x1
	global_load_b32 v23, v[21:22], off
	global_load_b32 v24, v[17:18], off
	s_waitcnt vmcnt(0)
	v_cmpx_eq_u32_e64 v23, v24
	s_cbranch_execz .LBB1553_269
; %bb.263:
	v_add_co_u32 v17, vcc_lo, v17, 4
	v_add_co_ci_u32_e32 v18, vcc_lo, 0, v18, vcc_lo
	v_add_co_u32 v21, vcc_lo, v21, 4
	v_add_co_ci_u32_e32 v22, vcc_lo, 0, v22, vcc_lo
	s_add_u32 s4, s14, -1
	s_addc_u32 s5, s15, -1
	s_mov_b64 s[6:7], 0
	s_mov_b32 s29, 0
                                        ; implicit-def: $sgpr30
	s_set_inst_prefetch_distance 0x1
	s_branch .LBB1553_266
	.p2align	6
.LBB1553_264:                           ;   in Loop: Header=BB1553_266 Depth=1
	global_load_b32 v23, v[21:22], off
	global_load_b32 v24, v[17:18], off
	v_add_co_u32 v17, vcc_lo, v17, 4
	v_add_co_ci_u32_e32 v18, vcc_lo, 0, v18, vcc_lo
	v_add_co_u32 v21, s0, v21, 4
	s_delay_alu instid0(VALU_DEP_1)
	v_add_co_ci_u32_e64 v22, s0, 0, v22, s0
	s_add_u32 s6, s6, 1
	s_addc_u32 s7, s7, 0
	s_and_not1_b32 s0, s30, exec_lo
	s_waitcnt vmcnt(0)
	v_cmp_ne_u32_e32 vcc_lo, v23, v24
	s_and_b32 s30, vcc_lo, exec_lo
	s_delay_alu instid0(SALU_CYCLE_1)
	s_or_b32 s30, s0, s30
.LBB1553_265:                           ;   in Loop: Header=BB1553_266 Depth=1
	v_dual_mov_b32 v24, s7 :: v_dual_mov_b32 v23, s6
	s_and_b32 s0, exec_lo, s30
	s_delay_alu instid0(SALU_CYCLE_1) | instskip(NEXT) | instid1(SALU_CYCLE_1)
	s_or_b32 s29, s0, s29
	s_and_not1_b32 exec_lo, exec_lo, s29
	s_cbranch_execz .LBB1553_268
.LBB1553_266:                           ; =>This Inner Loop Header: Depth=1
	s_or_b32 s30, s30, exec_lo
	s_cmp_eq_u64 s[4:5], s[6:7]
	s_cbranch_scc0 .LBB1553_264
; %bb.267:                              ;   in Loop: Header=BB1553_266 Depth=1
	s_mov_b64 s[6:7], s[14:15]
                                        ; implicit-def: $vgpr17_vgpr18
                                        ; implicit-def: $vgpr21_vgpr22
	s_branch .LBB1553_265
.LBB1553_268:
	s_set_inst_prefetch_distance 0x2
	s_or_b32 exec_lo, exec_lo, s29
	v_cmp_gt_i64_e32 vcc_lo, s[14:15], v[23:24]
	s_or_not1_b32 s0, vcc_lo, exec_lo
.LBB1553_269:
	s_or_b32 exec_lo, exec_lo, s28
.LBB1553_270:
	s_delay_alu instid0(SALU_CYCLE_1)
	s_and_b32 s0, s0, exec_lo
	s_or_b32 s25, s25, exec_lo
.LBB1553_271:
	s_or_b32 exec_lo, exec_lo, s27
	s_branch .LBB1553_363
.LBB1553_272:
	s_waitcnt vmcnt(0) lgkmcnt(1)
	v_or_b32_e32 v17, 7, v39
	s_mov_b32 s27, 0
	s_mov_b32 s28, 0
	s_mov_b32 s29, exec_lo
	s_delay_alu instid0(VALU_DEP_1)
	v_cmpx_gt_u32_e64 s12, v17
	s_cbranch_execz .LBB1553_283
; %bb.273:
	s_and_not1_b32 vcc_lo, exec_lo, s26
	s_mov_b32 s0, 0
	s_cbranch_vccnz .LBB1553_282
; %bb.274:
	v_mul_lo_u32 v21, v2, s14
	v_mul_lo_u32 v22, v1, s15
	v_mad_u64_u32 v[17:18], null, v1, s14, 0
	v_mul_lo_u32 v23, v4, s14
	v_mul_lo_u32 v24, v3, s15
	v_mad_u64_u32 v[19:20], null, v3, s14, 0
	s_mov_b32 s0, -1
	s_mov_b32 s28, exec_lo
	s_delay_alu instid0(VALU_DEP_4) | instskip(NEXT) | instid1(VALU_DEP_2)
	v_add3_u32 v18, v18, v22, v21
	v_add3_u32 v20, v20, v24, v23
	s_delay_alu instid0(VALU_DEP_2) | instskip(NEXT) | instid1(VALU_DEP_2)
	v_lshlrev_b64 v[17:18], 2, v[17:18]
	v_lshlrev_b64 v[21:22], 2, v[19:20]
	s_delay_alu instid0(VALU_DEP_2) | instskip(NEXT) | instid1(VALU_DEP_3)
	v_add_co_u32 v19, vcc_lo, s16, v17
	v_add_co_ci_u32_e32 v20, vcc_lo, s17, v18, vcc_lo
	s_delay_alu instid0(VALU_DEP_3) | instskip(NEXT) | instid1(VALU_DEP_4)
	v_add_co_u32 v17, vcc_lo, s16, v21
	v_add_co_ci_u32_e32 v18, vcc_lo, s17, v22, vcc_lo
	s_clause 0x1
	global_load_b32 v21, v[19:20], off
	global_load_b32 v22, v[17:18], off
	s_waitcnt vmcnt(0)
	v_cmpx_eq_u32_e64 v21, v22
	s_cbranch_execz .LBB1553_281
; %bb.275:
	v_add_co_u32 v17, vcc_lo, v17, 4
	v_add_co_ci_u32_e32 v18, vcc_lo, 0, v18, vcc_lo
	v_add_co_u32 v19, vcc_lo, v19, 4
	v_add_co_ci_u32_e32 v20, vcc_lo, 0, v20, vcc_lo
	s_add_u32 s4, s14, -1
	s_addc_u32 s5, s15, -1
	s_mov_b64 s[6:7], 0
	s_mov_b32 s30, 0
                                        ; implicit-def: $sgpr31
	s_set_inst_prefetch_distance 0x1
	s_branch .LBB1553_278
	.p2align	6
.LBB1553_276:                           ;   in Loop: Header=BB1553_278 Depth=1
	global_load_b32 v21, v[19:20], off
	global_load_b32 v22, v[17:18], off
	v_add_co_u32 v17, vcc_lo, v17, 4
	v_add_co_ci_u32_e32 v18, vcc_lo, 0, v18, vcc_lo
	v_add_co_u32 v19, s0, v19, 4
	s_delay_alu instid0(VALU_DEP_1)
	v_add_co_ci_u32_e64 v20, s0, 0, v20, s0
	s_add_u32 s6, s6, 1
	s_addc_u32 s7, s7, 0
	s_and_not1_b32 s0, s31, exec_lo
	s_waitcnt vmcnt(0)
	v_cmp_ne_u32_e32 vcc_lo, v21, v22
	s_and_b32 s31, vcc_lo, exec_lo
	s_delay_alu instid0(SALU_CYCLE_1)
	s_or_b32 s31, s0, s31
.LBB1553_277:                           ;   in Loop: Header=BB1553_278 Depth=1
	v_dual_mov_b32 v22, s7 :: v_dual_mov_b32 v21, s6
	s_and_b32 s0, exec_lo, s31
	s_delay_alu instid0(SALU_CYCLE_1) | instskip(NEXT) | instid1(SALU_CYCLE_1)
	s_or_b32 s30, s0, s30
	s_and_not1_b32 exec_lo, exec_lo, s30
	s_cbranch_execz .LBB1553_280
.LBB1553_278:                           ; =>This Inner Loop Header: Depth=1
	s_or_b32 s31, s31, exec_lo
	s_cmp_eq_u64 s[4:5], s[6:7]
	s_cbranch_scc0 .LBB1553_276
; %bb.279:                              ;   in Loop: Header=BB1553_278 Depth=1
	s_mov_b64 s[6:7], s[14:15]
                                        ; implicit-def: $vgpr17_vgpr18
                                        ; implicit-def: $vgpr19_vgpr20
	s_branch .LBB1553_277
.LBB1553_280:
	s_set_inst_prefetch_distance 0x2
	s_or_b32 exec_lo, exec_lo, s30
	v_cmp_gt_i64_e32 vcc_lo, s[14:15], v[21:22]
	s_or_not1_b32 s0, vcc_lo, exec_lo
.LBB1553_281:
	s_or_b32 exec_lo, exec_lo, s28
.LBB1553_282:
	s_delay_alu instid0(SALU_CYCLE_1)
	s_and_b32 s28, s0, exec_lo
.LBB1553_283:
	s_or_b32 exec_lo, exec_lo, s29
	v_or_b32_e32 v17, 6, v39
	s_mov_b32 s29, exec_lo
	s_delay_alu instid0(VALU_DEP_1)
	v_cmpx_gt_u32_e64 s12, v17
	s_cbranch_execz .LBB1553_294
; %bb.284:
	s_and_not1_b32 vcc_lo, exec_lo, s26
	s_mov_b32 s0, 0
	s_cbranch_vccnz .LBB1553_293
; %bb.285:
	v_mul_lo_u32 v21, v8, s14
	v_mul_lo_u32 v22, v7, s15
	v_mad_u64_u32 v[17:18], null, v7, s14, 0
	v_mul_lo_u32 v23, v2, s14
	v_mul_lo_u32 v24, v1, s15
	v_mad_u64_u32 v[19:20], null, v1, s14, 0
	s_mov_b32 s0, -1
	s_mov_b32 s27, exec_lo
	s_delay_alu instid0(VALU_DEP_4) | instskip(NEXT) | instid1(VALU_DEP_2)
	v_add3_u32 v18, v18, v22, v21
	v_add3_u32 v20, v20, v24, v23
	s_delay_alu instid0(VALU_DEP_2) | instskip(NEXT) | instid1(VALU_DEP_2)
	v_lshlrev_b64 v[17:18], 2, v[17:18]
	v_lshlrev_b64 v[21:22], 2, v[19:20]
	s_delay_alu instid0(VALU_DEP_2) | instskip(NEXT) | instid1(VALU_DEP_3)
	v_add_co_u32 v19, vcc_lo, s16, v17
	v_add_co_ci_u32_e32 v20, vcc_lo, s17, v18, vcc_lo
	s_delay_alu instid0(VALU_DEP_3) | instskip(NEXT) | instid1(VALU_DEP_4)
	v_add_co_u32 v17, vcc_lo, s16, v21
	v_add_co_ci_u32_e32 v18, vcc_lo, s17, v22, vcc_lo
	s_clause 0x1
	global_load_b32 v21, v[19:20], off
	global_load_b32 v22, v[17:18], off
	s_waitcnt vmcnt(0)
	v_cmpx_eq_u32_e64 v21, v22
	s_cbranch_execz .LBB1553_292
; %bb.286:
	v_add_co_u32 v17, vcc_lo, v17, 4
	v_add_co_ci_u32_e32 v18, vcc_lo, 0, v18, vcc_lo
	v_add_co_u32 v19, vcc_lo, v19, 4
	v_add_co_ci_u32_e32 v20, vcc_lo, 0, v20, vcc_lo
	s_add_u32 s4, s14, -1
	s_addc_u32 s5, s15, -1
	s_mov_b64 s[6:7], 0
	s_mov_b32 s30, 0
                                        ; implicit-def: $sgpr31
	s_set_inst_prefetch_distance 0x1
	s_branch .LBB1553_289
	.p2align	6
.LBB1553_287:                           ;   in Loop: Header=BB1553_289 Depth=1
	global_load_b32 v21, v[19:20], off
	global_load_b32 v22, v[17:18], off
	v_add_co_u32 v17, vcc_lo, v17, 4
	v_add_co_ci_u32_e32 v18, vcc_lo, 0, v18, vcc_lo
	v_add_co_u32 v19, s0, v19, 4
	s_delay_alu instid0(VALU_DEP_1)
	v_add_co_ci_u32_e64 v20, s0, 0, v20, s0
	s_add_u32 s6, s6, 1
	s_addc_u32 s7, s7, 0
	s_and_not1_b32 s0, s31, exec_lo
	s_waitcnt vmcnt(0)
	v_cmp_ne_u32_e32 vcc_lo, v21, v22
	s_and_b32 s31, vcc_lo, exec_lo
	s_delay_alu instid0(SALU_CYCLE_1)
	s_or_b32 s31, s0, s31
.LBB1553_288:                           ;   in Loop: Header=BB1553_289 Depth=1
	v_dual_mov_b32 v22, s7 :: v_dual_mov_b32 v21, s6
	s_and_b32 s0, exec_lo, s31
	s_delay_alu instid0(SALU_CYCLE_1) | instskip(NEXT) | instid1(SALU_CYCLE_1)
	s_or_b32 s30, s0, s30
	s_and_not1_b32 exec_lo, exec_lo, s30
	s_cbranch_execz .LBB1553_291
.LBB1553_289:                           ; =>This Inner Loop Header: Depth=1
	s_or_b32 s31, s31, exec_lo
	s_cmp_eq_u64 s[4:5], s[6:7]
	s_cbranch_scc0 .LBB1553_287
; %bb.290:                              ;   in Loop: Header=BB1553_289 Depth=1
	s_mov_b64 s[6:7], s[14:15]
                                        ; implicit-def: $vgpr17_vgpr18
                                        ; implicit-def: $vgpr19_vgpr20
	s_branch .LBB1553_288
.LBB1553_291:
	s_set_inst_prefetch_distance 0x2
	s_or_b32 exec_lo, exec_lo, s30
	v_cmp_gt_i64_e32 vcc_lo, s[14:15], v[21:22]
	s_or_not1_b32 s0, vcc_lo, exec_lo
.LBB1553_292:
	s_or_b32 exec_lo, exec_lo, s27
.LBB1553_293:
	s_delay_alu instid0(SALU_CYCLE_1)
	s_and_b32 s27, s0, exec_lo
.LBB1553_294:
	s_or_b32 exec_lo, exec_lo, s29
	v_or_b32_e32 v17, 5, v39
	s_mov_b32 s29, 0
	s_mov_b32 s30, 0
	s_mov_b32 s31, exec_lo
	s_delay_alu instid0(VALU_DEP_1)
	v_cmpx_gt_u32_e64 s12, v17
	s_cbranch_execz .LBB1553_305
; %bb.295:
	s_and_not1_b32 vcc_lo, exec_lo, s26
	s_mov_b32 s0, 0
	s_cbranch_vccnz .LBB1553_304
; %bb.296:
	v_mul_lo_u32 v21, v6, s14
	v_mul_lo_u32 v22, v5, s15
	v_mad_u64_u32 v[17:18], null, v5, s14, 0
	v_mul_lo_u32 v23, v8, s14
	v_mul_lo_u32 v24, v7, s15
	v_mad_u64_u32 v[19:20], null, v7, s14, 0
	s_mov_b32 s0, -1
	s_mov_b32 s30, exec_lo
	s_delay_alu instid0(VALU_DEP_4) | instskip(NEXT) | instid1(VALU_DEP_2)
	v_add3_u32 v18, v18, v22, v21
	v_add3_u32 v20, v20, v24, v23
	s_delay_alu instid0(VALU_DEP_2) | instskip(NEXT) | instid1(VALU_DEP_2)
	v_lshlrev_b64 v[17:18], 2, v[17:18]
	v_lshlrev_b64 v[21:22], 2, v[19:20]
	s_delay_alu instid0(VALU_DEP_2) | instskip(NEXT) | instid1(VALU_DEP_3)
	v_add_co_u32 v19, vcc_lo, s16, v17
	v_add_co_ci_u32_e32 v20, vcc_lo, s17, v18, vcc_lo
	s_delay_alu instid0(VALU_DEP_3) | instskip(NEXT) | instid1(VALU_DEP_4)
	v_add_co_u32 v17, vcc_lo, s16, v21
	v_add_co_ci_u32_e32 v18, vcc_lo, s17, v22, vcc_lo
	s_clause 0x1
	global_load_b32 v21, v[19:20], off
	global_load_b32 v22, v[17:18], off
	s_waitcnt vmcnt(0)
	v_cmpx_eq_u32_e64 v21, v22
	s_cbranch_execz .LBB1553_303
; %bb.297:
	v_add_co_u32 v17, vcc_lo, v17, 4
	v_add_co_ci_u32_e32 v18, vcc_lo, 0, v18, vcc_lo
	v_add_co_u32 v19, vcc_lo, v19, 4
	v_add_co_ci_u32_e32 v20, vcc_lo, 0, v20, vcc_lo
	s_add_u32 s4, s14, -1
	s_addc_u32 s5, s15, -1
	s_mov_b64 s[6:7], 0
	s_mov_b32 s33, 0
                                        ; implicit-def: $sgpr34
	s_set_inst_prefetch_distance 0x1
	s_branch .LBB1553_300
	.p2align	6
.LBB1553_298:                           ;   in Loop: Header=BB1553_300 Depth=1
	global_load_b32 v21, v[19:20], off
	global_load_b32 v22, v[17:18], off
	v_add_co_u32 v17, vcc_lo, v17, 4
	v_add_co_ci_u32_e32 v18, vcc_lo, 0, v18, vcc_lo
	v_add_co_u32 v19, s0, v19, 4
	s_delay_alu instid0(VALU_DEP_1)
	v_add_co_ci_u32_e64 v20, s0, 0, v20, s0
	s_add_u32 s6, s6, 1
	s_addc_u32 s7, s7, 0
	s_and_not1_b32 s0, s34, exec_lo
	s_waitcnt vmcnt(0)
	v_cmp_ne_u32_e32 vcc_lo, v21, v22
	s_and_b32 s34, vcc_lo, exec_lo
	s_delay_alu instid0(SALU_CYCLE_1)
	s_or_b32 s34, s0, s34
.LBB1553_299:                           ;   in Loop: Header=BB1553_300 Depth=1
	v_dual_mov_b32 v22, s7 :: v_dual_mov_b32 v21, s6
	s_and_b32 s0, exec_lo, s34
	s_delay_alu instid0(SALU_CYCLE_1) | instskip(NEXT) | instid1(SALU_CYCLE_1)
	s_or_b32 s33, s0, s33
	s_and_not1_b32 exec_lo, exec_lo, s33
	s_cbranch_execz .LBB1553_302
.LBB1553_300:                           ; =>This Inner Loop Header: Depth=1
	s_or_b32 s34, s34, exec_lo
	s_cmp_eq_u64 s[4:5], s[6:7]
	s_cbranch_scc0 .LBB1553_298
; %bb.301:                              ;   in Loop: Header=BB1553_300 Depth=1
	s_mov_b64 s[6:7], s[14:15]
                                        ; implicit-def: $vgpr17_vgpr18
                                        ; implicit-def: $vgpr19_vgpr20
	s_branch .LBB1553_299
.LBB1553_302:
	s_set_inst_prefetch_distance 0x2
	s_or_b32 exec_lo, exec_lo, s33
	v_cmp_gt_i64_e32 vcc_lo, s[14:15], v[21:22]
	s_or_not1_b32 s0, vcc_lo, exec_lo
.LBB1553_303:
	s_or_b32 exec_lo, exec_lo, s30
.LBB1553_304:
	s_delay_alu instid0(SALU_CYCLE_1)
	s_and_b32 s30, s0, exec_lo
.LBB1553_305:
	s_or_b32 exec_lo, exec_lo, s31
	v_or_b32_e32 v17, 4, v39
	s_mov_b32 s31, exec_lo
	s_delay_alu instid0(VALU_DEP_1)
	v_cmpx_gt_u32_e64 s12, v17
	s_cbranch_execz .LBB1553_316
; %bb.306:
	s_and_not1_b32 vcc_lo, exec_lo, s26
	s_mov_b32 s0, 0
	s_cbranch_vccnz .LBB1553_315
; %bb.307:
	v_mul_lo_u32 v21, v12, s14
	v_mul_lo_u32 v22, v11, s15
	v_mad_u64_u32 v[17:18], null, v11, s14, 0
	v_mul_lo_u32 v23, v6, s14
	v_mul_lo_u32 v24, v5, s15
	v_mad_u64_u32 v[19:20], null, v5, s14, 0
	s_mov_b32 s0, -1
	s_mov_b32 s29, exec_lo
	s_delay_alu instid0(VALU_DEP_4) | instskip(NEXT) | instid1(VALU_DEP_2)
	v_add3_u32 v18, v18, v22, v21
	v_add3_u32 v20, v20, v24, v23
	s_delay_alu instid0(VALU_DEP_2) | instskip(NEXT) | instid1(VALU_DEP_2)
	v_lshlrev_b64 v[17:18], 2, v[17:18]
	v_lshlrev_b64 v[21:22], 2, v[19:20]
	s_delay_alu instid0(VALU_DEP_2) | instskip(NEXT) | instid1(VALU_DEP_3)
	v_add_co_u32 v19, vcc_lo, s16, v17
	v_add_co_ci_u32_e32 v20, vcc_lo, s17, v18, vcc_lo
	s_delay_alu instid0(VALU_DEP_3) | instskip(NEXT) | instid1(VALU_DEP_4)
	v_add_co_u32 v17, vcc_lo, s16, v21
	v_add_co_ci_u32_e32 v18, vcc_lo, s17, v22, vcc_lo
	s_clause 0x1
	global_load_b32 v21, v[19:20], off
	global_load_b32 v22, v[17:18], off
	s_waitcnt vmcnt(0)
	v_cmpx_eq_u32_e64 v21, v22
	s_cbranch_execz .LBB1553_314
; %bb.308:
	v_add_co_u32 v17, vcc_lo, v17, 4
	v_add_co_ci_u32_e32 v18, vcc_lo, 0, v18, vcc_lo
	v_add_co_u32 v19, vcc_lo, v19, 4
	v_add_co_ci_u32_e32 v20, vcc_lo, 0, v20, vcc_lo
	s_add_u32 s4, s14, -1
	s_addc_u32 s5, s15, -1
	s_mov_b64 s[6:7], 0
	s_mov_b32 s33, 0
                                        ; implicit-def: $sgpr34
	s_set_inst_prefetch_distance 0x1
	s_branch .LBB1553_311
	.p2align	6
.LBB1553_309:                           ;   in Loop: Header=BB1553_311 Depth=1
	global_load_b32 v21, v[19:20], off
	global_load_b32 v22, v[17:18], off
	v_add_co_u32 v17, vcc_lo, v17, 4
	v_add_co_ci_u32_e32 v18, vcc_lo, 0, v18, vcc_lo
	v_add_co_u32 v19, s0, v19, 4
	s_delay_alu instid0(VALU_DEP_1)
	v_add_co_ci_u32_e64 v20, s0, 0, v20, s0
	s_add_u32 s6, s6, 1
	s_addc_u32 s7, s7, 0
	s_and_not1_b32 s0, s34, exec_lo
	s_waitcnt vmcnt(0)
	v_cmp_ne_u32_e32 vcc_lo, v21, v22
	s_and_b32 s34, vcc_lo, exec_lo
	s_delay_alu instid0(SALU_CYCLE_1)
	s_or_b32 s34, s0, s34
.LBB1553_310:                           ;   in Loop: Header=BB1553_311 Depth=1
	v_dual_mov_b32 v22, s7 :: v_dual_mov_b32 v21, s6
	s_and_b32 s0, exec_lo, s34
	s_delay_alu instid0(SALU_CYCLE_1) | instskip(NEXT) | instid1(SALU_CYCLE_1)
	s_or_b32 s33, s0, s33
	s_and_not1_b32 exec_lo, exec_lo, s33
	s_cbranch_execz .LBB1553_313
.LBB1553_311:                           ; =>This Inner Loop Header: Depth=1
	s_or_b32 s34, s34, exec_lo
	s_cmp_eq_u64 s[4:5], s[6:7]
	s_cbranch_scc0 .LBB1553_309
; %bb.312:                              ;   in Loop: Header=BB1553_311 Depth=1
	s_mov_b64 s[6:7], s[14:15]
                                        ; implicit-def: $vgpr17_vgpr18
                                        ; implicit-def: $vgpr19_vgpr20
	s_branch .LBB1553_310
.LBB1553_313:
	s_set_inst_prefetch_distance 0x2
	s_or_b32 exec_lo, exec_lo, s33
	v_cmp_gt_i64_e32 vcc_lo, s[14:15], v[21:22]
	s_or_not1_b32 s0, vcc_lo, exec_lo
.LBB1553_314:
	s_or_b32 exec_lo, exec_lo, s29
.LBB1553_315:
	s_delay_alu instid0(SALU_CYCLE_1)
	s_and_b32 s29, s0, exec_lo
.LBB1553_316:
	s_or_b32 exec_lo, exec_lo, s31
	v_or_b32_e32 v17, 3, v39
	s_mov_b32 s33, 0
	s_mov_b32 s31, 0
	s_mov_b32 s34, exec_lo
	s_delay_alu instid0(VALU_DEP_1)
	v_cmpx_gt_u32_e64 s12, v17
	s_cbranch_execz .LBB1553_327
; %bb.317:
	s_and_not1_b32 vcc_lo, exec_lo, s26
	s_mov_b32 s0, 0
	s_cbranch_vccnz .LBB1553_326
; %bb.318:
	v_mul_lo_u32 v21, v10, s14
	v_mul_lo_u32 v22, v9, s15
	v_mad_u64_u32 v[17:18], null, v9, s14, 0
	v_mul_lo_u32 v23, v12, s14
	v_mul_lo_u32 v24, v11, s15
	v_mad_u64_u32 v[19:20], null, v11, s14, 0
	s_mov_b32 s0, -1
	s_mov_b32 s31, exec_lo
	s_delay_alu instid0(VALU_DEP_4) | instskip(NEXT) | instid1(VALU_DEP_2)
	v_add3_u32 v18, v18, v22, v21
	v_add3_u32 v20, v20, v24, v23
	s_delay_alu instid0(VALU_DEP_2) | instskip(NEXT) | instid1(VALU_DEP_2)
	v_lshlrev_b64 v[17:18], 2, v[17:18]
	v_lshlrev_b64 v[21:22], 2, v[19:20]
	s_delay_alu instid0(VALU_DEP_2) | instskip(NEXT) | instid1(VALU_DEP_3)
	v_add_co_u32 v19, vcc_lo, s16, v17
	v_add_co_ci_u32_e32 v20, vcc_lo, s17, v18, vcc_lo
	s_delay_alu instid0(VALU_DEP_3) | instskip(NEXT) | instid1(VALU_DEP_4)
	v_add_co_u32 v17, vcc_lo, s16, v21
	v_add_co_ci_u32_e32 v18, vcc_lo, s17, v22, vcc_lo
	s_clause 0x1
	global_load_b32 v21, v[19:20], off
	global_load_b32 v22, v[17:18], off
	s_waitcnt vmcnt(0)
	v_cmpx_eq_u32_e64 v21, v22
	s_cbranch_execz .LBB1553_325
; %bb.319:
	v_add_co_u32 v17, vcc_lo, v17, 4
	v_add_co_ci_u32_e32 v18, vcc_lo, 0, v18, vcc_lo
	v_add_co_u32 v19, vcc_lo, v19, 4
	v_add_co_ci_u32_e32 v20, vcc_lo, 0, v20, vcc_lo
	s_add_u32 s4, s14, -1
	s_addc_u32 s5, s15, -1
	s_mov_b64 s[6:7], 0
	s_mov_b32 s35, 0
                                        ; implicit-def: $sgpr36
	s_set_inst_prefetch_distance 0x1
	s_branch .LBB1553_322
	.p2align	6
.LBB1553_320:                           ;   in Loop: Header=BB1553_322 Depth=1
	global_load_b32 v21, v[19:20], off
	global_load_b32 v22, v[17:18], off
	v_add_co_u32 v17, vcc_lo, v17, 4
	v_add_co_ci_u32_e32 v18, vcc_lo, 0, v18, vcc_lo
	v_add_co_u32 v19, s0, v19, 4
	s_delay_alu instid0(VALU_DEP_1)
	v_add_co_ci_u32_e64 v20, s0, 0, v20, s0
	s_add_u32 s6, s6, 1
	s_addc_u32 s7, s7, 0
	s_and_not1_b32 s0, s36, exec_lo
	s_waitcnt vmcnt(0)
	v_cmp_ne_u32_e32 vcc_lo, v21, v22
	s_and_b32 s36, vcc_lo, exec_lo
	s_delay_alu instid0(SALU_CYCLE_1)
	s_or_b32 s36, s0, s36
.LBB1553_321:                           ;   in Loop: Header=BB1553_322 Depth=1
	v_dual_mov_b32 v22, s7 :: v_dual_mov_b32 v21, s6
	s_and_b32 s0, exec_lo, s36
	s_delay_alu instid0(SALU_CYCLE_1) | instskip(NEXT) | instid1(SALU_CYCLE_1)
	s_or_b32 s35, s0, s35
	s_and_not1_b32 exec_lo, exec_lo, s35
	s_cbranch_execz .LBB1553_324
.LBB1553_322:                           ; =>This Inner Loop Header: Depth=1
	s_or_b32 s36, s36, exec_lo
	s_cmp_eq_u64 s[4:5], s[6:7]
	s_cbranch_scc0 .LBB1553_320
; %bb.323:                              ;   in Loop: Header=BB1553_322 Depth=1
	s_mov_b64 s[6:7], s[14:15]
                                        ; implicit-def: $vgpr17_vgpr18
                                        ; implicit-def: $vgpr19_vgpr20
	s_branch .LBB1553_321
.LBB1553_324:
	s_set_inst_prefetch_distance 0x2
	s_or_b32 exec_lo, exec_lo, s35
	v_cmp_gt_i64_e32 vcc_lo, s[14:15], v[21:22]
	s_or_not1_b32 s0, vcc_lo, exec_lo
.LBB1553_325:
	s_or_b32 exec_lo, exec_lo, s31
.LBB1553_326:
	s_delay_alu instid0(SALU_CYCLE_1)
	s_and_b32 s31, s0, exec_lo
.LBB1553_327:
	s_or_b32 exec_lo, exec_lo, s34
	v_or_b32_e32 v17, 2, v39
	s_mov_b32 s34, exec_lo
	s_delay_alu instid0(VALU_DEP_1)
	v_cmpx_gt_u32_e64 s12, v17
	s_cbranch_execz .LBB1553_338
; %bb.328:
	s_and_not1_b32 vcc_lo, exec_lo, s26
	s_mov_b32 s0, 0
	s_cbranch_vccnz .LBB1553_337
; %bb.329:
	v_mul_lo_u32 v21, v16, s14
	v_mul_lo_u32 v22, v15, s15
	v_mad_u64_u32 v[17:18], null, v15, s14, 0
	v_mul_lo_u32 v23, v10, s14
	v_mul_lo_u32 v24, v9, s15
	v_mad_u64_u32 v[19:20], null, v9, s14, 0
	s_mov_b32 s0, -1
	s_mov_b32 s33, exec_lo
	s_delay_alu instid0(VALU_DEP_4) | instskip(NEXT) | instid1(VALU_DEP_2)
	v_add3_u32 v18, v18, v22, v21
	v_add3_u32 v20, v20, v24, v23
	s_delay_alu instid0(VALU_DEP_2) | instskip(NEXT) | instid1(VALU_DEP_2)
	v_lshlrev_b64 v[17:18], 2, v[17:18]
	v_lshlrev_b64 v[21:22], 2, v[19:20]
	s_delay_alu instid0(VALU_DEP_2) | instskip(NEXT) | instid1(VALU_DEP_3)
	v_add_co_u32 v19, vcc_lo, s16, v17
	v_add_co_ci_u32_e32 v20, vcc_lo, s17, v18, vcc_lo
	s_delay_alu instid0(VALU_DEP_3) | instskip(NEXT) | instid1(VALU_DEP_4)
	v_add_co_u32 v17, vcc_lo, s16, v21
	v_add_co_ci_u32_e32 v18, vcc_lo, s17, v22, vcc_lo
	s_clause 0x1
	global_load_b32 v21, v[19:20], off
	global_load_b32 v22, v[17:18], off
	s_waitcnt vmcnt(0)
	v_cmpx_eq_u32_e64 v21, v22
	s_cbranch_execz .LBB1553_336
; %bb.330:
	v_add_co_u32 v17, vcc_lo, v17, 4
	v_add_co_ci_u32_e32 v18, vcc_lo, 0, v18, vcc_lo
	v_add_co_u32 v19, vcc_lo, v19, 4
	v_add_co_ci_u32_e32 v20, vcc_lo, 0, v20, vcc_lo
	s_add_u32 s4, s14, -1
	s_addc_u32 s5, s15, -1
	s_mov_b64 s[6:7], 0
	s_mov_b32 s35, 0
                                        ; implicit-def: $sgpr36
	s_set_inst_prefetch_distance 0x1
	s_branch .LBB1553_333
	.p2align	6
.LBB1553_331:                           ;   in Loop: Header=BB1553_333 Depth=1
	global_load_b32 v21, v[19:20], off
	global_load_b32 v22, v[17:18], off
	v_add_co_u32 v17, vcc_lo, v17, 4
	v_add_co_ci_u32_e32 v18, vcc_lo, 0, v18, vcc_lo
	v_add_co_u32 v19, s0, v19, 4
	s_delay_alu instid0(VALU_DEP_1)
	v_add_co_ci_u32_e64 v20, s0, 0, v20, s0
	s_add_u32 s6, s6, 1
	s_addc_u32 s7, s7, 0
	s_and_not1_b32 s0, s36, exec_lo
	s_waitcnt vmcnt(0)
	v_cmp_ne_u32_e32 vcc_lo, v21, v22
	s_and_b32 s36, vcc_lo, exec_lo
	s_delay_alu instid0(SALU_CYCLE_1)
	s_or_b32 s36, s0, s36
.LBB1553_332:                           ;   in Loop: Header=BB1553_333 Depth=1
	v_dual_mov_b32 v22, s7 :: v_dual_mov_b32 v21, s6
	s_and_b32 s0, exec_lo, s36
	s_delay_alu instid0(SALU_CYCLE_1) | instskip(NEXT) | instid1(SALU_CYCLE_1)
	s_or_b32 s35, s0, s35
	s_and_not1_b32 exec_lo, exec_lo, s35
	s_cbranch_execz .LBB1553_335
.LBB1553_333:                           ; =>This Inner Loop Header: Depth=1
	s_or_b32 s36, s36, exec_lo
	s_cmp_eq_u64 s[4:5], s[6:7]
	s_cbranch_scc0 .LBB1553_331
; %bb.334:                              ;   in Loop: Header=BB1553_333 Depth=1
	s_mov_b64 s[6:7], s[14:15]
                                        ; implicit-def: $vgpr17_vgpr18
                                        ; implicit-def: $vgpr19_vgpr20
	s_branch .LBB1553_332
.LBB1553_335:
	s_set_inst_prefetch_distance 0x2
	s_or_b32 exec_lo, exec_lo, s35
	v_cmp_gt_i64_e32 vcc_lo, s[14:15], v[21:22]
	s_or_not1_b32 s0, vcc_lo, exec_lo
.LBB1553_336:
	s_or_b32 exec_lo, exec_lo, s33
.LBB1553_337:
	s_delay_alu instid0(SALU_CYCLE_1)
	s_and_b32 s33, s0, exec_lo
.LBB1553_338:
	s_or_b32 exec_lo, exec_lo, s34
	v_or_b32_e32 v17, 1, v39
	s_mov_b32 s0, 0
	s_mov_b32 s34, exec_lo
	s_delay_alu instid0(VALU_DEP_1)
	v_cmpx_gt_u32_e64 s12, v17
	s_cbranch_execz .LBB1553_349
; %bb.339:
	s_and_not1_b32 vcc_lo, exec_lo, s26
	s_cbranch_vccnz .LBB1553_348
; %bb.340:
	v_mul_lo_u32 v21, v14, s14
	v_mul_lo_u32 v22, v13, s15
	v_mad_u64_u32 v[17:18], null, v13, s14, 0
	v_mul_lo_u32 v23, v16, s14
	v_mul_lo_u32 v24, v15, s15
	v_mad_u64_u32 v[19:20], null, v15, s14, 0
	s_mov_b32 s0, -1
	s_mov_b32 s35, exec_lo
	s_delay_alu instid0(VALU_DEP_4) | instskip(NEXT) | instid1(VALU_DEP_2)
	v_add3_u32 v18, v18, v22, v21
	v_add3_u32 v20, v20, v24, v23
	s_delay_alu instid0(VALU_DEP_2) | instskip(NEXT) | instid1(VALU_DEP_2)
	v_lshlrev_b64 v[17:18], 2, v[17:18]
	v_lshlrev_b64 v[21:22], 2, v[19:20]
	s_delay_alu instid0(VALU_DEP_2) | instskip(NEXT) | instid1(VALU_DEP_3)
	v_add_co_u32 v19, vcc_lo, s16, v17
	v_add_co_ci_u32_e32 v20, vcc_lo, s17, v18, vcc_lo
	s_delay_alu instid0(VALU_DEP_3) | instskip(NEXT) | instid1(VALU_DEP_4)
	v_add_co_u32 v17, vcc_lo, s16, v21
	v_add_co_ci_u32_e32 v18, vcc_lo, s17, v22, vcc_lo
	s_clause 0x1
	global_load_b32 v21, v[19:20], off
	global_load_b32 v22, v[17:18], off
	s_waitcnt vmcnt(0)
	v_cmpx_eq_u32_e64 v21, v22
	s_cbranch_execz .LBB1553_347
; %bb.341:
	v_add_co_u32 v17, vcc_lo, v17, 4
	v_add_co_ci_u32_e32 v18, vcc_lo, 0, v18, vcc_lo
	v_add_co_u32 v19, vcc_lo, v19, 4
	v_add_co_ci_u32_e32 v20, vcc_lo, 0, v20, vcc_lo
	s_add_u32 s4, s14, -1
	s_addc_u32 s5, s15, -1
	s_mov_b64 s[6:7], 0
	s_mov_b32 s36, 0
                                        ; implicit-def: $sgpr37
	s_set_inst_prefetch_distance 0x1
	s_branch .LBB1553_344
	.p2align	6
.LBB1553_342:                           ;   in Loop: Header=BB1553_344 Depth=1
	global_load_b32 v21, v[19:20], off
	global_load_b32 v22, v[17:18], off
	v_add_co_u32 v17, vcc_lo, v17, 4
	v_add_co_ci_u32_e32 v18, vcc_lo, 0, v18, vcc_lo
	v_add_co_u32 v19, s0, v19, 4
	s_delay_alu instid0(VALU_DEP_1)
	v_add_co_ci_u32_e64 v20, s0, 0, v20, s0
	s_add_u32 s6, s6, 1
	s_addc_u32 s7, s7, 0
	s_and_not1_b32 s0, s37, exec_lo
	s_waitcnt vmcnt(0)
	v_cmp_ne_u32_e32 vcc_lo, v21, v22
	s_and_b32 s37, vcc_lo, exec_lo
	s_delay_alu instid0(SALU_CYCLE_1)
	s_or_b32 s37, s0, s37
.LBB1553_343:                           ;   in Loop: Header=BB1553_344 Depth=1
	v_dual_mov_b32 v22, s7 :: v_dual_mov_b32 v21, s6
	s_and_b32 s0, exec_lo, s37
	s_delay_alu instid0(SALU_CYCLE_1) | instskip(NEXT) | instid1(SALU_CYCLE_1)
	s_or_b32 s36, s0, s36
	s_and_not1_b32 exec_lo, exec_lo, s36
	s_cbranch_execz .LBB1553_346
.LBB1553_344:                           ; =>This Inner Loop Header: Depth=1
	s_or_b32 s37, s37, exec_lo
	s_cmp_eq_u64 s[4:5], s[6:7]
	s_cbranch_scc0 .LBB1553_342
; %bb.345:                              ;   in Loop: Header=BB1553_344 Depth=1
	s_mov_b64 s[6:7], s[14:15]
                                        ; implicit-def: $vgpr17_vgpr18
                                        ; implicit-def: $vgpr19_vgpr20
	s_branch .LBB1553_343
.LBB1553_346:
	s_set_inst_prefetch_distance 0x2
	s_or_b32 exec_lo, exec_lo, s36
	v_cmp_gt_i64_e32 vcc_lo, s[14:15], v[21:22]
	s_or_not1_b32 s0, vcc_lo, exec_lo
.LBB1553_347:
	s_or_b32 exec_lo, exec_lo, s35
.LBB1553_348:
	s_delay_alu instid0(SALU_CYCLE_1)
	s_and_b32 s0, s0, exec_lo
.LBB1553_349:
	s_or_b32 exec_lo, exec_lo, s34
	v_cndmask_b32_e64 v18, 0, 1, s31
	v_cndmask_b32_e64 v19, 0, 1, s30
	;; [unrolled: 1-line block ×7, first 2 shown]
	v_lshlrev_b16 v19, 8, v19
	v_lshlrev_b16 v20, 8, v20
	;; [unrolled: 1-line block ×4, first 2 shown]
	s_waitcnt lgkmcnt(0)
	v_or_b32_e32 v19, v22, v19
	v_or_b32_e32 v20, v23, v20
	;; [unrolled: 1-line block ×4, first 2 shown]
	s_barrier
	v_and_b32_e32 v18, 0xffff, v19
	v_lshlrev_b32_e32 v19, 16, v20
	v_and_b32_e32 v21, 0xffff, v21
	v_lshlrev_b32_e32 v17, 16, v17
	buffer_gl0_inv
                                        ; implicit-def: $sgpr0
	v_or_b32_e32 v20, v18, v19
	v_or_b32_e32 v19, v21, v17
	s_and_saveexec_b32 s27, s3
	s_cbranch_execz .LBB1553_362
; %bb.350:
	s_mov_b32 s0, 0
	s_mov_b32 s3, exec_lo
	v_cmpx_gt_u32_e64 s12, v39
	s_cbranch_execz .LBB1553_361
; %bb.351:
	s_and_not1_b32 vcc_lo, exec_lo, s26
	s_cbranch_vccnz .LBB1553_360
; %bb.352:
	v_add_nc_u32_e32 v17, -8, v39
	v_mul_lo_u32 v25, v14, s14
	v_mul_lo_u32 v26, v13, s15
	s_mov_b32 s0, -1
	ds_load_b64 v[17:18], v17
	s_waitcnt lgkmcnt(0)
	v_mul_lo_u32 v23, v18, s14
	v_mul_lo_u32 v24, v17, s15
	v_mad_u64_u32 v[21:22], null, v17, s14, 0
	v_mad_u64_u32 v[17:18], null, v13, s14, 0
	s_delay_alu instid0(VALU_DEP_2) | instskip(NEXT) | instid1(VALU_DEP_2)
	v_add3_u32 v22, v22, v24, v23
	v_add3_u32 v18, v18, v26, v25
	s_delay_alu instid0(VALU_DEP_2) | instskip(NEXT) | instid1(VALU_DEP_2)
	v_lshlrev_b64 v[21:22], 2, v[21:22]
	v_lshlrev_b64 v[17:18], 2, v[17:18]
	s_delay_alu instid0(VALU_DEP_2) | instskip(NEXT) | instid1(VALU_DEP_3)
	v_add_co_u32 v21, vcc_lo, s16, v21
	v_add_co_ci_u32_e32 v22, vcc_lo, s17, v22, vcc_lo
	s_delay_alu instid0(VALU_DEP_3) | instskip(NEXT) | instid1(VALU_DEP_4)
	v_add_co_u32 v17, vcc_lo, s16, v17
	v_add_co_ci_u32_e32 v18, vcc_lo, s17, v18, vcc_lo
	s_clause 0x1
	global_load_b32 v23, v[21:22], off
	global_load_b32 v24, v[17:18], off
	s_mov_b32 s16, exec_lo
	s_waitcnt vmcnt(0)
	v_cmpx_eq_u32_e64 v23, v24
	s_cbranch_execz .LBB1553_359
; %bb.353:
	v_add_co_u32 v17, vcc_lo, v17, 4
	v_add_co_ci_u32_e32 v18, vcc_lo, 0, v18, vcc_lo
	v_add_co_u32 v21, vcc_lo, v21, 4
	v_add_co_ci_u32_e32 v22, vcc_lo, 0, v22, vcc_lo
	s_add_u32 s4, s14, -1
	s_addc_u32 s5, s15, -1
	s_mov_b64 s[6:7], 0
	s_mov_b32 s17, 0
                                        ; implicit-def: $sgpr26
	s_set_inst_prefetch_distance 0x1
	s_branch .LBB1553_356
	.p2align	6
.LBB1553_354:                           ;   in Loop: Header=BB1553_356 Depth=1
	global_load_b32 v23, v[21:22], off
	global_load_b32 v24, v[17:18], off
	v_add_co_u32 v17, vcc_lo, v17, 4
	v_add_co_ci_u32_e32 v18, vcc_lo, 0, v18, vcc_lo
	v_add_co_u32 v21, s0, v21, 4
	s_delay_alu instid0(VALU_DEP_1)
	v_add_co_ci_u32_e64 v22, s0, 0, v22, s0
	s_add_u32 s6, s6, 1
	s_addc_u32 s7, s7, 0
	s_and_not1_b32 s0, s26, exec_lo
	s_waitcnt vmcnt(0)
	v_cmp_ne_u32_e32 vcc_lo, v23, v24
	s_and_b32 s26, vcc_lo, exec_lo
	s_delay_alu instid0(SALU_CYCLE_1)
	s_or_b32 s26, s0, s26
.LBB1553_355:                           ;   in Loop: Header=BB1553_356 Depth=1
	v_dual_mov_b32 v24, s7 :: v_dual_mov_b32 v23, s6
	s_and_b32 s0, exec_lo, s26
	s_delay_alu instid0(SALU_CYCLE_1) | instskip(NEXT) | instid1(SALU_CYCLE_1)
	s_or_b32 s17, s0, s17
	s_and_not1_b32 exec_lo, exec_lo, s17
	s_cbranch_execz .LBB1553_358
.LBB1553_356:                           ; =>This Inner Loop Header: Depth=1
	s_or_b32 s26, s26, exec_lo
	s_cmp_eq_u64 s[4:5], s[6:7]
	s_cbranch_scc0 .LBB1553_354
; %bb.357:                              ;   in Loop: Header=BB1553_356 Depth=1
	s_mov_b64 s[6:7], s[14:15]
                                        ; implicit-def: $vgpr17_vgpr18
                                        ; implicit-def: $vgpr21_vgpr22
	s_branch .LBB1553_355
.LBB1553_358:
	s_set_inst_prefetch_distance 0x2
	s_or_b32 exec_lo, exec_lo, s17
	v_cmp_gt_i64_e32 vcc_lo, s[14:15], v[23:24]
	s_or_not1_b32 s0, vcc_lo, exec_lo
.LBB1553_359:
	s_or_b32 exec_lo, exec_lo, s16
.LBB1553_360:
	s_delay_alu instid0(SALU_CYCLE_1)
	s_and_b32 s0, s0, exec_lo
.LBB1553_361:
	s_or_b32 exec_lo, exec_lo, s3
	s_delay_alu instid0(SALU_CYCLE_1)
	s_and_b32 s0, s0, exec_lo
	s_or_b32 s25, s25, exec_lo
.LBB1553_362:
	s_or_b32 exec_lo, exec_lo, s27
.LBB1553_363:
	s_and_saveexec_b32 s3, s25
	s_cbranch_execz .LBB1553_365
; %bb.364:
	s_waitcnt vmcnt(0) lgkmcnt(0)
	v_and_b32_e32 v17, 0xffffff00, v19
	v_cndmask_b32_e64 v18, 0, 1, s0
	s_delay_alu instid0(VALU_DEP_1) | instskip(NEXT) | instid1(VALU_DEP_1)
	v_or_b32_e32 v17, v18, v17
	v_and_b32_e32 v17, 0xffff, v17
	s_delay_alu instid0(VALU_DEP_1)
	v_and_or_b32 v19, 0xffff0000, v19, v17
.LBB1553_365:
	s_or_b32 exec_lo, exec_lo, s3
	s_delay_alu instid0(SALU_CYCLE_1)
	s_and_not1_b32 vcc_lo, exec_lo, s1
	s_cbranch_vccnz .LBB1553_367
; %bb.366:
	v_cmp_gt_u32_e32 vcc_lo, s12, v39
	s_waitcnt vmcnt(0) lgkmcnt(0)
	v_or_b32_e32 v18, 1, v39
	v_and_b32_e32 v21, 0xffffff00, v20
	v_or_b32_e32 v22, 2, v39
	v_cndmask_b32_e32 v17, 0, v19, vcc_lo
	s_delay_alu instid0(VALU_DEP_4) | instskip(SKIP_1) | instid1(VALU_DEP_4)
	v_cmp_gt_u32_e32 vcc_lo, s12, v18
	v_or_b32_e32 v18, 4, v39
	v_cmp_gt_u32_e64 s0, s12, v22
	v_or_b32_e32 v22, 3, v39
	v_and_b32_e32 v17, 0xff, v17
	s_delay_alu instid0(VALU_DEP_2) | instskip(NEXT) | instid1(VALU_DEP_2)
	v_cmp_gt_u32_e64 s1, s12, v22
	v_cndmask_b32_e32 v17, v17, v19, vcc_lo
	v_cmp_gt_u32_e32 vcc_lo, s12, v18
	v_cndmask_b32_e32 v18, v21, v20, vcc_lo
	v_or_b32_e32 v21, 5, v39
	s_delay_alu instid0(VALU_DEP_2) | instskip(SKIP_1) | instid1(VALU_DEP_1)
	v_and_b32_e32 v18, 0xffff00ff, v18
	v_and_b32_e32 v17, 0xffff, v17
	v_cndmask_b32_e64 v17, v17, v19, s0
	s_delay_alu instid0(VALU_DEP_4) | instskip(SKIP_1) | instid1(VALU_DEP_3)
	v_cmp_gt_u32_e64 s0, s12, v21
	v_or_b32_e32 v21, 6, v39
	v_and_b32_e32 v17, 0xffffff, v17
	s_delay_alu instid0(VALU_DEP_3) | instskip(NEXT) | instid1(VALU_DEP_2)
	v_cndmask_b32_e64 v18, v18, v20, s0
	v_cndmask_b32_e64 v17, v17, v19, s1
	s_delay_alu instid0(VALU_DEP_1) | instskip(SKIP_2) | instid1(VALU_DEP_3)
	v_dual_cndmask_b32 v17, v17, v19 :: v_dual_and_b32 v18, 0xff00ffff, v18
	v_cmp_gt_u32_e32 vcc_lo, s12, v21
	v_or_b32_e32 v21, 7, v39
	v_cndmask_b32_e64 v17, v17, v19, s0
	s_delay_alu instid0(VALU_DEP_1) | instskip(NEXT) | instid1(VALU_DEP_1)
	v_dual_cndmask_b32 v18, v18, v20 :: v_dual_cndmask_b32 v17, v17, v19
	v_and_b32_e32 v18, 0xffffff, v18
	s_delay_alu instid0(VALU_DEP_4) | instskip(NEXT) | instid1(VALU_DEP_2)
	v_cmp_gt_u32_e32 vcc_lo, s12, v21
	v_dual_cndmask_b32 v20, v18, v20 :: v_dual_cndmask_b32 v19, v17, v19
.LBB1553_367:
	s_delay_alu instid0(VALU_DEP_1) | instskip(SKIP_1) | instid1(VALU_DEP_2)
	v_and_b32_e32 v28, 0xff, v19
	s_waitcnt vmcnt(0) lgkmcnt(0)
	v_alignbit_b32 v17, v20, v19, 24
	v_bfe_u32 v30, v19, 8, 8
	v_bfe_u32 v32, v19, 16, 8
	v_and_b32_e32 v36, 0xff, v20
	v_bfe_u32 v38, v20, 8, 8
	v_and_b32_e32 v34, 0xff, v17
	v_add_nc_u32_e32 v17, v30, v28
	v_mbcnt_lo_u32_b32 v42, -1, 0
	v_bfe_u32 v41, v20, 16, 8
	v_lshrrev_b32_e32 v40, 24, v20
	v_lshrrev_b32_e32 v43, 5, v0
	v_add3_u32 v17, v17, v32, v34
	v_and_b32_e32 v18, 15, v42
	v_and_b32_e32 v21, 16, v42
	s_and_b32 vcc_lo, exec_lo, s24
	s_mov_b32 s7, -1
	v_add3_u32 v17, v17, v36, v38
	v_cmp_eq_u32_e64 s3, 0, v18
	v_cmp_lt_u32_e64 s0, 1, v18
	v_cmp_lt_u32_e64 s4, 3, v18
	;; [unrolled: 1-line block ×3, first 2 shown]
	v_add3_u32 v44, v17, v41, v40
	v_or_b32_e32 v17, 31, v0
	v_cmp_eq_u32_e64 s6, 0, v21
	s_barrier
	buffer_gl0_inv
	v_cmp_eq_u32_e64 s5, v17, v0
	s_cbranch_vccz .LBB1553_398
; %bb.368:
	v_mov_b32_dpp v17, v44 row_shr:1 row_mask:0xf bank_mask:0xf
	s_delay_alu instid0(VALU_DEP_1) | instskip(NEXT) | instid1(VALU_DEP_1)
	v_cndmask_b32_e64 v17, v17, 0, s3
	v_add_nc_u32_e32 v17, v17, v44
	s_delay_alu instid0(VALU_DEP_1) | instskip(NEXT) | instid1(VALU_DEP_1)
	v_mov_b32_dpp v18, v17 row_shr:2 row_mask:0xf bank_mask:0xf
	v_cndmask_b32_e64 v18, 0, v18, s0
	s_delay_alu instid0(VALU_DEP_1) | instskip(NEXT) | instid1(VALU_DEP_1)
	v_add_nc_u32_e32 v17, v17, v18
	v_mov_b32_dpp v18, v17 row_shr:4 row_mask:0xf bank_mask:0xf
	s_delay_alu instid0(VALU_DEP_1) | instskip(NEXT) | instid1(VALU_DEP_1)
	v_cndmask_b32_e64 v18, 0, v18, s4
	v_add_nc_u32_e32 v17, v17, v18
	s_delay_alu instid0(VALU_DEP_1) | instskip(NEXT) | instid1(VALU_DEP_1)
	v_mov_b32_dpp v18, v17 row_shr:8 row_mask:0xf bank_mask:0xf
	v_cndmask_b32_e64 v18, 0, v18, s1
	s_delay_alu instid0(VALU_DEP_1) | instskip(SKIP_3) | instid1(VALU_DEP_1)
	v_add_nc_u32_e32 v17, v17, v18
	ds_swizzle_b32 v18, v17 offset:swizzle(BROADCAST,32,15)
	s_waitcnt lgkmcnt(0)
	v_cndmask_b32_e64 v18, v18, 0, s6
	v_add_nc_u32_e32 v17, v17, v18
	s_and_saveexec_b32 s7, s5
	s_cbranch_execz .LBB1553_370
; %bb.369:
	v_lshlrev_b32_e32 v18, 2, v43
	ds_store_b32 v18, v17
.LBB1553_370:
	s_or_b32 exec_lo, exec_lo, s7
	s_delay_alu instid0(SALU_CYCLE_1)
	s_mov_b32 s7, exec_lo
	s_waitcnt lgkmcnt(0)
	s_barrier
	buffer_gl0_inv
	v_cmpx_gt_u32_e32 16, v0
	s_cbranch_execz .LBB1553_372
; %bb.371:
	v_lshlrev_b32_e32 v18, 2, v0
	ds_load_b32 v21, v18
	s_waitcnt lgkmcnt(0)
	v_mov_b32_dpp v22, v21 row_shr:1 row_mask:0xf bank_mask:0xf
	s_delay_alu instid0(VALU_DEP_1) | instskip(NEXT) | instid1(VALU_DEP_1)
	v_cndmask_b32_e64 v22, v22, 0, s3
	v_add_nc_u32_e32 v21, v22, v21
	s_delay_alu instid0(VALU_DEP_1) | instskip(NEXT) | instid1(VALU_DEP_1)
	v_mov_b32_dpp v22, v21 row_shr:2 row_mask:0xf bank_mask:0xf
	v_cndmask_b32_e64 v22, 0, v22, s0
	s_delay_alu instid0(VALU_DEP_1) | instskip(NEXT) | instid1(VALU_DEP_1)
	v_add_nc_u32_e32 v21, v21, v22
	v_mov_b32_dpp v22, v21 row_shr:4 row_mask:0xf bank_mask:0xf
	s_delay_alu instid0(VALU_DEP_1) | instskip(NEXT) | instid1(VALU_DEP_1)
	v_cndmask_b32_e64 v22, 0, v22, s4
	v_add_nc_u32_e32 v21, v21, v22
	s_delay_alu instid0(VALU_DEP_1) | instskip(NEXT) | instid1(VALU_DEP_1)
	v_mov_b32_dpp v22, v21 row_shr:8 row_mask:0xf bank_mask:0xf
	v_cndmask_b32_e64 v22, 0, v22, s1
	s_delay_alu instid0(VALU_DEP_1)
	v_add_nc_u32_e32 v21, v21, v22
	ds_store_b32 v18, v21
.LBB1553_372:
	s_or_b32 exec_lo, exec_lo, s7
	v_cmp_gt_u32_e32 vcc_lo, 32, v0
	s_mov_b32 s12, exec_lo
	s_waitcnt lgkmcnt(0)
	s_barrier
	buffer_gl0_inv
                                        ; implicit-def: $vgpr27
	v_cmpx_lt_u32_e32 31, v0
	s_cbranch_execz .LBB1553_374
; %bb.373:
	v_lshl_add_u32 v18, v43, 2, -4
	ds_load_b32 v27, v18
	s_waitcnt lgkmcnt(0)
	v_add_nc_u32_e32 v17, v27, v17
.LBB1553_374:
	s_or_b32 exec_lo, exec_lo, s12
	v_add_nc_u32_e32 v18, -1, v42
	s_delay_alu instid0(VALU_DEP_1) | instskip(NEXT) | instid1(VALU_DEP_1)
	v_cmp_gt_i32_e64 s7, 0, v18
	v_cndmask_b32_e64 v18, v18, v42, s7
	v_cmp_eq_u32_e64 s7, 0, v42
	s_delay_alu instid0(VALU_DEP_2)
	v_lshlrev_b32_e32 v18, 2, v18
	ds_bpermute_b32 v29, v18, v17
	s_and_saveexec_b32 s12, vcc_lo
	s_cbranch_execz .LBB1553_397
; %bb.375:
	v_mov_b32_e32 v23, 0
	ds_load_b32 v17, v23 offset:60
	s_and_saveexec_b32 s14, s7
	s_cbranch_execz .LBB1553_377
; %bb.376:
	s_add_i32 s16, s23, 32
	s_mov_b32 s17, 0
	v_mov_b32_e32 v18, 1
	s_lshl_b64 s[16:17], s[16:17], 3
	s_delay_alu instid0(SALU_CYCLE_1)
	s_add_u32 s16, s18, s16
	s_addc_u32 s17, s19, s17
	s_waitcnt lgkmcnt(0)
	global_store_b64 v23, v[17:18], s[16:17]
.LBB1553_377:
	s_or_b32 exec_lo, exec_lo, s14
	v_xad_u32 v21, v42, -1, s23
	s_mov_b32 s15, 0
	s_mov_b32 s14, exec_lo
	s_delay_alu instid0(VALU_DEP_1) | instskip(NEXT) | instid1(VALU_DEP_1)
	v_add_nc_u32_e32 v22, 32, v21
	v_lshlrev_b64 v[22:23], 3, v[22:23]
	s_delay_alu instid0(VALU_DEP_1) | instskip(NEXT) | instid1(VALU_DEP_2)
	v_add_co_u32 v25, vcc_lo, s18, v22
	v_add_co_ci_u32_e32 v26, vcc_lo, s19, v23, vcc_lo
	global_load_b64 v[23:24], v[25:26], off glc
	s_waitcnt vmcnt(0)
	v_and_b32_e32 v18, 0xff, v24
	s_delay_alu instid0(VALU_DEP_1)
	v_cmpx_eq_u16_e32 0, v18
	s_cbranch_execz .LBB1553_383
; %bb.378:
	s_mov_b32 s16, 1
	.p2align	6
.LBB1553_379:                           ; =>This Loop Header: Depth=1
                                        ;     Child Loop BB1553_380 Depth 2
	s_delay_alu instid0(SALU_CYCLE_1)
	s_max_u32 s17, s16, 1
.LBB1553_380:                           ;   Parent Loop BB1553_379 Depth=1
                                        ; =>  This Inner Loop Header: Depth=2
	s_delay_alu instid0(SALU_CYCLE_1)
	s_add_i32 s17, s17, -1
	s_sleep 1
	s_cmp_eq_u32 s17, 0
	s_cbranch_scc0 .LBB1553_380
; %bb.381:                              ;   in Loop: Header=BB1553_379 Depth=1
	global_load_b64 v[23:24], v[25:26], off glc
	s_cmp_lt_u32 s16, 32
	s_cselect_b32 s17, -1, 0
	s_delay_alu instid0(SALU_CYCLE_1) | instskip(SKIP_3) | instid1(VALU_DEP_1)
	s_cmp_lg_u32 s17, 0
	s_addc_u32 s16, s16, 0
	s_waitcnt vmcnt(0)
	v_and_b32_e32 v18, 0xff, v24
	v_cmp_ne_u16_e32 vcc_lo, 0, v18
	s_or_b32 s15, vcc_lo, s15
	s_delay_alu instid0(SALU_CYCLE_1)
	s_and_not1_b32 exec_lo, exec_lo, s15
	s_cbranch_execnz .LBB1553_379
; %bb.382:
	s_or_b32 exec_lo, exec_lo, s15
.LBB1553_383:
	s_delay_alu instid0(SALU_CYCLE_1)
	s_or_b32 exec_lo, exec_lo, s14
	v_cmp_ne_u32_e32 vcc_lo, 31, v42
	v_and_b32_e32 v22, 0xff, v24
	v_lshlrev_b32_e64 v31, v42, -1
	v_add_nc_u32_e32 v35, 2, v42
	v_add_nc_u32_e32 v45, 4, v42
	v_add_co_ci_u32_e32 v18, vcc_lo, 0, v42, vcc_lo
	v_cmp_eq_u16_e32 vcc_lo, 2, v22
	v_add_nc_u32_e32 v48, 8, v42
	v_add_nc_u32_e32 v50, 16, v42
	v_and_or_b32 v22, vcc_lo, v31, 0x80000000
	v_cmp_gt_u32_e32 vcc_lo, 30, v42
	s_delay_alu instid0(VALU_DEP_2) | instskip(SKIP_1) | instid1(VALU_DEP_2)
	v_ctz_i32_b32_e32 v22, v22
	v_cndmask_b32_e64 v26, 0, 1, vcc_lo
	v_cmp_lt_u32_e32 vcc_lo, v42, v22
	v_lshlrev_b32_e32 v18, 2, v18
	s_delay_alu instid0(VALU_DEP_3)
	v_lshlrev_b32_e32 v26, 1, v26
	ds_bpermute_b32 v25, v18, v23
	v_add_lshl_u32 v33, v26, v42, 2
	s_waitcnt lgkmcnt(0)
	v_cndmask_b32_e32 v25, 0, v25, vcc_lo
	v_cmp_gt_u32_e32 vcc_lo, 28, v42
	s_delay_alu instid0(VALU_DEP_2) | instskip(SKIP_4) | instid1(VALU_DEP_1)
	v_add_nc_u32_e32 v23, v25, v23
	v_cndmask_b32_e64 v26, 0, 1, vcc_lo
	v_cmp_le_u32_e32 vcc_lo, v35, v22
	ds_bpermute_b32 v25, v33, v23
	v_lshlrev_b32_e32 v26, 2, v26
	v_add_lshl_u32 v37, v26, v42, 2
	s_waitcnt lgkmcnt(0)
	v_cndmask_b32_e32 v25, 0, v25, vcc_lo
	v_cmp_gt_u32_e32 vcc_lo, 24, v42
	s_delay_alu instid0(VALU_DEP_2) | instskip(SKIP_4) | instid1(VALU_DEP_1)
	v_add_nc_u32_e32 v23, v23, v25
	v_cndmask_b32_e64 v26, 0, 1, vcc_lo
	v_cmp_le_u32_e32 vcc_lo, v45, v22
	ds_bpermute_b32 v25, v37, v23
	v_lshlrev_b32_e32 v26, 3, v26
	;; [unrolled: 10-line block ×3, first 2 shown]
	v_add_lshl_u32 v49, v26, v42, 2
	s_waitcnt lgkmcnt(0)
	v_cndmask_b32_e32 v25, 0, v25, vcc_lo
	v_cmp_le_u32_e32 vcc_lo, v50, v22
	s_delay_alu instid0(VALU_DEP_2) | instskip(SKIP_3) | instid1(VALU_DEP_1)
	v_add_nc_u32_e32 v23, v23, v25
	ds_bpermute_b32 v25, v49, v23
	s_waitcnt lgkmcnt(0)
	v_cndmask_b32_e32 v22, 0, v25, vcc_lo
	v_dual_mov_b32 v22, 0 :: v_dual_add_nc_u32 v23, v23, v22
	s_branch .LBB1553_385
.LBB1553_384:                           ;   in Loop: Header=BB1553_385 Depth=1
	s_or_b32 exec_lo, exec_lo, s14
	ds_bpermute_b32 v26, v18, v23
	v_and_b32_e32 v25, 0xff, v24
	v_subrev_nc_u32_e32 v21, 32, v21
	s_delay_alu instid0(VALU_DEP_2) | instskip(SKIP_1) | instid1(VALU_DEP_1)
	v_cmp_eq_u16_e32 vcc_lo, 2, v25
	v_and_or_b32 v25, vcc_lo, v31, 0x80000000
	v_ctz_i32_b32_e32 v25, v25
	s_delay_alu instid0(VALU_DEP_1) | instskip(SKIP_3) | instid1(VALU_DEP_2)
	v_cmp_lt_u32_e32 vcc_lo, v42, v25
	s_waitcnt lgkmcnt(0)
	v_cndmask_b32_e32 v26, 0, v26, vcc_lo
	v_cmp_le_u32_e32 vcc_lo, v35, v25
	v_add_nc_u32_e32 v23, v26, v23
	ds_bpermute_b32 v26, v33, v23
	s_waitcnt lgkmcnt(0)
	v_cndmask_b32_e32 v26, 0, v26, vcc_lo
	v_cmp_le_u32_e32 vcc_lo, v45, v25
	s_delay_alu instid0(VALU_DEP_2) | instskip(SKIP_4) | instid1(VALU_DEP_2)
	v_add_nc_u32_e32 v23, v23, v26
	ds_bpermute_b32 v26, v37, v23
	s_waitcnt lgkmcnt(0)
	v_cndmask_b32_e32 v26, 0, v26, vcc_lo
	v_cmp_le_u32_e32 vcc_lo, v48, v25
	v_add_nc_u32_e32 v23, v23, v26
	ds_bpermute_b32 v26, v47, v23
	s_waitcnt lgkmcnt(0)
	v_cndmask_b32_e32 v26, 0, v26, vcc_lo
	v_cmp_le_u32_e32 vcc_lo, v50, v25
	s_delay_alu instid0(VALU_DEP_2) | instskip(SKIP_3) | instid1(VALU_DEP_1)
	v_add_nc_u32_e32 v23, v23, v26
	ds_bpermute_b32 v26, v49, v23
	s_waitcnt lgkmcnt(0)
	v_cndmask_b32_e32 v25, 0, v26, vcc_lo
	v_add3_u32 v23, v25, v46, v23
.LBB1553_385:                           ; =>This Loop Header: Depth=1
                                        ;     Child Loop BB1553_388 Depth 2
                                        ;       Child Loop BB1553_389 Depth 3
	v_and_b32_e32 v24, 0xff, v24
	s_delay_alu instid0(VALU_DEP_2) | instskip(NEXT) | instid1(VALU_DEP_2)
	v_mov_b32_e32 v46, v23
	v_cmp_ne_u16_e32 vcc_lo, 2, v24
	v_cndmask_b32_e64 v24, 0, 1, vcc_lo
	;;#ASMSTART
	;;#ASMEND
	s_delay_alu instid0(VALU_DEP_1)
	v_cmp_ne_u32_e32 vcc_lo, 0, v24
	s_cmp_lg_u32 vcc_lo, exec_lo
	s_cbranch_scc1 .LBB1553_392
; %bb.386:                              ;   in Loop: Header=BB1553_385 Depth=1
	v_lshlrev_b64 v[23:24], 3, v[21:22]
	s_mov_b32 s14, exec_lo
	s_delay_alu instid0(VALU_DEP_1) | instskip(NEXT) | instid1(VALU_DEP_2)
	v_add_co_u32 v25, vcc_lo, s18, v23
	v_add_co_ci_u32_e32 v26, vcc_lo, s19, v24, vcc_lo
	global_load_b64 v[23:24], v[25:26], off glc
	s_waitcnt vmcnt(0)
	v_and_b32_e32 v51, 0xff, v24
	s_delay_alu instid0(VALU_DEP_1)
	v_cmpx_eq_u16_e32 0, v51
	s_cbranch_execz .LBB1553_384
; %bb.387:                              ;   in Loop: Header=BB1553_385 Depth=1
	s_mov_b32 s16, 1
	s_mov_b32 s15, 0
	.p2align	6
.LBB1553_388:                           ;   Parent Loop BB1553_385 Depth=1
                                        ; =>  This Loop Header: Depth=2
                                        ;       Child Loop BB1553_389 Depth 3
	s_max_u32 s17, s16, 1
.LBB1553_389:                           ;   Parent Loop BB1553_385 Depth=1
                                        ;     Parent Loop BB1553_388 Depth=2
                                        ; =>    This Inner Loop Header: Depth=3
	s_delay_alu instid0(SALU_CYCLE_1)
	s_add_i32 s17, s17, -1
	s_sleep 1
	s_cmp_eq_u32 s17, 0
	s_cbranch_scc0 .LBB1553_389
; %bb.390:                              ;   in Loop: Header=BB1553_388 Depth=2
	global_load_b64 v[23:24], v[25:26], off glc
	s_cmp_lt_u32 s16, 32
	s_cselect_b32 s17, -1, 0
	s_delay_alu instid0(SALU_CYCLE_1) | instskip(SKIP_3) | instid1(VALU_DEP_1)
	s_cmp_lg_u32 s17, 0
	s_addc_u32 s16, s16, 0
	s_waitcnt vmcnt(0)
	v_and_b32_e32 v51, 0xff, v24
	v_cmp_ne_u16_e32 vcc_lo, 0, v51
	s_or_b32 s15, vcc_lo, s15
	s_delay_alu instid0(SALU_CYCLE_1)
	s_and_not1_b32 exec_lo, exec_lo, s15
	s_cbranch_execnz .LBB1553_388
; %bb.391:                              ;   in Loop: Header=BB1553_385 Depth=1
	s_or_b32 exec_lo, exec_lo, s15
	s_branch .LBB1553_384
.LBB1553_392:                           ;   in Loop: Header=BB1553_385 Depth=1
                                        ; implicit-def: $vgpr23
                                        ; implicit-def: $vgpr24
	s_cbranch_execz .LBB1553_385
; %bb.393:
	s_and_saveexec_b32 s14, s7
	s_cbranch_execz .LBB1553_395
; %bb.394:
	s_add_i32 s16, s23, 32
	s_mov_b32 s17, 0
	v_dual_mov_b32 v22, 2 :: v_dual_add_nc_u32 v21, v46, v17
	s_lshl_b64 s[16:17], s[16:17], 3
	v_mov_b32_e32 v18, 0
	v_add_nc_u32_e64 v23, 0x8400, 0
	s_add_u32 s16, s18, s16
	s_addc_u32 s17, s19, s17
	global_store_b64 v18, v[21:22], s[16:17]
	ds_store_2addr_b32 v23, v17, v46 offset1:2
.LBB1553_395:
	s_or_b32 exec_lo, exec_lo, s14
	s_delay_alu instid0(SALU_CYCLE_1)
	s_and_b32 exec_lo, exec_lo, s2
	s_cbranch_execz .LBB1553_397
; %bb.396:
	v_mov_b32_e32 v17, 0
	ds_store_b32 v17, v46 offset:60
.LBB1553_397:
	s_or_b32 exec_lo, exec_lo, s12
	v_mov_b32_e32 v17, 0
	s_waitcnt lgkmcnt(0)
	s_waitcnt_vscnt null, 0x0
	s_barrier
	buffer_gl0_inv
	v_cndmask_b32_e64 v18, v29, v27, s7
	ds_load_b32 v17, v17 offset:60
	s_waitcnt lgkmcnt(0)
	s_barrier
	buffer_gl0_inv
	v_cndmask_b32_e64 v18, v18, 0, s2
	s_delay_alu instid0(VALU_DEP_1) | instskip(SKIP_1) | instid1(VALU_DEP_2)
	v_add_nc_u32_e32 v37, v17, v18
	v_add_nc_u32_e64 v17, 0x8400, 0
	v_add_nc_u32_e32 v35, v37, v28
	ds_load_2addr_b32 v[17:18], v17 offset1:2
	v_add_nc_u32_e32 v33, v35, v30
	s_delay_alu instid0(VALU_DEP_1) | instskip(NEXT) | instid1(VALU_DEP_1)
	v_add_nc_u32_e32 v31, v33, v32
	v_add_nc_u32_e32 v29, v31, v34
	s_delay_alu instid0(VALU_DEP_1) | instskip(NEXT) | instid1(VALU_DEP_1)
	v_add_nc_u32_e32 v27, v29, v36
	v_add_nc_u32_e32 v25, v27, v38
	s_delay_alu instid0(VALU_DEP_1)
	v_add_nc_u32_e32 v23, v25, v41
	v_lshrrev_b64 v[21:22], 24, v[19:20]
	s_branch .LBB1553_408
.LBB1553_398:
                                        ; implicit-def: $vgpr23
                                        ; implicit-def: $vgpr25
                                        ; implicit-def: $vgpr27
                                        ; implicit-def: $vgpr29
                                        ; implicit-def: $vgpr31
                                        ; implicit-def: $vgpr33
                                        ; implicit-def: $vgpr35
                                        ; implicit-def: $vgpr37
                                        ; implicit-def: $vgpr18
	v_lshrrev_b64 v[21:22], 24, v[19:20]
	s_and_b32 vcc_lo, exec_lo, s7
	s_cbranch_vccz .LBB1553_408
; %bb.399:
	s_waitcnt lgkmcnt(0)
	v_mov_b32_dpp v17, v44 row_shr:1 row_mask:0xf bank_mask:0xf
	s_delay_alu instid0(VALU_DEP_1) | instskip(NEXT) | instid1(VALU_DEP_1)
	v_cndmask_b32_e64 v17, v17, 0, s3
	v_add_nc_u32_e32 v17, v17, v44
	s_delay_alu instid0(VALU_DEP_1) | instskip(NEXT) | instid1(VALU_DEP_1)
	v_mov_b32_dpp v18, v17 row_shr:2 row_mask:0xf bank_mask:0xf
	v_cndmask_b32_e64 v18, 0, v18, s0
	s_delay_alu instid0(VALU_DEP_1) | instskip(NEXT) | instid1(VALU_DEP_1)
	v_add_nc_u32_e32 v17, v17, v18
	v_mov_b32_dpp v18, v17 row_shr:4 row_mask:0xf bank_mask:0xf
	s_delay_alu instid0(VALU_DEP_1) | instskip(NEXT) | instid1(VALU_DEP_1)
	v_cndmask_b32_e64 v18, 0, v18, s4
	v_add_nc_u32_e32 v17, v17, v18
	s_delay_alu instid0(VALU_DEP_1) | instskip(NEXT) | instid1(VALU_DEP_1)
	v_mov_b32_dpp v18, v17 row_shr:8 row_mask:0xf bank_mask:0xf
	v_cndmask_b32_e64 v18, 0, v18, s1
	s_delay_alu instid0(VALU_DEP_1) | instskip(SKIP_3) | instid1(VALU_DEP_1)
	v_add_nc_u32_e32 v17, v17, v18
	ds_swizzle_b32 v18, v17 offset:swizzle(BROADCAST,32,15)
	s_waitcnt lgkmcnt(0)
	v_cndmask_b32_e64 v18, v18, 0, s6
	v_add_nc_u32_e32 v17, v17, v18
	s_and_saveexec_b32 s6, s5
	s_cbranch_execz .LBB1553_401
; %bb.400:
	v_lshlrev_b32_e32 v18, 2, v43
	ds_store_b32 v18, v17
.LBB1553_401:
	s_or_b32 exec_lo, exec_lo, s6
	s_delay_alu instid0(SALU_CYCLE_1)
	s_mov_b32 s5, exec_lo
	s_waitcnt lgkmcnt(0)
	s_barrier
	buffer_gl0_inv
	v_cmpx_gt_u32_e32 16, v0
	s_cbranch_execz .LBB1553_403
; %bb.402:
	v_lshlrev_b32_e32 v18, 2, v0
	ds_load_b32 v22, v18
	s_waitcnt lgkmcnt(0)
	v_mov_b32_dpp v23, v22 row_shr:1 row_mask:0xf bank_mask:0xf
	s_delay_alu instid0(VALU_DEP_1) | instskip(NEXT) | instid1(VALU_DEP_1)
	v_cndmask_b32_e64 v23, v23, 0, s3
	v_add_nc_u32_e32 v22, v23, v22
	s_delay_alu instid0(VALU_DEP_1) | instskip(NEXT) | instid1(VALU_DEP_1)
	v_mov_b32_dpp v23, v22 row_shr:2 row_mask:0xf bank_mask:0xf
	v_cndmask_b32_e64 v23, 0, v23, s0
	s_delay_alu instid0(VALU_DEP_1) | instskip(NEXT) | instid1(VALU_DEP_1)
	v_add_nc_u32_e32 v22, v22, v23
	v_mov_b32_dpp v23, v22 row_shr:4 row_mask:0xf bank_mask:0xf
	s_delay_alu instid0(VALU_DEP_1) | instskip(NEXT) | instid1(VALU_DEP_1)
	v_cndmask_b32_e64 v23, 0, v23, s4
	v_add_nc_u32_e32 v22, v22, v23
	s_delay_alu instid0(VALU_DEP_1) | instskip(NEXT) | instid1(VALU_DEP_1)
	v_mov_b32_dpp v23, v22 row_shr:8 row_mask:0xf bank_mask:0xf
	v_cndmask_b32_e64 v23, 0, v23, s1
	s_delay_alu instid0(VALU_DEP_1)
	v_add_nc_u32_e32 v22, v22, v23
	ds_store_b32 v18, v22
.LBB1553_403:
	s_or_b32 exec_lo, exec_lo, s5
	v_mov_b32_e32 v18, 0
	v_mov_b32_e32 v22, 0
	s_mov_b32 s0, exec_lo
	s_waitcnt lgkmcnt(0)
	s_barrier
	buffer_gl0_inv
	v_cmpx_lt_u32_e32 31, v0
	s_cbranch_execz .LBB1553_405
; %bb.404:
	v_lshl_add_u32 v22, v43, 2, -4
	ds_load_b32 v22, v22
.LBB1553_405:
	s_or_b32 exec_lo, exec_lo, s0
	v_add_nc_u32_e32 v23, -1, v42
	s_waitcnt lgkmcnt(0)
	v_add_nc_u32_e32 v17, v22, v17
	s_delay_alu instid0(VALU_DEP_2) | instskip(SKIP_1) | instid1(VALU_DEP_1)
	v_cmp_gt_i32_e32 vcc_lo, 0, v23
	v_cndmask_b32_e32 v23, v23, v42, vcc_lo
	v_lshlrev_b32_e32 v23, 2, v23
	ds_bpermute_b32 v23, v23, v17
	ds_load_b32 v17, v18 offset:60
	s_and_saveexec_b32 s0, s2
	s_cbranch_execz .LBB1553_407
; %bb.406:
	v_mov_b32_e32 v24, 0
	v_mov_b32_e32 v18, 2
	s_waitcnt lgkmcnt(0)
	global_store_b64 v24, v[17:18], s[18:19] offset:256
.LBB1553_407:
	s_or_b32 exec_lo, exec_lo, s0
	v_cmp_eq_u32_e32 vcc_lo, 0, v42
	s_waitcnt lgkmcnt(0)
	s_waitcnt_vscnt null, 0x0
	s_barrier
	buffer_gl0_inv
	v_cndmask_b32_e32 v18, v23, v22, vcc_lo
	s_delay_alu instid0(VALU_DEP_1) | instskip(NEXT) | instid1(VALU_DEP_1)
	v_cndmask_b32_e64 v37, v18, 0, s2
	v_dual_mov_b32 v18, 0 :: v_dual_add_nc_u32 v35, v37, v28
	s_delay_alu instid0(VALU_DEP_1) | instskip(NEXT) | instid1(VALU_DEP_1)
	v_add_nc_u32_e32 v33, v35, v30
	v_add_nc_u32_e32 v31, v33, v32
	s_delay_alu instid0(VALU_DEP_1) | instskip(NEXT) | instid1(VALU_DEP_1)
	v_add_nc_u32_e32 v29, v31, v34
	v_add_nc_u32_e32 v27, v29, v36
	;; [unrolled: 3-line block ×3, first 2 shown]
.LBB1553_408:
	s_waitcnt lgkmcnt(0)
	v_cmp_gt_u32_e32 vcc_lo, 0x201, v17
	v_lshrrev_b32_e32 v43, 8, v19
	v_lshrrev_b32_e32 v42, 16, v19
	;; [unrolled: 1-line block ×4, first 2 shown]
	s_mov_b32 s0, -1
	s_cbranch_vccnz .LBB1553_412
; %bb.409:
	s_and_b32 vcc_lo, exec_lo, s0
	s_cbranch_vccnz .LBB1553_437
.LBB1553_410:
	s_and_b32 s0, s2, s13
	s_delay_alu instid0(SALU_CYCLE_1)
	s_and_saveexec_b32 s1, s0
	s_cbranch_execnz .LBB1553_457
.LBB1553_411:
	s_nop 0
	s_sendmsg sendmsg(MSG_DEALLOC_VGPRS)
	s_endpgm
.LBB1553_412:
	v_add_nc_u32_e32 v24, v18, v17
	s_delay_alu instid0(VALU_DEP_1) | instskip(SKIP_1) | instid1(SALU_CYCLE_1)
	v_cmp_lt_u32_e32 vcc_lo, v37, v24
	s_or_b32 s1, s22, vcc_lo
	s_and_saveexec_b32 s0, s1
	s_cbranch_execz .LBB1553_415
; %bb.413:
	v_and_b32_e32 v26, 1, v19
	s_delay_alu instid0(VALU_DEP_1)
	v_cmp_eq_u32_e32 vcc_lo, 1, v26
	s_and_b32 exec_lo, exec_lo, vcc_lo
	s_cbranch_execz .LBB1553_415
; %bb.414:
	v_mov_b32_e32 v38, 0
	s_lshl_b64 s[4:5], s[10:11], 3
	s_delay_alu instid0(SALU_CYCLE_1) | instskip(SKIP_1) | instid1(VALU_DEP_1)
	s_add_u32 s1, s20, s4
	s_addc_u32 s3, s21, s5
	v_lshlrev_b64 v[44:45], 3, v[37:38]
	s_delay_alu instid0(VALU_DEP_1) | instskip(NEXT) | instid1(VALU_DEP_2)
	v_add_co_u32 v44, vcc_lo, s1, v44
	v_add_co_ci_u32_e32 v45, vcc_lo, s3, v45, vcc_lo
	global_store_b64 v[44:45], v[13:14], off
.LBB1553_415:
	s_or_b32 exec_lo, exec_lo, s0
	v_cmp_lt_u32_e32 vcc_lo, v35, v24
	s_or_b32 s1, s22, vcc_lo
	s_delay_alu instid0(SALU_CYCLE_1)
	s_and_saveexec_b32 s0, s1
	s_cbranch_execz .LBB1553_418
; %bb.416:
	v_and_b32_e32 v26, 1, v43
	s_delay_alu instid0(VALU_DEP_1)
	v_cmp_eq_u32_e32 vcc_lo, 1, v26
	s_and_b32 exec_lo, exec_lo, vcc_lo
	s_cbranch_execz .LBB1553_418
; %bb.417:
	v_mov_b32_e32 v36, 0
	s_lshl_b64 s[4:5], s[10:11], 3
	s_delay_alu instid0(SALU_CYCLE_1) | instskip(SKIP_1) | instid1(VALU_DEP_1)
	s_add_u32 s1, s20, s4
	s_addc_u32 s3, s21, s5
	v_lshlrev_b64 v[44:45], 3, v[35:36]
	s_delay_alu instid0(VALU_DEP_1) | instskip(NEXT) | instid1(VALU_DEP_2)
	v_add_co_u32 v44, vcc_lo, s1, v44
	v_add_co_ci_u32_e32 v45, vcc_lo, s3, v45, vcc_lo
	global_store_b64 v[44:45], v[15:16], off
.LBB1553_418:
	s_or_b32 exec_lo, exec_lo, s0
	v_cmp_lt_u32_e32 vcc_lo, v33, v24
	s_or_b32 s1, s22, vcc_lo
	s_delay_alu instid0(SALU_CYCLE_1)
	;; [unrolled: 24-line block ×7, first 2 shown]
	s_and_saveexec_b32 s0, s1
	s_cbranch_execz .LBB1553_436
; %bb.434:
	v_and_b32_e32 v24, 1, v40
	s_delay_alu instid0(VALU_DEP_1)
	v_cmp_eq_u32_e32 vcc_lo, 1, v24
	s_and_b32 exec_lo, exec_lo, vcc_lo
	s_cbranch_execz .LBB1553_436
; %bb.435:
	v_mov_b32_e32 v24, 0
	s_lshl_b64 s[4:5], s[10:11], 3
	s_delay_alu instid0(SALU_CYCLE_1) | instskip(SKIP_1) | instid1(VALU_DEP_1)
	s_add_u32 s1, s20, s4
	s_addc_u32 s3, s21, s5
	v_lshlrev_b64 v[44:45], 3, v[23:24]
	s_delay_alu instid0(VALU_DEP_1) | instskip(NEXT) | instid1(VALU_DEP_2)
	v_add_co_u32 v44, vcc_lo, s1, v44
	v_add_co_ci_u32_e32 v45, vcc_lo, s3, v45, vcc_lo
	global_store_b64 v[44:45], v[3:4], off
.LBB1553_436:
	s_or_b32 exec_lo, exec_lo, s0
	s_branch .LBB1553_410
.LBB1553_437:
	v_and_b32_e32 v19, 1, v19
	s_mov_b32 s0, exec_lo
	s_delay_alu instid0(VALU_DEP_1)
	v_cmpx_eq_u32_e32 1, v19
	s_cbranch_execz .LBB1553_439
; %bb.438:
	v_sub_nc_u32_e32 v19, v37, v18
	s_delay_alu instid0(VALU_DEP_1)
	v_lshlrev_b32_e32 v19, 3, v19
	ds_store_b64 v19, v[13:14]
.LBB1553_439:
	s_or_b32 exec_lo, exec_lo, s0
	v_and_b32_e32 v13, 1, v43
	s_mov_b32 s0, exec_lo
	s_delay_alu instid0(VALU_DEP_1)
	v_cmpx_eq_u32_e32 1, v13
	s_cbranch_execz .LBB1553_441
; %bb.440:
	v_sub_nc_u32_e32 v13, v35, v18
	s_delay_alu instid0(VALU_DEP_1)
	v_lshlrev_b32_e32 v13, 3, v13
	ds_store_b64 v13, v[15:16]
.LBB1553_441:
	s_or_b32 exec_lo, exec_lo, s0
	;; [unrolled: 12-line block ×8, first 2 shown]
	s_delay_alu instid0(SALU_CYCLE_1)
	s_mov_b32 s1, exec_lo
	s_waitcnt lgkmcnt(0)
	s_waitcnt_vscnt null, 0x0
	s_barrier
	buffer_gl0_inv
	v_cmpx_lt_u32_e64 v0, v17
	s_cbranch_execz .LBB1553_456
; %bb.454:
	v_dual_mov_b32 v2, 0 :: v_dual_mov_b32 v1, v18
	s_lshl_b64 s[4:5], s[10:11], 3
	s_mov_b32 s3, 0
	s_delay_alu instid0(VALU_DEP_1) | instskip(NEXT) | instid1(VALU_DEP_1)
	v_lshlrev_b64 v[1:2], 3, v[1:2]
	v_add_co_u32 v1, vcc_lo, s4, v1
	s_delay_alu instid0(VALU_DEP_2) | instskip(NEXT) | instid1(VALU_DEP_2)
	v_add_co_ci_u32_e32 v2, vcc_lo, s5, v2, vcc_lo
	v_add_co_u32 v1, vcc_lo, s20, v1
	s_delay_alu instid0(VALU_DEP_2) | instskip(NEXT) | instid1(VALU_DEP_2)
	v_add_co_ci_u32_e32 v2, vcc_lo, s21, v2, vcc_lo
	v_add_co_u32 v1, vcc_lo, v1, v39
	s_delay_alu instid0(VALU_DEP_2)
	v_add_co_ci_u32_e32 v2, vcc_lo, 0, v2, vcc_lo
	.p2align	6
.LBB1553_455:                           ; =>This Inner Loop Header: Depth=1
	ds_load_b64 v[3:4], v39
	v_add_nc_u32_e32 v0, 0x200, v0
	v_add_nc_u32_e32 v39, 0x1000, v39
	s_delay_alu instid0(VALU_DEP_2) | instskip(SKIP_4) | instid1(VALU_DEP_1)
	v_cmp_ge_u32_e32 vcc_lo, v0, v17
	s_or_b32 s3, vcc_lo, s3
	s_waitcnt lgkmcnt(0)
	global_store_b64 v[1:2], v[3:4], off
	v_add_co_u32 v1, s0, 0x1000, v1
	v_add_co_ci_u32_e64 v2, s0, 0, v2, s0
	s_and_not1_b32 exec_lo, exec_lo, s3
	s_cbranch_execnz .LBB1553_455
.LBB1553_456:
	s_or_b32 exec_lo, exec_lo, s1
	s_and_b32 s0, s2, s13
	s_delay_alu instid0(SALU_CYCLE_1)
	s_and_saveexec_b32 s1, s0
	s_cbranch_execz .LBB1553_411
.LBB1553_457:
	v_add_co_u32 v0, s0, s10, v17
	s_delay_alu instid0(VALU_DEP_1) | instskip(SKIP_1) | instid1(VALU_DEP_3)
	v_add_co_ci_u32_e64 v1, null, s11, 0, s0
	v_mov_b32_e32 v2, 0
	v_add_co_u32 v0, vcc_lo, v0, v18
	s_delay_alu instid0(VALU_DEP_3)
	v_add_co_ci_u32_e32 v1, vcc_lo, 0, v1, vcc_lo
	global_store_b64 v2, v[0:1], s[8:9]
	s_nop 0
	s_sendmsg sendmsg(MSG_DEALLOC_VGPRS)
	s_endpgm
	.section	.rodata,"a",@progbits
	.p2align	6, 0x0
	.amdhsa_kernel _ZN7rocprim17ROCPRIM_400000_NS6detail17trampoline_kernelINS0_14default_configENS1_25partition_config_selectorILNS1_17partition_subalgoE8ElNS0_10empty_typeEbEEZZNS1_14partition_implILS5_8ELb0ES3_jPlPS6_PKS6_NS0_5tupleIJS9_S6_EEENSD_IJSA_SA_EEENS0_18inequality_wrapperIZN2at6native12_GLOBAL__N_124unique_dim_cuda_templateIjEESt5tupleIJNSH_6TensorESM_SM_EERKSM_lbbbEUlllE0_EEPmJS6_EEE10hipError_tPvRmT3_T4_T5_T6_T7_T9_mT8_P12ihipStream_tbDpT10_ENKUlT_T0_E_clISt17integral_constantIbLb1EES1C_EEDaS17_S18_EUlS17_E_NS1_11comp_targetILNS1_3genE9ELNS1_11target_archE1100ELNS1_3gpuE3ELNS1_3repE0EEENS1_30default_config_static_selectorELNS0_4arch9wavefront6targetE0EEEvT1_
		.amdhsa_group_segment_fixed_size 33804
		.amdhsa_private_segment_fixed_size 0
		.amdhsa_kernarg_size 136
		.amdhsa_user_sgpr_count 15
		.amdhsa_user_sgpr_dispatch_ptr 0
		.amdhsa_user_sgpr_queue_ptr 0
		.amdhsa_user_sgpr_kernarg_segment_ptr 1
		.amdhsa_user_sgpr_dispatch_id 0
		.amdhsa_user_sgpr_private_segment_size 0
		.amdhsa_wavefront_size32 1
		.amdhsa_uses_dynamic_stack 0
		.amdhsa_enable_private_segment 0
		.amdhsa_system_sgpr_workgroup_id_x 1
		.amdhsa_system_sgpr_workgroup_id_y 0
		.amdhsa_system_sgpr_workgroup_id_z 0
		.amdhsa_system_sgpr_workgroup_info 0
		.amdhsa_system_vgpr_workitem_id 0
		.amdhsa_next_free_vgpr 52
		.amdhsa_next_free_sgpr 38
		.amdhsa_reserve_vcc 1
		.amdhsa_float_round_mode_32 0
		.amdhsa_float_round_mode_16_64 0
		.amdhsa_float_denorm_mode_32 3
		.amdhsa_float_denorm_mode_16_64 3
		.amdhsa_dx10_clamp 1
		.amdhsa_ieee_mode 1
		.amdhsa_fp16_overflow 0
		.amdhsa_workgroup_processor_mode 1
		.amdhsa_memory_ordered 1
		.amdhsa_forward_progress 0
		.amdhsa_shared_vgpr_count 0
		.amdhsa_exception_fp_ieee_invalid_op 0
		.amdhsa_exception_fp_denorm_src 0
		.amdhsa_exception_fp_ieee_div_zero 0
		.amdhsa_exception_fp_ieee_overflow 0
		.amdhsa_exception_fp_ieee_underflow 0
		.amdhsa_exception_fp_ieee_inexact 0
		.amdhsa_exception_int_div_zero 0
	.end_amdhsa_kernel
	.section	.text._ZN7rocprim17ROCPRIM_400000_NS6detail17trampoline_kernelINS0_14default_configENS1_25partition_config_selectorILNS1_17partition_subalgoE8ElNS0_10empty_typeEbEEZZNS1_14partition_implILS5_8ELb0ES3_jPlPS6_PKS6_NS0_5tupleIJS9_S6_EEENSD_IJSA_SA_EEENS0_18inequality_wrapperIZN2at6native12_GLOBAL__N_124unique_dim_cuda_templateIjEESt5tupleIJNSH_6TensorESM_SM_EERKSM_lbbbEUlllE0_EEPmJS6_EEE10hipError_tPvRmT3_T4_T5_T6_T7_T9_mT8_P12ihipStream_tbDpT10_ENKUlT_T0_E_clISt17integral_constantIbLb1EES1C_EEDaS17_S18_EUlS17_E_NS1_11comp_targetILNS1_3genE9ELNS1_11target_archE1100ELNS1_3gpuE3ELNS1_3repE0EEENS1_30default_config_static_selectorELNS0_4arch9wavefront6targetE0EEEvT1_,"axG",@progbits,_ZN7rocprim17ROCPRIM_400000_NS6detail17trampoline_kernelINS0_14default_configENS1_25partition_config_selectorILNS1_17partition_subalgoE8ElNS0_10empty_typeEbEEZZNS1_14partition_implILS5_8ELb0ES3_jPlPS6_PKS6_NS0_5tupleIJS9_S6_EEENSD_IJSA_SA_EEENS0_18inequality_wrapperIZN2at6native12_GLOBAL__N_124unique_dim_cuda_templateIjEESt5tupleIJNSH_6TensorESM_SM_EERKSM_lbbbEUlllE0_EEPmJS6_EEE10hipError_tPvRmT3_T4_T5_T6_T7_T9_mT8_P12ihipStream_tbDpT10_ENKUlT_T0_E_clISt17integral_constantIbLb1EES1C_EEDaS17_S18_EUlS17_E_NS1_11comp_targetILNS1_3genE9ELNS1_11target_archE1100ELNS1_3gpuE3ELNS1_3repE0EEENS1_30default_config_static_selectorELNS0_4arch9wavefront6targetE0EEEvT1_,comdat
.Lfunc_end1553:
	.size	_ZN7rocprim17ROCPRIM_400000_NS6detail17trampoline_kernelINS0_14default_configENS1_25partition_config_selectorILNS1_17partition_subalgoE8ElNS0_10empty_typeEbEEZZNS1_14partition_implILS5_8ELb0ES3_jPlPS6_PKS6_NS0_5tupleIJS9_S6_EEENSD_IJSA_SA_EEENS0_18inequality_wrapperIZN2at6native12_GLOBAL__N_124unique_dim_cuda_templateIjEESt5tupleIJNSH_6TensorESM_SM_EERKSM_lbbbEUlllE0_EEPmJS6_EEE10hipError_tPvRmT3_T4_T5_T6_T7_T9_mT8_P12ihipStream_tbDpT10_ENKUlT_T0_E_clISt17integral_constantIbLb1EES1C_EEDaS17_S18_EUlS17_E_NS1_11comp_targetILNS1_3genE9ELNS1_11target_archE1100ELNS1_3gpuE3ELNS1_3repE0EEENS1_30default_config_static_selectorELNS0_4arch9wavefront6targetE0EEEvT1_, .Lfunc_end1553-_ZN7rocprim17ROCPRIM_400000_NS6detail17trampoline_kernelINS0_14default_configENS1_25partition_config_selectorILNS1_17partition_subalgoE8ElNS0_10empty_typeEbEEZZNS1_14partition_implILS5_8ELb0ES3_jPlPS6_PKS6_NS0_5tupleIJS9_S6_EEENSD_IJSA_SA_EEENS0_18inequality_wrapperIZN2at6native12_GLOBAL__N_124unique_dim_cuda_templateIjEESt5tupleIJNSH_6TensorESM_SM_EERKSM_lbbbEUlllE0_EEPmJS6_EEE10hipError_tPvRmT3_T4_T5_T6_T7_T9_mT8_P12ihipStream_tbDpT10_ENKUlT_T0_E_clISt17integral_constantIbLb1EES1C_EEDaS17_S18_EUlS17_E_NS1_11comp_targetILNS1_3genE9ELNS1_11target_archE1100ELNS1_3gpuE3ELNS1_3repE0EEENS1_30default_config_static_selectorELNS0_4arch9wavefront6targetE0EEEvT1_
                                        ; -- End function
	.section	.AMDGPU.csdata,"",@progbits
; Kernel info:
; codeLenInByte = 18520
; NumSgprs: 40
; NumVgprs: 52
; ScratchSize: 0
; MemoryBound: 0
; FloatMode: 240
; IeeeMode: 1
; LDSByteSize: 33804 bytes/workgroup (compile time only)
; SGPRBlocks: 4
; VGPRBlocks: 6
; NumSGPRsForWavesPerEU: 40
; NumVGPRsForWavesPerEU: 52
; Occupancy: 12
; WaveLimiterHint : 1
; COMPUTE_PGM_RSRC2:SCRATCH_EN: 0
; COMPUTE_PGM_RSRC2:USER_SGPR: 15
; COMPUTE_PGM_RSRC2:TRAP_HANDLER: 0
; COMPUTE_PGM_RSRC2:TGID_X_EN: 1
; COMPUTE_PGM_RSRC2:TGID_Y_EN: 0
; COMPUTE_PGM_RSRC2:TGID_Z_EN: 0
; COMPUTE_PGM_RSRC2:TIDIG_COMP_CNT: 0
	.section	.text._ZN7rocprim17ROCPRIM_400000_NS6detail17trampoline_kernelINS0_14default_configENS1_25partition_config_selectorILNS1_17partition_subalgoE8ElNS0_10empty_typeEbEEZZNS1_14partition_implILS5_8ELb0ES3_jPlPS6_PKS6_NS0_5tupleIJS9_S6_EEENSD_IJSA_SA_EEENS0_18inequality_wrapperIZN2at6native12_GLOBAL__N_124unique_dim_cuda_templateIjEESt5tupleIJNSH_6TensorESM_SM_EERKSM_lbbbEUlllE0_EEPmJS6_EEE10hipError_tPvRmT3_T4_T5_T6_T7_T9_mT8_P12ihipStream_tbDpT10_ENKUlT_T0_E_clISt17integral_constantIbLb1EES1C_EEDaS17_S18_EUlS17_E_NS1_11comp_targetILNS1_3genE8ELNS1_11target_archE1030ELNS1_3gpuE2ELNS1_3repE0EEENS1_30default_config_static_selectorELNS0_4arch9wavefront6targetE0EEEvT1_,"axG",@progbits,_ZN7rocprim17ROCPRIM_400000_NS6detail17trampoline_kernelINS0_14default_configENS1_25partition_config_selectorILNS1_17partition_subalgoE8ElNS0_10empty_typeEbEEZZNS1_14partition_implILS5_8ELb0ES3_jPlPS6_PKS6_NS0_5tupleIJS9_S6_EEENSD_IJSA_SA_EEENS0_18inequality_wrapperIZN2at6native12_GLOBAL__N_124unique_dim_cuda_templateIjEESt5tupleIJNSH_6TensorESM_SM_EERKSM_lbbbEUlllE0_EEPmJS6_EEE10hipError_tPvRmT3_T4_T5_T6_T7_T9_mT8_P12ihipStream_tbDpT10_ENKUlT_T0_E_clISt17integral_constantIbLb1EES1C_EEDaS17_S18_EUlS17_E_NS1_11comp_targetILNS1_3genE8ELNS1_11target_archE1030ELNS1_3gpuE2ELNS1_3repE0EEENS1_30default_config_static_selectorELNS0_4arch9wavefront6targetE0EEEvT1_,comdat
	.globl	_ZN7rocprim17ROCPRIM_400000_NS6detail17trampoline_kernelINS0_14default_configENS1_25partition_config_selectorILNS1_17partition_subalgoE8ElNS0_10empty_typeEbEEZZNS1_14partition_implILS5_8ELb0ES3_jPlPS6_PKS6_NS0_5tupleIJS9_S6_EEENSD_IJSA_SA_EEENS0_18inequality_wrapperIZN2at6native12_GLOBAL__N_124unique_dim_cuda_templateIjEESt5tupleIJNSH_6TensorESM_SM_EERKSM_lbbbEUlllE0_EEPmJS6_EEE10hipError_tPvRmT3_T4_T5_T6_T7_T9_mT8_P12ihipStream_tbDpT10_ENKUlT_T0_E_clISt17integral_constantIbLb1EES1C_EEDaS17_S18_EUlS17_E_NS1_11comp_targetILNS1_3genE8ELNS1_11target_archE1030ELNS1_3gpuE2ELNS1_3repE0EEENS1_30default_config_static_selectorELNS0_4arch9wavefront6targetE0EEEvT1_ ; -- Begin function _ZN7rocprim17ROCPRIM_400000_NS6detail17trampoline_kernelINS0_14default_configENS1_25partition_config_selectorILNS1_17partition_subalgoE8ElNS0_10empty_typeEbEEZZNS1_14partition_implILS5_8ELb0ES3_jPlPS6_PKS6_NS0_5tupleIJS9_S6_EEENSD_IJSA_SA_EEENS0_18inequality_wrapperIZN2at6native12_GLOBAL__N_124unique_dim_cuda_templateIjEESt5tupleIJNSH_6TensorESM_SM_EERKSM_lbbbEUlllE0_EEPmJS6_EEE10hipError_tPvRmT3_T4_T5_T6_T7_T9_mT8_P12ihipStream_tbDpT10_ENKUlT_T0_E_clISt17integral_constantIbLb1EES1C_EEDaS17_S18_EUlS17_E_NS1_11comp_targetILNS1_3genE8ELNS1_11target_archE1030ELNS1_3gpuE2ELNS1_3repE0EEENS1_30default_config_static_selectorELNS0_4arch9wavefront6targetE0EEEvT1_
	.p2align	8
	.type	_ZN7rocprim17ROCPRIM_400000_NS6detail17trampoline_kernelINS0_14default_configENS1_25partition_config_selectorILNS1_17partition_subalgoE8ElNS0_10empty_typeEbEEZZNS1_14partition_implILS5_8ELb0ES3_jPlPS6_PKS6_NS0_5tupleIJS9_S6_EEENSD_IJSA_SA_EEENS0_18inequality_wrapperIZN2at6native12_GLOBAL__N_124unique_dim_cuda_templateIjEESt5tupleIJNSH_6TensorESM_SM_EERKSM_lbbbEUlllE0_EEPmJS6_EEE10hipError_tPvRmT3_T4_T5_T6_T7_T9_mT8_P12ihipStream_tbDpT10_ENKUlT_T0_E_clISt17integral_constantIbLb1EES1C_EEDaS17_S18_EUlS17_E_NS1_11comp_targetILNS1_3genE8ELNS1_11target_archE1030ELNS1_3gpuE2ELNS1_3repE0EEENS1_30default_config_static_selectorELNS0_4arch9wavefront6targetE0EEEvT1_,@function
_ZN7rocprim17ROCPRIM_400000_NS6detail17trampoline_kernelINS0_14default_configENS1_25partition_config_selectorILNS1_17partition_subalgoE8ElNS0_10empty_typeEbEEZZNS1_14partition_implILS5_8ELb0ES3_jPlPS6_PKS6_NS0_5tupleIJS9_S6_EEENSD_IJSA_SA_EEENS0_18inequality_wrapperIZN2at6native12_GLOBAL__N_124unique_dim_cuda_templateIjEESt5tupleIJNSH_6TensorESM_SM_EERKSM_lbbbEUlllE0_EEPmJS6_EEE10hipError_tPvRmT3_T4_T5_T6_T7_T9_mT8_P12ihipStream_tbDpT10_ENKUlT_T0_E_clISt17integral_constantIbLb1EES1C_EEDaS17_S18_EUlS17_E_NS1_11comp_targetILNS1_3genE8ELNS1_11target_archE1030ELNS1_3gpuE2ELNS1_3repE0EEENS1_30default_config_static_selectorELNS0_4arch9wavefront6targetE0EEEvT1_: ; @_ZN7rocprim17ROCPRIM_400000_NS6detail17trampoline_kernelINS0_14default_configENS1_25partition_config_selectorILNS1_17partition_subalgoE8ElNS0_10empty_typeEbEEZZNS1_14partition_implILS5_8ELb0ES3_jPlPS6_PKS6_NS0_5tupleIJS9_S6_EEENSD_IJSA_SA_EEENS0_18inequality_wrapperIZN2at6native12_GLOBAL__N_124unique_dim_cuda_templateIjEESt5tupleIJNSH_6TensorESM_SM_EERKSM_lbbbEUlllE0_EEPmJS6_EEE10hipError_tPvRmT3_T4_T5_T6_T7_T9_mT8_P12ihipStream_tbDpT10_ENKUlT_T0_E_clISt17integral_constantIbLb1EES1C_EEDaS17_S18_EUlS17_E_NS1_11comp_targetILNS1_3genE8ELNS1_11target_archE1030ELNS1_3gpuE2ELNS1_3repE0EEENS1_30default_config_static_selectorELNS0_4arch9wavefront6targetE0EEEvT1_
; %bb.0:
	.section	.rodata,"a",@progbits
	.p2align	6, 0x0
	.amdhsa_kernel _ZN7rocprim17ROCPRIM_400000_NS6detail17trampoline_kernelINS0_14default_configENS1_25partition_config_selectorILNS1_17partition_subalgoE8ElNS0_10empty_typeEbEEZZNS1_14partition_implILS5_8ELb0ES3_jPlPS6_PKS6_NS0_5tupleIJS9_S6_EEENSD_IJSA_SA_EEENS0_18inequality_wrapperIZN2at6native12_GLOBAL__N_124unique_dim_cuda_templateIjEESt5tupleIJNSH_6TensorESM_SM_EERKSM_lbbbEUlllE0_EEPmJS6_EEE10hipError_tPvRmT3_T4_T5_T6_T7_T9_mT8_P12ihipStream_tbDpT10_ENKUlT_T0_E_clISt17integral_constantIbLb1EES1C_EEDaS17_S18_EUlS17_E_NS1_11comp_targetILNS1_3genE8ELNS1_11target_archE1030ELNS1_3gpuE2ELNS1_3repE0EEENS1_30default_config_static_selectorELNS0_4arch9wavefront6targetE0EEEvT1_
		.amdhsa_group_segment_fixed_size 0
		.amdhsa_private_segment_fixed_size 0
		.amdhsa_kernarg_size 136
		.amdhsa_user_sgpr_count 15
		.amdhsa_user_sgpr_dispatch_ptr 0
		.amdhsa_user_sgpr_queue_ptr 0
		.amdhsa_user_sgpr_kernarg_segment_ptr 1
		.amdhsa_user_sgpr_dispatch_id 0
		.amdhsa_user_sgpr_private_segment_size 0
		.amdhsa_wavefront_size32 1
		.amdhsa_uses_dynamic_stack 0
		.amdhsa_enable_private_segment 0
		.amdhsa_system_sgpr_workgroup_id_x 1
		.amdhsa_system_sgpr_workgroup_id_y 0
		.amdhsa_system_sgpr_workgroup_id_z 0
		.amdhsa_system_sgpr_workgroup_info 0
		.amdhsa_system_vgpr_workitem_id 0
		.amdhsa_next_free_vgpr 1
		.amdhsa_next_free_sgpr 1
		.amdhsa_reserve_vcc 0
		.amdhsa_float_round_mode_32 0
		.amdhsa_float_round_mode_16_64 0
		.amdhsa_float_denorm_mode_32 3
		.amdhsa_float_denorm_mode_16_64 3
		.amdhsa_dx10_clamp 1
		.amdhsa_ieee_mode 1
		.amdhsa_fp16_overflow 0
		.amdhsa_workgroup_processor_mode 1
		.amdhsa_memory_ordered 1
		.amdhsa_forward_progress 0
		.amdhsa_shared_vgpr_count 0
		.amdhsa_exception_fp_ieee_invalid_op 0
		.amdhsa_exception_fp_denorm_src 0
		.amdhsa_exception_fp_ieee_div_zero 0
		.amdhsa_exception_fp_ieee_overflow 0
		.amdhsa_exception_fp_ieee_underflow 0
		.amdhsa_exception_fp_ieee_inexact 0
		.amdhsa_exception_int_div_zero 0
	.end_amdhsa_kernel
	.section	.text._ZN7rocprim17ROCPRIM_400000_NS6detail17trampoline_kernelINS0_14default_configENS1_25partition_config_selectorILNS1_17partition_subalgoE8ElNS0_10empty_typeEbEEZZNS1_14partition_implILS5_8ELb0ES3_jPlPS6_PKS6_NS0_5tupleIJS9_S6_EEENSD_IJSA_SA_EEENS0_18inequality_wrapperIZN2at6native12_GLOBAL__N_124unique_dim_cuda_templateIjEESt5tupleIJNSH_6TensorESM_SM_EERKSM_lbbbEUlllE0_EEPmJS6_EEE10hipError_tPvRmT3_T4_T5_T6_T7_T9_mT8_P12ihipStream_tbDpT10_ENKUlT_T0_E_clISt17integral_constantIbLb1EES1C_EEDaS17_S18_EUlS17_E_NS1_11comp_targetILNS1_3genE8ELNS1_11target_archE1030ELNS1_3gpuE2ELNS1_3repE0EEENS1_30default_config_static_selectorELNS0_4arch9wavefront6targetE0EEEvT1_,"axG",@progbits,_ZN7rocprim17ROCPRIM_400000_NS6detail17trampoline_kernelINS0_14default_configENS1_25partition_config_selectorILNS1_17partition_subalgoE8ElNS0_10empty_typeEbEEZZNS1_14partition_implILS5_8ELb0ES3_jPlPS6_PKS6_NS0_5tupleIJS9_S6_EEENSD_IJSA_SA_EEENS0_18inequality_wrapperIZN2at6native12_GLOBAL__N_124unique_dim_cuda_templateIjEESt5tupleIJNSH_6TensorESM_SM_EERKSM_lbbbEUlllE0_EEPmJS6_EEE10hipError_tPvRmT3_T4_T5_T6_T7_T9_mT8_P12ihipStream_tbDpT10_ENKUlT_T0_E_clISt17integral_constantIbLb1EES1C_EEDaS17_S18_EUlS17_E_NS1_11comp_targetILNS1_3genE8ELNS1_11target_archE1030ELNS1_3gpuE2ELNS1_3repE0EEENS1_30default_config_static_selectorELNS0_4arch9wavefront6targetE0EEEvT1_,comdat
.Lfunc_end1554:
	.size	_ZN7rocprim17ROCPRIM_400000_NS6detail17trampoline_kernelINS0_14default_configENS1_25partition_config_selectorILNS1_17partition_subalgoE8ElNS0_10empty_typeEbEEZZNS1_14partition_implILS5_8ELb0ES3_jPlPS6_PKS6_NS0_5tupleIJS9_S6_EEENSD_IJSA_SA_EEENS0_18inequality_wrapperIZN2at6native12_GLOBAL__N_124unique_dim_cuda_templateIjEESt5tupleIJNSH_6TensorESM_SM_EERKSM_lbbbEUlllE0_EEPmJS6_EEE10hipError_tPvRmT3_T4_T5_T6_T7_T9_mT8_P12ihipStream_tbDpT10_ENKUlT_T0_E_clISt17integral_constantIbLb1EES1C_EEDaS17_S18_EUlS17_E_NS1_11comp_targetILNS1_3genE8ELNS1_11target_archE1030ELNS1_3gpuE2ELNS1_3repE0EEENS1_30default_config_static_selectorELNS0_4arch9wavefront6targetE0EEEvT1_, .Lfunc_end1554-_ZN7rocprim17ROCPRIM_400000_NS6detail17trampoline_kernelINS0_14default_configENS1_25partition_config_selectorILNS1_17partition_subalgoE8ElNS0_10empty_typeEbEEZZNS1_14partition_implILS5_8ELb0ES3_jPlPS6_PKS6_NS0_5tupleIJS9_S6_EEENSD_IJSA_SA_EEENS0_18inequality_wrapperIZN2at6native12_GLOBAL__N_124unique_dim_cuda_templateIjEESt5tupleIJNSH_6TensorESM_SM_EERKSM_lbbbEUlllE0_EEPmJS6_EEE10hipError_tPvRmT3_T4_T5_T6_T7_T9_mT8_P12ihipStream_tbDpT10_ENKUlT_T0_E_clISt17integral_constantIbLb1EES1C_EEDaS17_S18_EUlS17_E_NS1_11comp_targetILNS1_3genE8ELNS1_11target_archE1030ELNS1_3gpuE2ELNS1_3repE0EEENS1_30default_config_static_selectorELNS0_4arch9wavefront6targetE0EEEvT1_
                                        ; -- End function
	.section	.AMDGPU.csdata,"",@progbits
; Kernel info:
; codeLenInByte = 0
; NumSgprs: 0
; NumVgprs: 0
; ScratchSize: 0
; MemoryBound: 0
; FloatMode: 240
; IeeeMode: 1
; LDSByteSize: 0 bytes/workgroup (compile time only)
; SGPRBlocks: 0
; VGPRBlocks: 0
; NumSGPRsForWavesPerEU: 1
; NumVGPRsForWavesPerEU: 1
; Occupancy: 16
; WaveLimiterHint : 0
; COMPUTE_PGM_RSRC2:SCRATCH_EN: 0
; COMPUTE_PGM_RSRC2:USER_SGPR: 15
; COMPUTE_PGM_RSRC2:TRAP_HANDLER: 0
; COMPUTE_PGM_RSRC2:TGID_X_EN: 1
; COMPUTE_PGM_RSRC2:TGID_Y_EN: 0
; COMPUTE_PGM_RSRC2:TGID_Z_EN: 0
; COMPUTE_PGM_RSRC2:TIDIG_COMP_CNT: 0
	.section	.text._ZN7rocprim17ROCPRIM_400000_NS6detail17trampoline_kernelINS0_14default_configENS1_25partition_config_selectorILNS1_17partition_subalgoE8ElNS0_10empty_typeEbEEZZNS1_14partition_implILS5_8ELb0ES3_jPlPS6_PKS6_NS0_5tupleIJS9_S6_EEENSD_IJSA_SA_EEENS0_18inequality_wrapperIZN2at6native12_GLOBAL__N_124unique_dim_cuda_templateIjEESt5tupleIJNSH_6TensorESM_SM_EERKSM_lbbbEUlllE0_EEPmJS6_EEE10hipError_tPvRmT3_T4_T5_T6_T7_T9_mT8_P12ihipStream_tbDpT10_ENKUlT_T0_E_clISt17integral_constantIbLb1EES1B_IbLb0EEEEDaS17_S18_EUlS17_E_NS1_11comp_targetILNS1_3genE0ELNS1_11target_archE4294967295ELNS1_3gpuE0ELNS1_3repE0EEENS1_30default_config_static_selectorELNS0_4arch9wavefront6targetE0EEEvT1_,"axG",@progbits,_ZN7rocprim17ROCPRIM_400000_NS6detail17trampoline_kernelINS0_14default_configENS1_25partition_config_selectorILNS1_17partition_subalgoE8ElNS0_10empty_typeEbEEZZNS1_14partition_implILS5_8ELb0ES3_jPlPS6_PKS6_NS0_5tupleIJS9_S6_EEENSD_IJSA_SA_EEENS0_18inequality_wrapperIZN2at6native12_GLOBAL__N_124unique_dim_cuda_templateIjEESt5tupleIJNSH_6TensorESM_SM_EERKSM_lbbbEUlllE0_EEPmJS6_EEE10hipError_tPvRmT3_T4_T5_T6_T7_T9_mT8_P12ihipStream_tbDpT10_ENKUlT_T0_E_clISt17integral_constantIbLb1EES1B_IbLb0EEEEDaS17_S18_EUlS17_E_NS1_11comp_targetILNS1_3genE0ELNS1_11target_archE4294967295ELNS1_3gpuE0ELNS1_3repE0EEENS1_30default_config_static_selectorELNS0_4arch9wavefront6targetE0EEEvT1_,comdat
	.globl	_ZN7rocprim17ROCPRIM_400000_NS6detail17trampoline_kernelINS0_14default_configENS1_25partition_config_selectorILNS1_17partition_subalgoE8ElNS0_10empty_typeEbEEZZNS1_14partition_implILS5_8ELb0ES3_jPlPS6_PKS6_NS0_5tupleIJS9_S6_EEENSD_IJSA_SA_EEENS0_18inequality_wrapperIZN2at6native12_GLOBAL__N_124unique_dim_cuda_templateIjEESt5tupleIJNSH_6TensorESM_SM_EERKSM_lbbbEUlllE0_EEPmJS6_EEE10hipError_tPvRmT3_T4_T5_T6_T7_T9_mT8_P12ihipStream_tbDpT10_ENKUlT_T0_E_clISt17integral_constantIbLb1EES1B_IbLb0EEEEDaS17_S18_EUlS17_E_NS1_11comp_targetILNS1_3genE0ELNS1_11target_archE4294967295ELNS1_3gpuE0ELNS1_3repE0EEENS1_30default_config_static_selectorELNS0_4arch9wavefront6targetE0EEEvT1_ ; -- Begin function _ZN7rocprim17ROCPRIM_400000_NS6detail17trampoline_kernelINS0_14default_configENS1_25partition_config_selectorILNS1_17partition_subalgoE8ElNS0_10empty_typeEbEEZZNS1_14partition_implILS5_8ELb0ES3_jPlPS6_PKS6_NS0_5tupleIJS9_S6_EEENSD_IJSA_SA_EEENS0_18inequality_wrapperIZN2at6native12_GLOBAL__N_124unique_dim_cuda_templateIjEESt5tupleIJNSH_6TensorESM_SM_EERKSM_lbbbEUlllE0_EEPmJS6_EEE10hipError_tPvRmT3_T4_T5_T6_T7_T9_mT8_P12ihipStream_tbDpT10_ENKUlT_T0_E_clISt17integral_constantIbLb1EES1B_IbLb0EEEEDaS17_S18_EUlS17_E_NS1_11comp_targetILNS1_3genE0ELNS1_11target_archE4294967295ELNS1_3gpuE0ELNS1_3repE0EEENS1_30default_config_static_selectorELNS0_4arch9wavefront6targetE0EEEvT1_
	.p2align	8
	.type	_ZN7rocprim17ROCPRIM_400000_NS6detail17trampoline_kernelINS0_14default_configENS1_25partition_config_selectorILNS1_17partition_subalgoE8ElNS0_10empty_typeEbEEZZNS1_14partition_implILS5_8ELb0ES3_jPlPS6_PKS6_NS0_5tupleIJS9_S6_EEENSD_IJSA_SA_EEENS0_18inequality_wrapperIZN2at6native12_GLOBAL__N_124unique_dim_cuda_templateIjEESt5tupleIJNSH_6TensorESM_SM_EERKSM_lbbbEUlllE0_EEPmJS6_EEE10hipError_tPvRmT3_T4_T5_T6_T7_T9_mT8_P12ihipStream_tbDpT10_ENKUlT_T0_E_clISt17integral_constantIbLb1EES1B_IbLb0EEEEDaS17_S18_EUlS17_E_NS1_11comp_targetILNS1_3genE0ELNS1_11target_archE4294967295ELNS1_3gpuE0ELNS1_3repE0EEENS1_30default_config_static_selectorELNS0_4arch9wavefront6targetE0EEEvT1_,@function
_ZN7rocprim17ROCPRIM_400000_NS6detail17trampoline_kernelINS0_14default_configENS1_25partition_config_selectorILNS1_17partition_subalgoE8ElNS0_10empty_typeEbEEZZNS1_14partition_implILS5_8ELb0ES3_jPlPS6_PKS6_NS0_5tupleIJS9_S6_EEENSD_IJSA_SA_EEENS0_18inequality_wrapperIZN2at6native12_GLOBAL__N_124unique_dim_cuda_templateIjEESt5tupleIJNSH_6TensorESM_SM_EERKSM_lbbbEUlllE0_EEPmJS6_EEE10hipError_tPvRmT3_T4_T5_T6_T7_T9_mT8_P12ihipStream_tbDpT10_ENKUlT_T0_E_clISt17integral_constantIbLb1EES1B_IbLb0EEEEDaS17_S18_EUlS17_E_NS1_11comp_targetILNS1_3genE0ELNS1_11target_archE4294967295ELNS1_3gpuE0ELNS1_3repE0EEENS1_30default_config_static_selectorELNS0_4arch9wavefront6targetE0EEEvT1_: ; @_ZN7rocprim17ROCPRIM_400000_NS6detail17trampoline_kernelINS0_14default_configENS1_25partition_config_selectorILNS1_17partition_subalgoE8ElNS0_10empty_typeEbEEZZNS1_14partition_implILS5_8ELb0ES3_jPlPS6_PKS6_NS0_5tupleIJS9_S6_EEENSD_IJSA_SA_EEENS0_18inequality_wrapperIZN2at6native12_GLOBAL__N_124unique_dim_cuda_templateIjEESt5tupleIJNSH_6TensorESM_SM_EERKSM_lbbbEUlllE0_EEPmJS6_EEE10hipError_tPvRmT3_T4_T5_T6_T7_T9_mT8_P12ihipStream_tbDpT10_ENKUlT_T0_E_clISt17integral_constantIbLb1EES1B_IbLb0EEEEDaS17_S18_EUlS17_E_NS1_11comp_targetILNS1_3genE0ELNS1_11target_archE4294967295ELNS1_3gpuE0ELNS1_3repE0EEENS1_30default_config_static_selectorELNS0_4arch9wavefront6targetE0EEEvT1_
; %bb.0:
	.section	.rodata,"a",@progbits
	.p2align	6, 0x0
	.amdhsa_kernel _ZN7rocprim17ROCPRIM_400000_NS6detail17trampoline_kernelINS0_14default_configENS1_25partition_config_selectorILNS1_17partition_subalgoE8ElNS0_10empty_typeEbEEZZNS1_14partition_implILS5_8ELb0ES3_jPlPS6_PKS6_NS0_5tupleIJS9_S6_EEENSD_IJSA_SA_EEENS0_18inequality_wrapperIZN2at6native12_GLOBAL__N_124unique_dim_cuda_templateIjEESt5tupleIJNSH_6TensorESM_SM_EERKSM_lbbbEUlllE0_EEPmJS6_EEE10hipError_tPvRmT3_T4_T5_T6_T7_T9_mT8_P12ihipStream_tbDpT10_ENKUlT_T0_E_clISt17integral_constantIbLb1EES1B_IbLb0EEEEDaS17_S18_EUlS17_E_NS1_11comp_targetILNS1_3genE0ELNS1_11target_archE4294967295ELNS1_3gpuE0ELNS1_3repE0EEENS1_30default_config_static_selectorELNS0_4arch9wavefront6targetE0EEEvT1_
		.amdhsa_group_segment_fixed_size 0
		.amdhsa_private_segment_fixed_size 0
		.amdhsa_kernarg_size 120
		.amdhsa_user_sgpr_count 15
		.amdhsa_user_sgpr_dispatch_ptr 0
		.amdhsa_user_sgpr_queue_ptr 0
		.amdhsa_user_sgpr_kernarg_segment_ptr 1
		.amdhsa_user_sgpr_dispatch_id 0
		.amdhsa_user_sgpr_private_segment_size 0
		.amdhsa_wavefront_size32 1
		.amdhsa_uses_dynamic_stack 0
		.amdhsa_enable_private_segment 0
		.amdhsa_system_sgpr_workgroup_id_x 1
		.amdhsa_system_sgpr_workgroup_id_y 0
		.amdhsa_system_sgpr_workgroup_id_z 0
		.amdhsa_system_sgpr_workgroup_info 0
		.amdhsa_system_vgpr_workitem_id 0
		.amdhsa_next_free_vgpr 1
		.amdhsa_next_free_sgpr 1
		.amdhsa_reserve_vcc 0
		.amdhsa_float_round_mode_32 0
		.amdhsa_float_round_mode_16_64 0
		.amdhsa_float_denorm_mode_32 3
		.amdhsa_float_denorm_mode_16_64 3
		.amdhsa_dx10_clamp 1
		.amdhsa_ieee_mode 1
		.amdhsa_fp16_overflow 0
		.amdhsa_workgroup_processor_mode 1
		.amdhsa_memory_ordered 1
		.amdhsa_forward_progress 0
		.amdhsa_shared_vgpr_count 0
		.amdhsa_exception_fp_ieee_invalid_op 0
		.amdhsa_exception_fp_denorm_src 0
		.amdhsa_exception_fp_ieee_div_zero 0
		.amdhsa_exception_fp_ieee_overflow 0
		.amdhsa_exception_fp_ieee_underflow 0
		.amdhsa_exception_fp_ieee_inexact 0
		.amdhsa_exception_int_div_zero 0
	.end_amdhsa_kernel
	.section	.text._ZN7rocprim17ROCPRIM_400000_NS6detail17trampoline_kernelINS0_14default_configENS1_25partition_config_selectorILNS1_17partition_subalgoE8ElNS0_10empty_typeEbEEZZNS1_14partition_implILS5_8ELb0ES3_jPlPS6_PKS6_NS0_5tupleIJS9_S6_EEENSD_IJSA_SA_EEENS0_18inequality_wrapperIZN2at6native12_GLOBAL__N_124unique_dim_cuda_templateIjEESt5tupleIJNSH_6TensorESM_SM_EERKSM_lbbbEUlllE0_EEPmJS6_EEE10hipError_tPvRmT3_T4_T5_T6_T7_T9_mT8_P12ihipStream_tbDpT10_ENKUlT_T0_E_clISt17integral_constantIbLb1EES1B_IbLb0EEEEDaS17_S18_EUlS17_E_NS1_11comp_targetILNS1_3genE0ELNS1_11target_archE4294967295ELNS1_3gpuE0ELNS1_3repE0EEENS1_30default_config_static_selectorELNS0_4arch9wavefront6targetE0EEEvT1_,"axG",@progbits,_ZN7rocprim17ROCPRIM_400000_NS6detail17trampoline_kernelINS0_14default_configENS1_25partition_config_selectorILNS1_17partition_subalgoE8ElNS0_10empty_typeEbEEZZNS1_14partition_implILS5_8ELb0ES3_jPlPS6_PKS6_NS0_5tupleIJS9_S6_EEENSD_IJSA_SA_EEENS0_18inequality_wrapperIZN2at6native12_GLOBAL__N_124unique_dim_cuda_templateIjEESt5tupleIJNSH_6TensorESM_SM_EERKSM_lbbbEUlllE0_EEPmJS6_EEE10hipError_tPvRmT3_T4_T5_T6_T7_T9_mT8_P12ihipStream_tbDpT10_ENKUlT_T0_E_clISt17integral_constantIbLb1EES1B_IbLb0EEEEDaS17_S18_EUlS17_E_NS1_11comp_targetILNS1_3genE0ELNS1_11target_archE4294967295ELNS1_3gpuE0ELNS1_3repE0EEENS1_30default_config_static_selectorELNS0_4arch9wavefront6targetE0EEEvT1_,comdat
.Lfunc_end1555:
	.size	_ZN7rocprim17ROCPRIM_400000_NS6detail17trampoline_kernelINS0_14default_configENS1_25partition_config_selectorILNS1_17partition_subalgoE8ElNS0_10empty_typeEbEEZZNS1_14partition_implILS5_8ELb0ES3_jPlPS6_PKS6_NS0_5tupleIJS9_S6_EEENSD_IJSA_SA_EEENS0_18inequality_wrapperIZN2at6native12_GLOBAL__N_124unique_dim_cuda_templateIjEESt5tupleIJNSH_6TensorESM_SM_EERKSM_lbbbEUlllE0_EEPmJS6_EEE10hipError_tPvRmT3_T4_T5_T6_T7_T9_mT8_P12ihipStream_tbDpT10_ENKUlT_T0_E_clISt17integral_constantIbLb1EES1B_IbLb0EEEEDaS17_S18_EUlS17_E_NS1_11comp_targetILNS1_3genE0ELNS1_11target_archE4294967295ELNS1_3gpuE0ELNS1_3repE0EEENS1_30default_config_static_selectorELNS0_4arch9wavefront6targetE0EEEvT1_, .Lfunc_end1555-_ZN7rocprim17ROCPRIM_400000_NS6detail17trampoline_kernelINS0_14default_configENS1_25partition_config_selectorILNS1_17partition_subalgoE8ElNS0_10empty_typeEbEEZZNS1_14partition_implILS5_8ELb0ES3_jPlPS6_PKS6_NS0_5tupleIJS9_S6_EEENSD_IJSA_SA_EEENS0_18inequality_wrapperIZN2at6native12_GLOBAL__N_124unique_dim_cuda_templateIjEESt5tupleIJNSH_6TensorESM_SM_EERKSM_lbbbEUlllE0_EEPmJS6_EEE10hipError_tPvRmT3_T4_T5_T6_T7_T9_mT8_P12ihipStream_tbDpT10_ENKUlT_T0_E_clISt17integral_constantIbLb1EES1B_IbLb0EEEEDaS17_S18_EUlS17_E_NS1_11comp_targetILNS1_3genE0ELNS1_11target_archE4294967295ELNS1_3gpuE0ELNS1_3repE0EEENS1_30default_config_static_selectorELNS0_4arch9wavefront6targetE0EEEvT1_
                                        ; -- End function
	.section	.AMDGPU.csdata,"",@progbits
; Kernel info:
; codeLenInByte = 0
; NumSgprs: 0
; NumVgprs: 0
; ScratchSize: 0
; MemoryBound: 0
; FloatMode: 240
; IeeeMode: 1
; LDSByteSize: 0 bytes/workgroup (compile time only)
; SGPRBlocks: 0
; VGPRBlocks: 0
; NumSGPRsForWavesPerEU: 1
; NumVGPRsForWavesPerEU: 1
; Occupancy: 16
; WaveLimiterHint : 0
; COMPUTE_PGM_RSRC2:SCRATCH_EN: 0
; COMPUTE_PGM_RSRC2:USER_SGPR: 15
; COMPUTE_PGM_RSRC2:TRAP_HANDLER: 0
; COMPUTE_PGM_RSRC2:TGID_X_EN: 1
; COMPUTE_PGM_RSRC2:TGID_Y_EN: 0
; COMPUTE_PGM_RSRC2:TGID_Z_EN: 0
; COMPUTE_PGM_RSRC2:TIDIG_COMP_CNT: 0
	.section	.text._ZN7rocprim17ROCPRIM_400000_NS6detail17trampoline_kernelINS0_14default_configENS1_25partition_config_selectorILNS1_17partition_subalgoE8ElNS0_10empty_typeEbEEZZNS1_14partition_implILS5_8ELb0ES3_jPlPS6_PKS6_NS0_5tupleIJS9_S6_EEENSD_IJSA_SA_EEENS0_18inequality_wrapperIZN2at6native12_GLOBAL__N_124unique_dim_cuda_templateIjEESt5tupleIJNSH_6TensorESM_SM_EERKSM_lbbbEUlllE0_EEPmJS6_EEE10hipError_tPvRmT3_T4_T5_T6_T7_T9_mT8_P12ihipStream_tbDpT10_ENKUlT_T0_E_clISt17integral_constantIbLb1EES1B_IbLb0EEEEDaS17_S18_EUlS17_E_NS1_11comp_targetILNS1_3genE5ELNS1_11target_archE942ELNS1_3gpuE9ELNS1_3repE0EEENS1_30default_config_static_selectorELNS0_4arch9wavefront6targetE0EEEvT1_,"axG",@progbits,_ZN7rocprim17ROCPRIM_400000_NS6detail17trampoline_kernelINS0_14default_configENS1_25partition_config_selectorILNS1_17partition_subalgoE8ElNS0_10empty_typeEbEEZZNS1_14partition_implILS5_8ELb0ES3_jPlPS6_PKS6_NS0_5tupleIJS9_S6_EEENSD_IJSA_SA_EEENS0_18inequality_wrapperIZN2at6native12_GLOBAL__N_124unique_dim_cuda_templateIjEESt5tupleIJNSH_6TensorESM_SM_EERKSM_lbbbEUlllE0_EEPmJS6_EEE10hipError_tPvRmT3_T4_T5_T6_T7_T9_mT8_P12ihipStream_tbDpT10_ENKUlT_T0_E_clISt17integral_constantIbLb1EES1B_IbLb0EEEEDaS17_S18_EUlS17_E_NS1_11comp_targetILNS1_3genE5ELNS1_11target_archE942ELNS1_3gpuE9ELNS1_3repE0EEENS1_30default_config_static_selectorELNS0_4arch9wavefront6targetE0EEEvT1_,comdat
	.globl	_ZN7rocprim17ROCPRIM_400000_NS6detail17trampoline_kernelINS0_14default_configENS1_25partition_config_selectorILNS1_17partition_subalgoE8ElNS0_10empty_typeEbEEZZNS1_14partition_implILS5_8ELb0ES3_jPlPS6_PKS6_NS0_5tupleIJS9_S6_EEENSD_IJSA_SA_EEENS0_18inequality_wrapperIZN2at6native12_GLOBAL__N_124unique_dim_cuda_templateIjEESt5tupleIJNSH_6TensorESM_SM_EERKSM_lbbbEUlllE0_EEPmJS6_EEE10hipError_tPvRmT3_T4_T5_T6_T7_T9_mT8_P12ihipStream_tbDpT10_ENKUlT_T0_E_clISt17integral_constantIbLb1EES1B_IbLb0EEEEDaS17_S18_EUlS17_E_NS1_11comp_targetILNS1_3genE5ELNS1_11target_archE942ELNS1_3gpuE9ELNS1_3repE0EEENS1_30default_config_static_selectorELNS0_4arch9wavefront6targetE0EEEvT1_ ; -- Begin function _ZN7rocprim17ROCPRIM_400000_NS6detail17trampoline_kernelINS0_14default_configENS1_25partition_config_selectorILNS1_17partition_subalgoE8ElNS0_10empty_typeEbEEZZNS1_14partition_implILS5_8ELb0ES3_jPlPS6_PKS6_NS0_5tupleIJS9_S6_EEENSD_IJSA_SA_EEENS0_18inequality_wrapperIZN2at6native12_GLOBAL__N_124unique_dim_cuda_templateIjEESt5tupleIJNSH_6TensorESM_SM_EERKSM_lbbbEUlllE0_EEPmJS6_EEE10hipError_tPvRmT3_T4_T5_T6_T7_T9_mT8_P12ihipStream_tbDpT10_ENKUlT_T0_E_clISt17integral_constantIbLb1EES1B_IbLb0EEEEDaS17_S18_EUlS17_E_NS1_11comp_targetILNS1_3genE5ELNS1_11target_archE942ELNS1_3gpuE9ELNS1_3repE0EEENS1_30default_config_static_selectorELNS0_4arch9wavefront6targetE0EEEvT1_
	.p2align	8
	.type	_ZN7rocprim17ROCPRIM_400000_NS6detail17trampoline_kernelINS0_14default_configENS1_25partition_config_selectorILNS1_17partition_subalgoE8ElNS0_10empty_typeEbEEZZNS1_14partition_implILS5_8ELb0ES3_jPlPS6_PKS6_NS0_5tupleIJS9_S6_EEENSD_IJSA_SA_EEENS0_18inequality_wrapperIZN2at6native12_GLOBAL__N_124unique_dim_cuda_templateIjEESt5tupleIJNSH_6TensorESM_SM_EERKSM_lbbbEUlllE0_EEPmJS6_EEE10hipError_tPvRmT3_T4_T5_T6_T7_T9_mT8_P12ihipStream_tbDpT10_ENKUlT_T0_E_clISt17integral_constantIbLb1EES1B_IbLb0EEEEDaS17_S18_EUlS17_E_NS1_11comp_targetILNS1_3genE5ELNS1_11target_archE942ELNS1_3gpuE9ELNS1_3repE0EEENS1_30default_config_static_selectorELNS0_4arch9wavefront6targetE0EEEvT1_,@function
_ZN7rocprim17ROCPRIM_400000_NS6detail17trampoline_kernelINS0_14default_configENS1_25partition_config_selectorILNS1_17partition_subalgoE8ElNS0_10empty_typeEbEEZZNS1_14partition_implILS5_8ELb0ES3_jPlPS6_PKS6_NS0_5tupleIJS9_S6_EEENSD_IJSA_SA_EEENS0_18inequality_wrapperIZN2at6native12_GLOBAL__N_124unique_dim_cuda_templateIjEESt5tupleIJNSH_6TensorESM_SM_EERKSM_lbbbEUlllE0_EEPmJS6_EEE10hipError_tPvRmT3_T4_T5_T6_T7_T9_mT8_P12ihipStream_tbDpT10_ENKUlT_T0_E_clISt17integral_constantIbLb1EES1B_IbLb0EEEEDaS17_S18_EUlS17_E_NS1_11comp_targetILNS1_3genE5ELNS1_11target_archE942ELNS1_3gpuE9ELNS1_3repE0EEENS1_30default_config_static_selectorELNS0_4arch9wavefront6targetE0EEEvT1_: ; @_ZN7rocprim17ROCPRIM_400000_NS6detail17trampoline_kernelINS0_14default_configENS1_25partition_config_selectorILNS1_17partition_subalgoE8ElNS0_10empty_typeEbEEZZNS1_14partition_implILS5_8ELb0ES3_jPlPS6_PKS6_NS0_5tupleIJS9_S6_EEENSD_IJSA_SA_EEENS0_18inequality_wrapperIZN2at6native12_GLOBAL__N_124unique_dim_cuda_templateIjEESt5tupleIJNSH_6TensorESM_SM_EERKSM_lbbbEUlllE0_EEPmJS6_EEE10hipError_tPvRmT3_T4_T5_T6_T7_T9_mT8_P12ihipStream_tbDpT10_ENKUlT_T0_E_clISt17integral_constantIbLb1EES1B_IbLb0EEEEDaS17_S18_EUlS17_E_NS1_11comp_targetILNS1_3genE5ELNS1_11target_archE942ELNS1_3gpuE9ELNS1_3repE0EEENS1_30default_config_static_selectorELNS0_4arch9wavefront6targetE0EEEvT1_
; %bb.0:
	.section	.rodata,"a",@progbits
	.p2align	6, 0x0
	.amdhsa_kernel _ZN7rocprim17ROCPRIM_400000_NS6detail17trampoline_kernelINS0_14default_configENS1_25partition_config_selectorILNS1_17partition_subalgoE8ElNS0_10empty_typeEbEEZZNS1_14partition_implILS5_8ELb0ES3_jPlPS6_PKS6_NS0_5tupleIJS9_S6_EEENSD_IJSA_SA_EEENS0_18inequality_wrapperIZN2at6native12_GLOBAL__N_124unique_dim_cuda_templateIjEESt5tupleIJNSH_6TensorESM_SM_EERKSM_lbbbEUlllE0_EEPmJS6_EEE10hipError_tPvRmT3_T4_T5_T6_T7_T9_mT8_P12ihipStream_tbDpT10_ENKUlT_T0_E_clISt17integral_constantIbLb1EES1B_IbLb0EEEEDaS17_S18_EUlS17_E_NS1_11comp_targetILNS1_3genE5ELNS1_11target_archE942ELNS1_3gpuE9ELNS1_3repE0EEENS1_30default_config_static_selectorELNS0_4arch9wavefront6targetE0EEEvT1_
		.amdhsa_group_segment_fixed_size 0
		.amdhsa_private_segment_fixed_size 0
		.amdhsa_kernarg_size 120
		.amdhsa_user_sgpr_count 15
		.amdhsa_user_sgpr_dispatch_ptr 0
		.amdhsa_user_sgpr_queue_ptr 0
		.amdhsa_user_sgpr_kernarg_segment_ptr 1
		.amdhsa_user_sgpr_dispatch_id 0
		.amdhsa_user_sgpr_private_segment_size 0
		.amdhsa_wavefront_size32 1
		.amdhsa_uses_dynamic_stack 0
		.amdhsa_enable_private_segment 0
		.amdhsa_system_sgpr_workgroup_id_x 1
		.amdhsa_system_sgpr_workgroup_id_y 0
		.amdhsa_system_sgpr_workgroup_id_z 0
		.amdhsa_system_sgpr_workgroup_info 0
		.amdhsa_system_vgpr_workitem_id 0
		.amdhsa_next_free_vgpr 1
		.amdhsa_next_free_sgpr 1
		.amdhsa_reserve_vcc 0
		.amdhsa_float_round_mode_32 0
		.amdhsa_float_round_mode_16_64 0
		.amdhsa_float_denorm_mode_32 3
		.amdhsa_float_denorm_mode_16_64 3
		.amdhsa_dx10_clamp 1
		.amdhsa_ieee_mode 1
		.amdhsa_fp16_overflow 0
		.amdhsa_workgroup_processor_mode 1
		.amdhsa_memory_ordered 1
		.amdhsa_forward_progress 0
		.amdhsa_shared_vgpr_count 0
		.amdhsa_exception_fp_ieee_invalid_op 0
		.amdhsa_exception_fp_denorm_src 0
		.amdhsa_exception_fp_ieee_div_zero 0
		.amdhsa_exception_fp_ieee_overflow 0
		.amdhsa_exception_fp_ieee_underflow 0
		.amdhsa_exception_fp_ieee_inexact 0
		.amdhsa_exception_int_div_zero 0
	.end_amdhsa_kernel
	.section	.text._ZN7rocprim17ROCPRIM_400000_NS6detail17trampoline_kernelINS0_14default_configENS1_25partition_config_selectorILNS1_17partition_subalgoE8ElNS0_10empty_typeEbEEZZNS1_14partition_implILS5_8ELb0ES3_jPlPS6_PKS6_NS0_5tupleIJS9_S6_EEENSD_IJSA_SA_EEENS0_18inequality_wrapperIZN2at6native12_GLOBAL__N_124unique_dim_cuda_templateIjEESt5tupleIJNSH_6TensorESM_SM_EERKSM_lbbbEUlllE0_EEPmJS6_EEE10hipError_tPvRmT3_T4_T5_T6_T7_T9_mT8_P12ihipStream_tbDpT10_ENKUlT_T0_E_clISt17integral_constantIbLb1EES1B_IbLb0EEEEDaS17_S18_EUlS17_E_NS1_11comp_targetILNS1_3genE5ELNS1_11target_archE942ELNS1_3gpuE9ELNS1_3repE0EEENS1_30default_config_static_selectorELNS0_4arch9wavefront6targetE0EEEvT1_,"axG",@progbits,_ZN7rocprim17ROCPRIM_400000_NS6detail17trampoline_kernelINS0_14default_configENS1_25partition_config_selectorILNS1_17partition_subalgoE8ElNS0_10empty_typeEbEEZZNS1_14partition_implILS5_8ELb0ES3_jPlPS6_PKS6_NS0_5tupleIJS9_S6_EEENSD_IJSA_SA_EEENS0_18inequality_wrapperIZN2at6native12_GLOBAL__N_124unique_dim_cuda_templateIjEESt5tupleIJNSH_6TensorESM_SM_EERKSM_lbbbEUlllE0_EEPmJS6_EEE10hipError_tPvRmT3_T4_T5_T6_T7_T9_mT8_P12ihipStream_tbDpT10_ENKUlT_T0_E_clISt17integral_constantIbLb1EES1B_IbLb0EEEEDaS17_S18_EUlS17_E_NS1_11comp_targetILNS1_3genE5ELNS1_11target_archE942ELNS1_3gpuE9ELNS1_3repE0EEENS1_30default_config_static_selectorELNS0_4arch9wavefront6targetE0EEEvT1_,comdat
.Lfunc_end1556:
	.size	_ZN7rocprim17ROCPRIM_400000_NS6detail17trampoline_kernelINS0_14default_configENS1_25partition_config_selectorILNS1_17partition_subalgoE8ElNS0_10empty_typeEbEEZZNS1_14partition_implILS5_8ELb0ES3_jPlPS6_PKS6_NS0_5tupleIJS9_S6_EEENSD_IJSA_SA_EEENS0_18inequality_wrapperIZN2at6native12_GLOBAL__N_124unique_dim_cuda_templateIjEESt5tupleIJNSH_6TensorESM_SM_EERKSM_lbbbEUlllE0_EEPmJS6_EEE10hipError_tPvRmT3_T4_T5_T6_T7_T9_mT8_P12ihipStream_tbDpT10_ENKUlT_T0_E_clISt17integral_constantIbLb1EES1B_IbLb0EEEEDaS17_S18_EUlS17_E_NS1_11comp_targetILNS1_3genE5ELNS1_11target_archE942ELNS1_3gpuE9ELNS1_3repE0EEENS1_30default_config_static_selectorELNS0_4arch9wavefront6targetE0EEEvT1_, .Lfunc_end1556-_ZN7rocprim17ROCPRIM_400000_NS6detail17trampoline_kernelINS0_14default_configENS1_25partition_config_selectorILNS1_17partition_subalgoE8ElNS0_10empty_typeEbEEZZNS1_14partition_implILS5_8ELb0ES3_jPlPS6_PKS6_NS0_5tupleIJS9_S6_EEENSD_IJSA_SA_EEENS0_18inequality_wrapperIZN2at6native12_GLOBAL__N_124unique_dim_cuda_templateIjEESt5tupleIJNSH_6TensorESM_SM_EERKSM_lbbbEUlllE0_EEPmJS6_EEE10hipError_tPvRmT3_T4_T5_T6_T7_T9_mT8_P12ihipStream_tbDpT10_ENKUlT_T0_E_clISt17integral_constantIbLb1EES1B_IbLb0EEEEDaS17_S18_EUlS17_E_NS1_11comp_targetILNS1_3genE5ELNS1_11target_archE942ELNS1_3gpuE9ELNS1_3repE0EEENS1_30default_config_static_selectorELNS0_4arch9wavefront6targetE0EEEvT1_
                                        ; -- End function
	.section	.AMDGPU.csdata,"",@progbits
; Kernel info:
; codeLenInByte = 0
; NumSgprs: 0
; NumVgprs: 0
; ScratchSize: 0
; MemoryBound: 0
; FloatMode: 240
; IeeeMode: 1
; LDSByteSize: 0 bytes/workgroup (compile time only)
; SGPRBlocks: 0
; VGPRBlocks: 0
; NumSGPRsForWavesPerEU: 1
; NumVGPRsForWavesPerEU: 1
; Occupancy: 16
; WaveLimiterHint : 0
; COMPUTE_PGM_RSRC2:SCRATCH_EN: 0
; COMPUTE_PGM_RSRC2:USER_SGPR: 15
; COMPUTE_PGM_RSRC2:TRAP_HANDLER: 0
; COMPUTE_PGM_RSRC2:TGID_X_EN: 1
; COMPUTE_PGM_RSRC2:TGID_Y_EN: 0
; COMPUTE_PGM_RSRC2:TGID_Z_EN: 0
; COMPUTE_PGM_RSRC2:TIDIG_COMP_CNT: 0
	.section	.text._ZN7rocprim17ROCPRIM_400000_NS6detail17trampoline_kernelINS0_14default_configENS1_25partition_config_selectorILNS1_17partition_subalgoE8ElNS0_10empty_typeEbEEZZNS1_14partition_implILS5_8ELb0ES3_jPlPS6_PKS6_NS0_5tupleIJS9_S6_EEENSD_IJSA_SA_EEENS0_18inequality_wrapperIZN2at6native12_GLOBAL__N_124unique_dim_cuda_templateIjEESt5tupleIJNSH_6TensorESM_SM_EERKSM_lbbbEUlllE0_EEPmJS6_EEE10hipError_tPvRmT3_T4_T5_T6_T7_T9_mT8_P12ihipStream_tbDpT10_ENKUlT_T0_E_clISt17integral_constantIbLb1EES1B_IbLb0EEEEDaS17_S18_EUlS17_E_NS1_11comp_targetILNS1_3genE4ELNS1_11target_archE910ELNS1_3gpuE8ELNS1_3repE0EEENS1_30default_config_static_selectorELNS0_4arch9wavefront6targetE0EEEvT1_,"axG",@progbits,_ZN7rocprim17ROCPRIM_400000_NS6detail17trampoline_kernelINS0_14default_configENS1_25partition_config_selectorILNS1_17partition_subalgoE8ElNS0_10empty_typeEbEEZZNS1_14partition_implILS5_8ELb0ES3_jPlPS6_PKS6_NS0_5tupleIJS9_S6_EEENSD_IJSA_SA_EEENS0_18inequality_wrapperIZN2at6native12_GLOBAL__N_124unique_dim_cuda_templateIjEESt5tupleIJNSH_6TensorESM_SM_EERKSM_lbbbEUlllE0_EEPmJS6_EEE10hipError_tPvRmT3_T4_T5_T6_T7_T9_mT8_P12ihipStream_tbDpT10_ENKUlT_T0_E_clISt17integral_constantIbLb1EES1B_IbLb0EEEEDaS17_S18_EUlS17_E_NS1_11comp_targetILNS1_3genE4ELNS1_11target_archE910ELNS1_3gpuE8ELNS1_3repE0EEENS1_30default_config_static_selectorELNS0_4arch9wavefront6targetE0EEEvT1_,comdat
	.globl	_ZN7rocprim17ROCPRIM_400000_NS6detail17trampoline_kernelINS0_14default_configENS1_25partition_config_selectorILNS1_17partition_subalgoE8ElNS0_10empty_typeEbEEZZNS1_14partition_implILS5_8ELb0ES3_jPlPS6_PKS6_NS0_5tupleIJS9_S6_EEENSD_IJSA_SA_EEENS0_18inequality_wrapperIZN2at6native12_GLOBAL__N_124unique_dim_cuda_templateIjEESt5tupleIJNSH_6TensorESM_SM_EERKSM_lbbbEUlllE0_EEPmJS6_EEE10hipError_tPvRmT3_T4_T5_T6_T7_T9_mT8_P12ihipStream_tbDpT10_ENKUlT_T0_E_clISt17integral_constantIbLb1EES1B_IbLb0EEEEDaS17_S18_EUlS17_E_NS1_11comp_targetILNS1_3genE4ELNS1_11target_archE910ELNS1_3gpuE8ELNS1_3repE0EEENS1_30default_config_static_selectorELNS0_4arch9wavefront6targetE0EEEvT1_ ; -- Begin function _ZN7rocprim17ROCPRIM_400000_NS6detail17trampoline_kernelINS0_14default_configENS1_25partition_config_selectorILNS1_17partition_subalgoE8ElNS0_10empty_typeEbEEZZNS1_14partition_implILS5_8ELb0ES3_jPlPS6_PKS6_NS0_5tupleIJS9_S6_EEENSD_IJSA_SA_EEENS0_18inequality_wrapperIZN2at6native12_GLOBAL__N_124unique_dim_cuda_templateIjEESt5tupleIJNSH_6TensorESM_SM_EERKSM_lbbbEUlllE0_EEPmJS6_EEE10hipError_tPvRmT3_T4_T5_T6_T7_T9_mT8_P12ihipStream_tbDpT10_ENKUlT_T0_E_clISt17integral_constantIbLb1EES1B_IbLb0EEEEDaS17_S18_EUlS17_E_NS1_11comp_targetILNS1_3genE4ELNS1_11target_archE910ELNS1_3gpuE8ELNS1_3repE0EEENS1_30default_config_static_selectorELNS0_4arch9wavefront6targetE0EEEvT1_
	.p2align	8
	.type	_ZN7rocprim17ROCPRIM_400000_NS6detail17trampoline_kernelINS0_14default_configENS1_25partition_config_selectorILNS1_17partition_subalgoE8ElNS0_10empty_typeEbEEZZNS1_14partition_implILS5_8ELb0ES3_jPlPS6_PKS6_NS0_5tupleIJS9_S6_EEENSD_IJSA_SA_EEENS0_18inequality_wrapperIZN2at6native12_GLOBAL__N_124unique_dim_cuda_templateIjEESt5tupleIJNSH_6TensorESM_SM_EERKSM_lbbbEUlllE0_EEPmJS6_EEE10hipError_tPvRmT3_T4_T5_T6_T7_T9_mT8_P12ihipStream_tbDpT10_ENKUlT_T0_E_clISt17integral_constantIbLb1EES1B_IbLb0EEEEDaS17_S18_EUlS17_E_NS1_11comp_targetILNS1_3genE4ELNS1_11target_archE910ELNS1_3gpuE8ELNS1_3repE0EEENS1_30default_config_static_selectorELNS0_4arch9wavefront6targetE0EEEvT1_,@function
_ZN7rocprim17ROCPRIM_400000_NS6detail17trampoline_kernelINS0_14default_configENS1_25partition_config_selectorILNS1_17partition_subalgoE8ElNS0_10empty_typeEbEEZZNS1_14partition_implILS5_8ELb0ES3_jPlPS6_PKS6_NS0_5tupleIJS9_S6_EEENSD_IJSA_SA_EEENS0_18inequality_wrapperIZN2at6native12_GLOBAL__N_124unique_dim_cuda_templateIjEESt5tupleIJNSH_6TensorESM_SM_EERKSM_lbbbEUlllE0_EEPmJS6_EEE10hipError_tPvRmT3_T4_T5_T6_T7_T9_mT8_P12ihipStream_tbDpT10_ENKUlT_T0_E_clISt17integral_constantIbLb1EES1B_IbLb0EEEEDaS17_S18_EUlS17_E_NS1_11comp_targetILNS1_3genE4ELNS1_11target_archE910ELNS1_3gpuE8ELNS1_3repE0EEENS1_30default_config_static_selectorELNS0_4arch9wavefront6targetE0EEEvT1_: ; @_ZN7rocprim17ROCPRIM_400000_NS6detail17trampoline_kernelINS0_14default_configENS1_25partition_config_selectorILNS1_17partition_subalgoE8ElNS0_10empty_typeEbEEZZNS1_14partition_implILS5_8ELb0ES3_jPlPS6_PKS6_NS0_5tupleIJS9_S6_EEENSD_IJSA_SA_EEENS0_18inequality_wrapperIZN2at6native12_GLOBAL__N_124unique_dim_cuda_templateIjEESt5tupleIJNSH_6TensorESM_SM_EERKSM_lbbbEUlllE0_EEPmJS6_EEE10hipError_tPvRmT3_T4_T5_T6_T7_T9_mT8_P12ihipStream_tbDpT10_ENKUlT_T0_E_clISt17integral_constantIbLb1EES1B_IbLb0EEEEDaS17_S18_EUlS17_E_NS1_11comp_targetILNS1_3genE4ELNS1_11target_archE910ELNS1_3gpuE8ELNS1_3repE0EEENS1_30default_config_static_selectorELNS0_4arch9wavefront6targetE0EEEvT1_
; %bb.0:
	.section	.rodata,"a",@progbits
	.p2align	6, 0x0
	.amdhsa_kernel _ZN7rocprim17ROCPRIM_400000_NS6detail17trampoline_kernelINS0_14default_configENS1_25partition_config_selectorILNS1_17partition_subalgoE8ElNS0_10empty_typeEbEEZZNS1_14partition_implILS5_8ELb0ES3_jPlPS6_PKS6_NS0_5tupleIJS9_S6_EEENSD_IJSA_SA_EEENS0_18inequality_wrapperIZN2at6native12_GLOBAL__N_124unique_dim_cuda_templateIjEESt5tupleIJNSH_6TensorESM_SM_EERKSM_lbbbEUlllE0_EEPmJS6_EEE10hipError_tPvRmT3_T4_T5_T6_T7_T9_mT8_P12ihipStream_tbDpT10_ENKUlT_T0_E_clISt17integral_constantIbLb1EES1B_IbLb0EEEEDaS17_S18_EUlS17_E_NS1_11comp_targetILNS1_3genE4ELNS1_11target_archE910ELNS1_3gpuE8ELNS1_3repE0EEENS1_30default_config_static_selectorELNS0_4arch9wavefront6targetE0EEEvT1_
		.amdhsa_group_segment_fixed_size 0
		.amdhsa_private_segment_fixed_size 0
		.amdhsa_kernarg_size 120
		.amdhsa_user_sgpr_count 15
		.amdhsa_user_sgpr_dispatch_ptr 0
		.amdhsa_user_sgpr_queue_ptr 0
		.amdhsa_user_sgpr_kernarg_segment_ptr 1
		.amdhsa_user_sgpr_dispatch_id 0
		.amdhsa_user_sgpr_private_segment_size 0
		.amdhsa_wavefront_size32 1
		.amdhsa_uses_dynamic_stack 0
		.amdhsa_enable_private_segment 0
		.amdhsa_system_sgpr_workgroup_id_x 1
		.amdhsa_system_sgpr_workgroup_id_y 0
		.amdhsa_system_sgpr_workgroup_id_z 0
		.amdhsa_system_sgpr_workgroup_info 0
		.amdhsa_system_vgpr_workitem_id 0
		.amdhsa_next_free_vgpr 1
		.amdhsa_next_free_sgpr 1
		.amdhsa_reserve_vcc 0
		.amdhsa_float_round_mode_32 0
		.amdhsa_float_round_mode_16_64 0
		.amdhsa_float_denorm_mode_32 3
		.amdhsa_float_denorm_mode_16_64 3
		.amdhsa_dx10_clamp 1
		.amdhsa_ieee_mode 1
		.amdhsa_fp16_overflow 0
		.amdhsa_workgroup_processor_mode 1
		.amdhsa_memory_ordered 1
		.amdhsa_forward_progress 0
		.amdhsa_shared_vgpr_count 0
		.amdhsa_exception_fp_ieee_invalid_op 0
		.amdhsa_exception_fp_denorm_src 0
		.amdhsa_exception_fp_ieee_div_zero 0
		.amdhsa_exception_fp_ieee_overflow 0
		.amdhsa_exception_fp_ieee_underflow 0
		.amdhsa_exception_fp_ieee_inexact 0
		.amdhsa_exception_int_div_zero 0
	.end_amdhsa_kernel
	.section	.text._ZN7rocprim17ROCPRIM_400000_NS6detail17trampoline_kernelINS0_14default_configENS1_25partition_config_selectorILNS1_17partition_subalgoE8ElNS0_10empty_typeEbEEZZNS1_14partition_implILS5_8ELb0ES3_jPlPS6_PKS6_NS0_5tupleIJS9_S6_EEENSD_IJSA_SA_EEENS0_18inequality_wrapperIZN2at6native12_GLOBAL__N_124unique_dim_cuda_templateIjEESt5tupleIJNSH_6TensorESM_SM_EERKSM_lbbbEUlllE0_EEPmJS6_EEE10hipError_tPvRmT3_T4_T5_T6_T7_T9_mT8_P12ihipStream_tbDpT10_ENKUlT_T0_E_clISt17integral_constantIbLb1EES1B_IbLb0EEEEDaS17_S18_EUlS17_E_NS1_11comp_targetILNS1_3genE4ELNS1_11target_archE910ELNS1_3gpuE8ELNS1_3repE0EEENS1_30default_config_static_selectorELNS0_4arch9wavefront6targetE0EEEvT1_,"axG",@progbits,_ZN7rocprim17ROCPRIM_400000_NS6detail17trampoline_kernelINS0_14default_configENS1_25partition_config_selectorILNS1_17partition_subalgoE8ElNS0_10empty_typeEbEEZZNS1_14partition_implILS5_8ELb0ES3_jPlPS6_PKS6_NS0_5tupleIJS9_S6_EEENSD_IJSA_SA_EEENS0_18inequality_wrapperIZN2at6native12_GLOBAL__N_124unique_dim_cuda_templateIjEESt5tupleIJNSH_6TensorESM_SM_EERKSM_lbbbEUlllE0_EEPmJS6_EEE10hipError_tPvRmT3_T4_T5_T6_T7_T9_mT8_P12ihipStream_tbDpT10_ENKUlT_T0_E_clISt17integral_constantIbLb1EES1B_IbLb0EEEEDaS17_S18_EUlS17_E_NS1_11comp_targetILNS1_3genE4ELNS1_11target_archE910ELNS1_3gpuE8ELNS1_3repE0EEENS1_30default_config_static_selectorELNS0_4arch9wavefront6targetE0EEEvT1_,comdat
.Lfunc_end1557:
	.size	_ZN7rocprim17ROCPRIM_400000_NS6detail17trampoline_kernelINS0_14default_configENS1_25partition_config_selectorILNS1_17partition_subalgoE8ElNS0_10empty_typeEbEEZZNS1_14partition_implILS5_8ELb0ES3_jPlPS6_PKS6_NS0_5tupleIJS9_S6_EEENSD_IJSA_SA_EEENS0_18inequality_wrapperIZN2at6native12_GLOBAL__N_124unique_dim_cuda_templateIjEESt5tupleIJNSH_6TensorESM_SM_EERKSM_lbbbEUlllE0_EEPmJS6_EEE10hipError_tPvRmT3_T4_T5_T6_T7_T9_mT8_P12ihipStream_tbDpT10_ENKUlT_T0_E_clISt17integral_constantIbLb1EES1B_IbLb0EEEEDaS17_S18_EUlS17_E_NS1_11comp_targetILNS1_3genE4ELNS1_11target_archE910ELNS1_3gpuE8ELNS1_3repE0EEENS1_30default_config_static_selectorELNS0_4arch9wavefront6targetE0EEEvT1_, .Lfunc_end1557-_ZN7rocprim17ROCPRIM_400000_NS6detail17trampoline_kernelINS0_14default_configENS1_25partition_config_selectorILNS1_17partition_subalgoE8ElNS0_10empty_typeEbEEZZNS1_14partition_implILS5_8ELb0ES3_jPlPS6_PKS6_NS0_5tupleIJS9_S6_EEENSD_IJSA_SA_EEENS0_18inequality_wrapperIZN2at6native12_GLOBAL__N_124unique_dim_cuda_templateIjEESt5tupleIJNSH_6TensorESM_SM_EERKSM_lbbbEUlllE0_EEPmJS6_EEE10hipError_tPvRmT3_T4_T5_T6_T7_T9_mT8_P12ihipStream_tbDpT10_ENKUlT_T0_E_clISt17integral_constantIbLb1EES1B_IbLb0EEEEDaS17_S18_EUlS17_E_NS1_11comp_targetILNS1_3genE4ELNS1_11target_archE910ELNS1_3gpuE8ELNS1_3repE0EEENS1_30default_config_static_selectorELNS0_4arch9wavefront6targetE0EEEvT1_
                                        ; -- End function
	.section	.AMDGPU.csdata,"",@progbits
; Kernel info:
; codeLenInByte = 0
; NumSgprs: 0
; NumVgprs: 0
; ScratchSize: 0
; MemoryBound: 0
; FloatMode: 240
; IeeeMode: 1
; LDSByteSize: 0 bytes/workgroup (compile time only)
; SGPRBlocks: 0
; VGPRBlocks: 0
; NumSGPRsForWavesPerEU: 1
; NumVGPRsForWavesPerEU: 1
; Occupancy: 16
; WaveLimiterHint : 0
; COMPUTE_PGM_RSRC2:SCRATCH_EN: 0
; COMPUTE_PGM_RSRC2:USER_SGPR: 15
; COMPUTE_PGM_RSRC2:TRAP_HANDLER: 0
; COMPUTE_PGM_RSRC2:TGID_X_EN: 1
; COMPUTE_PGM_RSRC2:TGID_Y_EN: 0
; COMPUTE_PGM_RSRC2:TGID_Z_EN: 0
; COMPUTE_PGM_RSRC2:TIDIG_COMP_CNT: 0
	.section	.text._ZN7rocprim17ROCPRIM_400000_NS6detail17trampoline_kernelINS0_14default_configENS1_25partition_config_selectorILNS1_17partition_subalgoE8ElNS0_10empty_typeEbEEZZNS1_14partition_implILS5_8ELb0ES3_jPlPS6_PKS6_NS0_5tupleIJS9_S6_EEENSD_IJSA_SA_EEENS0_18inequality_wrapperIZN2at6native12_GLOBAL__N_124unique_dim_cuda_templateIjEESt5tupleIJNSH_6TensorESM_SM_EERKSM_lbbbEUlllE0_EEPmJS6_EEE10hipError_tPvRmT3_T4_T5_T6_T7_T9_mT8_P12ihipStream_tbDpT10_ENKUlT_T0_E_clISt17integral_constantIbLb1EES1B_IbLb0EEEEDaS17_S18_EUlS17_E_NS1_11comp_targetILNS1_3genE3ELNS1_11target_archE908ELNS1_3gpuE7ELNS1_3repE0EEENS1_30default_config_static_selectorELNS0_4arch9wavefront6targetE0EEEvT1_,"axG",@progbits,_ZN7rocprim17ROCPRIM_400000_NS6detail17trampoline_kernelINS0_14default_configENS1_25partition_config_selectorILNS1_17partition_subalgoE8ElNS0_10empty_typeEbEEZZNS1_14partition_implILS5_8ELb0ES3_jPlPS6_PKS6_NS0_5tupleIJS9_S6_EEENSD_IJSA_SA_EEENS0_18inequality_wrapperIZN2at6native12_GLOBAL__N_124unique_dim_cuda_templateIjEESt5tupleIJNSH_6TensorESM_SM_EERKSM_lbbbEUlllE0_EEPmJS6_EEE10hipError_tPvRmT3_T4_T5_T6_T7_T9_mT8_P12ihipStream_tbDpT10_ENKUlT_T0_E_clISt17integral_constantIbLb1EES1B_IbLb0EEEEDaS17_S18_EUlS17_E_NS1_11comp_targetILNS1_3genE3ELNS1_11target_archE908ELNS1_3gpuE7ELNS1_3repE0EEENS1_30default_config_static_selectorELNS0_4arch9wavefront6targetE0EEEvT1_,comdat
	.globl	_ZN7rocprim17ROCPRIM_400000_NS6detail17trampoline_kernelINS0_14default_configENS1_25partition_config_selectorILNS1_17partition_subalgoE8ElNS0_10empty_typeEbEEZZNS1_14partition_implILS5_8ELb0ES3_jPlPS6_PKS6_NS0_5tupleIJS9_S6_EEENSD_IJSA_SA_EEENS0_18inequality_wrapperIZN2at6native12_GLOBAL__N_124unique_dim_cuda_templateIjEESt5tupleIJNSH_6TensorESM_SM_EERKSM_lbbbEUlllE0_EEPmJS6_EEE10hipError_tPvRmT3_T4_T5_T6_T7_T9_mT8_P12ihipStream_tbDpT10_ENKUlT_T0_E_clISt17integral_constantIbLb1EES1B_IbLb0EEEEDaS17_S18_EUlS17_E_NS1_11comp_targetILNS1_3genE3ELNS1_11target_archE908ELNS1_3gpuE7ELNS1_3repE0EEENS1_30default_config_static_selectorELNS0_4arch9wavefront6targetE0EEEvT1_ ; -- Begin function _ZN7rocprim17ROCPRIM_400000_NS6detail17trampoline_kernelINS0_14default_configENS1_25partition_config_selectorILNS1_17partition_subalgoE8ElNS0_10empty_typeEbEEZZNS1_14partition_implILS5_8ELb0ES3_jPlPS6_PKS6_NS0_5tupleIJS9_S6_EEENSD_IJSA_SA_EEENS0_18inequality_wrapperIZN2at6native12_GLOBAL__N_124unique_dim_cuda_templateIjEESt5tupleIJNSH_6TensorESM_SM_EERKSM_lbbbEUlllE0_EEPmJS6_EEE10hipError_tPvRmT3_T4_T5_T6_T7_T9_mT8_P12ihipStream_tbDpT10_ENKUlT_T0_E_clISt17integral_constantIbLb1EES1B_IbLb0EEEEDaS17_S18_EUlS17_E_NS1_11comp_targetILNS1_3genE3ELNS1_11target_archE908ELNS1_3gpuE7ELNS1_3repE0EEENS1_30default_config_static_selectorELNS0_4arch9wavefront6targetE0EEEvT1_
	.p2align	8
	.type	_ZN7rocprim17ROCPRIM_400000_NS6detail17trampoline_kernelINS0_14default_configENS1_25partition_config_selectorILNS1_17partition_subalgoE8ElNS0_10empty_typeEbEEZZNS1_14partition_implILS5_8ELb0ES3_jPlPS6_PKS6_NS0_5tupleIJS9_S6_EEENSD_IJSA_SA_EEENS0_18inequality_wrapperIZN2at6native12_GLOBAL__N_124unique_dim_cuda_templateIjEESt5tupleIJNSH_6TensorESM_SM_EERKSM_lbbbEUlllE0_EEPmJS6_EEE10hipError_tPvRmT3_T4_T5_T6_T7_T9_mT8_P12ihipStream_tbDpT10_ENKUlT_T0_E_clISt17integral_constantIbLb1EES1B_IbLb0EEEEDaS17_S18_EUlS17_E_NS1_11comp_targetILNS1_3genE3ELNS1_11target_archE908ELNS1_3gpuE7ELNS1_3repE0EEENS1_30default_config_static_selectorELNS0_4arch9wavefront6targetE0EEEvT1_,@function
_ZN7rocprim17ROCPRIM_400000_NS6detail17trampoline_kernelINS0_14default_configENS1_25partition_config_selectorILNS1_17partition_subalgoE8ElNS0_10empty_typeEbEEZZNS1_14partition_implILS5_8ELb0ES3_jPlPS6_PKS6_NS0_5tupleIJS9_S6_EEENSD_IJSA_SA_EEENS0_18inequality_wrapperIZN2at6native12_GLOBAL__N_124unique_dim_cuda_templateIjEESt5tupleIJNSH_6TensorESM_SM_EERKSM_lbbbEUlllE0_EEPmJS6_EEE10hipError_tPvRmT3_T4_T5_T6_T7_T9_mT8_P12ihipStream_tbDpT10_ENKUlT_T0_E_clISt17integral_constantIbLb1EES1B_IbLb0EEEEDaS17_S18_EUlS17_E_NS1_11comp_targetILNS1_3genE3ELNS1_11target_archE908ELNS1_3gpuE7ELNS1_3repE0EEENS1_30default_config_static_selectorELNS0_4arch9wavefront6targetE0EEEvT1_: ; @_ZN7rocprim17ROCPRIM_400000_NS6detail17trampoline_kernelINS0_14default_configENS1_25partition_config_selectorILNS1_17partition_subalgoE8ElNS0_10empty_typeEbEEZZNS1_14partition_implILS5_8ELb0ES3_jPlPS6_PKS6_NS0_5tupleIJS9_S6_EEENSD_IJSA_SA_EEENS0_18inequality_wrapperIZN2at6native12_GLOBAL__N_124unique_dim_cuda_templateIjEESt5tupleIJNSH_6TensorESM_SM_EERKSM_lbbbEUlllE0_EEPmJS6_EEE10hipError_tPvRmT3_T4_T5_T6_T7_T9_mT8_P12ihipStream_tbDpT10_ENKUlT_T0_E_clISt17integral_constantIbLb1EES1B_IbLb0EEEEDaS17_S18_EUlS17_E_NS1_11comp_targetILNS1_3genE3ELNS1_11target_archE908ELNS1_3gpuE7ELNS1_3repE0EEENS1_30default_config_static_selectorELNS0_4arch9wavefront6targetE0EEEvT1_
; %bb.0:
	.section	.rodata,"a",@progbits
	.p2align	6, 0x0
	.amdhsa_kernel _ZN7rocprim17ROCPRIM_400000_NS6detail17trampoline_kernelINS0_14default_configENS1_25partition_config_selectorILNS1_17partition_subalgoE8ElNS0_10empty_typeEbEEZZNS1_14partition_implILS5_8ELb0ES3_jPlPS6_PKS6_NS0_5tupleIJS9_S6_EEENSD_IJSA_SA_EEENS0_18inequality_wrapperIZN2at6native12_GLOBAL__N_124unique_dim_cuda_templateIjEESt5tupleIJNSH_6TensorESM_SM_EERKSM_lbbbEUlllE0_EEPmJS6_EEE10hipError_tPvRmT3_T4_T5_T6_T7_T9_mT8_P12ihipStream_tbDpT10_ENKUlT_T0_E_clISt17integral_constantIbLb1EES1B_IbLb0EEEEDaS17_S18_EUlS17_E_NS1_11comp_targetILNS1_3genE3ELNS1_11target_archE908ELNS1_3gpuE7ELNS1_3repE0EEENS1_30default_config_static_selectorELNS0_4arch9wavefront6targetE0EEEvT1_
		.amdhsa_group_segment_fixed_size 0
		.amdhsa_private_segment_fixed_size 0
		.amdhsa_kernarg_size 120
		.amdhsa_user_sgpr_count 15
		.amdhsa_user_sgpr_dispatch_ptr 0
		.amdhsa_user_sgpr_queue_ptr 0
		.amdhsa_user_sgpr_kernarg_segment_ptr 1
		.amdhsa_user_sgpr_dispatch_id 0
		.amdhsa_user_sgpr_private_segment_size 0
		.amdhsa_wavefront_size32 1
		.amdhsa_uses_dynamic_stack 0
		.amdhsa_enable_private_segment 0
		.amdhsa_system_sgpr_workgroup_id_x 1
		.amdhsa_system_sgpr_workgroup_id_y 0
		.amdhsa_system_sgpr_workgroup_id_z 0
		.amdhsa_system_sgpr_workgroup_info 0
		.amdhsa_system_vgpr_workitem_id 0
		.amdhsa_next_free_vgpr 1
		.amdhsa_next_free_sgpr 1
		.amdhsa_reserve_vcc 0
		.amdhsa_float_round_mode_32 0
		.amdhsa_float_round_mode_16_64 0
		.amdhsa_float_denorm_mode_32 3
		.amdhsa_float_denorm_mode_16_64 3
		.amdhsa_dx10_clamp 1
		.amdhsa_ieee_mode 1
		.amdhsa_fp16_overflow 0
		.amdhsa_workgroup_processor_mode 1
		.amdhsa_memory_ordered 1
		.amdhsa_forward_progress 0
		.amdhsa_shared_vgpr_count 0
		.amdhsa_exception_fp_ieee_invalid_op 0
		.amdhsa_exception_fp_denorm_src 0
		.amdhsa_exception_fp_ieee_div_zero 0
		.amdhsa_exception_fp_ieee_overflow 0
		.amdhsa_exception_fp_ieee_underflow 0
		.amdhsa_exception_fp_ieee_inexact 0
		.amdhsa_exception_int_div_zero 0
	.end_amdhsa_kernel
	.section	.text._ZN7rocprim17ROCPRIM_400000_NS6detail17trampoline_kernelINS0_14default_configENS1_25partition_config_selectorILNS1_17partition_subalgoE8ElNS0_10empty_typeEbEEZZNS1_14partition_implILS5_8ELb0ES3_jPlPS6_PKS6_NS0_5tupleIJS9_S6_EEENSD_IJSA_SA_EEENS0_18inequality_wrapperIZN2at6native12_GLOBAL__N_124unique_dim_cuda_templateIjEESt5tupleIJNSH_6TensorESM_SM_EERKSM_lbbbEUlllE0_EEPmJS6_EEE10hipError_tPvRmT3_T4_T5_T6_T7_T9_mT8_P12ihipStream_tbDpT10_ENKUlT_T0_E_clISt17integral_constantIbLb1EES1B_IbLb0EEEEDaS17_S18_EUlS17_E_NS1_11comp_targetILNS1_3genE3ELNS1_11target_archE908ELNS1_3gpuE7ELNS1_3repE0EEENS1_30default_config_static_selectorELNS0_4arch9wavefront6targetE0EEEvT1_,"axG",@progbits,_ZN7rocprim17ROCPRIM_400000_NS6detail17trampoline_kernelINS0_14default_configENS1_25partition_config_selectorILNS1_17partition_subalgoE8ElNS0_10empty_typeEbEEZZNS1_14partition_implILS5_8ELb0ES3_jPlPS6_PKS6_NS0_5tupleIJS9_S6_EEENSD_IJSA_SA_EEENS0_18inequality_wrapperIZN2at6native12_GLOBAL__N_124unique_dim_cuda_templateIjEESt5tupleIJNSH_6TensorESM_SM_EERKSM_lbbbEUlllE0_EEPmJS6_EEE10hipError_tPvRmT3_T4_T5_T6_T7_T9_mT8_P12ihipStream_tbDpT10_ENKUlT_T0_E_clISt17integral_constantIbLb1EES1B_IbLb0EEEEDaS17_S18_EUlS17_E_NS1_11comp_targetILNS1_3genE3ELNS1_11target_archE908ELNS1_3gpuE7ELNS1_3repE0EEENS1_30default_config_static_selectorELNS0_4arch9wavefront6targetE0EEEvT1_,comdat
.Lfunc_end1558:
	.size	_ZN7rocprim17ROCPRIM_400000_NS6detail17trampoline_kernelINS0_14default_configENS1_25partition_config_selectorILNS1_17partition_subalgoE8ElNS0_10empty_typeEbEEZZNS1_14partition_implILS5_8ELb0ES3_jPlPS6_PKS6_NS0_5tupleIJS9_S6_EEENSD_IJSA_SA_EEENS0_18inequality_wrapperIZN2at6native12_GLOBAL__N_124unique_dim_cuda_templateIjEESt5tupleIJNSH_6TensorESM_SM_EERKSM_lbbbEUlllE0_EEPmJS6_EEE10hipError_tPvRmT3_T4_T5_T6_T7_T9_mT8_P12ihipStream_tbDpT10_ENKUlT_T0_E_clISt17integral_constantIbLb1EES1B_IbLb0EEEEDaS17_S18_EUlS17_E_NS1_11comp_targetILNS1_3genE3ELNS1_11target_archE908ELNS1_3gpuE7ELNS1_3repE0EEENS1_30default_config_static_selectorELNS0_4arch9wavefront6targetE0EEEvT1_, .Lfunc_end1558-_ZN7rocprim17ROCPRIM_400000_NS6detail17trampoline_kernelINS0_14default_configENS1_25partition_config_selectorILNS1_17partition_subalgoE8ElNS0_10empty_typeEbEEZZNS1_14partition_implILS5_8ELb0ES3_jPlPS6_PKS6_NS0_5tupleIJS9_S6_EEENSD_IJSA_SA_EEENS0_18inequality_wrapperIZN2at6native12_GLOBAL__N_124unique_dim_cuda_templateIjEESt5tupleIJNSH_6TensorESM_SM_EERKSM_lbbbEUlllE0_EEPmJS6_EEE10hipError_tPvRmT3_T4_T5_T6_T7_T9_mT8_P12ihipStream_tbDpT10_ENKUlT_T0_E_clISt17integral_constantIbLb1EES1B_IbLb0EEEEDaS17_S18_EUlS17_E_NS1_11comp_targetILNS1_3genE3ELNS1_11target_archE908ELNS1_3gpuE7ELNS1_3repE0EEENS1_30default_config_static_selectorELNS0_4arch9wavefront6targetE0EEEvT1_
                                        ; -- End function
	.section	.AMDGPU.csdata,"",@progbits
; Kernel info:
; codeLenInByte = 0
; NumSgprs: 0
; NumVgprs: 0
; ScratchSize: 0
; MemoryBound: 0
; FloatMode: 240
; IeeeMode: 1
; LDSByteSize: 0 bytes/workgroup (compile time only)
; SGPRBlocks: 0
; VGPRBlocks: 0
; NumSGPRsForWavesPerEU: 1
; NumVGPRsForWavesPerEU: 1
; Occupancy: 16
; WaveLimiterHint : 0
; COMPUTE_PGM_RSRC2:SCRATCH_EN: 0
; COMPUTE_PGM_RSRC2:USER_SGPR: 15
; COMPUTE_PGM_RSRC2:TRAP_HANDLER: 0
; COMPUTE_PGM_RSRC2:TGID_X_EN: 1
; COMPUTE_PGM_RSRC2:TGID_Y_EN: 0
; COMPUTE_PGM_RSRC2:TGID_Z_EN: 0
; COMPUTE_PGM_RSRC2:TIDIG_COMP_CNT: 0
	.section	.text._ZN7rocprim17ROCPRIM_400000_NS6detail17trampoline_kernelINS0_14default_configENS1_25partition_config_selectorILNS1_17partition_subalgoE8ElNS0_10empty_typeEbEEZZNS1_14partition_implILS5_8ELb0ES3_jPlPS6_PKS6_NS0_5tupleIJS9_S6_EEENSD_IJSA_SA_EEENS0_18inequality_wrapperIZN2at6native12_GLOBAL__N_124unique_dim_cuda_templateIjEESt5tupleIJNSH_6TensorESM_SM_EERKSM_lbbbEUlllE0_EEPmJS6_EEE10hipError_tPvRmT3_T4_T5_T6_T7_T9_mT8_P12ihipStream_tbDpT10_ENKUlT_T0_E_clISt17integral_constantIbLb1EES1B_IbLb0EEEEDaS17_S18_EUlS17_E_NS1_11comp_targetILNS1_3genE2ELNS1_11target_archE906ELNS1_3gpuE6ELNS1_3repE0EEENS1_30default_config_static_selectorELNS0_4arch9wavefront6targetE0EEEvT1_,"axG",@progbits,_ZN7rocprim17ROCPRIM_400000_NS6detail17trampoline_kernelINS0_14default_configENS1_25partition_config_selectorILNS1_17partition_subalgoE8ElNS0_10empty_typeEbEEZZNS1_14partition_implILS5_8ELb0ES3_jPlPS6_PKS6_NS0_5tupleIJS9_S6_EEENSD_IJSA_SA_EEENS0_18inequality_wrapperIZN2at6native12_GLOBAL__N_124unique_dim_cuda_templateIjEESt5tupleIJNSH_6TensorESM_SM_EERKSM_lbbbEUlllE0_EEPmJS6_EEE10hipError_tPvRmT3_T4_T5_T6_T7_T9_mT8_P12ihipStream_tbDpT10_ENKUlT_T0_E_clISt17integral_constantIbLb1EES1B_IbLb0EEEEDaS17_S18_EUlS17_E_NS1_11comp_targetILNS1_3genE2ELNS1_11target_archE906ELNS1_3gpuE6ELNS1_3repE0EEENS1_30default_config_static_selectorELNS0_4arch9wavefront6targetE0EEEvT1_,comdat
	.globl	_ZN7rocprim17ROCPRIM_400000_NS6detail17trampoline_kernelINS0_14default_configENS1_25partition_config_selectorILNS1_17partition_subalgoE8ElNS0_10empty_typeEbEEZZNS1_14partition_implILS5_8ELb0ES3_jPlPS6_PKS6_NS0_5tupleIJS9_S6_EEENSD_IJSA_SA_EEENS0_18inequality_wrapperIZN2at6native12_GLOBAL__N_124unique_dim_cuda_templateIjEESt5tupleIJNSH_6TensorESM_SM_EERKSM_lbbbEUlllE0_EEPmJS6_EEE10hipError_tPvRmT3_T4_T5_T6_T7_T9_mT8_P12ihipStream_tbDpT10_ENKUlT_T0_E_clISt17integral_constantIbLb1EES1B_IbLb0EEEEDaS17_S18_EUlS17_E_NS1_11comp_targetILNS1_3genE2ELNS1_11target_archE906ELNS1_3gpuE6ELNS1_3repE0EEENS1_30default_config_static_selectorELNS0_4arch9wavefront6targetE0EEEvT1_ ; -- Begin function _ZN7rocprim17ROCPRIM_400000_NS6detail17trampoline_kernelINS0_14default_configENS1_25partition_config_selectorILNS1_17partition_subalgoE8ElNS0_10empty_typeEbEEZZNS1_14partition_implILS5_8ELb0ES3_jPlPS6_PKS6_NS0_5tupleIJS9_S6_EEENSD_IJSA_SA_EEENS0_18inequality_wrapperIZN2at6native12_GLOBAL__N_124unique_dim_cuda_templateIjEESt5tupleIJNSH_6TensorESM_SM_EERKSM_lbbbEUlllE0_EEPmJS6_EEE10hipError_tPvRmT3_T4_T5_T6_T7_T9_mT8_P12ihipStream_tbDpT10_ENKUlT_T0_E_clISt17integral_constantIbLb1EES1B_IbLb0EEEEDaS17_S18_EUlS17_E_NS1_11comp_targetILNS1_3genE2ELNS1_11target_archE906ELNS1_3gpuE6ELNS1_3repE0EEENS1_30default_config_static_selectorELNS0_4arch9wavefront6targetE0EEEvT1_
	.p2align	8
	.type	_ZN7rocprim17ROCPRIM_400000_NS6detail17trampoline_kernelINS0_14default_configENS1_25partition_config_selectorILNS1_17partition_subalgoE8ElNS0_10empty_typeEbEEZZNS1_14partition_implILS5_8ELb0ES3_jPlPS6_PKS6_NS0_5tupleIJS9_S6_EEENSD_IJSA_SA_EEENS0_18inequality_wrapperIZN2at6native12_GLOBAL__N_124unique_dim_cuda_templateIjEESt5tupleIJNSH_6TensorESM_SM_EERKSM_lbbbEUlllE0_EEPmJS6_EEE10hipError_tPvRmT3_T4_T5_T6_T7_T9_mT8_P12ihipStream_tbDpT10_ENKUlT_T0_E_clISt17integral_constantIbLb1EES1B_IbLb0EEEEDaS17_S18_EUlS17_E_NS1_11comp_targetILNS1_3genE2ELNS1_11target_archE906ELNS1_3gpuE6ELNS1_3repE0EEENS1_30default_config_static_selectorELNS0_4arch9wavefront6targetE0EEEvT1_,@function
_ZN7rocprim17ROCPRIM_400000_NS6detail17trampoline_kernelINS0_14default_configENS1_25partition_config_selectorILNS1_17partition_subalgoE8ElNS0_10empty_typeEbEEZZNS1_14partition_implILS5_8ELb0ES3_jPlPS6_PKS6_NS0_5tupleIJS9_S6_EEENSD_IJSA_SA_EEENS0_18inequality_wrapperIZN2at6native12_GLOBAL__N_124unique_dim_cuda_templateIjEESt5tupleIJNSH_6TensorESM_SM_EERKSM_lbbbEUlllE0_EEPmJS6_EEE10hipError_tPvRmT3_T4_T5_T6_T7_T9_mT8_P12ihipStream_tbDpT10_ENKUlT_T0_E_clISt17integral_constantIbLb1EES1B_IbLb0EEEEDaS17_S18_EUlS17_E_NS1_11comp_targetILNS1_3genE2ELNS1_11target_archE906ELNS1_3gpuE6ELNS1_3repE0EEENS1_30default_config_static_selectorELNS0_4arch9wavefront6targetE0EEEvT1_: ; @_ZN7rocprim17ROCPRIM_400000_NS6detail17trampoline_kernelINS0_14default_configENS1_25partition_config_selectorILNS1_17partition_subalgoE8ElNS0_10empty_typeEbEEZZNS1_14partition_implILS5_8ELb0ES3_jPlPS6_PKS6_NS0_5tupleIJS9_S6_EEENSD_IJSA_SA_EEENS0_18inequality_wrapperIZN2at6native12_GLOBAL__N_124unique_dim_cuda_templateIjEESt5tupleIJNSH_6TensorESM_SM_EERKSM_lbbbEUlllE0_EEPmJS6_EEE10hipError_tPvRmT3_T4_T5_T6_T7_T9_mT8_P12ihipStream_tbDpT10_ENKUlT_T0_E_clISt17integral_constantIbLb1EES1B_IbLb0EEEEDaS17_S18_EUlS17_E_NS1_11comp_targetILNS1_3genE2ELNS1_11target_archE906ELNS1_3gpuE6ELNS1_3repE0EEENS1_30default_config_static_selectorELNS0_4arch9wavefront6targetE0EEEvT1_
; %bb.0:
	.section	.rodata,"a",@progbits
	.p2align	6, 0x0
	.amdhsa_kernel _ZN7rocprim17ROCPRIM_400000_NS6detail17trampoline_kernelINS0_14default_configENS1_25partition_config_selectorILNS1_17partition_subalgoE8ElNS0_10empty_typeEbEEZZNS1_14partition_implILS5_8ELb0ES3_jPlPS6_PKS6_NS0_5tupleIJS9_S6_EEENSD_IJSA_SA_EEENS0_18inequality_wrapperIZN2at6native12_GLOBAL__N_124unique_dim_cuda_templateIjEESt5tupleIJNSH_6TensorESM_SM_EERKSM_lbbbEUlllE0_EEPmJS6_EEE10hipError_tPvRmT3_T4_T5_T6_T7_T9_mT8_P12ihipStream_tbDpT10_ENKUlT_T0_E_clISt17integral_constantIbLb1EES1B_IbLb0EEEEDaS17_S18_EUlS17_E_NS1_11comp_targetILNS1_3genE2ELNS1_11target_archE906ELNS1_3gpuE6ELNS1_3repE0EEENS1_30default_config_static_selectorELNS0_4arch9wavefront6targetE0EEEvT1_
		.amdhsa_group_segment_fixed_size 0
		.amdhsa_private_segment_fixed_size 0
		.amdhsa_kernarg_size 120
		.amdhsa_user_sgpr_count 15
		.amdhsa_user_sgpr_dispatch_ptr 0
		.amdhsa_user_sgpr_queue_ptr 0
		.amdhsa_user_sgpr_kernarg_segment_ptr 1
		.amdhsa_user_sgpr_dispatch_id 0
		.amdhsa_user_sgpr_private_segment_size 0
		.amdhsa_wavefront_size32 1
		.amdhsa_uses_dynamic_stack 0
		.amdhsa_enable_private_segment 0
		.amdhsa_system_sgpr_workgroup_id_x 1
		.amdhsa_system_sgpr_workgroup_id_y 0
		.amdhsa_system_sgpr_workgroup_id_z 0
		.amdhsa_system_sgpr_workgroup_info 0
		.amdhsa_system_vgpr_workitem_id 0
		.amdhsa_next_free_vgpr 1
		.amdhsa_next_free_sgpr 1
		.amdhsa_reserve_vcc 0
		.amdhsa_float_round_mode_32 0
		.amdhsa_float_round_mode_16_64 0
		.amdhsa_float_denorm_mode_32 3
		.amdhsa_float_denorm_mode_16_64 3
		.amdhsa_dx10_clamp 1
		.amdhsa_ieee_mode 1
		.amdhsa_fp16_overflow 0
		.amdhsa_workgroup_processor_mode 1
		.amdhsa_memory_ordered 1
		.amdhsa_forward_progress 0
		.amdhsa_shared_vgpr_count 0
		.amdhsa_exception_fp_ieee_invalid_op 0
		.amdhsa_exception_fp_denorm_src 0
		.amdhsa_exception_fp_ieee_div_zero 0
		.amdhsa_exception_fp_ieee_overflow 0
		.amdhsa_exception_fp_ieee_underflow 0
		.amdhsa_exception_fp_ieee_inexact 0
		.amdhsa_exception_int_div_zero 0
	.end_amdhsa_kernel
	.section	.text._ZN7rocprim17ROCPRIM_400000_NS6detail17trampoline_kernelINS0_14default_configENS1_25partition_config_selectorILNS1_17partition_subalgoE8ElNS0_10empty_typeEbEEZZNS1_14partition_implILS5_8ELb0ES3_jPlPS6_PKS6_NS0_5tupleIJS9_S6_EEENSD_IJSA_SA_EEENS0_18inequality_wrapperIZN2at6native12_GLOBAL__N_124unique_dim_cuda_templateIjEESt5tupleIJNSH_6TensorESM_SM_EERKSM_lbbbEUlllE0_EEPmJS6_EEE10hipError_tPvRmT3_T4_T5_T6_T7_T9_mT8_P12ihipStream_tbDpT10_ENKUlT_T0_E_clISt17integral_constantIbLb1EES1B_IbLb0EEEEDaS17_S18_EUlS17_E_NS1_11comp_targetILNS1_3genE2ELNS1_11target_archE906ELNS1_3gpuE6ELNS1_3repE0EEENS1_30default_config_static_selectorELNS0_4arch9wavefront6targetE0EEEvT1_,"axG",@progbits,_ZN7rocprim17ROCPRIM_400000_NS6detail17trampoline_kernelINS0_14default_configENS1_25partition_config_selectorILNS1_17partition_subalgoE8ElNS0_10empty_typeEbEEZZNS1_14partition_implILS5_8ELb0ES3_jPlPS6_PKS6_NS0_5tupleIJS9_S6_EEENSD_IJSA_SA_EEENS0_18inequality_wrapperIZN2at6native12_GLOBAL__N_124unique_dim_cuda_templateIjEESt5tupleIJNSH_6TensorESM_SM_EERKSM_lbbbEUlllE0_EEPmJS6_EEE10hipError_tPvRmT3_T4_T5_T6_T7_T9_mT8_P12ihipStream_tbDpT10_ENKUlT_T0_E_clISt17integral_constantIbLb1EES1B_IbLb0EEEEDaS17_S18_EUlS17_E_NS1_11comp_targetILNS1_3genE2ELNS1_11target_archE906ELNS1_3gpuE6ELNS1_3repE0EEENS1_30default_config_static_selectorELNS0_4arch9wavefront6targetE0EEEvT1_,comdat
.Lfunc_end1559:
	.size	_ZN7rocprim17ROCPRIM_400000_NS6detail17trampoline_kernelINS0_14default_configENS1_25partition_config_selectorILNS1_17partition_subalgoE8ElNS0_10empty_typeEbEEZZNS1_14partition_implILS5_8ELb0ES3_jPlPS6_PKS6_NS0_5tupleIJS9_S6_EEENSD_IJSA_SA_EEENS0_18inequality_wrapperIZN2at6native12_GLOBAL__N_124unique_dim_cuda_templateIjEESt5tupleIJNSH_6TensorESM_SM_EERKSM_lbbbEUlllE0_EEPmJS6_EEE10hipError_tPvRmT3_T4_T5_T6_T7_T9_mT8_P12ihipStream_tbDpT10_ENKUlT_T0_E_clISt17integral_constantIbLb1EES1B_IbLb0EEEEDaS17_S18_EUlS17_E_NS1_11comp_targetILNS1_3genE2ELNS1_11target_archE906ELNS1_3gpuE6ELNS1_3repE0EEENS1_30default_config_static_selectorELNS0_4arch9wavefront6targetE0EEEvT1_, .Lfunc_end1559-_ZN7rocprim17ROCPRIM_400000_NS6detail17trampoline_kernelINS0_14default_configENS1_25partition_config_selectorILNS1_17partition_subalgoE8ElNS0_10empty_typeEbEEZZNS1_14partition_implILS5_8ELb0ES3_jPlPS6_PKS6_NS0_5tupleIJS9_S6_EEENSD_IJSA_SA_EEENS0_18inequality_wrapperIZN2at6native12_GLOBAL__N_124unique_dim_cuda_templateIjEESt5tupleIJNSH_6TensorESM_SM_EERKSM_lbbbEUlllE0_EEPmJS6_EEE10hipError_tPvRmT3_T4_T5_T6_T7_T9_mT8_P12ihipStream_tbDpT10_ENKUlT_T0_E_clISt17integral_constantIbLb1EES1B_IbLb0EEEEDaS17_S18_EUlS17_E_NS1_11comp_targetILNS1_3genE2ELNS1_11target_archE906ELNS1_3gpuE6ELNS1_3repE0EEENS1_30default_config_static_selectorELNS0_4arch9wavefront6targetE0EEEvT1_
                                        ; -- End function
	.section	.AMDGPU.csdata,"",@progbits
; Kernel info:
; codeLenInByte = 0
; NumSgprs: 0
; NumVgprs: 0
; ScratchSize: 0
; MemoryBound: 0
; FloatMode: 240
; IeeeMode: 1
; LDSByteSize: 0 bytes/workgroup (compile time only)
; SGPRBlocks: 0
; VGPRBlocks: 0
; NumSGPRsForWavesPerEU: 1
; NumVGPRsForWavesPerEU: 1
; Occupancy: 16
; WaveLimiterHint : 0
; COMPUTE_PGM_RSRC2:SCRATCH_EN: 0
; COMPUTE_PGM_RSRC2:USER_SGPR: 15
; COMPUTE_PGM_RSRC2:TRAP_HANDLER: 0
; COMPUTE_PGM_RSRC2:TGID_X_EN: 1
; COMPUTE_PGM_RSRC2:TGID_Y_EN: 0
; COMPUTE_PGM_RSRC2:TGID_Z_EN: 0
; COMPUTE_PGM_RSRC2:TIDIG_COMP_CNT: 0
	.section	.text._ZN7rocprim17ROCPRIM_400000_NS6detail17trampoline_kernelINS0_14default_configENS1_25partition_config_selectorILNS1_17partition_subalgoE8ElNS0_10empty_typeEbEEZZNS1_14partition_implILS5_8ELb0ES3_jPlPS6_PKS6_NS0_5tupleIJS9_S6_EEENSD_IJSA_SA_EEENS0_18inequality_wrapperIZN2at6native12_GLOBAL__N_124unique_dim_cuda_templateIjEESt5tupleIJNSH_6TensorESM_SM_EERKSM_lbbbEUlllE0_EEPmJS6_EEE10hipError_tPvRmT3_T4_T5_T6_T7_T9_mT8_P12ihipStream_tbDpT10_ENKUlT_T0_E_clISt17integral_constantIbLb1EES1B_IbLb0EEEEDaS17_S18_EUlS17_E_NS1_11comp_targetILNS1_3genE10ELNS1_11target_archE1200ELNS1_3gpuE4ELNS1_3repE0EEENS1_30default_config_static_selectorELNS0_4arch9wavefront6targetE0EEEvT1_,"axG",@progbits,_ZN7rocprim17ROCPRIM_400000_NS6detail17trampoline_kernelINS0_14default_configENS1_25partition_config_selectorILNS1_17partition_subalgoE8ElNS0_10empty_typeEbEEZZNS1_14partition_implILS5_8ELb0ES3_jPlPS6_PKS6_NS0_5tupleIJS9_S6_EEENSD_IJSA_SA_EEENS0_18inequality_wrapperIZN2at6native12_GLOBAL__N_124unique_dim_cuda_templateIjEESt5tupleIJNSH_6TensorESM_SM_EERKSM_lbbbEUlllE0_EEPmJS6_EEE10hipError_tPvRmT3_T4_T5_T6_T7_T9_mT8_P12ihipStream_tbDpT10_ENKUlT_T0_E_clISt17integral_constantIbLb1EES1B_IbLb0EEEEDaS17_S18_EUlS17_E_NS1_11comp_targetILNS1_3genE10ELNS1_11target_archE1200ELNS1_3gpuE4ELNS1_3repE0EEENS1_30default_config_static_selectorELNS0_4arch9wavefront6targetE0EEEvT1_,comdat
	.globl	_ZN7rocprim17ROCPRIM_400000_NS6detail17trampoline_kernelINS0_14default_configENS1_25partition_config_selectorILNS1_17partition_subalgoE8ElNS0_10empty_typeEbEEZZNS1_14partition_implILS5_8ELb0ES3_jPlPS6_PKS6_NS0_5tupleIJS9_S6_EEENSD_IJSA_SA_EEENS0_18inequality_wrapperIZN2at6native12_GLOBAL__N_124unique_dim_cuda_templateIjEESt5tupleIJNSH_6TensorESM_SM_EERKSM_lbbbEUlllE0_EEPmJS6_EEE10hipError_tPvRmT3_T4_T5_T6_T7_T9_mT8_P12ihipStream_tbDpT10_ENKUlT_T0_E_clISt17integral_constantIbLb1EES1B_IbLb0EEEEDaS17_S18_EUlS17_E_NS1_11comp_targetILNS1_3genE10ELNS1_11target_archE1200ELNS1_3gpuE4ELNS1_3repE0EEENS1_30default_config_static_selectorELNS0_4arch9wavefront6targetE0EEEvT1_ ; -- Begin function _ZN7rocprim17ROCPRIM_400000_NS6detail17trampoline_kernelINS0_14default_configENS1_25partition_config_selectorILNS1_17partition_subalgoE8ElNS0_10empty_typeEbEEZZNS1_14partition_implILS5_8ELb0ES3_jPlPS6_PKS6_NS0_5tupleIJS9_S6_EEENSD_IJSA_SA_EEENS0_18inequality_wrapperIZN2at6native12_GLOBAL__N_124unique_dim_cuda_templateIjEESt5tupleIJNSH_6TensorESM_SM_EERKSM_lbbbEUlllE0_EEPmJS6_EEE10hipError_tPvRmT3_T4_T5_T6_T7_T9_mT8_P12ihipStream_tbDpT10_ENKUlT_T0_E_clISt17integral_constantIbLb1EES1B_IbLb0EEEEDaS17_S18_EUlS17_E_NS1_11comp_targetILNS1_3genE10ELNS1_11target_archE1200ELNS1_3gpuE4ELNS1_3repE0EEENS1_30default_config_static_selectorELNS0_4arch9wavefront6targetE0EEEvT1_
	.p2align	8
	.type	_ZN7rocprim17ROCPRIM_400000_NS6detail17trampoline_kernelINS0_14default_configENS1_25partition_config_selectorILNS1_17partition_subalgoE8ElNS0_10empty_typeEbEEZZNS1_14partition_implILS5_8ELb0ES3_jPlPS6_PKS6_NS0_5tupleIJS9_S6_EEENSD_IJSA_SA_EEENS0_18inequality_wrapperIZN2at6native12_GLOBAL__N_124unique_dim_cuda_templateIjEESt5tupleIJNSH_6TensorESM_SM_EERKSM_lbbbEUlllE0_EEPmJS6_EEE10hipError_tPvRmT3_T4_T5_T6_T7_T9_mT8_P12ihipStream_tbDpT10_ENKUlT_T0_E_clISt17integral_constantIbLb1EES1B_IbLb0EEEEDaS17_S18_EUlS17_E_NS1_11comp_targetILNS1_3genE10ELNS1_11target_archE1200ELNS1_3gpuE4ELNS1_3repE0EEENS1_30default_config_static_selectorELNS0_4arch9wavefront6targetE0EEEvT1_,@function
_ZN7rocprim17ROCPRIM_400000_NS6detail17trampoline_kernelINS0_14default_configENS1_25partition_config_selectorILNS1_17partition_subalgoE8ElNS0_10empty_typeEbEEZZNS1_14partition_implILS5_8ELb0ES3_jPlPS6_PKS6_NS0_5tupleIJS9_S6_EEENSD_IJSA_SA_EEENS0_18inequality_wrapperIZN2at6native12_GLOBAL__N_124unique_dim_cuda_templateIjEESt5tupleIJNSH_6TensorESM_SM_EERKSM_lbbbEUlllE0_EEPmJS6_EEE10hipError_tPvRmT3_T4_T5_T6_T7_T9_mT8_P12ihipStream_tbDpT10_ENKUlT_T0_E_clISt17integral_constantIbLb1EES1B_IbLb0EEEEDaS17_S18_EUlS17_E_NS1_11comp_targetILNS1_3genE10ELNS1_11target_archE1200ELNS1_3gpuE4ELNS1_3repE0EEENS1_30default_config_static_selectorELNS0_4arch9wavefront6targetE0EEEvT1_: ; @_ZN7rocprim17ROCPRIM_400000_NS6detail17trampoline_kernelINS0_14default_configENS1_25partition_config_selectorILNS1_17partition_subalgoE8ElNS0_10empty_typeEbEEZZNS1_14partition_implILS5_8ELb0ES3_jPlPS6_PKS6_NS0_5tupleIJS9_S6_EEENSD_IJSA_SA_EEENS0_18inequality_wrapperIZN2at6native12_GLOBAL__N_124unique_dim_cuda_templateIjEESt5tupleIJNSH_6TensorESM_SM_EERKSM_lbbbEUlllE0_EEPmJS6_EEE10hipError_tPvRmT3_T4_T5_T6_T7_T9_mT8_P12ihipStream_tbDpT10_ENKUlT_T0_E_clISt17integral_constantIbLb1EES1B_IbLb0EEEEDaS17_S18_EUlS17_E_NS1_11comp_targetILNS1_3genE10ELNS1_11target_archE1200ELNS1_3gpuE4ELNS1_3repE0EEENS1_30default_config_static_selectorELNS0_4arch9wavefront6targetE0EEEvT1_
; %bb.0:
	.section	.rodata,"a",@progbits
	.p2align	6, 0x0
	.amdhsa_kernel _ZN7rocprim17ROCPRIM_400000_NS6detail17trampoline_kernelINS0_14default_configENS1_25partition_config_selectorILNS1_17partition_subalgoE8ElNS0_10empty_typeEbEEZZNS1_14partition_implILS5_8ELb0ES3_jPlPS6_PKS6_NS0_5tupleIJS9_S6_EEENSD_IJSA_SA_EEENS0_18inequality_wrapperIZN2at6native12_GLOBAL__N_124unique_dim_cuda_templateIjEESt5tupleIJNSH_6TensorESM_SM_EERKSM_lbbbEUlllE0_EEPmJS6_EEE10hipError_tPvRmT3_T4_T5_T6_T7_T9_mT8_P12ihipStream_tbDpT10_ENKUlT_T0_E_clISt17integral_constantIbLb1EES1B_IbLb0EEEEDaS17_S18_EUlS17_E_NS1_11comp_targetILNS1_3genE10ELNS1_11target_archE1200ELNS1_3gpuE4ELNS1_3repE0EEENS1_30default_config_static_selectorELNS0_4arch9wavefront6targetE0EEEvT1_
		.amdhsa_group_segment_fixed_size 0
		.amdhsa_private_segment_fixed_size 0
		.amdhsa_kernarg_size 120
		.amdhsa_user_sgpr_count 15
		.amdhsa_user_sgpr_dispatch_ptr 0
		.amdhsa_user_sgpr_queue_ptr 0
		.amdhsa_user_sgpr_kernarg_segment_ptr 1
		.amdhsa_user_sgpr_dispatch_id 0
		.amdhsa_user_sgpr_private_segment_size 0
		.amdhsa_wavefront_size32 1
		.amdhsa_uses_dynamic_stack 0
		.amdhsa_enable_private_segment 0
		.amdhsa_system_sgpr_workgroup_id_x 1
		.amdhsa_system_sgpr_workgroup_id_y 0
		.amdhsa_system_sgpr_workgroup_id_z 0
		.amdhsa_system_sgpr_workgroup_info 0
		.amdhsa_system_vgpr_workitem_id 0
		.amdhsa_next_free_vgpr 1
		.amdhsa_next_free_sgpr 1
		.amdhsa_reserve_vcc 0
		.amdhsa_float_round_mode_32 0
		.amdhsa_float_round_mode_16_64 0
		.amdhsa_float_denorm_mode_32 3
		.amdhsa_float_denorm_mode_16_64 3
		.amdhsa_dx10_clamp 1
		.amdhsa_ieee_mode 1
		.amdhsa_fp16_overflow 0
		.amdhsa_workgroup_processor_mode 1
		.amdhsa_memory_ordered 1
		.amdhsa_forward_progress 0
		.amdhsa_shared_vgpr_count 0
		.amdhsa_exception_fp_ieee_invalid_op 0
		.amdhsa_exception_fp_denorm_src 0
		.amdhsa_exception_fp_ieee_div_zero 0
		.amdhsa_exception_fp_ieee_overflow 0
		.amdhsa_exception_fp_ieee_underflow 0
		.amdhsa_exception_fp_ieee_inexact 0
		.amdhsa_exception_int_div_zero 0
	.end_amdhsa_kernel
	.section	.text._ZN7rocprim17ROCPRIM_400000_NS6detail17trampoline_kernelINS0_14default_configENS1_25partition_config_selectorILNS1_17partition_subalgoE8ElNS0_10empty_typeEbEEZZNS1_14partition_implILS5_8ELb0ES3_jPlPS6_PKS6_NS0_5tupleIJS9_S6_EEENSD_IJSA_SA_EEENS0_18inequality_wrapperIZN2at6native12_GLOBAL__N_124unique_dim_cuda_templateIjEESt5tupleIJNSH_6TensorESM_SM_EERKSM_lbbbEUlllE0_EEPmJS6_EEE10hipError_tPvRmT3_T4_T5_T6_T7_T9_mT8_P12ihipStream_tbDpT10_ENKUlT_T0_E_clISt17integral_constantIbLb1EES1B_IbLb0EEEEDaS17_S18_EUlS17_E_NS1_11comp_targetILNS1_3genE10ELNS1_11target_archE1200ELNS1_3gpuE4ELNS1_3repE0EEENS1_30default_config_static_selectorELNS0_4arch9wavefront6targetE0EEEvT1_,"axG",@progbits,_ZN7rocprim17ROCPRIM_400000_NS6detail17trampoline_kernelINS0_14default_configENS1_25partition_config_selectorILNS1_17partition_subalgoE8ElNS0_10empty_typeEbEEZZNS1_14partition_implILS5_8ELb0ES3_jPlPS6_PKS6_NS0_5tupleIJS9_S6_EEENSD_IJSA_SA_EEENS0_18inequality_wrapperIZN2at6native12_GLOBAL__N_124unique_dim_cuda_templateIjEESt5tupleIJNSH_6TensorESM_SM_EERKSM_lbbbEUlllE0_EEPmJS6_EEE10hipError_tPvRmT3_T4_T5_T6_T7_T9_mT8_P12ihipStream_tbDpT10_ENKUlT_T0_E_clISt17integral_constantIbLb1EES1B_IbLb0EEEEDaS17_S18_EUlS17_E_NS1_11comp_targetILNS1_3genE10ELNS1_11target_archE1200ELNS1_3gpuE4ELNS1_3repE0EEENS1_30default_config_static_selectorELNS0_4arch9wavefront6targetE0EEEvT1_,comdat
.Lfunc_end1560:
	.size	_ZN7rocprim17ROCPRIM_400000_NS6detail17trampoline_kernelINS0_14default_configENS1_25partition_config_selectorILNS1_17partition_subalgoE8ElNS0_10empty_typeEbEEZZNS1_14partition_implILS5_8ELb0ES3_jPlPS6_PKS6_NS0_5tupleIJS9_S6_EEENSD_IJSA_SA_EEENS0_18inequality_wrapperIZN2at6native12_GLOBAL__N_124unique_dim_cuda_templateIjEESt5tupleIJNSH_6TensorESM_SM_EERKSM_lbbbEUlllE0_EEPmJS6_EEE10hipError_tPvRmT3_T4_T5_T6_T7_T9_mT8_P12ihipStream_tbDpT10_ENKUlT_T0_E_clISt17integral_constantIbLb1EES1B_IbLb0EEEEDaS17_S18_EUlS17_E_NS1_11comp_targetILNS1_3genE10ELNS1_11target_archE1200ELNS1_3gpuE4ELNS1_3repE0EEENS1_30default_config_static_selectorELNS0_4arch9wavefront6targetE0EEEvT1_, .Lfunc_end1560-_ZN7rocprim17ROCPRIM_400000_NS6detail17trampoline_kernelINS0_14default_configENS1_25partition_config_selectorILNS1_17partition_subalgoE8ElNS0_10empty_typeEbEEZZNS1_14partition_implILS5_8ELb0ES3_jPlPS6_PKS6_NS0_5tupleIJS9_S6_EEENSD_IJSA_SA_EEENS0_18inequality_wrapperIZN2at6native12_GLOBAL__N_124unique_dim_cuda_templateIjEESt5tupleIJNSH_6TensorESM_SM_EERKSM_lbbbEUlllE0_EEPmJS6_EEE10hipError_tPvRmT3_T4_T5_T6_T7_T9_mT8_P12ihipStream_tbDpT10_ENKUlT_T0_E_clISt17integral_constantIbLb1EES1B_IbLb0EEEEDaS17_S18_EUlS17_E_NS1_11comp_targetILNS1_3genE10ELNS1_11target_archE1200ELNS1_3gpuE4ELNS1_3repE0EEENS1_30default_config_static_selectorELNS0_4arch9wavefront6targetE0EEEvT1_
                                        ; -- End function
	.section	.AMDGPU.csdata,"",@progbits
; Kernel info:
; codeLenInByte = 0
; NumSgprs: 0
; NumVgprs: 0
; ScratchSize: 0
; MemoryBound: 0
; FloatMode: 240
; IeeeMode: 1
; LDSByteSize: 0 bytes/workgroup (compile time only)
; SGPRBlocks: 0
; VGPRBlocks: 0
; NumSGPRsForWavesPerEU: 1
; NumVGPRsForWavesPerEU: 1
; Occupancy: 15
; WaveLimiterHint : 0
; COMPUTE_PGM_RSRC2:SCRATCH_EN: 0
; COMPUTE_PGM_RSRC2:USER_SGPR: 15
; COMPUTE_PGM_RSRC2:TRAP_HANDLER: 0
; COMPUTE_PGM_RSRC2:TGID_X_EN: 1
; COMPUTE_PGM_RSRC2:TGID_Y_EN: 0
; COMPUTE_PGM_RSRC2:TGID_Z_EN: 0
; COMPUTE_PGM_RSRC2:TIDIG_COMP_CNT: 0
	.section	.text._ZN7rocprim17ROCPRIM_400000_NS6detail17trampoline_kernelINS0_14default_configENS1_25partition_config_selectorILNS1_17partition_subalgoE8ElNS0_10empty_typeEbEEZZNS1_14partition_implILS5_8ELb0ES3_jPlPS6_PKS6_NS0_5tupleIJS9_S6_EEENSD_IJSA_SA_EEENS0_18inequality_wrapperIZN2at6native12_GLOBAL__N_124unique_dim_cuda_templateIjEESt5tupleIJNSH_6TensorESM_SM_EERKSM_lbbbEUlllE0_EEPmJS6_EEE10hipError_tPvRmT3_T4_T5_T6_T7_T9_mT8_P12ihipStream_tbDpT10_ENKUlT_T0_E_clISt17integral_constantIbLb1EES1B_IbLb0EEEEDaS17_S18_EUlS17_E_NS1_11comp_targetILNS1_3genE9ELNS1_11target_archE1100ELNS1_3gpuE3ELNS1_3repE0EEENS1_30default_config_static_selectorELNS0_4arch9wavefront6targetE0EEEvT1_,"axG",@progbits,_ZN7rocprim17ROCPRIM_400000_NS6detail17trampoline_kernelINS0_14default_configENS1_25partition_config_selectorILNS1_17partition_subalgoE8ElNS0_10empty_typeEbEEZZNS1_14partition_implILS5_8ELb0ES3_jPlPS6_PKS6_NS0_5tupleIJS9_S6_EEENSD_IJSA_SA_EEENS0_18inequality_wrapperIZN2at6native12_GLOBAL__N_124unique_dim_cuda_templateIjEESt5tupleIJNSH_6TensorESM_SM_EERKSM_lbbbEUlllE0_EEPmJS6_EEE10hipError_tPvRmT3_T4_T5_T6_T7_T9_mT8_P12ihipStream_tbDpT10_ENKUlT_T0_E_clISt17integral_constantIbLb1EES1B_IbLb0EEEEDaS17_S18_EUlS17_E_NS1_11comp_targetILNS1_3genE9ELNS1_11target_archE1100ELNS1_3gpuE3ELNS1_3repE0EEENS1_30default_config_static_selectorELNS0_4arch9wavefront6targetE0EEEvT1_,comdat
	.globl	_ZN7rocprim17ROCPRIM_400000_NS6detail17trampoline_kernelINS0_14default_configENS1_25partition_config_selectorILNS1_17partition_subalgoE8ElNS0_10empty_typeEbEEZZNS1_14partition_implILS5_8ELb0ES3_jPlPS6_PKS6_NS0_5tupleIJS9_S6_EEENSD_IJSA_SA_EEENS0_18inequality_wrapperIZN2at6native12_GLOBAL__N_124unique_dim_cuda_templateIjEESt5tupleIJNSH_6TensorESM_SM_EERKSM_lbbbEUlllE0_EEPmJS6_EEE10hipError_tPvRmT3_T4_T5_T6_T7_T9_mT8_P12ihipStream_tbDpT10_ENKUlT_T0_E_clISt17integral_constantIbLb1EES1B_IbLb0EEEEDaS17_S18_EUlS17_E_NS1_11comp_targetILNS1_3genE9ELNS1_11target_archE1100ELNS1_3gpuE3ELNS1_3repE0EEENS1_30default_config_static_selectorELNS0_4arch9wavefront6targetE0EEEvT1_ ; -- Begin function _ZN7rocprim17ROCPRIM_400000_NS6detail17trampoline_kernelINS0_14default_configENS1_25partition_config_selectorILNS1_17partition_subalgoE8ElNS0_10empty_typeEbEEZZNS1_14partition_implILS5_8ELb0ES3_jPlPS6_PKS6_NS0_5tupleIJS9_S6_EEENSD_IJSA_SA_EEENS0_18inequality_wrapperIZN2at6native12_GLOBAL__N_124unique_dim_cuda_templateIjEESt5tupleIJNSH_6TensorESM_SM_EERKSM_lbbbEUlllE0_EEPmJS6_EEE10hipError_tPvRmT3_T4_T5_T6_T7_T9_mT8_P12ihipStream_tbDpT10_ENKUlT_T0_E_clISt17integral_constantIbLb1EES1B_IbLb0EEEEDaS17_S18_EUlS17_E_NS1_11comp_targetILNS1_3genE9ELNS1_11target_archE1100ELNS1_3gpuE3ELNS1_3repE0EEENS1_30default_config_static_selectorELNS0_4arch9wavefront6targetE0EEEvT1_
	.p2align	8
	.type	_ZN7rocprim17ROCPRIM_400000_NS6detail17trampoline_kernelINS0_14default_configENS1_25partition_config_selectorILNS1_17partition_subalgoE8ElNS0_10empty_typeEbEEZZNS1_14partition_implILS5_8ELb0ES3_jPlPS6_PKS6_NS0_5tupleIJS9_S6_EEENSD_IJSA_SA_EEENS0_18inequality_wrapperIZN2at6native12_GLOBAL__N_124unique_dim_cuda_templateIjEESt5tupleIJNSH_6TensorESM_SM_EERKSM_lbbbEUlllE0_EEPmJS6_EEE10hipError_tPvRmT3_T4_T5_T6_T7_T9_mT8_P12ihipStream_tbDpT10_ENKUlT_T0_E_clISt17integral_constantIbLb1EES1B_IbLb0EEEEDaS17_S18_EUlS17_E_NS1_11comp_targetILNS1_3genE9ELNS1_11target_archE1100ELNS1_3gpuE3ELNS1_3repE0EEENS1_30default_config_static_selectorELNS0_4arch9wavefront6targetE0EEEvT1_,@function
_ZN7rocprim17ROCPRIM_400000_NS6detail17trampoline_kernelINS0_14default_configENS1_25partition_config_selectorILNS1_17partition_subalgoE8ElNS0_10empty_typeEbEEZZNS1_14partition_implILS5_8ELb0ES3_jPlPS6_PKS6_NS0_5tupleIJS9_S6_EEENSD_IJSA_SA_EEENS0_18inequality_wrapperIZN2at6native12_GLOBAL__N_124unique_dim_cuda_templateIjEESt5tupleIJNSH_6TensorESM_SM_EERKSM_lbbbEUlllE0_EEPmJS6_EEE10hipError_tPvRmT3_T4_T5_T6_T7_T9_mT8_P12ihipStream_tbDpT10_ENKUlT_T0_E_clISt17integral_constantIbLb1EES1B_IbLb0EEEEDaS17_S18_EUlS17_E_NS1_11comp_targetILNS1_3genE9ELNS1_11target_archE1100ELNS1_3gpuE3ELNS1_3repE0EEENS1_30default_config_static_selectorELNS0_4arch9wavefront6targetE0EEEvT1_: ; @_ZN7rocprim17ROCPRIM_400000_NS6detail17trampoline_kernelINS0_14default_configENS1_25partition_config_selectorILNS1_17partition_subalgoE8ElNS0_10empty_typeEbEEZZNS1_14partition_implILS5_8ELb0ES3_jPlPS6_PKS6_NS0_5tupleIJS9_S6_EEENSD_IJSA_SA_EEENS0_18inequality_wrapperIZN2at6native12_GLOBAL__N_124unique_dim_cuda_templateIjEESt5tupleIJNSH_6TensorESM_SM_EERKSM_lbbbEUlllE0_EEPmJS6_EEE10hipError_tPvRmT3_T4_T5_T6_T7_T9_mT8_P12ihipStream_tbDpT10_ENKUlT_T0_E_clISt17integral_constantIbLb1EES1B_IbLb0EEEEDaS17_S18_EUlS17_E_NS1_11comp_targetILNS1_3genE9ELNS1_11target_archE1100ELNS1_3gpuE3ELNS1_3repE0EEENS1_30default_config_static_selectorELNS0_4arch9wavefront6targetE0EEEvT1_
; %bb.0:
	s_clause 0x3
	s_load_b128 s[4:7], s[0:1], 0x8
	s_load_b256 s[16:23], s[0:1], 0x40
	s_load_b32 s14, s[0:1], 0x70
	s_load_b128 s[8:11], s[0:1], 0x60
	s_mov_b32 s3, 0
	v_lshlrev_b32_e32 v39, 3, v0
	v_lshrrev_b32_e32 v17, 2, v0
	v_or_b32_e32 v24, 0x200, v0
	v_or_b32_e32 v22, 0x400, v0
	;; [unrolled: 1-line block ×7, first 2 shown]
	s_waitcnt lgkmcnt(0)
	s_lshl_b64 s[24:25], s[6:7], 3
	s_load_b64 s[12:13], s[18:19], 0x0
	s_add_u32 s26, s4, s24
	s_addc_u32 s5, s5, s25
	s_add_i32 s24, s14, -1
	s_lshl_b32 s14, s14, 12
	s_lshl_b32 s4, s24, 12
	;; [unrolled: 1-line block ×3, first 2 shown]
	s_add_i32 s4, s6, s4
	s_add_u32 s18, s6, s14
	s_addc_u32 s19, s7, 0
	s_cmp_eq_u32 s15, s24
	v_cmp_ge_u64_e64 s18, s[18:19], s[20:21]
	s_cselect_b32 s14, -1, 0
	s_lshl_b64 s[2:3], s[2:3], 3
	s_delay_alu instid0(VALU_DEP_1) | instskip(NEXT) | instid1(SALU_CYCLE_1)
	s_and_b32 s24, s14, s18
	s_xor_b32 s21, s24, -1
	s_add_u32 s2, s26, s2
	s_addc_u32 s3, s5, s3
	s_and_b32 vcc_lo, exec_lo, s21
	s_mov_b32 s5, -1
	s_cbranch_vccz .LBB1561_2
; %bb.1:
	v_add_co_u32 v9, s5, s2, v39
	s_delay_alu instid0(VALU_DEP_1)
	v_add_co_ci_u32_e64 v10, null, s3, 0, s5
	global_load_b64 v[1:2], v39, s[2:3]
	v_add_co_u32 v3, vcc_lo, v9, 0x2000
	v_add_co_ci_u32_e32 v4, vcc_lo, 0, v10, vcc_lo
	v_add_co_u32 v5, vcc_lo, v9, 0x4000
	v_add_co_ci_u32_e32 v6, vcc_lo, 0, v10, vcc_lo
	;; [unrolled: 2-line block ×4, first 2 shown]
	s_clause 0x6
	global_load_b64 v[11:12], v[3:4], off offset:-4096
	global_load_b64 v[3:4], v[3:4], off
	global_load_b64 v[13:14], v[5:6], off offset:-4096
	global_load_b64 v[5:6], v[5:6], off
	;; [unrolled: 2-line block ×3, first 2 shown]
	global_load_b64 v[9:10], v[9:10], off
	v_lshrrev_b32_e32 v26, 2, v24
	v_lshrrev_b32_e32 v27, 2, v22
	;; [unrolled: 1-line block ×4, first 2 shown]
	v_and_b32_e32 v25, 0x78, v17
	v_lshrrev_b32_e32 v30, 2, v20
	v_lshrrev_b32_e32 v31, 2, v19
	;; [unrolled: 1-line block ×3, first 2 shown]
	v_and_b32_e32 v26, 0xf8, v26
	v_and_b32_e32 v27, 0x178, v27
	;; [unrolled: 1-line block ×4, first 2 shown]
	v_add_nc_u32_e32 v25, v25, v39
	v_and_b32_e32 v30, 0x2f8, v30
	v_and_b32_e32 v31, 0x378, v31
	;; [unrolled: 1-line block ×3, first 2 shown]
	v_add_nc_u32_e32 v26, v26, v39
	v_add_nc_u32_e32 v27, v27, v39
	;; [unrolled: 1-line block ×4, first 2 shown]
	s_mov_b32 s5, 0
	v_add_nc_u32_e32 v30, v30, v39
	v_add_nc_u32_e32 v31, v31, v39
	;; [unrolled: 1-line block ×3, first 2 shown]
	s_waitcnt vmcnt(7)
	ds_store_b64 v25, v[1:2]
	s_waitcnt vmcnt(6)
	ds_store_b64 v26, v[11:12] offset:4096
	s_waitcnt vmcnt(5)
	ds_store_b64 v27, v[3:4] offset:8192
	;; [unrolled: 2-line block ×7, first 2 shown]
	s_waitcnt lgkmcnt(0)
	s_barrier
.LBB1561_2:
	s_and_not1_b32 vcc_lo, exec_lo, s5
	s_sub_i32 s20, s20, s4
	s_cbranch_vccnz .LBB1561_13
; %bb.3:
	s_mov_b32 s4, exec_lo
                                        ; implicit-def: $vgpr1_vgpr2_vgpr3_vgpr4_vgpr5_vgpr6_vgpr7_vgpr8_vgpr9_vgpr10_vgpr11_vgpr12_vgpr13_vgpr14_vgpr15_vgpr16
	v_cmpx_gt_u32_e64 s20, v0
	s_cbranch_execnz .LBB1561_23
; %bb.4:
	s_or_b32 exec_lo, exec_lo, s4
	s_delay_alu instid0(SALU_CYCLE_1)
	s_mov_b32 s4, exec_lo
	v_cmpx_gt_u32_e64 s20, v24
	s_cbranch_execnz .LBB1561_24
.LBB1561_5:
	s_or_b32 exec_lo, exec_lo, s4
	s_delay_alu instid0(SALU_CYCLE_1)
	s_mov_b32 s4, exec_lo
	v_cmpx_gt_u32_e64 s20, v22
	s_cbranch_execnz .LBB1561_25
.LBB1561_6:
	s_or_b32 exec_lo, exec_lo, s4
	s_delay_alu instid0(SALU_CYCLE_1)
	s_mov_b32 s4, exec_lo
	v_cmpx_gt_u32_e64 s20, v23
	s_cbranch_execnz .LBB1561_26
.LBB1561_7:
	s_or_b32 exec_lo, exec_lo, s4
	s_delay_alu instid0(SALU_CYCLE_1)
	s_mov_b32 s4, exec_lo
	v_cmpx_gt_u32_e64 s20, v21
	s_cbranch_execnz .LBB1561_27
.LBB1561_8:
	s_or_b32 exec_lo, exec_lo, s4
	s_delay_alu instid0(SALU_CYCLE_1)
	s_mov_b32 s4, exec_lo
	v_cmpx_gt_u32_e64 s20, v20
	s_cbranch_execnz .LBB1561_28
.LBB1561_9:
	s_or_b32 exec_lo, exec_lo, s4
	s_delay_alu instid0(SALU_CYCLE_1)
	s_mov_b32 s4, exec_lo
	v_cmpx_gt_u32_e64 s20, v19
	s_cbranch_execnz .LBB1561_29
.LBB1561_10:
	s_or_b32 exec_lo, exec_lo, s4
	s_delay_alu instid0(SALU_CYCLE_1)
	s_mov_b32 s4, exec_lo
	v_cmpx_gt_u32_e64 s20, v18
	s_cbranch_execz .LBB1561_12
.LBB1561_11:
	v_lshlrev_b32_e32 v15, 3, v18
	global_load_b64 v[15:16], v15, s[2:3]
.LBB1561_12:
	s_or_b32 exec_lo, exec_lo, s4
	v_lshrrev_b32_e32 v24, 2, v24
	v_lshrrev_b32_e32 v22, 2, v22
	;; [unrolled: 1-line block ×4, first 2 shown]
	v_and_b32_e32 v25, 0x78, v17
	v_lshrrev_b32_e32 v20, 2, v20
	v_lshrrev_b32_e32 v19, 2, v19
	;; [unrolled: 1-line block ×3, first 2 shown]
	v_and_b32_e32 v24, 0xf8, v24
	v_and_b32_e32 v22, 0x1f8, v22
	v_and_b32_e32 v23, 0x1f8, v23
	v_and_b32_e32 v21, 0x3f8, v21
	v_add_nc_u32_e32 v25, v25, v39
	v_and_b32_e32 v20, 0x3f8, v20
	v_and_b32_e32 v19, 0x3f8, v19
	;; [unrolled: 1-line block ×3, first 2 shown]
	v_add_nc_u32_e32 v24, v24, v39
	v_add_nc_u32_e32 v22, v22, v39
	;; [unrolled: 1-line block ×7, first 2 shown]
	s_waitcnt vmcnt(0)
	ds_store_b64 v25, v[1:2]
	ds_store_b64 v24, v[3:4] offset:4096
	ds_store_b64 v22, v[5:6] offset:8192
	;; [unrolled: 1-line block ×7, first 2 shown]
	s_waitcnt lgkmcnt(0)
	s_barrier
.LBB1561_13:
	v_add_lshl_u32 v1, v17, v39, 3
	s_waitcnt lgkmcnt(0)
	buffer_gl0_inv
	s_cmp_lg_u32 s15, 0
	v_cmp_gt_i64_e64 s26, s[22:23], 0
	s_cselect_b32 s25, -1, 0
	ds_load_2addr_b64 v[13:16], v1 offset1:1
	ds_load_2addr_b64 v[9:12], v1 offset0:2 offset1:3
	ds_load_2addr_b64 v[5:8], v1 offset0:4 offset1:5
	;; [unrolled: 1-line block ×3, first 2 shown]
	s_cmp_lg_u64 s[6:7], 0
	s_mov_b32 s18, 0
	s_cselect_b32 s4, -1, 0
	s_waitcnt lgkmcnt(0)
	s_or_b32 s4, s25, s4
	s_barrier
	s_and_b32 vcc_lo, exec_lo, s4
	buffer_gl0_inv
	s_cbranch_vccz .LBB1561_22
; %bb.14:
	s_add_u32 s2, s2, -8
	s_addc_u32 s3, s3, -1
	v_cndmask_b32_e64 v25, 0, 1, s26
	s_load_b64 s[4:5], s[2:3], 0x0
	s_and_b32 vcc_lo, exec_lo, s21
	ds_store_b64 v39, v[3:4]
	v_cmp_ne_u32_e64 s2, 1, v25
	s_cbranch_vccz .LBB1561_30
; %bb.15:
	v_mul_lo_u32 v19, v2, s22
	v_mul_lo_u32 v20, v1, s23
	v_mad_u64_u32 v[17:18], null, v1, s22, 0
	s_mov_b32 s3, 0
	s_and_b32 vcc_lo, exec_lo, s2
	s_mov_b32 s27, 0
	s_delay_alu instid0(VALU_DEP_1) | instskip(NEXT) | instid1(VALU_DEP_1)
	v_add3_u32 v18, v18, v20, v19
	v_lshlrev_b64 v[17:18], 2, v[17:18]
	s_cbranch_vccnz .LBB1561_33
; %bb.16:
	v_mul_lo_u32 v21, v4, s22
	v_mul_lo_u32 v22, v3, s23
	v_mad_u64_u32 v[19:20], null, v3, s22, 0
	s_mov_b32 s27, -1
	s_mov_b32 s28, exec_lo
	s_delay_alu instid0(VALU_DEP_1) | instskip(SKIP_2) | instid1(VALU_DEP_3)
	v_add3_u32 v20, v20, v22, v21
	v_add_co_u32 v21, vcc_lo, s8, v17
	v_add_co_ci_u32_e32 v22, vcc_lo, s9, v18, vcc_lo
	v_lshlrev_b64 v[19:20], 2, v[19:20]
	s_delay_alu instid0(VALU_DEP_1) | instskip(NEXT) | instid1(VALU_DEP_2)
	v_add_co_u32 v19, vcc_lo, s8, v19
	v_add_co_ci_u32_e32 v20, vcc_lo, s9, v20, vcc_lo
	s_clause 0x1
	global_load_b32 v23, v[21:22], off
	global_load_b32 v24, v[19:20], off
	s_waitcnt vmcnt(0)
	v_cmpx_eq_u32_e64 v23, v24
	s_cbranch_execz .LBB1561_32
; %bb.17:
	v_add_co_u32 v19, vcc_lo, v19, 4
	v_add_co_ci_u32_e32 v20, vcc_lo, 0, v20, vcc_lo
	v_add_co_u32 v21, vcc_lo, v21, 4
	v_add_co_ci_u32_e32 v22, vcc_lo, 0, v22, vcc_lo
	s_add_u32 s6, s22, -1
	s_addc_u32 s7, s23, -1
	s_mov_b64 s[18:19], 0
	s_mov_b32 s27, 0
                                        ; implicit-def: $sgpr29
	s_set_inst_prefetch_distance 0x1
	s_branch .LBB1561_20
	.p2align	6
.LBB1561_18:                            ;   in Loop: Header=BB1561_20 Depth=1
	global_load_b32 v23, v[21:22], off
	global_load_b32 v24, v[19:20], off
	v_add_co_u32 v19, vcc_lo, v19, 4
	v_add_co_ci_u32_e32 v20, vcc_lo, 0, v20, vcc_lo
	v_add_co_u32 v21, s2, v21, 4
	s_delay_alu instid0(VALU_DEP_1)
	v_add_co_ci_u32_e64 v22, s2, 0, v22, s2
	s_add_u32 s18, s18, 1
	s_addc_u32 s19, s19, 0
	s_and_not1_b32 s2, s29, exec_lo
	s_waitcnt vmcnt(0)
	v_cmp_ne_u32_e32 vcc_lo, v23, v24
	s_and_b32 s29, vcc_lo, exec_lo
	s_delay_alu instid0(SALU_CYCLE_1)
	s_or_b32 s29, s2, s29
.LBB1561_19:                            ;   in Loop: Header=BB1561_20 Depth=1
	v_dual_mov_b32 v24, s19 :: v_dual_mov_b32 v23, s18
	s_and_b32 s2, exec_lo, s29
	s_delay_alu instid0(SALU_CYCLE_1) | instskip(NEXT) | instid1(SALU_CYCLE_1)
	s_or_b32 s27, s2, s27
	s_and_not1_b32 exec_lo, exec_lo, s27
	s_cbranch_execz .LBB1561_31
.LBB1561_20:                            ; =>This Inner Loop Header: Depth=1
	s_or_b32 s29, s29, exec_lo
	s_cmp_eq_u64 s[6:7], s[18:19]
	s_cbranch_scc0 .LBB1561_18
; %bb.21:                               ;   in Loop: Header=BB1561_20 Depth=1
	s_mov_b64 s[18:19], s[22:23]
                                        ; implicit-def: $vgpr19_vgpr20
                                        ; implicit-def: $vgpr21_vgpr22
	s_branch .LBB1561_19
.LBB1561_22:
                                        ; implicit-def: $sgpr2
                                        ; implicit-def: $vgpr18
	s_branch .LBB1561_191
.LBB1561_23:
	global_load_b64 v[1:2], v39, s[2:3]
	s_or_b32 exec_lo, exec_lo, s4
	s_delay_alu instid0(SALU_CYCLE_1)
	s_mov_b32 s4, exec_lo
	v_cmpx_gt_u32_e64 s20, v24
	s_cbranch_execz .LBB1561_5
.LBB1561_24:
	v_lshlrev_b32_e32 v3, 3, v24
	global_load_b64 v[3:4], v3, s[2:3]
	s_or_b32 exec_lo, exec_lo, s4
	s_delay_alu instid0(SALU_CYCLE_1)
	s_mov_b32 s4, exec_lo
	v_cmpx_gt_u32_e64 s20, v22
	s_cbranch_execz .LBB1561_6
.LBB1561_25:
	v_lshlrev_b32_e32 v5, 3, v22
	global_load_b64 v[5:6], v5, s[2:3]
	s_or_b32 exec_lo, exec_lo, s4
	s_delay_alu instid0(SALU_CYCLE_1)
	s_mov_b32 s4, exec_lo
	v_cmpx_gt_u32_e64 s20, v23
	s_cbranch_execz .LBB1561_7
.LBB1561_26:
	v_lshlrev_b32_e32 v7, 3, v23
	global_load_b64 v[7:8], v7, s[2:3]
	s_or_b32 exec_lo, exec_lo, s4
	s_delay_alu instid0(SALU_CYCLE_1)
	s_mov_b32 s4, exec_lo
	v_cmpx_gt_u32_e64 s20, v21
	s_cbranch_execz .LBB1561_8
.LBB1561_27:
	v_lshlrev_b32_e32 v9, 3, v21
	global_load_b64 v[9:10], v9, s[2:3]
	s_or_b32 exec_lo, exec_lo, s4
	s_delay_alu instid0(SALU_CYCLE_1)
	s_mov_b32 s4, exec_lo
	v_cmpx_gt_u32_e64 s20, v20
	s_cbranch_execz .LBB1561_9
.LBB1561_28:
	v_lshlrev_b32_e32 v11, 3, v20
	global_load_b64 v[11:12], v11, s[2:3]
	s_or_b32 exec_lo, exec_lo, s4
	s_delay_alu instid0(SALU_CYCLE_1)
	s_mov_b32 s4, exec_lo
	v_cmpx_gt_u32_e64 s20, v19
	s_cbranch_execz .LBB1561_10
.LBB1561_29:
	v_lshlrev_b32_e32 v13, 3, v19
	global_load_b64 v[13:14], v13, s[2:3]
	s_or_b32 exec_lo, exec_lo, s4
	s_delay_alu instid0(SALU_CYCLE_1)
	s_mov_b32 s4, exec_lo
	v_cmpx_gt_u32_e64 s20, v18
	s_cbranch_execnz .LBB1561_11
	s_branch .LBB1561_12
.LBB1561_30:
                                        ; implicit-def: $sgpr2
                                        ; implicit-def: $vgpr18
	s_cbranch_execnz .LBB1561_99
	s_branch .LBB1561_190
.LBB1561_31:
	s_set_inst_prefetch_distance 0x2
	s_or_b32 exec_lo, exec_lo, s27
	v_cmp_gt_i64_e32 vcc_lo, s[22:23], v[23:24]
	s_or_not1_b32 s27, vcc_lo, exec_lo
.LBB1561_32:
	s_or_b32 exec_lo, exec_lo, s28
.LBB1561_33:
	v_mul_lo_u32 v21, v8, s22
	v_mul_lo_u32 v22, v7, s23
	v_mad_u64_u32 v[19:20], null, v7, s22, 0
	s_and_not1_b32 vcc_lo, exec_lo, s26
	s_delay_alu instid0(VALU_DEP_1) | instskip(NEXT) | instid1(VALU_DEP_1)
	v_add3_u32 v20, v20, v22, v21
	v_lshlrev_b64 v[19:20], 2, v[19:20]
	s_cbranch_vccnz .LBB1561_42
; %bb.34:
	s_delay_alu instid0(VALU_DEP_1) | instskip(NEXT) | instid1(VALU_DEP_2)
	v_add_co_u32 v21, vcc_lo, s8, v19
	v_add_co_ci_u32_e32 v22, vcc_lo, s9, v20, vcc_lo
	v_add_co_u32 v17, vcc_lo, s8, v17
	v_add_co_ci_u32_e32 v18, vcc_lo, s9, v18, vcc_lo
	s_mov_b32 s3, -1
	s_clause 0x1
	global_load_b32 v23, v[21:22], off
	global_load_b32 v24, v[17:18], off
	s_mov_b32 s28, exec_lo
	s_waitcnt vmcnt(0)
	v_cmpx_eq_u32_e64 v23, v24
	s_cbranch_execz .LBB1561_41
; %bb.35:
	v_add_co_u32 v17, vcc_lo, v17, 4
	v_add_co_ci_u32_e32 v18, vcc_lo, 0, v18, vcc_lo
	v_add_co_u32 v21, vcc_lo, v21, 4
	v_add_co_ci_u32_e32 v22, vcc_lo, 0, v22, vcc_lo
	s_add_u32 s6, s22, -1
	s_addc_u32 s7, s23, -1
	s_mov_b64 s[18:19], 0
	s_mov_b32 s3, 0
                                        ; implicit-def: $sgpr29
	s_set_inst_prefetch_distance 0x1
	s_branch .LBB1561_38
	.p2align	6
.LBB1561_36:                            ;   in Loop: Header=BB1561_38 Depth=1
	global_load_b32 v23, v[21:22], off
	global_load_b32 v24, v[17:18], off
	v_add_co_u32 v17, vcc_lo, v17, 4
	v_add_co_ci_u32_e32 v18, vcc_lo, 0, v18, vcc_lo
	v_add_co_u32 v21, s2, v21, 4
	s_delay_alu instid0(VALU_DEP_1)
	v_add_co_ci_u32_e64 v22, s2, 0, v22, s2
	s_add_u32 s18, s18, 1
	s_addc_u32 s19, s19, 0
	s_and_not1_b32 s2, s29, exec_lo
	s_waitcnt vmcnt(0)
	v_cmp_ne_u32_e32 vcc_lo, v23, v24
	s_and_b32 s29, vcc_lo, exec_lo
	s_delay_alu instid0(SALU_CYCLE_1)
	s_or_b32 s29, s2, s29
.LBB1561_37:                            ;   in Loop: Header=BB1561_38 Depth=1
	v_dual_mov_b32 v24, s19 :: v_dual_mov_b32 v23, s18
	s_and_b32 s2, exec_lo, s29
	s_delay_alu instid0(SALU_CYCLE_1) | instskip(NEXT) | instid1(SALU_CYCLE_1)
	s_or_b32 s3, s2, s3
	s_and_not1_b32 exec_lo, exec_lo, s3
	s_cbranch_execz .LBB1561_40
.LBB1561_38:                            ; =>This Inner Loop Header: Depth=1
	s_or_b32 s29, s29, exec_lo
	s_cmp_eq_u64 s[6:7], s[18:19]
	s_cbranch_scc0 .LBB1561_36
; %bb.39:                               ;   in Loop: Header=BB1561_38 Depth=1
	s_mov_b64 s[18:19], s[22:23]
                                        ; implicit-def: $vgpr17_vgpr18
                                        ; implicit-def: $vgpr21_vgpr22
	s_branch .LBB1561_37
.LBB1561_40:
	s_set_inst_prefetch_distance 0x2
	s_or_b32 exec_lo, exec_lo, s3
	v_cmp_gt_i64_e32 vcc_lo, s[22:23], v[23:24]
	s_or_not1_b32 s3, vcc_lo, exec_lo
.LBB1561_41:
	s_or_b32 exec_lo, exec_lo, s28
.LBB1561_42:
	v_mul_lo_u32 v21, v6, s22
	v_mul_lo_u32 v22, v5, s23
	v_mad_u64_u32 v[17:18], null, v5, s22, 0
	s_mov_b32 s28, 0
	s_and_not1_b32 vcc_lo, exec_lo, s26
	s_mov_b32 s29, 0
	s_delay_alu instid0(VALU_DEP_1) | instskip(NEXT) | instid1(VALU_DEP_1)
	v_add3_u32 v18, v18, v22, v21
	v_lshlrev_b64 v[21:22], 2, v[17:18]
	s_cbranch_vccnz .LBB1561_51
; %bb.43:
	s_delay_alu instid0(VALU_DEP_1) | instskip(NEXT) | instid1(VALU_DEP_2)
	v_add_co_u32 v23, vcc_lo, s8, v21
	v_add_co_ci_u32_e32 v24, vcc_lo, s9, v22, vcc_lo
	v_add_co_u32 v17, vcc_lo, s8, v19
	v_add_co_ci_u32_e32 v18, vcc_lo, s9, v20, vcc_lo
	s_mov_b32 s29, -1
	s_clause 0x1
	global_load_b32 v19, v[23:24], off
	global_load_b32 v20, v[17:18], off
	s_mov_b32 s30, exec_lo
	s_waitcnt vmcnt(0)
	v_cmpx_eq_u32_e64 v19, v20
	s_cbranch_execz .LBB1561_50
; %bb.44:
	v_add_co_u32 v17, vcc_lo, v17, 4
	v_add_co_ci_u32_e32 v18, vcc_lo, 0, v18, vcc_lo
	v_add_co_u32 v19, vcc_lo, v23, 4
	v_add_co_ci_u32_e32 v20, vcc_lo, 0, v24, vcc_lo
	s_add_u32 s6, s22, -1
	s_addc_u32 s7, s23, -1
	s_mov_b64 s[18:19], 0
	s_mov_b32 s29, 0
                                        ; implicit-def: $sgpr31
	s_set_inst_prefetch_distance 0x1
	s_branch .LBB1561_47
	.p2align	6
.LBB1561_45:                            ;   in Loop: Header=BB1561_47 Depth=1
	global_load_b32 v23, v[19:20], off
	global_load_b32 v24, v[17:18], off
	v_add_co_u32 v17, vcc_lo, v17, 4
	v_add_co_ci_u32_e32 v18, vcc_lo, 0, v18, vcc_lo
	v_add_co_u32 v19, s2, v19, 4
	s_delay_alu instid0(VALU_DEP_1)
	v_add_co_ci_u32_e64 v20, s2, 0, v20, s2
	s_add_u32 s18, s18, 1
	s_addc_u32 s19, s19, 0
	s_and_not1_b32 s2, s31, exec_lo
	s_waitcnt vmcnt(0)
	v_cmp_ne_u32_e32 vcc_lo, v23, v24
	s_and_b32 s31, vcc_lo, exec_lo
	s_delay_alu instid0(SALU_CYCLE_1)
	s_or_b32 s31, s2, s31
.LBB1561_46:                            ;   in Loop: Header=BB1561_47 Depth=1
	v_dual_mov_b32 v24, s19 :: v_dual_mov_b32 v23, s18
	s_and_b32 s2, exec_lo, s31
	s_delay_alu instid0(SALU_CYCLE_1) | instskip(NEXT) | instid1(SALU_CYCLE_1)
	s_or_b32 s29, s2, s29
	s_and_not1_b32 exec_lo, exec_lo, s29
	s_cbranch_execz .LBB1561_49
.LBB1561_47:                            ; =>This Inner Loop Header: Depth=1
	s_or_b32 s31, s31, exec_lo
	s_cmp_eq_u64 s[6:7], s[18:19]
	s_cbranch_scc0 .LBB1561_45
; %bb.48:                               ;   in Loop: Header=BB1561_47 Depth=1
	s_mov_b64 s[18:19], s[22:23]
                                        ; implicit-def: $vgpr17_vgpr18
                                        ; implicit-def: $vgpr19_vgpr20
	s_branch .LBB1561_46
.LBB1561_49:
	s_set_inst_prefetch_distance 0x2
	s_or_b32 exec_lo, exec_lo, s29
	v_cmp_gt_i64_e32 vcc_lo, s[22:23], v[23:24]
	s_or_not1_b32 s29, vcc_lo, exec_lo
.LBB1561_50:
	s_or_b32 exec_lo, exec_lo, s30
.LBB1561_51:
	v_mul_lo_u32 v19, v12, s22
	v_mul_lo_u32 v20, v11, s23
	v_mad_u64_u32 v[17:18], null, v11, s22, 0
	s_and_not1_b32 vcc_lo, exec_lo, s26
	s_delay_alu instid0(VALU_DEP_1) | instskip(NEXT) | instid1(VALU_DEP_1)
	v_add3_u32 v18, v18, v20, v19
	v_lshlrev_b64 v[17:18], 2, v[17:18]
	s_cbranch_vccnz .LBB1561_60
; %bb.52:
	s_delay_alu instid0(VALU_DEP_1) | instskip(NEXT) | instid1(VALU_DEP_2)
	v_add_co_u32 v23, vcc_lo, s8, v17
	v_add_co_ci_u32_e32 v24, vcc_lo, s9, v18, vcc_lo
	v_add_co_u32 v19, vcc_lo, s8, v21
	v_add_co_ci_u32_e32 v20, vcc_lo, s9, v22, vcc_lo
	s_mov_b32 s28, -1
	s_clause 0x1
	global_load_b32 v21, v[23:24], off
	global_load_b32 v22, v[19:20], off
	s_mov_b32 s30, exec_lo
	s_waitcnt vmcnt(0)
	v_cmpx_eq_u32_e64 v21, v22
	s_cbranch_execz .LBB1561_59
; %bb.53:
	v_add_co_u32 v19, vcc_lo, v19, 4
	v_add_co_ci_u32_e32 v20, vcc_lo, 0, v20, vcc_lo
	v_add_co_u32 v21, vcc_lo, v23, 4
	v_add_co_ci_u32_e32 v22, vcc_lo, 0, v24, vcc_lo
	s_add_u32 s6, s22, -1
	s_addc_u32 s7, s23, -1
	s_mov_b64 s[18:19], 0
	s_mov_b32 s28, 0
                                        ; implicit-def: $sgpr31
	s_set_inst_prefetch_distance 0x1
	s_branch .LBB1561_56
	.p2align	6
.LBB1561_54:                            ;   in Loop: Header=BB1561_56 Depth=1
	global_load_b32 v23, v[21:22], off
	global_load_b32 v24, v[19:20], off
	v_add_co_u32 v19, vcc_lo, v19, 4
	v_add_co_ci_u32_e32 v20, vcc_lo, 0, v20, vcc_lo
	v_add_co_u32 v21, s2, v21, 4
	s_delay_alu instid0(VALU_DEP_1)
	v_add_co_ci_u32_e64 v22, s2, 0, v22, s2
	s_add_u32 s18, s18, 1
	s_addc_u32 s19, s19, 0
	s_and_not1_b32 s2, s31, exec_lo
	s_waitcnt vmcnt(0)
	v_cmp_ne_u32_e32 vcc_lo, v23, v24
	s_and_b32 s31, vcc_lo, exec_lo
	s_delay_alu instid0(SALU_CYCLE_1)
	s_or_b32 s31, s2, s31
.LBB1561_55:                            ;   in Loop: Header=BB1561_56 Depth=1
	v_dual_mov_b32 v24, s19 :: v_dual_mov_b32 v23, s18
	s_and_b32 s2, exec_lo, s31
	s_delay_alu instid0(SALU_CYCLE_1) | instskip(NEXT) | instid1(SALU_CYCLE_1)
	s_or_b32 s28, s2, s28
	s_and_not1_b32 exec_lo, exec_lo, s28
	s_cbranch_execz .LBB1561_58
.LBB1561_56:                            ; =>This Inner Loop Header: Depth=1
	s_or_b32 s31, s31, exec_lo
	s_cmp_eq_u64 s[6:7], s[18:19]
	s_cbranch_scc0 .LBB1561_54
; %bb.57:                               ;   in Loop: Header=BB1561_56 Depth=1
	s_mov_b64 s[18:19], s[22:23]
                                        ; implicit-def: $vgpr19_vgpr20
                                        ; implicit-def: $vgpr21_vgpr22
	s_branch .LBB1561_55
.LBB1561_58:
	s_set_inst_prefetch_distance 0x2
	s_or_b32 exec_lo, exec_lo, s28
	v_cmp_gt_i64_e32 vcc_lo, s[22:23], v[23:24]
	s_or_not1_b32 s28, vcc_lo, exec_lo
.LBB1561_59:
	s_or_b32 exec_lo, exec_lo, s30
.LBB1561_60:
	v_mul_lo_u32 v21, v10, s22
	v_mul_lo_u32 v22, v9, s23
	v_mad_u64_u32 v[19:20], null, v9, s22, 0
	s_mov_b32 s30, 0
	s_and_not1_b32 vcc_lo, exec_lo, s26
	s_mov_b32 s31, 0
	s_delay_alu instid0(VALU_DEP_1) | instskip(NEXT) | instid1(VALU_DEP_1)
	v_add3_u32 v20, v20, v22, v21
	v_lshlrev_b64 v[21:22], 2, v[19:20]
	s_cbranch_vccnz .LBB1561_69
; %bb.61:
	s_delay_alu instid0(VALU_DEP_1) | instskip(NEXT) | instid1(VALU_DEP_2)
	v_add_co_u32 v19, vcc_lo, s8, v21
	v_add_co_ci_u32_e32 v20, vcc_lo, s9, v22, vcc_lo
	v_add_co_u32 v17, vcc_lo, s8, v17
	v_add_co_ci_u32_e32 v18, vcc_lo, s9, v18, vcc_lo
	s_mov_b32 s31, -1
	s_clause 0x1
	global_load_b32 v23, v[19:20], off
	global_load_b32 v24, v[17:18], off
	s_mov_b32 s33, exec_lo
	s_waitcnt vmcnt(0)
	v_cmpx_eq_u32_e64 v23, v24
	s_cbranch_execz .LBB1561_68
; %bb.62:
	v_add_co_u32 v17, vcc_lo, v17, 4
	v_add_co_ci_u32_e32 v18, vcc_lo, 0, v18, vcc_lo
	v_add_co_u32 v19, vcc_lo, v19, 4
	v_add_co_ci_u32_e32 v20, vcc_lo, 0, v20, vcc_lo
	s_add_u32 s6, s22, -1
	s_addc_u32 s7, s23, -1
	s_mov_b64 s[18:19], 0
	s_mov_b32 s31, 0
                                        ; implicit-def: $sgpr34
	s_set_inst_prefetch_distance 0x1
	s_branch .LBB1561_65
	.p2align	6
.LBB1561_63:                            ;   in Loop: Header=BB1561_65 Depth=1
	global_load_b32 v23, v[19:20], off
	global_load_b32 v24, v[17:18], off
	v_add_co_u32 v17, vcc_lo, v17, 4
	v_add_co_ci_u32_e32 v18, vcc_lo, 0, v18, vcc_lo
	v_add_co_u32 v19, s2, v19, 4
	s_delay_alu instid0(VALU_DEP_1)
	v_add_co_ci_u32_e64 v20, s2, 0, v20, s2
	s_add_u32 s18, s18, 1
	s_addc_u32 s19, s19, 0
	s_and_not1_b32 s2, s34, exec_lo
	s_waitcnt vmcnt(0)
	v_cmp_ne_u32_e32 vcc_lo, v23, v24
	s_and_b32 s34, vcc_lo, exec_lo
	s_delay_alu instid0(SALU_CYCLE_1)
	s_or_b32 s34, s2, s34
.LBB1561_64:                            ;   in Loop: Header=BB1561_65 Depth=1
	v_dual_mov_b32 v24, s19 :: v_dual_mov_b32 v23, s18
	s_and_b32 s2, exec_lo, s34
	s_delay_alu instid0(SALU_CYCLE_1) | instskip(NEXT) | instid1(SALU_CYCLE_1)
	s_or_b32 s31, s2, s31
	s_and_not1_b32 exec_lo, exec_lo, s31
	s_cbranch_execz .LBB1561_67
.LBB1561_65:                            ; =>This Inner Loop Header: Depth=1
	s_or_b32 s34, s34, exec_lo
	s_cmp_eq_u64 s[6:7], s[18:19]
	s_cbranch_scc0 .LBB1561_63
; %bb.66:                               ;   in Loop: Header=BB1561_65 Depth=1
	s_mov_b64 s[18:19], s[22:23]
                                        ; implicit-def: $vgpr17_vgpr18
                                        ; implicit-def: $vgpr19_vgpr20
	s_branch .LBB1561_64
.LBB1561_67:
	s_set_inst_prefetch_distance 0x2
	s_or_b32 exec_lo, exec_lo, s31
	v_cmp_gt_i64_e32 vcc_lo, s[22:23], v[23:24]
	s_or_not1_b32 s31, vcc_lo, exec_lo
.LBB1561_68:
	s_or_b32 exec_lo, exec_lo, s33
.LBB1561_69:
	v_mul_lo_u32 v19, v16, s22
	v_mul_lo_u32 v20, v15, s23
	v_mad_u64_u32 v[17:18], null, v15, s22, 0
	s_and_not1_b32 vcc_lo, exec_lo, s26
	s_delay_alu instid0(VALU_DEP_1) | instskip(NEXT) | instid1(VALU_DEP_1)
	v_add3_u32 v18, v18, v20, v19
	v_lshlrev_b64 v[19:20], 2, v[17:18]
	s_cbranch_vccnz .LBB1561_78
; %bb.70:
	s_delay_alu instid0(VALU_DEP_1) | instskip(NEXT) | instid1(VALU_DEP_2)
	v_add_co_u32 v23, vcc_lo, s8, v19
	v_add_co_ci_u32_e32 v24, vcc_lo, s9, v20, vcc_lo
	v_add_co_u32 v17, vcc_lo, s8, v21
	v_add_co_ci_u32_e32 v18, vcc_lo, s9, v22, vcc_lo
	s_mov_b32 s30, -1
	s_clause 0x1
	global_load_b32 v21, v[23:24], off
	global_load_b32 v22, v[17:18], off
	s_mov_b32 s33, exec_lo
	s_waitcnt vmcnt(0)
	v_cmpx_eq_u32_e64 v21, v22
	s_cbranch_execz .LBB1561_77
; %bb.71:
	v_add_co_u32 v17, vcc_lo, v17, 4
	v_add_co_ci_u32_e32 v18, vcc_lo, 0, v18, vcc_lo
	v_add_co_u32 v21, vcc_lo, v23, 4
	v_add_co_ci_u32_e32 v22, vcc_lo, 0, v24, vcc_lo
	s_add_u32 s6, s22, -1
	s_addc_u32 s7, s23, -1
	s_mov_b64 s[18:19], 0
	s_mov_b32 s30, 0
                                        ; implicit-def: $sgpr34
	s_set_inst_prefetch_distance 0x1
	s_branch .LBB1561_74
	.p2align	6
.LBB1561_72:                            ;   in Loop: Header=BB1561_74 Depth=1
	global_load_b32 v23, v[21:22], off
	global_load_b32 v24, v[17:18], off
	v_add_co_u32 v17, vcc_lo, v17, 4
	v_add_co_ci_u32_e32 v18, vcc_lo, 0, v18, vcc_lo
	v_add_co_u32 v21, s2, v21, 4
	s_delay_alu instid0(VALU_DEP_1)
	v_add_co_ci_u32_e64 v22, s2, 0, v22, s2
	s_add_u32 s18, s18, 1
	s_addc_u32 s19, s19, 0
	s_and_not1_b32 s2, s34, exec_lo
	s_waitcnt vmcnt(0)
	v_cmp_ne_u32_e32 vcc_lo, v23, v24
	s_and_b32 s34, vcc_lo, exec_lo
	s_delay_alu instid0(SALU_CYCLE_1)
	s_or_b32 s34, s2, s34
.LBB1561_73:                            ;   in Loop: Header=BB1561_74 Depth=1
	v_dual_mov_b32 v24, s19 :: v_dual_mov_b32 v23, s18
	s_and_b32 s2, exec_lo, s34
	s_delay_alu instid0(SALU_CYCLE_1) | instskip(NEXT) | instid1(SALU_CYCLE_1)
	s_or_b32 s30, s2, s30
	s_and_not1_b32 exec_lo, exec_lo, s30
	s_cbranch_execz .LBB1561_76
.LBB1561_74:                            ; =>This Inner Loop Header: Depth=1
	s_or_b32 s34, s34, exec_lo
	s_cmp_eq_u64 s[6:7], s[18:19]
	s_cbranch_scc0 .LBB1561_72
; %bb.75:                               ;   in Loop: Header=BB1561_74 Depth=1
	s_mov_b64 s[18:19], s[22:23]
                                        ; implicit-def: $vgpr17_vgpr18
                                        ; implicit-def: $vgpr21_vgpr22
	s_branch .LBB1561_73
.LBB1561_76:
	s_set_inst_prefetch_distance 0x2
	s_or_b32 exec_lo, exec_lo, s30
	v_cmp_gt_i64_e32 vcc_lo, s[22:23], v[23:24]
	s_or_not1_b32 s30, vcc_lo, exec_lo
.LBB1561_77:
	s_or_b32 exec_lo, exec_lo, s33
.LBB1561_78:
	v_mul_lo_u32 v21, v14, s22
	v_mul_lo_u32 v22, v13, s23
	v_mad_u64_u32 v[17:18], null, v13, s22, 0
	s_and_not1_b32 vcc_lo, exec_lo, s26
	s_mov_b32 s2, 0
	s_delay_alu instid0(VALU_DEP_1) | instskip(NEXT) | instid1(VALU_DEP_1)
	v_add3_u32 v18, v18, v22, v21
	v_lshlrev_b64 v[17:18], 2, v[17:18]
	s_cbranch_vccnz .LBB1561_87
; %bb.79:
	s_delay_alu instid0(VALU_DEP_1) | instskip(NEXT) | instid1(VALU_DEP_2)
	v_add_co_u32 v21, vcc_lo, s8, v17
	v_add_co_ci_u32_e32 v22, vcc_lo, s9, v18, vcc_lo
	v_add_co_u32 v19, vcc_lo, s8, v19
	v_add_co_ci_u32_e32 v20, vcc_lo, s9, v20, vcc_lo
	s_mov_b32 s2, -1
	s_clause 0x1
	global_load_b32 v23, v[21:22], off
	global_load_b32 v24, v[19:20], off
	s_mov_b32 s33, exec_lo
	s_waitcnt vmcnt(0)
	v_cmpx_eq_u32_e64 v23, v24
	s_cbranch_execz .LBB1561_86
; %bb.80:
	v_add_co_u32 v19, vcc_lo, v19, 4
	v_add_co_ci_u32_e32 v20, vcc_lo, 0, v20, vcc_lo
	v_add_co_u32 v21, vcc_lo, v21, 4
	v_add_co_ci_u32_e32 v22, vcc_lo, 0, v22, vcc_lo
	s_add_u32 s6, s22, -1
	s_addc_u32 s7, s23, -1
	s_mov_b64 s[18:19], 0
	s_mov_b32 s34, 0
                                        ; implicit-def: $sgpr35
	s_set_inst_prefetch_distance 0x1
	s_branch .LBB1561_83
	.p2align	6
.LBB1561_81:                            ;   in Loop: Header=BB1561_83 Depth=1
	global_load_b32 v23, v[21:22], off
	global_load_b32 v24, v[19:20], off
	v_add_co_u32 v19, vcc_lo, v19, 4
	v_add_co_ci_u32_e32 v20, vcc_lo, 0, v20, vcc_lo
	v_add_co_u32 v21, s2, v21, 4
	s_delay_alu instid0(VALU_DEP_1)
	v_add_co_ci_u32_e64 v22, s2, 0, v22, s2
	s_add_u32 s18, s18, 1
	s_addc_u32 s19, s19, 0
	s_and_not1_b32 s2, s35, exec_lo
	s_waitcnt vmcnt(0)
	v_cmp_ne_u32_e32 vcc_lo, v23, v24
	s_and_b32 s35, vcc_lo, exec_lo
	s_delay_alu instid0(SALU_CYCLE_1)
	s_or_b32 s35, s2, s35
.LBB1561_82:                            ;   in Loop: Header=BB1561_83 Depth=1
	v_dual_mov_b32 v24, s19 :: v_dual_mov_b32 v23, s18
	s_and_b32 s2, exec_lo, s35
	s_delay_alu instid0(SALU_CYCLE_1) | instskip(NEXT) | instid1(SALU_CYCLE_1)
	s_or_b32 s34, s2, s34
	s_and_not1_b32 exec_lo, exec_lo, s34
	s_cbranch_execz .LBB1561_85
.LBB1561_83:                            ; =>This Inner Loop Header: Depth=1
	s_or_b32 s35, s35, exec_lo
	s_cmp_eq_u64 s[6:7], s[18:19]
	s_cbranch_scc0 .LBB1561_81
; %bb.84:                               ;   in Loop: Header=BB1561_83 Depth=1
	s_mov_b64 s[18:19], s[22:23]
                                        ; implicit-def: $vgpr19_vgpr20
                                        ; implicit-def: $vgpr21_vgpr22
	s_branch .LBB1561_82
.LBB1561_85:
	s_set_inst_prefetch_distance 0x2
	s_or_b32 exec_lo, exec_lo, s34
	v_cmp_gt_i64_e32 vcc_lo, s[22:23], v[23:24]
	s_or_not1_b32 s2, vcc_lo, exec_lo
.LBB1561_86:
	s_or_b32 exec_lo, exec_lo, s33
.LBB1561_87:
	s_waitcnt lgkmcnt(0)
	v_dual_mov_b32 v20, s5 :: v_dual_mov_b32 v19, s4
	s_mov_b32 s6, exec_lo
	s_barrier
	buffer_gl0_inv
	v_cmpx_ne_u32_e32 0, v0
	s_cbranch_execz .LBB1561_89
; %bb.88:
	v_add_nc_u32_e32 v19, -8, v39
	ds_load_b64 v[19:20], v19
.LBB1561_89:
	s_or_b32 exec_lo, exec_lo, s6
	v_cndmask_b32_e64 v22, 0, 1, s31
	v_cndmask_b32_e64 v24, 0, 1, s29
	;; [unrolled: 1-line block ×7, first 2 shown]
	v_lshlrev_b16 v22, 8, v22
	v_lshlrev_b16 v24, 8, v24
	;; [unrolled: 1-line block ×4, first 2 shown]
	s_mov_b32 s3, 0
	v_or_b32_e32 v21, v21, v22
	v_or_b32_e32 v22, v23, v24
	;; [unrolled: 1-line block ×3, first 2 shown]
	v_and_b32_e32 v23, 0xffff, v27
	s_and_not1_b32 vcc_lo, exec_lo, s26
	v_lshlrev_b32_e32 v24, 16, v21
	v_and_b32_e32 v26, 0xffff, v22
	v_lshlrev_b32_e32 v27, 16, v28
	s_mov_b32 s2, 0
	s_cbranch_vccnz .LBB1561_98
; %bb.90:
	s_waitcnt lgkmcnt(0)
	v_mul_lo_u32 v22, v20, s22
	v_mul_lo_u32 v28, v19, s23
	v_mad_u64_u32 v[20:21], null, v19, s22, 0
	s_mov_b32 s2, -1
	s_mov_b32 s27, exec_lo
	s_delay_alu instid0(VALU_DEP_1) | instskip(NEXT) | instid1(VALU_DEP_1)
	v_add3_u32 v21, v21, v28, v22
	v_lshlrev_b64 v[19:20], 2, v[20:21]
	s_delay_alu instid0(VALU_DEP_1) | instskip(NEXT) | instid1(VALU_DEP_2)
	v_add_co_u32 v19, vcc_lo, s8, v19
	v_add_co_ci_u32_e32 v20, vcc_lo, s9, v20, vcc_lo
	v_add_co_u32 v17, vcc_lo, s8, v17
	v_add_co_ci_u32_e32 v18, vcc_lo, s9, v18, vcc_lo
	s_clause 0x1
	global_load_b32 v21, v[19:20], off
	global_load_b32 v22, v[17:18], off
	s_waitcnt vmcnt(0)
	v_cmpx_eq_u32_e64 v21, v22
	s_cbranch_execz .LBB1561_97
; %bb.91:
	v_add_co_u32 v17, vcc_lo, v17, 4
	v_add_co_ci_u32_e32 v18, vcc_lo, 0, v18, vcc_lo
	v_add_co_u32 v19, vcc_lo, v19, 4
	v_add_co_ci_u32_e32 v20, vcc_lo, 0, v20, vcc_lo
	s_add_u32 s6, s22, -1
	s_addc_u32 s7, s23, -1
	s_mov_b64 s[18:19], 0
	s_mov_b32 s28, 0
                                        ; implicit-def: $sgpr29
	s_set_inst_prefetch_distance 0x1
	s_branch .LBB1561_94
	.p2align	6
.LBB1561_92:                            ;   in Loop: Header=BB1561_94 Depth=1
	global_load_b32 v21, v[19:20], off
	global_load_b32 v22, v[17:18], off
	v_add_co_u32 v17, vcc_lo, v17, 4
	v_add_co_ci_u32_e32 v18, vcc_lo, 0, v18, vcc_lo
	v_add_co_u32 v19, s2, v19, 4
	s_delay_alu instid0(VALU_DEP_1)
	v_add_co_ci_u32_e64 v20, s2, 0, v20, s2
	s_add_u32 s18, s18, 1
	s_addc_u32 s19, s19, 0
	s_and_not1_b32 s2, s29, exec_lo
	s_waitcnt vmcnt(0)
	v_cmp_ne_u32_e32 vcc_lo, v21, v22
	s_and_b32 s29, vcc_lo, exec_lo
	s_delay_alu instid0(SALU_CYCLE_1)
	s_or_b32 s29, s2, s29
.LBB1561_93:                            ;   in Loop: Header=BB1561_94 Depth=1
	v_dual_mov_b32 v22, s19 :: v_dual_mov_b32 v21, s18
	s_and_b32 s2, exec_lo, s29
	s_delay_alu instid0(SALU_CYCLE_1) | instskip(NEXT) | instid1(SALU_CYCLE_1)
	s_or_b32 s28, s2, s28
	s_and_not1_b32 exec_lo, exec_lo, s28
	s_cbranch_execz .LBB1561_96
.LBB1561_94:                            ; =>This Inner Loop Header: Depth=1
	s_or_b32 s29, s29, exec_lo
	s_cmp_eq_u64 s[6:7], s[18:19]
	s_cbranch_scc0 .LBB1561_92
; %bb.95:                               ;   in Loop: Header=BB1561_94 Depth=1
	s_mov_b64 s[18:19], s[22:23]
                                        ; implicit-def: $vgpr17_vgpr18
                                        ; implicit-def: $vgpr19_vgpr20
	s_branch .LBB1561_93
.LBB1561_96:
	s_set_inst_prefetch_distance 0x2
	s_or_b32 exec_lo, exec_lo, s28
	v_cmp_gt_i64_e32 vcc_lo, s[22:23], v[21:22]
	s_or_not1_b32 s2, vcc_lo, exec_lo
.LBB1561_97:
	s_or_b32 exec_lo, exec_lo, s27
.LBB1561_98:
	v_or_b32_e32 v17, v23, v24
	s_delay_alu instid0(VALU_DEP_2)
	v_or_b32_e32 v18, v26, v27
	s_and_b32 vcc_lo, exec_lo, s3
	s_cbranch_vccz .LBB1561_190
.LBB1561_99:
	v_or_b32_e32 v17, 7, v39
	s_mov_b32 s3, 0
	s_mov_b32 s27, 0
	s_mov_b32 s28, exec_lo
	s_delay_alu instid0(VALU_DEP_1)
	v_cmpx_gt_u32_e64 s20, v17
	s_cbranch_execz .LBB1561_110
; %bb.100:
	s_and_not1_b32 vcc_lo, exec_lo, s26
	s_mov_b32 s2, 0
	s_cbranch_vccnz .LBB1561_109
; %bb.101:
	v_mul_lo_u32 v21, v2, s22
	v_mul_lo_u32 v22, v1, s23
	v_mad_u64_u32 v[17:18], null, v1, s22, 0
	v_mul_lo_u32 v23, v4, s22
	v_mul_lo_u32 v24, v3, s23
	s_waitcnt lgkmcnt(0)
	v_mad_u64_u32 v[19:20], null, v3, s22, 0
	s_mov_b32 s2, -1
	s_mov_b32 s26, exec_lo
	s_delay_alu instid0(VALU_DEP_4) | instskip(NEXT) | instid1(VALU_DEP_2)
	v_add3_u32 v18, v18, v22, v21
	v_add3_u32 v20, v20, v24, v23
	s_delay_alu instid0(VALU_DEP_2) | instskip(NEXT) | instid1(VALU_DEP_2)
	v_lshlrev_b64 v[17:18], 2, v[17:18]
	v_lshlrev_b64 v[21:22], 2, v[19:20]
	s_delay_alu instid0(VALU_DEP_2) | instskip(NEXT) | instid1(VALU_DEP_3)
	v_add_co_u32 v19, vcc_lo, s8, v17
	v_add_co_ci_u32_e32 v20, vcc_lo, s9, v18, vcc_lo
	s_delay_alu instid0(VALU_DEP_3) | instskip(NEXT) | instid1(VALU_DEP_4)
	v_add_co_u32 v17, vcc_lo, s8, v21
	v_add_co_ci_u32_e32 v18, vcc_lo, s9, v22, vcc_lo
	s_clause 0x1
	global_load_b32 v21, v[19:20], off
	global_load_b32 v22, v[17:18], off
	s_waitcnt vmcnt(0)
	v_cmpx_eq_u32_e64 v21, v22
	s_cbranch_execz .LBB1561_108
; %bb.102:
	v_add_co_u32 v17, vcc_lo, v17, 4
	v_add_co_ci_u32_e32 v18, vcc_lo, 0, v18, vcc_lo
	v_add_co_u32 v19, vcc_lo, v19, 4
	v_add_co_ci_u32_e32 v20, vcc_lo, 0, v20, vcc_lo
	s_add_u32 s6, s22, -1
	s_addc_u32 s7, s23, -1
	s_mov_b64 s[18:19], 0
                                        ; implicit-def: $sgpr29
	s_set_inst_prefetch_distance 0x1
	s_branch .LBB1561_105
	.p2align	6
.LBB1561_103:                           ;   in Loop: Header=BB1561_105 Depth=1
	global_load_b32 v21, v[19:20], off
	global_load_b32 v22, v[17:18], off
	v_add_co_u32 v17, vcc_lo, v17, 4
	v_add_co_ci_u32_e32 v18, vcc_lo, 0, v18, vcc_lo
	v_add_co_u32 v19, s2, v19, 4
	s_delay_alu instid0(VALU_DEP_1)
	v_add_co_ci_u32_e64 v20, s2, 0, v20, s2
	s_add_u32 s18, s18, 1
	s_addc_u32 s19, s19, 0
	s_and_not1_b32 s2, s29, exec_lo
	s_waitcnt vmcnt(0)
	v_cmp_ne_u32_e32 vcc_lo, v21, v22
	s_and_b32 s29, vcc_lo, exec_lo
	s_delay_alu instid0(SALU_CYCLE_1)
	s_or_b32 s29, s2, s29
.LBB1561_104:                           ;   in Loop: Header=BB1561_105 Depth=1
	v_dual_mov_b32 v22, s19 :: v_dual_mov_b32 v21, s18
	s_and_b32 s2, exec_lo, s29
	s_delay_alu instid0(SALU_CYCLE_1) | instskip(NEXT) | instid1(SALU_CYCLE_1)
	s_or_b32 s27, s2, s27
	s_and_not1_b32 exec_lo, exec_lo, s27
	s_cbranch_execz .LBB1561_107
.LBB1561_105:                           ; =>This Inner Loop Header: Depth=1
	s_or_b32 s29, s29, exec_lo
	s_cmp_eq_u64 s[6:7], s[18:19]
	s_cbranch_scc0 .LBB1561_103
; %bb.106:                              ;   in Loop: Header=BB1561_105 Depth=1
	s_mov_b64 s[18:19], s[22:23]
                                        ; implicit-def: $vgpr17_vgpr18
                                        ; implicit-def: $vgpr19_vgpr20
	s_branch .LBB1561_104
.LBB1561_107:
	s_set_inst_prefetch_distance 0x2
	s_or_b32 exec_lo, exec_lo, s27
	v_cmp_gt_i64_e32 vcc_lo, s[22:23], v[21:22]
	s_or_not1_b32 s2, vcc_lo, exec_lo
.LBB1561_108:
	s_or_b32 exec_lo, exec_lo, s26
.LBB1561_109:
	s_delay_alu instid0(SALU_CYCLE_1)
	s_and_b32 s27, s2, exec_lo
.LBB1561_110:
	s_or_b32 exec_lo, exec_lo, s28
	v_or_b32_e32 v17, 6, v39
	s_mov_b32 s26, exec_lo
	s_delay_alu instid0(VALU_DEP_1)
	v_cmpx_gt_u32_e64 s20, v17
	s_cbranch_execz .LBB1561_121
; %bb.111:
	v_cmp_ne_u32_e32 vcc_lo, 1, v25
	s_mov_b32 s2, 0
	s_cbranch_vccnz .LBB1561_120
; %bb.112:
	v_mul_lo_u32 v21, v8, s22
	v_mul_lo_u32 v22, v7, s23
	v_mad_u64_u32 v[17:18], null, v7, s22, 0
	v_mul_lo_u32 v23, v2, s22
	v_mul_lo_u32 v24, v1, s23
	s_waitcnt lgkmcnt(0)
	v_mad_u64_u32 v[19:20], null, v1, s22, 0
	s_mov_b32 s2, -1
	s_mov_b32 s3, exec_lo
	s_delay_alu instid0(VALU_DEP_4) | instskip(NEXT) | instid1(VALU_DEP_2)
	v_add3_u32 v18, v18, v22, v21
	v_add3_u32 v20, v20, v24, v23
	s_delay_alu instid0(VALU_DEP_2) | instskip(NEXT) | instid1(VALU_DEP_2)
	v_lshlrev_b64 v[17:18], 2, v[17:18]
	v_lshlrev_b64 v[21:22], 2, v[19:20]
	s_delay_alu instid0(VALU_DEP_2) | instskip(NEXT) | instid1(VALU_DEP_3)
	v_add_co_u32 v19, vcc_lo, s8, v17
	v_add_co_ci_u32_e32 v20, vcc_lo, s9, v18, vcc_lo
	s_delay_alu instid0(VALU_DEP_3) | instskip(NEXT) | instid1(VALU_DEP_4)
	v_add_co_u32 v17, vcc_lo, s8, v21
	v_add_co_ci_u32_e32 v18, vcc_lo, s9, v22, vcc_lo
	s_clause 0x1
	global_load_b32 v21, v[19:20], off
	global_load_b32 v22, v[17:18], off
	s_waitcnt vmcnt(0)
	v_cmpx_eq_u32_e64 v21, v22
	s_cbranch_execz .LBB1561_119
; %bb.113:
	v_add_co_u32 v17, vcc_lo, v17, 4
	v_add_co_ci_u32_e32 v18, vcc_lo, 0, v18, vcc_lo
	v_add_co_u32 v19, vcc_lo, v19, 4
	v_add_co_ci_u32_e32 v20, vcc_lo, 0, v20, vcc_lo
	s_add_u32 s6, s22, -1
	s_addc_u32 s7, s23, -1
	s_mov_b64 s[18:19], 0
	s_mov_b32 s28, 0
                                        ; implicit-def: $sgpr29
	s_set_inst_prefetch_distance 0x1
	s_branch .LBB1561_116
	.p2align	6
.LBB1561_114:                           ;   in Loop: Header=BB1561_116 Depth=1
	global_load_b32 v21, v[19:20], off
	global_load_b32 v22, v[17:18], off
	v_add_co_u32 v17, vcc_lo, v17, 4
	v_add_co_ci_u32_e32 v18, vcc_lo, 0, v18, vcc_lo
	v_add_co_u32 v19, s2, v19, 4
	s_delay_alu instid0(VALU_DEP_1)
	v_add_co_ci_u32_e64 v20, s2, 0, v20, s2
	s_add_u32 s18, s18, 1
	s_addc_u32 s19, s19, 0
	s_and_not1_b32 s2, s29, exec_lo
	s_waitcnt vmcnt(0)
	v_cmp_ne_u32_e32 vcc_lo, v21, v22
	s_and_b32 s29, vcc_lo, exec_lo
	s_delay_alu instid0(SALU_CYCLE_1)
	s_or_b32 s29, s2, s29
.LBB1561_115:                           ;   in Loop: Header=BB1561_116 Depth=1
	v_dual_mov_b32 v22, s19 :: v_dual_mov_b32 v21, s18
	s_and_b32 s2, exec_lo, s29
	s_delay_alu instid0(SALU_CYCLE_1) | instskip(NEXT) | instid1(SALU_CYCLE_1)
	s_or_b32 s28, s2, s28
	s_and_not1_b32 exec_lo, exec_lo, s28
	s_cbranch_execz .LBB1561_118
.LBB1561_116:                           ; =>This Inner Loop Header: Depth=1
	s_or_b32 s29, s29, exec_lo
	s_cmp_eq_u64 s[6:7], s[18:19]
	s_cbranch_scc0 .LBB1561_114
; %bb.117:                              ;   in Loop: Header=BB1561_116 Depth=1
	s_mov_b64 s[18:19], s[22:23]
                                        ; implicit-def: $vgpr17_vgpr18
                                        ; implicit-def: $vgpr19_vgpr20
	s_branch .LBB1561_115
.LBB1561_118:
	s_set_inst_prefetch_distance 0x2
	s_or_b32 exec_lo, exec_lo, s28
	v_cmp_gt_i64_e32 vcc_lo, s[22:23], v[21:22]
	s_or_not1_b32 s2, vcc_lo, exec_lo
.LBB1561_119:
	s_or_b32 exec_lo, exec_lo, s3
.LBB1561_120:
	s_delay_alu instid0(SALU_CYCLE_1)
	s_and_b32 s3, s2, exec_lo
.LBB1561_121:
	s_or_b32 exec_lo, exec_lo, s26
	v_or_b32_e32 v17, 5, v39
	s_mov_b32 s28, 0
	s_mov_b32 s26, 0
	s_mov_b32 s29, exec_lo
	s_delay_alu instid0(VALU_DEP_1)
	v_cmpx_gt_u32_e64 s20, v17
	s_cbranch_execz .LBB1561_132
; %bb.122:
	v_cmp_ne_u32_e32 vcc_lo, 1, v25
	s_mov_b32 s2, 0
	s_cbranch_vccnz .LBB1561_131
; %bb.123:
	v_mul_lo_u32 v21, v6, s22
	v_mul_lo_u32 v22, v5, s23
	v_mad_u64_u32 v[17:18], null, v5, s22, 0
	v_mul_lo_u32 v23, v8, s22
	v_mul_lo_u32 v24, v7, s23
	s_waitcnt lgkmcnt(0)
	v_mad_u64_u32 v[19:20], null, v7, s22, 0
	s_mov_b32 s2, -1
	s_mov_b32 s26, exec_lo
	s_delay_alu instid0(VALU_DEP_4) | instskip(NEXT) | instid1(VALU_DEP_2)
	v_add3_u32 v18, v18, v22, v21
	v_add3_u32 v20, v20, v24, v23
	s_delay_alu instid0(VALU_DEP_2) | instskip(NEXT) | instid1(VALU_DEP_2)
	v_lshlrev_b64 v[17:18], 2, v[17:18]
	v_lshlrev_b64 v[21:22], 2, v[19:20]
	s_delay_alu instid0(VALU_DEP_2) | instskip(NEXT) | instid1(VALU_DEP_3)
	v_add_co_u32 v19, vcc_lo, s8, v17
	v_add_co_ci_u32_e32 v20, vcc_lo, s9, v18, vcc_lo
	s_delay_alu instid0(VALU_DEP_3) | instskip(NEXT) | instid1(VALU_DEP_4)
	v_add_co_u32 v17, vcc_lo, s8, v21
	v_add_co_ci_u32_e32 v18, vcc_lo, s9, v22, vcc_lo
	s_clause 0x1
	global_load_b32 v21, v[19:20], off
	global_load_b32 v22, v[17:18], off
	s_waitcnt vmcnt(0)
	v_cmpx_eq_u32_e64 v21, v22
	s_cbranch_execz .LBB1561_130
; %bb.124:
	v_add_co_u32 v17, vcc_lo, v17, 4
	v_add_co_ci_u32_e32 v18, vcc_lo, 0, v18, vcc_lo
	v_add_co_u32 v19, vcc_lo, v19, 4
	v_add_co_ci_u32_e32 v20, vcc_lo, 0, v20, vcc_lo
	s_add_u32 s6, s22, -1
	s_addc_u32 s7, s23, -1
	s_mov_b64 s[18:19], 0
	s_mov_b32 s30, 0
                                        ; implicit-def: $sgpr31
	s_set_inst_prefetch_distance 0x1
	s_branch .LBB1561_127
	.p2align	6
.LBB1561_125:                           ;   in Loop: Header=BB1561_127 Depth=1
	global_load_b32 v21, v[19:20], off
	global_load_b32 v22, v[17:18], off
	v_add_co_u32 v17, vcc_lo, v17, 4
	v_add_co_ci_u32_e32 v18, vcc_lo, 0, v18, vcc_lo
	v_add_co_u32 v19, s2, v19, 4
	s_delay_alu instid0(VALU_DEP_1)
	v_add_co_ci_u32_e64 v20, s2, 0, v20, s2
	s_add_u32 s18, s18, 1
	s_addc_u32 s19, s19, 0
	s_and_not1_b32 s2, s31, exec_lo
	s_waitcnt vmcnt(0)
	v_cmp_ne_u32_e32 vcc_lo, v21, v22
	s_and_b32 s31, vcc_lo, exec_lo
	s_delay_alu instid0(SALU_CYCLE_1)
	s_or_b32 s31, s2, s31
.LBB1561_126:                           ;   in Loop: Header=BB1561_127 Depth=1
	v_dual_mov_b32 v22, s19 :: v_dual_mov_b32 v21, s18
	s_and_b32 s2, exec_lo, s31
	s_delay_alu instid0(SALU_CYCLE_1) | instskip(NEXT) | instid1(SALU_CYCLE_1)
	s_or_b32 s30, s2, s30
	s_and_not1_b32 exec_lo, exec_lo, s30
	s_cbranch_execz .LBB1561_129
.LBB1561_127:                           ; =>This Inner Loop Header: Depth=1
	s_or_b32 s31, s31, exec_lo
	s_cmp_eq_u64 s[6:7], s[18:19]
	s_cbranch_scc0 .LBB1561_125
; %bb.128:                              ;   in Loop: Header=BB1561_127 Depth=1
	s_mov_b64 s[18:19], s[22:23]
                                        ; implicit-def: $vgpr17_vgpr18
                                        ; implicit-def: $vgpr19_vgpr20
	s_branch .LBB1561_126
.LBB1561_129:
	s_set_inst_prefetch_distance 0x2
	s_or_b32 exec_lo, exec_lo, s30
	v_cmp_gt_i64_e32 vcc_lo, s[22:23], v[21:22]
	s_or_not1_b32 s2, vcc_lo, exec_lo
.LBB1561_130:
	s_or_b32 exec_lo, exec_lo, s26
.LBB1561_131:
	s_delay_alu instid0(SALU_CYCLE_1)
	s_and_b32 s26, s2, exec_lo
.LBB1561_132:
	s_or_b32 exec_lo, exec_lo, s29
	v_or_b32_e32 v17, 4, v39
	s_mov_b32 s29, exec_lo
	s_delay_alu instid0(VALU_DEP_1)
	v_cmpx_gt_u32_e64 s20, v17
	s_cbranch_execz .LBB1561_143
; %bb.133:
	v_cmp_ne_u32_e32 vcc_lo, 1, v25
	s_mov_b32 s2, 0
	s_cbranch_vccnz .LBB1561_142
; %bb.134:
	v_mul_lo_u32 v21, v12, s22
	v_mul_lo_u32 v22, v11, s23
	v_mad_u64_u32 v[17:18], null, v11, s22, 0
	v_mul_lo_u32 v23, v6, s22
	v_mul_lo_u32 v24, v5, s23
	s_waitcnt lgkmcnt(0)
	v_mad_u64_u32 v[19:20], null, v5, s22, 0
	s_mov_b32 s2, -1
	s_mov_b32 s28, exec_lo
	s_delay_alu instid0(VALU_DEP_4) | instskip(NEXT) | instid1(VALU_DEP_2)
	v_add3_u32 v18, v18, v22, v21
	v_add3_u32 v20, v20, v24, v23
	s_delay_alu instid0(VALU_DEP_2) | instskip(NEXT) | instid1(VALU_DEP_2)
	v_lshlrev_b64 v[17:18], 2, v[17:18]
	v_lshlrev_b64 v[21:22], 2, v[19:20]
	s_delay_alu instid0(VALU_DEP_2) | instskip(NEXT) | instid1(VALU_DEP_3)
	v_add_co_u32 v19, vcc_lo, s8, v17
	v_add_co_ci_u32_e32 v20, vcc_lo, s9, v18, vcc_lo
	s_delay_alu instid0(VALU_DEP_3) | instskip(NEXT) | instid1(VALU_DEP_4)
	v_add_co_u32 v17, vcc_lo, s8, v21
	v_add_co_ci_u32_e32 v18, vcc_lo, s9, v22, vcc_lo
	s_clause 0x1
	global_load_b32 v21, v[19:20], off
	global_load_b32 v22, v[17:18], off
	s_waitcnt vmcnt(0)
	v_cmpx_eq_u32_e64 v21, v22
	s_cbranch_execz .LBB1561_141
; %bb.135:
	v_add_co_u32 v17, vcc_lo, v17, 4
	v_add_co_ci_u32_e32 v18, vcc_lo, 0, v18, vcc_lo
	v_add_co_u32 v19, vcc_lo, v19, 4
	v_add_co_ci_u32_e32 v20, vcc_lo, 0, v20, vcc_lo
	s_add_u32 s6, s22, -1
	s_addc_u32 s7, s23, -1
	s_mov_b64 s[18:19], 0
	s_mov_b32 s30, 0
                                        ; implicit-def: $sgpr31
	s_set_inst_prefetch_distance 0x1
	s_branch .LBB1561_138
	.p2align	6
.LBB1561_136:                           ;   in Loop: Header=BB1561_138 Depth=1
	global_load_b32 v21, v[19:20], off
	global_load_b32 v22, v[17:18], off
	v_add_co_u32 v17, vcc_lo, v17, 4
	v_add_co_ci_u32_e32 v18, vcc_lo, 0, v18, vcc_lo
	v_add_co_u32 v19, s2, v19, 4
	s_delay_alu instid0(VALU_DEP_1)
	v_add_co_ci_u32_e64 v20, s2, 0, v20, s2
	s_add_u32 s18, s18, 1
	s_addc_u32 s19, s19, 0
	s_and_not1_b32 s2, s31, exec_lo
	s_waitcnt vmcnt(0)
	v_cmp_ne_u32_e32 vcc_lo, v21, v22
	s_and_b32 s31, vcc_lo, exec_lo
	s_delay_alu instid0(SALU_CYCLE_1)
	s_or_b32 s31, s2, s31
.LBB1561_137:                           ;   in Loop: Header=BB1561_138 Depth=1
	v_dual_mov_b32 v22, s19 :: v_dual_mov_b32 v21, s18
	s_and_b32 s2, exec_lo, s31
	s_delay_alu instid0(SALU_CYCLE_1) | instskip(NEXT) | instid1(SALU_CYCLE_1)
	s_or_b32 s30, s2, s30
	s_and_not1_b32 exec_lo, exec_lo, s30
	s_cbranch_execz .LBB1561_140
.LBB1561_138:                           ; =>This Inner Loop Header: Depth=1
	s_or_b32 s31, s31, exec_lo
	s_cmp_eq_u64 s[6:7], s[18:19]
	s_cbranch_scc0 .LBB1561_136
; %bb.139:                              ;   in Loop: Header=BB1561_138 Depth=1
	s_mov_b64 s[18:19], s[22:23]
                                        ; implicit-def: $vgpr17_vgpr18
                                        ; implicit-def: $vgpr19_vgpr20
	s_branch .LBB1561_137
.LBB1561_140:
	s_set_inst_prefetch_distance 0x2
	s_or_b32 exec_lo, exec_lo, s30
	v_cmp_gt_i64_e32 vcc_lo, s[22:23], v[21:22]
	s_or_not1_b32 s2, vcc_lo, exec_lo
.LBB1561_141:
	s_or_b32 exec_lo, exec_lo, s28
.LBB1561_142:
	s_delay_alu instid0(SALU_CYCLE_1)
	s_and_b32 s28, s2, exec_lo
.LBB1561_143:
	s_or_b32 exec_lo, exec_lo, s29
	v_or_b32_e32 v17, 3, v39
	s_mov_b32 s30, 0
	s_mov_b32 s29, 0
	s_mov_b32 s31, exec_lo
	s_delay_alu instid0(VALU_DEP_1)
	v_cmpx_gt_u32_e64 s20, v17
	s_cbranch_execz .LBB1561_154
; %bb.144:
	v_cmp_ne_u32_e32 vcc_lo, 1, v25
	s_mov_b32 s2, 0
	s_cbranch_vccnz .LBB1561_153
; %bb.145:
	v_mul_lo_u32 v21, v10, s22
	v_mul_lo_u32 v22, v9, s23
	v_mad_u64_u32 v[17:18], null, v9, s22, 0
	v_mul_lo_u32 v23, v12, s22
	v_mul_lo_u32 v24, v11, s23
	s_waitcnt lgkmcnt(0)
	v_mad_u64_u32 v[19:20], null, v11, s22, 0
	s_mov_b32 s2, -1
	s_mov_b32 s29, exec_lo
	s_delay_alu instid0(VALU_DEP_4) | instskip(NEXT) | instid1(VALU_DEP_2)
	v_add3_u32 v18, v18, v22, v21
	v_add3_u32 v20, v20, v24, v23
	s_delay_alu instid0(VALU_DEP_2) | instskip(NEXT) | instid1(VALU_DEP_2)
	v_lshlrev_b64 v[17:18], 2, v[17:18]
	v_lshlrev_b64 v[21:22], 2, v[19:20]
	s_delay_alu instid0(VALU_DEP_2) | instskip(NEXT) | instid1(VALU_DEP_3)
	v_add_co_u32 v19, vcc_lo, s8, v17
	v_add_co_ci_u32_e32 v20, vcc_lo, s9, v18, vcc_lo
	s_delay_alu instid0(VALU_DEP_3) | instskip(NEXT) | instid1(VALU_DEP_4)
	v_add_co_u32 v17, vcc_lo, s8, v21
	v_add_co_ci_u32_e32 v18, vcc_lo, s9, v22, vcc_lo
	s_clause 0x1
	global_load_b32 v21, v[19:20], off
	global_load_b32 v22, v[17:18], off
	s_waitcnt vmcnt(0)
	v_cmpx_eq_u32_e64 v21, v22
	s_cbranch_execz .LBB1561_152
; %bb.146:
	v_add_co_u32 v17, vcc_lo, v17, 4
	v_add_co_ci_u32_e32 v18, vcc_lo, 0, v18, vcc_lo
	v_add_co_u32 v19, vcc_lo, v19, 4
	v_add_co_ci_u32_e32 v20, vcc_lo, 0, v20, vcc_lo
	s_add_u32 s6, s22, -1
	s_addc_u32 s7, s23, -1
	s_mov_b64 s[18:19], 0
	s_mov_b32 s33, 0
                                        ; implicit-def: $sgpr34
	s_set_inst_prefetch_distance 0x1
	s_branch .LBB1561_149
	.p2align	6
.LBB1561_147:                           ;   in Loop: Header=BB1561_149 Depth=1
	global_load_b32 v21, v[19:20], off
	global_load_b32 v22, v[17:18], off
	v_add_co_u32 v17, vcc_lo, v17, 4
	v_add_co_ci_u32_e32 v18, vcc_lo, 0, v18, vcc_lo
	v_add_co_u32 v19, s2, v19, 4
	s_delay_alu instid0(VALU_DEP_1)
	v_add_co_ci_u32_e64 v20, s2, 0, v20, s2
	s_add_u32 s18, s18, 1
	s_addc_u32 s19, s19, 0
	s_and_not1_b32 s2, s34, exec_lo
	s_waitcnt vmcnt(0)
	v_cmp_ne_u32_e32 vcc_lo, v21, v22
	s_and_b32 s34, vcc_lo, exec_lo
	s_delay_alu instid0(SALU_CYCLE_1)
	s_or_b32 s34, s2, s34
.LBB1561_148:                           ;   in Loop: Header=BB1561_149 Depth=1
	v_dual_mov_b32 v22, s19 :: v_dual_mov_b32 v21, s18
	s_and_b32 s2, exec_lo, s34
	s_delay_alu instid0(SALU_CYCLE_1) | instskip(NEXT) | instid1(SALU_CYCLE_1)
	s_or_b32 s33, s2, s33
	s_and_not1_b32 exec_lo, exec_lo, s33
	s_cbranch_execz .LBB1561_151
.LBB1561_149:                           ; =>This Inner Loop Header: Depth=1
	s_or_b32 s34, s34, exec_lo
	s_cmp_eq_u64 s[6:7], s[18:19]
	s_cbranch_scc0 .LBB1561_147
; %bb.150:                              ;   in Loop: Header=BB1561_149 Depth=1
	s_mov_b64 s[18:19], s[22:23]
                                        ; implicit-def: $vgpr17_vgpr18
                                        ; implicit-def: $vgpr19_vgpr20
	s_branch .LBB1561_148
.LBB1561_151:
	s_set_inst_prefetch_distance 0x2
	s_or_b32 exec_lo, exec_lo, s33
	v_cmp_gt_i64_e32 vcc_lo, s[22:23], v[21:22]
	s_or_not1_b32 s2, vcc_lo, exec_lo
.LBB1561_152:
	s_or_b32 exec_lo, exec_lo, s29
.LBB1561_153:
	s_delay_alu instid0(SALU_CYCLE_1)
	s_and_b32 s29, s2, exec_lo
.LBB1561_154:
	s_or_b32 exec_lo, exec_lo, s31
	v_or_b32_e32 v17, 2, v39
	s_mov_b32 s31, exec_lo
	s_delay_alu instid0(VALU_DEP_1)
	v_cmpx_gt_u32_e64 s20, v17
	s_cbranch_execz .LBB1561_165
; %bb.155:
	v_cmp_ne_u32_e32 vcc_lo, 1, v25
	s_mov_b32 s2, 0
	s_cbranch_vccnz .LBB1561_164
; %bb.156:
	v_mul_lo_u32 v21, v16, s22
	v_mul_lo_u32 v22, v15, s23
	v_mad_u64_u32 v[17:18], null, v15, s22, 0
	v_mul_lo_u32 v23, v10, s22
	v_mul_lo_u32 v24, v9, s23
	s_waitcnt lgkmcnt(0)
	v_mad_u64_u32 v[19:20], null, v9, s22, 0
	s_mov_b32 s2, -1
	s_mov_b32 s30, exec_lo
	s_delay_alu instid0(VALU_DEP_4) | instskip(NEXT) | instid1(VALU_DEP_2)
	v_add3_u32 v18, v18, v22, v21
	v_add3_u32 v20, v20, v24, v23
	s_delay_alu instid0(VALU_DEP_2) | instskip(NEXT) | instid1(VALU_DEP_2)
	v_lshlrev_b64 v[17:18], 2, v[17:18]
	v_lshlrev_b64 v[21:22], 2, v[19:20]
	s_delay_alu instid0(VALU_DEP_2) | instskip(NEXT) | instid1(VALU_DEP_3)
	v_add_co_u32 v19, vcc_lo, s8, v17
	v_add_co_ci_u32_e32 v20, vcc_lo, s9, v18, vcc_lo
	s_delay_alu instid0(VALU_DEP_3) | instskip(NEXT) | instid1(VALU_DEP_4)
	v_add_co_u32 v17, vcc_lo, s8, v21
	v_add_co_ci_u32_e32 v18, vcc_lo, s9, v22, vcc_lo
	s_clause 0x1
	global_load_b32 v21, v[19:20], off
	global_load_b32 v22, v[17:18], off
	s_waitcnt vmcnt(0)
	v_cmpx_eq_u32_e64 v21, v22
	s_cbranch_execz .LBB1561_163
; %bb.157:
	v_add_co_u32 v17, vcc_lo, v17, 4
	v_add_co_ci_u32_e32 v18, vcc_lo, 0, v18, vcc_lo
	v_add_co_u32 v19, vcc_lo, v19, 4
	v_add_co_ci_u32_e32 v20, vcc_lo, 0, v20, vcc_lo
	s_add_u32 s6, s22, -1
	s_addc_u32 s7, s23, -1
	s_mov_b64 s[18:19], 0
	s_mov_b32 s33, 0
                                        ; implicit-def: $sgpr34
	s_set_inst_prefetch_distance 0x1
	s_branch .LBB1561_160
	.p2align	6
.LBB1561_158:                           ;   in Loop: Header=BB1561_160 Depth=1
	global_load_b32 v21, v[19:20], off
	global_load_b32 v22, v[17:18], off
	v_add_co_u32 v17, vcc_lo, v17, 4
	v_add_co_ci_u32_e32 v18, vcc_lo, 0, v18, vcc_lo
	v_add_co_u32 v19, s2, v19, 4
	s_delay_alu instid0(VALU_DEP_1)
	v_add_co_ci_u32_e64 v20, s2, 0, v20, s2
	s_add_u32 s18, s18, 1
	s_addc_u32 s19, s19, 0
	s_and_not1_b32 s2, s34, exec_lo
	s_waitcnt vmcnt(0)
	v_cmp_ne_u32_e32 vcc_lo, v21, v22
	s_and_b32 s34, vcc_lo, exec_lo
	s_delay_alu instid0(SALU_CYCLE_1)
	s_or_b32 s34, s2, s34
.LBB1561_159:                           ;   in Loop: Header=BB1561_160 Depth=1
	v_dual_mov_b32 v22, s19 :: v_dual_mov_b32 v21, s18
	s_and_b32 s2, exec_lo, s34
	s_delay_alu instid0(SALU_CYCLE_1) | instskip(NEXT) | instid1(SALU_CYCLE_1)
	s_or_b32 s33, s2, s33
	s_and_not1_b32 exec_lo, exec_lo, s33
	s_cbranch_execz .LBB1561_162
.LBB1561_160:                           ; =>This Inner Loop Header: Depth=1
	s_or_b32 s34, s34, exec_lo
	s_cmp_eq_u64 s[6:7], s[18:19]
	s_cbranch_scc0 .LBB1561_158
; %bb.161:                              ;   in Loop: Header=BB1561_160 Depth=1
	s_mov_b64 s[18:19], s[22:23]
                                        ; implicit-def: $vgpr17_vgpr18
                                        ; implicit-def: $vgpr19_vgpr20
	s_branch .LBB1561_159
.LBB1561_162:
	s_set_inst_prefetch_distance 0x2
	s_or_b32 exec_lo, exec_lo, s33
	v_cmp_gt_i64_e32 vcc_lo, s[22:23], v[21:22]
	s_or_not1_b32 s2, vcc_lo, exec_lo
.LBB1561_163:
	s_or_b32 exec_lo, exec_lo, s30
.LBB1561_164:
	s_delay_alu instid0(SALU_CYCLE_1)
	s_and_b32 s30, s2, exec_lo
.LBB1561_165:
	s_or_b32 exec_lo, exec_lo, s31
	v_or_b32_e32 v17, 1, v39
	s_mov_b32 s2, 0
	s_mov_b32 s31, exec_lo
	s_delay_alu instid0(VALU_DEP_1)
	v_cmpx_gt_u32_e64 s20, v17
	s_cbranch_execz .LBB1561_176
; %bb.166:
	v_cmp_ne_u32_e32 vcc_lo, 1, v25
	s_cbranch_vccnz .LBB1561_175
; %bb.167:
	v_mul_lo_u32 v21, v14, s22
	v_mul_lo_u32 v22, v13, s23
	v_mad_u64_u32 v[17:18], null, v13, s22, 0
	v_mul_lo_u32 v23, v16, s22
	v_mul_lo_u32 v24, v15, s23
	s_waitcnt lgkmcnt(0)
	v_mad_u64_u32 v[19:20], null, v15, s22, 0
	s_mov_b32 s2, -1
	s_mov_b32 s33, exec_lo
	s_delay_alu instid0(VALU_DEP_4) | instskip(NEXT) | instid1(VALU_DEP_2)
	v_add3_u32 v18, v18, v22, v21
	v_add3_u32 v20, v20, v24, v23
	s_delay_alu instid0(VALU_DEP_2) | instskip(NEXT) | instid1(VALU_DEP_2)
	v_lshlrev_b64 v[17:18], 2, v[17:18]
	v_lshlrev_b64 v[21:22], 2, v[19:20]
	s_delay_alu instid0(VALU_DEP_2) | instskip(NEXT) | instid1(VALU_DEP_3)
	v_add_co_u32 v19, vcc_lo, s8, v17
	v_add_co_ci_u32_e32 v20, vcc_lo, s9, v18, vcc_lo
	s_delay_alu instid0(VALU_DEP_3) | instskip(NEXT) | instid1(VALU_DEP_4)
	v_add_co_u32 v17, vcc_lo, s8, v21
	v_add_co_ci_u32_e32 v18, vcc_lo, s9, v22, vcc_lo
	s_clause 0x1
	global_load_b32 v21, v[19:20], off
	global_load_b32 v22, v[17:18], off
	s_waitcnt vmcnt(0)
	v_cmpx_eq_u32_e64 v21, v22
	s_cbranch_execz .LBB1561_174
; %bb.168:
	v_add_co_u32 v17, vcc_lo, v17, 4
	v_add_co_ci_u32_e32 v18, vcc_lo, 0, v18, vcc_lo
	v_add_co_u32 v19, vcc_lo, v19, 4
	v_add_co_ci_u32_e32 v20, vcc_lo, 0, v20, vcc_lo
	s_add_u32 s6, s22, -1
	s_addc_u32 s7, s23, -1
	s_mov_b64 s[18:19], 0
	s_mov_b32 s34, 0
                                        ; implicit-def: $sgpr35
	s_set_inst_prefetch_distance 0x1
	s_branch .LBB1561_171
	.p2align	6
.LBB1561_169:                           ;   in Loop: Header=BB1561_171 Depth=1
	global_load_b32 v21, v[19:20], off
	global_load_b32 v22, v[17:18], off
	v_add_co_u32 v17, vcc_lo, v17, 4
	v_add_co_ci_u32_e32 v18, vcc_lo, 0, v18, vcc_lo
	v_add_co_u32 v19, s2, v19, 4
	s_delay_alu instid0(VALU_DEP_1)
	v_add_co_ci_u32_e64 v20, s2, 0, v20, s2
	s_add_u32 s18, s18, 1
	s_addc_u32 s19, s19, 0
	s_and_not1_b32 s2, s35, exec_lo
	s_waitcnt vmcnt(0)
	v_cmp_ne_u32_e32 vcc_lo, v21, v22
	s_and_b32 s35, vcc_lo, exec_lo
	s_delay_alu instid0(SALU_CYCLE_1)
	s_or_b32 s35, s2, s35
.LBB1561_170:                           ;   in Loop: Header=BB1561_171 Depth=1
	v_dual_mov_b32 v22, s19 :: v_dual_mov_b32 v21, s18
	s_and_b32 s2, exec_lo, s35
	s_delay_alu instid0(SALU_CYCLE_1) | instskip(NEXT) | instid1(SALU_CYCLE_1)
	s_or_b32 s34, s2, s34
	s_and_not1_b32 exec_lo, exec_lo, s34
	s_cbranch_execz .LBB1561_173
.LBB1561_171:                           ; =>This Inner Loop Header: Depth=1
	s_or_b32 s35, s35, exec_lo
	s_cmp_eq_u64 s[6:7], s[18:19]
	s_cbranch_scc0 .LBB1561_169
; %bb.172:                              ;   in Loop: Header=BB1561_171 Depth=1
	s_mov_b64 s[18:19], s[22:23]
                                        ; implicit-def: $vgpr17_vgpr18
                                        ; implicit-def: $vgpr19_vgpr20
	s_branch .LBB1561_170
.LBB1561_173:
	s_set_inst_prefetch_distance 0x2
	s_or_b32 exec_lo, exec_lo, s34
	v_cmp_gt_i64_e32 vcc_lo, s[22:23], v[21:22]
	s_or_not1_b32 s2, vcc_lo, exec_lo
.LBB1561_174:
	s_or_b32 exec_lo, exec_lo, s33
.LBB1561_175:
	s_delay_alu instid0(SALU_CYCLE_1)
	s_and_b32 s2, s2, exec_lo
.LBB1561_176:
	s_or_b32 exec_lo, exec_lo, s31
	s_waitcnt lgkmcnt(0)
	v_dual_mov_b32 v18, s5 :: v_dual_mov_b32 v17, s4
	s_mov_b32 s4, exec_lo
	s_barrier
	buffer_gl0_inv
	v_cmpx_ne_u32_e32 0, v0
	s_cbranch_execz .LBB1561_178
; %bb.177:
	v_add_nc_u32_e32 v17, -8, v39
	ds_load_b64 v[17:18], v17
.LBB1561_178:
	s_or_b32 exec_lo, exec_lo, s4
	v_cndmask_b32_e64 v20, 0, 1, s29
	v_cndmask_b32_e64 v22, 0, 1, s26
	;; [unrolled: 1-line block ×7, first 2 shown]
	v_lshlrev_b16 v20, 8, v20
	v_lshlrev_b16 v22, 8, v22
	v_lshlrev_b16 v23, 8, v23
	s_mov_b32 s2, 0
	v_lshlrev_b16 v26, 8, v26
	v_or_b32_e32 v19, v19, v20
	v_or_b32_e32 v20, v21, v22
	;; [unrolled: 1-line block ×3, first 2 shown]
	s_mov_b32 s3, exec_lo
	v_and_b32_e32 v23, 0xffff, v26
	v_lshlrev_b32_e32 v24, 16, v19
	v_and_b32_e32 v26, 0xffff, v20
	v_lshlrev_b32_e32 v27, 16, v21
	v_cmpx_gt_u32_e64 s20, v39
	s_cbranch_execz .LBB1561_189
; %bb.179:
	v_cmp_ne_u32_e32 vcc_lo, 1, v25
	s_cbranch_vccnz .LBB1561_188
; %bb.180:
	s_waitcnt lgkmcnt(0)
	v_mul_lo_u32 v22, v18, s22
	v_mul_lo_u32 v25, v17, s23
	v_mad_u64_u32 v[18:19], null, v17, s22, 0
	v_mul_lo_u32 v17, v14, s22
	v_mul_lo_u32 v28, v13, s23
	v_mad_u64_u32 v[20:21], null, v13, s22, 0
	s_mov_b32 s2, -1
	s_mov_b32 s18, exec_lo
	s_delay_alu instid0(VALU_DEP_4) | instskip(NEXT) | instid1(VALU_DEP_2)
	v_add3_u32 v19, v19, v25, v22
	v_add3_u32 v21, v21, v28, v17
	s_delay_alu instid0(VALU_DEP_2) | instskip(NEXT) | instid1(VALU_DEP_2)
	v_lshlrev_b64 v[17:18], 2, v[18:19]
	v_lshlrev_b64 v[21:22], 2, v[20:21]
	s_delay_alu instid0(VALU_DEP_2) | instskip(NEXT) | instid1(VALU_DEP_3)
	v_add_co_u32 v19, vcc_lo, s8, v17
	v_add_co_ci_u32_e32 v20, vcc_lo, s9, v18, vcc_lo
	s_delay_alu instid0(VALU_DEP_3) | instskip(NEXT) | instid1(VALU_DEP_4)
	v_add_co_u32 v17, vcc_lo, s8, v21
	v_add_co_ci_u32_e32 v18, vcc_lo, s9, v22, vcc_lo
	s_clause 0x1
	global_load_b32 v21, v[19:20], off
	global_load_b32 v22, v[17:18], off
	s_waitcnt vmcnt(0)
	v_cmpx_eq_u32_e64 v21, v22
	s_cbranch_execz .LBB1561_187
; %bb.181:
	v_add_co_u32 v17, vcc_lo, v17, 4
	v_add_co_ci_u32_e32 v18, vcc_lo, 0, v18, vcc_lo
	v_add_co_u32 v19, vcc_lo, v19, 4
	v_add_co_ci_u32_e32 v20, vcc_lo, 0, v20, vcc_lo
	s_add_u32 s4, s22, -1
	s_addc_u32 s5, s23, -1
	s_mov_b64 s[6:7], 0
	s_mov_b32 s19, 0
                                        ; implicit-def: $sgpr26
	s_set_inst_prefetch_distance 0x1
	s_branch .LBB1561_184
	.p2align	6
.LBB1561_182:                           ;   in Loop: Header=BB1561_184 Depth=1
	global_load_b32 v21, v[19:20], off
	global_load_b32 v22, v[17:18], off
	v_add_co_u32 v17, vcc_lo, v17, 4
	v_add_co_ci_u32_e32 v18, vcc_lo, 0, v18, vcc_lo
	v_add_co_u32 v19, s2, v19, 4
	s_delay_alu instid0(VALU_DEP_1)
	v_add_co_ci_u32_e64 v20, s2, 0, v20, s2
	s_add_u32 s6, s6, 1
	s_addc_u32 s7, s7, 0
	s_and_not1_b32 s2, s26, exec_lo
	s_waitcnt vmcnt(0)
	v_cmp_ne_u32_e32 vcc_lo, v21, v22
	s_and_b32 s26, vcc_lo, exec_lo
	s_delay_alu instid0(SALU_CYCLE_1)
	s_or_b32 s26, s2, s26
.LBB1561_183:                           ;   in Loop: Header=BB1561_184 Depth=1
	v_dual_mov_b32 v22, s7 :: v_dual_mov_b32 v21, s6
	s_and_b32 s2, exec_lo, s26
	s_delay_alu instid0(SALU_CYCLE_1) | instskip(NEXT) | instid1(SALU_CYCLE_1)
	s_or_b32 s19, s2, s19
	s_and_not1_b32 exec_lo, exec_lo, s19
	s_cbranch_execz .LBB1561_186
.LBB1561_184:                           ; =>This Inner Loop Header: Depth=1
	s_or_b32 s26, s26, exec_lo
	s_cmp_eq_u64 s[4:5], s[6:7]
	s_cbranch_scc0 .LBB1561_182
; %bb.185:                              ;   in Loop: Header=BB1561_184 Depth=1
	s_mov_b64 s[6:7], s[22:23]
                                        ; implicit-def: $vgpr17_vgpr18
                                        ; implicit-def: $vgpr19_vgpr20
	s_branch .LBB1561_183
.LBB1561_186:
	s_set_inst_prefetch_distance 0x2
	s_or_b32 exec_lo, exec_lo, s19
	v_cmp_gt_i64_e32 vcc_lo, s[22:23], v[21:22]
	s_or_not1_b32 s2, vcc_lo, exec_lo
.LBB1561_187:
	s_or_b32 exec_lo, exec_lo, s18
.LBB1561_188:
	s_delay_alu instid0(SALU_CYCLE_1)
	s_and_b32 s2, s2, exec_lo
.LBB1561_189:
	s_or_b32 exec_lo, exec_lo, s3
	s_waitcnt lgkmcnt(0)
	v_or_b32_e32 v17, v23, v24
	v_or_b32_e32 v18, v26, v27
.LBB1561_190:
	s_mov_b32 s18, -1
	s_cbranch_execnz .LBB1561_359
.LBB1561_191:
	v_cmp_gt_i64_e64 s3, s[22:23], 0
	s_and_b32 vcc_lo, exec_lo, s21
	ds_store_b64 v39, v[3:4]
	s_cbranch_vccz .LBB1561_199
; %bb.192:
	s_waitcnt lgkmcnt(0)
	v_mul_lo_u32 v19, v2, s22
	v_mul_lo_u32 v20, v1, s23
	v_mad_u64_u32 v[17:18], null, v1, s22, 0
	s_mov_b32 s19, 0
	s_and_not1_b32 vcc_lo, exec_lo, s3
	s_mov_b32 s26, 0
	s_delay_alu instid0(VALU_DEP_1) | instskip(NEXT) | instid1(VALU_DEP_1)
	v_add3_u32 v18, v18, v20, v19
	v_lshlrev_b64 v[17:18], 2, v[17:18]
	s_cbranch_vccnz .LBB1561_202
; %bb.193:
	v_mul_lo_u32 v21, v4, s22
	v_mul_lo_u32 v22, v3, s23
	v_mad_u64_u32 v[19:20], null, v3, s22, 0
	s_mov_b32 s26, -1
	s_mov_b32 s27, exec_lo
	s_delay_alu instid0(VALU_DEP_1) | instskip(SKIP_2) | instid1(VALU_DEP_3)
	v_add3_u32 v20, v20, v22, v21
	v_add_co_u32 v21, vcc_lo, s8, v17
	v_add_co_ci_u32_e32 v22, vcc_lo, s9, v18, vcc_lo
	v_lshlrev_b64 v[19:20], 2, v[19:20]
	s_delay_alu instid0(VALU_DEP_1) | instskip(NEXT) | instid1(VALU_DEP_2)
	v_add_co_u32 v19, vcc_lo, s8, v19
	v_add_co_ci_u32_e32 v20, vcc_lo, s9, v20, vcc_lo
	s_clause 0x1
	global_load_b32 v23, v[21:22], off
	global_load_b32 v24, v[19:20], off
	s_waitcnt vmcnt(0)
	v_cmpx_eq_u32_e64 v23, v24
	s_cbranch_execz .LBB1561_201
; %bb.194:
	v_add_co_u32 v19, vcc_lo, v19, 4
	v_add_co_ci_u32_e32 v20, vcc_lo, 0, v20, vcc_lo
	v_add_co_u32 v21, vcc_lo, v21, 4
	v_add_co_ci_u32_e32 v22, vcc_lo, 0, v22, vcc_lo
	s_add_u32 s4, s22, -1
	s_addc_u32 s5, s23, -1
	s_mov_b64 s[6:7], 0
	s_mov_b32 s26, 0
                                        ; implicit-def: $sgpr28
	s_set_inst_prefetch_distance 0x1
	s_branch .LBB1561_197
	.p2align	6
.LBB1561_195:                           ;   in Loop: Header=BB1561_197 Depth=1
	global_load_b32 v23, v[21:22], off
	global_load_b32 v24, v[19:20], off
	v_add_co_u32 v19, vcc_lo, v19, 4
	v_add_co_ci_u32_e32 v20, vcc_lo, 0, v20, vcc_lo
	v_add_co_u32 v21, s2, v21, 4
	s_delay_alu instid0(VALU_DEP_1)
	v_add_co_ci_u32_e64 v22, s2, 0, v22, s2
	s_add_u32 s6, s6, 1
	s_addc_u32 s7, s7, 0
	s_and_not1_b32 s2, s28, exec_lo
	s_waitcnt vmcnt(0)
	v_cmp_ne_u32_e32 vcc_lo, v23, v24
	s_and_b32 s28, vcc_lo, exec_lo
	s_delay_alu instid0(SALU_CYCLE_1)
	s_or_b32 s28, s2, s28
.LBB1561_196:                           ;   in Loop: Header=BB1561_197 Depth=1
	v_dual_mov_b32 v24, s7 :: v_dual_mov_b32 v23, s6
	s_and_b32 s2, exec_lo, s28
	s_delay_alu instid0(SALU_CYCLE_1) | instskip(NEXT) | instid1(SALU_CYCLE_1)
	s_or_b32 s26, s2, s26
	s_and_not1_b32 exec_lo, exec_lo, s26
	s_cbranch_execz .LBB1561_200
.LBB1561_197:                           ; =>This Inner Loop Header: Depth=1
	s_or_b32 s28, s28, exec_lo
	s_cmp_eq_u64 s[4:5], s[6:7]
	s_cbranch_scc0 .LBB1561_195
; %bb.198:                              ;   in Loop: Header=BB1561_197 Depth=1
	s_mov_b64 s[6:7], s[22:23]
                                        ; implicit-def: $vgpr19_vgpr20
                                        ; implicit-def: $vgpr21_vgpr22
	s_branch .LBB1561_196
.LBB1561_199:
	s_waitcnt lgkmcnt(0)
                                        ; implicit-def: $sgpr2
                                        ; implicit-def: $vgpr18
	s_cbranch_execnz .LBB1561_268
	s_branch .LBB1561_359
.LBB1561_200:
	s_set_inst_prefetch_distance 0x2
	s_or_b32 exec_lo, exec_lo, s26
	v_cmp_gt_i64_e32 vcc_lo, s[22:23], v[23:24]
	s_or_not1_b32 s26, vcc_lo, exec_lo
.LBB1561_201:
	s_or_b32 exec_lo, exec_lo, s27
.LBB1561_202:
	v_mul_lo_u32 v21, v8, s22
	v_mul_lo_u32 v22, v7, s23
	v_mad_u64_u32 v[19:20], null, v7, s22, 0
	s_and_not1_b32 vcc_lo, exec_lo, s3
	s_delay_alu instid0(VALU_DEP_1) | instskip(NEXT) | instid1(VALU_DEP_1)
	v_add3_u32 v20, v20, v22, v21
	v_lshlrev_b64 v[19:20], 2, v[19:20]
	s_cbranch_vccnz .LBB1561_211
; %bb.203:
	s_delay_alu instid0(VALU_DEP_1) | instskip(NEXT) | instid1(VALU_DEP_2)
	v_add_co_u32 v21, vcc_lo, s8, v19
	v_add_co_ci_u32_e32 v22, vcc_lo, s9, v20, vcc_lo
	v_add_co_u32 v17, vcc_lo, s8, v17
	v_add_co_ci_u32_e32 v18, vcc_lo, s9, v18, vcc_lo
	s_mov_b32 s19, -1
	s_clause 0x1
	global_load_b32 v23, v[21:22], off
	global_load_b32 v24, v[17:18], off
	s_mov_b32 s27, exec_lo
	s_waitcnt vmcnt(0)
	v_cmpx_eq_u32_e64 v23, v24
	s_cbranch_execz .LBB1561_210
; %bb.204:
	v_add_co_u32 v17, vcc_lo, v17, 4
	v_add_co_ci_u32_e32 v18, vcc_lo, 0, v18, vcc_lo
	v_add_co_u32 v21, vcc_lo, v21, 4
	v_add_co_ci_u32_e32 v22, vcc_lo, 0, v22, vcc_lo
	s_add_u32 s4, s22, -1
	s_addc_u32 s5, s23, -1
	s_mov_b64 s[6:7], 0
	s_mov_b32 s19, 0
                                        ; implicit-def: $sgpr28
	s_set_inst_prefetch_distance 0x1
	s_branch .LBB1561_207
	.p2align	6
.LBB1561_205:                           ;   in Loop: Header=BB1561_207 Depth=1
	global_load_b32 v23, v[21:22], off
	global_load_b32 v24, v[17:18], off
	v_add_co_u32 v17, vcc_lo, v17, 4
	v_add_co_ci_u32_e32 v18, vcc_lo, 0, v18, vcc_lo
	v_add_co_u32 v21, s2, v21, 4
	s_delay_alu instid0(VALU_DEP_1)
	v_add_co_ci_u32_e64 v22, s2, 0, v22, s2
	s_add_u32 s6, s6, 1
	s_addc_u32 s7, s7, 0
	s_and_not1_b32 s2, s28, exec_lo
	s_waitcnt vmcnt(0)
	v_cmp_ne_u32_e32 vcc_lo, v23, v24
	s_and_b32 s28, vcc_lo, exec_lo
	s_delay_alu instid0(SALU_CYCLE_1)
	s_or_b32 s28, s2, s28
.LBB1561_206:                           ;   in Loop: Header=BB1561_207 Depth=1
	v_dual_mov_b32 v24, s7 :: v_dual_mov_b32 v23, s6
	s_and_b32 s2, exec_lo, s28
	s_delay_alu instid0(SALU_CYCLE_1) | instskip(NEXT) | instid1(SALU_CYCLE_1)
	s_or_b32 s19, s2, s19
	s_and_not1_b32 exec_lo, exec_lo, s19
	s_cbranch_execz .LBB1561_209
.LBB1561_207:                           ; =>This Inner Loop Header: Depth=1
	s_or_b32 s28, s28, exec_lo
	s_cmp_eq_u64 s[4:5], s[6:7]
	s_cbranch_scc0 .LBB1561_205
; %bb.208:                              ;   in Loop: Header=BB1561_207 Depth=1
	s_mov_b64 s[6:7], s[22:23]
                                        ; implicit-def: $vgpr17_vgpr18
                                        ; implicit-def: $vgpr21_vgpr22
	s_branch .LBB1561_206
.LBB1561_209:
	s_set_inst_prefetch_distance 0x2
	s_or_b32 exec_lo, exec_lo, s19
	v_cmp_gt_i64_e32 vcc_lo, s[22:23], v[23:24]
	s_or_not1_b32 s19, vcc_lo, exec_lo
.LBB1561_210:
	s_or_b32 exec_lo, exec_lo, s27
.LBB1561_211:
	v_mul_lo_u32 v21, v6, s22
	v_mul_lo_u32 v22, v5, s23
	v_mad_u64_u32 v[17:18], null, v5, s22, 0
	s_mov_b32 s27, 0
	s_and_not1_b32 vcc_lo, exec_lo, s3
	s_mov_b32 s28, 0
	s_delay_alu instid0(VALU_DEP_1) | instskip(NEXT) | instid1(VALU_DEP_1)
	v_add3_u32 v18, v18, v22, v21
	v_lshlrev_b64 v[21:22], 2, v[17:18]
	s_cbranch_vccnz .LBB1561_220
; %bb.212:
	s_delay_alu instid0(VALU_DEP_1) | instskip(NEXT) | instid1(VALU_DEP_2)
	v_add_co_u32 v23, vcc_lo, s8, v21
	v_add_co_ci_u32_e32 v24, vcc_lo, s9, v22, vcc_lo
	v_add_co_u32 v17, vcc_lo, s8, v19
	v_add_co_ci_u32_e32 v18, vcc_lo, s9, v20, vcc_lo
	s_mov_b32 s28, -1
	s_clause 0x1
	global_load_b32 v19, v[23:24], off
	global_load_b32 v20, v[17:18], off
	s_mov_b32 s29, exec_lo
	s_waitcnt vmcnt(0)
	v_cmpx_eq_u32_e64 v19, v20
	s_cbranch_execz .LBB1561_219
; %bb.213:
	v_add_co_u32 v17, vcc_lo, v17, 4
	v_add_co_ci_u32_e32 v18, vcc_lo, 0, v18, vcc_lo
	v_add_co_u32 v19, vcc_lo, v23, 4
	v_add_co_ci_u32_e32 v20, vcc_lo, 0, v24, vcc_lo
	s_add_u32 s4, s22, -1
	s_addc_u32 s5, s23, -1
	s_mov_b64 s[6:7], 0
	s_mov_b32 s28, 0
                                        ; implicit-def: $sgpr30
	s_set_inst_prefetch_distance 0x1
	s_branch .LBB1561_216
	.p2align	6
.LBB1561_214:                           ;   in Loop: Header=BB1561_216 Depth=1
	global_load_b32 v23, v[19:20], off
	global_load_b32 v24, v[17:18], off
	v_add_co_u32 v17, vcc_lo, v17, 4
	v_add_co_ci_u32_e32 v18, vcc_lo, 0, v18, vcc_lo
	v_add_co_u32 v19, s2, v19, 4
	s_delay_alu instid0(VALU_DEP_1)
	v_add_co_ci_u32_e64 v20, s2, 0, v20, s2
	s_add_u32 s6, s6, 1
	s_addc_u32 s7, s7, 0
	s_and_not1_b32 s2, s30, exec_lo
	s_waitcnt vmcnt(0)
	v_cmp_ne_u32_e32 vcc_lo, v23, v24
	s_and_b32 s30, vcc_lo, exec_lo
	s_delay_alu instid0(SALU_CYCLE_1)
	s_or_b32 s30, s2, s30
.LBB1561_215:                           ;   in Loop: Header=BB1561_216 Depth=1
	v_dual_mov_b32 v24, s7 :: v_dual_mov_b32 v23, s6
	s_and_b32 s2, exec_lo, s30
	s_delay_alu instid0(SALU_CYCLE_1) | instskip(NEXT) | instid1(SALU_CYCLE_1)
	s_or_b32 s28, s2, s28
	s_and_not1_b32 exec_lo, exec_lo, s28
	s_cbranch_execz .LBB1561_218
.LBB1561_216:                           ; =>This Inner Loop Header: Depth=1
	s_or_b32 s30, s30, exec_lo
	s_cmp_eq_u64 s[4:5], s[6:7]
	s_cbranch_scc0 .LBB1561_214
; %bb.217:                              ;   in Loop: Header=BB1561_216 Depth=1
	s_mov_b64 s[6:7], s[22:23]
                                        ; implicit-def: $vgpr17_vgpr18
                                        ; implicit-def: $vgpr19_vgpr20
	s_branch .LBB1561_215
.LBB1561_218:
	s_set_inst_prefetch_distance 0x2
	s_or_b32 exec_lo, exec_lo, s28
	v_cmp_gt_i64_e32 vcc_lo, s[22:23], v[23:24]
	s_or_not1_b32 s28, vcc_lo, exec_lo
.LBB1561_219:
	s_or_b32 exec_lo, exec_lo, s29
.LBB1561_220:
	v_mul_lo_u32 v19, v12, s22
	v_mul_lo_u32 v20, v11, s23
	v_mad_u64_u32 v[17:18], null, v11, s22, 0
	s_and_not1_b32 vcc_lo, exec_lo, s3
	s_delay_alu instid0(VALU_DEP_1) | instskip(NEXT) | instid1(VALU_DEP_1)
	v_add3_u32 v18, v18, v20, v19
	v_lshlrev_b64 v[17:18], 2, v[17:18]
	s_cbranch_vccnz .LBB1561_229
; %bb.221:
	s_delay_alu instid0(VALU_DEP_1) | instskip(NEXT) | instid1(VALU_DEP_2)
	v_add_co_u32 v23, vcc_lo, s8, v17
	v_add_co_ci_u32_e32 v24, vcc_lo, s9, v18, vcc_lo
	v_add_co_u32 v19, vcc_lo, s8, v21
	v_add_co_ci_u32_e32 v20, vcc_lo, s9, v22, vcc_lo
	s_mov_b32 s27, -1
	s_clause 0x1
	global_load_b32 v21, v[23:24], off
	global_load_b32 v22, v[19:20], off
	s_mov_b32 s29, exec_lo
	s_waitcnt vmcnt(0)
	v_cmpx_eq_u32_e64 v21, v22
	s_cbranch_execz .LBB1561_228
; %bb.222:
	v_add_co_u32 v19, vcc_lo, v19, 4
	v_add_co_ci_u32_e32 v20, vcc_lo, 0, v20, vcc_lo
	v_add_co_u32 v21, vcc_lo, v23, 4
	v_add_co_ci_u32_e32 v22, vcc_lo, 0, v24, vcc_lo
	s_add_u32 s4, s22, -1
	s_addc_u32 s5, s23, -1
	s_mov_b64 s[6:7], 0
	s_mov_b32 s27, 0
                                        ; implicit-def: $sgpr30
	s_set_inst_prefetch_distance 0x1
	s_branch .LBB1561_225
	.p2align	6
.LBB1561_223:                           ;   in Loop: Header=BB1561_225 Depth=1
	global_load_b32 v23, v[21:22], off
	global_load_b32 v24, v[19:20], off
	v_add_co_u32 v19, vcc_lo, v19, 4
	v_add_co_ci_u32_e32 v20, vcc_lo, 0, v20, vcc_lo
	v_add_co_u32 v21, s2, v21, 4
	s_delay_alu instid0(VALU_DEP_1)
	v_add_co_ci_u32_e64 v22, s2, 0, v22, s2
	s_add_u32 s6, s6, 1
	s_addc_u32 s7, s7, 0
	s_and_not1_b32 s2, s30, exec_lo
	s_waitcnt vmcnt(0)
	v_cmp_ne_u32_e32 vcc_lo, v23, v24
	s_and_b32 s30, vcc_lo, exec_lo
	s_delay_alu instid0(SALU_CYCLE_1)
	s_or_b32 s30, s2, s30
.LBB1561_224:                           ;   in Loop: Header=BB1561_225 Depth=1
	v_dual_mov_b32 v24, s7 :: v_dual_mov_b32 v23, s6
	s_and_b32 s2, exec_lo, s30
	s_delay_alu instid0(SALU_CYCLE_1) | instskip(NEXT) | instid1(SALU_CYCLE_1)
	s_or_b32 s27, s2, s27
	s_and_not1_b32 exec_lo, exec_lo, s27
	s_cbranch_execz .LBB1561_227
.LBB1561_225:                           ; =>This Inner Loop Header: Depth=1
	s_or_b32 s30, s30, exec_lo
	s_cmp_eq_u64 s[4:5], s[6:7]
	s_cbranch_scc0 .LBB1561_223
; %bb.226:                              ;   in Loop: Header=BB1561_225 Depth=1
	s_mov_b64 s[6:7], s[22:23]
                                        ; implicit-def: $vgpr19_vgpr20
                                        ; implicit-def: $vgpr21_vgpr22
	s_branch .LBB1561_224
.LBB1561_227:
	s_set_inst_prefetch_distance 0x2
	s_or_b32 exec_lo, exec_lo, s27
	v_cmp_gt_i64_e32 vcc_lo, s[22:23], v[23:24]
	s_or_not1_b32 s27, vcc_lo, exec_lo
.LBB1561_228:
	s_or_b32 exec_lo, exec_lo, s29
.LBB1561_229:
	v_mul_lo_u32 v21, v10, s22
	v_mul_lo_u32 v22, v9, s23
	v_mad_u64_u32 v[19:20], null, v9, s22, 0
	s_mov_b32 s29, 0
	s_and_not1_b32 vcc_lo, exec_lo, s3
	s_mov_b32 s30, 0
	s_delay_alu instid0(VALU_DEP_1) | instskip(NEXT) | instid1(VALU_DEP_1)
	v_add3_u32 v20, v20, v22, v21
	v_lshlrev_b64 v[19:20], 2, v[19:20]
	s_cbranch_vccnz .LBB1561_238
; %bb.230:
	s_delay_alu instid0(VALU_DEP_1) | instskip(NEXT) | instid1(VALU_DEP_2)
	v_add_co_u32 v21, vcc_lo, s8, v19
	v_add_co_ci_u32_e32 v22, vcc_lo, s9, v20, vcc_lo
	v_add_co_u32 v17, vcc_lo, s8, v17
	v_add_co_ci_u32_e32 v18, vcc_lo, s9, v18, vcc_lo
	s_mov_b32 s30, -1
	s_clause 0x1
	global_load_b32 v23, v[21:22], off
	global_load_b32 v24, v[17:18], off
	s_mov_b32 s31, exec_lo
	s_waitcnt vmcnt(0)
	v_cmpx_eq_u32_e64 v23, v24
	s_cbranch_execz .LBB1561_237
; %bb.231:
	v_add_co_u32 v17, vcc_lo, v17, 4
	v_add_co_ci_u32_e32 v18, vcc_lo, 0, v18, vcc_lo
	v_add_co_u32 v21, vcc_lo, v21, 4
	v_add_co_ci_u32_e32 v22, vcc_lo, 0, v22, vcc_lo
	s_add_u32 s4, s22, -1
	s_addc_u32 s5, s23, -1
	s_mov_b64 s[6:7], 0
	s_mov_b32 s30, 0
                                        ; implicit-def: $sgpr33
	s_set_inst_prefetch_distance 0x1
	s_branch .LBB1561_234
	.p2align	6
.LBB1561_232:                           ;   in Loop: Header=BB1561_234 Depth=1
	global_load_b32 v23, v[21:22], off
	global_load_b32 v24, v[17:18], off
	v_add_co_u32 v17, vcc_lo, v17, 4
	v_add_co_ci_u32_e32 v18, vcc_lo, 0, v18, vcc_lo
	v_add_co_u32 v21, s2, v21, 4
	s_delay_alu instid0(VALU_DEP_1)
	v_add_co_ci_u32_e64 v22, s2, 0, v22, s2
	s_add_u32 s6, s6, 1
	s_addc_u32 s7, s7, 0
	s_and_not1_b32 s2, s33, exec_lo
	s_waitcnt vmcnt(0)
	v_cmp_ne_u32_e32 vcc_lo, v23, v24
	s_and_b32 s33, vcc_lo, exec_lo
	s_delay_alu instid0(SALU_CYCLE_1)
	s_or_b32 s33, s2, s33
.LBB1561_233:                           ;   in Loop: Header=BB1561_234 Depth=1
	v_dual_mov_b32 v24, s7 :: v_dual_mov_b32 v23, s6
	s_and_b32 s2, exec_lo, s33
	s_delay_alu instid0(SALU_CYCLE_1) | instskip(NEXT) | instid1(SALU_CYCLE_1)
	s_or_b32 s30, s2, s30
	s_and_not1_b32 exec_lo, exec_lo, s30
	s_cbranch_execz .LBB1561_236
.LBB1561_234:                           ; =>This Inner Loop Header: Depth=1
	s_or_b32 s33, s33, exec_lo
	s_cmp_eq_u64 s[4:5], s[6:7]
	s_cbranch_scc0 .LBB1561_232
; %bb.235:                              ;   in Loop: Header=BB1561_234 Depth=1
	s_mov_b64 s[6:7], s[22:23]
                                        ; implicit-def: $vgpr17_vgpr18
                                        ; implicit-def: $vgpr21_vgpr22
	s_branch .LBB1561_233
.LBB1561_236:
	s_set_inst_prefetch_distance 0x2
	s_or_b32 exec_lo, exec_lo, s30
	v_cmp_gt_i64_e32 vcc_lo, s[22:23], v[23:24]
	s_or_not1_b32 s30, vcc_lo, exec_lo
.LBB1561_237:
	s_or_b32 exec_lo, exec_lo, s31
.LBB1561_238:
	v_mul_lo_u32 v21, v16, s22
	v_mul_lo_u32 v22, v15, s23
	v_mad_u64_u32 v[17:18], null, v15, s22, 0
	s_and_not1_b32 vcc_lo, exec_lo, s3
	s_delay_alu instid0(VALU_DEP_1) | instskip(NEXT) | instid1(VALU_DEP_1)
	v_add3_u32 v18, v18, v22, v21
	v_lshlrev_b64 v[17:18], 2, v[17:18]
	s_cbranch_vccnz .LBB1561_247
; %bb.239:
	s_delay_alu instid0(VALU_DEP_1) | instskip(NEXT) | instid1(VALU_DEP_2)
	v_add_co_u32 v21, vcc_lo, s8, v17
	v_add_co_ci_u32_e32 v22, vcc_lo, s9, v18, vcc_lo
	v_add_co_u32 v19, vcc_lo, s8, v19
	v_add_co_ci_u32_e32 v20, vcc_lo, s9, v20, vcc_lo
	s_mov_b32 s29, -1
	s_clause 0x1
	global_load_b32 v23, v[21:22], off
	global_load_b32 v24, v[19:20], off
	s_mov_b32 s31, exec_lo
	s_waitcnt vmcnt(0)
	v_cmpx_eq_u32_e64 v23, v24
	s_cbranch_execz .LBB1561_246
; %bb.240:
	v_add_co_u32 v19, vcc_lo, v19, 4
	v_add_co_ci_u32_e32 v20, vcc_lo, 0, v20, vcc_lo
	v_add_co_u32 v21, vcc_lo, v21, 4
	v_add_co_ci_u32_e32 v22, vcc_lo, 0, v22, vcc_lo
	s_add_u32 s4, s22, -1
	s_addc_u32 s5, s23, -1
	s_mov_b64 s[6:7], 0
	s_mov_b32 s29, 0
                                        ; implicit-def: $sgpr33
	s_set_inst_prefetch_distance 0x1
	s_branch .LBB1561_243
	.p2align	6
.LBB1561_241:                           ;   in Loop: Header=BB1561_243 Depth=1
	global_load_b32 v23, v[21:22], off
	global_load_b32 v24, v[19:20], off
	v_add_co_u32 v19, vcc_lo, v19, 4
	v_add_co_ci_u32_e32 v20, vcc_lo, 0, v20, vcc_lo
	v_add_co_u32 v21, s2, v21, 4
	s_delay_alu instid0(VALU_DEP_1)
	v_add_co_ci_u32_e64 v22, s2, 0, v22, s2
	s_add_u32 s6, s6, 1
	s_addc_u32 s7, s7, 0
	s_and_not1_b32 s2, s33, exec_lo
	s_waitcnt vmcnt(0)
	v_cmp_ne_u32_e32 vcc_lo, v23, v24
	s_and_b32 s33, vcc_lo, exec_lo
	s_delay_alu instid0(SALU_CYCLE_1)
	s_or_b32 s33, s2, s33
.LBB1561_242:                           ;   in Loop: Header=BB1561_243 Depth=1
	v_dual_mov_b32 v24, s7 :: v_dual_mov_b32 v23, s6
	s_and_b32 s2, exec_lo, s33
	s_delay_alu instid0(SALU_CYCLE_1) | instskip(NEXT) | instid1(SALU_CYCLE_1)
	s_or_b32 s29, s2, s29
	s_and_not1_b32 exec_lo, exec_lo, s29
	s_cbranch_execz .LBB1561_245
.LBB1561_243:                           ; =>This Inner Loop Header: Depth=1
	s_or_b32 s33, s33, exec_lo
	s_cmp_eq_u64 s[4:5], s[6:7]
	s_cbranch_scc0 .LBB1561_241
; %bb.244:                              ;   in Loop: Header=BB1561_243 Depth=1
	s_mov_b64 s[6:7], s[22:23]
                                        ; implicit-def: $vgpr19_vgpr20
                                        ; implicit-def: $vgpr21_vgpr22
	s_branch .LBB1561_242
.LBB1561_245:
	s_set_inst_prefetch_distance 0x2
	s_or_b32 exec_lo, exec_lo, s29
	v_cmp_gt_i64_e32 vcc_lo, s[22:23], v[23:24]
	s_or_not1_b32 s29, vcc_lo, exec_lo
.LBB1561_246:
	s_or_b32 exec_lo, exec_lo, s31
.LBB1561_247:
	v_mul_lo_u32 v21, v14, s22
	v_mul_lo_u32 v22, v13, s23
	v_mad_u64_u32 v[19:20], null, v13, s22, 0
	s_and_not1_b32 vcc_lo, exec_lo, s3
	s_mov_b32 s2, 0
	s_delay_alu instid0(VALU_DEP_1)
	v_add3_u32 v20, v20, v22, v21
	s_cbranch_vccnz .LBB1561_256
; %bb.248:
	s_delay_alu instid0(VALU_DEP_1) | instskip(SKIP_2) | instid1(VALU_DEP_1)
	v_lshlrev_b64 v[21:22], 2, v[19:20]
	s_mov_b32 s2, -1
	s_mov_b32 s31, exec_lo
	v_add_co_u32 v21, vcc_lo, s8, v21
	s_delay_alu instid0(VALU_DEP_2)
	v_add_co_ci_u32_e32 v22, vcc_lo, s9, v22, vcc_lo
	v_add_co_u32 v17, vcc_lo, s8, v17
	v_add_co_ci_u32_e32 v18, vcc_lo, s9, v18, vcc_lo
	s_clause 0x1
	global_load_b32 v23, v[21:22], off
	global_load_b32 v24, v[17:18], off
	s_waitcnt vmcnt(0)
	v_cmpx_eq_u32_e64 v23, v24
	s_cbranch_execz .LBB1561_255
; %bb.249:
	v_add_co_u32 v17, vcc_lo, v17, 4
	v_add_co_ci_u32_e32 v18, vcc_lo, 0, v18, vcc_lo
	v_add_co_u32 v21, vcc_lo, v21, 4
	v_add_co_ci_u32_e32 v22, vcc_lo, 0, v22, vcc_lo
	s_add_u32 s4, s22, -1
	s_addc_u32 s5, s23, -1
	s_mov_b64 s[6:7], 0
	s_mov_b32 s33, 0
                                        ; implicit-def: $sgpr34
	s_set_inst_prefetch_distance 0x1
	s_branch .LBB1561_252
	.p2align	6
.LBB1561_250:                           ;   in Loop: Header=BB1561_252 Depth=1
	global_load_b32 v23, v[21:22], off
	global_load_b32 v24, v[17:18], off
	v_add_co_u32 v17, vcc_lo, v17, 4
	v_add_co_ci_u32_e32 v18, vcc_lo, 0, v18, vcc_lo
	v_add_co_u32 v21, s2, v21, 4
	s_delay_alu instid0(VALU_DEP_1)
	v_add_co_ci_u32_e64 v22, s2, 0, v22, s2
	s_add_u32 s6, s6, 1
	s_addc_u32 s7, s7, 0
	s_and_not1_b32 s2, s34, exec_lo
	s_waitcnt vmcnt(0)
	v_cmp_ne_u32_e32 vcc_lo, v23, v24
	s_and_b32 s34, vcc_lo, exec_lo
	s_delay_alu instid0(SALU_CYCLE_1)
	s_or_b32 s34, s2, s34
.LBB1561_251:                           ;   in Loop: Header=BB1561_252 Depth=1
	v_dual_mov_b32 v24, s7 :: v_dual_mov_b32 v23, s6
	s_and_b32 s2, exec_lo, s34
	s_delay_alu instid0(SALU_CYCLE_1) | instskip(NEXT) | instid1(SALU_CYCLE_1)
	s_or_b32 s33, s2, s33
	s_and_not1_b32 exec_lo, exec_lo, s33
	s_cbranch_execz .LBB1561_254
.LBB1561_252:                           ; =>This Inner Loop Header: Depth=1
	s_or_b32 s34, s34, exec_lo
	s_cmp_eq_u64 s[4:5], s[6:7]
	s_cbranch_scc0 .LBB1561_250
; %bb.253:                              ;   in Loop: Header=BB1561_252 Depth=1
	s_mov_b64 s[6:7], s[22:23]
                                        ; implicit-def: $vgpr17_vgpr18
                                        ; implicit-def: $vgpr21_vgpr22
	s_branch .LBB1561_251
.LBB1561_254:
	s_set_inst_prefetch_distance 0x2
	s_or_b32 exec_lo, exec_lo, s33
	v_cmp_gt_i64_e32 vcc_lo, s[22:23], v[23:24]
	s_or_not1_b32 s2, vcc_lo, exec_lo
.LBB1561_255:
	s_or_b32 exec_lo, exec_lo, s31
.LBB1561_256:
	v_cndmask_b32_e64 v18, 0, 1, s30
	v_cndmask_b32_e64 v21, 0, 1, s28
	;; [unrolled: 1-line block ×7, first 2 shown]
	v_lshlrev_b16 v21, 8, v21
	v_lshlrev_b16 v22, 8, v22
	;; [unrolled: 1-line block ×4, first 2 shown]
	s_delay_alu instid0(VALU_DEP_4) | instskip(NEXT) | instid1(VALU_DEP_4)
	v_or_b32_e32 v21, v24, v21
	v_or_b32_e32 v22, v25, v22
	s_delay_alu instid0(VALU_DEP_4) | instskip(NEXT) | instid1(VALU_DEP_4)
	v_or_b32_e32 v23, 1, v23
	v_or_b32_e32 v17, v17, v18
	s_barrier
	v_and_b32_e32 v18, 0xffff, v21
	v_lshlrev_b32_e32 v21, 16, v22
	v_and_b32_e32 v22, 0xffff, v23
	v_lshlrev_b32_e32 v17, 16, v17
	buffer_gl0_inv
                                        ; implicit-def: $sgpr2
	s_mov_b32 s4, exec_lo
	v_or_b32_e32 v18, v18, v21
	v_or_b32_e32 v17, v22, v17
	v_cmpx_ne_u32_e32 0, v0
	s_xor_b32 s19, exec_lo, s4
	s_cbranch_execz .LBB1561_267
; %bb.257:
	s_and_not1_b32 vcc_lo, exec_lo, s3
	s_mov_b32 s2, 0
	s_cbranch_vccnz .LBB1561_266
; %bb.258:
	v_add_nc_u32_e32 v21, -8, v39
	v_lshlrev_b64 v[19:20], 2, v[19:20]
	s_mov_b32 s2, -1
	s_mov_b32 s26, exec_lo
	ds_load_b64 v[21:22], v21
	s_waitcnt lgkmcnt(0)
	v_mul_lo_u32 v24, v22, s22
	v_mul_lo_u32 v25, v21, s23
	v_mad_u64_u32 v[22:23], null, v21, s22, 0
	s_delay_alu instid0(VALU_DEP_1) | instskip(NEXT) | instid1(VALU_DEP_1)
	v_add3_u32 v23, v23, v25, v24
	v_lshlrev_b64 v[21:22], 2, v[22:23]
	s_delay_alu instid0(VALU_DEP_1) | instskip(NEXT) | instid1(VALU_DEP_2)
	v_add_co_u32 v21, vcc_lo, s8, v21
	v_add_co_ci_u32_e32 v22, vcc_lo, s9, v22, vcc_lo
	v_add_co_u32 v19, vcc_lo, s8, v19
	v_add_co_ci_u32_e32 v20, vcc_lo, s9, v20, vcc_lo
	s_clause 0x1
	global_load_b32 v23, v[21:22], off
	global_load_b32 v24, v[19:20], off
	s_waitcnt vmcnt(0)
	v_cmpx_eq_u32_e64 v23, v24
	s_cbranch_execz .LBB1561_265
; %bb.259:
	v_add_co_u32 v19, vcc_lo, v19, 4
	v_add_co_ci_u32_e32 v20, vcc_lo, 0, v20, vcc_lo
	v_add_co_u32 v21, vcc_lo, v21, 4
	v_add_co_ci_u32_e32 v22, vcc_lo, 0, v22, vcc_lo
	s_add_u32 s4, s22, -1
	s_addc_u32 s5, s23, -1
	s_mov_b64 s[6:7], 0
	s_mov_b32 s27, 0
                                        ; implicit-def: $sgpr28
	s_set_inst_prefetch_distance 0x1
	s_branch .LBB1561_262
	.p2align	6
.LBB1561_260:                           ;   in Loop: Header=BB1561_262 Depth=1
	global_load_b32 v23, v[21:22], off
	global_load_b32 v24, v[19:20], off
	v_add_co_u32 v19, vcc_lo, v19, 4
	v_add_co_ci_u32_e32 v20, vcc_lo, 0, v20, vcc_lo
	v_add_co_u32 v21, s2, v21, 4
	s_delay_alu instid0(VALU_DEP_1)
	v_add_co_ci_u32_e64 v22, s2, 0, v22, s2
	s_add_u32 s6, s6, 1
	s_addc_u32 s7, s7, 0
	s_and_not1_b32 s2, s28, exec_lo
	s_waitcnt vmcnt(0)
	v_cmp_ne_u32_e32 vcc_lo, v23, v24
	s_and_b32 s28, vcc_lo, exec_lo
	s_delay_alu instid0(SALU_CYCLE_1)
	s_or_b32 s28, s2, s28
.LBB1561_261:                           ;   in Loop: Header=BB1561_262 Depth=1
	v_dual_mov_b32 v24, s7 :: v_dual_mov_b32 v23, s6
	s_and_b32 s2, exec_lo, s28
	s_delay_alu instid0(SALU_CYCLE_1) | instskip(NEXT) | instid1(SALU_CYCLE_1)
	s_or_b32 s27, s2, s27
	s_and_not1_b32 exec_lo, exec_lo, s27
	s_cbranch_execz .LBB1561_264
.LBB1561_262:                           ; =>This Inner Loop Header: Depth=1
	s_or_b32 s28, s28, exec_lo
	s_cmp_eq_u64 s[4:5], s[6:7]
	s_cbranch_scc0 .LBB1561_260
; %bb.263:                              ;   in Loop: Header=BB1561_262 Depth=1
	s_mov_b64 s[6:7], s[22:23]
                                        ; implicit-def: $vgpr19_vgpr20
                                        ; implicit-def: $vgpr21_vgpr22
	s_branch .LBB1561_261
.LBB1561_264:
	s_set_inst_prefetch_distance 0x2
	s_or_b32 exec_lo, exec_lo, s27
	v_cmp_gt_i64_e32 vcc_lo, s[22:23], v[23:24]
	s_or_not1_b32 s2, vcc_lo, exec_lo
.LBB1561_265:
	s_or_b32 exec_lo, exec_lo, s26
.LBB1561_266:
	s_delay_alu instid0(SALU_CYCLE_1)
	s_and_b32 s2, s2, exec_lo
	s_or_b32 s18, s18, exec_lo
.LBB1561_267:
	s_or_b32 exec_lo, exec_lo, s19
	s_branch .LBB1561_359
.LBB1561_268:
	v_or_b32_e32 v17, 7, v39
	s_mov_b32 s19, 0
	s_mov_b32 s26, 0
	s_mov_b32 s27, exec_lo
	s_delay_alu instid0(VALU_DEP_1)
	v_cmpx_gt_u32_e64 s20, v17
	s_cbranch_execz .LBB1561_279
; %bb.269:
	s_and_not1_b32 vcc_lo, exec_lo, s3
	s_mov_b32 s2, 0
	s_cbranch_vccnz .LBB1561_278
; %bb.270:
	v_mul_lo_u32 v21, v2, s22
	v_mul_lo_u32 v22, v1, s23
	v_mad_u64_u32 v[17:18], null, v1, s22, 0
	v_mul_lo_u32 v23, v4, s22
	v_mul_lo_u32 v24, v3, s23
	v_mad_u64_u32 v[19:20], null, v3, s22, 0
	s_mov_b32 s2, -1
	s_mov_b32 s26, exec_lo
	s_delay_alu instid0(VALU_DEP_4) | instskip(NEXT) | instid1(VALU_DEP_2)
	v_add3_u32 v18, v18, v22, v21
	v_add3_u32 v20, v20, v24, v23
	s_delay_alu instid0(VALU_DEP_2) | instskip(NEXT) | instid1(VALU_DEP_2)
	v_lshlrev_b64 v[17:18], 2, v[17:18]
	v_lshlrev_b64 v[21:22], 2, v[19:20]
	s_delay_alu instid0(VALU_DEP_2) | instskip(NEXT) | instid1(VALU_DEP_3)
	v_add_co_u32 v19, vcc_lo, s8, v17
	v_add_co_ci_u32_e32 v20, vcc_lo, s9, v18, vcc_lo
	s_delay_alu instid0(VALU_DEP_3) | instskip(NEXT) | instid1(VALU_DEP_4)
	v_add_co_u32 v17, vcc_lo, s8, v21
	v_add_co_ci_u32_e32 v18, vcc_lo, s9, v22, vcc_lo
	s_clause 0x1
	global_load_b32 v21, v[19:20], off
	global_load_b32 v22, v[17:18], off
	s_waitcnt vmcnt(0)
	v_cmpx_eq_u32_e64 v21, v22
	s_cbranch_execz .LBB1561_277
; %bb.271:
	v_add_co_u32 v17, vcc_lo, v17, 4
	v_add_co_ci_u32_e32 v18, vcc_lo, 0, v18, vcc_lo
	v_add_co_u32 v19, vcc_lo, v19, 4
	v_add_co_ci_u32_e32 v20, vcc_lo, 0, v20, vcc_lo
	s_add_u32 s4, s22, -1
	s_addc_u32 s5, s23, -1
	s_mov_b64 s[6:7], 0
	s_mov_b32 s28, 0
                                        ; implicit-def: $sgpr29
	s_set_inst_prefetch_distance 0x1
	s_branch .LBB1561_274
	.p2align	6
.LBB1561_272:                           ;   in Loop: Header=BB1561_274 Depth=1
	global_load_b32 v21, v[19:20], off
	global_load_b32 v22, v[17:18], off
	v_add_co_u32 v17, vcc_lo, v17, 4
	v_add_co_ci_u32_e32 v18, vcc_lo, 0, v18, vcc_lo
	v_add_co_u32 v19, s2, v19, 4
	s_delay_alu instid0(VALU_DEP_1)
	v_add_co_ci_u32_e64 v20, s2, 0, v20, s2
	s_add_u32 s6, s6, 1
	s_addc_u32 s7, s7, 0
	s_and_not1_b32 s2, s29, exec_lo
	s_waitcnt vmcnt(0)
	v_cmp_ne_u32_e32 vcc_lo, v21, v22
	s_and_b32 s29, vcc_lo, exec_lo
	s_delay_alu instid0(SALU_CYCLE_1)
	s_or_b32 s29, s2, s29
.LBB1561_273:                           ;   in Loop: Header=BB1561_274 Depth=1
	v_dual_mov_b32 v22, s7 :: v_dual_mov_b32 v21, s6
	s_and_b32 s2, exec_lo, s29
	s_delay_alu instid0(SALU_CYCLE_1) | instskip(NEXT) | instid1(SALU_CYCLE_1)
	s_or_b32 s28, s2, s28
	s_and_not1_b32 exec_lo, exec_lo, s28
	s_cbranch_execz .LBB1561_276
.LBB1561_274:                           ; =>This Inner Loop Header: Depth=1
	s_or_b32 s29, s29, exec_lo
	s_cmp_eq_u64 s[4:5], s[6:7]
	s_cbranch_scc0 .LBB1561_272
; %bb.275:                              ;   in Loop: Header=BB1561_274 Depth=1
	s_mov_b64 s[6:7], s[22:23]
                                        ; implicit-def: $vgpr17_vgpr18
                                        ; implicit-def: $vgpr19_vgpr20
	s_branch .LBB1561_273
.LBB1561_276:
	s_set_inst_prefetch_distance 0x2
	s_or_b32 exec_lo, exec_lo, s28
	v_cmp_gt_i64_e32 vcc_lo, s[22:23], v[21:22]
	s_or_not1_b32 s2, vcc_lo, exec_lo
.LBB1561_277:
	s_or_b32 exec_lo, exec_lo, s26
.LBB1561_278:
	s_delay_alu instid0(SALU_CYCLE_1)
	s_and_b32 s26, s2, exec_lo
.LBB1561_279:
	s_or_b32 exec_lo, exec_lo, s27
	v_or_b32_e32 v17, 6, v39
	s_mov_b32 s27, exec_lo
	s_delay_alu instid0(VALU_DEP_1)
	v_cmpx_gt_u32_e64 s20, v17
	s_cbranch_execz .LBB1561_290
; %bb.280:
	s_and_not1_b32 vcc_lo, exec_lo, s3
	s_mov_b32 s2, 0
	s_cbranch_vccnz .LBB1561_289
; %bb.281:
	v_mul_lo_u32 v21, v8, s22
	v_mul_lo_u32 v22, v7, s23
	v_mad_u64_u32 v[17:18], null, v7, s22, 0
	v_mul_lo_u32 v23, v2, s22
	v_mul_lo_u32 v24, v1, s23
	v_mad_u64_u32 v[19:20], null, v1, s22, 0
	s_mov_b32 s2, -1
	s_mov_b32 s19, exec_lo
	s_delay_alu instid0(VALU_DEP_4) | instskip(NEXT) | instid1(VALU_DEP_2)
	v_add3_u32 v18, v18, v22, v21
	v_add3_u32 v20, v20, v24, v23
	s_delay_alu instid0(VALU_DEP_2) | instskip(NEXT) | instid1(VALU_DEP_2)
	v_lshlrev_b64 v[17:18], 2, v[17:18]
	v_lshlrev_b64 v[21:22], 2, v[19:20]
	s_delay_alu instid0(VALU_DEP_2) | instskip(NEXT) | instid1(VALU_DEP_3)
	v_add_co_u32 v19, vcc_lo, s8, v17
	v_add_co_ci_u32_e32 v20, vcc_lo, s9, v18, vcc_lo
	s_delay_alu instid0(VALU_DEP_3) | instskip(NEXT) | instid1(VALU_DEP_4)
	v_add_co_u32 v17, vcc_lo, s8, v21
	v_add_co_ci_u32_e32 v18, vcc_lo, s9, v22, vcc_lo
	s_clause 0x1
	global_load_b32 v21, v[19:20], off
	global_load_b32 v22, v[17:18], off
	s_waitcnt vmcnt(0)
	v_cmpx_eq_u32_e64 v21, v22
	s_cbranch_execz .LBB1561_288
; %bb.282:
	v_add_co_u32 v17, vcc_lo, v17, 4
	v_add_co_ci_u32_e32 v18, vcc_lo, 0, v18, vcc_lo
	v_add_co_u32 v19, vcc_lo, v19, 4
	v_add_co_ci_u32_e32 v20, vcc_lo, 0, v20, vcc_lo
	s_add_u32 s4, s22, -1
	s_addc_u32 s5, s23, -1
	s_mov_b64 s[6:7], 0
	s_mov_b32 s28, 0
                                        ; implicit-def: $sgpr29
	s_set_inst_prefetch_distance 0x1
	s_branch .LBB1561_285
	.p2align	6
.LBB1561_283:                           ;   in Loop: Header=BB1561_285 Depth=1
	global_load_b32 v21, v[19:20], off
	global_load_b32 v22, v[17:18], off
	v_add_co_u32 v17, vcc_lo, v17, 4
	v_add_co_ci_u32_e32 v18, vcc_lo, 0, v18, vcc_lo
	v_add_co_u32 v19, s2, v19, 4
	s_delay_alu instid0(VALU_DEP_1)
	v_add_co_ci_u32_e64 v20, s2, 0, v20, s2
	s_add_u32 s6, s6, 1
	s_addc_u32 s7, s7, 0
	s_and_not1_b32 s2, s29, exec_lo
	s_waitcnt vmcnt(0)
	v_cmp_ne_u32_e32 vcc_lo, v21, v22
	s_and_b32 s29, vcc_lo, exec_lo
	s_delay_alu instid0(SALU_CYCLE_1)
	s_or_b32 s29, s2, s29
.LBB1561_284:                           ;   in Loop: Header=BB1561_285 Depth=1
	v_dual_mov_b32 v22, s7 :: v_dual_mov_b32 v21, s6
	s_and_b32 s2, exec_lo, s29
	s_delay_alu instid0(SALU_CYCLE_1) | instskip(NEXT) | instid1(SALU_CYCLE_1)
	s_or_b32 s28, s2, s28
	s_and_not1_b32 exec_lo, exec_lo, s28
	s_cbranch_execz .LBB1561_287
.LBB1561_285:                           ; =>This Inner Loop Header: Depth=1
	s_or_b32 s29, s29, exec_lo
	s_cmp_eq_u64 s[4:5], s[6:7]
	s_cbranch_scc0 .LBB1561_283
; %bb.286:                              ;   in Loop: Header=BB1561_285 Depth=1
	s_mov_b64 s[6:7], s[22:23]
                                        ; implicit-def: $vgpr17_vgpr18
                                        ; implicit-def: $vgpr19_vgpr20
	s_branch .LBB1561_284
.LBB1561_287:
	s_set_inst_prefetch_distance 0x2
	s_or_b32 exec_lo, exec_lo, s28
	v_cmp_gt_i64_e32 vcc_lo, s[22:23], v[21:22]
	s_or_not1_b32 s2, vcc_lo, exec_lo
.LBB1561_288:
	s_or_b32 exec_lo, exec_lo, s19
.LBB1561_289:
	s_delay_alu instid0(SALU_CYCLE_1)
	s_and_b32 s19, s2, exec_lo
.LBB1561_290:
	s_or_b32 exec_lo, exec_lo, s27
	v_or_b32_e32 v17, 5, v39
	s_mov_b32 s27, 0
	s_mov_b32 s28, 0
	s_mov_b32 s29, exec_lo
	s_delay_alu instid0(VALU_DEP_1)
	v_cmpx_gt_u32_e64 s20, v17
	s_cbranch_execz .LBB1561_301
; %bb.291:
	s_and_not1_b32 vcc_lo, exec_lo, s3
	s_mov_b32 s2, 0
	s_cbranch_vccnz .LBB1561_300
; %bb.292:
	v_mul_lo_u32 v21, v6, s22
	v_mul_lo_u32 v22, v5, s23
	v_mad_u64_u32 v[17:18], null, v5, s22, 0
	v_mul_lo_u32 v23, v8, s22
	v_mul_lo_u32 v24, v7, s23
	v_mad_u64_u32 v[19:20], null, v7, s22, 0
	s_mov_b32 s2, -1
	s_mov_b32 s28, exec_lo
	s_delay_alu instid0(VALU_DEP_4) | instskip(NEXT) | instid1(VALU_DEP_2)
	v_add3_u32 v18, v18, v22, v21
	v_add3_u32 v20, v20, v24, v23
	s_delay_alu instid0(VALU_DEP_2) | instskip(NEXT) | instid1(VALU_DEP_2)
	v_lshlrev_b64 v[17:18], 2, v[17:18]
	v_lshlrev_b64 v[21:22], 2, v[19:20]
	s_delay_alu instid0(VALU_DEP_2) | instskip(NEXT) | instid1(VALU_DEP_3)
	v_add_co_u32 v19, vcc_lo, s8, v17
	v_add_co_ci_u32_e32 v20, vcc_lo, s9, v18, vcc_lo
	s_delay_alu instid0(VALU_DEP_3) | instskip(NEXT) | instid1(VALU_DEP_4)
	v_add_co_u32 v17, vcc_lo, s8, v21
	v_add_co_ci_u32_e32 v18, vcc_lo, s9, v22, vcc_lo
	s_clause 0x1
	global_load_b32 v21, v[19:20], off
	global_load_b32 v22, v[17:18], off
	s_waitcnt vmcnt(0)
	v_cmpx_eq_u32_e64 v21, v22
	s_cbranch_execz .LBB1561_299
; %bb.293:
	v_add_co_u32 v17, vcc_lo, v17, 4
	v_add_co_ci_u32_e32 v18, vcc_lo, 0, v18, vcc_lo
	v_add_co_u32 v19, vcc_lo, v19, 4
	v_add_co_ci_u32_e32 v20, vcc_lo, 0, v20, vcc_lo
	s_add_u32 s4, s22, -1
	s_addc_u32 s5, s23, -1
	s_mov_b64 s[6:7], 0
	s_mov_b32 s30, 0
                                        ; implicit-def: $sgpr31
	s_set_inst_prefetch_distance 0x1
	s_branch .LBB1561_296
	.p2align	6
.LBB1561_294:                           ;   in Loop: Header=BB1561_296 Depth=1
	global_load_b32 v21, v[19:20], off
	global_load_b32 v22, v[17:18], off
	v_add_co_u32 v17, vcc_lo, v17, 4
	v_add_co_ci_u32_e32 v18, vcc_lo, 0, v18, vcc_lo
	v_add_co_u32 v19, s2, v19, 4
	s_delay_alu instid0(VALU_DEP_1)
	v_add_co_ci_u32_e64 v20, s2, 0, v20, s2
	s_add_u32 s6, s6, 1
	s_addc_u32 s7, s7, 0
	s_and_not1_b32 s2, s31, exec_lo
	s_waitcnt vmcnt(0)
	v_cmp_ne_u32_e32 vcc_lo, v21, v22
	s_and_b32 s31, vcc_lo, exec_lo
	s_delay_alu instid0(SALU_CYCLE_1)
	s_or_b32 s31, s2, s31
.LBB1561_295:                           ;   in Loop: Header=BB1561_296 Depth=1
	v_dual_mov_b32 v22, s7 :: v_dual_mov_b32 v21, s6
	s_and_b32 s2, exec_lo, s31
	s_delay_alu instid0(SALU_CYCLE_1) | instskip(NEXT) | instid1(SALU_CYCLE_1)
	s_or_b32 s30, s2, s30
	s_and_not1_b32 exec_lo, exec_lo, s30
	s_cbranch_execz .LBB1561_298
.LBB1561_296:                           ; =>This Inner Loop Header: Depth=1
	s_or_b32 s31, s31, exec_lo
	s_cmp_eq_u64 s[4:5], s[6:7]
	s_cbranch_scc0 .LBB1561_294
; %bb.297:                              ;   in Loop: Header=BB1561_296 Depth=1
	s_mov_b64 s[6:7], s[22:23]
                                        ; implicit-def: $vgpr17_vgpr18
                                        ; implicit-def: $vgpr19_vgpr20
	s_branch .LBB1561_295
.LBB1561_298:
	s_set_inst_prefetch_distance 0x2
	s_or_b32 exec_lo, exec_lo, s30
	v_cmp_gt_i64_e32 vcc_lo, s[22:23], v[21:22]
	s_or_not1_b32 s2, vcc_lo, exec_lo
.LBB1561_299:
	s_or_b32 exec_lo, exec_lo, s28
.LBB1561_300:
	s_delay_alu instid0(SALU_CYCLE_1)
	s_and_b32 s28, s2, exec_lo
.LBB1561_301:
	s_or_b32 exec_lo, exec_lo, s29
	v_or_b32_e32 v17, 4, v39
	s_mov_b32 s29, exec_lo
	s_delay_alu instid0(VALU_DEP_1)
	v_cmpx_gt_u32_e64 s20, v17
	s_cbranch_execz .LBB1561_312
; %bb.302:
	s_and_not1_b32 vcc_lo, exec_lo, s3
	s_mov_b32 s2, 0
	s_cbranch_vccnz .LBB1561_311
; %bb.303:
	v_mul_lo_u32 v21, v12, s22
	v_mul_lo_u32 v22, v11, s23
	v_mad_u64_u32 v[17:18], null, v11, s22, 0
	v_mul_lo_u32 v23, v6, s22
	v_mul_lo_u32 v24, v5, s23
	v_mad_u64_u32 v[19:20], null, v5, s22, 0
	s_mov_b32 s2, -1
	s_mov_b32 s27, exec_lo
	s_delay_alu instid0(VALU_DEP_4) | instskip(NEXT) | instid1(VALU_DEP_2)
	v_add3_u32 v18, v18, v22, v21
	v_add3_u32 v20, v20, v24, v23
	s_delay_alu instid0(VALU_DEP_2) | instskip(NEXT) | instid1(VALU_DEP_2)
	v_lshlrev_b64 v[17:18], 2, v[17:18]
	v_lshlrev_b64 v[21:22], 2, v[19:20]
	s_delay_alu instid0(VALU_DEP_2) | instskip(NEXT) | instid1(VALU_DEP_3)
	v_add_co_u32 v19, vcc_lo, s8, v17
	v_add_co_ci_u32_e32 v20, vcc_lo, s9, v18, vcc_lo
	s_delay_alu instid0(VALU_DEP_3) | instskip(NEXT) | instid1(VALU_DEP_4)
	v_add_co_u32 v17, vcc_lo, s8, v21
	v_add_co_ci_u32_e32 v18, vcc_lo, s9, v22, vcc_lo
	s_clause 0x1
	global_load_b32 v21, v[19:20], off
	global_load_b32 v22, v[17:18], off
	s_waitcnt vmcnt(0)
	v_cmpx_eq_u32_e64 v21, v22
	s_cbranch_execz .LBB1561_310
; %bb.304:
	v_add_co_u32 v17, vcc_lo, v17, 4
	v_add_co_ci_u32_e32 v18, vcc_lo, 0, v18, vcc_lo
	v_add_co_u32 v19, vcc_lo, v19, 4
	v_add_co_ci_u32_e32 v20, vcc_lo, 0, v20, vcc_lo
	s_add_u32 s4, s22, -1
	s_addc_u32 s5, s23, -1
	s_mov_b64 s[6:7], 0
	s_mov_b32 s30, 0
                                        ; implicit-def: $sgpr31
	s_set_inst_prefetch_distance 0x1
	s_branch .LBB1561_307
	.p2align	6
.LBB1561_305:                           ;   in Loop: Header=BB1561_307 Depth=1
	global_load_b32 v21, v[19:20], off
	global_load_b32 v22, v[17:18], off
	v_add_co_u32 v17, vcc_lo, v17, 4
	v_add_co_ci_u32_e32 v18, vcc_lo, 0, v18, vcc_lo
	v_add_co_u32 v19, s2, v19, 4
	s_delay_alu instid0(VALU_DEP_1)
	v_add_co_ci_u32_e64 v20, s2, 0, v20, s2
	s_add_u32 s6, s6, 1
	s_addc_u32 s7, s7, 0
	s_and_not1_b32 s2, s31, exec_lo
	s_waitcnt vmcnt(0)
	v_cmp_ne_u32_e32 vcc_lo, v21, v22
	s_and_b32 s31, vcc_lo, exec_lo
	s_delay_alu instid0(SALU_CYCLE_1)
	s_or_b32 s31, s2, s31
.LBB1561_306:                           ;   in Loop: Header=BB1561_307 Depth=1
	v_dual_mov_b32 v22, s7 :: v_dual_mov_b32 v21, s6
	s_and_b32 s2, exec_lo, s31
	s_delay_alu instid0(SALU_CYCLE_1) | instskip(NEXT) | instid1(SALU_CYCLE_1)
	s_or_b32 s30, s2, s30
	s_and_not1_b32 exec_lo, exec_lo, s30
	s_cbranch_execz .LBB1561_309
.LBB1561_307:                           ; =>This Inner Loop Header: Depth=1
	s_or_b32 s31, s31, exec_lo
	s_cmp_eq_u64 s[4:5], s[6:7]
	s_cbranch_scc0 .LBB1561_305
; %bb.308:                              ;   in Loop: Header=BB1561_307 Depth=1
	s_mov_b64 s[6:7], s[22:23]
                                        ; implicit-def: $vgpr17_vgpr18
                                        ; implicit-def: $vgpr19_vgpr20
	s_branch .LBB1561_306
.LBB1561_309:
	s_set_inst_prefetch_distance 0x2
	s_or_b32 exec_lo, exec_lo, s30
	v_cmp_gt_i64_e32 vcc_lo, s[22:23], v[21:22]
	s_or_not1_b32 s2, vcc_lo, exec_lo
.LBB1561_310:
	s_or_b32 exec_lo, exec_lo, s27
.LBB1561_311:
	s_delay_alu instid0(SALU_CYCLE_1)
	s_and_b32 s27, s2, exec_lo
.LBB1561_312:
	s_or_b32 exec_lo, exec_lo, s29
	v_or_b32_e32 v17, 3, v39
	s_mov_b32 s30, 0
	s_mov_b32 s29, 0
	s_mov_b32 s31, exec_lo
	s_delay_alu instid0(VALU_DEP_1)
	v_cmpx_gt_u32_e64 s20, v17
	s_cbranch_execz .LBB1561_323
; %bb.313:
	s_and_not1_b32 vcc_lo, exec_lo, s3
	s_mov_b32 s2, 0
	s_cbranch_vccnz .LBB1561_322
; %bb.314:
	v_mul_lo_u32 v21, v10, s22
	v_mul_lo_u32 v22, v9, s23
	v_mad_u64_u32 v[17:18], null, v9, s22, 0
	v_mul_lo_u32 v23, v12, s22
	v_mul_lo_u32 v24, v11, s23
	v_mad_u64_u32 v[19:20], null, v11, s22, 0
	s_mov_b32 s2, -1
	s_mov_b32 s29, exec_lo
	s_delay_alu instid0(VALU_DEP_4) | instskip(NEXT) | instid1(VALU_DEP_2)
	v_add3_u32 v18, v18, v22, v21
	v_add3_u32 v20, v20, v24, v23
	s_delay_alu instid0(VALU_DEP_2) | instskip(NEXT) | instid1(VALU_DEP_2)
	v_lshlrev_b64 v[17:18], 2, v[17:18]
	v_lshlrev_b64 v[21:22], 2, v[19:20]
	s_delay_alu instid0(VALU_DEP_2) | instskip(NEXT) | instid1(VALU_DEP_3)
	v_add_co_u32 v19, vcc_lo, s8, v17
	v_add_co_ci_u32_e32 v20, vcc_lo, s9, v18, vcc_lo
	s_delay_alu instid0(VALU_DEP_3) | instskip(NEXT) | instid1(VALU_DEP_4)
	v_add_co_u32 v17, vcc_lo, s8, v21
	v_add_co_ci_u32_e32 v18, vcc_lo, s9, v22, vcc_lo
	s_clause 0x1
	global_load_b32 v21, v[19:20], off
	global_load_b32 v22, v[17:18], off
	s_waitcnt vmcnt(0)
	v_cmpx_eq_u32_e64 v21, v22
	s_cbranch_execz .LBB1561_321
; %bb.315:
	v_add_co_u32 v17, vcc_lo, v17, 4
	v_add_co_ci_u32_e32 v18, vcc_lo, 0, v18, vcc_lo
	v_add_co_u32 v19, vcc_lo, v19, 4
	v_add_co_ci_u32_e32 v20, vcc_lo, 0, v20, vcc_lo
	s_add_u32 s4, s22, -1
	s_addc_u32 s5, s23, -1
	s_mov_b64 s[6:7], 0
	s_mov_b32 s33, 0
                                        ; implicit-def: $sgpr34
	s_set_inst_prefetch_distance 0x1
	s_branch .LBB1561_318
	.p2align	6
.LBB1561_316:                           ;   in Loop: Header=BB1561_318 Depth=1
	global_load_b32 v21, v[19:20], off
	global_load_b32 v22, v[17:18], off
	v_add_co_u32 v17, vcc_lo, v17, 4
	v_add_co_ci_u32_e32 v18, vcc_lo, 0, v18, vcc_lo
	v_add_co_u32 v19, s2, v19, 4
	s_delay_alu instid0(VALU_DEP_1)
	v_add_co_ci_u32_e64 v20, s2, 0, v20, s2
	s_add_u32 s6, s6, 1
	s_addc_u32 s7, s7, 0
	s_and_not1_b32 s2, s34, exec_lo
	s_waitcnt vmcnt(0)
	v_cmp_ne_u32_e32 vcc_lo, v21, v22
	s_and_b32 s34, vcc_lo, exec_lo
	s_delay_alu instid0(SALU_CYCLE_1)
	s_or_b32 s34, s2, s34
.LBB1561_317:                           ;   in Loop: Header=BB1561_318 Depth=1
	v_dual_mov_b32 v22, s7 :: v_dual_mov_b32 v21, s6
	s_and_b32 s2, exec_lo, s34
	s_delay_alu instid0(SALU_CYCLE_1) | instskip(NEXT) | instid1(SALU_CYCLE_1)
	s_or_b32 s33, s2, s33
	s_and_not1_b32 exec_lo, exec_lo, s33
	s_cbranch_execz .LBB1561_320
.LBB1561_318:                           ; =>This Inner Loop Header: Depth=1
	s_or_b32 s34, s34, exec_lo
	s_cmp_eq_u64 s[4:5], s[6:7]
	s_cbranch_scc0 .LBB1561_316
; %bb.319:                              ;   in Loop: Header=BB1561_318 Depth=1
	s_mov_b64 s[6:7], s[22:23]
                                        ; implicit-def: $vgpr17_vgpr18
                                        ; implicit-def: $vgpr19_vgpr20
	s_branch .LBB1561_317
.LBB1561_320:
	s_set_inst_prefetch_distance 0x2
	s_or_b32 exec_lo, exec_lo, s33
	v_cmp_gt_i64_e32 vcc_lo, s[22:23], v[21:22]
	s_or_not1_b32 s2, vcc_lo, exec_lo
.LBB1561_321:
	s_or_b32 exec_lo, exec_lo, s29
.LBB1561_322:
	s_delay_alu instid0(SALU_CYCLE_1)
	s_and_b32 s29, s2, exec_lo
.LBB1561_323:
	s_or_b32 exec_lo, exec_lo, s31
	v_or_b32_e32 v17, 2, v39
	s_mov_b32 s31, exec_lo
	s_delay_alu instid0(VALU_DEP_1)
	v_cmpx_gt_u32_e64 s20, v17
	s_cbranch_execz .LBB1561_334
; %bb.324:
	s_and_not1_b32 vcc_lo, exec_lo, s3
	s_mov_b32 s2, 0
	s_cbranch_vccnz .LBB1561_333
; %bb.325:
	v_mul_lo_u32 v21, v16, s22
	v_mul_lo_u32 v22, v15, s23
	v_mad_u64_u32 v[17:18], null, v15, s22, 0
	v_mul_lo_u32 v23, v10, s22
	v_mul_lo_u32 v24, v9, s23
	v_mad_u64_u32 v[19:20], null, v9, s22, 0
	s_mov_b32 s2, -1
	s_mov_b32 s30, exec_lo
	s_delay_alu instid0(VALU_DEP_4) | instskip(NEXT) | instid1(VALU_DEP_2)
	v_add3_u32 v18, v18, v22, v21
	v_add3_u32 v20, v20, v24, v23
	s_delay_alu instid0(VALU_DEP_2) | instskip(NEXT) | instid1(VALU_DEP_2)
	v_lshlrev_b64 v[17:18], 2, v[17:18]
	v_lshlrev_b64 v[21:22], 2, v[19:20]
	s_delay_alu instid0(VALU_DEP_2) | instskip(NEXT) | instid1(VALU_DEP_3)
	v_add_co_u32 v19, vcc_lo, s8, v17
	v_add_co_ci_u32_e32 v20, vcc_lo, s9, v18, vcc_lo
	s_delay_alu instid0(VALU_DEP_3) | instskip(NEXT) | instid1(VALU_DEP_4)
	v_add_co_u32 v17, vcc_lo, s8, v21
	v_add_co_ci_u32_e32 v18, vcc_lo, s9, v22, vcc_lo
	s_clause 0x1
	global_load_b32 v21, v[19:20], off
	global_load_b32 v22, v[17:18], off
	s_waitcnt vmcnt(0)
	v_cmpx_eq_u32_e64 v21, v22
	s_cbranch_execz .LBB1561_332
; %bb.326:
	v_add_co_u32 v17, vcc_lo, v17, 4
	v_add_co_ci_u32_e32 v18, vcc_lo, 0, v18, vcc_lo
	v_add_co_u32 v19, vcc_lo, v19, 4
	v_add_co_ci_u32_e32 v20, vcc_lo, 0, v20, vcc_lo
	s_add_u32 s4, s22, -1
	s_addc_u32 s5, s23, -1
	s_mov_b64 s[6:7], 0
	s_mov_b32 s33, 0
                                        ; implicit-def: $sgpr34
	s_set_inst_prefetch_distance 0x1
	s_branch .LBB1561_329
	.p2align	6
.LBB1561_327:                           ;   in Loop: Header=BB1561_329 Depth=1
	global_load_b32 v21, v[19:20], off
	global_load_b32 v22, v[17:18], off
	v_add_co_u32 v17, vcc_lo, v17, 4
	v_add_co_ci_u32_e32 v18, vcc_lo, 0, v18, vcc_lo
	v_add_co_u32 v19, s2, v19, 4
	s_delay_alu instid0(VALU_DEP_1)
	v_add_co_ci_u32_e64 v20, s2, 0, v20, s2
	s_add_u32 s6, s6, 1
	s_addc_u32 s7, s7, 0
	s_and_not1_b32 s2, s34, exec_lo
	s_waitcnt vmcnt(0)
	v_cmp_ne_u32_e32 vcc_lo, v21, v22
	s_and_b32 s34, vcc_lo, exec_lo
	s_delay_alu instid0(SALU_CYCLE_1)
	s_or_b32 s34, s2, s34
.LBB1561_328:                           ;   in Loop: Header=BB1561_329 Depth=1
	v_dual_mov_b32 v22, s7 :: v_dual_mov_b32 v21, s6
	s_and_b32 s2, exec_lo, s34
	s_delay_alu instid0(SALU_CYCLE_1) | instskip(NEXT) | instid1(SALU_CYCLE_1)
	s_or_b32 s33, s2, s33
	s_and_not1_b32 exec_lo, exec_lo, s33
	s_cbranch_execz .LBB1561_331
.LBB1561_329:                           ; =>This Inner Loop Header: Depth=1
	s_or_b32 s34, s34, exec_lo
	s_cmp_eq_u64 s[4:5], s[6:7]
	s_cbranch_scc0 .LBB1561_327
; %bb.330:                              ;   in Loop: Header=BB1561_329 Depth=1
	s_mov_b64 s[6:7], s[22:23]
                                        ; implicit-def: $vgpr17_vgpr18
                                        ; implicit-def: $vgpr19_vgpr20
	s_branch .LBB1561_328
.LBB1561_331:
	s_set_inst_prefetch_distance 0x2
	s_or_b32 exec_lo, exec_lo, s33
	v_cmp_gt_i64_e32 vcc_lo, s[22:23], v[21:22]
	s_or_not1_b32 s2, vcc_lo, exec_lo
.LBB1561_332:
	s_or_b32 exec_lo, exec_lo, s30
.LBB1561_333:
	s_delay_alu instid0(SALU_CYCLE_1)
	s_and_b32 s30, s2, exec_lo
.LBB1561_334:
	s_or_b32 exec_lo, exec_lo, s31
	v_or_b32_e32 v17, 1, v39
	s_mov_b32 s2, 0
	s_mov_b32 s31, exec_lo
	s_delay_alu instid0(VALU_DEP_1)
	v_cmpx_gt_u32_e64 s20, v17
	s_cbranch_execz .LBB1561_345
; %bb.335:
	s_and_not1_b32 vcc_lo, exec_lo, s3
	s_cbranch_vccnz .LBB1561_344
; %bb.336:
	v_mul_lo_u32 v21, v14, s22
	v_mul_lo_u32 v22, v13, s23
	v_mad_u64_u32 v[17:18], null, v13, s22, 0
	v_mul_lo_u32 v23, v16, s22
	v_mul_lo_u32 v24, v15, s23
	v_mad_u64_u32 v[19:20], null, v15, s22, 0
	s_mov_b32 s2, -1
	s_mov_b32 s33, exec_lo
	s_delay_alu instid0(VALU_DEP_4) | instskip(NEXT) | instid1(VALU_DEP_2)
	v_add3_u32 v18, v18, v22, v21
	v_add3_u32 v20, v20, v24, v23
	s_delay_alu instid0(VALU_DEP_2) | instskip(NEXT) | instid1(VALU_DEP_2)
	v_lshlrev_b64 v[17:18], 2, v[17:18]
	v_lshlrev_b64 v[21:22], 2, v[19:20]
	s_delay_alu instid0(VALU_DEP_2) | instskip(NEXT) | instid1(VALU_DEP_3)
	v_add_co_u32 v19, vcc_lo, s8, v17
	v_add_co_ci_u32_e32 v20, vcc_lo, s9, v18, vcc_lo
	s_delay_alu instid0(VALU_DEP_3) | instskip(NEXT) | instid1(VALU_DEP_4)
	v_add_co_u32 v17, vcc_lo, s8, v21
	v_add_co_ci_u32_e32 v18, vcc_lo, s9, v22, vcc_lo
	s_clause 0x1
	global_load_b32 v21, v[19:20], off
	global_load_b32 v22, v[17:18], off
	s_waitcnt vmcnt(0)
	v_cmpx_eq_u32_e64 v21, v22
	s_cbranch_execz .LBB1561_343
; %bb.337:
	v_add_co_u32 v17, vcc_lo, v17, 4
	v_add_co_ci_u32_e32 v18, vcc_lo, 0, v18, vcc_lo
	v_add_co_u32 v19, vcc_lo, v19, 4
	v_add_co_ci_u32_e32 v20, vcc_lo, 0, v20, vcc_lo
	s_add_u32 s4, s22, -1
	s_addc_u32 s5, s23, -1
	s_mov_b64 s[6:7], 0
	s_mov_b32 s34, 0
                                        ; implicit-def: $sgpr35
	s_set_inst_prefetch_distance 0x1
	s_branch .LBB1561_340
	.p2align	6
.LBB1561_338:                           ;   in Loop: Header=BB1561_340 Depth=1
	global_load_b32 v21, v[19:20], off
	global_load_b32 v22, v[17:18], off
	v_add_co_u32 v17, vcc_lo, v17, 4
	v_add_co_ci_u32_e32 v18, vcc_lo, 0, v18, vcc_lo
	v_add_co_u32 v19, s2, v19, 4
	s_delay_alu instid0(VALU_DEP_1)
	v_add_co_ci_u32_e64 v20, s2, 0, v20, s2
	s_add_u32 s6, s6, 1
	s_addc_u32 s7, s7, 0
	s_and_not1_b32 s2, s35, exec_lo
	s_waitcnt vmcnt(0)
	v_cmp_ne_u32_e32 vcc_lo, v21, v22
	s_and_b32 s35, vcc_lo, exec_lo
	s_delay_alu instid0(SALU_CYCLE_1)
	s_or_b32 s35, s2, s35
.LBB1561_339:                           ;   in Loop: Header=BB1561_340 Depth=1
	v_dual_mov_b32 v22, s7 :: v_dual_mov_b32 v21, s6
	s_and_b32 s2, exec_lo, s35
	s_delay_alu instid0(SALU_CYCLE_1) | instskip(NEXT) | instid1(SALU_CYCLE_1)
	s_or_b32 s34, s2, s34
	s_and_not1_b32 exec_lo, exec_lo, s34
	s_cbranch_execz .LBB1561_342
.LBB1561_340:                           ; =>This Inner Loop Header: Depth=1
	s_or_b32 s35, s35, exec_lo
	s_cmp_eq_u64 s[4:5], s[6:7]
	s_cbranch_scc0 .LBB1561_338
; %bb.341:                              ;   in Loop: Header=BB1561_340 Depth=1
	s_mov_b64 s[6:7], s[22:23]
                                        ; implicit-def: $vgpr17_vgpr18
                                        ; implicit-def: $vgpr19_vgpr20
	s_branch .LBB1561_339
.LBB1561_342:
	s_set_inst_prefetch_distance 0x2
	s_or_b32 exec_lo, exec_lo, s34
	v_cmp_gt_i64_e32 vcc_lo, s[22:23], v[21:22]
	s_or_not1_b32 s2, vcc_lo, exec_lo
.LBB1561_343:
	s_or_b32 exec_lo, exec_lo, s33
.LBB1561_344:
	s_delay_alu instid0(SALU_CYCLE_1)
	s_and_b32 s2, s2, exec_lo
.LBB1561_345:
	s_or_b32 exec_lo, exec_lo, s31
	v_cndmask_b32_e64 v18, 0, 1, s29
	v_cndmask_b32_e64 v19, 0, 1, s28
	;; [unrolled: 1-line block ×7, first 2 shown]
	v_lshlrev_b16 v19, 8, v19
	v_lshlrev_b16 v20, 8, v20
	;; [unrolled: 1-line block ×4, first 2 shown]
	s_mov_b32 s19, exec_lo
	v_or_b32_e32 v19, v22, v19
	v_or_b32_e32 v20, v23, v20
	;; [unrolled: 1-line block ×4, first 2 shown]
	s_delay_alu instid0(VALU_DEP_4) | instskip(NEXT) | instid1(VALU_DEP_4)
	v_and_b32_e32 v18, 0xffff, v19
	v_lshlrev_b32_e32 v19, 16, v20
	s_delay_alu instid0(VALU_DEP_4) | instskip(NEXT) | instid1(VALU_DEP_4)
	v_and_b32_e32 v20, 0xffff, v21
	v_lshlrev_b32_e32 v17, 16, v17
	s_barrier
	buffer_gl0_inv
	v_or_b32_e32 v18, v18, v19
                                        ; implicit-def: $sgpr2
	v_or_b32_e32 v17, v20, v17
	v_cmpx_ne_u32_e32 0, v0
	s_cbranch_execz .LBB1561_358
; %bb.346:
	s_mov_b32 s2, 0
	s_mov_b32 s26, exec_lo
	v_cmpx_gt_u32_e64 s20, v39
	s_cbranch_execz .LBB1561_357
; %bb.347:
	s_and_not1_b32 vcc_lo, exec_lo, s3
	s_cbranch_vccnz .LBB1561_356
; %bb.348:
	v_add_nc_u32_e32 v19, -8, v39
	v_mul_lo_u32 v26, v13, s23
	v_mad_u64_u32 v[22:23], null, v13, s22, 0
	s_mov_b32 s2, -1
	ds_load_b64 v[19:20], v19
	s_mov_b32 s3, exec_lo
	s_waitcnt lgkmcnt(0)
	v_mul_lo_u32 v24, v20, s22
	v_mul_lo_u32 v25, v19, s23
	v_mad_u64_u32 v[20:21], null, v19, s22, 0
	v_mul_lo_u32 v19, v14, s22
	s_delay_alu instid0(VALU_DEP_2) | instskip(NEXT) | instid1(VALU_DEP_2)
	v_add3_u32 v21, v21, v25, v24
	v_add3_u32 v23, v23, v26, v19
	s_delay_alu instid0(VALU_DEP_2) | instskip(NEXT) | instid1(VALU_DEP_2)
	v_lshlrev_b64 v[19:20], 2, v[20:21]
	v_lshlrev_b64 v[23:24], 2, v[22:23]
	s_delay_alu instid0(VALU_DEP_2) | instskip(NEXT) | instid1(VALU_DEP_3)
	v_add_co_u32 v21, vcc_lo, s8, v19
	v_add_co_ci_u32_e32 v22, vcc_lo, s9, v20, vcc_lo
	s_delay_alu instid0(VALU_DEP_3) | instskip(NEXT) | instid1(VALU_DEP_4)
	v_add_co_u32 v19, vcc_lo, s8, v23
	v_add_co_ci_u32_e32 v20, vcc_lo, s9, v24, vcc_lo
	s_clause 0x1
	global_load_b32 v23, v[21:22], off
	global_load_b32 v24, v[19:20], off
	s_waitcnt vmcnt(0)
	v_cmpx_eq_u32_e64 v23, v24
	s_cbranch_execz .LBB1561_355
; %bb.349:
	v_add_co_u32 v19, vcc_lo, v19, 4
	v_add_co_ci_u32_e32 v20, vcc_lo, 0, v20, vcc_lo
	v_add_co_u32 v21, vcc_lo, v21, 4
	v_add_co_ci_u32_e32 v22, vcc_lo, 0, v22, vcc_lo
	s_add_u32 s4, s22, -1
	s_addc_u32 s5, s23, -1
	s_mov_b64 s[6:7], 0
	s_mov_b32 s8, 0
                                        ; implicit-def: $sgpr9
	s_set_inst_prefetch_distance 0x1
	s_branch .LBB1561_352
	.p2align	6
.LBB1561_350:                           ;   in Loop: Header=BB1561_352 Depth=1
	global_load_b32 v23, v[21:22], off
	global_load_b32 v24, v[19:20], off
	v_add_co_u32 v19, vcc_lo, v19, 4
	v_add_co_ci_u32_e32 v20, vcc_lo, 0, v20, vcc_lo
	v_add_co_u32 v21, s2, v21, 4
	s_delay_alu instid0(VALU_DEP_1)
	v_add_co_ci_u32_e64 v22, s2, 0, v22, s2
	s_add_u32 s6, s6, 1
	s_addc_u32 s7, s7, 0
	s_and_not1_b32 s2, s9, exec_lo
	s_waitcnt vmcnt(0)
	v_cmp_ne_u32_e32 vcc_lo, v23, v24
	s_and_b32 s9, vcc_lo, exec_lo
	s_delay_alu instid0(SALU_CYCLE_1)
	s_or_b32 s9, s2, s9
.LBB1561_351:                           ;   in Loop: Header=BB1561_352 Depth=1
	v_dual_mov_b32 v24, s7 :: v_dual_mov_b32 v23, s6
	s_and_b32 s2, exec_lo, s9
	s_delay_alu instid0(SALU_CYCLE_1) | instskip(NEXT) | instid1(SALU_CYCLE_1)
	s_or_b32 s8, s2, s8
	s_and_not1_b32 exec_lo, exec_lo, s8
	s_cbranch_execz .LBB1561_354
.LBB1561_352:                           ; =>This Inner Loop Header: Depth=1
	s_or_b32 s9, s9, exec_lo
	s_cmp_eq_u64 s[4:5], s[6:7]
	s_cbranch_scc0 .LBB1561_350
; %bb.353:                              ;   in Loop: Header=BB1561_352 Depth=1
	s_mov_b64 s[6:7], s[22:23]
                                        ; implicit-def: $vgpr19_vgpr20
                                        ; implicit-def: $vgpr21_vgpr22
	s_branch .LBB1561_351
.LBB1561_354:
	s_set_inst_prefetch_distance 0x2
	s_or_b32 exec_lo, exec_lo, s8
	v_cmp_gt_i64_e32 vcc_lo, s[22:23], v[23:24]
	s_or_not1_b32 s2, vcc_lo, exec_lo
.LBB1561_355:
	s_or_b32 exec_lo, exec_lo, s3
.LBB1561_356:
	s_delay_alu instid0(SALU_CYCLE_1)
	s_and_b32 s2, s2, exec_lo
.LBB1561_357:
	s_or_b32 exec_lo, exec_lo, s26
	s_delay_alu instid0(SALU_CYCLE_1)
	s_and_b32 s2, s2, exec_lo
	s_or_b32 s18, s18, exec_lo
.LBB1561_358:
	s_or_b32 exec_lo, exec_lo, s19
.LBB1561_359:
	s_and_saveexec_b32 s3, s18
	s_cbranch_execz .LBB1561_361
; %bb.360:
	s_waitcnt lgkmcnt(0)
	v_and_b32_e32 v19, 0xffffff00, v17
	v_cndmask_b32_e64 v20, 0, 1, s2
	s_delay_alu instid0(VALU_DEP_1) | instskip(NEXT) | instid1(VALU_DEP_1)
	v_or_b32_e32 v19, v20, v19
	v_and_b32_e32 v19, 0xffff, v19
	s_delay_alu instid0(VALU_DEP_1)
	v_and_or_b32 v17, 0xffff0000, v17, v19
.LBB1561_361:
	s_or_b32 exec_lo, exec_lo, s3
	s_delay_alu instid0(SALU_CYCLE_1)
	s_and_not1_b32 vcc_lo, exec_lo, s24
	s_cbranch_vccnz .LBB1561_363
; %bb.362:
	v_cmp_gt_u32_e32 vcc_lo, s20, v39
	s_waitcnt lgkmcnt(0)
	v_or_b32_e32 v20, 1, v39
	v_and_b32_e32 v21, 0xffffff00, v18
	v_or_b32_e32 v22, 2, v39
	v_cndmask_b32_e32 v19, 0, v17, vcc_lo
	s_delay_alu instid0(VALU_DEP_4) | instskip(SKIP_1) | instid1(VALU_DEP_4)
	v_cmp_gt_u32_e32 vcc_lo, s20, v20
	v_or_b32_e32 v20, 4, v39
	v_cmp_gt_u32_e64 s2, s20, v22
	v_or_b32_e32 v22, 3, v39
	v_and_b32_e32 v19, 0xff, v19
	s_delay_alu instid0(VALU_DEP_2) | instskip(NEXT) | instid1(VALU_DEP_2)
	v_cmp_gt_u32_e64 s3, s20, v22
	v_cndmask_b32_e32 v19, v19, v17, vcc_lo
	v_cmp_gt_u32_e32 vcc_lo, s20, v20
	v_cndmask_b32_e32 v20, v21, v18, vcc_lo
	v_or_b32_e32 v21, 5, v39
	s_delay_alu instid0(VALU_DEP_2) | instskip(SKIP_1) | instid1(VALU_DEP_1)
	v_and_b32_e32 v20, 0xffff00ff, v20
	v_and_b32_e32 v19, 0xffff, v19
	v_cndmask_b32_e64 v19, v19, v17, s2
	s_delay_alu instid0(VALU_DEP_4) | instskip(SKIP_1) | instid1(VALU_DEP_3)
	v_cmp_gt_u32_e64 s2, s20, v21
	v_or_b32_e32 v21, 6, v39
	v_and_b32_e32 v19, 0xffffff, v19
	s_delay_alu instid0(VALU_DEP_3) | instskip(NEXT) | instid1(VALU_DEP_2)
	v_cndmask_b32_e64 v20, v20, v18, s2
	v_cndmask_b32_e64 v19, v19, v17, s3
	s_delay_alu instid0(VALU_DEP_1) | instskip(SKIP_2) | instid1(VALU_DEP_3)
	v_dual_cndmask_b32 v19, v19, v17 :: v_dual_and_b32 v20, 0xff00ffff, v20
	v_cmp_gt_u32_e32 vcc_lo, s20, v21
	v_or_b32_e32 v21, 7, v39
	v_cndmask_b32_e64 v19, v19, v17, s2
	s_delay_alu instid0(VALU_DEP_1) | instskip(NEXT) | instid1(VALU_DEP_1)
	v_dual_cndmask_b32 v20, v20, v18 :: v_dual_cndmask_b32 v19, v19, v17
	v_and_b32_e32 v20, 0xffffff, v20
	s_delay_alu instid0(VALU_DEP_4) | instskip(NEXT) | instid1(VALU_DEP_2)
	v_cmp_gt_u32_e32 vcc_lo, s20, v21
	v_dual_cndmask_b32 v18, v20, v18 :: v_dual_cndmask_b32 v17, v19, v17
.LBB1561_363:
	s_delay_alu instid0(VALU_DEP_1) | instskip(SKIP_1) | instid1(VALU_DEP_2)
	v_and_b32_e32 v26, 0xff, v17
	s_waitcnt lgkmcnt(0)
	v_alignbit_b32 v19, v18, v17, 24
	v_bfe_u32 v28, v17, 8, 8
	v_bfe_u32 v30, v17, 16, 8
	v_and_b32_e32 v34, 0xff, v18
	v_bfe_u32 v36, v18, 8, 8
	v_and_b32_e32 v32, 0xff, v19
	v_add_nc_u32_e32 v19, v28, v26
	v_mbcnt_lo_u32_b32 v41, -1, 0
	v_bfe_u32 v38, v18, 16, 8
	v_lshrrev_b32_e32 v40, 24, v18
	v_lshrrev_b32_e32 v42, 5, v0
	v_add3_u32 v19, v19, v30, v32
	v_and_b32_e32 v20, 15, v41
	v_and_b32_e32 v21, 16, v41
	s_and_b32 vcc_lo, exec_lo, s25
	s_mov_b32 s18, -1
	v_add3_u32 v19, v19, v34, v36
	v_cmp_eq_u32_e64 s4, 0, v20
	v_cmp_lt_u32_e64 s2, 1, v20
	v_cmp_lt_u32_e64 s5, 3, v20
	;; [unrolled: 1-line block ×3, first 2 shown]
	v_add3_u32 v43, v19, v38, v40
	v_or_b32_e32 v19, 31, v0
	v_cmp_eq_u32_e64 s7, 0, v21
	s_barrier
	buffer_gl0_inv
	v_cmp_eq_u32_e64 s6, v19, v0
	s_cbranch_vccz .LBB1561_394
; %bb.364:
	v_mov_b32_dpp v19, v43 row_shr:1 row_mask:0xf bank_mask:0xf
	s_delay_alu instid0(VALU_DEP_1) | instskip(NEXT) | instid1(VALU_DEP_1)
	v_cndmask_b32_e64 v19, v19, 0, s4
	v_add_nc_u32_e32 v19, v19, v43
	s_delay_alu instid0(VALU_DEP_1) | instskip(NEXT) | instid1(VALU_DEP_1)
	v_mov_b32_dpp v20, v19 row_shr:2 row_mask:0xf bank_mask:0xf
	v_cndmask_b32_e64 v20, 0, v20, s2
	s_delay_alu instid0(VALU_DEP_1) | instskip(NEXT) | instid1(VALU_DEP_1)
	v_add_nc_u32_e32 v19, v19, v20
	v_mov_b32_dpp v20, v19 row_shr:4 row_mask:0xf bank_mask:0xf
	s_delay_alu instid0(VALU_DEP_1) | instskip(NEXT) | instid1(VALU_DEP_1)
	v_cndmask_b32_e64 v20, 0, v20, s5
	v_add_nc_u32_e32 v19, v19, v20
	s_delay_alu instid0(VALU_DEP_1) | instskip(NEXT) | instid1(VALU_DEP_1)
	v_mov_b32_dpp v20, v19 row_shr:8 row_mask:0xf bank_mask:0xf
	v_cndmask_b32_e64 v20, 0, v20, s3
	s_delay_alu instid0(VALU_DEP_1) | instskip(SKIP_3) | instid1(VALU_DEP_1)
	v_add_nc_u32_e32 v19, v19, v20
	ds_swizzle_b32 v20, v19 offset:swizzle(BROADCAST,32,15)
	s_waitcnt lgkmcnt(0)
	v_cndmask_b32_e64 v20, v20, 0, s7
	v_add_nc_u32_e32 v19, v19, v20
	s_and_saveexec_b32 s8, s6
	s_cbranch_execz .LBB1561_366
; %bb.365:
	v_lshlrev_b32_e32 v20, 2, v42
	ds_store_b32 v20, v19
.LBB1561_366:
	s_or_b32 exec_lo, exec_lo, s8
	s_delay_alu instid0(SALU_CYCLE_1)
	s_mov_b32 s8, exec_lo
	s_waitcnt lgkmcnt(0)
	s_barrier
	buffer_gl0_inv
	v_cmpx_gt_u32_e32 16, v0
	s_cbranch_execz .LBB1561_368
; %bb.367:
	v_lshlrev_b32_e32 v20, 2, v0
	ds_load_b32 v21, v20
	s_waitcnt lgkmcnt(0)
	v_mov_b32_dpp v22, v21 row_shr:1 row_mask:0xf bank_mask:0xf
	s_delay_alu instid0(VALU_DEP_1) | instskip(NEXT) | instid1(VALU_DEP_1)
	v_cndmask_b32_e64 v22, v22, 0, s4
	v_add_nc_u32_e32 v21, v22, v21
	s_delay_alu instid0(VALU_DEP_1) | instskip(NEXT) | instid1(VALU_DEP_1)
	v_mov_b32_dpp v22, v21 row_shr:2 row_mask:0xf bank_mask:0xf
	v_cndmask_b32_e64 v22, 0, v22, s2
	s_delay_alu instid0(VALU_DEP_1) | instskip(NEXT) | instid1(VALU_DEP_1)
	v_add_nc_u32_e32 v21, v21, v22
	v_mov_b32_dpp v22, v21 row_shr:4 row_mask:0xf bank_mask:0xf
	s_delay_alu instid0(VALU_DEP_1) | instskip(NEXT) | instid1(VALU_DEP_1)
	v_cndmask_b32_e64 v22, 0, v22, s5
	v_add_nc_u32_e32 v21, v21, v22
	s_delay_alu instid0(VALU_DEP_1) | instskip(NEXT) | instid1(VALU_DEP_1)
	v_mov_b32_dpp v22, v21 row_shr:8 row_mask:0xf bank_mask:0xf
	v_cndmask_b32_e64 v22, 0, v22, s3
	s_delay_alu instid0(VALU_DEP_1)
	v_add_nc_u32_e32 v21, v21, v22
	ds_store_b32 v20, v21
.LBB1561_368:
	s_or_b32 exec_lo, exec_lo, s8
	v_cmp_gt_u32_e32 vcc_lo, 32, v0
	s_mov_b32 s9, exec_lo
	s_waitcnt lgkmcnt(0)
	s_barrier
	buffer_gl0_inv
                                        ; implicit-def: $vgpr27
	v_cmpx_lt_u32_e32 31, v0
	s_cbranch_execz .LBB1561_370
; %bb.369:
	v_lshl_add_u32 v20, v42, 2, -4
	ds_load_b32 v27, v20
	s_waitcnt lgkmcnt(0)
	v_add_nc_u32_e32 v19, v27, v19
.LBB1561_370:
	s_or_b32 exec_lo, exec_lo, s9
	v_add_nc_u32_e32 v20, -1, v41
	s_delay_alu instid0(VALU_DEP_1) | instskip(NEXT) | instid1(VALU_DEP_1)
	v_cmp_gt_i32_e64 s8, 0, v20
	v_cndmask_b32_e64 v20, v20, v41, s8
	v_cmp_eq_u32_e64 s8, 0, v41
	s_delay_alu instid0(VALU_DEP_2)
	v_lshlrev_b32_e32 v20, 2, v20
	ds_bpermute_b32 v29, v20, v19
	s_and_saveexec_b32 s9, vcc_lo
	s_cbranch_execz .LBB1561_393
; %bb.371:
	v_mov_b32_e32 v22, 0
	ds_load_b32 v19, v22 offset:60
	s_and_saveexec_b32 s18, s8
	s_cbranch_execz .LBB1561_373
; %bb.372:
	s_add_i32 s22, s15, 32
	s_mov_b32 s23, 0
	v_mov_b32_e32 v20, 1
	s_lshl_b64 s[22:23], s[22:23], 3
	s_delay_alu instid0(SALU_CYCLE_1)
	s_add_u32 s22, s10, s22
	s_addc_u32 s23, s11, s23
	s_waitcnt lgkmcnt(0)
	global_store_b64 v22, v[19:20], s[22:23]
.LBB1561_373:
	s_or_b32 exec_lo, exec_lo, s18
	v_xad_u32 v20, v41, -1, s15
	s_mov_b32 s19, 0
	s_mov_b32 s18, exec_lo
	s_delay_alu instid0(VALU_DEP_1) | instskip(NEXT) | instid1(VALU_DEP_1)
	v_add_nc_u32_e32 v21, 32, v20
	v_lshlrev_b64 v[21:22], 3, v[21:22]
	s_delay_alu instid0(VALU_DEP_1) | instskip(NEXT) | instid1(VALU_DEP_2)
	v_add_co_u32 v24, vcc_lo, s10, v21
	v_add_co_ci_u32_e32 v25, vcc_lo, s11, v22, vcc_lo
	global_load_b64 v[22:23], v[24:25], off glc
	s_waitcnt vmcnt(0)
	v_and_b32_e32 v21, 0xff, v23
	s_delay_alu instid0(VALU_DEP_1)
	v_cmpx_eq_u16_e32 0, v21
	s_cbranch_execz .LBB1561_379
; %bb.374:
	s_mov_b32 s20, 1
	.p2align	6
.LBB1561_375:                           ; =>This Loop Header: Depth=1
                                        ;     Child Loop BB1561_376 Depth 2
	s_delay_alu instid0(SALU_CYCLE_1)
	s_max_u32 s22, s20, 1
.LBB1561_376:                           ;   Parent Loop BB1561_375 Depth=1
                                        ; =>  This Inner Loop Header: Depth=2
	s_delay_alu instid0(SALU_CYCLE_1)
	s_add_i32 s22, s22, -1
	s_sleep 1
	s_cmp_eq_u32 s22, 0
	s_cbranch_scc0 .LBB1561_376
; %bb.377:                              ;   in Loop: Header=BB1561_375 Depth=1
	global_load_b64 v[22:23], v[24:25], off glc
	s_cmp_lt_u32 s20, 32
	s_cselect_b32 s22, -1, 0
	s_delay_alu instid0(SALU_CYCLE_1) | instskip(SKIP_3) | instid1(VALU_DEP_1)
	s_cmp_lg_u32 s22, 0
	s_addc_u32 s20, s20, 0
	s_waitcnt vmcnt(0)
	v_and_b32_e32 v21, 0xff, v23
	v_cmp_ne_u16_e32 vcc_lo, 0, v21
	s_or_b32 s19, vcc_lo, s19
	s_delay_alu instid0(SALU_CYCLE_1)
	s_and_not1_b32 exec_lo, exec_lo, s19
	s_cbranch_execnz .LBB1561_375
; %bb.378:
	s_or_b32 exec_lo, exec_lo, s19
.LBB1561_379:
	s_delay_alu instid0(SALU_CYCLE_1)
	s_or_b32 exec_lo, exec_lo, s18
	v_cmp_ne_u32_e32 vcc_lo, 31, v41
	v_lshlrev_b32_e64 v33, v41, -1
	v_add_nc_u32_e32 v37, 2, v41
	v_add_nc_u32_e32 v46, 4, v41
	;; [unrolled: 1-line block ×3, first 2 shown]
	v_add_co_ci_u32_e32 v21, vcc_lo, 0, v41, vcc_lo
	v_add_nc_u32_e32 v50, 16, v41
	s_delay_alu instid0(VALU_DEP_2)
	v_lshlrev_b32_e32 v31, 2, v21
	v_and_b32_e32 v21, 0xff, v23
	ds_bpermute_b32 v24, v31, v22
	v_cmp_eq_u16_e32 vcc_lo, 2, v21
	v_and_or_b32 v21, vcc_lo, v33, 0x80000000
	v_cmp_gt_u32_e32 vcc_lo, 30, v41
	s_delay_alu instid0(VALU_DEP_2) | instskip(SKIP_1) | instid1(VALU_DEP_2)
	v_ctz_i32_b32_e32 v21, v21
	v_cndmask_b32_e64 v25, 0, 1, vcc_lo
	v_cmp_lt_u32_e32 vcc_lo, v41, v21
	s_waitcnt lgkmcnt(0)
	s_delay_alu instid0(VALU_DEP_2) | instskip(NEXT) | instid1(VALU_DEP_1)
	v_dual_cndmask_b32 v24, 0, v24 :: v_dual_lshlrev_b32 v25, 1, v25
	v_add_lshl_u32 v35, v25, v41, 2
	v_cmp_gt_u32_e32 vcc_lo, 28, v41
	s_delay_alu instid0(VALU_DEP_3) | instskip(SKIP_4) | instid1(VALU_DEP_1)
	v_add_nc_u32_e32 v22, v24, v22
	v_cndmask_b32_e64 v25, 0, 1, vcc_lo
	v_cmp_le_u32_e32 vcc_lo, v37, v21
	ds_bpermute_b32 v24, v35, v22
	v_lshlrev_b32_e32 v25, 2, v25
	v_add_lshl_u32 v44, v25, v41, 2
	s_waitcnt lgkmcnt(0)
	v_cndmask_b32_e32 v24, 0, v24, vcc_lo
	v_cmp_gt_u32_e32 vcc_lo, 24, v41
	s_delay_alu instid0(VALU_DEP_2) | instskip(SKIP_4) | instid1(VALU_DEP_1)
	v_add_nc_u32_e32 v22, v22, v24
	v_cndmask_b32_e64 v25, 0, 1, vcc_lo
	v_cmp_le_u32_e32 vcc_lo, v46, v21
	ds_bpermute_b32 v24, v44, v22
	v_lshlrev_b32_e32 v25, 3, v25
	v_add_lshl_u32 v47, v25, v41, 2
	s_waitcnt lgkmcnt(0)
	v_cndmask_b32_e32 v24, 0, v24, vcc_lo
	v_cmp_gt_u32_e32 vcc_lo, 16, v41
	s_delay_alu instid0(VALU_DEP_2) | instskip(SKIP_4) | instid1(VALU_DEP_1)
	v_add_nc_u32_e32 v22, v22, v24
	v_cndmask_b32_e64 v25, 0, 1, vcc_lo
	v_cmp_le_u32_e32 vcc_lo, v48, v21
	ds_bpermute_b32 v24, v47, v22
	v_lshlrev_b32_e32 v25, 4, v25
	v_add_lshl_u32 v49, v25, v41, 2
	s_waitcnt lgkmcnt(0)
	v_cndmask_b32_e32 v24, 0, v24, vcc_lo
	v_cmp_le_u32_e32 vcc_lo, v50, v21
	s_delay_alu instid0(VALU_DEP_2) | instskip(SKIP_3) | instid1(VALU_DEP_1)
	v_add_nc_u32_e32 v22, v22, v24
	ds_bpermute_b32 v24, v49, v22
	s_waitcnt lgkmcnt(0)
	v_cndmask_b32_e32 v21, 0, v24, vcc_lo
	v_dual_mov_b32 v21, 0 :: v_dual_add_nc_u32 v22, v22, v21
	s_branch .LBB1561_381
.LBB1561_380:                           ;   in Loop: Header=BB1561_381 Depth=1
	s_or_b32 exec_lo, exec_lo, s18
	ds_bpermute_b32 v25, v31, v22
	v_and_b32_e32 v24, 0xff, v23
	v_subrev_nc_u32_e32 v20, 32, v20
	s_delay_alu instid0(VALU_DEP_2) | instskip(SKIP_1) | instid1(VALU_DEP_1)
	v_cmp_eq_u16_e32 vcc_lo, 2, v24
	v_and_or_b32 v24, vcc_lo, v33, 0x80000000
	v_ctz_i32_b32_e32 v24, v24
	s_delay_alu instid0(VALU_DEP_1) | instskip(SKIP_3) | instid1(VALU_DEP_2)
	v_cmp_lt_u32_e32 vcc_lo, v41, v24
	s_waitcnt lgkmcnt(0)
	v_cndmask_b32_e32 v25, 0, v25, vcc_lo
	v_cmp_le_u32_e32 vcc_lo, v37, v24
	v_add_nc_u32_e32 v22, v25, v22
	ds_bpermute_b32 v25, v35, v22
	s_waitcnt lgkmcnt(0)
	v_cndmask_b32_e32 v25, 0, v25, vcc_lo
	v_cmp_le_u32_e32 vcc_lo, v46, v24
	s_delay_alu instid0(VALU_DEP_2) | instskip(SKIP_4) | instid1(VALU_DEP_2)
	v_add_nc_u32_e32 v22, v22, v25
	ds_bpermute_b32 v25, v44, v22
	s_waitcnt lgkmcnt(0)
	v_cndmask_b32_e32 v25, 0, v25, vcc_lo
	v_cmp_le_u32_e32 vcc_lo, v48, v24
	v_add_nc_u32_e32 v22, v22, v25
	ds_bpermute_b32 v25, v47, v22
	s_waitcnt lgkmcnt(0)
	v_cndmask_b32_e32 v25, 0, v25, vcc_lo
	v_cmp_le_u32_e32 vcc_lo, v50, v24
	s_delay_alu instid0(VALU_DEP_2) | instskip(SKIP_3) | instid1(VALU_DEP_1)
	v_add_nc_u32_e32 v22, v22, v25
	ds_bpermute_b32 v25, v49, v22
	s_waitcnt lgkmcnt(0)
	v_cndmask_b32_e32 v24, 0, v25, vcc_lo
	v_add3_u32 v22, v24, v45, v22
.LBB1561_381:                           ; =>This Loop Header: Depth=1
                                        ;     Child Loop BB1561_384 Depth 2
                                        ;       Child Loop BB1561_385 Depth 3
	v_and_b32_e32 v23, 0xff, v23
	s_delay_alu instid0(VALU_DEP_2) | instskip(NEXT) | instid1(VALU_DEP_2)
	v_mov_b32_e32 v45, v22
	v_cmp_ne_u16_e32 vcc_lo, 2, v23
	v_cndmask_b32_e64 v23, 0, 1, vcc_lo
	;;#ASMSTART
	;;#ASMEND
	s_delay_alu instid0(VALU_DEP_1)
	v_cmp_ne_u32_e32 vcc_lo, 0, v23
	s_cmp_lg_u32 vcc_lo, exec_lo
	s_cbranch_scc1 .LBB1561_388
; %bb.382:                              ;   in Loop: Header=BB1561_381 Depth=1
	v_lshlrev_b64 v[22:23], 3, v[20:21]
	s_mov_b32 s18, exec_lo
	s_delay_alu instid0(VALU_DEP_1) | instskip(NEXT) | instid1(VALU_DEP_2)
	v_add_co_u32 v24, vcc_lo, s10, v22
	v_add_co_ci_u32_e32 v25, vcc_lo, s11, v23, vcc_lo
	global_load_b64 v[22:23], v[24:25], off glc
	s_waitcnt vmcnt(0)
	v_and_b32_e32 v51, 0xff, v23
	s_delay_alu instid0(VALU_DEP_1)
	v_cmpx_eq_u16_e32 0, v51
	s_cbranch_execz .LBB1561_380
; %bb.383:                              ;   in Loop: Header=BB1561_381 Depth=1
	s_mov_b32 s20, 1
	s_mov_b32 s19, 0
	.p2align	6
.LBB1561_384:                           ;   Parent Loop BB1561_381 Depth=1
                                        ; =>  This Loop Header: Depth=2
                                        ;       Child Loop BB1561_385 Depth 3
	s_max_u32 s22, s20, 1
.LBB1561_385:                           ;   Parent Loop BB1561_381 Depth=1
                                        ;     Parent Loop BB1561_384 Depth=2
                                        ; =>    This Inner Loop Header: Depth=3
	s_delay_alu instid0(SALU_CYCLE_1)
	s_add_i32 s22, s22, -1
	s_sleep 1
	s_cmp_eq_u32 s22, 0
	s_cbranch_scc0 .LBB1561_385
; %bb.386:                              ;   in Loop: Header=BB1561_384 Depth=2
	global_load_b64 v[22:23], v[24:25], off glc
	s_cmp_lt_u32 s20, 32
	s_cselect_b32 s22, -1, 0
	s_delay_alu instid0(SALU_CYCLE_1) | instskip(SKIP_3) | instid1(VALU_DEP_1)
	s_cmp_lg_u32 s22, 0
	s_addc_u32 s20, s20, 0
	s_waitcnt vmcnt(0)
	v_and_b32_e32 v51, 0xff, v23
	v_cmp_ne_u16_e32 vcc_lo, 0, v51
	s_or_b32 s19, vcc_lo, s19
	s_delay_alu instid0(SALU_CYCLE_1)
	s_and_not1_b32 exec_lo, exec_lo, s19
	s_cbranch_execnz .LBB1561_384
; %bb.387:                              ;   in Loop: Header=BB1561_381 Depth=1
	s_or_b32 exec_lo, exec_lo, s19
	s_branch .LBB1561_380
.LBB1561_388:                           ;   in Loop: Header=BB1561_381 Depth=1
                                        ; implicit-def: $vgpr22
                                        ; implicit-def: $vgpr23
	s_cbranch_execz .LBB1561_381
; %bb.389:
	s_and_saveexec_b32 s18, s8
	s_cbranch_execz .LBB1561_391
; %bb.390:
	s_add_i32 s22, s15, 32
	s_mov_b32 s23, 0
	v_dual_mov_b32 v21, 2 :: v_dual_add_nc_u32 v20, v45, v19
	s_lshl_b64 s[22:23], s[22:23], 3
	v_mov_b32_e32 v22, 0
	v_add_nc_u32_e64 v23, 0x8400, 0
	s_add_u32 s22, s10, s22
	s_addc_u32 s23, s11, s23
	global_store_b64 v22, v[20:21], s[22:23]
	ds_store_2addr_b32 v23, v19, v45 offset1:2
.LBB1561_391:
	s_or_b32 exec_lo, exec_lo, s18
	v_cmp_eq_u32_e32 vcc_lo, 0, v0
	s_and_b32 exec_lo, exec_lo, vcc_lo
	s_cbranch_execz .LBB1561_393
; %bb.392:
	v_mov_b32_e32 v19, 0
	ds_store_b32 v19, v45 offset:60
.LBB1561_393:
	s_or_b32 exec_lo, exec_lo, s9
	s_waitcnt lgkmcnt(0)
	v_cndmask_b32_e64 v20, v29, v27, s8
	v_cmp_ne_u32_e32 vcc_lo, 0, v0
	v_mov_b32_e32 v19, 0
	s_waitcnt_vscnt null, 0x0
	s_barrier
	buffer_gl0_inv
	v_cndmask_b32_e32 v20, 0, v20, vcc_lo
	ds_load_b32 v19, v19 offset:60
	s_waitcnt lgkmcnt(0)
	s_barrier
	buffer_gl0_inv
	v_add_nc_u32_e32 v37, v19, v20
	v_add_nc_u32_e64 v19, 0x8400, 0
	s_delay_alu instid0(VALU_DEP_2) | instskip(SKIP_2) | instid1(VALU_DEP_1)
	v_add_nc_u32_e32 v35, v37, v26
	ds_load_2addr_b32 v[19:20], v19 offset1:2
	v_add_nc_u32_e32 v33, v35, v28
	v_add_nc_u32_e32 v31, v33, v30
	s_delay_alu instid0(VALU_DEP_1) | instskip(NEXT) | instid1(VALU_DEP_1)
	v_add_nc_u32_e32 v29, v31, v32
	v_add_nc_u32_e32 v27, v29, v34
	s_delay_alu instid0(VALU_DEP_1) | instskip(NEXT) | instid1(VALU_DEP_1)
	v_add_nc_u32_e32 v25, v27, v36
	v_add_nc_u32_e32 v23, v25, v38
	s_load_b64 s[8:9], s[0:1], 0x28
	v_lshrrev_b64 v[21:22], 24, v[17:18]
	s_branch .LBB1561_404
.LBB1561_394:
                                        ; implicit-def: $vgpr23
                                        ; implicit-def: $vgpr25
                                        ; implicit-def: $vgpr27
                                        ; implicit-def: $vgpr29
                                        ; implicit-def: $vgpr31
                                        ; implicit-def: $vgpr33
                                        ; implicit-def: $vgpr35
                                        ; implicit-def: $vgpr37
                                        ; implicit-def: $vgpr20
	s_load_b64 s[8:9], s[0:1], 0x28
	v_lshrrev_b64 v[21:22], 24, v[17:18]
	s_and_b32 vcc_lo, exec_lo, s18
	s_cbranch_vccz .LBB1561_404
; %bb.395:
	s_waitcnt lgkmcnt(0)
	v_mov_b32_dpp v19, v43 row_shr:1 row_mask:0xf bank_mask:0xf
	s_delay_alu instid0(VALU_DEP_1) | instskip(NEXT) | instid1(VALU_DEP_1)
	v_cndmask_b32_e64 v19, v19, 0, s4
	v_add_nc_u32_e32 v19, v19, v43
	s_delay_alu instid0(VALU_DEP_1) | instskip(NEXT) | instid1(VALU_DEP_1)
	v_mov_b32_dpp v20, v19 row_shr:2 row_mask:0xf bank_mask:0xf
	v_cndmask_b32_e64 v20, 0, v20, s2
	s_delay_alu instid0(VALU_DEP_1) | instskip(NEXT) | instid1(VALU_DEP_1)
	v_add_nc_u32_e32 v19, v19, v20
	v_mov_b32_dpp v20, v19 row_shr:4 row_mask:0xf bank_mask:0xf
	s_delay_alu instid0(VALU_DEP_1) | instskip(NEXT) | instid1(VALU_DEP_1)
	v_cndmask_b32_e64 v20, 0, v20, s5
	v_add_nc_u32_e32 v19, v19, v20
	s_delay_alu instid0(VALU_DEP_1) | instskip(NEXT) | instid1(VALU_DEP_1)
	v_mov_b32_dpp v20, v19 row_shr:8 row_mask:0xf bank_mask:0xf
	v_cndmask_b32_e64 v20, 0, v20, s3
	s_delay_alu instid0(VALU_DEP_1) | instskip(SKIP_3) | instid1(VALU_DEP_1)
	v_add_nc_u32_e32 v19, v19, v20
	ds_swizzle_b32 v20, v19 offset:swizzle(BROADCAST,32,15)
	s_waitcnt lgkmcnt(0)
	v_cndmask_b32_e64 v20, v20, 0, s7
	v_add_nc_u32_e32 v19, v19, v20
	s_and_saveexec_b32 s0, s6
	s_cbranch_execz .LBB1561_397
; %bb.396:
	v_lshlrev_b32_e32 v20, 2, v42
	ds_store_b32 v20, v19
.LBB1561_397:
	s_or_b32 exec_lo, exec_lo, s0
	s_delay_alu instid0(SALU_CYCLE_1)
	s_mov_b32 s0, exec_lo
	s_waitcnt lgkmcnt(0)
	s_barrier
	buffer_gl0_inv
	v_cmpx_gt_u32_e32 16, v0
	s_cbranch_execz .LBB1561_399
; %bb.398:
	v_lshlrev_b32_e32 v20, 2, v0
	ds_load_b32 v22, v20
	s_waitcnt lgkmcnt(0)
	v_mov_b32_dpp v23, v22 row_shr:1 row_mask:0xf bank_mask:0xf
	s_delay_alu instid0(VALU_DEP_1) | instskip(NEXT) | instid1(VALU_DEP_1)
	v_cndmask_b32_e64 v23, v23, 0, s4
	v_add_nc_u32_e32 v22, v23, v22
	s_delay_alu instid0(VALU_DEP_1) | instskip(NEXT) | instid1(VALU_DEP_1)
	v_mov_b32_dpp v23, v22 row_shr:2 row_mask:0xf bank_mask:0xf
	v_cndmask_b32_e64 v23, 0, v23, s2
	s_delay_alu instid0(VALU_DEP_1) | instskip(NEXT) | instid1(VALU_DEP_1)
	v_add_nc_u32_e32 v22, v22, v23
	v_mov_b32_dpp v23, v22 row_shr:4 row_mask:0xf bank_mask:0xf
	s_delay_alu instid0(VALU_DEP_1) | instskip(NEXT) | instid1(VALU_DEP_1)
	v_cndmask_b32_e64 v23, 0, v23, s5
	v_add_nc_u32_e32 v22, v22, v23
	s_delay_alu instid0(VALU_DEP_1) | instskip(NEXT) | instid1(VALU_DEP_1)
	v_mov_b32_dpp v23, v22 row_shr:8 row_mask:0xf bank_mask:0xf
	v_cndmask_b32_e64 v23, 0, v23, s3
	s_delay_alu instid0(VALU_DEP_1)
	v_add_nc_u32_e32 v22, v22, v23
	ds_store_b32 v20, v22
.LBB1561_399:
	s_or_b32 exec_lo, exec_lo, s0
	v_mov_b32_e32 v20, 0
	v_mov_b32_e32 v22, 0
	s_mov_b32 s0, exec_lo
	s_waitcnt lgkmcnt(0)
	s_barrier
	buffer_gl0_inv
	v_cmpx_lt_u32_e32 31, v0
	s_cbranch_execz .LBB1561_401
; %bb.400:
	v_lshl_add_u32 v22, v42, 2, -4
	ds_load_b32 v22, v22
.LBB1561_401:
	s_or_b32 exec_lo, exec_lo, s0
	v_add_nc_u32_e32 v23, -1, v41
	s_waitcnt lgkmcnt(0)
	v_add_nc_u32_e32 v19, v22, v19
	s_delay_alu instid0(VALU_DEP_2) | instskip(SKIP_2) | instid1(VALU_DEP_2)
	v_cmp_gt_i32_e32 vcc_lo, 0, v23
	v_cndmask_b32_e32 v23, v23, v41, vcc_lo
	v_cmp_eq_u32_e32 vcc_lo, 0, v0
	v_lshlrev_b32_e32 v23, 2, v23
	ds_bpermute_b32 v23, v23, v19
	ds_load_b32 v19, v20 offset:60
	s_and_saveexec_b32 s0, vcc_lo
	s_cbranch_execz .LBB1561_403
; %bb.402:
	v_mov_b32_e32 v24, 0
	v_mov_b32_e32 v20, 2
	s_waitcnt lgkmcnt(0)
	global_store_b64 v24, v[19:20], s[10:11] offset:256
.LBB1561_403:
	s_or_b32 exec_lo, exec_lo, s0
	v_cmp_eq_u32_e64 s0, 0, v41
	s_waitcnt lgkmcnt(0)
	s_waitcnt_vscnt null, 0x0
	s_barrier
	buffer_gl0_inv
	v_cndmask_b32_e64 v20, v23, v22, s0
	s_delay_alu instid0(VALU_DEP_1) | instskip(NEXT) | instid1(VALU_DEP_1)
	v_cndmask_b32_e64 v37, v20, 0, vcc_lo
	v_dual_mov_b32 v20, 0 :: v_dual_add_nc_u32 v35, v37, v26
	s_delay_alu instid0(VALU_DEP_1) | instskip(NEXT) | instid1(VALU_DEP_1)
	v_add_nc_u32_e32 v33, v35, v28
	v_add_nc_u32_e32 v31, v33, v30
	s_delay_alu instid0(VALU_DEP_1) | instskip(NEXT) | instid1(VALU_DEP_1)
	v_add_nc_u32_e32 v29, v31, v32
	v_add_nc_u32_e32 v27, v29, v34
	;; [unrolled: 3-line block ×3, first 2 shown]
.LBB1561_404:
	s_waitcnt lgkmcnt(0)
	v_cmp_gt_u32_e32 vcc_lo, 0x201, v19
	v_lshrrev_b32_e32 v43, 8, v17
	v_lshrrev_b32_e32 v42, 16, v17
	;; [unrolled: 1-line block ×4, first 2 shown]
	s_mov_b32 s0, -1
	s_cbranch_vccnz .LBB1561_408
; %bb.405:
	s_and_b32 vcc_lo, exec_lo, s0
	s_cbranch_vccnz .LBB1561_433
.LBB1561_406:
	v_cmp_eq_u32_e32 vcc_lo, 0, v0
	s_and_b32 s0, vcc_lo, s14
	s_delay_alu instid0(SALU_CYCLE_1)
	s_and_saveexec_b32 s1, s0
	s_cbranch_execnz .LBB1561_453
.LBB1561_407:
	s_nop 0
	s_sendmsg sendmsg(MSG_DEALLOC_VGPRS)
	s_endpgm
.LBB1561_408:
	v_add_nc_u32_e32 v24, v20, v19
	s_delay_alu instid0(VALU_DEP_1) | instskip(SKIP_1) | instid1(SALU_CYCLE_1)
	v_cmp_lt_u32_e32 vcc_lo, v37, v24
	s_or_b32 s1, s21, vcc_lo
	s_and_saveexec_b32 s0, s1
	s_cbranch_execz .LBB1561_411
; %bb.409:
	v_and_b32_e32 v26, 1, v17
	s_delay_alu instid0(VALU_DEP_1)
	v_cmp_eq_u32_e32 vcc_lo, 1, v26
	s_and_b32 exec_lo, exec_lo, vcc_lo
	s_cbranch_execz .LBB1561_411
; %bb.410:
	v_mov_b32_e32 v38, 0
	s_lshl_b64 s[2:3], s[12:13], 3
	s_delay_alu instid0(SALU_CYCLE_1) | instskip(SKIP_1) | instid1(VALU_DEP_1)
	s_add_u32 s1, s8, s2
	s_addc_u32 s2, s9, s3
	v_lshlrev_b64 v[44:45], 3, v[37:38]
	s_delay_alu instid0(VALU_DEP_1) | instskip(NEXT) | instid1(VALU_DEP_2)
	v_add_co_u32 v44, vcc_lo, s1, v44
	v_add_co_ci_u32_e32 v45, vcc_lo, s2, v45, vcc_lo
	global_store_b64 v[44:45], v[13:14], off
.LBB1561_411:
	s_or_b32 exec_lo, exec_lo, s0
	v_cmp_lt_u32_e32 vcc_lo, v35, v24
	s_or_b32 s1, s21, vcc_lo
	s_delay_alu instid0(SALU_CYCLE_1)
	s_and_saveexec_b32 s0, s1
	s_cbranch_execz .LBB1561_414
; %bb.412:
	v_and_b32_e32 v26, 1, v43
	s_delay_alu instid0(VALU_DEP_1)
	v_cmp_eq_u32_e32 vcc_lo, 1, v26
	s_and_b32 exec_lo, exec_lo, vcc_lo
	s_cbranch_execz .LBB1561_414
; %bb.413:
	v_mov_b32_e32 v36, 0
	s_lshl_b64 s[2:3], s[12:13], 3
	s_delay_alu instid0(SALU_CYCLE_1) | instskip(SKIP_1) | instid1(VALU_DEP_1)
	s_add_u32 s1, s8, s2
	s_addc_u32 s2, s9, s3
	v_lshlrev_b64 v[44:45], 3, v[35:36]
	s_delay_alu instid0(VALU_DEP_1) | instskip(NEXT) | instid1(VALU_DEP_2)
	v_add_co_u32 v44, vcc_lo, s1, v44
	v_add_co_ci_u32_e32 v45, vcc_lo, s2, v45, vcc_lo
	global_store_b64 v[44:45], v[15:16], off
.LBB1561_414:
	s_or_b32 exec_lo, exec_lo, s0
	v_cmp_lt_u32_e32 vcc_lo, v33, v24
	s_or_b32 s1, s21, vcc_lo
	s_delay_alu instid0(SALU_CYCLE_1)
	;; [unrolled: 24-line block ×7, first 2 shown]
	s_and_saveexec_b32 s0, s1
	s_cbranch_execz .LBB1561_432
; %bb.430:
	v_and_b32_e32 v24, 1, v40
	s_delay_alu instid0(VALU_DEP_1)
	v_cmp_eq_u32_e32 vcc_lo, 1, v24
	s_and_b32 exec_lo, exec_lo, vcc_lo
	s_cbranch_execz .LBB1561_432
; %bb.431:
	v_mov_b32_e32 v24, 0
	s_lshl_b64 s[2:3], s[12:13], 3
	s_delay_alu instid0(SALU_CYCLE_1) | instskip(SKIP_1) | instid1(VALU_DEP_1)
	s_add_u32 s1, s8, s2
	s_addc_u32 s2, s9, s3
	v_lshlrev_b64 v[44:45], 3, v[23:24]
	s_delay_alu instid0(VALU_DEP_1) | instskip(NEXT) | instid1(VALU_DEP_2)
	v_add_co_u32 v44, vcc_lo, s1, v44
	v_add_co_ci_u32_e32 v45, vcc_lo, s2, v45, vcc_lo
	global_store_b64 v[44:45], v[3:4], off
.LBB1561_432:
	s_or_b32 exec_lo, exec_lo, s0
	s_branch .LBB1561_406
.LBB1561_433:
	v_and_b32_e32 v17, 1, v17
	s_mov_b32 s0, exec_lo
	s_delay_alu instid0(VALU_DEP_1)
	v_cmpx_eq_u32_e32 1, v17
	s_cbranch_execz .LBB1561_435
; %bb.434:
	v_sub_nc_u32_e32 v17, v37, v20
	s_delay_alu instid0(VALU_DEP_1)
	v_lshlrev_b32_e32 v17, 3, v17
	ds_store_b64 v17, v[13:14]
.LBB1561_435:
	s_or_b32 exec_lo, exec_lo, s0
	v_and_b32_e32 v13, 1, v43
	s_mov_b32 s0, exec_lo
	s_delay_alu instid0(VALU_DEP_1)
	v_cmpx_eq_u32_e32 1, v13
	s_cbranch_execz .LBB1561_437
; %bb.436:
	v_sub_nc_u32_e32 v13, v35, v20
	s_delay_alu instid0(VALU_DEP_1)
	v_lshlrev_b32_e32 v13, 3, v13
	ds_store_b64 v13, v[15:16]
.LBB1561_437:
	s_or_b32 exec_lo, exec_lo, s0
	;; [unrolled: 12-line block ×8, first 2 shown]
	s_delay_alu instid0(SALU_CYCLE_1)
	s_mov_b32 s1, exec_lo
	s_waitcnt lgkmcnt(0)
	s_waitcnt_vscnt null, 0x0
	s_barrier
	buffer_gl0_inv
	v_cmpx_lt_u32_e64 v0, v19
	s_cbranch_execz .LBB1561_452
; %bb.450:
	v_dual_mov_b32 v2, 0 :: v_dual_mov_b32 v1, v20
	s_lshl_b64 s[2:3], s[12:13], 3
	v_mov_b32_e32 v3, v0
	s_delay_alu instid0(VALU_DEP_2) | instskip(NEXT) | instid1(VALU_DEP_1)
	v_lshlrev_b64 v[1:2], 3, v[1:2]
	v_add_co_u32 v1, vcc_lo, s2, v1
	s_delay_alu instid0(VALU_DEP_2) | instskip(SKIP_1) | instid1(VALU_DEP_2)
	v_add_co_ci_u32_e32 v2, vcc_lo, s3, v2, vcc_lo
	s_mov_b32 s2, 0
	v_add_co_u32 v1, vcc_lo, s8, v1
	s_delay_alu instid0(VALU_DEP_2) | instskip(NEXT) | instid1(VALU_DEP_2)
	v_add_co_ci_u32_e32 v2, vcc_lo, s9, v2, vcc_lo
	v_add_co_u32 v1, vcc_lo, v1, v39
	s_delay_alu instid0(VALU_DEP_2)
	v_add_co_ci_u32_e32 v2, vcc_lo, 0, v2, vcc_lo
	.p2align	6
.LBB1561_451:                           ; =>This Inner Loop Header: Depth=1
	ds_load_b64 v[4:5], v39
	v_add_nc_u32_e32 v3, 0x200, v3
	v_add_nc_u32_e32 v39, 0x1000, v39
	s_delay_alu instid0(VALU_DEP_2) | instskip(SKIP_4) | instid1(VALU_DEP_1)
	v_cmp_ge_u32_e32 vcc_lo, v3, v19
	s_or_b32 s2, vcc_lo, s2
	s_waitcnt lgkmcnt(0)
	global_store_b64 v[1:2], v[4:5], off
	v_add_co_u32 v1, s0, 0x1000, v1
	v_add_co_ci_u32_e64 v2, s0, 0, v2, s0
	s_and_not1_b32 exec_lo, exec_lo, s2
	s_cbranch_execnz .LBB1561_451
.LBB1561_452:
	s_or_b32 exec_lo, exec_lo, s1
	v_cmp_eq_u32_e32 vcc_lo, 0, v0
	s_and_b32 s0, vcc_lo, s14
	s_delay_alu instid0(SALU_CYCLE_1)
	s_and_saveexec_b32 s1, s0
	s_cbranch_execz .LBB1561_407
.LBB1561_453:
	v_add_co_u32 v0, s0, s12, v19
	s_delay_alu instid0(VALU_DEP_1) | instskip(SKIP_1) | instid1(VALU_DEP_3)
	v_add_co_ci_u32_e64 v1, null, s13, 0, s0
	v_mov_b32_e32 v2, 0
	v_add_co_u32 v0, vcc_lo, v0, v20
	s_delay_alu instid0(VALU_DEP_3)
	v_add_co_ci_u32_e32 v1, vcc_lo, 0, v1, vcc_lo
	global_store_b64 v2, v[0:1], s[16:17]
	s_nop 0
	s_sendmsg sendmsg(MSG_DEALLOC_VGPRS)
	s_endpgm
	.section	.rodata,"a",@progbits
	.p2align	6, 0x0
	.amdhsa_kernel _ZN7rocprim17ROCPRIM_400000_NS6detail17trampoline_kernelINS0_14default_configENS1_25partition_config_selectorILNS1_17partition_subalgoE8ElNS0_10empty_typeEbEEZZNS1_14partition_implILS5_8ELb0ES3_jPlPS6_PKS6_NS0_5tupleIJS9_S6_EEENSD_IJSA_SA_EEENS0_18inequality_wrapperIZN2at6native12_GLOBAL__N_124unique_dim_cuda_templateIjEESt5tupleIJNSH_6TensorESM_SM_EERKSM_lbbbEUlllE0_EEPmJS6_EEE10hipError_tPvRmT3_T4_T5_T6_T7_T9_mT8_P12ihipStream_tbDpT10_ENKUlT_T0_E_clISt17integral_constantIbLb1EES1B_IbLb0EEEEDaS17_S18_EUlS17_E_NS1_11comp_targetILNS1_3genE9ELNS1_11target_archE1100ELNS1_3gpuE3ELNS1_3repE0EEENS1_30default_config_static_selectorELNS0_4arch9wavefront6targetE0EEEvT1_
		.amdhsa_group_segment_fixed_size 33804
		.amdhsa_private_segment_fixed_size 0
		.amdhsa_kernarg_size 120
		.amdhsa_user_sgpr_count 15
		.amdhsa_user_sgpr_dispatch_ptr 0
		.amdhsa_user_sgpr_queue_ptr 0
		.amdhsa_user_sgpr_kernarg_segment_ptr 1
		.amdhsa_user_sgpr_dispatch_id 0
		.amdhsa_user_sgpr_private_segment_size 0
		.amdhsa_wavefront_size32 1
		.amdhsa_uses_dynamic_stack 0
		.amdhsa_enable_private_segment 0
		.amdhsa_system_sgpr_workgroup_id_x 1
		.amdhsa_system_sgpr_workgroup_id_y 0
		.amdhsa_system_sgpr_workgroup_id_z 0
		.amdhsa_system_sgpr_workgroup_info 0
		.amdhsa_system_vgpr_workitem_id 0
		.amdhsa_next_free_vgpr 52
		.amdhsa_next_free_sgpr 36
		.amdhsa_reserve_vcc 1
		.amdhsa_float_round_mode_32 0
		.amdhsa_float_round_mode_16_64 0
		.amdhsa_float_denorm_mode_32 3
		.amdhsa_float_denorm_mode_16_64 3
		.amdhsa_dx10_clamp 1
		.amdhsa_ieee_mode 1
		.amdhsa_fp16_overflow 0
		.amdhsa_workgroup_processor_mode 1
		.amdhsa_memory_ordered 1
		.amdhsa_forward_progress 0
		.amdhsa_shared_vgpr_count 0
		.amdhsa_exception_fp_ieee_invalid_op 0
		.amdhsa_exception_fp_denorm_src 0
		.amdhsa_exception_fp_ieee_div_zero 0
		.amdhsa_exception_fp_ieee_overflow 0
		.amdhsa_exception_fp_ieee_underflow 0
		.amdhsa_exception_fp_ieee_inexact 0
		.amdhsa_exception_int_div_zero 0
	.end_amdhsa_kernel
	.section	.text._ZN7rocprim17ROCPRIM_400000_NS6detail17trampoline_kernelINS0_14default_configENS1_25partition_config_selectorILNS1_17partition_subalgoE8ElNS0_10empty_typeEbEEZZNS1_14partition_implILS5_8ELb0ES3_jPlPS6_PKS6_NS0_5tupleIJS9_S6_EEENSD_IJSA_SA_EEENS0_18inequality_wrapperIZN2at6native12_GLOBAL__N_124unique_dim_cuda_templateIjEESt5tupleIJNSH_6TensorESM_SM_EERKSM_lbbbEUlllE0_EEPmJS6_EEE10hipError_tPvRmT3_T4_T5_T6_T7_T9_mT8_P12ihipStream_tbDpT10_ENKUlT_T0_E_clISt17integral_constantIbLb1EES1B_IbLb0EEEEDaS17_S18_EUlS17_E_NS1_11comp_targetILNS1_3genE9ELNS1_11target_archE1100ELNS1_3gpuE3ELNS1_3repE0EEENS1_30default_config_static_selectorELNS0_4arch9wavefront6targetE0EEEvT1_,"axG",@progbits,_ZN7rocprim17ROCPRIM_400000_NS6detail17trampoline_kernelINS0_14default_configENS1_25partition_config_selectorILNS1_17partition_subalgoE8ElNS0_10empty_typeEbEEZZNS1_14partition_implILS5_8ELb0ES3_jPlPS6_PKS6_NS0_5tupleIJS9_S6_EEENSD_IJSA_SA_EEENS0_18inequality_wrapperIZN2at6native12_GLOBAL__N_124unique_dim_cuda_templateIjEESt5tupleIJNSH_6TensorESM_SM_EERKSM_lbbbEUlllE0_EEPmJS6_EEE10hipError_tPvRmT3_T4_T5_T6_T7_T9_mT8_P12ihipStream_tbDpT10_ENKUlT_T0_E_clISt17integral_constantIbLb1EES1B_IbLb0EEEEDaS17_S18_EUlS17_E_NS1_11comp_targetILNS1_3genE9ELNS1_11target_archE1100ELNS1_3gpuE3ELNS1_3repE0EEENS1_30default_config_static_selectorELNS0_4arch9wavefront6targetE0EEEvT1_,comdat
.Lfunc_end1561:
	.size	_ZN7rocprim17ROCPRIM_400000_NS6detail17trampoline_kernelINS0_14default_configENS1_25partition_config_selectorILNS1_17partition_subalgoE8ElNS0_10empty_typeEbEEZZNS1_14partition_implILS5_8ELb0ES3_jPlPS6_PKS6_NS0_5tupleIJS9_S6_EEENSD_IJSA_SA_EEENS0_18inequality_wrapperIZN2at6native12_GLOBAL__N_124unique_dim_cuda_templateIjEESt5tupleIJNSH_6TensorESM_SM_EERKSM_lbbbEUlllE0_EEPmJS6_EEE10hipError_tPvRmT3_T4_T5_T6_T7_T9_mT8_P12ihipStream_tbDpT10_ENKUlT_T0_E_clISt17integral_constantIbLb1EES1B_IbLb0EEEEDaS17_S18_EUlS17_E_NS1_11comp_targetILNS1_3genE9ELNS1_11target_archE1100ELNS1_3gpuE3ELNS1_3repE0EEENS1_30default_config_static_selectorELNS0_4arch9wavefront6targetE0EEEvT1_, .Lfunc_end1561-_ZN7rocprim17ROCPRIM_400000_NS6detail17trampoline_kernelINS0_14default_configENS1_25partition_config_selectorILNS1_17partition_subalgoE8ElNS0_10empty_typeEbEEZZNS1_14partition_implILS5_8ELb0ES3_jPlPS6_PKS6_NS0_5tupleIJS9_S6_EEENSD_IJSA_SA_EEENS0_18inequality_wrapperIZN2at6native12_GLOBAL__N_124unique_dim_cuda_templateIjEESt5tupleIJNSH_6TensorESM_SM_EERKSM_lbbbEUlllE0_EEPmJS6_EEE10hipError_tPvRmT3_T4_T5_T6_T7_T9_mT8_P12ihipStream_tbDpT10_ENKUlT_T0_E_clISt17integral_constantIbLb1EES1B_IbLb0EEEEDaS17_S18_EUlS17_E_NS1_11comp_targetILNS1_3genE9ELNS1_11target_archE1100ELNS1_3gpuE3ELNS1_3repE0EEENS1_30default_config_static_selectorELNS0_4arch9wavefront6targetE0EEEvT1_
                                        ; -- End function
	.section	.AMDGPU.csdata,"",@progbits
; Kernel info:
; codeLenInByte = 18332
; NumSgprs: 38
; NumVgprs: 52
; ScratchSize: 0
; MemoryBound: 0
; FloatMode: 240
; IeeeMode: 1
; LDSByteSize: 33804 bytes/workgroup (compile time only)
; SGPRBlocks: 4
; VGPRBlocks: 6
; NumSGPRsForWavesPerEU: 38
; NumVGPRsForWavesPerEU: 52
; Occupancy: 12
; WaveLimiterHint : 1
; COMPUTE_PGM_RSRC2:SCRATCH_EN: 0
; COMPUTE_PGM_RSRC2:USER_SGPR: 15
; COMPUTE_PGM_RSRC2:TRAP_HANDLER: 0
; COMPUTE_PGM_RSRC2:TGID_X_EN: 1
; COMPUTE_PGM_RSRC2:TGID_Y_EN: 0
; COMPUTE_PGM_RSRC2:TGID_Z_EN: 0
; COMPUTE_PGM_RSRC2:TIDIG_COMP_CNT: 0
	.section	.text._ZN7rocprim17ROCPRIM_400000_NS6detail17trampoline_kernelINS0_14default_configENS1_25partition_config_selectorILNS1_17partition_subalgoE8ElNS0_10empty_typeEbEEZZNS1_14partition_implILS5_8ELb0ES3_jPlPS6_PKS6_NS0_5tupleIJS9_S6_EEENSD_IJSA_SA_EEENS0_18inequality_wrapperIZN2at6native12_GLOBAL__N_124unique_dim_cuda_templateIjEESt5tupleIJNSH_6TensorESM_SM_EERKSM_lbbbEUlllE0_EEPmJS6_EEE10hipError_tPvRmT3_T4_T5_T6_T7_T9_mT8_P12ihipStream_tbDpT10_ENKUlT_T0_E_clISt17integral_constantIbLb1EES1B_IbLb0EEEEDaS17_S18_EUlS17_E_NS1_11comp_targetILNS1_3genE8ELNS1_11target_archE1030ELNS1_3gpuE2ELNS1_3repE0EEENS1_30default_config_static_selectorELNS0_4arch9wavefront6targetE0EEEvT1_,"axG",@progbits,_ZN7rocprim17ROCPRIM_400000_NS6detail17trampoline_kernelINS0_14default_configENS1_25partition_config_selectorILNS1_17partition_subalgoE8ElNS0_10empty_typeEbEEZZNS1_14partition_implILS5_8ELb0ES3_jPlPS6_PKS6_NS0_5tupleIJS9_S6_EEENSD_IJSA_SA_EEENS0_18inequality_wrapperIZN2at6native12_GLOBAL__N_124unique_dim_cuda_templateIjEESt5tupleIJNSH_6TensorESM_SM_EERKSM_lbbbEUlllE0_EEPmJS6_EEE10hipError_tPvRmT3_T4_T5_T6_T7_T9_mT8_P12ihipStream_tbDpT10_ENKUlT_T0_E_clISt17integral_constantIbLb1EES1B_IbLb0EEEEDaS17_S18_EUlS17_E_NS1_11comp_targetILNS1_3genE8ELNS1_11target_archE1030ELNS1_3gpuE2ELNS1_3repE0EEENS1_30default_config_static_selectorELNS0_4arch9wavefront6targetE0EEEvT1_,comdat
	.globl	_ZN7rocprim17ROCPRIM_400000_NS6detail17trampoline_kernelINS0_14default_configENS1_25partition_config_selectorILNS1_17partition_subalgoE8ElNS0_10empty_typeEbEEZZNS1_14partition_implILS5_8ELb0ES3_jPlPS6_PKS6_NS0_5tupleIJS9_S6_EEENSD_IJSA_SA_EEENS0_18inequality_wrapperIZN2at6native12_GLOBAL__N_124unique_dim_cuda_templateIjEESt5tupleIJNSH_6TensorESM_SM_EERKSM_lbbbEUlllE0_EEPmJS6_EEE10hipError_tPvRmT3_T4_T5_T6_T7_T9_mT8_P12ihipStream_tbDpT10_ENKUlT_T0_E_clISt17integral_constantIbLb1EES1B_IbLb0EEEEDaS17_S18_EUlS17_E_NS1_11comp_targetILNS1_3genE8ELNS1_11target_archE1030ELNS1_3gpuE2ELNS1_3repE0EEENS1_30default_config_static_selectorELNS0_4arch9wavefront6targetE0EEEvT1_ ; -- Begin function _ZN7rocprim17ROCPRIM_400000_NS6detail17trampoline_kernelINS0_14default_configENS1_25partition_config_selectorILNS1_17partition_subalgoE8ElNS0_10empty_typeEbEEZZNS1_14partition_implILS5_8ELb0ES3_jPlPS6_PKS6_NS0_5tupleIJS9_S6_EEENSD_IJSA_SA_EEENS0_18inequality_wrapperIZN2at6native12_GLOBAL__N_124unique_dim_cuda_templateIjEESt5tupleIJNSH_6TensorESM_SM_EERKSM_lbbbEUlllE0_EEPmJS6_EEE10hipError_tPvRmT3_T4_T5_T6_T7_T9_mT8_P12ihipStream_tbDpT10_ENKUlT_T0_E_clISt17integral_constantIbLb1EES1B_IbLb0EEEEDaS17_S18_EUlS17_E_NS1_11comp_targetILNS1_3genE8ELNS1_11target_archE1030ELNS1_3gpuE2ELNS1_3repE0EEENS1_30default_config_static_selectorELNS0_4arch9wavefront6targetE0EEEvT1_
	.p2align	8
	.type	_ZN7rocprim17ROCPRIM_400000_NS6detail17trampoline_kernelINS0_14default_configENS1_25partition_config_selectorILNS1_17partition_subalgoE8ElNS0_10empty_typeEbEEZZNS1_14partition_implILS5_8ELb0ES3_jPlPS6_PKS6_NS0_5tupleIJS9_S6_EEENSD_IJSA_SA_EEENS0_18inequality_wrapperIZN2at6native12_GLOBAL__N_124unique_dim_cuda_templateIjEESt5tupleIJNSH_6TensorESM_SM_EERKSM_lbbbEUlllE0_EEPmJS6_EEE10hipError_tPvRmT3_T4_T5_T6_T7_T9_mT8_P12ihipStream_tbDpT10_ENKUlT_T0_E_clISt17integral_constantIbLb1EES1B_IbLb0EEEEDaS17_S18_EUlS17_E_NS1_11comp_targetILNS1_3genE8ELNS1_11target_archE1030ELNS1_3gpuE2ELNS1_3repE0EEENS1_30default_config_static_selectorELNS0_4arch9wavefront6targetE0EEEvT1_,@function
_ZN7rocprim17ROCPRIM_400000_NS6detail17trampoline_kernelINS0_14default_configENS1_25partition_config_selectorILNS1_17partition_subalgoE8ElNS0_10empty_typeEbEEZZNS1_14partition_implILS5_8ELb0ES3_jPlPS6_PKS6_NS0_5tupleIJS9_S6_EEENSD_IJSA_SA_EEENS0_18inequality_wrapperIZN2at6native12_GLOBAL__N_124unique_dim_cuda_templateIjEESt5tupleIJNSH_6TensorESM_SM_EERKSM_lbbbEUlllE0_EEPmJS6_EEE10hipError_tPvRmT3_T4_T5_T6_T7_T9_mT8_P12ihipStream_tbDpT10_ENKUlT_T0_E_clISt17integral_constantIbLb1EES1B_IbLb0EEEEDaS17_S18_EUlS17_E_NS1_11comp_targetILNS1_3genE8ELNS1_11target_archE1030ELNS1_3gpuE2ELNS1_3repE0EEENS1_30default_config_static_selectorELNS0_4arch9wavefront6targetE0EEEvT1_: ; @_ZN7rocprim17ROCPRIM_400000_NS6detail17trampoline_kernelINS0_14default_configENS1_25partition_config_selectorILNS1_17partition_subalgoE8ElNS0_10empty_typeEbEEZZNS1_14partition_implILS5_8ELb0ES3_jPlPS6_PKS6_NS0_5tupleIJS9_S6_EEENSD_IJSA_SA_EEENS0_18inequality_wrapperIZN2at6native12_GLOBAL__N_124unique_dim_cuda_templateIjEESt5tupleIJNSH_6TensorESM_SM_EERKSM_lbbbEUlllE0_EEPmJS6_EEE10hipError_tPvRmT3_T4_T5_T6_T7_T9_mT8_P12ihipStream_tbDpT10_ENKUlT_T0_E_clISt17integral_constantIbLb1EES1B_IbLb0EEEEDaS17_S18_EUlS17_E_NS1_11comp_targetILNS1_3genE8ELNS1_11target_archE1030ELNS1_3gpuE2ELNS1_3repE0EEENS1_30default_config_static_selectorELNS0_4arch9wavefront6targetE0EEEvT1_
; %bb.0:
	.section	.rodata,"a",@progbits
	.p2align	6, 0x0
	.amdhsa_kernel _ZN7rocprim17ROCPRIM_400000_NS6detail17trampoline_kernelINS0_14default_configENS1_25partition_config_selectorILNS1_17partition_subalgoE8ElNS0_10empty_typeEbEEZZNS1_14partition_implILS5_8ELb0ES3_jPlPS6_PKS6_NS0_5tupleIJS9_S6_EEENSD_IJSA_SA_EEENS0_18inequality_wrapperIZN2at6native12_GLOBAL__N_124unique_dim_cuda_templateIjEESt5tupleIJNSH_6TensorESM_SM_EERKSM_lbbbEUlllE0_EEPmJS6_EEE10hipError_tPvRmT3_T4_T5_T6_T7_T9_mT8_P12ihipStream_tbDpT10_ENKUlT_T0_E_clISt17integral_constantIbLb1EES1B_IbLb0EEEEDaS17_S18_EUlS17_E_NS1_11comp_targetILNS1_3genE8ELNS1_11target_archE1030ELNS1_3gpuE2ELNS1_3repE0EEENS1_30default_config_static_selectorELNS0_4arch9wavefront6targetE0EEEvT1_
		.amdhsa_group_segment_fixed_size 0
		.amdhsa_private_segment_fixed_size 0
		.amdhsa_kernarg_size 120
		.amdhsa_user_sgpr_count 15
		.amdhsa_user_sgpr_dispatch_ptr 0
		.amdhsa_user_sgpr_queue_ptr 0
		.amdhsa_user_sgpr_kernarg_segment_ptr 1
		.amdhsa_user_sgpr_dispatch_id 0
		.amdhsa_user_sgpr_private_segment_size 0
		.amdhsa_wavefront_size32 1
		.amdhsa_uses_dynamic_stack 0
		.amdhsa_enable_private_segment 0
		.amdhsa_system_sgpr_workgroup_id_x 1
		.amdhsa_system_sgpr_workgroup_id_y 0
		.amdhsa_system_sgpr_workgroup_id_z 0
		.amdhsa_system_sgpr_workgroup_info 0
		.amdhsa_system_vgpr_workitem_id 0
		.amdhsa_next_free_vgpr 1
		.amdhsa_next_free_sgpr 1
		.amdhsa_reserve_vcc 0
		.amdhsa_float_round_mode_32 0
		.amdhsa_float_round_mode_16_64 0
		.amdhsa_float_denorm_mode_32 3
		.amdhsa_float_denorm_mode_16_64 3
		.amdhsa_dx10_clamp 1
		.amdhsa_ieee_mode 1
		.amdhsa_fp16_overflow 0
		.amdhsa_workgroup_processor_mode 1
		.amdhsa_memory_ordered 1
		.amdhsa_forward_progress 0
		.amdhsa_shared_vgpr_count 0
		.amdhsa_exception_fp_ieee_invalid_op 0
		.amdhsa_exception_fp_denorm_src 0
		.amdhsa_exception_fp_ieee_div_zero 0
		.amdhsa_exception_fp_ieee_overflow 0
		.amdhsa_exception_fp_ieee_underflow 0
		.amdhsa_exception_fp_ieee_inexact 0
		.amdhsa_exception_int_div_zero 0
	.end_amdhsa_kernel
	.section	.text._ZN7rocprim17ROCPRIM_400000_NS6detail17trampoline_kernelINS0_14default_configENS1_25partition_config_selectorILNS1_17partition_subalgoE8ElNS0_10empty_typeEbEEZZNS1_14partition_implILS5_8ELb0ES3_jPlPS6_PKS6_NS0_5tupleIJS9_S6_EEENSD_IJSA_SA_EEENS0_18inequality_wrapperIZN2at6native12_GLOBAL__N_124unique_dim_cuda_templateIjEESt5tupleIJNSH_6TensorESM_SM_EERKSM_lbbbEUlllE0_EEPmJS6_EEE10hipError_tPvRmT3_T4_T5_T6_T7_T9_mT8_P12ihipStream_tbDpT10_ENKUlT_T0_E_clISt17integral_constantIbLb1EES1B_IbLb0EEEEDaS17_S18_EUlS17_E_NS1_11comp_targetILNS1_3genE8ELNS1_11target_archE1030ELNS1_3gpuE2ELNS1_3repE0EEENS1_30default_config_static_selectorELNS0_4arch9wavefront6targetE0EEEvT1_,"axG",@progbits,_ZN7rocprim17ROCPRIM_400000_NS6detail17trampoline_kernelINS0_14default_configENS1_25partition_config_selectorILNS1_17partition_subalgoE8ElNS0_10empty_typeEbEEZZNS1_14partition_implILS5_8ELb0ES3_jPlPS6_PKS6_NS0_5tupleIJS9_S6_EEENSD_IJSA_SA_EEENS0_18inequality_wrapperIZN2at6native12_GLOBAL__N_124unique_dim_cuda_templateIjEESt5tupleIJNSH_6TensorESM_SM_EERKSM_lbbbEUlllE0_EEPmJS6_EEE10hipError_tPvRmT3_T4_T5_T6_T7_T9_mT8_P12ihipStream_tbDpT10_ENKUlT_T0_E_clISt17integral_constantIbLb1EES1B_IbLb0EEEEDaS17_S18_EUlS17_E_NS1_11comp_targetILNS1_3genE8ELNS1_11target_archE1030ELNS1_3gpuE2ELNS1_3repE0EEENS1_30default_config_static_selectorELNS0_4arch9wavefront6targetE0EEEvT1_,comdat
.Lfunc_end1562:
	.size	_ZN7rocprim17ROCPRIM_400000_NS6detail17trampoline_kernelINS0_14default_configENS1_25partition_config_selectorILNS1_17partition_subalgoE8ElNS0_10empty_typeEbEEZZNS1_14partition_implILS5_8ELb0ES3_jPlPS6_PKS6_NS0_5tupleIJS9_S6_EEENSD_IJSA_SA_EEENS0_18inequality_wrapperIZN2at6native12_GLOBAL__N_124unique_dim_cuda_templateIjEESt5tupleIJNSH_6TensorESM_SM_EERKSM_lbbbEUlllE0_EEPmJS6_EEE10hipError_tPvRmT3_T4_T5_T6_T7_T9_mT8_P12ihipStream_tbDpT10_ENKUlT_T0_E_clISt17integral_constantIbLb1EES1B_IbLb0EEEEDaS17_S18_EUlS17_E_NS1_11comp_targetILNS1_3genE8ELNS1_11target_archE1030ELNS1_3gpuE2ELNS1_3repE0EEENS1_30default_config_static_selectorELNS0_4arch9wavefront6targetE0EEEvT1_, .Lfunc_end1562-_ZN7rocprim17ROCPRIM_400000_NS6detail17trampoline_kernelINS0_14default_configENS1_25partition_config_selectorILNS1_17partition_subalgoE8ElNS0_10empty_typeEbEEZZNS1_14partition_implILS5_8ELb0ES3_jPlPS6_PKS6_NS0_5tupleIJS9_S6_EEENSD_IJSA_SA_EEENS0_18inequality_wrapperIZN2at6native12_GLOBAL__N_124unique_dim_cuda_templateIjEESt5tupleIJNSH_6TensorESM_SM_EERKSM_lbbbEUlllE0_EEPmJS6_EEE10hipError_tPvRmT3_T4_T5_T6_T7_T9_mT8_P12ihipStream_tbDpT10_ENKUlT_T0_E_clISt17integral_constantIbLb1EES1B_IbLb0EEEEDaS17_S18_EUlS17_E_NS1_11comp_targetILNS1_3genE8ELNS1_11target_archE1030ELNS1_3gpuE2ELNS1_3repE0EEENS1_30default_config_static_selectorELNS0_4arch9wavefront6targetE0EEEvT1_
                                        ; -- End function
	.section	.AMDGPU.csdata,"",@progbits
; Kernel info:
; codeLenInByte = 0
; NumSgprs: 0
; NumVgprs: 0
; ScratchSize: 0
; MemoryBound: 0
; FloatMode: 240
; IeeeMode: 1
; LDSByteSize: 0 bytes/workgroup (compile time only)
; SGPRBlocks: 0
; VGPRBlocks: 0
; NumSGPRsForWavesPerEU: 1
; NumVGPRsForWavesPerEU: 1
; Occupancy: 16
; WaveLimiterHint : 0
; COMPUTE_PGM_RSRC2:SCRATCH_EN: 0
; COMPUTE_PGM_RSRC2:USER_SGPR: 15
; COMPUTE_PGM_RSRC2:TRAP_HANDLER: 0
; COMPUTE_PGM_RSRC2:TGID_X_EN: 1
; COMPUTE_PGM_RSRC2:TGID_Y_EN: 0
; COMPUTE_PGM_RSRC2:TGID_Z_EN: 0
; COMPUTE_PGM_RSRC2:TIDIG_COMP_CNT: 0
	.section	.text._ZN7rocprim17ROCPRIM_400000_NS6detail17trampoline_kernelINS0_14default_configENS1_25partition_config_selectorILNS1_17partition_subalgoE8ElNS0_10empty_typeEbEEZZNS1_14partition_implILS5_8ELb0ES3_jPlPS6_PKS6_NS0_5tupleIJS9_S6_EEENSD_IJSA_SA_EEENS0_18inequality_wrapperIZN2at6native12_GLOBAL__N_124unique_dim_cuda_templateIjEESt5tupleIJNSH_6TensorESM_SM_EERKSM_lbbbEUlllE0_EEPmJS6_EEE10hipError_tPvRmT3_T4_T5_T6_T7_T9_mT8_P12ihipStream_tbDpT10_ENKUlT_T0_E_clISt17integral_constantIbLb0EES1B_IbLb1EEEEDaS17_S18_EUlS17_E_NS1_11comp_targetILNS1_3genE0ELNS1_11target_archE4294967295ELNS1_3gpuE0ELNS1_3repE0EEENS1_30default_config_static_selectorELNS0_4arch9wavefront6targetE0EEEvT1_,"axG",@progbits,_ZN7rocprim17ROCPRIM_400000_NS6detail17trampoline_kernelINS0_14default_configENS1_25partition_config_selectorILNS1_17partition_subalgoE8ElNS0_10empty_typeEbEEZZNS1_14partition_implILS5_8ELb0ES3_jPlPS6_PKS6_NS0_5tupleIJS9_S6_EEENSD_IJSA_SA_EEENS0_18inequality_wrapperIZN2at6native12_GLOBAL__N_124unique_dim_cuda_templateIjEESt5tupleIJNSH_6TensorESM_SM_EERKSM_lbbbEUlllE0_EEPmJS6_EEE10hipError_tPvRmT3_T4_T5_T6_T7_T9_mT8_P12ihipStream_tbDpT10_ENKUlT_T0_E_clISt17integral_constantIbLb0EES1B_IbLb1EEEEDaS17_S18_EUlS17_E_NS1_11comp_targetILNS1_3genE0ELNS1_11target_archE4294967295ELNS1_3gpuE0ELNS1_3repE0EEENS1_30default_config_static_selectorELNS0_4arch9wavefront6targetE0EEEvT1_,comdat
	.globl	_ZN7rocprim17ROCPRIM_400000_NS6detail17trampoline_kernelINS0_14default_configENS1_25partition_config_selectorILNS1_17partition_subalgoE8ElNS0_10empty_typeEbEEZZNS1_14partition_implILS5_8ELb0ES3_jPlPS6_PKS6_NS0_5tupleIJS9_S6_EEENSD_IJSA_SA_EEENS0_18inequality_wrapperIZN2at6native12_GLOBAL__N_124unique_dim_cuda_templateIjEESt5tupleIJNSH_6TensorESM_SM_EERKSM_lbbbEUlllE0_EEPmJS6_EEE10hipError_tPvRmT3_T4_T5_T6_T7_T9_mT8_P12ihipStream_tbDpT10_ENKUlT_T0_E_clISt17integral_constantIbLb0EES1B_IbLb1EEEEDaS17_S18_EUlS17_E_NS1_11comp_targetILNS1_3genE0ELNS1_11target_archE4294967295ELNS1_3gpuE0ELNS1_3repE0EEENS1_30default_config_static_selectorELNS0_4arch9wavefront6targetE0EEEvT1_ ; -- Begin function _ZN7rocprim17ROCPRIM_400000_NS6detail17trampoline_kernelINS0_14default_configENS1_25partition_config_selectorILNS1_17partition_subalgoE8ElNS0_10empty_typeEbEEZZNS1_14partition_implILS5_8ELb0ES3_jPlPS6_PKS6_NS0_5tupleIJS9_S6_EEENSD_IJSA_SA_EEENS0_18inequality_wrapperIZN2at6native12_GLOBAL__N_124unique_dim_cuda_templateIjEESt5tupleIJNSH_6TensorESM_SM_EERKSM_lbbbEUlllE0_EEPmJS6_EEE10hipError_tPvRmT3_T4_T5_T6_T7_T9_mT8_P12ihipStream_tbDpT10_ENKUlT_T0_E_clISt17integral_constantIbLb0EES1B_IbLb1EEEEDaS17_S18_EUlS17_E_NS1_11comp_targetILNS1_3genE0ELNS1_11target_archE4294967295ELNS1_3gpuE0ELNS1_3repE0EEENS1_30default_config_static_selectorELNS0_4arch9wavefront6targetE0EEEvT1_
	.p2align	8
	.type	_ZN7rocprim17ROCPRIM_400000_NS6detail17trampoline_kernelINS0_14default_configENS1_25partition_config_selectorILNS1_17partition_subalgoE8ElNS0_10empty_typeEbEEZZNS1_14partition_implILS5_8ELb0ES3_jPlPS6_PKS6_NS0_5tupleIJS9_S6_EEENSD_IJSA_SA_EEENS0_18inequality_wrapperIZN2at6native12_GLOBAL__N_124unique_dim_cuda_templateIjEESt5tupleIJNSH_6TensorESM_SM_EERKSM_lbbbEUlllE0_EEPmJS6_EEE10hipError_tPvRmT3_T4_T5_T6_T7_T9_mT8_P12ihipStream_tbDpT10_ENKUlT_T0_E_clISt17integral_constantIbLb0EES1B_IbLb1EEEEDaS17_S18_EUlS17_E_NS1_11comp_targetILNS1_3genE0ELNS1_11target_archE4294967295ELNS1_3gpuE0ELNS1_3repE0EEENS1_30default_config_static_selectorELNS0_4arch9wavefront6targetE0EEEvT1_,@function
_ZN7rocprim17ROCPRIM_400000_NS6detail17trampoline_kernelINS0_14default_configENS1_25partition_config_selectorILNS1_17partition_subalgoE8ElNS0_10empty_typeEbEEZZNS1_14partition_implILS5_8ELb0ES3_jPlPS6_PKS6_NS0_5tupleIJS9_S6_EEENSD_IJSA_SA_EEENS0_18inequality_wrapperIZN2at6native12_GLOBAL__N_124unique_dim_cuda_templateIjEESt5tupleIJNSH_6TensorESM_SM_EERKSM_lbbbEUlllE0_EEPmJS6_EEE10hipError_tPvRmT3_T4_T5_T6_T7_T9_mT8_P12ihipStream_tbDpT10_ENKUlT_T0_E_clISt17integral_constantIbLb0EES1B_IbLb1EEEEDaS17_S18_EUlS17_E_NS1_11comp_targetILNS1_3genE0ELNS1_11target_archE4294967295ELNS1_3gpuE0ELNS1_3repE0EEENS1_30default_config_static_selectorELNS0_4arch9wavefront6targetE0EEEvT1_: ; @_ZN7rocprim17ROCPRIM_400000_NS6detail17trampoline_kernelINS0_14default_configENS1_25partition_config_selectorILNS1_17partition_subalgoE8ElNS0_10empty_typeEbEEZZNS1_14partition_implILS5_8ELb0ES3_jPlPS6_PKS6_NS0_5tupleIJS9_S6_EEENSD_IJSA_SA_EEENS0_18inequality_wrapperIZN2at6native12_GLOBAL__N_124unique_dim_cuda_templateIjEESt5tupleIJNSH_6TensorESM_SM_EERKSM_lbbbEUlllE0_EEPmJS6_EEE10hipError_tPvRmT3_T4_T5_T6_T7_T9_mT8_P12ihipStream_tbDpT10_ENKUlT_T0_E_clISt17integral_constantIbLb0EES1B_IbLb1EEEEDaS17_S18_EUlS17_E_NS1_11comp_targetILNS1_3genE0ELNS1_11target_archE4294967295ELNS1_3gpuE0ELNS1_3repE0EEENS1_30default_config_static_selectorELNS0_4arch9wavefront6targetE0EEEvT1_
; %bb.0:
	.section	.rodata,"a",@progbits
	.p2align	6, 0x0
	.amdhsa_kernel _ZN7rocprim17ROCPRIM_400000_NS6detail17trampoline_kernelINS0_14default_configENS1_25partition_config_selectorILNS1_17partition_subalgoE8ElNS0_10empty_typeEbEEZZNS1_14partition_implILS5_8ELb0ES3_jPlPS6_PKS6_NS0_5tupleIJS9_S6_EEENSD_IJSA_SA_EEENS0_18inequality_wrapperIZN2at6native12_GLOBAL__N_124unique_dim_cuda_templateIjEESt5tupleIJNSH_6TensorESM_SM_EERKSM_lbbbEUlllE0_EEPmJS6_EEE10hipError_tPvRmT3_T4_T5_T6_T7_T9_mT8_P12ihipStream_tbDpT10_ENKUlT_T0_E_clISt17integral_constantIbLb0EES1B_IbLb1EEEEDaS17_S18_EUlS17_E_NS1_11comp_targetILNS1_3genE0ELNS1_11target_archE4294967295ELNS1_3gpuE0ELNS1_3repE0EEENS1_30default_config_static_selectorELNS0_4arch9wavefront6targetE0EEEvT1_
		.amdhsa_group_segment_fixed_size 0
		.amdhsa_private_segment_fixed_size 0
		.amdhsa_kernarg_size 136
		.amdhsa_user_sgpr_count 15
		.amdhsa_user_sgpr_dispatch_ptr 0
		.amdhsa_user_sgpr_queue_ptr 0
		.amdhsa_user_sgpr_kernarg_segment_ptr 1
		.amdhsa_user_sgpr_dispatch_id 0
		.amdhsa_user_sgpr_private_segment_size 0
		.amdhsa_wavefront_size32 1
		.amdhsa_uses_dynamic_stack 0
		.amdhsa_enable_private_segment 0
		.amdhsa_system_sgpr_workgroup_id_x 1
		.amdhsa_system_sgpr_workgroup_id_y 0
		.amdhsa_system_sgpr_workgroup_id_z 0
		.amdhsa_system_sgpr_workgroup_info 0
		.amdhsa_system_vgpr_workitem_id 0
		.amdhsa_next_free_vgpr 1
		.amdhsa_next_free_sgpr 1
		.amdhsa_reserve_vcc 0
		.amdhsa_float_round_mode_32 0
		.amdhsa_float_round_mode_16_64 0
		.amdhsa_float_denorm_mode_32 3
		.amdhsa_float_denorm_mode_16_64 3
		.amdhsa_dx10_clamp 1
		.amdhsa_ieee_mode 1
		.amdhsa_fp16_overflow 0
		.amdhsa_workgroup_processor_mode 1
		.amdhsa_memory_ordered 1
		.amdhsa_forward_progress 0
		.amdhsa_shared_vgpr_count 0
		.amdhsa_exception_fp_ieee_invalid_op 0
		.amdhsa_exception_fp_denorm_src 0
		.amdhsa_exception_fp_ieee_div_zero 0
		.amdhsa_exception_fp_ieee_overflow 0
		.amdhsa_exception_fp_ieee_underflow 0
		.amdhsa_exception_fp_ieee_inexact 0
		.amdhsa_exception_int_div_zero 0
	.end_amdhsa_kernel
	.section	.text._ZN7rocprim17ROCPRIM_400000_NS6detail17trampoline_kernelINS0_14default_configENS1_25partition_config_selectorILNS1_17partition_subalgoE8ElNS0_10empty_typeEbEEZZNS1_14partition_implILS5_8ELb0ES3_jPlPS6_PKS6_NS0_5tupleIJS9_S6_EEENSD_IJSA_SA_EEENS0_18inequality_wrapperIZN2at6native12_GLOBAL__N_124unique_dim_cuda_templateIjEESt5tupleIJNSH_6TensorESM_SM_EERKSM_lbbbEUlllE0_EEPmJS6_EEE10hipError_tPvRmT3_T4_T5_T6_T7_T9_mT8_P12ihipStream_tbDpT10_ENKUlT_T0_E_clISt17integral_constantIbLb0EES1B_IbLb1EEEEDaS17_S18_EUlS17_E_NS1_11comp_targetILNS1_3genE0ELNS1_11target_archE4294967295ELNS1_3gpuE0ELNS1_3repE0EEENS1_30default_config_static_selectorELNS0_4arch9wavefront6targetE0EEEvT1_,"axG",@progbits,_ZN7rocprim17ROCPRIM_400000_NS6detail17trampoline_kernelINS0_14default_configENS1_25partition_config_selectorILNS1_17partition_subalgoE8ElNS0_10empty_typeEbEEZZNS1_14partition_implILS5_8ELb0ES3_jPlPS6_PKS6_NS0_5tupleIJS9_S6_EEENSD_IJSA_SA_EEENS0_18inequality_wrapperIZN2at6native12_GLOBAL__N_124unique_dim_cuda_templateIjEESt5tupleIJNSH_6TensorESM_SM_EERKSM_lbbbEUlllE0_EEPmJS6_EEE10hipError_tPvRmT3_T4_T5_T6_T7_T9_mT8_P12ihipStream_tbDpT10_ENKUlT_T0_E_clISt17integral_constantIbLb0EES1B_IbLb1EEEEDaS17_S18_EUlS17_E_NS1_11comp_targetILNS1_3genE0ELNS1_11target_archE4294967295ELNS1_3gpuE0ELNS1_3repE0EEENS1_30default_config_static_selectorELNS0_4arch9wavefront6targetE0EEEvT1_,comdat
.Lfunc_end1563:
	.size	_ZN7rocprim17ROCPRIM_400000_NS6detail17trampoline_kernelINS0_14default_configENS1_25partition_config_selectorILNS1_17partition_subalgoE8ElNS0_10empty_typeEbEEZZNS1_14partition_implILS5_8ELb0ES3_jPlPS6_PKS6_NS0_5tupleIJS9_S6_EEENSD_IJSA_SA_EEENS0_18inequality_wrapperIZN2at6native12_GLOBAL__N_124unique_dim_cuda_templateIjEESt5tupleIJNSH_6TensorESM_SM_EERKSM_lbbbEUlllE0_EEPmJS6_EEE10hipError_tPvRmT3_T4_T5_T6_T7_T9_mT8_P12ihipStream_tbDpT10_ENKUlT_T0_E_clISt17integral_constantIbLb0EES1B_IbLb1EEEEDaS17_S18_EUlS17_E_NS1_11comp_targetILNS1_3genE0ELNS1_11target_archE4294967295ELNS1_3gpuE0ELNS1_3repE0EEENS1_30default_config_static_selectorELNS0_4arch9wavefront6targetE0EEEvT1_, .Lfunc_end1563-_ZN7rocprim17ROCPRIM_400000_NS6detail17trampoline_kernelINS0_14default_configENS1_25partition_config_selectorILNS1_17partition_subalgoE8ElNS0_10empty_typeEbEEZZNS1_14partition_implILS5_8ELb0ES3_jPlPS6_PKS6_NS0_5tupleIJS9_S6_EEENSD_IJSA_SA_EEENS0_18inequality_wrapperIZN2at6native12_GLOBAL__N_124unique_dim_cuda_templateIjEESt5tupleIJNSH_6TensorESM_SM_EERKSM_lbbbEUlllE0_EEPmJS6_EEE10hipError_tPvRmT3_T4_T5_T6_T7_T9_mT8_P12ihipStream_tbDpT10_ENKUlT_T0_E_clISt17integral_constantIbLb0EES1B_IbLb1EEEEDaS17_S18_EUlS17_E_NS1_11comp_targetILNS1_3genE0ELNS1_11target_archE4294967295ELNS1_3gpuE0ELNS1_3repE0EEENS1_30default_config_static_selectorELNS0_4arch9wavefront6targetE0EEEvT1_
                                        ; -- End function
	.section	.AMDGPU.csdata,"",@progbits
; Kernel info:
; codeLenInByte = 0
; NumSgprs: 0
; NumVgprs: 0
; ScratchSize: 0
; MemoryBound: 0
; FloatMode: 240
; IeeeMode: 1
; LDSByteSize: 0 bytes/workgroup (compile time only)
; SGPRBlocks: 0
; VGPRBlocks: 0
; NumSGPRsForWavesPerEU: 1
; NumVGPRsForWavesPerEU: 1
; Occupancy: 16
; WaveLimiterHint : 0
; COMPUTE_PGM_RSRC2:SCRATCH_EN: 0
; COMPUTE_PGM_RSRC2:USER_SGPR: 15
; COMPUTE_PGM_RSRC2:TRAP_HANDLER: 0
; COMPUTE_PGM_RSRC2:TGID_X_EN: 1
; COMPUTE_PGM_RSRC2:TGID_Y_EN: 0
; COMPUTE_PGM_RSRC2:TGID_Z_EN: 0
; COMPUTE_PGM_RSRC2:TIDIG_COMP_CNT: 0
	.section	.text._ZN7rocprim17ROCPRIM_400000_NS6detail17trampoline_kernelINS0_14default_configENS1_25partition_config_selectorILNS1_17partition_subalgoE8ElNS0_10empty_typeEbEEZZNS1_14partition_implILS5_8ELb0ES3_jPlPS6_PKS6_NS0_5tupleIJS9_S6_EEENSD_IJSA_SA_EEENS0_18inequality_wrapperIZN2at6native12_GLOBAL__N_124unique_dim_cuda_templateIjEESt5tupleIJNSH_6TensorESM_SM_EERKSM_lbbbEUlllE0_EEPmJS6_EEE10hipError_tPvRmT3_T4_T5_T6_T7_T9_mT8_P12ihipStream_tbDpT10_ENKUlT_T0_E_clISt17integral_constantIbLb0EES1B_IbLb1EEEEDaS17_S18_EUlS17_E_NS1_11comp_targetILNS1_3genE5ELNS1_11target_archE942ELNS1_3gpuE9ELNS1_3repE0EEENS1_30default_config_static_selectorELNS0_4arch9wavefront6targetE0EEEvT1_,"axG",@progbits,_ZN7rocprim17ROCPRIM_400000_NS6detail17trampoline_kernelINS0_14default_configENS1_25partition_config_selectorILNS1_17partition_subalgoE8ElNS0_10empty_typeEbEEZZNS1_14partition_implILS5_8ELb0ES3_jPlPS6_PKS6_NS0_5tupleIJS9_S6_EEENSD_IJSA_SA_EEENS0_18inequality_wrapperIZN2at6native12_GLOBAL__N_124unique_dim_cuda_templateIjEESt5tupleIJNSH_6TensorESM_SM_EERKSM_lbbbEUlllE0_EEPmJS6_EEE10hipError_tPvRmT3_T4_T5_T6_T7_T9_mT8_P12ihipStream_tbDpT10_ENKUlT_T0_E_clISt17integral_constantIbLb0EES1B_IbLb1EEEEDaS17_S18_EUlS17_E_NS1_11comp_targetILNS1_3genE5ELNS1_11target_archE942ELNS1_3gpuE9ELNS1_3repE0EEENS1_30default_config_static_selectorELNS0_4arch9wavefront6targetE0EEEvT1_,comdat
	.globl	_ZN7rocprim17ROCPRIM_400000_NS6detail17trampoline_kernelINS0_14default_configENS1_25partition_config_selectorILNS1_17partition_subalgoE8ElNS0_10empty_typeEbEEZZNS1_14partition_implILS5_8ELb0ES3_jPlPS6_PKS6_NS0_5tupleIJS9_S6_EEENSD_IJSA_SA_EEENS0_18inequality_wrapperIZN2at6native12_GLOBAL__N_124unique_dim_cuda_templateIjEESt5tupleIJNSH_6TensorESM_SM_EERKSM_lbbbEUlllE0_EEPmJS6_EEE10hipError_tPvRmT3_T4_T5_T6_T7_T9_mT8_P12ihipStream_tbDpT10_ENKUlT_T0_E_clISt17integral_constantIbLb0EES1B_IbLb1EEEEDaS17_S18_EUlS17_E_NS1_11comp_targetILNS1_3genE5ELNS1_11target_archE942ELNS1_3gpuE9ELNS1_3repE0EEENS1_30default_config_static_selectorELNS0_4arch9wavefront6targetE0EEEvT1_ ; -- Begin function _ZN7rocprim17ROCPRIM_400000_NS6detail17trampoline_kernelINS0_14default_configENS1_25partition_config_selectorILNS1_17partition_subalgoE8ElNS0_10empty_typeEbEEZZNS1_14partition_implILS5_8ELb0ES3_jPlPS6_PKS6_NS0_5tupleIJS9_S6_EEENSD_IJSA_SA_EEENS0_18inequality_wrapperIZN2at6native12_GLOBAL__N_124unique_dim_cuda_templateIjEESt5tupleIJNSH_6TensorESM_SM_EERKSM_lbbbEUlllE0_EEPmJS6_EEE10hipError_tPvRmT3_T4_T5_T6_T7_T9_mT8_P12ihipStream_tbDpT10_ENKUlT_T0_E_clISt17integral_constantIbLb0EES1B_IbLb1EEEEDaS17_S18_EUlS17_E_NS1_11comp_targetILNS1_3genE5ELNS1_11target_archE942ELNS1_3gpuE9ELNS1_3repE0EEENS1_30default_config_static_selectorELNS0_4arch9wavefront6targetE0EEEvT1_
	.p2align	8
	.type	_ZN7rocprim17ROCPRIM_400000_NS6detail17trampoline_kernelINS0_14default_configENS1_25partition_config_selectorILNS1_17partition_subalgoE8ElNS0_10empty_typeEbEEZZNS1_14partition_implILS5_8ELb0ES3_jPlPS6_PKS6_NS0_5tupleIJS9_S6_EEENSD_IJSA_SA_EEENS0_18inequality_wrapperIZN2at6native12_GLOBAL__N_124unique_dim_cuda_templateIjEESt5tupleIJNSH_6TensorESM_SM_EERKSM_lbbbEUlllE0_EEPmJS6_EEE10hipError_tPvRmT3_T4_T5_T6_T7_T9_mT8_P12ihipStream_tbDpT10_ENKUlT_T0_E_clISt17integral_constantIbLb0EES1B_IbLb1EEEEDaS17_S18_EUlS17_E_NS1_11comp_targetILNS1_3genE5ELNS1_11target_archE942ELNS1_3gpuE9ELNS1_3repE0EEENS1_30default_config_static_selectorELNS0_4arch9wavefront6targetE0EEEvT1_,@function
_ZN7rocprim17ROCPRIM_400000_NS6detail17trampoline_kernelINS0_14default_configENS1_25partition_config_selectorILNS1_17partition_subalgoE8ElNS0_10empty_typeEbEEZZNS1_14partition_implILS5_8ELb0ES3_jPlPS6_PKS6_NS0_5tupleIJS9_S6_EEENSD_IJSA_SA_EEENS0_18inequality_wrapperIZN2at6native12_GLOBAL__N_124unique_dim_cuda_templateIjEESt5tupleIJNSH_6TensorESM_SM_EERKSM_lbbbEUlllE0_EEPmJS6_EEE10hipError_tPvRmT3_T4_T5_T6_T7_T9_mT8_P12ihipStream_tbDpT10_ENKUlT_T0_E_clISt17integral_constantIbLb0EES1B_IbLb1EEEEDaS17_S18_EUlS17_E_NS1_11comp_targetILNS1_3genE5ELNS1_11target_archE942ELNS1_3gpuE9ELNS1_3repE0EEENS1_30default_config_static_selectorELNS0_4arch9wavefront6targetE0EEEvT1_: ; @_ZN7rocprim17ROCPRIM_400000_NS6detail17trampoline_kernelINS0_14default_configENS1_25partition_config_selectorILNS1_17partition_subalgoE8ElNS0_10empty_typeEbEEZZNS1_14partition_implILS5_8ELb0ES3_jPlPS6_PKS6_NS0_5tupleIJS9_S6_EEENSD_IJSA_SA_EEENS0_18inequality_wrapperIZN2at6native12_GLOBAL__N_124unique_dim_cuda_templateIjEESt5tupleIJNSH_6TensorESM_SM_EERKSM_lbbbEUlllE0_EEPmJS6_EEE10hipError_tPvRmT3_T4_T5_T6_T7_T9_mT8_P12ihipStream_tbDpT10_ENKUlT_T0_E_clISt17integral_constantIbLb0EES1B_IbLb1EEEEDaS17_S18_EUlS17_E_NS1_11comp_targetILNS1_3genE5ELNS1_11target_archE942ELNS1_3gpuE9ELNS1_3repE0EEENS1_30default_config_static_selectorELNS0_4arch9wavefront6targetE0EEEvT1_
; %bb.0:
	.section	.rodata,"a",@progbits
	.p2align	6, 0x0
	.amdhsa_kernel _ZN7rocprim17ROCPRIM_400000_NS6detail17trampoline_kernelINS0_14default_configENS1_25partition_config_selectorILNS1_17partition_subalgoE8ElNS0_10empty_typeEbEEZZNS1_14partition_implILS5_8ELb0ES3_jPlPS6_PKS6_NS0_5tupleIJS9_S6_EEENSD_IJSA_SA_EEENS0_18inequality_wrapperIZN2at6native12_GLOBAL__N_124unique_dim_cuda_templateIjEESt5tupleIJNSH_6TensorESM_SM_EERKSM_lbbbEUlllE0_EEPmJS6_EEE10hipError_tPvRmT3_T4_T5_T6_T7_T9_mT8_P12ihipStream_tbDpT10_ENKUlT_T0_E_clISt17integral_constantIbLb0EES1B_IbLb1EEEEDaS17_S18_EUlS17_E_NS1_11comp_targetILNS1_3genE5ELNS1_11target_archE942ELNS1_3gpuE9ELNS1_3repE0EEENS1_30default_config_static_selectorELNS0_4arch9wavefront6targetE0EEEvT1_
		.amdhsa_group_segment_fixed_size 0
		.amdhsa_private_segment_fixed_size 0
		.amdhsa_kernarg_size 136
		.amdhsa_user_sgpr_count 15
		.amdhsa_user_sgpr_dispatch_ptr 0
		.amdhsa_user_sgpr_queue_ptr 0
		.amdhsa_user_sgpr_kernarg_segment_ptr 1
		.amdhsa_user_sgpr_dispatch_id 0
		.amdhsa_user_sgpr_private_segment_size 0
		.amdhsa_wavefront_size32 1
		.amdhsa_uses_dynamic_stack 0
		.amdhsa_enable_private_segment 0
		.amdhsa_system_sgpr_workgroup_id_x 1
		.amdhsa_system_sgpr_workgroup_id_y 0
		.amdhsa_system_sgpr_workgroup_id_z 0
		.amdhsa_system_sgpr_workgroup_info 0
		.amdhsa_system_vgpr_workitem_id 0
		.amdhsa_next_free_vgpr 1
		.amdhsa_next_free_sgpr 1
		.amdhsa_reserve_vcc 0
		.amdhsa_float_round_mode_32 0
		.amdhsa_float_round_mode_16_64 0
		.amdhsa_float_denorm_mode_32 3
		.amdhsa_float_denorm_mode_16_64 3
		.amdhsa_dx10_clamp 1
		.amdhsa_ieee_mode 1
		.amdhsa_fp16_overflow 0
		.amdhsa_workgroup_processor_mode 1
		.amdhsa_memory_ordered 1
		.amdhsa_forward_progress 0
		.amdhsa_shared_vgpr_count 0
		.amdhsa_exception_fp_ieee_invalid_op 0
		.amdhsa_exception_fp_denorm_src 0
		.amdhsa_exception_fp_ieee_div_zero 0
		.amdhsa_exception_fp_ieee_overflow 0
		.amdhsa_exception_fp_ieee_underflow 0
		.amdhsa_exception_fp_ieee_inexact 0
		.amdhsa_exception_int_div_zero 0
	.end_amdhsa_kernel
	.section	.text._ZN7rocprim17ROCPRIM_400000_NS6detail17trampoline_kernelINS0_14default_configENS1_25partition_config_selectorILNS1_17partition_subalgoE8ElNS0_10empty_typeEbEEZZNS1_14partition_implILS5_8ELb0ES3_jPlPS6_PKS6_NS0_5tupleIJS9_S6_EEENSD_IJSA_SA_EEENS0_18inequality_wrapperIZN2at6native12_GLOBAL__N_124unique_dim_cuda_templateIjEESt5tupleIJNSH_6TensorESM_SM_EERKSM_lbbbEUlllE0_EEPmJS6_EEE10hipError_tPvRmT3_T4_T5_T6_T7_T9_mT8_P12ihipStream_tbDpT10_ENKUlT_T0_E_clISt17integral_constantIbLb0EES1B_IbLb1EEEEDaS17_S18_EUlS17_E_NS1_11comp_targetILNS1_3genE5ELNS1_11target_archE942ELNS1_3gpuE9ELNS1_3repE0EEENS1_30default_config_static_selectorELNS0_4arch9wavefront6targetE0EEEvT1_,"axG",@progbits,_ZN7rocprim17ROCPRIM_400000_NS6detail17trampoline_kernelINS0_14default_configENS1_25partition_config_selectorILNS1_17partition_subalgoE8ElNS0_10empty_typeEbEEZZNS1_14partition_implILS5_8ELb0ES3_jPlPS6_PKS6_NS0_5tupleIJS9_S6_EEENSD_IJSA_SA_EEENS0_18inequality_wrapperIZN2at6native12_GLOBAL__N_124unique_dim_cuda_templateIjEESt5tupleIJNSH_6TensorESM_SM_EERKSM_lbbbEUlllE0_EEPmJS6_EEE10hipError_tPvRmT3_T4_T5_T6_T7_T9_mT8_P12ihipStream_tbDpT10_ENKUlT_T0_E_clISt17integral_constantIbLb0EES1B_IbLb1EEEEDaS17_S18_EUlS17_E_NS1_11comp_targetILNS1_3genE5ELNS1_11target_archE942ELNS1_3gpuE9ELNS1_3repE0EEENS1_30default_config_static_selectorELNS0_4arch9wavefront6targetE0EEEvT1_,comdat
.Lfunc_end1564:
	.size	_ZN7rocprim17ROCPRIM_400000_NS6detail17trampoline_kernelINS0_14default_configENS1_25partition_config_selectorILNS1_17partition_subalgoE8ElNS0_10empty_typeEbEEZZNS1_14partition_implILS5_8ELb0ES3_jPlPS6_PKS6_NS0_5tupleIJS9_S6_EEENSD_IJSA_SA_EEENS0_18inequality_wrapperIZN2at6native12_GLOBAL__N_124unique_dim_cuda_templateIjEESt5tupleIJNSH_6TensorESM_SM_EERKSM_lbbbEUlllE0_EEPmJS6_EEE10hipError_tPvRmT3_T4_T5_T6_T7_T9_mT8_P12ihipStream_tbDpT10_ENKUlT_T0_E_clISt17integral_constantIbLb0EES1B_IbLb1EEEEDaS17_S18_EUlS17_E_NS1_11comp_targetILNS1_3genE5ELNS1_11target_archE942ELNS1_3gpuE9ELNS1_3repE0EEENS1_30default_config_static_selectorELNS0_4arch9wavefront6targetE0EEEvT1_, .Lfunc_end1564-_ZN7rocprim17ROCPRIM_400000_NS6detail17trampoline_kernelINS0_14default_configENS1_25partition_config_selectorILNS1_17partition_subalgoE8ElNS0_10empty_typeEbEEZZNS1_14partition_implILS5_8ELb0ES3_jPlPS6_PKS6_NS0_5tupleIJS9_S6_EEENSD_IJSA_SA_EEENS0_18inequality_wrapperIZN2at6native12_GLOBAL__N_124unique_dim_cuda_templateIjEESt5tupleIJNSH_6TensorESM_SM_EERKSM_lbbbEUlllE0_EEPmJS6_EEE10hipError_tPvRmT3_T4_T5_T6_T7_T9_mT8_P12ihipStream_tbDpT10_ENKUlT_T0_E_clISt17integral_constantIbLb0EES1B_IbLb1EEEEDaS17_S18_EUlS17_E_NS1_11comp_targetILNS1_3genE5ELNS1_11target_archE942ELNS1_3gpuE9ELNS1_3repE0EEENS1_30default_config_static_selectorELNS0_4arch9wavefront6targetE0EEEvT1_
                                        ; -- End function
	.section	.AMDGPU.csdata,"",@progbits
; Kernel info:
; codeLenInByte = 0
; NumSgprs: 0
; NumVgprs: 0
; ScratchSize: 0
; MemoryBound: 0
; FloatMode: 240
; IeeeMode: 1
; LDSByteSize: 0 bytes/workgroup (compile time only)
; SGPRBlocks: 0
; VGPRBlocks: 0
; NumSGPRsForWavesPerEU: 1
; NumVGPRsForWavesPerEU: 1
; Occupancy: 16
; WaveLimiterHint : 0
; COMPUTE_PGM_RSRC2:SCRATCH_EN: 0
; COMPUTE_PGM_RSRC2:USER_SGPR: 15
; COMPUTE_PGM_RSRC2:TRAP_HANDLER: 0
; COMPUTE_PGM_RSRC2:TGID_X_EN: 1
; COMPUTE_PGM_RSRC2:TGID_Y_EN: 0
; COMPUTE_PGM_RSRC2:TGID_Z_EN: 0
; COMPUTE_PGM_RSRC2:TIDIG_COMP_CNT: 0
	.section	.text._ZN7rocprim17ROCPRIM_400000_NS6detail17trampoline_kernelINS0_14default_configENS1_25partition_config_selectorILNS1_17partition_subalgoE8ElNS0_10empty_typeEbEEZZNS1_14partition_implILS5_8ELb0ES3_jPlPS6_PKS6_NS0_5tupleIJS9_S6_EEENSD_IJSA_SA_EEENS0_18inequality_wrapperIZN2at6native12_GLOBAL__N_124unique_dim_cuda_templateIjEESt5tupleIJNSH_6TensorESM_SM_EERKSM_lbbbEUlllE0_EEPmJS6_EEE10hipError_tPvRmT3_T4_T5_T6_T7_T9_mT8_P12ihipStream_tbDpT10_ENKUlT_T0_E_clISt17integral_constantIbLb0EES1B_IbLb1EEEEDaS17_S18_EUlS17_E_NS1_11comp_targetILNS1_3genE4ELNS1_11target_archE910ELNS1_3gpuE8ELNS1_3repE0EEENS1_30default_config_static_selectorELNS0_4arch9wavefront6targetE0EEEvT1_,"axG",@progbits,_ZN7rocprim17ROCPRIM_400000_NS6detail17trampoline_kernelINS0_14default_configENS1_25partition_config_selectorILNS1_17partition_subalgoE8ElNS0_10empty_typeEbEEZZNS1_14partition_implILS5_8ELb0ES3_jPlPS6_PKS6_NS0_5tupleIJS9_S6_EEENSD_IJSA_SA_EEENS0_18inequality_wrapperIZN2at6native12_GLOBAL__N_124unique_dim_cuda_templateIjEESt5tupleIJNSH_6TensorESM_SM_EERKSM_lbbbEUlllE0_EEPmJS6_EEE10hipError_tPvRmT3_T4_T5_T6_T7_T9_mT8_P12ihipStream_tbDpT10_ENKUlT_T0_E_clISt17integral_constantIbLb0EES1B_IbLb1EEEEDaS17_S18_EUlS17_E_NS1_11comp_targetILNS1_3genE4ELNS1_11target_archE910ELNS1_3gpuE8ELNS1_3repE0EEENS1_30default_config_static_selectorELNS0_4arch9wavefront6targetE0EEEvT1_,comdat
	.globl	_ZN7rocprim17ROCPRIM_400000_NS6detail17trampoline_kernelINS0_14default_configENS1_25partition_config_selectorILNS1_17partition_subalgoE8ElNS0_10empty_typeEbEEZZNS1_14partition_implILS5_8ELb0ES3_jPlPS6_PKS6_NS0_5tupleIJS9_S6_EEENSD_IJSA_SA_EEENS0_18inequality_wrapperIZN2at6native12_GLOBAL__N_124unique_dim_cuda_templateIjEESt5tupleIJNSH_6TensorESM_SM_EERKSM_lbbbEUlllE0_EEPmJS6_EEE10hipError_tPvRmT3_T4_T5_T6_T7_T9_mT8_P12ihipStream_tbDpT10_ENKUlT_T0_E_clISt17integral_constantIbLb0EES1B_IbLb1EEEEDaS17_S18_EUlS17_E_NS1_11comp_targetILNS1_3genE4ELNS1_11target_archE910ELNS1_3gpuE8ELNS1_3repE0EEENS1_30default_config_static_selectorELNS0_4arch9wavefront6targetE0EEEvT1_ ; -- Begin function _ZN7rocprim17ROCPRIM_400000_NS6detail17trampoline_kernelINS0_14default_configENS1_25partition_config_selectorILNS1_17partition_subalgoE8ElNS0_10empty_typeEbEEZZNS1_14partition_implILS5_8ELb0ES3_jPlPS6_PKS6_NS0_5tupleIJS9_S6_EEENSD_IJSA_SA_EEENS0_18inequality_wrapperIZN2at6native12_GLOBAL__N_124unique_dim_cuda_templateIjEESt5tupleIJNSH_6TensorESM_SM_EERKSM_lbbbEUlllE0_EEPmJS6_EEE10hipError_tPvRmT3_T4_T5_T6_T7_T9_mT8_P12ihipStream_tbDpT10_ENKUlT_T0_E_clISt17integral_constantIbLb0EES1B_IbLb1EEEEDaS17_S18_EUlS17_E_NS1_11comp_targetILNS1_3genE4ELNS1_11target_archE910ELNS1_3gpuE8ELNS1_3repE0EEENS1_30default_config_static_selectorELNS0_4arch9wavefront6targetE0EEEvT1_
	.p2align	8
	.type	_ZN7rocprim17ROCPRIM_400000_NS6detail17trampoline_kernelINS0_14default_configENS1_25partition_config_selectorILNS1_17partition_subalgoE8ElNS0_10empty_typeEbEEZZNS1_14partition_implILS5_8ELb0ES3_jPlPS6_PKS6_NS0_5tupleIJS9_S6_EEENSD_IJSA_SA_EEENS0_18inequality_wrapperIZN2at6native12_GLOBAL__N_124unique_dim_cuda_templateIjEESt5tupleIJNSH_6TensorESM_SM_EERKSM_lbbbEUlllE0_EEPmJS6_EEE10hipError_tPvRmT3_T4_T5_T6_T7_T9_mT8_P12ihipStream_tbDpT10_ENKUlT_T0_E_clISt17integral_constantIbLb0EES1B_IbLb1EEEEDaS17_S18_EUlS17_E_NS1_11comp_targetILNS1_3genE4ELNS1_11target_archE910ELNS1_3gpuE8ELNS1_3repE0EEENS1_30default_config_static_selectorELNS0_4arch9wavefront6targetE0EEEvT1_,@function
_ZN7rocprim17ROCPRIM_400000_NS6detail17trampoline_kernelINS0_14default_configENS1_25partition_config_selectorILNS1_17partition_subalgoE8ElNS0_10empty_typeEbEEZZNS1_14partition_implILS5_8ELb0ES3_jPlPS6_PKS6_NS0_5tupleIJS9_S6_EEENSD_IJSA_SA_EEENS0_18inequality_wrapperIZN2at6native12_GLOBAL__N_124unique_dim_cuda_templateIjEESt5tupleIJNSH_6TensorESM_SM_EERKSM_lbbbEUlllE0_EEPmJS6_EEE10hipError_tPvRmT3_T4_T5_T6_T7_T9_mT8_P12ihipStream_tbDpT10_ENKUlT_T0_E_clISt17integral_constantIbLb0EES1B_IbLb1EEEEDaS17_S18_EUlS17_E_NS1_11comp_targetILNS1_3genE4ELNS1_11target_archE910ELNS1_3gpuE8ELNS1_3repE0EEENS1_30default_config_static_selectorELNS0_4arch9wavefront6targetE0EEEvT1_: ; @_ZN7rocprim17ROCPRIM_400000_NS6detail17trampoline_kernelINS0_14default_configENS1_25partition_config_selectorILNS1_17partition_subalgoE8ElNS0_10empty_typeEbEEZZNS1_14partition_implILS5_8ELb0ES3_jPlPS6_PKS6_NS0_5tupleIJS9_S6_EEENSD_IJSA_SA_EEENS0_18inequality_wrapperIZN2at6native12_GLOBAL__N_124unique_dim_cuda_templateIjEESt5tupleIJNSH_6TensorESM_SM_EERKSM_lbbbEUlllE0_EEPmJS6_EEE10hipError_tPvRmT3_T4_T5_T6_T7_T9_mT8_P12ihipStream_tbDpT10_ENKUlT_T0_E_clISt17integral_constantIbLb0EES1B_IbLb1EEEEDaS17_S18_EUlS17_E_NS1_11comp_targetILNS1_3genE4ELNS1_11target_archE910ELNS1_3gpuE8ELNS1_3repE0EEENS1_30default_config_static_selectorELNS0_4arch9wavefront6targetE0EEEvT1_
; %bb.0:
	.section	.rodata,"a",@progbits
	.p2align	6, 0x0
	.amdhsa_kernel _ZN7rocprim17ROCPRIM_400000_NS6detail17trampoline_kernelINS0_14default_configENS1_25partition_config_selectorILNS1_17partition_subalgoE8ElNS0_10empty_typeEbEEZZNS1_14partition_implILS5_8ELb0ES3_jPlPS6_PKS6_NS0_5tupleIJS9_S6_EEENSD_IJSA_SA_EEENS0_18inequality_wrapperIZN2at6native12_GLOBAL__N_124unique_dim_cuda_templateIjEESt5tupleIJNSH_6TensorESM_SM_EERKSM_lbbbEUlllE0_EEPmJS6_EEE10hipError_tPvRmT3_T4_T5_T6_T7_T9_mT8_P12ihipStream_tbDpT10_ENKUlT_T0_E_clISt17integral_constantIbLb0EES1B_IbLb1EEEEDaS17_S18_EUlS17_E_NS1_11comp_targetILNS1_3genE4ELNS1_11target_archE910ELNS1_3gpuE8ELNS1_3repE0EEENS1_30default_config_static_selectorELNS0_4arch9wavefront6targetE0EEEvT1_
		.amdhsa_group_segment_fixed_size 0
		.amdhsa_private_segment_fixed_size 0
		.amdhsa_kernarg_size 136
		.amdhsa_user_sgpr_count 15
		.amdhsa_user_sgpr_dispatch_ptr 0
		.amdhsa_user_sgpr_queue_ptr 0
		.amdhsa_user_sgpr_kernarg_segment_ptr 1
		.amdhsa_user_sgpr_dispatch_id 0
		.amdhsa_user_sgpr_private_segment_size 0
		.amdhsa_wavefront_size32 1
		.amdhsa_uses_dynamic_stack 0
		.amdhsa_enable_private_segment 0
		.amdhsa_system_sgpr_workgroup_id_x 1
		.amdhsa_system_sgpr_workgroup_id_y 0
		.amdhsa_system_sgpr_workgroup_id_z 0
		.amdhsa_system_sgpr_workgroup_info 0
		.amdhsa_system_vgpr_workitem_id 0
		.amdhsa_next_free_vgpr 1
		.amdhsa_next_free_sgpr 1
		.amdhsa_reserve_vcc 0
		.amdhsa_float_round_mode_32 0
		.amdhsa_float_round_mode_16_64 0
		.amdhsa_float_denorm_mode_32 3
		.amdhsa_float_denorm_mode_16_64 3
		.amdhsa_dx10_clamp 1
		.amdhsa_ieee_mode 1
		.amdhsa_fp16_overflow 0
		.amdhsa_workgroup_processor_mode 1
		.amdhsa_memory_ordered 1
		.amdhsa_forward_progress 0
		.amdhsa_shared_vgpr_count 0
		.amdhsa_exception_fp_ieee_invalid_op 0
		.amdhsa_exception_fp_denorm_src 0
		.amdhsa_exception_fp_ieee_div_zero 0
		.amdhsa_exception_fp_ieee_overflow 0
		.amdhsa_exception_fp_ieee_underflow 0
		.amdhsa_exception_fp_ieee_inexact 0
		.amdhsa_exception_int_div_zero 0
	.end_amdhsa_kernel
	.section	.text._ZN7rocprim17ROCPRIM_400000_NS6detail17trampoline_kernelINS0_14default_configENS1_25partition_config_selectorILNS1_17partition_subalgoE8ElNS0_10empty_typeEbEEZZNS1_14partition_implILS5_8ELb0ES3_jPlPS6_PKS6_NS0_5tupleIJS9_S6_EEENSD_IJSA_SA_EEENS0_18inequality_wrapperIZN2at6native12_GLOBAL__N_124unique_dim_cuda_templateIjEESt5tupleIJNSH_6TensorESM_SM_EERKSM_lbbbEUlllE0_EEPmJS6_EEE10hipError_tPvRmT3_T4_T5_T6_T7_T9_mT8_P12ihipStream_tbDpT10_ENKUlT_T0_E_clISt17integral_constantIbLb0EES1B_IbLb1EEEEDaS17_S18_EUlS17_E_NS1_11comp_targetILNS1_3genE4ELNS1_11target_archE910ELNS1_3gpuE8ELNS1_3repE0EEENS1_30default_config_static_selectorELNS0_4arch9wavefront6targetE0EEEvT1_,"axG",@progbits,_ZN7rocprim17ROCPRIM_400000_NS6detail17trampoline_kernelINS0_14default_configENS1_25partition_config_selectorILNS1_17partition_subalgoE8ElNS0_10empty_typeEbEEZZNS1_14partition_implILS5_8ELb0ES3_jPlPS6_PKS6_NS0_5tupleIJS9_S6_EEENSD_IJSA_SA_EEENS0_18inequality_wrapperIZN2at6native12_GLOBAL__N_124unique_dim_cuda_templateIjEESt5tupleIJNSH_6TensorESM_SM_EERKSM_lbbbEUlllE0_EEPmJS6_EEE10hipError_tPvRmT3_T4_T5_T6_T7_T9_mT8_P12ihipStream_tbDpT10_ENKUlT_T0_E_clISt17integral_constantIbLb0EES1B_IbLb1EEEEDaS17_S18_EUlS17_E_NS1_11comp_targetILNS1_3genE4ELNS1_11target_archE910ELNS1_3gpuE8ELNS1_3repE0EEENS1_30default_config_static_selectorELNS0_4arch9wavefront6targetE0EEEvT1_,comdat
.Lfunc_end1565:
	.size	_ZN7rocprim17ROCPRIM_400000_NS6detail17trampoline_kernelINS0_14default_configENS1_25partition_config_selectorILNS1_17partition_subalgoE8ElNS0_10empty_typeEbEEZZNS1_14partition_implILS5_8ELb0ES3_jPlPS6_PKS6_NS0_5tupleIJS9_S6_EEENSD_IJSA_SA_EEENS0_18inequality_wrapperIZN2at6native12_GLOBAL__N_124unique_dim_cuda_templateIjEESt5tupleIJNSH_6TensorESM_SM_EERKSM_lbbbEUlllE0_EEPmJS6_EEE10hipError_tPvRmT3_T4_T5_T6_T7_T9_mT8_P12ihipStream_tbDpT10_ENKUlT_T0_E_clISt17integral_constantIbLb0EES1B_IbLb1EEEEDaS17_S18_EUlS17_E_NS1_11comp_targetILNS1_3genE4ELNS1_11target_archE910ELNS1_3gpuE8ELNS1_3repE0EEENS1_30default_config_static_selectorELNS0_4arch9wavefront6targetE0EEEvT1_, .Lfunc_end1565-_ZN7rocprim17ROCPRIM_400000_NS6detail17trampoline_kernelINS0_14default_configENS1_25partition_config_selectorILNS1_17partition_subalgoE8ElNS0_10empty_typeEbEEZZNS1_14partition_implILS5_8ELb0ES3_jPlPS6_PKS6_NS0_5tupleIJS9_S6_EEENSD_IJSA_SA_EEENS0_18inequality_wrapperIZN2at6native12_GLOBAL__N_124unique_dim_cuda_templateIjEESt5tupleIJNSH_6TensorESM_SM_EERKSM_lbbbEUlllE0_EEPmJS6_EEE10hipError_tPvRmT3_T4_T5_T6_T7_T9_mT8_P12ihipStream_tbDpT10_ENKUlT_T0_E_clISt17integral_constantIbLb0EES1B_IbLb1EEEEDaS17_S18_EUlS17_E_NS1_11comp_targetILNS1_3genE4ELNS1_11target_archE910ELNS1_3gpuE8ELNS1_3repE0EEENS1_30default_config_static_selectorELNS0_4arch9wavefront6targetE0EEEvT1_
                                        ; -- End function
	.section	.AMDGPU.csdata,"",@progbits
; Kernel info:
; codeLenInByte = 0
; NumSgprs: 0
; NumVgprs: 0
; ScratchSize: 0
; MemoryBound: 0
; FloatMode: 240
; IeeeMode: 1
; LDSByteSize: 0 bytes/workgroup (compile time only)
; SGPRBlocks: 0
; VGPRBlocks: 0
; NumSGPRsForWavesPerEU: 1
; NumVGPRsForWavesPerEU: 1
; Occupancy: 16
; WaveLimiterHint : 0
; COMPUTE_PGM_RSRC2:SCRATCH_EN: 0
; COMPUTE_PGM_RSRC2:USER_SGPR: 15
; COMPUTE_PGM_RSRC2:TRAP_HANDLER: 0
; COMPUTE_PGM_RSRC2:TGID_X_EN: 1
; COMPUTE_PGM_RSRC2:TGID_Y_EN: 0
; COMPUTE_PGM_RSRC2:TGID_Z_EN: 0
; COMPUTE_PGM_RSRC2:TIDIG_COMP_CNT: 0
	.section	.text._ZN7rocprim17ROCPRIM_400000_NS6detail17trampoline_kernelINS0_14default_configENS1_25partition_config_selectorILNS1_17partition_subalgoE8ElNS0_10empty_typeEbEEZZNS1_14partition_implILS5_8ELb0ES3_jPlPS6_PKS6_NS0_5tupleIJS9_S6_EEENSD_IJSA_SA_EEENS0_18inequality_wrapperIZN2at6native12_GLOBAL__N_124unique_dim_cuda_templateIjEESt5tupleIJNSH_6TensorESM_SM_EERKSM_lbbbEUlllE0_EEPmJS6_EEE10hipError_tPvRmT3_T4_T5_T6_T7_T9_mT8_P12ihipStream_tbDpT10_ENKUlT_T0_E_clISt17integral_constantIbLb0EES1B_IbLb1EEEEDaS17_S18_EUlS17_E_NS1_11comp_targetILNS1_3genE3ELNS1_11target_archE908ELNS1_3gpuE7ELNS1_3repE0EEENS1_30default_config_static_selectorELNS0_4arch9wavefront6targetE0EEEvT1_,"axG",@progbits,_ZN7rocprim17ROCPRIM_400000_NS6detail17trampoline_kernelINS0_14default_configENS1_25partition_config_selectorILNS1_17partition_subalgoE8ElNS0_10empty_typeEbEEZZNS1_14partition_implILS5_8ELb0ES3_jPlPS6_PKS6_NS0_5tupleIJS9_S6_EEENSD_IJSA_SA_EEENS0_18inequality_wrapperIZN2at6native12_GLOBAL__N_124unique_dim_cuda_templateIjEESt5tupleIJNSH_6TensorESM_SM_EERKSM_lbbbEUlllE0_EEPmJS6_EEE10hipError_tPvRmT3_T4_T5_T6_T7_T9_mT8_P12ihipStream_tbDpT10_ENKUlT_T0_E_clISt17integral_constantIbLb0EES1B_IbLb1EEEEDaS17_S18_EUlS17_E_NS1_11comp_targetILNS1_3genE3ELNS1_11target_archE908ELNS1_3gpuE7ELNS1_3repE0EEENS1_30default_config_static_selectorELNS0_4arch9wavefront6targetE0EEEvT1_,comdat
	.globl	_ZN7rocprim17ROCPRIM_400000_NS6detail17trampoline_kernelINS0_14default_configENS1_25partition_config_selectorILNS1_17partition_subalgoE8ElNS0_10empty_typeEbEEZZNS1_14partition_implILS5_8ELb0ES3_jPlPS6_PKS6_NS0_5tupleIJS9_S6_EEENSD_IJSA_SA_EEENS0_18inequality_wrapperIZN2at6native12_GLOBAL__N_124unique_dim_cuda_templateIjEESt5tupleIJNSH_6TensorESM_SM_EERKSM_lbbbEUlllE0_EEPmJS6_EEE10hipError_tPvRmT3_T4_T5_T6_T7_T9_mT8_P12ihipStream_tbDpT10_ENKUlT_T0_E_clISt17integral_constantIbLb0EES1B_IbLb1EEEEDaS17_S18_EUlS17_E_NS1_11comp_targetILNS1_3genE3ELNS1_11target_archE908ELNS1_3gpuE7ELNS1_3repE0EEENS1_30default_config_static_selectorELNS0_4arch9wavefront6targetE0EEEvT1_ ; -- Begin function _ZN7rocprim17ROCPRIM_400000_NS6detail17trampoline_kernelINS0_14default_configENS1_25partition_config_selectorILNS1_17partition_subalgoE8ElNS0_10empty_typeEbEEZZNS1_14partition_implILS5_8ELb0ES3_jPlPS6_PKS6_NS0_5tupleIJS9_S6_EEENSD_IJSA_SA_EEENS0_18inequality_wrapperIZN2at6native12_GLOBAL__N_124unique_dim_cuda_templateIjEESt5tupleIJNSH_6TensorESM_SM_EERKSM_lbbbEUlllE0_EEPmJS6_EEE10hipError_tPvRmT3_T4_T5_T6_T7_T9_mT8_P12ihipStream_tbDpT10_ENKUlT_T0_E_clISt17integral_constantIbLb0EES1B_IbLb1EEEEDaS17_S18_EUlS17_E_NS1_11comp_targetILNS1_3genE3ELNS1_11target_archE908ELNS1_3gpuE7ELNS1_3repE0EEENS1_30default_config_static_selectorELNS0_4arch9wavefront6targetE0EEEvT1_
	.p2align	8
	.type	_ZN7rocprim17ROCPRIM_400000_NS6detail17trampoline_kernelINS0_14default_configENS1_25partition_config_selectorILNS1_17partition_subalgoE8ElNS0_10empty_typeEbEEZZNS1_14partition_implILS5_8ELb0ES3_jPlPS6_PKS6_NS0_5tupleIJS9_S6_EEENSD_IJSA_SA_EEENS0_18inequality_wrapperIZN2at6native12_GLOBAL__N_124unique_dim_cuda_templateIjEESt5tupleIJNSH_6TensorESM_SM_EERKSM_lbbbEUlllE0_EEPmJS6_EEE10hipError_tPvRmT3_T4_T5_T6_T7_T9_mT8_P12ihipStream_tbDpT10_ENKUlT_T0_E_clISt17integral_constantIbLb0EES1B_IbLb1EEEEDaS17_S18_EUlS17_E_NS1_11comp_targetILNS1_3genE3ELNS1_11target_archE908ELNS1_3gpuE7ELNS1_3repE0EEENS1_30default_config_static_selectorELNS0_4arch9wavefront6targetE0EEEvT1_,@function
_ZN7rocprim17ROCPRIM_400000_NS6detail17trampoline_kernelINS0_14default_configENS1_25partition_config_selectorILNS1_17partition_subalgoE8ElNS0_10empty_typeEbEEZZNS1_14partition_implILS5_8ELb0ES3_jPlPS6_PKS6_NS0_5tupleIJS9_S6_EEENSD_IJSA_SA_EEENS0_18inequality_wrapperIZN2at6native12_GLOBAL__N_124unique_dim_cuda_templateIjEESt5tupleIJNSH_6TensorESM_SM_EERKSM_lbbbEUlllE0_EEPmJS6_EEE10hipError_tPvRmT3_T4_T5_T6_T7_T9_mT8_P12ihipStream_tbDpT10_ENKUlT_T0_E_clISt17integral_constantIbLb0EES1B_IbLb1EEEEDaS17_S18_EUlS17_E_NS1_11comp_targetILNS1_3genE3ELNS1_11target_archE908ELNS1_3gpuE7ELNS1_3repE0EEENS1_30default_config_static_selectorELNS0_4arch9wavefront6targetE0EEEvT1_: ; @_ZN7rocprim17ROCPRIM_400000_NS6detail17trampoline_kernelINS0_14default_configENS1_25partition_config_selectorILNS1_17partition_subalgoE8ElNS0_10empty_typeEbEEZZNS1_14partition_implILS5_8ELb0ES3_jPlPS6_PKS6_NS0_5tupleIJS9_S6_EEENSD_IJSA_SA_EEENS0_18inequality_wrapperIZN2at6native12_GLOBAL__N_124unique_dim_cuda_templateIjEESt5tupleIJNSH_6TensorESM_SM_EERKSM_lbbbEUlllE0_EEPmJS6_EEE10hipError_tPvRmT3_T4_T5_T6_T7_T9_mT8_P12ihipStream_tbDpT10_ENKUlT_T0_E_clISt17integral_constantIbLb0EES1B_IbLb1EEEEDaS17_S18_EUlS17_E_NS1_11comp_targetILNS1_3genE3ELNS1_11target_archE908ELNS1_3gpuE7ELNS1_3repE0EEENS1_30default_config_static_selectorELNS0_4arch9wavefront6targetE0EEEvT1_
; %bb.0:
	.section	.rodata,"a",@progbits
	.p2align	6, 0x0
	.amdhsa_kernel _ZN7rocprim17ROCPRIM_400000_NS6detail17trampoline_kernelINS0_14default_configENS1_25partition_config_selectorILNS1_17partition_subalgoE8ElNS0_10empty_typeEbEEZZNS1_14partition_implILS5_8ELb0ES3_jPlPS6_PKS6_NS0_5tupleIJS9_S6_EEENSD_IJSA_SA_EEENS0_18inequality_wrapperIZN2at6native12_GLOBAL__N_124unique_dim_cuda_templateIjEESt5tupleIJNSH_6TensorESM_SM_EERKSM_lbbbEUlllE0_EEPmJS6_EEE10hipError_tPvRmT3_T4_T5_T6_T7_T9_mT8_P12ihipStream_tbDpT10_ENKUlT_T0_E_clISt17integral_constantIbLb0EES1B_IbLb1EEEEDaS17_S18_EUlS17_E_NS1_11comp_targetILNS1_3genE3ELNS1_11target_archE908ELNS1_3gpuE7ELNS1_3repE0EEENS1_30default_config_static_selectorELNS0_4arch9wavefront6targetE0EEEvT1_
		.amdhsa_group_segment_fixed_size 0
		.amdhsa_private_segment_fixed_size 0
		.amdhsa_kernarg_size 136
		.amdhsa_user_sgpr_count 15
		.amdhsa_user_sgpr_dispatch_ptr 0
		.amdhsa_user_sgpr_queue_ptr 0
		.amdhsa_user_sgpr_kernarg_segment_ptr 1
		.amdhsa_user_sgpr_dispatch_id 0
		.amdhsa_user_sgpr_private_segment_size 0
		.amdhsa_wavefront_size32 1
		.amdhsa_uses_dynamic_stack 0
		.amdhsa_enable_private_segment 0
		.amdhsa_system_sgpr_workgroup_id_x 1
		.amdhsa_system_sgpr_workgroup_id_y 0
		.amdhsa_system_sgpr_workgroup_id_z 0
		.amdhsa_system_sgpr_workgroup_info 0
		.amdhsa_system_vgpr_workitem_id 0
		.amdhsa_next_free_vgpr 1
		.amdhsa_next_free_sgpr 1
		.amdhsa_reserve_vcc 0
		.amdhsa_float_round_mode_32 0
		.amdhsa_float_round_mode_16_64 0
		.amdhsa_float_denorm_mode_32 3
		.amdhsa_float_denorm_mode_16_64 3
		.amdhsa_dx10_clamp 1
		.amdhsa_ieee_mode 1
		.amdhsa_fp16_overflow 0
		.amdhsa_workgroup_processor_mode 1
		.amdhsa_memory_ordered 1
		.amdhsa_forward_progress 0
		.amdhsa_shared_vgpr_count 0
		.amdhsa_exception_fp_ieee_invalid_op 0
		.amdhsa_exception_fp_denorm_src 0
		.amdhsa_exception_fp_ieee_div_zero 0
		.amdhsa_exception_fp_ieee_overflow 0
		.amdhsa_exception_fp_ieee_underflow 0
		.amdhsa_exception_fp_ieee_inexact 0
		.amdhsa_exception_int_div_zero 0
	.end_amdhsa_kernel
	.section	.text._ZN7rocprim17ROCPRIM_400000_NS6detail17trampoline_kernelINS0_14default_configENS1_25partition_config_selectorILNS1_17partition_subalgoE8ElNS0_10empty_typeEbEEZZNS1_14partition_implILS5_8ELb0ES3_jPlPS6_PKS6_NS0_5tupleIJS9_S6_EEENSD_IJSA_SA_EEENS0_18inequality_wrapperIZN2at6native12_GLOBAL__N_124unique_dim_cuda_templateIjEESt5tupleIJNSH_6TensorESM_SM_EERKSM_lbbbEUlllE0_EEPmJS6_EEE10hipError_tPvRmT3_T4_T5_T6_T7_T9_mT8_P12ihipStream_tbDpT10_ENKUlT_T0_E_clISt17integral_constantIbLb0EES1B_IbLb1EEEEDaS17_S18_EUlS17_E_NS1_11comp_targetILNS1_3genE3ELNS1_11target_archE908ELNS1_3gpuE7ELNS1_3repE0EEENS1_30default_config_static_selectorELNS0_4arch9wavefront6targetE0EEEvT1_,"axG",@progbits,_ZN7rocprim17ROCPRIM_400000_NS6detail17trampoline_kernelINS0_14default_configENS1_25partition_config_selectorILNS1_17partition_subalgoE8ElNS0_10empty_typeEbEEZZNS1_14partition_implILS5_8ELb0ES3_jPlPS6_PKS6_NS0_5tupleIJS9_S6_EEENSD_IJSA_SA_EEENS0_18inequality_wrapperIZN2at6native12_GLOBAL__N_124unique_dim_cuda_templateIjEESt5tupleIJNSH_6TensorESM_SM_EERKSM_lbbbEUlllE0_EEPmJS6_EEE10hipError_tPvRmT3_T4_T5_T6_T7_T9_mT8_P12ihipStream_tbDpT10_ENKUlT_T0_E_clISt17integral_constantIbLb0EES1B_IbLb1EEEEDaS17_S18_EUlS17_E_NS1_11comp_targetILNS1_3genE3ELNS1_11target_archE908ELNS1_3gpuE7ELNS1_3repE0EEENS1_30default_config_static_selectorELNS0_4arch9wavefront6targetE0EEEvT1_,comdat
.Lfunc_end1566:
	.size	_ZN7rocprim17ROCPRIM_400000_NS6detail17trampoline_kernelINS0_14default_configENS1_25partition_config_selectorILNS1_17partition_subalgoE8ElNS0_10empty_typeEbEEZZNS1_14partition_implILS5_8ELb0ES3_jPlPS6_PKS6_NS0_5tupleIJS9_S6_EEENSD_IJSA_SA_EEENS0_18inequality_wrapperIZN2at6native12_GLOBAL__N_124unique_dim_cuda_templateIjEESt5tupleIJNSH_6TensorESM_SM_EERKSM_lbbbEUlllE0_EEPmJS6_EEE10hipError_tPvRmT3_T4_T5_T6_T7_T9_mT8_P12ihipStream_tbDpT10_ENKUlT_T0_E_clISt17integral_constantIbLb0EES1B_IbLb1EEEEDaS17_S18_EUlS17_E_NS1_11comp_targetILNS1_3genE3ELNS1_11target_archE908ELNS1_3gpuE7ELNS1_3repE0EEENS1_30default_config_static_selectorELNS0_4arch9wavefront6targetE0EEEvT1_, .Lfunc_end1566-_ZN7rocprim17ROCPRIM_400000_NS6detail17trampoline_kernelINS0_14default_configENS1_25partition_config_selectorILNS1_17partition_subalgoE8ElNS0_10empty_typeEbEEZZNS1_14partition_implILS5_8ELb0ES3_jPlPS6_PKS6_NS0_5tupleIJS9_S6_EEENSD_IJSA_SA_EEENS0_18inequality_wrapperIZN2at6native12_GLOBAL__N_124unique_dim_cuda_templateIjEESt5tupleIJNSH_6TensorESM_SM_EERKSM_lbbbEUlllE0_EEPmJS6_EEE10hipError_tPvRmT3_T4_T5_T6_T7_T9_mT8_P12ihipStream_tbDpT10_ENKUlT_T0_E_clISt17integral_constantIbLb0EES1B_IbLb1EEEEDaS17_S18_EUlS17_E_NS1_11comp_targetILNS1_3genE3ELNS1_11target_archE908ELNS1_3gpuE7ELNS1_3repE0EEENS1_30default_config_static_selectorELNS0_4arch9wavefront6targetE0EEEvT1_
                                        ; -- End function
	.section	.AMDGPU.csdata,"",@progbits
; Kernel info:
; codeLenInByte = 0
; NumSgprs: 0
; NumVgprs: 0
; ScratchSize: 0
; MemoryBound: 0
; FloatMode: 240
; IeeeMode: 1
; LDSByteSize: 0 bytes/workgroup (compile time only)
; SGPRBlocks: 0
; VGPRBlocks: 0
; NumSGPRsForWavesPerEU: 1
; NumVGPRsForWavesPerEU: 1
; Occupancy: 16
; WaveLimiterHint : 0
; COMPUTE_PGM_RSRC2:SCRATCH_EN: 0
; COMPUTE_PGM_RSRC2:USER_SGPR: 15
; COMPUTE_PGM_RSRC2:TRAP_HANDLER: 0
; COMPUTE_PGM_RSRC2:TGID_X_EN: 1
; COMPUTE_PGM_RSRC2:TGID_Y_EN: 0
; COMPUTE_PGM_RSRC2:TGID_Z_EN: 0
; COMPUTE_PGM_RSRC2:TIDIG_COMP_CNT: 0
	.section	.text._ZN7rocprim17ROCPRIM_400000_NS6detail17trampoline_kernelINS0_14default_configENS1_25partition_config_selectorILNS1_17partition_subalgoE8ElNS0_10empty_typeEbEEZZNS1_14partition_implILS5_8ELb0ES3_jPlPS6_PKS6_NS0_5tupleIJS9_S6_EEENSD_IJSA_SA_EEENS0_18inequality_wrapperIZN2at6native12_GLOBAL__N_124unique_dim_cuda_templateIjEESt5tupleIJNSH_6TensorESM_SM_EERKSM_lbbbEUlllE0_EEPmJS6_EEE10hipError_tPvRmT3_T4_T5_T6_T7_T9_mT8_P12ihipStream_tbDpT10_ENKUlT_T0_E_clISt17integral_constantIbLb0EES1B_IbLb1EEEEDaS17_S18_EUlS17_E_NS1_11comp_targetILNS1_3genE2ELNS1_11target_archE906ELNS1_3gpuE6ELNS1_3repE0EEENS1_30default_config_static_selectorELNS0_4arch9wavefront6targetE0EEEvT1_,"axG",@progbits,_ZN7rocprim17ROCPRIM_400000_NS6detail17trampoline_kernelINS0_14default_configENS1_25partition_config_selectorILNS1_17partition_subalgoE8ElNS0_10empty_typeEbEEZZNS1_14partition_implILS5_8ELb0ES3_jPlPS6_PKS6_NS0_5tupleIJS9_S6_EEENSD_IJSA_SA_EEENS0_18inequality_wrapperIZN2at6native12_GLOBAL__N_124unique_dim_cuda_templateIjEESt5tupleIJNSH_6TensorESM_SM_EERKSM_lbbbEUlllE0_EEPmJS6_EEE10hipError_tPvRmT3_T4_T5_T6_T7_T9_mT8_P12ihipStream_tbDpT10_ENKUlT_T0_E_clISt17integral_constantIbLb0EES1B_IbLb1EEEEDaS17_S18_EUlS17_E_NS1_11comp_targetILNS1_3genE2ELNS1_11target_archE906ELNS1_3gpuE6ELNS1_3repE0EEENS1_30default_config_static_selectorELNS0_4arch9wavefront6targetE0EEEvT1_,comdat
	.globl	_ZN7rocprim17ROCPRIM_400000_NS6detail17trampoline_kernelINS0_14default_configENS1_25partition_config_selectorILNS1_17partition_subalgoE8ElNS0_10empty_typeEbEEZZNS1_14partition_implILS5_8ELb0ES3_jPlPS6_PKS6_NS0_5tupleIJS9_S6_EEENSD_IJSA_SA_EEENS0_18inequality_wrapperIZN2at6native12_GLOBAL__N_124unique_dim_cuda_templateIjEESt5tupleIJNSH_6TensorESM_SM_EERKSM_lbbbEUlllE0_EEPmJS6_EEE10hipError_tPvRmT3_T4_T5_T6_T7_T9_mT8_P12ihipStream_tbDpT10_ENKUlT_T0_E_clISt17integral_constantIbLb0EES1B_IbLb1EEEEDaS17_S18_EUlS17_E_NS1_11comp_targetILNS1_3genE2ELNS1_11target_archE906ELNS1_3gpuE6ELNS1_3repE0EEENS1_30default_config_static_selectorELNS0_4arch9wavefront6targetE0EEEvT1_ ; -- Begin function _ZN7rocprim17ROCPRIM_400000_NS6detail17trampoline_kernelINS0_14default_configENS1_25partition_config_selectorILNS1_17partition_subalgoE8ElNS0_10empty_typeEbEEZZNS1_14partition_implILS5_8ELb0ES3_jPlPS6_PKS6_NS0_5tupleIJS9_S6_EEENSD_IJSA_SA_EEENS0_18inequality_wrapperIZN2at6native12_GLOBAL__N_124unique_dim_cuda_templateIjEESt5tupleIJNSH_6TensorESM_SM_EERKSM_lbbbEUlllE0_EEPmJS6_EEE10hipError_tPvRmT3_T4_T5_T6_T7_T9_mT8_P12ihipStream_tbDpT10_ENKUlT_T0_E_clISt17integral_constantIbLb0EES1B_IbLb1EEEEDaS17_S18_EUlS17_E_NS1_11comp_targetILNS1_3genE2ELNS1_11target_archE906ELNS1_3gpuE6ELNS1_3repE0EEENS1_30default_config_static_selectorELNS0_4arch9wavefront6targetE0EEEvT1_
	.p2align	8
	.type	_ZN7rocprim17ROCPRIM_400000_NS6detail17trampoline_kernelINS0_14default_configENS1_25partition_config_selectorILNS1_17partition_subalgoE8ElNS0_10empty_typeEbEEZZNS1_14partition_implILS5_8ELb0ES3_jPlPS6_PKS6_NS0_5tupleIJS9_S6_EEENSD_IJSA_SA_EEENS0_18inequality_wrapperIZN2at6native12_GLOBAL__N_124unique_dim_cuda_templateIjEESt5tupleIJNSH_6TensorESM_SM_EERKSM_lbbbEUlllE0_EEPmJS6_EEE10hipError_tPvRmT3_T4_T5_T6_T7_T9_mT8_P12ihipStream_tbDpT10_ENKUlT_T0_E_clISt17integral_constantIbLb0EES1B_IbLb1EEEEDaS17_S18_EUlS17_E_NS1_11comp_targetILNS1_3genE2ELNS1_11target_archE906ELNS1_3gpuE6ELNS1_3repE0EEENS1_30default_config_static_selectorELNS0_4arch9wavefront6targetE0EEEvT1_,@function
_ZN7rocprim17ROCPRIM_400000_NS6detail17trampoline_kernelINS0_14default_configENS1_25partition_config_selectorILNS1_17partition_subalgoE8ElNS0_10empty_typeEbEEZZNS1_14partition_implILS5_8ELb0ES3_jPlPS6_PKS6_NS0_5tupleIJS9_S6_EEENSD_IJSA_SA_EEENS0_18inequality_wrapperIZN2at6native12_GLOBAL__N_124unique_dim_cuda_templateIjEESt5tupleIJNSH_6TensorESM_SM_EERKSM_lbbbEUlllE0_EEPmJS6_EEE10hipError_tPvRmT3_T4_T5_T6_T7_T9_mT8_P12ihipStream_tbDpT10_ENKUlT_T0_E_clISt17integral_constantIbLb0EES1B_IbLb1EEEEDaS17_S18_EUlS17_E_NS1_11comp_targetILNS1_3genE2ELNS1_11target_archE906ELNS1_3gpuE6ELNS1_3repE0EEENS1_30default_config_static_selectorELNS0_4arch9wavefront6targetE0EEEvT1_: ; @_ZN7rocprim17ROCPRIM_400000_NS6detail17trampoline_kernelINS0_14default_configENS1_25partition_config_selectorILNS1_17partition_subalgoE8ElNS0_10empty_typeEbEEZZNS1_14partition_implILS5_8ELb0ES3_jPlPS6_PKS6_NS0_5tupleIJS9_S6_EEENSD_IJSA_SA_EEENS0_18inequality_wrapperIZN2at6native12_GLOBAL__N_124unique_dim_cuda_templateIjEESt5tupleIJNSH_6TensorESM_SM_EERKSM_lbbbEUlllE0_EEPmJS6_EEE10hipError_tPvRmT3_T4_T5_T6_T7_T9_mT8_P12ihipStream_tbDpT10_ENKUlT_T0_E_clISt17integral_constantIbLb0EES1B_IbLb1EEEEDaS17_S18_EUlS17_E_NS1_11comp_targetILNS1_3genE2ELNS1_11target_archE906ELNS1_3gpuE6ELNS1_3repE0EEENS1_30default_config_static_selectorELNS0_4arch9wavefront6targetE0EEEvT1_
; %bb.0:
	.section	.rodata,"a",@progbits
	.p2align	6, 0x0
	.amdhsa_kernel _ZN7rocprim17ROCPRIM_400000_NS6detail17trampoline_kernelINS0_14default_configENS1_25partition_config_selectorILNS1_17partition_subalgoE8ElNS0_10empty_typeEbEEZZNS1_14partition_implILS5_8ELb0ES3_jPlPS6_PKS6_NS0_5tupleIJS9_S6_EEENSD_IJSA_SA_EEENS0_18inequality_wrapperIZN2at6native12_GLOBAL__N_124unique_dim_cuda_templateIjEESt5tupleIJNSH_6TensorESM_SM_EERKSM_lbbbEUlllE0_EEPmJS6_EEE10hipError_tPvRmT3_T4_T5_T6_T7_T9_mT8_P12ihipStream_tbDpT10_ENKUlT_T0_E_clISt17integral_constantIbLb0EES1B_IbLb1EEEEDaS17_S18_EUlS17_E_NS1_11comp_targetILNS1_3genE2ELNS1_11target_archE906ELNS1_3gpuE6ELNS1_3repE0EEENS1_30default_config_static_selectorELNS0_4arch9wavefront6targetE0EEEvT1_
		.amdhsa_group_segment_fixed_size 0
		.amdhsa_private_segment_fixed_size 0
		.amdhsa_kernarg_size 136
		.amdhsa_user_sgpr_count 15
		.amdhsa_user_sgpr_dispatch_ptr 0
		.amdhsa_user_sgpr_queue_ptr 0
		.amdhsa_user_sgpr_kernarg_segment_ptr 1
		.amdhsa_user_sgpr_dispatch_id 0
		.amdhsa_user_sgpr_private_segment_size 0
		.amdhsa_wavefront_size32 1
		.amdhsa_uses_dynamic_stack 0
		.amdhsa_enable_private_segment 0
		.amdhsa_system_sgpr_workgroup_id_x 1
		.amdhsa_system_sgpr_workgroup_id_y 0
		.amdhsa_system_sgpr_workgroup_id_z 0
		.amdhsa_system_sgpr_workgroup_info 0
		.amdhsa_system_vgpr_workitem_id 0
		.amdhsa_next_free_vgpr 1
		.amdhsa_next_free_sgpr 1
		.amdhsa_reserve_vcc 0
		.amdhsa_float_round_mode_32 0
		.amdhsa_float_round_mode_16_64 0
		.amdhsa_float_denorm_mode_32 3
		.amdhsa_float_denorm_mode_16_64 3
		.amdhsa_dx10_clamp 1
		.amdhsa_ieee_mode 1
		.amdhsa_fp16_overflow 0
		.amdhsa_workgroup_processor_mode 1
		.amdhsa_memory_ordered 1
		.amdhsa_forward_progress 0
		.amdhsa_shared_vgpr_count 0
		.amdhsa_exception_fp_ieee_invalid_op 0
		.amdhsa_exception_fp_denorm_src 0
		.amdhsa_exception_fp_ieee_div_zero 0
		.amdhsa_exception_fp_ieee_overflow 0
		.amdhsa_exception_fp_ieee_underflow 0
		.amdhsa_exception_fp_ieee_inexact 0
		.amdhsa_exception_int_div_zero 0
	.end_amdhsa_kernel
	.section	.text._ZN7rocprim17ROCPRIM_400000_NS6detail17trampoline_kernelINS0_14default_configENS1_25partition_config_selectorILNS1_17partition_subalgoE8ElNS0_10empty_typeEbEEZZNS1_14partition_implILS5_8ELb0ES3_jPlPS6_PKS6_NS0_5tupleIJS9_S6_EEENSD_IJSA_SA_EEENS0_18inequality_wrapperIZN2at6native12_GLOBAL__N_124unique_dim_cuda_templateIjEESt5tupleIJNSH_6TensorESM_SM_EERKSM_lbbbEUlllE0_EEPmJS6_EEE10hipError_tPvRmT3_T4_T5_T6_T7_T9_mT8_P12ihipStream_tbDpT10_ENKUlT_T0_E_clISt17integral_constantIbLb0EES1B_IbLb1EEEEDaS17_S18_EUlS17_E_NS1_11comp_targetILNS1_3genE2ELNS1_11target_archE906ELNS1_3gpuE6ELNS1_3repE0EEENS1_30default_config_static_selectorELNS0_4arch9wavefront6targetE0EEEvT1_,"axG",@progbits,_ZN7rocprim17ROCPRIM_400000_NS6detail17trampoline_kernelINS0_14default_configENS1_25partition_config_selectorILNS1_17partition_subalgoE8ElNS0_10empty_typeEbEEZZNS1_14partition_implILS5_8ELb0ES3_jPlPS6_PKS6_NS0_5tupleIJS9_S6_EEENSD_IJSA_SA_EEENS0_18inequality_wrapperIZN2at6native12_GLOBAL__N_124unique_dim_cuda_templateIjEESt5tupleIJNSH_6TensorESM_SM_EERKSM_lbbbEUlllE0_EEPmJS6_EEE10hipError_tPvRmT3_T4_T5_T6_T7_T9_mT8_P12ihipStream_tbDpT10_ENKUlT_T0_E_clISt17integral_constantIbLb0EES1B_IbLb1EEEEDaS17_S18_EUlS17_E_NS1_11comp_targetILNS1_3genE2ELNS1_11target_archE906ELNS1_3gpuE6ELNS1_3repE0EEENS1_30default_config_static_selectorELNS0_4arch9wavefront6targetE0EEEvT1_,comdat
.Lfunc_end1567:
	.size	_ZN7rocprim17ROCPRIM_400000_NS6detail17trampoline_kernelINS0_14default_configENS1_25partition_config_selectorILNS1_17partition_subalgoE8ElNS0_10empty_typeEbEEZZNS1_14partition_implILS5_8ELb0ES3_jPlPS6_PKS6_NS0_5tupleIJS9_S6_EEENSD_IJSA_SA_EEENS0_18inequality_wrapperIZN2at6native12_GLOBAL__N_124unique_dim_cuda_templateIjEESt5tupleIJNSH_6TensorESM_SM_EERKSM_lbbbEUlllE0_EEPmJS6_EEE10hipError_tPvRmT3_T4_T5_T6_T7_T9_mT8_P12ihipStream_tbDpT10_ENKUlT_T0_E_clISt17integral_constantIbLb0EES1B_IbLb1EEEEDaS17_S18_EUlS17_E_NS1_11comp_targetILNS1_3genE2ELNS1_11target_archE906ELNS1_3gpuE6ELNS1_3repE0EEENS1_30default_config_static_selectorELNS0_4arch9wavefront6targetE0EEEvT1_, .Lfunc_end1567-_ZN7rocprim17ROCPRIM_400000_NS6detail17trampoline_kernelINS0_14default_configENS1_25partition_config_selectorILNS1_17partition_subalgoE8ElNS0_10empty_typeEbEEZZNS1_14partition_implILS5_8ELb0ES3_jPlPS6_PKS6_NS0_5tupleIJS9_S6_EEENSD_IJSA_SA_EEENS0_18inequality_wrapperIZN2at6native12_GLOBAL__N_124unique_dim_cuda_templateIjEESt5tupleIJNSH_6TensorESM_SM_EERKSM_lbbbEUlllE0_EEPmJS6_EEE10hipError_tPvRmT3_T4_T5_T6_T7_T9_mT8_P12ihipStream_tbDpT10_ENKUlT_T0_E_clISt17integral_constantIbLb0EES1B_IbLb1EEEEDaS17_S18_EUlS17_E_NS1_11comp_targetILNS1_3genE2ELNS1_11target_archE906ELNS1_3gpuE6ELNS1_3repE0EEENS1_30default_config_static_selectorELNS0_4arch9wavefront6targetE0EEEvT1_
                                        ; -- End function
	.section	.AMDGPU.csdata,"",@progbits
; Kernel info:
; codeLenInByte = 0
; NumSgprs: 0
; NumVgprs: 0
; ScratchSize: 0
; MemoryBound: 0
; FloatMode: 240
; IeeeMode: 1
; LDSByteSize: 0 bytes/workgroup (compile time only)
; SGPRBlocks: 0
; VGPRBlocks: 0
; NumSGPRsForWavesPerEU: 1
; NumVGPRsForWavesPerEU: 1
; Occupancy: 16
; WaveLimiterHint : 0
; COMPUTE_PGM_RSRC2:SCRATCH_EN: 0
; COMPUTE_PGM_RSRC2:USER_SGPR: 15
; COMPUTE_PGM_RSRC2:TRAP_HANDLER: 0
; COMPUTE_PGM_RSRC2:TGID_X_EN: 1
; COMPUTE_PGM_RSRC2:TGID_Y_EN: 0
; COMPUTE_PGM_RSRC2:TGID_Z_EN: 0
; COMPUTE_PGM_RSRC2:TIDIG_COMP_CNT: 0
	.section	.text._ZN7rocprim17ROCPRIM_400000_NS6detail17trampoline_kernelINS0_14default_configENS1_25partition_config_selectorILNS1_17partition_subalgoE8ElNS0_10empty_typeEbEEZZNS1_14partition_implILS5_8ELb0ES3_jPlPS6_PKS6_NS0_5tupleIJS9_S6_EEENSD_IJSA_SA_EEENS0_18inequality_wrapperIZN2at6native12_GLOBAL__N_124unique_dim_cuda_templateIjEESt5tupleIJNSH_6TensorESM_SM_EERKSM_lbbbEUlllE0_EEPmJS6_EEE10hipError_tPvRmT3_T4_T5_T6_T7_T9_mT8_P12ihipStream_tbDpT10_ENKUlT_T0_E_clISt17integral_constantIbLb0EES1B_IbLb1EEEEDaS17_S18_EUlS17_E_NS1_11comp_targetILNS1_3genE10ELNS1_11target_archE1200ELNS1_3gpuE4ELNS1_3repE0EEENS1_30default_config_static_selectorELNS0_4arch9wavefront6targetE0EEEvT1_,"axG",@progbits,_ZN7rocprim17ROCPRIM_400000_NS6detail17trampoline_kernelINS0_14default_configENS1_25partition_config_selectorILNS1_17partition_subalgoE8ElNS0_10empty_typeEbEEZZNS1_14partition_implILS5_8ELb0ES3_jPlPS6_PKS6_NS0_5tupleIJS9_S6_EEENSD_IJSA_SA_EEENS0_18inequality_wrapperIZN2at6native12_GLOBAL__N_124unique_dim_cuda_templateIjEESt5tupleIJNSH_6TensorESM_SM_EERKSM_lbbbEUlllE0_EEPmJS6_EEE10hipError_tPvRmT3_T4_T5_T6_T7_T9_mT8_P12ihipStream_tbDpT10_ENKUlT_T0_E_clISt17integral_constantIbLb0EES1B_IbLb1EEEEDaS17_S18_EUlS17_E_NS1_11comp_targetILNS1_3genE10ELNS1_11target_archE1200ELNS1_3gpuE4ELNS1_3repE0EEENS1_30default_config_static_selectorELNS0_4arch9wavefront6targetE0EEEvT1_,comdat
	.globl	_ZN7rocprim17ROCPRIM_400000_NS6detail17trampoline_kernelINS0_14default_configENS1_25partition_config_selectorILNS1_17partition_subalgoE8ElNS0_10empty_typeEbEEZZNS1_14partition_implILS5_8ELb0ES3_jPlPS6_PKS6_NS0_5tupleIJS9_S6_EEENSD_IJSA_SA_EEENS0_18inequality_wrapperIZN2at6native12_GLOBAL__N_124unique_dim_cuda_templateIjEESt5tupleIJNSH_6TensorESM_SM_EERKSM_lbbbEUlllE0_EEPmJS6_EEE10hipError_tPvRmT3_T4_T5_T6_T7_T9_mT8_P12ihipStream_tbDpT10_ENKUlT_T0_E_clISt17integral_constantIbLb0EES1B_IbLb1EEEEDaS17_S18_EUlS17_E_NS1_11comp_targetILNS1_3genE10ELNS1_11target_archE1200ELNS1_3gpuE4ELNS1_3repE0EEENS1_30default_config_static_selectorELNS0_4arch9wavefront6targetE0EEEvT1_ ; -- Begin function _ZN7rocprim17ROCPRIM_400000_NS6detail17trampoline_kernelINS0_14default_configENS1_25partition_config_selectorILNS1_17partition_subalgoE8ElNS0_10empty_typeEbEEZZNS1_14partition_implILS5_8ELb0ES3_jPlPS6_PKS6_NS0_5tupleIJS9_S6_EEENSD_IJSA_SA_EEENS0_18inequality_wrapperIZN2at6native12_GLOBAL__N_124unique_dim_cuda_templateIjEESt5tupleIJNSH_6TensorESM_SM_EERKSM_lbbbEUlllE0_EEPmJS6_EEE10hipError_tPvRmT3_T4_T5_T6_T7_T9_mT8_P12ihipStream_tbDpT10_ENKUlT_T0_E_clISt17integral_constantIbLb0EES1B_IbLb1EEEEDaS17_S18_EUlS17_E_NS1_11comp_targetILNS1_3genE10ELNS1_11target_archE1200ELNS1_3gpuE4ELNS1_3repE0EEENS1_30default_config_static_selectorELNS0_4arch9wavefront6targetE0EEEvT1_
	.p2align	8
	.type	_ZN7rocprim17ROCPRIM_400000_NS6detail17trampoline_kernelINS0_14default_configENS1_25partition_config_selectorILNS1_17partition_subalgoE8ElNS0_10empty_typeEbEEZZNS1_14partition_implILS5_8ELb0ES3_jPlPS6_PKS6_NS0_5tupleIJS9_S6_EEENSD_IJSA_SA_EEENS0_18inequality_wrapperIZN2at6native12_GLOBAL__N_124unique_dim_cuda_templateIjEESt5tupleIJNSH_6TensorESM_SM_EERKSM_lbbbEUlllE0_EEPmJS6_EEE10hipError_tPvRmT3_T4_T5_T6_T7_T9_mT8_P12ihipStream_tbDpT10_ENKUlT_T0_E_clISt17integral_constantIbLb0EES1B_IbLb1EEEEDaS17_S18_EUlS17_E_NS1_11comp_targetILNS1_3genE10ELNS1_11target_archE1200ELNS1_3gpuE4ELNS1_3repE0EEENS1_30default_config_static_selectorELNS0_4arch9wavefront6targetE0EEEvT1_,@function
_ZN7rocprim17ROCPRIM_400000_NS6detail17trampoline_kernelINS0_14default_configENS1_25partition_config_selectorILNS1_17partition_subalgoE8ElNS0_10empty_typeEbEEZZNS1_14partition_implILS5_8ELb0ES3_jPlPS6_PKS6_NS0_5tupleIJS9_S6_EEENSD_IJSA_SA_EEENS0_18inequality_wrapperIZN2at6native12_GLOBAL__N_124unique_dim_cuda_templateIjEESt5tupleIJNSH_6TensorESM_SM_EERKSM_lbbbEUlllE0_EEPmJS6_EEE10hipError_tPvRmT3_T4_T5_T6_T7_T9_mT8_P12ihipStream_tbDpT10_ENKUlT_T0_E_clISt17integral_constantIbLb0EES1B_IbLb1EEEEDaS17_S18_EUlS17_E_NS1_11comp_targetILNS1_3genE10ELNS1_11target_archE1200ELNS1_3gpuE4ELNS1_3repE0EEENS1_30default_config_static_selectorELNS0_4arch9wavefront6targetE0EEEvT1_: ; @_ZN7rocprim17ROCPRIM_400000_NS6detail17trampoline_kernelINS0_14default_configENS1_25partition_config_selectorILNS1_17partition_subalgoE8ElNS0_10empty_typeEbEEZZNS1_14partition_implILS5_8ELb0ES3_jPlPS6_PKS6_NS0_5tupleIJS9_S6_EEENSD_IJSA_SA_EEENS0_18inequality_wrapperIZN2at6native12_GLOBAL__N_124unique_dim_cuda_templateIjEESt5tupleIJNSH_6TensorESM_SM_EERKSM_lbbbEUlllE0_EEPmJS6_EEE10hipError_tPvRmT3_T4_T5_T6_T7_T9_mT8_P12ihipStream_tbDpT10_ENKUlT_T0_E_clISt17integral_constantIbLb0EES1B_IbLb1EEEEDaS17_S18_EUlS17_E_NS1_11comp_targetILNS1_3genE10ELNS1_11target_archE1200ELNS1_3gpuE4ELNS1_3repE0EEENS1_30default_config_static_selectorELNS0_4arch9wavefront6targetE0EEEvT1_
; %bb.0:
	.section	.rodata,"a",@progbits
	.p2align	6, 0x0
	.amdhsa_kernel _ZN7rocprim17ROCPRIM_400000_NS6detail17trampoline_kernelINS0_14default_configENS1_25partition_config_selectorILNS1_17partition_subalgoE8ElNS0_10empty_typeEbEEZZNS1_14partition_implILS5_8ELb0ES3_jPlPS6_PKS6_NS0_5tupleIJS9_S6_EEENSD_IJSA_SA_EEENS0_18inequality_wrapperIZN2at6native12_GLOBAL__N_124unique_dim_cuda_templateIjEESt5tupleIJNSH_6TensorESM_SM_EERKSM_lbbbEUlllE0_EEPmJS6_EEE10hipError_tPvRmT3_T4_T5_T6_T7_T9_mT8_P12ihipStream_tbDpT10_ENKUlT_T0_E_clISt17integral_constantIbLb0EES1B_IbLb1EEEEDaS17_S18_EUlS17_E_NS1_11comp_targetILNS1_3genE10ELNS1_11target_archE1200ELNS1_3gpuE4ELNS1_3repE0EEENS1_30default_config_static_selectorELNS0_4arch9wavefront6targetE0EEEvT1_
		.amdhsa_group_segment_fixed_size 0
		.amdhsa_private_segment_fixed_size 0
		.amdhsa_kernarg_size 136
		.amdhsa_user_sgpr_count 15
		.amdhsa_user_sgpr_dispatch_ptr 0
		.amdhsa_user_sgpr_queue_ptr 0
		.amdhsa_user_sgpr_kernarg_segment_ptr 1
		.amdhsa_user_sgpr_dispatch_id 0
		.amdhsa_user_sgpr_private_segment_size 0
		.amdhsa_wavefront_size32 1
		.amdhsa_uses_dynamic_stack 0
		.amdhsa_enable_private_segment 0
		.amdhsa_system_sgpr_workgroup_id_x 1
		.amdhsa_system_sgpr_workgroup_id_y 0
		.amdhsa_system_sgpr_workgroup_id_z 0
		.amdhsa_system_sgpr_workgroup_info 0
		.amdhsa_system_vgpr_workitem_id 0
		.amdhsa_next_free_vgpr 1
		.amdhsa_next_free_sgpr 1
		.amdhsa_reserve_vcc 0
		.amdhsa_float_round_mode_32 0
		.amdhsa_float_round_mode_16_64 0
		.amdhsa_float_denorm_mode_32 3
		.amdhsa_float_denorm_mode_16_64 3
		.amdhsa_dx10_clamp 1
		.amdhsa_ieee_mode 1
		.amdhsa_fp16_overflow 0
		.amdhsa_workgroup_processor_mode 1
		.amdhsa_memory_ordered 1
		.amdhsa_forward_progress 0
		.amdhsa_shared_vgpr_count 0
		.amdhsa_exception_fp_ieee_invalid_op 0
		.amdhsa_exception_fp_denorm_src 0
		.amdhsa_exception_fp_ieee_div_zero 0
		.amdhsa_exception_fp_ieee_overflow 0
		.amdhsa_exception_fp_ieee_underflow 0
		.amdhsa_exception_fp_ieee_inexact 0
		.amdhsa_exception_int_div_zero 0
	.end_amdhsa_kernel
	.section	.text._ZN7rocprim17ROCPRIM_400000_NS6detail17trampoline_kernelINS0_14default_configENS1_25partition_config_selectorILNS1_17partition_subalgoE8ElNS0_10empty_typeEbEEZZNS1_14partition_implILS5_8ELb0ES3_jPlPS6_PKS6_NS0_5tupleIJS9_S6_EEENSD_IJSA_SA_EEENS0_18inequality_wrapperIZN2at6native12_GLOBAL__N_124unique_dim_cuda_templateIjEESt5tupleIJNSH_6TensorESM_SM_EERKSM_lbbbEUlllE0_EEPmJS6_EEE10hipError_tPvRmT3_T4_T5_T6_T7_T9_mT8_P12ihipStream_tbDpT10_ENKUlT_T0_E_clISt17integral_constantIbLb0EES1B_IbLb1EEEEDaS17_S18_EUlS17_E_NS1_11comp_targetILNS1_3genE10ELNS1_11target_archE1200ELNS1_3gpuE4ELNS1_3repE0EEENS1_30default_config_static_selectorELNS0_4arch9wavefront6targetE0EEEvT1_,"axG",@progbits,_ZN7rocprim17ROCPRIM_400000_NS6detail17trampoline_kernelINS0_14default_configENS1_25partition_config_selectorILNS1_17partition_subalgoE8ElNS0_10empty_typeEbEEZZNS1_14partition_implILS5_8ELb0ES3_jPlPS6_PKS6_NS0_5tupleIJS9_S6_EEENSD_IJSA_SA_EEENS0_18inequality_wrapperIZN2at6native12_GLOBAL__N_124unique_dim_cuda_templateIjEESt5tupleIJNSH_6TensorESM_SM_EERKSM_lbbbEUlllE0_EEPmJS6_EEE10hipError_tPvRmT3_T4_T5_T6_T7_T9_mT8_P12ihipStream_tbDpT10_ENKUlT_T0_E_clISt17integral_constantIbLb0EES1B_IbLb1EEEEDaS17_S18_EUlS17_E_NS1_11comp_targetILNS1_3genE10ELNS1_11target_archE1200ELNS1_3gpuE4ELNS1_3repE0EEENS1_30default_config_static_selectorELNS0_4arch9wavefront6targetE0EEEvT1_,comdat
.Lfunc_end1568:
	.size	_ZN7rocprim17ROCPRIM_400000_NS6detail17trampoline_kernelINS0_14default_configENS1_25partition_config_selectorILNS1_17partition_subalgoE8ElNS0_10empty_typeEbEEZZNS1_14partition_implILS5_8ELb0ES3_jPlPS6_PKS6_NS0_5tupleIJS9_S6_EEENSD_IJSA_SA_EEENS0_18inequality_wrapperIZN2at6native12_GLOBAL__N_124unique_dim_cuda_templateIjEESt5tupleIJNSH_6TensorESM_SM_EERKSM_lbbbEUlllE0_EEPmJS6_EEE10hipError_tPvRmT3_T4_T5_T6_T7_T9_mT8_P12ihipStream_tbDpT10_ENKUlT_T0_E_clISt17integral_constantIbLb0EES1B_IbLb1EEEEDaS17_S18_EUlS17_E_NS1_11comp_targetILNS1_3genE10ELNS1_11target_archE1200ELNS1_3gpuE4ELNS1_3repE0EEENS1_30default_config_static_selectorELNS0_4arch9wavefront6targetE0EEEvT1_, .Lfunc_end1568-_ZN7rocprim17ROCPRIM_400000_NS6detail17trampoline_kernelINS0_14default_configENS1_25partition_config_selectorILNS1_17partition_subalgoE8ElNS0_10empty_typeEbEEZZNS1_14partition_implILS5_8ELb0ES3_jPlPS6_PKS6_NS0_5tupleIJS9_S6_EEENSD_IJSA_SA_EEENS0_18inequality_wrapperIZN2at6native12_GLOBAL__N_124unique_dim_cuda_templateIjEESt5tupleIJNSH_6TensorESM_SM_EERKSM_lbbbEUlllE0_EEPmJS6_EEE10hipError_tPvRmT3_T4_T5_T6_T7_T9_mT8_P12ihipStream_tbDpT10_ENKUlT_T0_E_clISt17integral_constantIbLb0EES1B_IbLb1EEEEDaS17_S18_EUlS17_E_NS1_11comp_targetILNS1_3genE10ELNS1_11target_archE1200ELNS1_3gpuE4ELNS1_3repE0EEENS1_30default_config_static_selectorELNS0_4arch9wavefront6targetE0EEEvT1_
                                        ; -- End function
	.section	.AMDGPU.csdata,"",@progbits
; Kernel info:
; codeLenInByte = 0
; NumSgprs: 0
; NumVgprs: 0
; ScratchSize: 0
; MemoryBound: 0
; FloatMode: 240
; IeeeMode: 1
; LDSByteSize: 0 bytes/workgroup (compile time only)
; SGPRBlocks: 0
; VGPRBlocks: 0
; NumSGPRsForWavesPerEU: 1
; NumVGPRsForWavesPerEU: 1
; Occupancy: 15
; WaveLimiterHint : 0
; COMPUTE_PGM_RSRC2:SCRATCH_EN: 0
; COMPUTE_PGM_RSRC2:USER_SGPR: 15
; COMPUTE_PGM_RSRC2:TRAP_HANDLER: 0
; COMPUTE_PGM_RSRC2:TGID_X_EN: 1
; COMPUTE_PGM_RSRC2:TGID_Y_EN: 0
; COMPUTE_PGM_RSRC2:TGID_Z_EN: 0
; COMPUTE_PGM_RSRC2:TIDIG_COMP_CNT: 0
	.section	.text._ZN7rocprim17ROCPRIM_400000_NS6detail17trampoline_kernelINS0_14default_configENS1_25partition_config_selectorILNS1_17partition_subalgoE8ElNS0_10empty_typeEbEEZZNS1_14partition_implILS5_8ELb0ES3_jPlPS6_PKS6_NS0_5tupleIJS9_S6_EEENSD_IJSA_SA_EEENS0_18inequality_wrapperIZN2at6native12_GLOBAL__N_124unique_dim_cuda_templateIjEESt5tupleIJNSH_6TensorESM_SM_EERKSM_lbbbEUlllE0_EEPmJS6_EEE10hipError_tPvRmT3_T4_T5_T6_T7_T9_mT8_P12ihipStream_tbDpT10_ENKUlT_T0_E_clISt17integral_constantIbLb0EES1B_IbLb1EEEEDaS17_S18_EUlS17_E_NS1_11comp_targetILNS1_3genE9ELNS1_11target_archE1100ELNS1_3gpuE3ELNS1_3repE0EEENS1_30default_config_static_selectorELNS0_4arch9wavefront6targetE0EEEvT1_,"axG",@progbits,_ZN7rocprim17ROCPRIM_400000_NS6detail17trampoline_kernelINS0_14default_configENS1_25partition_config_selectorILNS1_17partition_subalgoE8ElNS0_10empty_typeEbEEZZNS1_14partition_implILS5_8ELb0ES3_jPlPS6_PKS6_NS0_5tupleIJS9_S6_EEENSD_IJSA_SA_EEENS0_18inequality_wrapperIZN2at6native12_GLOBAL__N_124unique_dim_cuda_templateIjEESt5tupleIJNSH_6TensorESM_SM_EERKSM_lbbbEUlllE0_EEPmJS6_EEE10hipError_tPvRmT3_T4_T5_T6_T7_T9_mT8_P12ihipStream_tbDpT10_ENKUlT_T0_E_clISt17integral_constantIbLb0EES1B_IbLb1EEEEDaS17_S18_EUlS17_E_NS1_11comp_targetILNS1_3genE9ELNS1_11target_archE1100ELNS1_3gpuE3ELNS1_3repE0EEENS1_30default_config_static_selectorELNS0_4arch9wavefront6targetE0EEEvT1_,comdat
	.globl	_ZN7rocprim17ROCPRIM_400000_NS6detail17trampoline_kernelINS0_14default_configENS1_25partition_config_selectorILNS1_17partition_subalgoE8ElNS0_10empty_typeEbEEZZNS1_14partition_implILS5_8ELb0ES3_jPlPS6_PKS6_NS0_5tupleIJS9_S6_EEENSD_IJSA_SA_EEENS0_18inequality_wrapperIZN2at6native12_GLOBAL__N_124unique_dim_cuda_templateIjEESt5tupleIJNSH_6TensorESM_SM_EERKSM_lbbbEUlllE0_EEPmJS6_EEE10hipError_tPvRmT3_T4_T5_T6_T7_T9_mT8_P12ihipStream_tbDpT10_ENKUlT_T0_E_clISt17integral_constantIbLb0EES1B_IbLb1EEEEDaS17_S18_EUlS17_E_NS1_11comp_targetILNS1_3genE9ELNS1_11target_archE1100ELNS1_3gpuE3ELNS1_3repE0EEENS1_30default_config_static_selectorELNS0_4arch9wavefront6targetE0EEEvT1_ ; -- Begin function _ZN7rocprim17ROCPRIM_400000_NS6detail17trampoline_kernelINS0_14default_configENS1_25partition_config_selectorILNS1_17partition_subalgoE8ElNS0_10empty_typeEbEEZZNS1_14partition_implILS5_8ELb0ES3_jPlPS6_PKS6_NS0_5tupleIJS9_S6_EEENSD_IJSA_SA_EEENS0_18inequality_wrapperIZN2at6native12_GLOBAL__N_124unique_dim_cuda_templateIjEESt5tupleIJNSH_6TensorESM_SM_EERKSM_lbbbEUlllE0_EEPmJS6_EEE10hipError_tPvRmT3_T4_T5_T6_T7_T9_mT8_P12ihipStream_tbDpT10_ENKUlT_T0_E_clISt17integral_constantIbLb0EES1B_IbLb1EEEEDaS17_S18_EUlS17_E_NS1_11comp_targetILNS1_3genE9ELNS1_11target_archE1100ELNS1_3gpuE3ELNS1_3repE0EEENS1_30default_config_static_selectorELNS0_4arch9wavefront6targetE0EEEvT1_
	.p2align	8
	.type	_ZN7rocprim17ROCPRIM_400000_NS6detail17trampoline_kernelINS0_14default_configENS1_25partition_config_selectorILNS1_17partition_subalgoE8ElNS0_10empty_typeEbEEZZNS1_14partition_implILS5_8ELb0ES3_jPlPS6_PKS6_NS0_5tupleIJS9_S6_EEENSD_IJSA_SA_EEENS0_18inequality_wrapperIZN2at6native12_GLOBAL__N_124unique_dim_cuda_templateIjEESt5tupleIJNSH_6TensorESM_SM_EERKSM_lbbbEUlllE0_EEPmJS6_EEE10hipError_tPvRmT3_T4_T5_T6_T7_T9_mT8_P12ihipStream_tbDpT10_ENKUlT_T0_E_clISt17integral_constantIbLb0EES1B_IbLb1EEEEDaS17_S18_EUlS17_E_NS1_11comp_targetILNS1_3genE9ELNS1_11target_archE1100ELNS1_3gpuE3ELNS1_3repE0EEENS1_30default_config_static_selectorELNS0_4arch9wavefront6targetE0EEEvT1_,@function
_ZN7rocprim17ROCPRIM_400000_NS6detail17trampoline_kernelINS0_14default_configENS1_25partition_config_selectorILNS1_17partition_subalgoE8ElNS0_10empty_typeEbEEZZNS1_14partition_implILS5_8ELb0ES3_jPlPS6_PKS6_NS0_5tupleIJS9_S6_EEENSD_IJSA_SA_EEENS0_18inequality_wrapperIZN2at6native12_GLOBAL__N_124unique_dim_cuda_templateIjEESt5tupleIJNSH_6TensorESM_SM_EERKSM_lbbbEUlllE0_EEPmJS6_EEE10hipError_tPvRmT3_T4_T5_T6_T7_T9_mT8_P12ihipStream_tbDpT10_ENKUlT_T0_E_clISt17integral_constantIbLb0EES1B_IbLb1EEEEDaS17_S18_EUlS17_E_NS1_11comp_targetILNS1_3genE9ELNS1_11target_archE1100ELNS1_3gpuE3ELNS1_3repE0EEENS1_30default_config_static_selectorELNS0_4arch9wavefront6targetE0EEEvT1_: ; @_ZN7rocprim17ROCPRIM_400000_NS6detail17trampoline_kernelINS0_14default_configENS1_25partition_config_selectorILNS1_17partition_subalgoE8ElNS0_10empty_typeEbEEZZNS1_14partition_implILS5_8ELb0ES3_jPlPS6_PKS6_NS0_5tupleIJS9_S6_EEENSD_IJSA_SA_EEENS0_18inequality_wrapperIZN2at6native12_GLOBAL__N_124unique_dim_cuda_templateIjEESt5tupleIJNSH_6TensorESM_SM_EERKSM_lbbbEUlllE0_EEPmJS6_EEE10hipError_tPvRmT3_T4_T5_T6_T7_T9_mT8_P12ihipStream_tbDpT10_ENKUlT_T0_E_clISt17integral_constantIbLb0EES1B_IbLb1EEEEDaS17_S18_EUlS17_E_NS1_11comp_targetILNS1_3genE9ELNS1_11target_archE1100ELNS1_3gpuE3ELNS1_3repE0EEENS1_30default_config_static_selectorELNS0_4arch9wavefront6targetE0EEEvT1_
; %bb.0:
	s_clause 0x2
	s_load_b64 s[20:21], s[0:1], 0x28
	s_load_b256 s[8:15], s[0:1], 0x40
	s_load_b128 s[16:19], s[0:1], 0x60
	v_cmp_ne_u32_e64 s3, 0, v0
	v_cmp_eq_u32_e64 s2, 0, v0
	s_delay_alu instid0(VALU_DEP_1)
	s_and_saveexec_b32 s4, s2
	s_cbranch_execz .LBB1569_4
; %bb.1:
	s_mov_b32 s6, exec_lo
	s_mov_b32 s5, exec_lo
	v_mbcnt_lo_u32_b32 v1, s6, 0
                                        ; implicit-def: $vgpr2
	s_delay_alu instid0(VALU_DEP_1)
	v_cmpx_eq_u32_e32 0, v1
	s_cbranch_execz .LBB1569_3
; %bb.2:
	s_load_b64 s[22:23], s[0:1], 0x78
	s_bcnt1_i32_b32 s6, s6
	s_delay_alu instid0(SALU_CYCLE_1)
	v_dual_mov_b32 v2, 0 :: v_dual_mov_b32 v3, s6
	s_waitcnt lgkmcnt(0)
	global_atomic_add_u32 v2, v2, v3, s[22:23] glc
.LBB1569_3:
	s_or_b32 exec_lo, exec_lo, s5
	s_waitcnt vmcnt(0)
	v_readfirstlane_b32 s5, v2
	s_delay_alu instid0(VALU_DEP_1)
	v_dual_mov_b32 v2, 0 :: v_dual_add_nc_u32 v1, s5, v1
	ds_store_b32 v2, v1
.LBB1569_4:
	s_or_b32 exec_lo, exec_lo, s4
	v_dual_mov_b32 v2, 0 :: v_dual_lshlrev_b32 v39, 3, v0
	s_clause 0x1
	s_load_b128 s[4:7], s[0:1], 0x8
	s_load_b32 s0, s[0:1], 0x70
	s_waitcnt lgkmcnt(0)
	s_barrier
	buffer_gl0_inv
	ds_load_b32 v1, v2
	s_waitcnt lgkmcnt(0)
	s_barrier
	buffer_gl0_inv
	global_load_b64 v[3:4], v2, s[10:11]
	v_lshrrev_b32_e32 v19, 2, v0
	v_or_b32_e32 v26, 0x200, v0
	v_or_b32_e32 v25, 0x400, v0
	;; [unrolled: 1-line block ×7, first 2 shown]
	s_lshl_b64 s[10:11], s[6:7], 3
	s_delay_alu instid0(SALU_CYCLE_1)
	s_add_u32 s10, s4, s10
	s_addc_u32 s11, s5, s11
	s_add_i32 s1, s0, -1
	v_readfirstlane_b32 s23, v1
	s_lshl_b32 s4, s1, 12
	v_lshlrev_b32_e32 v1, 12, v1
	s_lshl_b32 s5, s0, 12
	s_add_i32 s0, s6, s4
	s_add_u32 s4, s6, s5
	s_addc_u32 s5, s7, 0
	v_lshlrev_b64 v[1:2], 3, v[1:2]
	v_cmp_ge_u64_e64 s4, s[4:5], s[12:13]
	s_cmp_eq_u32 s23, s1
	s_cselect_b32 s13, -1, 0
	s_delay_alu instid0(VALU_DEP_2) | instskip(NEXT) | instid1(VALU_DEP_2)
	v_add_co_u32 v17, vcc_lo, s10, v1
	s_and_b32 s1, s4, s13
	v_add_co_ci_u32_e32 v18, vcc_lo, s11, v2, vcc_lo
	s_xor_b32 s22, s1, -1
	s_mov_b32 s4, -1
	s_and_b32 vcc_lo, exec_lo, s22
	s_waitcnt vmcnt(0)
	v_readfirstlane_b32 s10, v3
	v_readfirstlane_b32 s11, v4
	s_cbranch_vccz .LBB1569_6
; %bb.5:
	v_add_co_u32 v9, vcc_lo, v17, v39
	v_add_co_ci_u32_e32 v10, vcc_lo, 0, v18, vcc_lo
	v_readfirstlane_b32 s4, v17
	s_delay_alu instid0(VALU_DEP_3) | instskip(NEXT) | instid1(VALU_DEP_3)
	v_add_co_u32 v3, vcc_lo, v9, 0x2000
	v_add_co_ci_u32_e32 v4, vcc_lo, 0, v10, vcc_lo
	v_add_co_u32 v5, vcc_lo, v9, 0x4000
	v_add_co_ci_u32_e32 v6, vcc_lo, 0, v10, vcc_lo
	v_add_co_u32 v7, vcc_lo, v9, 0x6000
	v_readfirstlane_b32 s5, v18
	v_add_co_ci_u32_e32 v8, vcc_lo, 0, v10, vcc_lo
	v_add_co_u32 v9, vcc_lo, 0x7000, v9
	v_add_co_ci_u32_e32 v10, vcc_lo, 0, v10, vcc_lo
	s_clause 0x7
	global_load_b64 v[1:2], v39, s[4:5]
	global_load_b64 v[11:12], v[3:4], off offset:-4096
	global_load_b64 v[3:4], v[3:4], off
	global_load_b64 v[13:14], v[5:6], off offset:-4096
	global_load_b64 v[5:6], v[5:6], off
	;; [unrolled: 2-line block ×3, first 2 shown]
	global_load_b64 v[9:10], v[9:10], off
	v_lshrrev_b32_e32 v28, 2, v26
	v_lshrrev_b32_e32 v29, 2, v25
	;; [unrolled: 1-line block ×4, first 2 shown]
	v_and_b32_e32 v27, 0x78, v19
	v_lshrrev_b32_e32 v32, 2, v22
	v_lshrrev_b32_e32 v33, 2, v21
	;; [unrolled: 1-line block ×3, first 2 shown]
	v_and_b32_e32 v28, 0xf8, v28
	v_and_b32_e32 v29, 0x178, v29
	;; [unrolled: 1-line block ×4, first 2 shown]
	v_add_nc_u32_e32 v27, v27, v39
	v_and_b32_e32 v32, 0x2f8, v32
	v_and_b32_e32 v33, 0x378, v33
	v_and_b32_e32 v34, 0x3f8, v34
	v_add_nc_u32_e32 v28, v28, v39
	v_add_nc_u32_e32 v29, v29, v39
	;; [unrolled: 1-line block ×4, first 2 shown]
	s_mov_b32 s4, 0
	v_add_nc_u32_e32 v32, v32, v39
	v_add_nc_u32_e32 v33, v33, v39
	;; [unrolled: 1-line block ×3, first 2 shown]
	s_waitcnt vmcnt(7)
	ds_store_b64 v27, v[1:2]
	s_waitcnt vmcnt(6)
	ds_store_b64 v28, v[11:12] offset:4096
	s_waitcnt vmcnt(5)
	ds_store_b64 v29, v[3:4] offset:8192
	;; [unrolled: 2-line block ×7, first 2 shown]
	s_waitcnt lgkmcnt(0)
	s_barrier
.LBB1569_6:
	s_and_not1_b32 vcc_lo, exec_lo, s4
	s_sub_i32 s12, s12, s0
	s_cbranch_vccnz .LBB1569_17
; %bb.7:
	s_mov_b32 s0, exec_lo
                                        ; implicit-def: $vgpr1_vgpr2_vgpr3_vgpr4_vgpr5_vgpr6_vgpr7_vgpr8_vgpr9_vgpr10_vgpr11_vgpr12_vgpr13_vgpr14_vgpr15_vgpr16
	v_cmpx_gt_u32_e64 s12, v0
	s_cbranch_execnz .LBB1569_27
; %bb.8:
	s_or_b32 exec_lo, exec_lo, s0
	s_delay_alu instid0(SALU_CYCLE_1)
	s_mov_b32 s0, exec_lo
	v_cmpx_gt_u32_e64 s12, v26
	s_cbranch_execnz .LBB1569_28
.LBB1569_9:
	s_or_b32 exec_lo, exec_lo, s0
	s_delay_alu instid0(SALU_CYCLE_1)
	s_mov_b32 s0, exec_lo
	v_cmpx_gt_u32_e64 s12, v25
	s_cbranch_execnz .LBB1569_29
.LBB1569_10:
	s_or_b32 exec_lo, exec_lo, s0
	s_delay_alu instid0(SALU_CYCLE_1)
	s_mov_b32 s0, exec_lo
	v_cmpx_gt_u32_e64 s12, v24
	s_cbranch_execnz .LBB1569_30
.LBB1569_11:
	s_or_b32 exec_lo, exec_lo, s0
	s_delay_alu instid0(SALU_CYCLE_1)
	s_mov_b32 s0, exec_lo
	v_cmpx_gt_u32_e64 s12, v23
	s_cbranch_execnz .LBB1569_31
.LBB1569_12:
	s_or_b32 exec_lo, exec_lo, s0
	s_delay_alu instid0(SALU_CYCLE_1)
	s_mov_b32 s0, exec_lo
	v_cmpx_gt_u32_e64 s12, v22
	s_cbranch_execnz .LBB1569_32
.LBB1569_13:
	s_or_b32 exec_lo, exec_lo, s0
	s_delay_alu instid0(SALU_CYCLE_1)
	s_mov_b32 s0, exec_lo
	v_cmpx_gt_u32_e64 s12, v21
	s_cbranch_execnz .LBB1569_33
.LBB1569_14:
	s_or_b32 exec_lo, exec_lo, s0
	s_delay_alu instid0(SALU_CYCLE_1)
	s_mov_b32 s0, exec_lo
	v_cmpx_gt_u32_e64 s12, v20
	s_cbranch_execz .LBB1569_16
.LBB1569_15:
	v_lshlrev_b32_e32 v15, 3, v20
	v_readfirstlane_b32 s4, v17
	v_readfirstlane_b32 s5, v18
	global_load_b64 v[15:16], v15, s[4:5]
.LBB1569_16:
	s_or_b32 exec_lo, exec_lo, s0
	v_lshrrev_b32_e32 v26, 2, v26
	v_lshrrev_b32_e32 v25, 2, v25
	;; [unrolled: 1-line block ×4, first 2 shown]
	v_and_b32_e32 v27, 0x78, v19
	v_lshrrev_b32_e32 v22, 2, v22
	v_lshrrev_b32_e32 v21, 2, v21
	;; [unrolled: 1-line block ×3, first 2 shown]
	v_and_b32_e32 v26, 0xf8, v26
	v_and_b32_e32 v25, 0x1f8, v25
	;; [unrolled: 1-line block ×4, first 2 shown]
	v_add_nc_u32_e32 v27, v27, v39
	v_and_b32_e32 v22, 0x3f8, v22
	v_and_b32_e32 v21, 0x3f8, v21
	;; [unrolled: 1-line block ×3, first 2 shown]
	v_add_nc_u32_e32 v26, v26, v39
	v_add_nc_u32_e32 v25, v25, v39
	;; [unrolled: 1-line block ×7, first 2 shown]
	s_waitcnt vmcnt(0)
	ds_store_b64 v27, v[1:2]
	ds_store_b64 v26, v[3:4] offset:4096
	ds_store_b64 v25, v[5:6] offset:8192
	;; [unrolled: 1-line block ×7, first 2 shown]
	s_waitcnt lgkmcnt(0)
	s_barrier
.LBB1569_17:
	v_add_lshl_u32 v1, v19, v39, 3
	buffer_gl0_inv
	s_cmp_lg_u32 s23, 0
	v_cmp_gt_i64_e64 s26, s[14:15], 0
	s_cselect_b32 s24, -1, 0
	ds_load_2addr_b64 v[13:16], v1 offset1:1
	ds_load_2addr_b64 v[9:12], v1 offset0:2 offset1:3
	ds_load_2addr_b64 v[5:8], v1 offset0:4 offset1:5
	ds_load_2addr_b64 v[1:4], v1 offset0:6 offset1:7
	s_cmp_lg_u64 s[6:7], 0
	s_mov_b32 s25, 0
	s_cselect_b32 s0, -1, 0
	s_waitcnt lgkmcnt(0)
	s_or_b32 s0, s0, s24
	s_barrier
	s_and_b32 vcc_lo, exec_lo, s0
	buffer_gl0_inv
	s_cbranch_vccz .LBB1569_26
; %bb.18:
	global_load_b64 v[17:18], v[17:18], off offset:-8
	v_cndmask_b32_e64 v27, 0, 1, s26
	s_and_b32 vcc_lo, exec_lo, s22
	ds_store_b64 v39, v[3:4]
	v_cmp_ne_u32_e64 s0, 1, v27
	s_cbranch_vccz .LBB1569_34
; %bb.19:
	v_mul_lo_u32 v21, v2, s14
	v_mul_lo_u32 v22, v1, s15
	v_mad_u64_u32 v[19:20], null, v1, s14, 0
	s_and_b32 vcc_lo, exec_lo, s0
	s_mov_b32 s27, 0
	s_delay_alu instid0(VALU_DEP_1) | instskip(NEXT) | instid1(VALU_DEP_1)
	v_add3_u32 v20, v20, v22, v21
	v_lshlrev_b64 v[19:20], 2, v[19:20]
	s_cbranch_vccnz .LBB1569_37
; %bb.20:
	v_mul_lo_u32 v23, v4, s14
	v_mul_lo_u32 v24, v3, s15
	v_mad_u64_u32 v[21:22], null, v3, s14, 0
	s_mov_b32 s27, -1
	s_mov_b32 s28, exec_lo
	s_delay_alu instid0(VALU_DEP_1) | instskip(SKIP_2) | instid1(VALU_DEP_3)
	v_add3_u32 v22, v22, v24, v23
	v_add_co_u32 v23, vcc_lo, s16, v19
	v_add_co_ci_u32_e32 v24, vcc_lo, s17, v20, vcc_lo
	v_lshlrev_b64 v[21:22], 2, v[21:22]
	s_delay_alu instid0(VALU_DEP_1) | instskip(NEXT) | instid1(VALU_DEP_2)
	v_add_co_u32 v21, vcc_lo, s16, v21
	v_add_co_ci_u32_e32 v22, vcc_lo, s17, v22, vcc_lo
	s_clause 0x1
	global_load_b32 v25, v[23:24], off
	global_load_b32 v26, v[21:22], off
	s_waitcnt vmcnt(0)
	v_cmpx_eq_u32_e64 v25, v26
	s_cbranch_execz .LBB1569_36
; %bb.21:
	v_add_co_u32 v21, vcc_lo, v21, 4
	v_add_co_ci_u32_e32 v22, vcc_lo, 0, v22, vcc_lo
	v_add_co_u32 v23, vcc_lo, v23, 4
	v_add_co_ci_u32_e32 v24, vcc_lo, 0, v24, vcc_lo
	s_add_u32 s4, s14, -1
	s_addc_u32 s5, s15, -1
	s_mov_b64 s[6:7], 0
	s_mov_b32 s27, 0
                                        ; implicit-def: $sgpr29
	s_set_inst_prefetch_distance 0x1
	s_branch .LBB1569_24
	.p2align	6
.LBB1569_22:                            ;   in Loop: Header=BB1569_24 Depth=1
	global_load_b32 v25, v[23:24], off
	global_load_b32 v26, v[21:22], off
	v_add_co_u32 v21, vcc_lo, v21, 4
	v_add_co_ci_u32_e32 v22, vcc_lo, 0, v22, vcc_lo
	v_add_co_u32 v23, s0, v23, 4
	s_delay_alu instid0(VALU_DEP_1)
	v_add_co_ci_u32_e64 v24, s0, 0, v24, s0
	s_add_u32 s6, s6, 1
	s_addc_u32 s7, s7, 0
	s_and_not1_b32 s0, s29, exec_lo
	s_waitcnt vmcnt(0)
	v_cmp_ne_u32_e32 vcc_lo, v25, v26
	s_and_b32 s29, vcc_lo, exec_lo
	s_delay_alu instid0(SALU_CYCLE_1)
	s_or_b32 s29, s0, s29
.LBB1569_23:                            ;   in Loop: Header=BB1569_24 Depth=1
	v_dual_mov_b32 v26, s7 :: v_dual_mov_b32 v25, s6
	s_and_b32 s0, exec_lo, s29
	s_delay_alu instid0(SALU_CYCLE_1) | instskip(NEXT) | instid1(SALU_CYCLE_1)
	s_or_b32 s27, s0, s27
	s_and_not1_b32 exec_lo, exec_lo, s27
	s_cbranch_execz .LBB1569_35
.LBB1569_24:                            ; =>This Inner Loop Header: Depth=1
	s_or_b32 s29, s29, exec_lo
	s_cmp_eq_u64 s[4:5], s[6:7]
	s_cbranch_scc0 .LBB1569_22
; %bb.25:                               ;   in Loop: Header=BB1569_24 Depth=1
	s_mov_b64 s[6:7], s[14:15]
                                        ; implicit-def: $vgpr21_vgpr22
                                        ; implicit-def: $vgpr23_vgpr24
	s_branch .LBB1569_23
.LBB1569_26:
                                        ; implicit-def: $sgpr0
                                        ; implicit-def: $vgpr20
	s_branch .LBB1569_195
.LBB1569_27:
	v_readfirstlane_b32 s4, v17
	v_readfirstlane_b32 s5, v18
	global_load_b64 v[1:2], v39, s[4:5]
	s_or_b32 exec_lo, exec_lo, s0
	s_delay_alu instid0(SALU_CYCLE_1)
	s_mov_b32 s0, exec_lo
	v_cmpx_gt_u32_e64 s12, v26
	s_cbranch_execz .LBB1569_9
.LBB1569_28:
	v_lshlrev_b32_e32 v3, 3, v26
	v_readfirstlane_b32 s4, v17
	v_readfirstlane_b32 s5, v18
	global_load_b64 v[3:4], v3, s[4:5]
	s_or_b32 exec_lo, exec_lo, s0
	s_delay_alu instid0(SALU_CYCLE_1)
	s_mov_b32 s0, exec_lo
	v_cmpx_gt_u32_e64 s12, v25
	s_cbranch_execz .LBB1569_10
.LBB1569_29:
	v_lshlrev_b32_e32 v5, 3, v25
	v_readfirstlane_b32 s4, v17
	v_readfirstlane_b32 s5, v18
	global_load_b64 v[5:6], v5, s[4:5]
	s_or_b32 exec_lo, exec_lo, s0
	s_delay_alu instid0(SALU_CYCLE_1)
	s_mov_b32 s0, exec_lo
	v_cmpx_gt_u32_e64 s12, v24
	s_cbranch_execz .LBB1569_11
.LBB1569_30:
	v_lshlrev_b32_e32 v7, 3, v24
	v_readfirstlane_b32 s4, v17
	v_readfirstlane_b32 s5, v18
	global_load_b64 v[7:8], v7, s[4:5]
	s_or_b32 exec_lo, exec_lo, s0
	s_delay_alu instid0(SALU_CYCLE_1)
	s_mov_b32 s0, exec_lo
	v_cmpx_gt_u32_e64 s12, v23
	s_cbranch_execz .LBB1569_12
.LBB1569_31:
	v_lshlrev_b32_e32 v9, 3, v23
	v_readfirstlane_b32 s4, v17
	v_readfirstlane_b32 s5, v18
	global_load_b64 v[9:10], v9, s[4:5]
	s_or_b32 exec_lo, exec_lo, s0
	s_delay_alu instid0(SALU_CYCLE_1)
	s_mov_b32 s0, exec_lo
	v_cmpx_gt_u32_e64 s12, v22
	s_cbranch_execz .LBB1569_13
.LBB1569_32:
	v_lshlrev_b32_e32 v11, 3, v22
	v_readfirstlane_b32 s4, v17
	v_readfirstlane_b32 s5, v18
	global_load_b64 v[11:12], v11, s[4:5]
	s_or_b32 exec_lo, exec_lo, s0
	s_delay_alu instid0(SALU_CYCLE_1)
	s_mov_b32 s0, exec_lo
	v_cmpx_gt_u32_e64 s12, v21
	s_cbranch_execz .LBB1569_14
.LBB1569_33:
	v_lshlrev_b32_e32 v13, 3, v21
	v_readfirstlane_b32 s4, v17
	v_readfirstlane_b32 s5, v18
	global_load_b64 v[13:14], v13, s[4:5]
	s_or_b32 exec_lo, exec_lo, s0
	s_delay_alu instid0(SALU_CYCLE_1)
	s_mov_b32 s0, exec_lo
	v_cmpx_gt_u32_e64 s12, v20
	s_cbranch_execnz .LBB1569_15
	s_branch .LBB1569_16
.LBB1569_34:
                                        ; implicit-def: $sgpr0
                                        ; implicit-def: $vgpr20
	s_cbranch_execnz .LBB1569_103
	s_branch .LBB1569_194
.LBB1569_35:
	s_set_inst_prefetch_distance 0x2
	s_or_b32 exec_lo, exec_lo, s27
	v_cmp_gt_i64_e32 vcc_lo, s[14:15], v[25:26]
	s_or_not1_b32 s27, vcc_lo, exec_lo
.LBB1569_36:
	s_or_b32 exec_lo, exec_lo, s28
.LBB1569_37:
	v_mul_lo_u32 v23, v8, s14
	v_mul_lo_u32 v24, v7, s15
	v_mad_u64_u32 v[21:22], null, v7, s14, 0
	s_and_not1_b32 vcc_lo, exec_lo, s26
	s_delay_alu instid0(VALU_DEP_1) | instskip(NEXT) | instid1(VALU_DEP_1)
	v_add3_u32 v22, v22, v24, v23
	v_lshlrev_b64 v[21:22], 2, v[21:22]
	s_cbranch_vccnz .LBB1569_46
; %bb.38:
	s_delay_alu instid0(VALU_DEP_1) | instskip(NEXT) | instid1(VALU_DEP_2)
	v_add_co_u32 v23, vcc_lo, s16, v21
	v_add_co_ci_u32_e32 v24, vcc_lo, s17, v22, vcc_lo
	v_add_co_u32 v19, vcc_lo, s16, v19
	v_add_co_ci_u32_e32 v20, vcc_lo, s17, v20, vcc_lo
	s_mov_b32 s25, -1
	s_clause 0x1
	global_load_b32 v25, v[23:24], off
	global_load_b32 v26, v[19:20], off
	s_mov_b32 s28, exec_lo
	s_waitcnt vmcnt(0)
	v_cmpx_eq_u32_e64 v25, v26
	s_cbranch_execz .LBB1569_45
; %bb.39:
	v_add_co_u32 v19, vcc_lo, v19, 4
	v_add_co_ci_u32_e32 v20, vcc_lo, 0, v20, vcc_lo
	v_add_co_u32 v23, vcc_lo, v23, 4
	v_add_co_ci_u32_e32 v24, vcc_lo, 0, v24, vcc_lo
	s_add_u32 s4, s14, -1
	s_addc_u32 s5, s15, -1
	s_mov_b64 s[6:7], 0
	s_mov_b32 s25, 0
                                        ; implicit-def: $sgpr29
	s_set_inst_prefetch_distance 0x1
	s_branch .LBB1569_42
	.p2align	6
.LBB1569_40:                            ;   in Loop: Header=BB1569_42 Depth=1
	global_load_b32 v25, v[23:24], off
	global_load_b32 v26, v[19:20], off
	v_add_co_u32 v19, vcc_lo, v19, 4
	v_add_co_ci_u32_e32 v20, vcc_lo, 0, v20, vcc_lo
	v_add_co_u32 v23, s0, v23, 4
	s_delay_alu instid0(VALU_DEP_1)
	v_add_co_ci_u32_e64 v24, s0, 0, v24, s0
	s_add_u32 s6, s6, 1
	s_addc_u32 s7, s7, 0
	s_and_not1_b32 s0, s29, exec_lo
	s_waitcnt vmcnt(0)
	v_cmp_ne_u32_e32 vcc_lo, v25, v26
	s_and_b32 s29, vcc_lo, exec_lo
	s_delay_alu instid0(SALU_CYCLE_1)
	s_or_b32 s29, s0, s29
.LBB1569_41:                            ;   in Loop: Header=BB1569_42 Depth=1
	v_dual_mov_b32 v26, s7 :: v_dual_mov_b32 v25, s6
	s_and_b32 s0, exec_lo, s29
	s_delay_alu instid0(SALU_CYCLE_1) | instskip(NEXT) | instid1(SALU_CYCLE_1)
	s_or_b32 s25, s0, s25
	s_and_not1_b32 exec_lo, exec_lo, s25
	s_cbranch_execz .LBB1569_44
.LBB1569_42:                            ; =>This Inner Loop Header: Depth=1
	s_or_b32 s29, s29, exec_lo
	s_cmp_eq_u64 s[4:5], s[6:7]
	s_cbranch_scc0 .LBB1569_40
; %bb.43:                               ;   in Loop: Header=BB1569_42 Depth=1
	s_mov_b64 s[6:7], s[14:15]
                                        ; implicit-def: $vgpr19_vgpr20
                                        ; implicit-def: $vgpr23_vgpr24
	s_branch .LBB1569_41
.LBB1569_44:
	s_set_inst_prefetch_distance 0x2
	s_or_b32 exec_lo, exec_lo, s25
	v_cmp_gt_i64_e32 vcc_lo, s[14:15], v[25:26]
	s_or_not1_b32 s25, vcc_lo, exec_lo
.LBB1569_45:
	s_or_b32 exec_lo, exec_lo, s28
.LBB1569_46:
	v_mul_lo_u32 v23, v6, s14
	v_mul_lo_u32 v24, v5, s15
	v_mad_u64_u32 v[19:20], null, v5, s14, 0
	s_mov_b32 s28, 0
	s_and_not1_b32 vcc_lo, exec_lo, s26
	s_mov_b32 s29, 0
	s_delay_alu instid0(VALU_DEP_1) | instskip(NEXT) | instid1(VALU_DEP_1)
	v_add3_u32 v20, v20, v24, v23
	v_lshlrev_b64 v[23:24], 2, v[19:20]
	s_cbranch_vccnz .LBB1569_55
; %bb.47:
	s_delay_alu instid0(VALU_DEP_1) | instskip(NEXT) | instid1(VALU_DEP_2)
	v_add_co_u32 v25, vcc_lo, s16, v23
	v_add_co_ci_u32_e32 v26, vcc_lo, s17, v24, vcc_lo
	v_add_co_u32 v19, vcc_lo, s16, v21
	v_add_co_ci_u32_e32 v20, vcc_lo, s17, v22, vcc_lo
	s_mov_b32 s29, -1
	s_clause 0x1
	global_load_b32 v21, v[25:26], off
	global_load_b32 v22, v[19:20], off
	s_mov_b32 s30, exec_lo
	s_waitcnt vmcnt(0)
	v_cmpx_eq_u32_e64 v21, v22
	s_cbranch_execz .LBB1569_54
; %bb.48:
	v_add_co_u32 v19, vcc_lo, v19, 4
	v_add_co_ci_u32_e32 v20, vcc_lo, 0, v20, vcc_lo
	v_add_co_u32 v21, vcc_lo, v25, 4
	v_add_co_ci_u32_e32 v22, vcc_lo, 0, v26, vcc_lo
	s_add_u32 s4, s14, -1
	s_addc_u32 s5, s15, -1
	s_mov_b64 s[6:7], 0
	s_mov_b32 s29, 0
                                        ; implicit-def: $sgpr31
	s_set_inst_prefetch_distance 0x1
	s_branch .LBB1569_51
	.p2align	6
.LBB1569_49:                            ;   in Loop: Header=BB1569_51 Depth=1
	global_load_b32 v25, v[21:22], off
	global_load_b32 v26, v[19:20], off
	v_add_co_u32 v19, vcc_lo, v19, 4
	v_add_co_ci_u32_e32 v20, vcc_lo, 0, v20, vcc_lo
	v_add_co_u32 v21, s0, v21, 4
	s_delay_alu instid0(VALU_DEP_1)
	v_add_co_ci_u32_e64 v22, s0, 0, v22, s0
	s_add_u32 s6, s6, 1
	s_addc_u32 s7, s7, 0
	s_and_not1_b32 s0, s31, exec_lo
	s_waitcnt vmcnt(0)
	v_cmp_ne_u32_e32 vcc_lo, v25, v26
	s_and_b32 s31, vcc_lo, exec_lo
	s_delay_alu instid0(SALU_CYCLE_1)
	s_or_b32 s31, s0, s31
.LBB1569_50:                            ;   in Loop: Header=BB1569_51 Depth=1
	v_dual_mov_b32 v26, s7 :: v_dual_mov_b32 v25, s6
	s_and_b32 s0, exec_lo, s31
	s_delay_alu instid0(SALU_CYCLE_1) | instskip(NEXT) | instid1(SALU_CYCLE_1)
	s_or_b32 s29, s0, s29
	s_and_not1_b32 exec_lo, exec_lo, s29
	s_cbranch_execz .LBB1569_53
.LBB1569_51:                            ; =>This Inner Loop Header: Depth=1
	s_or_b32 s31, s31, exec_lo
	s_cmp_eq_u64 s[4:5], s[6:7]
	s_cbranch_scc0 .LBB1569_49
; %bb.52:                               ;   in Loop: Header=BB1569_51 Depth=1
	s_mov_b64 s[6:7], s[14:15]
                                        ; implicit-def: $vgpr19_vgpr20
                                        ; implicit-def: $vgpr21_vgpr22
	s_branch .LBB1569_50
.LBB1569_53:
	s_set_inst_prefetch_distance 0x2
	s_or_b32 exec_lo, exec_lo, s29
	v_cmp_gt_i64_e32 vcc_lo, s[14:15], v[25:26]
	s_or_not1_b32 s29, vcc_lo, exec_lo
.LBB1569_54:
	s_or_b32 exec_lo, exec_lo, s30
.LBB1569_55:
	v_mul_lo_u32 v21, v12, s14
	v_mul_lo_u32 v22, v11, s15
	v_mad_u64_u32 v[19:20], null, v11, s14, 0
	s_and_not1_b32 vcc_lo, exec_lo, s26
	s_delay_alu instid0(VALU_DEP_1) | instskip(NEXT) | instid1(VALU_DEP_1)
	v_add3_u32 v20, v20, v22, v21
	v_lshlrev_b64 v[19:20], 2, v[19:20]
	s_cbranch_vccnz .LBB1569_64
; %bb.56:
	s_delay_alu instid0(VALU_DEP_1) | instskip(NEXT) | instid1(VALU_DEP_2)
	v_add_co_u32 v25, vcc_lo, s16, v19
	v_add_co_ci_u32_e32 v26, vcc_lo, s17, v20, vcc_lo
	v_add_co_u32 v21, vcc_lo, s16, v23
	v_add_co_ci_u32_e32 v22, vcc_lo, s17, v24, vcc_lo
	s_mov_b32 s28, -1
	s_clause 0x1
	global_load_b32 v23, v[25:26], off
	global_load_b32 v24, v[21:22], off
	s_mov_b32 s30, exec_lo
	s_waitcnt vmcnt(0)
	v_cmpx_eq_u32_e64 v23, v24
	s_cbranch_execz .LBB1569_63
; %bb.57:
	v_add_co_u32 v21, vcc_lo, v21, 4
	v_add_co_ci_u32_e32 v22, vcc_lo, 0, v22, vcc_lo
	v_add_co_u32 v23, vcc_lo, v25, 4
	v_add_co_ci_u32_e32 v24, vcc_lo, 0, v26, vcc_lo
	s_add_u32 s4, s14, -1
	s_addc_u32 s5, s15, -1
	s_mov_b64 s[6:7], 0
	s_mov_b32 s28, 0
                                        ; implicit-def: $sgpr31
	s_set_inst_prefetch_distance 0x1
	s_branch .LBB1569_60
	.p2align	6
.LBB1569_58:                            ;   in Loop: Header=BB1569_60 Depth=1
	global_load_b32 v25, v[23:24], off
	global_load_b32 v26, v[21:22], off
	v_add_co_u32 v21, vcc_lo, v21, 4
	v_add_co_ci_u32_e32 v22, vcc_lo, 0, v22, vcc_lo
	v_add_co_u32 v23, s0, v23, 4
	s_delay_alu instid0(VALU_DEP_1)
	v_add_co_ci_u32_e64 v24, s0, 0, v24, s0
	s_add_u32 s6, s6, 1
	s_addc_u32 s7, s7, 0
	s_and_not1_b32 s0, s31, exec_lo
	s_waitcnt vmcnt(0)
	v_cmp_ne_u32_e32 vcc_lo, v25, v26
	s_and_b32 s31, vcc_lo, exec_lo
	s_delay_alu instid0(SALU_CYCLE_1)
	s_or_b32 s31, s0, s31
.LBB1569_59:                            ;   in Loop: Header=BB1569_60 Depth=1
	v_dual_mov_b32 v26, s7 :: v_dual_mov_b32 v25, s6
	s_and_b32 s0, exec_lo, s31
	s_delay_alu instid0(SALU_CYCLE_1) | instskip(NEXT) | instid1(SALU_CYCLE_1)
	s_or_b32 s28, s0, s28
	s_and_not1_b32 exec_lo, exec_lo, s28
	s_cbranch_execz .LBB1569_62
.LBB1569_60:                            ; =>This Inner Loop Header: Depth=1
	s_or_b32 s31, s31, exec_lo
	s_cmp_eq_u64 s[4:5], s[6:7]
	s_cbranch_scc0 .LBB1569_58
; %bb.61:                               ;   in Loop: Header=BB1569_60 Depth=1
	s_mov_b64 s[6:7], s[14:15]
                                        ; implicit-def: $vgpr21_vgpr22
                                        ; implicit-def: $vgpr23_vgpr24
	s_branch .LBB1569_59
.LBB1569_62:
	s_set_inst_prefetch_distance 0x2
	s_or_b32 exec_lo, exec_lo, s28
	v_cmp_gt_i64_e32 vcc_lo, s[14:15], v[25:26]
	s_or_not1_b32 s28, vcc_lo, exec_lo
.LBB1569_63:
	s_or_b32 exec_lo, exec_lo, s30
.LBB1569_64:
	v_mul_lo_u32 v23, v10, s14
	v_mul_lo_u32 v24, v9, s15
	v_mad_u64_u32 v[21:22], null, v9, s14, 0
	s_mov_b32 s30, 0
	s_and_not1_b32 vcc_lo, exec_lo, s26
	s_mov_b32 s31, 0
	s_delay_alu instid0(VALU_DEP_1) | instskip(NEXT) | instid1(VALU_DEP_1)
	v_add3_u32 v22, v22, v24, v23
	v_lshlrev_b64 v[23:24], 2, v[21:22]
	s_cbranch_vccnz .LBB1569_73
; %bb.65:
	s_delay_alu instid0(VALU_DEP_1) | instskip(NEXT) | instid1(VALU_DEP_2)
	v_add_co_u32 v21, vcc_lo, s16, v23
	v_add_co_ci_u32_e32 v22, vcc_lo, s17, v24, vcc_lo
	v_add_co_u32 v19, vcc_lo, s16, v19
	v_add_co_ci_u32_e32 v20, vcc_lo, s17, v20, vcc_lo
	s_mov_b32 s31, -1
	s_clause 0x1
	global_load_b32 v25, v[21:22], off
	global_load_b32 v26, v[19:20], off
	s_mov_b32 s33, exec_lo
	s_waitcnt vmcnt(0)
	v_cmpx_eq_u32_e64 v25, v26
	s_cbranch_execz .LBB1569_72
; %bb.66:
	v_add_co_u32 v19, vcc_lo, v19, 4
	v_add_co_ci_u32_e32 v20, vcc_lo, 0, v20, vcc_lo
	v_add_co_u32 v21, vcc_lo, v21, 4
	v_add_co_ci_u32_e32 v22, vcc_lo, 0, v22, vcc_lo
	s_add_u32 s4, s14, -1
	s_addc_u32 s5, s15, -1
	s_mov_b64 s[6:7], 0
	s_mov_b32 s31, 0
                                        ; implicit-def: $sgpr34
	s_set_inst_prefetch_distance 0x1
	s_branch .LBB1569_69
	.p2align	6
.LBB1569_67:                            ;   in Loop: Header=BB1569_69 Depth=1
	global_load_b32 v25, v[21:22], off
	global_load_b32 v26, v[19:20], off
	v_add_co_u32 v19, vcc_lo, v19, 4
	v_add_co_ci_u32_e32 v20, vcc_lo, 0, v20, vcc_lo
	v_add_co_u32 v21, s0, v21, 4
	s_delay_alu instid0(VALU_DEP_1)
	v_add_co_ci_u32_e64 v22, s0, 0, v22, s0
	s_add_u32 s6, s6, 1
	s_addc_u32 s7, s7, 0
	s_and_not1_b32 s0, s34, exec_lo
	s_waitcnt vmcnt(0)
	v_cmp_ne_u32_e32 vcc_lo, v25, v26
	s_and_b32 s34, vcc_lo, exec_lo
	s_delay_alu instid0(SALU_CYCLE_1)
	s_or_b32 s34, s0, s34
.LBB1569_68:                            ;   in Loop: Header=BB1569_69 Depth=1
	v_dual_mov_b32 v26, s7 :: v_dual_mov_b32 v25, s6
	s_and_b32 s0, exec_lo, s34
	s_delay_alu instid0(SALU_CYCLE_1) | instskip(NEXT) | instid1(SALU_CYCLE_1)
	s_or_b32 s31, s0, s31
	s_and_not1_b32 exec_lo, exec_lo, s31
	s_cbranch_execz .LBB1569_71
.LBB1569_69:                            ; =>This Inner Loop Header: Depth=1
	s_or_b32 s34, s34, exec_lo
	s_cmp_eq_u64 s[4:5], s[6:7]
	s_cbranch_scc0 .LBB1569_67
; %bb.70:                               ;   in Loop: Header=BB1569_69 Depth=1
	s_mov_b64 s[6:7], s[14:15]
                                        ; implicit-def: $vgpr19_vgpr20
                                        ; implicit-def: $vgpr21_vgpr22
	s_branch .LBB1569_68
.LBB1569_71:
	s_set_inst_prefetch_distance 0x2
	s_or_b32 exec_lo, exec_lo, s31
	v_cmp_gt_i64_e32 vcc_lo, s[14:15], v[25:26]
	s_or_not1_b32 s31, vcc_lo, exec_lo
.LBB1569_72:
	s_or_b32 exec_lo, exec_lo, s33
.LBB1569_73:
	v_mul_lo_u32 v21, v16, s14
	v_mul_lo_u32 v22, v15, s15
	v_mad_u64_u32 v[19:20], null, v15, s14, 0
	s_and_not1_b32 vcc_lo, exec_lo, s26
	s_delay_alu instid0(VALU_DEP_1) | instskip(NEXT) | instid1(VALU_DEP_1)
	v_add3_u32 v20, v20, v22, v21
	v_lshlrev_b64 v[21:22], 2, v[19:20]
	s_cbranch_vccnz .LBB1569_82
; %bb.74:
	s_delay_alu instid0(VALU_DEP_1) | instskip(NEXT) | instid1(VALU_DEP_2)
	v_add_co_u32 v25, vcc_lo, s16, v21
	v_add_co_ci_u32_e32 v26, vcc_lo, s17, v22, vcc_lo
	v_add_co_u32 v19, vcc_lo, s16, v23
	v_add_co_ci_u32_e32 v20, vcc_lo, s17, v24, vcc_lo
	s_mov_b32 s30, -1
	s_clause 0x1
	global_load_b32 v23, v[25:26], off
	global_load_b32 v24, v[19:20], off
	s_mov_b32 s33, exec_lo
	s_waitcnt vmcnt(0)
	v_cmpx_eq_u32_e64 v23, v24
	s_cbranch_execz .LBB1569_81
; %bb.75:
	v_add_co_u32 v19, vcc_lo, v19, 4
	v_add_co_ci_u32_e32 v20, vcc_lo, 0, v20, vcc_lo
	v_add_co_u32 v23, vcc_lo, v25, 4
	v_add_co_ci_u32_e32 v24, vcc_lo, 0, v26, vcc_lo
	s_add_u32 s4, s14, -1
	s_addc_u32 s5, s15, -1
	s_mov_b64 s[6:7], 0
	s_mov_b32 s30, 0
                                        ; implicit-def: $sgpr34
	s_set_inst_prefetch_distance 0x1
	s_branch .LBB1569_78
	.p2align	6
.LBB1569_76:                            ;   in Loop: Header=BB1569_78 Depth=1
	global_load_b32 v25, v[23:24], off
	global_load_b32 v26, v[19:20], off
	v_add_co_u32 v19, vcc_lo, v19, 4
	v_add_co_ci_u32_e32 v20, vcc_lo, 0, v20, vcc_lo
	v_add_co_u32 v23, s0, v23, 4
	s_delay_alu instid0(VALU_DEP_1)
	v_add_co_ci_u32_e64 v24, s0, 0, v24, s0
	s_add_u32 s6, s6, 1
	s_addc_u32 s7, s7, 0
	s_and_not1_b32 s0, s34, exec_lo
	s_waitcnt vmcnt(0)
	v_cmp_ne_u32_e32 vcc_lo, v25, v26
	s_and_b32 s34, vcc_lo, exec_lo
	s_delay_alu instid0(SALU_CYCLE_1)
	s_or_b32 s34, s0, s34
.LBB1569_77:                            ;   in Loop: Header=BB1569_78 Depth=1
	v_dual_mov_b32 v26, s7 :: v_dual_mov_b32 v25, s6
	s_and_b32 s0, exec_lo, s34
	s_delay_alu instid0(SALU_CYCLE_1) | instskip(NEXT) | instid1(SALU_CYCLE_1)
	s_or_b32 s30, s0, s30
	s_and_not1_b32 exec_lo, exec_lo, s30
	s_cbranch_execz .LBB1569_80
.LBB1569_78:                            ; =>This Inner Loop Header: Depth=1
	s_or_b32 s34, s34, exec_lo
	s_cmp_eq_u64 s[4:5], s[6:7]
	s_cbranch_scc0 .LBB1569_76
; %bb.79:                               ;   in Loop: Header=BB1569_78 Depth=1
	s_mov_b64 s[6:7], s[14:15]
                                        ; implicit-def: $vgpr19_vgpr20
                                        ; implicit-def: $vgpr23_vgpr24
	s_branch .LBB1569_77
.LBB1569_80:
	s_set_inst_prefetch_distance 0x2
	s_or_b32 exec_lo, exec_lo, s30
	v_cmp_gt_i64_e32 vcc_lo, s[14:15], v[25:26]
	s_or_not1_b32 s30, vcc_lo, exec_lo
.LBB1569_81:
	s_or_b32 exec_lo, exec_lo, s33
.LBB1569_82:
	v_mul_lo_u32 v23, v14, s14
	v_mul_lo_u32 v24, v13, s15
	v_mad_u64_u32 v[19:20], null, v13, s14, 0
	s_and_not1_b32 vcc_lo, exec_lo, s26
	s_mov_b32 s0, 0
	s_delay_alu instid0(VALU_DEP_1) | instskip(NEXT) | instid1(VALU_DEP_1)
	v_add3_u32 v20, v20, v24, v23
	v_lshlrev_b64 v[19:20], 2, v[19:20]
	s_cbranch_vccnz .LBB1569_91
; %bb.83:
	s_delay_alu instid0(VALU_DEP_1) | instskip(NEXT) | instid1(VALU_DEP_2)
	v_add_co_u32 v23, vcc_lo, s16, v19
	v_add_co_ci_u32_e32 v24, vcc_lo, s17, v20, vcc_lo
	v_add_co_u32 v21, vcc_lo, s16, v21
	v_add_co_ci_u32_e32 v22, vcc_lo, s17, v22, vcc_lo
	s_mov_b32 s0, -1
	s_clause 0x1
	global_load_b32 v25, v[23:24], off
	global_load_b32 v26, v[21:22], off
	s_mov_b32 s33, exec_lo
	s_waitcnt vmcnt(0)
	v_cmpx_eq_u32_e64 v25, v26
	s_cbranch_execz .LBB1569_90
; %bb.84:
	v_add_co_u32 v21, vcc_lo, v21, 4
	v_add_co_ci_u32_e32 v22, vcc_lo, 0, v22, vcc_lo
	v_add_co_u32 v23, vcc_lo, v23, 4
	v_add_co_ci_u32_e32 v24, vcc_lo, 0, v24, vcc_lo
	s_add_u32 s4, s14, -1
	s_addc_u32 s5, s15, -1
	s_mov_b64 s[6:7], 0
	s_mov_b32 s34, 0
                                        ; implicit-def: $sgpr35
	s_set_inst_prefetch_distance 0x1
	s_branch .LBB1569_87
	.p2align	6
.LBB1569_85:                            ;   in Loop: Header=BB1569_87 Depth=1
	global_load_b32 v25, v[23:24], off
	global_load_b32 v26, v[21:22], off
	v_add_co_u32 v21, vcc_lo, v21, 4
	v_add_co_ci_u32_e32 v22, vcc_lo, 0, v22, vcc_lo
	v_add_co_u32 v23, s0, v23, 4
	s_delay_alu instid0(VALU_DEP_1)
	v_add_co_ci_u32_e64 v24, s0, 0, v24, s0
	s_add_u32 s6, s6, 1
	s_addc_u32 s7, s7, 0
	s_and_not1_b32 s0, s35, exec_lo
	s_waitcnt vmcnt(0)
	v_cmp_ne_u32_e32 vcc_lo, v25, v26
	s_and_b32 s35, vcc_lo, exec_lo
	s_delay_alu instid0(SALU_CYCLE_1)
	s_or_b32 s35, s0, s35
.LBB1569_86:                            ;   in Loop: Header=BB1569_87 Depth=1
	v_dual_mov_b32 v26, s7 :: v_dual_mov_b32 v25, s6
	s_and_b32 s0, exec_lo, s35
	s_delay_alu instid0(SALU_CYCLE_1) | instskip(NEXT) | instid1(SALU_CYCLE_1)
	s_or_b32 s34, s0, s34
	s_and_not1_b32 exec_lo, exec_lo, s34
	s_cbranch_execz .LBB1569_89
.LBB1569_87:                            ; =>This Inner Loop Header: Depth=1
	s_or_b32 s35, s35, exec_lo
	s_cmp_eq_u64 s[4:5], s[6:7]
	s_cbranch_scc0 .LBB1569_85
; %bb.88:                               ;   in Loop: Header=BB1569_87 Depth=1
	s_mov_b64 s[6:7], s[14:15]
                                        ; implicit-def: $vgpr21_vgpr22
                                        ; implicit-def: $vgpr23_vgpr24
	s_branch .LBB1569_86
.LBB1569_89:
	s_set_inst_prefetch_distance 0x2
	s_or_b32 exec_lo, exec_lo, s34
	v_cmp_gt_i64_e32 vcc_lo, s[14:15], v[25:26]
	s_or_not1_b32 s0, vcc_lo, exec_lo
.LBB1569_90:
	s_or_b32 exec_lo, exec_lo, s33
.LBB1569_91:
	s_waitcnt vmcnt(0)
	v_dual_mov_b32 v22, v18 :: v_dual_mov_b32 v21, v17
	s_waitcnt lgkmcnt(0)
	s_barrier
	buffer_gl0_inv
	s_and_saveexec_b32 s4, s3
	s_cbranch_execz .LBB1569_93
; %bb.92:
	v_add_nc_u32_e32 v21, -8, v39
	ds_load_b64 v[21:22], v21
.LBB1569_93:
	s_or_b32 exec_lo, exec_lo, s4
	v_cndmask_b32_e64 v24, 0, 1, s31
	v_cndmask_b32_e64 v26, 0, 1, s29
	;; [unrolled: 1-line block ×7, first 2 shown]
	v_lshlrev_b16 v24, 8, v24
	v_lshlrev_b16 v26, 8, v26
	;; [unrolled: 1-line block ×4, first 2 shown]
	s_mov_b32 s25, 0
	v_or_b32_e32 v23, v23, v24
	v_or_b32_e32 v24, v25, v26
	;; [unrolled: 1-line block ×3, first 2 shown]
	v_and_b32_e32 v25, 0xffff, v29
	s_and_not1_b32 vcc_lo, exec_lo, s26
	v_lshlrev_b32_e32 v26, 16, v23
	v_and_b32_e32 v28, 0xffff, v24
	v_lshlrev_b32_e32 v29, 16, v30
	s_mov_b32 s0, 0
	s_cbranch_vccnz .LBB1569_102
; %bb.94:
	s_waitcnt lgkmcnt(0)
	v_mul_lo_u32 v24, v22, s14
	v_mul_lo_u32 v30, v21, s15
	v_mad_u64_u32 v[22:23], null, v21, s14, 0
	s_mov_b32 s0, -1
	s_mov_b32 s27, exec_lo
	s_delay_alu instid0(VALU_DEP_1) | instskip(NEXT) | instid1(VALU_DEP_1)
	v_add3_u32 v23, v23, v30, v24
	v_lshlrev_b64 v[21:22], 2, v[22:23]
	s_delay_alu instid0(VALU_DEP_1) | instskip(NEXT) | instid1(VALU_DEP_2)
	v_add_co_u32 v21, vcc_lo, s16, v21
	v_add_co_ci_u32_e32 v22, vcc_lo, s17, v22, vcc_lo
	v_add_co_u32 v19, vcc_lo, s16, v19
	v_add_co_ci_u32_e32 v20, vcc_lo, s17, v20, vcc_lo
	s_clause 0x1
	global_load_b32 v23, v[21:22], off
	global_load_b32 v24, v[19:20], off
	s_waitcnt vmcnt(0)
	v_cmpx_eq_u32_e64 v23, v24
	s_cbranch_execz .LBB1569_101
; %bb.95:
	v_add_co_u32 v19, vcc_lo, v19, 4
	v_add_co_ci_u32_e32 v20, vcc_lo, 0, v20, vcc_lo
	v_add_co_u32 v21, vcc_lo, v21, 4
	v_add_co_ci_u32_e32 v22, vcc_lo, 0, v22, vcc_lo
	s_add_u32 s4, s14, -1
	s_addc_u32 s5, s15, -1
	s_mov_b64 s[6:7], 0
	s_mov_b32 s28, 0
                                        ; implicit-def: $sgpr29
	s_set_inst_prefetch_distance 0x1
	s_branch .LBB1569_98
	.p2align	6
.LBB1569_96:                            ;   in Loop: Header=BB1569_98 Depth=1
	global_load_b32 v23, v[21:22], off
	global_load_b32 v24, v[19:20], off
	v_add_co_u32 v19, vcc_lo, v19, 4
	v_add_co_ci_u32_e32 v20, vcc_lo, 0, v20, vcc_lo
	v_add_co_u32 v21, s0, v21, 4
	s_delay_alu instid0(VALU_DEP_1)
	v_add_co_ci_u32_e64 v22, s0, 0, v22, s0
	s_add_u32 s6, s6, 1
	s_addc_u32 s7, s7, 0
	s_and_not1_b32 s0, s29, exec_lo
	s_waitcnt vmcnt(0)
	v_cmp_ne_u32_e32 vcc_lo, v23, v24
	s_and_b32 s29, vcc_lo, exec_lo
	s_delay_alu instid0(SALU_CYCLE_1)
	s_or_b32 s29, s0, s29
.LBB1569_97:                            ;   in Loop: Header=BB1569_98 Depth=1
	v_dual_mov_b32 v24, s7 :: v_dual_mov_b32 v23, s6
	s_and_b32 s0, exec_lo, s29
	s_delay_alu instid0(SALU_CYCLE_1) | instskip(NEXT) | instid1(SALU_CYCLE_1)
	s_or_b32 s28, s0, s28
	s_and_not1_b32 exec_lo, exec_lo, s28
	s_cbranch_execz .LBB1569_100
.LBB1569_98:                            ; =>This Inner Loop Header: Depth=1
	s_or_b32 s29, s29, exec_lo
	s_cmp_eq_u64 s[4:5], s[6:7]
	s_cbranch_scc0 .LBB1569_96
; %bb.99:                               ;   in Loop: Header=BB1569_98 Depth=1
	s_mov_b64 s[6:7], s[14:15]
                                        ; implicit-def: $vgpr19_vgpr20
                                        ; implicit-def: $vgpr21_vgpr22
	s_branch .LBB1569_97
.LBB1569_100:
	s_set_inst_prefetch_distance 0x2
	s_or_b32 exec_lo, exec_lo, s28
	v_cmp_gt_i64_e32 vcc_lo, s[14:15], v[23:24]
	s_or_not1_b32 s0, vcc_lo, exec_lo
.LBB1569_101:
	s_or_b32 exec_lo, exec_lo, s27
.LBB1569_102:
	v_or_b32_e32 v19, v25, v26
	s_delay_alu instid0(VALU_DEP_2)
	v_or_b32_e32 v20, v28, v29
	s_and_b32 vcc_lo, exec_lo, s25
	s_cbranch_vccz .LBB1569_194
.LBB1569_103:
	v_or_b32_e32 v19, 7, v39
	s_mov_b32 s25, 0
	s_mov_b32 s27, 0
	s_mov_b32 s28, exec_lo
	s_delay_alu instid0(VALU_DEP_1)
	v_cmpx_gt_u32_e64 s12, v19
	s_cbranch_execz .LBB1569_114
; %bb.104:
	s_and_not1_b32 vcc_lo, exec_lo, s26
	s_mov_b32 s0, 0
	s_cbranch_vccnz .LBB1569_113
; %bb.105:
	v_mul_lo_u32 v23, v2, s14
	v_mul_lo_u32 v24, v1, s15
	v_mad_u64_u32 v[19:20], null, v1, s14, 0
	v_mul_lo_u32 v25, v4, s14
	v_mul_lo_u32 v26, v3, s15
	s_waitcnt lgkmcnt(0)
	v_mad_u64_u32 v[21:22], null, v3, s14, 0
	s_mov_b32 s0, -1
	s_mov_b32 s26, exec_lo
	s_delay_alu instid0(VALU_DEP_4) | instskip(NEXT) | instid1(VALU_DEP_2)
	v_add3_u32 v20, v20, v24, v23
	v_add3_u32 v22, v22, v26, v25
	s_delay_alu instid0(VALU_DEP_2) | instskip(NEXT) | instid1(VALU_DEP_2)
	v_lshlrev_b64 v[19:20], 2, v[19:20]
	v_lshlrev_b64 v[23:24], 2, v[21:22]
	s_delay_alu instid0(VALU_DEP_2) | instskip(NEXT) | instid1(VALU_DEP_3)
	v_add_co_u32 v21, vcc_lo, s16, v19
	v_add_co_ci_u32_e32 v22, vcc_lo, s17, v20, vcc_lo
	s_delay_alu instid0(VALU_DEP_3) | instskip(NEXT) | instid1(VALU_DEP_4)
	v_add_co_u32 v19, vcc_lo, s16, v23
	v_add_co_ci_u32_e32 v20, vcc_lo, s17, v24, vcc_lo
	s_clause 0x1
	global_load_b32 v23, v[21:22], off
	global_load_b32 v24, v[19:20], off
	s_waitcnt vmcnt(0)
	v_cmpx_eq_u32_e64 v23, v24
	s_cbranch_execz .LBB1569_112
; %bb.106:
	v_add_co_u32 v19, vcc_lo, v19, 4
	v_add_co_ci_u32_e32 v20, vcc_lo, 0, v20, vcc_lo
	v_add_co_u32 v21, vcc_lo, v21, 4
	v_add_co_ci_u32_e32 v22, vcc_lo, 0, v22, vcc_lo
	s_add_u32 s4, s14, -1
	s_addc_u32 s5, s15, -1
	s_mov_b64 s[6:7], 0
                                        ; implicit-def: $sgpr29
	s_set_inst_prefetch_distance 0x1
	s_branch .LBB1569_109
	.p2align	6
.LBB1569_107:                           ;   in Loop: Header=BB1569_109 Depth=1
	global_load_b32 v23, v[21:22], off
	global_load_b32 v24, v[19:20], off
	v_add_co_u32 v19, vcc_lo, v19, 4
	v_add_co_ci_u32_e32 v20, vcc_lo, 0, v20, vcc_lo
	v_add_co_u32 v21, s0, v21, 4
	s_delay_alu instid0(VALU_DEP_1)
	v_add_co_ci_u32_e64 v22, s0, 0, v22, s0
	s_add_u32 s6, s6, 1
	s_addc_u32 s7, s7, 0
	s_and_not1_b32 s0, s29, exec_lo
	s_waitcnt vmcnt(0)
	v_cmp_ne_u32_e32 vcc_lo, v23, v24
	s_and_b32 s29, vcc_lo, exec_lo
	s_delay_alu instid0(SALU_CYCLE_1)
	s_or_b32 s29, s0, s29
.LBB1569_108:                           ;   in Loop: Header=BB1569_109 Depth=1
	v_dual_mov_b32 v24, s7 :: v_dual_mov_b32 v23, s6
	s_and_b32 s0, exec_lo, s29
	s_delay_alu instid0(SALU_CYCLE_1) | instskip(NEXT) | instid1(SALU_CYCLE_1)
	s_or_b32 s27, s0, s27
	s_and_not1_b32 exec_lo, exec_lo, s27
	s_cbranch_execz .LBB1569_111
.LBB1569_109:                           ; =>This Inner Loop Header: Depth=1
	s_or_b32 s29, s29, exec_lo
	s_cmp_eq_u64 s[4:5], s[6:7]
	s_cbranch_scc0 .LBB1569_107
; %bb.110:                              ;   in Loop: Header=BB1569_109 Depth=1
	s_mov_b64 s[6:7], s[14:15]
                                        ; implicit-def: $vgpr19_vgpr20
                                        ; implicit-def: $vgpr21_vgpr22
	s_branch .LBB1569_108
.LBB1569_111:
	s_set_inst_prefetch_distance 0x2
	s_or_b32 exec_lo, exec_lo, s27
	v_cmp_gt_i64_e32 vcc_lo, s[14:15], v[23:24]
	s_or_not1_b32 s0, vcc_lo, exec_lo
.LBB1569_112:
	s_or_b32 exec_lo, exec_lo, s26
.LBB1569_113:
	s_delay_alu instid0(SALU_CYCLE_1)
	s_and_b32 s27, s0, exec_lo
.LBB1569_114:
	s_or_b32 exec_lo, exec_lo, s28
	v_or_b32_e32 v19, 6, v39
	s_mov_b32 s26, exec_lo
	s_delay_alu instid0(VALU_DEP_1)
	v_cmpx_gt_u32_e64 s12, v19
	s_cbranch_execz .LBB1569_125
; %bb.115:
	v_cmp_ne_u32_e32 vcc_lo, 1, v27
	s_mov_b32 s0, 0
	s_cbranch_vccnz .LBB1569_124
; %bb.116:
	v_mul_lo_u32 v23, v8, s14
	v_mul_lo_u32 v24, v7, s15
	v_mad_u64_u32 v[19:20], null, v7, s14, 0
	v_mul_lo_u32 v25, v2, s14
	v_mul_lo_u32 v26, v1, s15
	s_waitcnt lgkmcnt(0)
	v_mad_u64_u32 v[21:22], null, v1, s14, 0
	s_mov_b32 s0, -1
	s_mov_b32 s25, exec_lo
	s_delay_alu instid0(VALU_DEP_4) | instskip(NEXT) | instid1(VALU_DEP_2)
	v_add3_u32 v20, v20, v24, v23
	v_add3_u32 v22, v22, v26, v25
	s_delay_alu instid0(VALU_DEP_2) | instskip(NEXT) | instid1(VALU_DEP_2)
	v_lshlrev_b64 v[19:20], 2, v[19:20]
	v_lshlrev_b64 v[23:24], 2, v[21:22]
	s_delay_alu instid0(VALU_DEP_2) | instskip(NEXT) | instid1(VALU_DEP_3)
	v_add_co_u32 v21, vcc_lo, s16, v19
	v_add_co_ci_u32_e32 v22, vcc_lo, s17, v20, vcc_lo
	s_delay_alu instid0(VALU_DEP_3) | instskip(NEXT) | instid1(VALU_DEP_4)
	v_add_co_u32 v19, vcc_lo, s16, v23
	v_add_co_ci_u32_e32 v20, vcc_lo, s17, v24, vcc_lo
	s_clause 0x1
	global_load_b32 v23, v[21:22], off
	global_load_b32 v24, v[19:20], off
	s_waitcnt vmcnt(0)
	v_cmpx_eq_u32_e64 v23, v24
	s_cbranch_execz .LBB1569_123
; %bb.117:
	v_add_co_u32 v19, vcc_lo, v19, 4
	v_add_co_ci_u32_e32 v20, vcc_lo, 0, v20, vcc_lo
	v_add_co_u32 v21, vcc_lo, v21, 4
	v_add_co_ci_u32_e32 v22, vcc_lo, 0, v22, vcc_lo
	s_add_u32 s4, s14, -1
	s_addc_u32 s5, s15, -1
	s_mov_b64 s[6:7], 0
	s_mov_b32 s28, 0
                                        ; implicit-def: $sgpr29
	s_set_inst_prefetch_distance 0x1
	s_branch .LBB1569_120
	.p2align	6
.LBB1569_118:                           ;   in Loop: Header=BB1569_120 Depth=1
	global_load_b32 v23, v[21:22], off
	global_load_b32 v24, v[19:20], off
	v_add_co_u32 v19, vcc_lo, v19, 4
	v_add_co_ci_u32_e32 v20, vcc_lo, 0, v20, vcc_lo
	v_add_co_u32 v21, s0, v21, 4
	s_delay_alu instid0(VALU_DEP_1)
	v_add_co_ci_u32_e64 v22, s0, 0, v22, s0
	s_add_u32 s6, s6, 1
	s_addc_u32 s7, s7, 0
	s_and_not1_b32 s0, s29, exec_lo
	s_waitcnt vmcnt(0)
	v_cmp_ne_u32_e32 vcc_lo, v23, v24
	s_and_b32 s29, vcc_lo, exec_lo
	s_delay_alu instid0(SALU_CYCLE_1)
	s_or_b32 s29, s0, s29
.LBB1569_119:                           ;   in Loop: Header=BB1569_120 Depth=1
	v_dual_mov_b32 v24, s7 :: v_dual_mov_b32 v23, s6
	s_and_b32 s0, exec_lo, s29
	s_delay_alu instid0(SALU_CYCLE_1) | instskip(NEXT) | instid1(SALU_CYCLE_1)
	s_or_b32 s28, s0, s28
	s_and_not1_b32 exec_lo, exec_lo, s28
	s_cbranch_execz .LBB1569_122
.LBB1569_120:                           ; =>This Inner Loop Header: Depth=1
	s_or_b32 s29, s29, exec_lo
	s_cmp_eq_u64 s[4:5], s[6:7]
	s_cbranch_scc0 .LBB1569_118
; %bb.121:                              ;   in Loop: Header=BB1569_120 Depth=1
	s_mov_b64 s[6:7], s[14:15]
                                        ; implicit-def: $vgpr19_vgpr20
                                        ; implicit-def: $vgpr21_vgpr22
	s_branch .LBB1569_119
.LBB1569_122:
	s_set_inst_prefetch_distance 0x2
	s_or_b32 exec_lo, exec_lo, s28
	v_cmp_gt_i64_e32 vcc_lo, s[14:15], v[23:24]
	s_or_not1_b32 s0, vcc_lo, exec_lo
.LBB1569_123:
	s_or_b32 exec_lo, exec_lo, s25
.LBB1569_124:
	s_delay_alu instid0(SALU_CYCLE_1)
	s_and_b32 s25, s0, exec_lo
.LBB1569_125:
	s_or_b32 exec_lo, exec_lo, s26
	v_or_b32_e32 v19, 5, v39
	s_mov_b32 s28, 0
	s_mov_b32 s26, 0
	s_mov_b32 s29, exec_lo
	s_delay_alu instid0(VALU_DEP_1)
	v_cmpx_gt_u32_e64 s12, v19
	s_cbranch_execz .LBB1569_136
; %bb.126:
	v_cmp_ne_u32_e32 vcc_lo, 1, v27
	s_mov_b32 s0, 0
	s_cbranch_vccnz .LBB1569_135
; %bb.127:
	v_mul_lo_u32 v23, v6, s14
	v_mul_lo_u32 v24, v5, s15
	v_mad_u64_u32 v[19:20], null, v5, s14, 0
	v_mul_lo_u32 v25, v8, s14
	v_mul_lo_u32 v26, v7, s15
	s_waitcnt lgkmcnt(0)
	v_mad_u64_u32 v[21:22], null, v7, s14, 0
	s_mov_b32 s0, -1
	s_mov_b32 s26, exec_lo
	s_delay_alu instid0(VALU_DEP_4) | instskip(NEXT) | instid1(VALU_DEP_2)
	v_add3_u32 v20, v20, v24, v23
	v_add3_u32 v22, v22, v26, v25
	s_delay_alu instid0(VALU_DEP_2) | instskip(NEXT) | instid1(VALU_DEP_2)
	v_lshlrev_b64 v[19:20], 2, v[19:20]
	v_lshlrev_b64 v[23:24], 2, v[21:22]
	s_delay_alu instid0(VALU_DEP_2) | instskip(NEXT) | instid1(VALU_DEP_3)
	v_add_co_u32 v21, vcc_lo, s16, v19
	v_add_co_ci_u32_e32 v22, vcc_lo, s17, v20, vcc_lo
	s_delay_alu instid0(VALU_DEP_3) | instskip(NEXT) | instid1(VALU_DEP_4)
	v_add_co_u32 v19, vcc_lo, s16, v23
	v_add_co_ci_u32_e32 v20, vcc_lo, s17, v24, vcc_lo
	s_clause 0x1
	global_load_b32 v23, v[21:22], off
	global_load_b32 v24, v[19:20], off
	s_waitcnt vmcnt(0)
	v_cmpx_eq_u32_e64 v23, v24
	s_cbranch_execz .LBB1569_134
; %bb.128:
	v_add_co_u32 v19, vcc_lo, v19, 4
	v_add_co_ci_u32_e32 v20, vcc_lo, 0, v20, vcc_lo
	v_add_co_u32 v21, vcc_lo, v21, 4
	v_add_co_ci_u32_e32 v22, vcc_lo, 0, v22, vcc_lo
	s_add_u32 s4, s14, -1
	s_addc_u32 s5, s15, -1
	s_mov_b64 s[6:7], 0
	s_mov_b32 s30, 0
                                        ; implicit-def: $sgpr31
	s_set_inst_prefetch_distance 0x1
	s_branch .LBB1569_131
	.p2align	6
.LBB1569_129:                           ;   in Loop: Header=BB1569_131 Depth=1
	global_load_b32 v23, v[21:22], off
	global_load_b32 v24, v[19:20], off
	v_add_co_u32 v19, vcc_lo, v19, 4
	v_add_co_ci_u32_e32 v20, vcc_lo, 0, v20, vcc_lo
	v_add_co_u32 v21, s0, v21, 4
	s_delay_alu instid0(VALU_DEP_1)
	v_add_co_ci_u32_e64 v22, s0, 0, v22, s0
	s_add_u32 s6, s6, 1
	s_addc_u32 s7, s7, 0
	s_and_not1_b32 s0, s31, exec_lo
	s_waitcnt vmcnt(0)
	v_cmp_ne_u32_e32 vcc_lo, v23, v24
	s_and_b32 s31, vcc_lo, exec_lo
	s_delay_alu instid0(SALU_CYCLE_1)
	s_or_b32 s31, s0, s31
.LBB1569_130:                           ;   in Loop: Header=BB1569_131 Depth=1
	v_dual_mov_b32 v24, s7 :: v_dual_mov_b32 v23, s6
	s_and_b32 s0, exec_lo, s31
	s_delay_alu instid0(SALU_CYCLE_1) | instskip(NEXT) | instid1(SALU_CYCLE_1)
	s_or_b32 s30, s0, s30
	s_and_not1_b32 exec_lo, exec_lo, s30
	s_cbranch_execz .LBB1569_133
.LBB1569_131:                           ; =>This Inner Loop Header: Depth=1
	s_or_b32 s31, s31, exec_lo
	s_cmp_eq_u64 s[4:5], s[6:7]
	s_cbranch_scc0 .LBB1569_129
; %bb.132:                              ;   in Loop: Header=BB1569_131 Depth=1
	s_mov_b64 s[6:7], s[14:15]
                                        ; implicit-def: $vgpr19_vgpr20
                                        ; implicit-def: $vgpr21_vgpr22
	s_branch .LBB1569_130
.LBB1569_133:
	s_set_inst_prefetch_distance 0x2
	s_or_b32 exec_lo, exec_lo, s30
	v_cmp_gt_i64_e32 vcc_lo, s[14:15], v[23:24]
	s_or_not1_b32 s0, vcc_lo, exec_lo
.LBB1569_134:
	s_or_b32 exec_lo, exec_lo, s26
.LBB1569_135:
	s_delay_alu instid0(SALU_CYCLE_1)
	s_and_b32 s26, s0, exec_lo
.LBB1569_136:
	s_or_b32 exec_lo, exec_lo, s29
	v_or_b32_e32 v19, 4, v39
	s_mov_b32 s29, exec_lo
	s_delay_alu instid0(VALU_DEP_1)
	v_cmpx_gt_u32_e64 s12, v19
	s_cbranch_execz .LBB1569_147
; %bb.137:
	v_cmp_ne_u32_e32 vcc_lo, 1, v27
	s_mov_b32 s0, 0
	s_cbranch_vccnz .LBB1569_146
; %bb.138:
	v_mul_lo_u32 v23, v12, s14
	v_mul_lo_u32 v24, v11, s15
	v_mad_u64_u32 v[19:20], null, v11, s14, 0
	v_mul_lo_u32 v25, v6, s14
	v_mul_lo_u32 v26, v5, s15
	s_waitcnt lgkmcnt(0)
	v_mad_u64_u32 v[21:22], null, v5, s14, 0
	s_mov_b32 s0, -1
	s_mov_b32 s28, exec_lo
	s_delay_alu instid0(VALU_DEP_4) | instskip(NEXT) | instid1(VALU_DEP_2)
	v_add3_u32 v20, v20, v24, v23
	v_add3_u32 v22, v22, v26, v25
	s_delay_alu instid0(VALU_DEP_2) | instskip(NEXT) | instid1(VALU_DEP_2)
	v_lshlrev_b64 v[19:20], 2, v[19:20]
	v_lshlrev_b64 v[23:24], 2, v[21:22]
	s_delay_alu instid0(VALU_DEP_2) | instskip(NEXT) | instid1(VALU_DEP_3)
	v_add_co_u32 v21, vcc_lo, s16, v19
	v_add_co_ci_u32_e32 v22, vcc_lo, s17, v20, vcc_lo
	s_delay_alu instid0(VALU_DEP_3) | instskip(NEXT) | instid1(VALU_DEP_4)
	v_add_co_u32 v19, vcc_lo, s16, v23
	v_add_co_ci_u32_e32 v20, vcc_lo, s17, v24, vcc_lo
	s_clause 0x1
	global_load_b32 v23, v[21:22], off
	global_load_b32 v24, v[19:20], off
	s_waitcnt vmcnt(0)
	v_cmpx_eq_u32_e64 v23, v24
	s_cbranch_execz .LBB1569_145
; %bb.139:
	v_add_co_u32 v19, vcc_lo, v19, 4
	v_add_co_ci_u32_e32 v20, vcc_lo, 0, v20, vcc_lo
	v_add_co_u32 v21, vcc_lo, v21, 4
	v_add_co_ci_u32_e32 v22, vcc_lo, 0, v22, vcc_lo
	s_add_u32 s4, s14, -1
	s_addc_u32 s5, s15, -1
	s_mov_b64 s[6:7], 0
	s_mov_b32 s30, 0
                                        ; implicit-def: $sgpr31
	s_set_inst_prefetch_distance 0x1
	s_branch .LBB1569_142
	.p2align	6
.LBB1569_140:                           ;   in Loop: Header=BB1569_142 Depth=1
	global_load_b32 v23, v[21:22], off
	global_load_b32 v24, v[19:20], off
	v_add_co_u32 v19, vcc_lo, v19, 4
	v_add_co_ci_u32_e32 v20, vcc_lo, 0, v20, vcc_lo
	v_add_co_u32 v21, s0, v21, 4
	s_delay_alu instid0(VALU_DEP_1)
	v_add_co_ci_u32_e64 v22, s0, 0, v22, s0
	s_add_u32 s6, s6, 1
	s_addc_u32 s7, s7, 0
	s_and_not1_b32 s0, s31, exec_lo
	s_waitcnt vmcnt(0)
	v_cmp_ne_u32_e32 vcc_lo, v23, v24
	s_and_b32 s31, vcc_lo, exec_lo
	s_delay_alu instid0(SALU_CYCLE_1)
	s_or_b32 s31, s0, s31
.LBB1569_141:                           ;   in Loop: Header=BB1569_142 Depth=1
	v_dual_mov_b32 v24, s7 :: v_dual_mov_b32 v23, s6
	s_and_b32 s0, exec_lo, s31
	s_delay_alu instid0(SALU_CYCLE_1) | instskip(NEXT) | instid1(SALU_CYCLE_1)
	s_or_b32 s30, s0, s30
	s_and_not1_b32 exec_lo, exec_lo, s30
	s_cbranch_execz .LBB1569_144
.LBB1569_142:                           ; =>This Inner Loop Header: Depth=1
	s_or_b32 s31, s31, exec_lo
	s_cmp_eq_u64 s[4:5], s[6:7]
	s_cbranch_scc0 .LBB1569_140
; %bb.143:                              ;   in Loop: Header=BB1569_142 Depth=1
	s_mov_b64 s[6:7], s[14:15]
                                        ; implicit-def: $vgpr19_vgpr20
                                        ; implicit-def: $vgpr21_vgpr22
	s_branch .LBB1569_141
.LBB1569_144:
	s_set_inst_prefetch_distance 0x2
	s_or_b32 exec_lo, exec_lo, s30
	v_cmp_gt_i64_e32 vcc_lo, s[14:15], v[23:24]
	s_or_not1_b32 s0, vcc_lo, exec_lo
.LBB1569_145:
	s_or_b32 exec_lo, exec_lo, s28
.LBB1569_146:
	s_delay_alu instid0(SALU_CYCLE_1)
	s_and_b32 s28, s0, exec_lo
.LBB1569_147:
	s_or_b32 exec_lo, exec_lo, s29
	v_or_b32_e32 v19, 3, v39
	s_mov_b32 s30, 0
	s_mov_b32 s29, 0
	s_mov_b32 s31, exec_lo
	s_delay_alu instid0(VALU_DEP_1)
	v_cmpx_gt_u32_e64 s12, v19
	s_cbranch_execz .LBB1569_158
; %bb.148:
	v_cmp_ne_u32_e32 vcc_lo, 1, v27
	s_mov_b32 s0, 0
	s_cbranch_vccnz .LBB1569_157
; %bb.149:
	v_mul_lo_u32 v23, v10, s14
	v_mul_lo_u32 v24, v9, s15
	v_mad_u64_u32 v[19:20], null, v9, s14, 0
	v_mul_lo_u32 v25, v12, s14
	v_mul_lo_u32 v26, v11, s15
	s_waitcnt lgkmcnt(0)
	v_mad_u64_u32 v[21:22], null, v11, s14, 0
	s_mov_b32 s0, -1
	s_mov_b32 s29, exec_lo
	s_delay_alu instid0(VALU_DEP_4) | instskip(NEXT) | instid1(VALU_DEP_2)
	v_add3_u32 v20, v20, v24, v23
	v_add3_u32 v22, v22, v26, v25
	s_delay_alu instid0(VALU_DEP_2) | instskip(NEXT) | instid1(VALU_DEP_2)
	v_lshlrev_b64 v[19:20], 2, v[19:20]
	v_lshlrev_b64 v[23:24], 2, v[21:22]
	s_delay_alu instid0(VALU_DEP_2) | instskip(NEXT) | instid1(VALU_DEP_3)
	v_add_co_u32 v21, vcc_lo, s16, v19
	v_add_co_ci_u32_e32 v22, vcc_lo, s17, v20, vcc_lo
	s_delay_alu instid0(VALU_DEP_3) | instskip(NEXT) | instid1(VALU_DEP_4)
	v_add_co_u32 v19, vcc_lo, s16, v23
	v_add_co_ci_u32_e32 v20, vcc_lo, s17, v24, vcc_lo
	s_clause 0x1
	global_load_b32 v23, v[21:22], off
	global_load_b32 v24, v[19:20], off
	s_waitcnt vmcnt(0)
	v_cmpx_eq_u32_e64 v23, v24
	s_cbranch_execz .LBB1569_156
; %bb.150:
	v_add_co_u32 v19, vcc_lo, v19, 4
	v_add_co_ci_u32_e32 v20, vcc_lo, 0, v20, vcc_lo
	v_add_co_u32 v21, vcc_lo, v21, 4
	v_add_co_ci_u32_e32 v22, vcc_lo, 0, v22, vcc_lo
	s_add_u32 s4, s14, -1
	s_addc_u32 s5, s15, -1
	s_mov_b64 s[6:7], 0
	s_mov_b32 s33, 0
                                        ; implicit-def: $sgpr34
	s_set_inst_prefetch_distance 0x1
	s_branch .LBB1569_153
	.p2align	6
.LBB1569_151:                           ;   in Loop: Header=BB1569_153 Depth=1
	global_load_b32 v23, v[21:22], off
	global_load_b32 v24, v[19:20], off
	v_add_co_u32 v19, vcc_lo, v19, 4
	v_add_co_ci_u32_e32 v20, vcc_lo, 0, v20, vcc_lo
	v_add_co_u32 v21, s0, v21, 4
	s_delay_alu instid0(VALU_DEP_1)
	v_add_co_ci_u32_e64 v22, s0, 0, v22, s0
	s_add_u32 s6, s6, 1
	s_addc_u32 s7, s7, 0
	s_and_not1_b32 s0, s34, exec_lo
	s_waitcnt vmcnt(0)
	v_cmp_ne_u32_e32 vcc_lo, v23, v24
	s_and_b32 s34, vcc_lo, exec_lo
	s_delay_alu instid0(SALU_CYCLE_1)
	s_or_b32 s34, s0, s34
.LBB1569_152:                           ;   in Loop: Header=BB1569_153 Depth=1
	v_dual_mov_b32 v24, s7 :: v_dual_mov_b32 v23, s6
	s_and_b32 s0, exec_lo, s34
	s_delay_alu instid0(SALU_CYCLE_1) | instskip(NEXT) | instid1(SALU_CYCLE_1)
	s_or_b32 s33, s0, s33
	s_and_not1_b32 exec_lo, exec_lo, s33
	s_cbranch_execz .LBB1569_155
.LBB1569_153:                           ; =>This Inner Loop Header: Depth=1
	s_or_b32 s34, s34, exec_lo
	s_cmp_eq_u64 s[4:5], s[6:7]
	s_cbranch_scc0 .LBB1569_151
; %bb.154:                              ;   in Loop: Header=BB1569_153 Depth=1
	s_mov_b64 s[6:7], s[14:15]
                                        ; implicit-def: $vgpr19_vgpr20
                                        ; implicit-def: $vgpr21_vgpr22
	s_branch .LBB1569_152
.LBB1569_155:
	s_set_inst_prefetch_distance 0x2
	s_or_b32 exec_lo, exec_lo, s33
	v_cmp_gt_i64_e32 vcc_lo, s[14:15], v[23:24]
	s_or_not1_b32 s0, vcc_lo, exec_lo
.LBB1569_156:
	s_or_b32 exec_lo, exec_lo, s29
.LBB1569_157:
	s_delay_alu instid0(SALU_CYCLE_1)
	s_and_b32 s29, s0, exec_lo
.LBB1569_158:
	s_or_b32 exec_lo, exec_lo, s31
	v_or_b32_e32 v19, 2, v39
	s_mov_b32 s31, exec_lo
	s_delay_alu instid0(VALU_DEP_1)
	v_cmpx_gt_u32_e64 s12, v19
	s_cbranch_execz .LBB1569_169
; %bb.159:
	v_cmp_ne_u32_e32 vcc_lo, 1, v27
	s_mov_b32 s0, 0
	s_cbranch_vccnz .LBB1569_168
; %bb.160:
	v_mul_lo_u32 v23, v16, s14
	v_mul_lo_u32 v24, v15, s15
	v_mad_u64_u32 v[19:20], null, v15, s14, 0
	v_mul_lo_u32 v25, v10, s14
	v_mul_lo_u32 v26, v9, s15
	s_waitcnt lgkmcnt(0)
	v_mad_u64_u32 v[21:22], null, v9, s14, 0
	s_mov_b32 s0, -1
	s_mov_b32 s30, exec_lo
	s_delay_alu instid0(VALU_DEP_4) | instskip(NEXT) | instid1(VALU_DEP_2)
	v_add3_u32 v20, v20, v24, v23
	v_add3_u32 v22, v22, v26, v25
	s_delay_alu instid0(VALU_DEP_2) | instskip(NEXT) | instid1(VALU_DEP_2)
	v_lshlrev_b64 v[19:20], 2, v[19:20]
	v_lshlrev_b64 v[23:24], 2, v[21:22]
	s_delay_alu instid0(VALU_DEP_2) | instskip(NEXT) | instid1(VALU_DEP_3)
	v_add_co_u32 v21, vcc_lo, s16, v19
	v_add_co_ci_u32_e32 v22, vcc_lo, s17, v20, vcc_lo
	s_delay_alu instid0(VALU_DEP_3) | instskip(NEXT) | instid1(VALU_DEP_4)
	v_add_co_u32 v19, vcc_lo, s16, v23
	v_add_co_ci_u32_e32 v20, vcc_lo, s17, v24, vcc_lo
	s_clause 0x1
	global_load_b32 v23, v[21:22], off
	global_load_b32 v24, v[19:20], off
	s_waitcnt vmcnt(0)
	v_cmpx_eq_u32_e64 v23, v24
	s_cbranch_execz .LBB1569_167
; %bb.161:
	v_add_co_u32 v19, vcc_lo, v19, 4
	v_add_co_ci_u32_e32 v20, vcc_lo, 0, v20, vcc_lo
	v_add_co_u32 v21, vcc_lo, v21, 4
	v_add_co_ci_u32_e32 v22, vcc_lo, 0, v22, vcc_lo
	s_add_u32 s4, s14, -1
	s_addc_u32 s5, s15, -1
	s_mov_b64 s[6:7], 0
	s_mov_b32 s33, 0
                                        ; implicit-def: $sgpr34
	s_set_inst_prefetch_distance 0x1
	s_branch .LBB1569_164
	.p2align	6
.LBB1569_162:                           ;   in Loop: Header=BB1569_164 Depth=1
	global_load_b32 v23, v[21:22], off
	global_load_b32 v24, v[19:20], off
	v_add_co_u32 v19, vcc_lo, v19, 4
	v_add_co_ci_u32_e32 v20, vcc_lo, 0, v20, vcc_lo
	v_add_co_u32 v21, s0, v21, 4
	s_delay_alu instid0(VALU_DEP_1)
	v_add_co_ci_u32_e64 v22, s0, 0, v22, s0
	s_add_u32 s6, s6, 1
	s_addc_u32 s7, s7, 0
	s_and_not1_b32 s0, s34, exec_lo
	s_waitcnt vmcnt(0)
	v_cmp_ne_u32_e32 vcc_lo, v23, v24
	s_and_b32 s34, vcc_lo, exec_lo
	s_delay_alu instid0(SALU_CYCLE_1)
	s_or_b32 s34, s0, s34
.LBB1569_163:                           ;   in Loop: Header=BB1569_164 Depth=1
	v_dual_mov_b32 v24, s7 :: v_dual_mov_b32 v23, s6
	s_and_b32 s0, exec_lo, s34
	s_delay_alu instid0(SALU_CYCLE_1) | instskip(NEXT) | instid1(SALU_CYCLE_1)
	s_or_b32 s33, s0, s33
	s_and_not1_b32 exec_lo, exec_lo, s33
	s_cbranch_execz .LBB1569_166
.LBB1569_164:                           ; =>This Inner Loop Header: Depth=1
	s_or_b32 s34, s34, exec_lo
	s_cmp_eq_u64 s[4:5], s[6:7]
	s_cbranch_scc0 .LBB1569_162
; %bb.165:                              ;   in Loop: Header=BB1569_164 Depth=1
	s_mov_b64 s[6:7], s[14:15]
                                        ; implicit-def: $vgpr19_vgpr20
                                        ; implicit-def: $vgpr21_vgpr22
	s_branch .LBB1569_163
.LBB1569_166:
	s_set_inst_prefetch_distance 0x2
	s_or_b32 exec_lo, exec_lo, s33
	v_cmp_gt_i64_e32 vcc_lo, s[14:15], v[23:24]
	s_or_not1_b32 s0, vcc_lo, exec_lo
.LBB1569_167:
	s_or_b32 exec_lo, exec_lo, s30
.LBB1569_168:
	s_delay_alu instid0(SALU_CYCLE_1)
	s_and_b32 s30, s0, exec_lo
.LBB1569_169:
	s_or_b32 exec_lo, exec_lo, s31
	v_or_b32_e32 v19, 1, v39
	s_mov_b32 s0, 0
	s_mov_b32 s31, exec_lo
	s_delay_alu instid0(VALU_DEP_1)
	v_cmpx_gt_u32_e64 s12, v19
	s_cbranch_execz .LBB1569_180
; %bb.170:
	v_cmp_ne_u32_e32 vcc_lo, 1, v27
	s_cbranch_vccnz .LBB1569_179
; %bb.171:
	v_mul_lo_u32 v23, v14, s14
	v_mul_lo_u32 v24, v13, s15
	v_mad_u64_u32 v[19:20], null, v13, s14, 0
	v_mul_lo_u32 v25, v16, s14
	v_mul_lo_u32 v26, v15, s15
	s_waitcnt lgkmcnt(0)
	v_mad_u64_u32 v[21:22], null, v15, s14, 0
	s_mov_b32 s0, -1
	s_mov_b32 s33, exec_lo
	s_delay_alu instid0(VALU_DEP_4) | instskip(NEXT) | instid1(VALU_DEP_2)
	v_add3_u32 v20, v20, v24, v23
	v_add3_u32 v22, v22, v26, v25
	s_delay_alu instid0(VALU_DEP_2) | instskip(NEXT) | instid1(VALU_DEP_2)
	v_lshlrev_b64 v[19:20], 2, v[19:20]
	v_lshlrev_b64 v[23:24], 2, v[21:22]
	s_delay_alu instid0(VALU_DEP_2) | instskip(NEXT) | instid1(VALU_DEP_3)
	v_add_co_u32 v21, vcc_lo, s16, v19
	v_add_co_ci_u32_e32 v22, vcc_lo, s17, v20, vcc_lo
	s_delay_alu instid0(VALU_DEP_3) | instskip(NEXT) | instid1(VALU_DEP_4)
	v_add_co_u32 v19, vcc_lo, s16, v23
	v_add_co_ci_u32_e32 v20, vcc_lo, s17, v24, vcc_lo
	s_clause 0x1
	global_load_b32 v23, v[21:22], off
	global_load_b32 v24, v[19:20], off
	s_waitcnt vmcnt(0)
	v_cmpx_eq_u32_e64 v23, v24
	s_cbranch_execz .LBB1569_178
; %bb.172:
	v_add_co_u32 v19, vcc_lo, v19, 4
	v_add_co_ci_u32_e32 v20, vcc_lo, 0, v20, vcc_lo
	v_add_co_u32 v21, vcc_lo, v21, 4
	v_add_co_ci_u32_e32 v22, vcc_lo, 0, v22, vcc_lo
	s_add_u32 s4, s14, -1
	s_addc_u32 s5, s15, -1
	s_mov_b64 s[6:7], 0
	s_mov_b32 s34, 0
                                        ; implicit-def: $sgpr35
	s_set_inst_prefetch_distance 0x1
	s_branch .LBB1569_175
	.p2align	6
.LBB1569_173:                           ;   in Loop: Header=BB1569_175 Depth=1
	global_load_b32 v23, v[21:22], off
	global_load_b32 v24, v[19:20], off
	v_add_co_u32 v19, vcc_lo, v19, 4
	v_add_co_ci_u32_e32 v20, vcc_lo, 0, v20, vcc_lo
	v_add_co_u32 v21, s0, v21, 4
	s_delay_alu instid0(VALU_DEP_1)
	v_add_co_ci_u32_e64 v22, s0, 0, v22, s0
	s_add_u32 s6, s6, 1
	s_addc_u32 s7, s7, 0
	s_and_not1_b32 s0, s35, exec_lo
	s_waitcnt vmcnt(0)
	v_cmp_ne_u32_e32 vcc_lo, v23, v24
	s_and_b32 s35, vcc_lo, exec_lo
	s_delay_alu instid0(SALU_CYCLE_1)
	s_or_b32 s35, s0, s35
.LBB1569_174:                           ;   in Loop: Header=BB1569_175 Depth=1
	v_dual_mov_b32 v24, s7 :: v_dual_mov_b32 v23, s6
	s_and_b32 s0, exec_lo, s35
	s_delay_alu instid0(SALU_CYCLE_1) | instskip(NEXT) | instid1(SALU_CYCLE_1)
	s_or_b32 s34, s0, s34
	s_and_not1_b32 exec_lo, exec_lo, s34
	s_cbranch_execz .LBB1569_177
.LBB1569_175:                           ; =>This Inner Loop Header: Depth=1
	s_or_b32 s35, s35, exec_lo
	s_cmp_eq_u64 s[4:5], s[6:7]
	s_cbranch_scc0 .LBB1569_173
; %bb.176:                              ;   in Loop: Header=BB1569_175 Depth=1
	s_mov_b64 s[6:7], s[14:15]
                                        ; implicit-def: $vgpr19_vgpr20
                                        ; implicit-def: $vgpr21_vgpr22
	s_branch .LBB1569_174
.LBB1569_177:
	s_set_inst_prefetch_distance 0x2
	s_or_b32 exec_lo, exec_lo, s34
	v_cmp_gt_i64_e32 vcc_lo, s[14:15], v[23:24]
	s_or_not1_b32 s0, vcc_lo, exec_lo
.LBB1569_178:
	s_or_b32 exec_lo, exec_lo, s33
.LBB1569_179:
	s_delay_alu instid0(SALU_CYCLE_1)
	s_and_b32 s0, s0, exec_lo
.LBB1569_180:
	s_or_b32 exec_lo, exec_lo, s31
	s_waitcnt vmcnt(0) lgkmcnt(0)
	s_barrier
	buffer_gl0_inv
	s_and_saveexec_b32 s4, s3
	s_cbranch_execz .LBB1569_182
; %bb.181:
	v_add_nc_u32_e32 v17, -8, v39
	ds_load_b64 v[17:18], v17
.LBB1569_182:
	s_or_b32 exec_lo, exec_lo, s4
	v_cndmask_b32_e64 v20, 0, 1, s29
	v_cndmask_b32_e64 v22, 0, 1, s26
	;; [unrolled: 1-line block ×7, first 2 shown]
	v_lshlrev_b16 v20, 8, v20
	v_lshlrev_b16 v22, 8, v22
	;; [unrolled: 1-line block ×3, first 2 shown]
	s_mov_b32 s0, 0
	v_lshlrev_b16 v25, 8, v25
	v_or_b32_e32 v19, v19, v20
	v_or_b32_e32 v20, v21, v22
	;; [unrolled: 1-line block ×3, first 2 shown]
	s_mov_b32 s25, exec_lo
	v_and_b32_e32 v23, 0xffff, v25
	v_lshlrev_b32_e32 v24, 16, v19
	v_and_b32_e32 v25, 0xffff, v20
	v_lshlrev_b32_e32 v26, 16, v21
	v_cmpx_gt_u32_e64 s12, v39
	s_cbranch_execz .LBB1569_193
; %bb.183:
	v_cmp_ne_u32_e32 vcc_lo, 1, v27
	s_cbranch_vccnz .LBB1569_192
; %bb.184:
	s_waitcnt lgkmcnt(0)
	v_mul_lo_u32 v22, v18, s14
	v_mul_lo_u32 v27, v17, s15
	v_mad_u64_u32 v[18:19], null, v17, s14, 0
	v_mul_lo_u32 v17, v14, s14
	v_mul_lo_u32 v28, v13, s15
	v_mad_u64_u32 v[20:21], null, v13, s14, 0
	s_mov_b32 s0, -1
	s_mov_b32 s26, exec_lo
	s_delay_alu instid0(VALU_DEP_4) | instskip(NEXT) | instid1(VALU_DEP_2)
	v_add3_u32 v19, v19, v27, v22
	v_add3_u32 v21, v21, v28, v17
	s_delay_alu instid0(VALU_DEP_2) | instskip(NEXT) | instid1(VALU_DEP_2)
	v_lshlrev_b64 v[17:18], 2, v[18:19]
	v_lshlrev_b64 v[21:22], 2, v[20:21]
	s_delay_alu instid0(VALU_DEP_2) | instskip(NEXT) | instid1(VALU_DEP_3)
	v_add_co_u32 v19, vcc_lo, s16, v17
	v_add_co_ci_u32_e32 v20, vcc_lo, s17, v18, vcc_lo
	s_delay_alu instid0(VALU_DEP_3) | instskip(NEXT) | instid1(VALU_DEP_4)
	v_add_co_u32 v17, vcc_lo, s16, v21
	v_add_co_ci_u32_e32 v18, vcc_lo, s17, v22, vcc_lo
	s_clause 0x1
	global_load_b32 v21, v[19:20], off
	global_load_b32 v22, v[17:18], off
	s_waitcnt vmcnt(0)
	v_cmpx_eq_u32_e64 v21, v22
	s_cbranch_execz .LBB1569_191
; %bb.185:
	v_add_co_u32 v17, vcc_lo, v17, 4
	v_add_co_ci_u32_e32 v18, vcc_lo, 0, v18, vcc_lo
	v_add_co_u32 v19, vcc_lo, v19, 4
	v_add_co_ci_u32_e32 v20, vcc_lo, 0, v20, vcc_lo
	s_add_u32 s4, s14, -1
	s_addc_u32 s5, s15, -1
	s_mov_b64 s[6:7], 0
	s_mov_b32 s27, 0
                                        ; implicit-def: $sgpr28
	s_set_inst_prefetch_distance 0x1
	s_branch .LBB1569_188
	.p2align	6
.LBB1569_186:                           ;   in Loop: Header=BB1569_188 Depth=1
	global_load_b32 v21, v[19:20], off
	global_load_b32 v22, v[17:18], off
	v_add_co_u32 v17, vcc_lo, v17, 4
	v_add_co_ci_u32_e32 v18, vcc_lo, 0, v18, vcc_lo
	v_add_co_u32 v19, s0, v19, 4
	s_delay_alu instid0(VALU_DEP_1)
	v_add_co_ci_u32_e64 v20, s0, 0, v20, s0
	s_add_u32 s6, s6, 1
	s_addc_u32 s7, s7, 0
	s_and_not1_b32 s0, s28, exec_lo
	s_waitcnt vmcnt(0)
	v_cmp_ne_u32_e32 vcc_lo, v21, v22
	s_and_b32 s28, vcc_lo, exec_lo
	s_delay_alu instid0(SALU_CYCLE_1)
	s_or_b32 s28, s0, s28
.LBB1569_187:                           ;   in Loop: Header=BB1569_188 Depth=1
	v_dual_mov_b32 v22, s7 :: v_dual_mov_b32 v21, s6
	s_and_b32 s0, exec_lo, s28
	s_delay_alu instid0(SALU_CYCLE_1) | instskip(NEXT) | instid1(SALU_CYCLE_1)
	s_or_b32 s27, s0, s27
	s_and_not1_b32 exec_lo, exec_lo, s27
	s_cbranch_execz .LBB1569_190
.LBB1569_188:                           ; =>This Inner Loop Header: Depth=1
	s_or_b32 s28, s28, exec_lo
	s_cmp_eq_u64 s[4:5], s[6:7]
	s_cbranch_scc0 .LBB1569_186
; %bb.189:                              ;   in Loop: Header=BB1569_188 Depth=1
	s_mov_b64 s[6:7], s[14:15]
                                        ; implicit-def: $vgpr17_vgpr18
                                        ; implicit-def: $vgpr19_vgpr20
	s_branch .LBB1569_187
.LBB1569_190:
	s_set_inst_prefetch_distance 0x2
	s_or_b32 exec_lo, exec_lo, s27
	v_cmp_gt_i64_e32 vcc_lo, s[14:15], v[21:22]
	s_or_not1_b32 s0, vcc_lo, exec_lo
.LBB1569_191:
	s_or_b32 exec_lo, exec_lo, s26
.LBB1569_192:
	s_delay_alu instid0(SALU_CYCLE_1)
	s_and_b32 s0, s0, exec_lo
.LBB1569_193:
	s_or_b32 exec_lo, exec_lo, s25
	v_or_b32_e32 v19, v23, v24
	v_or_b32_e32 v20, v25, v26
.LBB1569_194:
	s_mov_b32 s25, -1
	s_cbranch_execnz .LBB1569_363
.LBB1569_195:
	v_cmp_gt_i64_e64 s26, s[14:15], 0
	s_and_b32 vcc_lo, exec_lo, s22
	ds_store_b64 v39, v[3:4]
	s_cbranch_vccz .LBB1569_203
; %bb.196:
	v_mul_lo_u32 v19, v2, s14
	v_mul_lo_u32 v20, v1, s15
	s_waitcnt vmcnt(0) lgkmcnt(1)
	v_mad_u64_u32 v[17:18], null, v1, s14, 0
	s_mov_b32 s27, 0
	s_and_not1_b32 vcc_lo, exec_lo, s26
	s_mov_b32 s28, 0
	s_delay_alu instid0(VALU_DEP_1) | instskip(NEXT) | instid1(VALU_DEP_1)
	v_add3_u32 v18, v18, v20, v19
	v_lshlrev_b64 v[17:18], 2, v[17:18]
	s_cbranch_vccnz .LBB1569_206
; %bb.197:
	v_mul_lo_u32 v21, v4, s14
	v_mul_lo_u32 v22, v3, s15
	v_mad_u64_u32 v[19:20], null, v3, s14, 0
	s_mov_b32 s28, -1
	s_mov_b32 s29, exec_lo
	s_delay_alu instid0(VALU_DEP_1) | instskip(SKIP_2) | instid1(VALU_DEP_3)
	v_add3_u32 v20, v20, v22, v21
	v_add_co_u32 v21, vcc_lo, s16, v17
	v_add_co_ci_u32_e32 v22, vcc_lo, s17, v18, vcc_lo
	v_lshlrev_b64 v[19:20], 2, v[19:20]
	s_delay_alu instid0(VALU_DEP_1) | instskip(NEXT) | instid1(VALU_DEP_2)
	v_add_co_u32 v19, vcc_lo, s16, v19
	v_add_co_ci_u32_e32 v20, vcc_lo, s17, v20, vcc_lo
	s_clause 0x1
	global_load_b32 v23, v[21:22], off
	global_load_b32 v24, v[19:20], off
	s_waitcnt vmcnt(0)
	v_cmpx_eq_u32_e64 v23, v24
	s_cbranch_execz .LBB1569_205
; %bb.198:
	v_add_co_u32 v19, vcc_lo, v19, 4
	v_add_co_ci_u32_e32 v20, vcc_lo, 0, v20, vcc_lo
	v_add_co_u32 v21, vcc_lo, v21, 4
	v_add_co_ci_u32_e32 v22, vcc_lo, 0, v22, vcc_lo
	s_add_u32 s4, s14, -1
	s_addc_u32 s5, s15, -1
	s_mov_b64 s[6:7], 0
	s_mov_b32 s28, 0
                                        ; implicit-def: $sgpr30
	s_set_inst_prefetch_distance 0x1
	s_branch .LBB1569_201
	.p2align	6
.LBB1569_199:                           ;   in Loop: Header=BB1569_201 Depth=1
	global_load_b32 v23, v[21:22], off
	global_load_b32 v24, v[19:20], off
	v_add_co_u32 v19, vcc_lo, v19, 4
	v_add_co_ci_u32_e32 v20, vcc_lo, 0, v20, vcc_lo
	v_add_co_u32 v21, s0, v21, 4
	s_delay_alu instid0(VALU_DEP_1)
	v_add_co_ci_u32_e64 v22, s0, 0, v22, s0
	s_add_u32 s6, s6, 1
	s_addc_u32 s7, s7, 0
	s_and_not1_b32 s0, s30, exec_lo
	s_waitcnt vmcnt(0)
	v_cmp_ne_u32_e32 vcc_lo, v23, v24
	s_and_b32 s30, vcc_lo, exec_lo
	s_delay_alu instid0(SALU_CYCLE_1)
	s_or_b32 s30, s0, s30
.LBB1569_200:                           ;   in Loop: Header=BB1569_201 Depth=1
	v_dual_mov_b32 v24, s7 :: v_dual_mov_b32 v23, s6
	s_and_b32 s0, exec_lo, s30
	s_delay_alu instid0(SALU_CYCLE_1) | instskip(NEXT) | instid1(SALU_CYCLE_1)
	s_or_b32 s28, s0, s28
	s_and_not1_b32 exec_lo, exec_lo, s28
	s_cbranch_execz .LBB1569_204
.LBB1569_201:                           ; =>This Inner Loop Header: Depth=1
	s_or_b32 s30, s30, exec_lo
	s_cmp_eq_u64 s[4:5], s[6:7]
	s_cbranch_scc0 .LBB1569_199
; %bb.202:                              ;   in Loop: Header=BB1569_201 Depth=1
	s_mov_b64 s[6:7], s[14:15]
                                        ; implicit-def: $vgpr19_vgpr20
                                        ; implicit-def: $vgpr21_vgpr22
	s_branch .LBB1569_200
.LBB1569_203:
                                        ; implicit-def: $sgpr0
                                        ; implicit-def: $vgpr20
	s_cbranch_execnz .LBB1569_272
	s_branch .LBB1569_363
.LBB1569_204:
	s_set_inst_prefetch_distance 0x2
	s_or_b32 exec_lo, exec_lo, s28
	v_cmp_gt_i64_e32 vcc_lo, s[14:15], v[23:24]
	s_or_not1_b32 s28, vcc_lo, exec_lo
.LBB1569_205:
	s_or_b32 exec_lo, exec_lo, s29
.LBB1569_206:
	v_mul_lo_u32 v21, v8, s14
	v_mul_lo_u32 v22, v7, s15
	v_mad_u64_u32 v[19:20], null, v7, s14, 0
	s_and_not1_b32 vcc_lo, exec_lo, s26
	s_delay_alu instid0(VALU_DEP_1) | instskip(NEXT) | instid1(VALU_DEP_1)
	v_add3_u32 v20, v20, v22, v21
	v_lshlrev_b64 v[19:20], 2, v[19:20]
	s_cbranch_vccnz .LBB1569_215
; %bb.207:
	s_delay_alu instid0(VALU_DEP_1) | instskip(NEXT) | instid1(VALU_DEP_2)
	v_add_co_u32 v21, vcc_lo, s16, v19
	v_add_co_ci_u32_e32 v22, vcc_lo, s17, v20, vcc_lo
	v_add_co_u32 v17, vcc_lo, s16, v17
	v_add_co_ci_u32_e32 v18, vcc_lo, s17, v18, vcc_lo
	s_mov_b32 s27, -1
	s_clause 0x1
	global_load_b32 v23, v[21:22], off
	global_load_b32 v24, v[17:18], off
	s_mov_b32 s29, exec_lo
	s_waitcnt vmcnt(0)
	v_cmpx_eq_u32_e64 v23, v24
	s_cbranch_execz .LBB1569_214
; %bb.208:
	v_add_co_u32 v17, vcc_lo, v17, 4
	v_add_co_ci_u32_e32 v18, vcc_lo, 0, v18, vcc_lo
	v_add_co_u32 v21, vcc_lo, v21, 4
	v_add_co_ci_u32_e32 v22, vcc_lo, 0, v22, vcc_lo
	s_add_u32 s4, s14, -1
	s_addc_u32 s5, s15, -1
	s_mov_b64 s[6:7], 0
	s_mov_b32 s27, 0
                                        ; implicit-def: $sgpr30
	s_set_inst_prefetch_distance 0x1
	s_branch .LBB1569_211
	.p2align	6
.LBB1569_209:                           ;   in Loop: Header=BB1569_211 Depth=1
	global_load_b32 v23, v[21:22], off
	global_load_b32 v24, v[17:18], off
	v_add_co_u32 v17, vcc_lo, v17, 4
	v_add_co_ci_u32_e32 v18, vcc_lo, 0, v18, vcc_lo
	v_add_co_u32 v21, s0, v21, 4
	s_delay_alu instid0(VALU_DEP_1)
	v_add_co_ci_u32_e64 v22, s0, 0, v22, s0
	s_add_u32 s6, s6, 1
	s_addc_u32 s7, s7, 0
	s_and_not1_b32 s0, s30, exec_lo
	s_waitcnt vmcnt(0)
	v_cmp_ne_u32_e32 vcc_lo, v23, v24
	s_and_b32 s30, vcc_lo, exec_lo
	s_delay_alu instid0(SALU_CYCLE_1)
	s_or_b32 s30, s0, s30
.LBB1569_210:                           ;   in Loop: Header=BB1569_211 Depth=1
	v_dual_mov_b32 v24, s7 :: v_dual_mov_b32 v23, s6
	s_and_b32 s0, exec_lo, s30
	s_delay_alu instid0(SALU_CYCLE_1) | instskip(NEXT) | instid1(SALU_CYCLE_1)
	s_or_b32 s27, s0, s27
	s_and_not1_b32 exec_lo, exec_lo, s27
	s_cbranch_execz .LBB1569_213
.LBB1569_211:                           ; =>This Inner Loop Header: Depth=1
	s_or_b32 s30, s30, exec_lo
	s_cmp_eq_u64 s[4:5], s[6:7]
	s_cbranch_scc0 .LBB1569_209
; %bb.212:                              ;   in Loop: Header=BB1569_211 Depth=1
	s_mov_b64 s[6:7], s[14:15]
                                        ; implicit-def: $vgpr17_vgpr18
                                        ; implicit-def: $vgpr21_vgpr22
	s_branch .LBB1569_210
.LBB1569_213:
	s_set_inst_prefetch_distance 0x2
	s_or_b32 exec_lo, exec_lo, s27
	v_cmp_gt_i64_e32 vcc_lo, s[14:15], v[23:24]
	s_or_not1_b32 s27, vcc_lo, exec_lo
.LBB1569_214:
	s_or_b32 exec_lo, exec_lo, s29
.LBB1569_215:
	v_mul_lo_u32 v21, v6, s14
	v_mul_lo_u32 v22, v5, s15
	v_mad_u64_u32 v[17:18], null, v5, s14, 0
	s_mov_b32 s29, 0
	s_and_not1_b32 vcc_lo, exec_lo, s26
	s_mov_b32 s30, 0
	s_delay_alu instid0(VALU_DEP_1) | instskip(NEXT) | instid1(VALU_DEP_1)
	v_add3_u32 v18, v18, v22, v21
	v_lshlrev_b64 v[21:22], 2, v[17:18]
	s_cbranch_vccnz .LBB1569_224
; %bb.216:
	s_delay_alu instid0(VALU_DEP_1) | instskip(NEXT) | instid1(VALU_DEP_2)
	v_add_co_u32 v23, vcc_lo, s16, v21
	v_add_co_ci_u32_e32 v24, vcc_lo, s17, v22, vcc_lo
	v_add_co_u32 v17, vcc_lo, s16, v19
	v_add_co_ci_u32_e32 v18, vcc_lo, s17, v20, vcc_lo
	s_mov_b32 s30, -1
	s_clause 0x1
	global_load_b32 v19, v[23:24], off
	global_load_b32 v20, v[17:18], off
	s_mov_b32 s31, exec_lo
	s_waitcnt vmcnt(0)
	v_cmpx_eq_u32_e64 v19, v20
	s_cbranch_execz .LBB1569_223
; %bb.217:
	v_add_co_u32 v17, vcc_lo, v17, 4
	v_add_co_ci_u32_e32 v18, vcc_lo, 0, v18, vcc_lo
	v_add_co_u32 v19, vcc_lo, v23, 4
	v_add_co_ci_u32_e32 v20, vcc_lo, 0, v24, vcc_lo
	s_add_u32 s4, s14, -1
	s_addc_u32 s5, s15, -1
	s_mov_b64 s[6:7], 0
	s_mov_b32 s30, 0
                                        ; implicit-def: $sgpr33
	s_set_inst_prefetch_distance 0x1
	s_branch .LBB1569_220
	.p2align	6
.LBB1569_218:                           ;   in Loop: Header=BB1569_220 Depth=1
	global_load_b32 v23, v[19:20], off
	global_load_b32 v24, v[17:18], off
	v_add_co_u32 v17, vcc_lo, v17, 4
	v_add_co_ci_u32_e32 v18, vcc_lo, 0, v18, vcc_lo
	v_add_co_u32 v19, s0, v19, 4
	s_delay_alu instid0(VALU_DEP_1)
	v_add_co_ci_u32_e64 v20, s0, 0, v20, s0
	s_add_u32 s6, s6, 1
	s_addc_u32 s7, s7, 0
	s_and_not1_b32 s0, s33, exec_lo
	s_waitcnt vmcnt(0)
	v_cmp_ne_u32_e32 vcc_lo, v23, v24
	s_and_b32 s33, vcc_lo, exec_lo
	s_delay_alu instid0(SALU_CYCLE_1)
	s_or_b32 s33, s0, s33
.LBB1569_219:                           ;   in Loop: Header=BB1569_220 Depth=1
	v_dual_mov_b32 v24, s7 :: v_dual_mov_b32 v23, s6
	s_and_b32 s0, exec_lo, s33
	s_delay_alu instid0(SALU_CYCLE_1) | instskip(NEXT) | instid1(SALU_CYCLE_1)
	s_or_b32 s30, s0, s30
	s_and_not1_b32 exec_lo, exec_lo, s30
	s_cbranch_execz .LBB1569_222
.LBB1569_220:                           ; =>This Inner Loop Header: Depth=1
	s_or_b32 s33, s33, exec_lo
	s_cmp_eq_u64 s[4:5], s[6:7]
	s_cbranch_scc0 .LBB1569_218
; %bb.221:                              ;   in Loop: Header=BB1569_220 Depth=1
	s_mov_b64 s[6:7], s[14:15]
                                        ; implicit-def: $vgpr17_vgpr18
                                        ; implicit-def: $vgpr19_vgpr20
	s_branch .LBB1569_219
.LBB1569_222:
	s_set_inst_prefetch_distance 0x2
	s_or_b32 exec_lo, exec_lo, s30
	v_cmp_gt_i64_e32 vcc_lo, s[14:15], v[23:24]
	s_or_not1_b32 s30, vcc_lo, exec_lo
.LBB1569_223:
	s_or_b32 exec_lo, exec_lo, s31
.LBB1569_224:
	v_mul_lo_u32 v19, v12, s14
	v_mul_lo_u32 v20, v11, s15
	v_mad_u64_u32 v[17:18], null, v11, s14, 0
	s_and_not1_b32 vcc_lo, exec_lo, s26
	s_delay_alu instid0(VALU_DEP_1) | instskip(NEXT) | instid1(VALU_DEP_1)
	v_add3_u32 v18, v18, v20, v19
	v_lshlrev_b64 v[17:18], 2, v[17:18]
	s_cbranch_vccnz .LBB1569_233
; %bb.225:
	s_delay_alu instid0(VALU_DEP_1) | instskip(NEXT) | instid1(VALU_DEP_2)
	v_add_co_u32 v23, vcc_lo, s16, v17
	v_add_co_ci_u32_e32 v24, vcc_lo, s17, v18, vcc_lo
	v_add_co_u32 v19, vcc_lo, s16, v21
	v_add_co_ci_u32_e32 v20, vcc_lo, s17, v22, vcc_lo
	s_mov_b32 s29, -1
	s_clause 0x1
	global_load_b32 v21, v[23:24], off
	global_load_b32 v22, v[19:20], off
	s_mov_b32 s31, exec_lo
	s_waitcnt vmcnt(0)
	v_cmpx_eq_u32_e64 v21, v22
	s_cbranch_execz .LBB1569_232
; %bb.226:
	v_add_co_u32 v19, vcc_lo, v19, 4
	v_add_co_ci_u32_e32 v20, vcc_lo, 0, v20, vcc_lo
	v_add_co_u32 v21, vcc_lo, v23, 4
	v_add_co_ci_u32_e32 v22, vcc_lo, 0, v24, vcc_lo
	s_add_u32 s4, s14, -1
	s_addc_u32 s5, s15, -1
	s_mov_b64 s[6:7], 0
	s_mov_b32 s29, 0
                                        ; implicit-def: $sgpr33
	s_set_inst_prefetch_distance 0x1
	s_branch .LBB1569_229
	.p2align	6
.LBB1569_227:                           ;   in Loop: Header=BB1569_229 Depth=1
	global_load_b32 v23, v[21:22], off
	global_load_b32 v24, v[19:20], off
	v_add_co_u32 v19, vcc_lo, v19, 4
	v_add_co_ci_u32_e32 v20, vcc_lo, 0, v20, vcc_lo
	v_add_co_u32 v21, s0, v21, 4
	s_delay_alu instid0(VALU_DEP_1)
	v_add_co_ci_u32_e64 v22, s0, 0, v22, s0
	s_add_u32 s6, s6, 1
	s_addc_u32 s7, s7, 0
	s_and_not1_b32 s0, s33, exec_lo
	s_waitcnt vmcnt(0)
	v_cmp_ne_u32_e32 vcc_lo, v23, v24
	s_and_b32 s33, vcc_lo, exec_lo
	s_delay_alu instid0(SALU_CYCLE_1)
	s_or_b32 s33, s0, s33
.LBB1569_228:                           ;   in Loop: Header=BB1569_229 Depth=1
	v_dual_mov_b32 v24, s7 :: v_dual_mov_b32 v23, s6
	s_and_b32 s0, exec_lo, s33
	s_delay_alu instid0(SALU_CYCLE_1) | instskip(NEXT) | instid1(SALU_CYCLE_1)
	s_or_b32 s29, s0, s29
	s_and_not1_b32 exec_lo, exec_lo, s29
	s_cbranch_execz .LBB1569_231
.LBB1569_229:                           ; =>This Inner Loop Header: Depth=1
	s_or_b32 s33, s33, exec_lo
	s_cmp_eq_u64 s[4:5], s[6:7]
	s_cbranch_scc0 .LBB1569_227
; %bb.230:                              ;   in Loop: Header=BB1569_229 Depth=1
	s_mov_b64 s[6:7], s[14:15]
                                        ; implicit-def: $vgpr19_vgpr20
                                        ; implicit-def: $vgpr21_vgpr22
	s_branch .LBB1569_228
.LBB1569_231:
	s_set_inst_prefetch_distance 0x2
	s_or_b32 exec_lo, exec_lo, s29
	v_cmp_gt_i64_e32 vcc_lo, s[14:15], v[23:24]
	s_or_not1_b32 s29, vcc_lo, exec_lo
.LBB1569_232:
	s_or_b32 exec_lo, exec_lo, s31
.LBB1569_233:
	v_mul_lo_u32 v21, v10, s14
	v_mul_lo_u32 v22, v9, s15
	v_mad_u64_u32 v[19:20], null, v9, s14, 0
	s_mov_b32 s31, 0
	s_and_not1_b32 vcc_lo, exec_lo, s26
	s_mov_b32 s33, 0
	s_delay_alu instid0(VALU_DEP_1) | instskip(NEXT) | instid1(VALU_DEP_1)
	v_add3_u32 v20, v20, v22, v21
	v_lshlrev_b64 v[21:22], 2, v[19:20]
	s_cbranch_vccnz .LBB1569_242
; %bb.234:
	s_delay_alu instid0(VALU_DEP_1) | instskip(NEXT) | instid1(VALU_DEP_2)
	v_add_co_u32 v19, vcc_lo, s16, v21
	v_add_co_ci_u32_e32 v20, vcc_lo, s17, v22, vcc_lo
	v_add_co_u32 v17, vcc_lo, s16, v17
	v_add_co_ci_u32_e32 v18, vcc_lo, s17, v18, vcc_lo
	s_mov_b32 s33, -1
	s_clause 0x1
	global_load_b32 v23, v[19:20], off
	global_load_b32 v24, v[17:18], off
	s_mov_b32 s34, exec_lo
	s_waitcnt vmcnt(0)
	v_cmpx_eq_u32_e64 v23, v24
	s_cbranch_execz .LBB1569_241
; %bb.235:
	v_add_co_u32 v17, vcc_lo, v17, 4
	v_add_co_ci_u32_e32 v18, vcc_lo, 0, v18, vcc_lo
	v_add_co_u32 v19, vcc_lo, v19, 4
	v_add_co_ci_u32_e32 v20, vcc_lo, 0, v20, vcc_lo
	s_add_u32 s4, s14, -1
	s_addc_u32 s5, s15, -1
	s_mov_b64 s[6:7], 0
	s_mov_b32 s33, 0
                                        ; implicit-def: $sgpr35
	s_set_inst_prefetch_distance 0x1
	s_branch .LBB1569_238
	.p2align	6
.LBB1569_236:                           ;   in Loop: Header=BB1569_238 Depth=1
	global_load_b32 v23, v[19:20], off
	global_load_b32 v24, v[17:18], off
	v_add_co_u32 v17, vcc_lo, v17, 4
	v_add_co_ci_u32_e32 v18, vcc_lo, 0, v18, vcc_lo
	v_add_co_u32 v19, s0, v19, 4
	s_delay_alu instid0(VALU_DEP_1)
	v_add_co_ci_u32_e64 v20, s0, 0, v20, s0
	s_add_u32 s6, s6, 1
	s_addc_u32 s7, s7, 0
	s_and_not1_b32 s0, s35, exec_lo
	s_waitcnt vmcnt(0)
	v_cmp_ne_u32_e32 vcc_lo, v23, v24
	s_and_b32 s35, vcc_lo, exec_lo
	s_delay_alu instid0(SALU_CYCLE_1)
	s_or_b32 s35, s0, s35
.LBB1569_237:                           ;   in Loop: Header=BB1569_238 Depth=1
	v_dual_mov_b32 v24, s7 :: v_dual_mov_b32 v23, s6
	s_and_b32 s0, exec_lo, s35
	s_delay_alu instid0(SALU_CYCLE_1) | instskip(NEXT) | instid1(SALU_CYCLE_1)
	s_or_b32 s33, s0, s33
	s_and_not1_b32 exec_lo, exec_lo, s33
	s_cbranch_execz .LBB1569_240
.LBB1569_238:                           ; =>This Inner Loop Header: Depth=1
	s_or_b32 s35, s35, exec_lo
	s_cmp_eq_u64 s[4:5], s[6:7]
	s_cbranch_scc0 .LBB1569_236
; %bb.239:                              ;   in Loop: Header=BB1569_238 Depth=1
	s_mov_b64 s[6:7], s[14:15]
                                        ; implicit-def: $vgpr17_vgpr18
                                        ; implicit-def: $vgpr19_vgpr20
	s_branch .LBB1569_237
.LBB1569_240:
	s_set_inst_prefetch_distance 0x2
	s_or_b32 exec_lo, exec_lo, s33
	v_cmp_gt_i64_e32 vcc_lo, s[14:15], v[23:24]
	s_or_not1_b32 s33, vcc_lo, exec_lo
.LBB1569_241:
	s_or_b32 exec_lo, exec_lo, s34
.LBB1569_242:
	v_mul_lo_u32 v19, v16, s14
	v_mul_lo_u32 v20, v15, s15
	v_mad_u64_u32 v[17:18], null, v15, s14, 0
	s_and_not1_b32 vcc_lo, exec_lo, s26
	s_delay_alu instid0(VALU_DEP_1) | instskip(NEXT) | instid1(VALU_DEP_1)
	v_add3_u32 v18, v18, v20, v19
	v_lshlrev_b64 v[19:20], 2, v[17:18]
	s_cbranch_vccnz .LBB1569_251
; %bb.243:
	s_delay_alu instid0(VALU_DEP_1) | instskip(NEXT) | instid1(VALU_DEP_2)
	v_add_co_u32 v23, vcc_lo, s16, v19
	v_add_co_ci_u32_e32 v24, vcc_lo, s17, v20, vcc_lo
	v_add_co_u32 v17, vcc_lo, s16, v21
	v_add_co_ci_u32_e32 v18, vcc_lo, s17, v22, vcc_lo
	s_mov_b32 s31, -1
	s_clause 0x1
	global_load_b32 v21, v[23:24], off
	global_load_b32 v22, v[17:18], off
	s_mov_b32 s34, exec_lo
	s_waitcnt vmcnt(0)
	v_cmpx_eq_u32_e64 v21, v22
	s_cbranch_execz .LBB1569_250
; %bb.244:
	v_add_co_u32 v17, vcc_lo, v17, 4
	v_add_co_ci_u32_e32 v18, vcc_lo, 0, v18, vcc_lo
	v_add_co_u32 v21, vcc_lo, v23, 4
	v_add_co_ci_u32_e32 v22, vcc_lo, 0, v24, vcc_lo
	s_add_u32 s4, s14, -1
	s_addc_u32 s5, s15, -1
	s_mov_b64 s[6:7], 0
	s_mov_b32 s31, 0
                                        ; implicit-def: $sgpr35
	s_set_inst_prefetch_distance 0x1
	s_branch .LBB1569_247
	.p2align	6
.LBB1569_245:                           ;   in Loop: Header=BB1569_247 Depth=1
	global_load_b32 v23, v[21:22], off
	global_load_b32 v24, v[17:18], off
	v_add_co_u32 v17, vcc_lo, v17, 4
	v_add_co_ci_u32_e32 v18, vcc_lo, 0, v18, vcc_lo
	v_add_co_u32 v21, s0, v21, 4
	s_delay_alu instid0(VALU_DEP_1)
	v_add_co_ci_u32_e64 v22, s0, 0, v22, s0
	s_add_u32 s6, s6, 1
	s_addc_u32 s7, s7, 0
	s_and_not1_b32 s0, s35, exec_lo
	s_waitcnt vmcnt(0)
	v_cmp_ne_u32_e32 vcc_lo, v23, v24
	s_and_b32 s35, vcc_lo, exec_lo
	s_delay_alu instid0(SALU_CYCLE_1)
	s_or_b32 s35, s0, s35
.LBB1569_246:                           ;   in Loop: Header=BB1569_247 Depth=1
	v_dual_mov_b32 v24, s7 :: v_dual_mov_b32 v23, s6
	s_and_b32 s0, exec_lo, s35
	s_delay_alu instid0(SALU_CYCLE_1) | instskip(NEXT) | instid1(SALU_CYCLE_1)
	s_or_b32 s31, s0, s31
	s_and_not1_b32 exec_lo, exec_lo, s31
	s_cbranch_execz .LBB1569_249
.LBB1569_247:                           ; =>This Inner Loop Header: Depth=1
	s_or_b32 s35, s35, exec_lo
	s_cmp_eq_u64 s[4:5], s[6:7]
	s_cbranch_scc0 .LBB1569_245
; %bb.248:                              ;   in Loop: Header=BB1569_247 Depth=1
	s_mov_b64 s[6:7], s[14:15]
                                        ; implicit-def: $vgpr17_vgpr18
                                        ; implicit-def: $vgpr21_vgpr22
	s_branch .LBB1569_246
.LBB1569_249:
	s_set_inst_prefetch_distance 0x2
	s_or_b32 exec_lo, exec_lo, s31
	v_cmp_gt_i64_e32 vcc_lo, s[14:15], v[23:24]
	s_or_not1_b32 s31, vcc_lo, exec_lo
.LBB1569_250:
	s_or_b32 exec_lo, exec_lo, s34
.LBB1569_251:
	v_mul_lo_u32 v21, v14, s14
	v_mul_lo_u32 v22, v13, s15
	v_mad_u64_u32 v[17:18], null, v13, s14, 0
	s_and_not1_b32 vcc_lo, exec_lo, s26
	s_mov_b32 s0, 0
	s_delay_alu instid0(VALU_DEP_1)
	v_add3_u32 v18, v18, v22, v21
	s_cbranch_vccnz .LBB1569_260
; %bb.252:
	s_delay_alu instid0(VALU_DEP_1) | instskip(SKIP_2) | instid1(VALU_DEP_1)
	v_lshlrev_b64 v[21:22], 2, v[17:18]
	s_mov_b32 s0, -1
	s_mov_b32 s34, exec_lo
	v_add_co_u32 v21, vcc_lo, s16, v21
	s_delay_alu instid0(VALU_DEP_2)
	v_add_co_ci_u32_e32 v22, vcc_lo, s17, v22, vcc_lo
	v_add_co_u32 v19, vcc_lo, s16, v19
	v_add_co_ci_u32_e32 v20, vcc_lo, s17, v20, vcc_lo
	s_clause 0x1
	global_load_b32 v23, v[21:22], off
	global_load_b32 v24, v[19:20], off
	s_waitcnt vmcnt(0)
	v_cmpx_eq_u32_e64 v23, v24
	s_cbranch_execz .LBB1569_259
; %bb.253:
	v_add_co_u32 v19, vcc_lo, v19, 4
	v_add_co_ci_u32_e32 v20, vcc_lo, 0, v20, vcc_lo
	v_add_co_u32 v21, vcc_lo, v21, 4
	v_add_co_ci_u32_e32 v22, vcc_lo, 0, v22, vcc_lo
	s_add_u32 s4, s14, -1
	s_addc_u32 s5, s15, -1
	s_mov_b64 s[6:7], 0
	s_mov_b32 s35, 0
                                        ; implicit-def: $sgpr36
	s_set_inst_prefetch_distance 0x1
	s_branch .LBB1569_256
	.p2align	6
.LBB1569_254:                           ;   in Loop: Header=BB1569_256 Depth=1
	global_load_b32 v23, v[21:22], off
	global_load_b32 v24, v[19:20], off
	v_add_co_u32 v19, vcc_lo, v19, 4
	v_add_co_ci_u32_e32 v20, vcc_lo, 0, v20, vcc_lo
	v_add_co_u32 v21, s0, v21, 4
	s_delay_alu instid0(VALU_DEP_1)
	v_add_co_ci_u32_e64 v22, s0, 0, v22, s0
	s_add_u32 s6, s6, 1
	s_addc_u32 s7, s7, 0
	s_and_not1_b32 s0, s36, exec_lo
	s_waitcnt vmcnt(0)
	v_cmp_ne_u32_e32 vcc_lo, v23, v24
	s_and_b32 s36, vcc_lo, exec_lo
	s_delay_alu instid0(SALU_CYCLE_1)
	s_or_b32 s36, s0, s36
.LBB1569_255:                           ;   in Loop: Header=BB1569_256 Depth=1
	v_dual_mov_b32 v24, s7 :: v_dual_mov_b32 v23, s6
	s_and_b32 s0, exec_lo, s36
	s_delay_alu instid0(SALU_CYCLE_1) | instskip(NEXT) | instid1(SALU_CYCLE_1)
	s_or_b32 s35, s0, s35
	s_and_not1_b32 exec_lo, exec_lo, s35
	s_cbranch_execz .LBB1569_258
.LBB1569_256:                           ; =>This Inner Loop Header: Depth=1
	s_or_b32 s36, s36, exec_lo
	s_cmp_eq_u64 s[4:5], s[6:7]
	s_cbranch_scc0 .LBB1569_254
; %bb.257:                              ;   in Loop: Header=BB1569_256 Depth=1
	s_mov_b64 s[6:7], s[14:15]
                                        ; implicit-def: $vgpr19_vgpr20
                                        ; implicit-def: $vgpr21_vgpr22
	s_branch .LBB1569_255
.LBB1569_258:
	s_set_inst_prefetch_distance 0x2
	s_or_b32 exec_lo, exec_lo, s35
	v_cmp_gt_i64_e32 vcc_lo, s[14:15], v[23:24]
	s_or_not1_b32 s0, vcc_lo, exec_lo
.LBB1569_259:
	s_or_b32 exec_lo, exec_lo, s34
.LBB1569_260:
	v_cndmask_b32_e64 v20, 0, 1, s33
	v_cndmask_b32_e64 v21, 0, 1, s30
	;; [unrolled: 1-line block ×7, first 2 shown]
	v_lshlrev_b16 v21, 8, v21
	v_lshlrev_b16 v22, 8, v22
	;; [unrolled: 1-line block ×4, first 2 shown]
	s_waitcnt lgkmcnt(0)
	v_or_b32_e32 v21, v24, v21
	v_or_b32_e32 v22, v25, v22
	;; [unrolled: 1-line block ×4, first 2 shown]
	s_barrier
	v_and_b32_e32 v20, 0xffff, v21
	v_lshlrev_b32_e32 v21, 16, v22
	v_and_b32_e32 v22, 0xffff, v23
	v_lshlrev_b32_e32 v19, 16, v19
	buffer_gl0_inv
                                        ; implicit-def: $sgpr0
	v_or_b32_e32 v20, v20, v21
	v_or_b32_e32 v19, v22, v19
	s_and_saveexec_b32 s4, s3
	s_delay_alu instid0(SALU_CYCLE_1)
	s_xor_b32 s27, exec_lo, s4
	s_cbranch_execz .LBB1569_271
; %bb.261:
	s_and_not1_b32 vcc_lo, exec_lo, s26
	s_mov_b32 s0, 0
	s_cbranch_vccnz .LBB1569_270
; %bb.262:
	v_add_nc_u32_e32 v21, -8, v39
	v_lshlrev_b64 v[17:18], 2, v[17:18]
	s_mov_b32 s0, -1
	s_mov_b32 s28, exec_lo
	ds_load_b64 v[21:22], v21
	s_waitcnt lgkmcnt(0)
	v_mul_lo_u32 v24, v22, s14
	v_mul_lo_u32 v25, v21, s15
	v_mad_u64_u32 v[22:23], null, v21, s14, 0
	s_delay_alu instid0(VALU_DEP_1) | instskip(NEXT) | instid1(VALU_DEP_1)
	v_add3_u32 v23, v23, v25, v24
	v_lshlrev_b64 v[21:22], 2, v[22:23]
	s_delay_alu instid0(VALU_DEP_1) | instskip(NEXT) | instid1(VALU_DEP_2)
	v_add_co_u32 v21, vcc_lo, s16, v21
	v_add_co_ci_u32_e32 v22, vcc_lo, s17, v22, vcc_lo
	v_add_co_u32 v17, vcc_lo, s16, v17
	v_add_co_ci_u32_e32 v18, vcc_lo, s17, v18, vcc_lo
	s_clause 0x1
	global_load_b32 v23, v[21:22], off
	global_load_b32 v24, v[17:18], off
	s_waitcnt vmcnt(0)
	v_cmpx_eq_u32_e64 v23, v24
	s_cbranch_execz .LBB1569_269
; %bb.263:
	v_add_co_u32 v17, vcc_lo, v17, 4
	v_add_co_ci_u32_e32 v18, vcc_lo, 0, v18, vcc_lo
	v_add_co_u32 v21, vcc_lo, v21, 4
	v_add_co_ci_u32_e32 v22, vcc_lo, 0, v22, vcc_lo
	s_add_u32 s4, s14, -1
	s_addc_u32 s5, s15, -1
	s_mov_b64 s[6:7], 0
	s_mov_b32 s29, 0
                                        ; implicit-def: $sgpr30
	s_set_inst_prefetch_distance 0x1
	s_branch .LBB1569_266
	.p2align	6
.LBB1569_264:                           ;   in Loop: Header=BB1569_266 Depth=1
	global_load_b32 v23, v[21:22], off
	global_load_b32 v24, v[17:18], off
	v_add_co_u32 v17, vcc_lo, v17, 4
	v_add_co_ci_u32_e32 v18, vcc_lo, 0, v18, vcc_lo
	v_add_co_u32 v21, s0, v21, 4
	s_delay_alu instid0(VALU_DEP_1)
	v_add_co_ci_u32_e64 v22, s0, 0, v22, s0
	s_add_u32 s6, s6, 1
	s_addc_u32 s7, s7, 0
	s_and_not1_b32 s0, s30, exec_lo
	s_waitcnt vmcnt(0)
	v_cmp_ne_u32_e32 vcc_lo, v23, v24
	s_and_b32 s30, vcc_lo, exec_lo
	s_delay_alu instid0(SALU_CYCLE_1)
	s_or_b32 s30, s0, s30
.LBB1569_265:                           ;   in Loop: Header=BB1569_266 Depth=1
	v_dual_mov_b32 v24, s7 :: v_dual_mov_b32 v23, s6
	s_and_b32 s0, exec_lo, s30
	s_delay_alu instid0(SALU_CYCLE_1) | instskip(NEXT) | instid1(SALU_CYCLE_1)
	s_or_b32 s29, s0, s29
	s_and_not1_b32 exec_lo, exec_lo, s29
	s_cbranch_execz .LBB1569_268
.LBB1569_266:                           ; =>This Inner Loop Header: Depth=1
	s_or_b32 s30, s30, exec_lo
	s_cmp_eq_u64 s[4:5], s[6:7]
	s_cbranch_scc0 .LBB1569_264
; %bb.267:                              ;   in Loop: Header=BB1569_266 Depth=1
	s_mov_b64 s[6:7], s[14:15]
                                        ; implicit-def: $vgpr17_vgpr18
                                        ; implicit-def: $vgpr21_vgpr22
	s_branch .LBB1569_265
.LBB1569_268:
	s_set_inst_prefetch_distance 0x2
	s_or_b32 exec_lo, exec_lo, s29
	v_cmp_gt_i64_e32 vcc_lo, s[14:15], v[23:24]
	s_or_not1_b32 s0, vcc_lo, exec_lo
.LBB1569_269:
	s_or_b32 exec_lo, exec_lo, s28
.LBB1569_270:
	s_delay_alu instid0(SALU_CYCLE_1)
	s_and_b32 s0, s0, exec_lo
	s_or_b32 s25, s25, exec_lo
.LBB1569_271:
	s_or_b32 exec_lo, exec_lo, s27
	s_branch .LBB1569_363
.LBB1569_272:
	s_waitcnt vmcnt(0) lgkmcnt(1)
	v_or_b32_e32 v17, 7, v39
	s_mov_b32 s27, 0
	s_mov_b32 s28, 0
	s_mov_b32 s29, exec_lo
	s_delay_alu instid0(VALU_DEP_1)
	v_cmpx_gt_u32_e64 s12, v17
	s_cbranch_execz .LBB1569_283
; %bb.273:
	s_and_not1_b32 vcc_lo, exec_lo, s26
	s_mov_b32 s0, 0
	s_cbranch_vccnz .LBB1569_282
; %bb.274:
	v_mul_lo_u32 v21, v2, s14
	v_mul_lo_u32 v22, v1, s15
	v_mad_u64_u32 v[17:18], null, v1, s14, 0
	v_mul_lo_u32 v23, v4, s14
	v_mul_lo_u32 v24, v3, s15
	v_mad_u64_u32 v[19:20], null, v3, s14, 0
	s_mov_b32 s0, -1
	s_mov_b32 s28, exec_lo
	s_delay_alu instid0(VALU_DEP_4) | instskip(NEXT) | instid1(VALU_DEP_2)
	v_add3_u32 v18, v18, v22, v21
	v_add3_u32 v20, v20, v24, v23
	s_delay_alu instid0(VALU_DEP_2) | instskip(NEXT) | instid1(VALU_DEP_2)
	v_lshlrev_b64 v[17:18], 2, v[17:18]
	v_lshlrev_b64 v[21:22], 2, v[19:20]
	s_delay_alu instid0(VALU_DEP_2) | instskip(NEXT) | instid1(VALU_DEP_3)
	v_add_co_u32 v19, vcc_lo, s16, v17
	v_add_co_ci_u32_e32 v20, vcc_lo, s17, v18, vcc_lo
	s_delay_alu instid0(VALU_DEP_3) | instskip(NEXT) | instid1(VALU_DEP_4)
	v_add_co_u32 v17, vcc_lo, s16, v21
	v_add_co_ci_u32_e32 v18, vcc_lo, s17, v22, vcc_lo
	s_clause 0x1
	global_load_b32 v21, v[19:20], off
	global_load_b32 v22, v[17:18], off
	s_waitcnt vmcnt(0)
	v_cmpx_eq_u32_e64 v21, v22
	s_cbranch_execz .LBB1569_281
; %bb.275:
	v_add_co_u32 v17, vcc_lo, v17, 4
	v_add_co_ci_u32_e32 v18, vcc_lo, 0, v18, vcc_lo
	v_add_co_u32 v19, vcc_lo, v19, 4
	v_add_co_ci_u32_e32 v20, vcc_lo, 0, v20, vcc_lo
	s_add_u32 s4, s14, -1
	s_addc_u32 s5, s15, -1
	s_mov_b64 s[6:7], 0
	s_mov_b32 s30, 0
                                        ; implicit-def: $sgpr31
	s_set_inst_prefetch_distance 0x1
	s_branch .LBB1569_278
	.p2align	6
.LBB1569_276:                           ;   in Loop: Header=BB1569_278 Depth=1
	global_load_b32 v21, v[19:20], off
	global_load_b32 v22, v[17:18], off
	v_add_co_u32 v17, vcc_lo, v17, 4
	v_add_co_ci_u32_e32 v18, vcc_lo, 0, v18, vcc_lo
	v_add_co_u32 v19, s0, v19, 4
	s_delay_alu instid0(VALU_DEP_1)
	v_add_co_ci_u32_e64 v20, s0, 0, v20, s0
	s_add_u32 s6, s6, 1
	s_addc_u32 s7, s7, 0
	s_and_not1_b32 s0, s31, exec_lo
	s_waitcnt vmcnt(0)
	v_cmp_ne_u32_e32 vcc_lo, v21, v22
	s_and_b32 s31, vcc_lo, exec_lo
	s_delay_alu instid0(SALU_CYCLE_1)
	s_or_b32 s31, s0, s31
.LBB1569_277:                           ;   in Loop: Header=BB1569_278 Depth=1
	v_dual_mov_b32 v22, s7 :: v_dual_mov_b32 v21, s6
	s_and_b32 s0, exec_lo, s31
	s_delay_alu instid0(SALU_CYCLE_1) | instskip(NEXT) | instid1(SALU_CYCLE_1)
	s_or_b32 s30, s0, s30
	s_and_not1_b32 exec_lo, exec_lo, s30
	s_cbranch_execz .LBB1569_280
.LBB1569_278:                           ; =>This Inner Loop Header: Depth=1
	s_or_b32 s31, s31, exec_lo
	s_cmp_eq_u64 s[4:5], s[6:7]
	s_cbranch_scc0 .LBB1569_276
; %bb.279:                              ;   in Loop: Header=BB1569_278 Depth=1
	s_mov_b64 s[6:7], s[14:15]
                                        ; implicit-def: $vgpr17_vgpr18
                                        ; implicit-def: $vgpr19_vgpr20
	s_branch .LBB1569_277
.LBB1569_280:
	s_set_inst_prefetch_distance 0x2
	s_or_b32 exec_lo, exec_lo, s30
	v_cmp_gt_i64_e32 vcc_lo, s[14:15], v[21:22]
	s_or_not1_b32 s0, vcc_lo, exec_lo
.LBB1569_281:
	s_or_b32 exec_lo, exec_lo, s28
.LBB1569_282:
	s_delay_alu instid0(SALU_CYCLE_1)
	s_and_b32 s28, s0, exec_lo
.LBB1569_283:
	s_or_b32 exec_lo, exec_lo, s29
	v_or_b32_e32 v17, 6, v39
	s_mov_b32 s29, exec_lo
	s_delay_alu instid0(VALU_DEP_1)
	v_cmpx_gt_u32_e64 s12, v17
	s_cbranch_execz .LBB1569_294
; %bb.284:
	s_and_not1_b32 vcc_lo, exec_lo, s26
	s_mov_b32 s0, 0
	s_cbranch_vccnz .LBB1569_293
; %bb.285:
	v_mul_lo_u32 v21, v8, s14
	v_mul_lo_u32 v22, v7, s15
	v_mad_u64_u32 v[17:18], null, v7, s14, 0
	v_mul_lo_u32 v23, v2, s14
	v_mul_lo_u32 v24, v1, s15
	v_mad_u64_u32 v[19:20], null, v1, s14, 0
	s_mov_b32 s0, -1
	s_mov_b32 s27, exec_lo
	s_delay_alu instid0(VALU_DEP_4) | instskip(NEXT) | instid1(VALU_DEP_2)
	v_add3_u32 v18, v18, v22, v21
	v_add3_u32 v20, v20, v24, v23
	s_delay_alu instid0(VALU_DEP_2) | instskip(NEXT) | instid1(VALU_DEP_2)
	v_lshlrev_b64 v[17:18], 2, v[17:18]
	v_lshlrev_b64 v[21:22], 2, v[19:20]
	s_delay_alu instid0(VALU_DEP_2) | instskip(NEXT) | instid1(VALU_DEP_3)
	v_add_co_u32 v19, vcc_lo, s16, v17
	v_add_co_ci_u32_e32 v20, vcc_lo, s17, v18, vcc_lo
	s_delay_alu instid0(VALU_DEP_3) | instskip(NEXT) | instid1(VALU_DEP_4)
	v_add_co_u32 v17, vcc_lo, s16, v21
	v_add_co_ci_u32_e32 v18, vcc_lo, s17, v22, vcc_lo
	s_clause 0x1
	global_load_b32 v21, v[19:20], off
	global_load_b32 v22, v[17:18], off
	s_waitcnt vmcnt(0)
	v_cmpx_eq_u32_e64 v21, v22
	s_cbranch_execz .LBB1569_292
; %bb.286:
	v_add_co_u32 v17, vcc_lo, v17, 4
	v_add_co_ci_u32_e32 v18, vcc_lo, 0, v18, vcc_lo
	v_add_co_u32 v19, vcc_lo, v19, 4
	v_add_co_ci_u32_e32 v20, vcc_lo, 0, v20, vcc_lo
	s_add_u32 s4, s14, -1
	s_addc_u32 s5, s15, -1
	s_mov_b64 s[6:7], 0
	s_mov_b32 s30, 0
                                        ; implicit-def: $sgpr31
	s_set_inst_prefetch_distance 0x1
	s_branch .LBB1569_289
	.p2align	6
.LBB1569_287:                           ;   in Loop: Header=BB1569_289 Depth=1
	global_load_b32 v21, v[19:20], off
	global_load_b32 v22, v[17:18], off
	v_add_co_u32 v17, vcc_lo, v17, 4
	v_add_co_ci_u32_e32 v18, vcc_lo, 0, v18, vcc_lo
	v_add_co_u32 v19, s0, v19, 4
	s_delay_alu instid0(VALU_DEP_1)
	v_add_co_ci_u32_e64 v20, s0, 0, v20, s0
	s_add_u32 s6, s6, 1
	s_addc_u32 s7, s7, 0
	s_and_not1_b32 s0, s31, exec_lo
	s_waitcnt vmcnt(0)
	v_cmp_ne_u32_e32 vcc_lo, v21, v22
	s_and_b32 s31, vcc_lo, exec_lo
	s_delay_alu instid0(SALU_CYCLE_1)
	s_or_b32 s31, s0, s31
.LBB1569_288:                           ;   in Loop: Header=BB1569_289 Depth=1
	v_dual_mov_b32 v22, s7 :: v_dual_mov_b32 v21, s6
	s_and_b32 s0, exec_lo, s31
	s_delay_alu instid0(SALU_CYCLE_1) | instskip(NEXT) | instid1(SALU_CYCLE_1)
	s_or_b32 s30, s0, s30
	s_and_not1_b32 exec_lo, exec_lo, s30
	s_cbranch_execz .LBB1569_291
.LBB1569_289:                           ; =>This Inner Loop Header: Depth=1
	s_or_b32 s31, s31, exec_lo
	s_cmp_eq_u64 s[4:5], s[6:7]
	s_cbranch_scc0 .LBB1569_287
; %bb.290:                              ;   in Loop: Header=BB1569_289 Depth=1
	s_mov_b64 s[6:7], s[14:15]
                                        ; implicit-def: $vgpr17_vgpr18
                                        ; implicit-def: $vgpr19_vgpr20
	s_branch .LBB1569_288
.LBB1569_291:
	s_set_inst_prefetch_distance 0x2
	s_or_b32 exec_lo, exec_lo, s30
	v_cmp_gt_i64_e32 vcc_lo, s[14:15], v[21:22]
	s_or_not1_b32 s0, vcc_lo, exec_lo
.LBB1569_292:
	s_or_b32 exec_lo, exec_lo, s27
.LBB1569_293:
	s_delay_alu instid0(SALU_CYCLE_1)
	s_and_b32 s27, s0, exec_lo
.LBB1569_294:
	s_or_b32 exec_lo, exec_lo, s29
	v_or_b32_e32 v17, 5, v39
	s_mov_b32 s29, 0
	s_mov_b32 s30, 0
	s_mov_b32 s31, exec_lo
	s_delay_alu instid0(VALU_DEP_1)
	v_cmpx_gt_u32_e64 s12, v17
	s_cbranch_execz .LBB1569_305
; %bb.295:
	s_and_not1_b32 vcc_lo, exec_lo, s26
	s_mov_b32 s0, 0
	s_cbranch_vccnz .LBB1569_304
; %bb.296:
	v_mul_lo_u32 v21, v6, s14
	v_mul_lo_u32 v22, v5, s15
	v_mad_u64_u32 v[17:18], null, v5, s14, 0
	v_mul_lo_u32 v23, v8, s14
	v_mul_lo_u32 v24, v7, s15
	v_mad_u64_u32 v[19:20], null, v7, s14, 0
	s_mov_b32 s0, -1
	s_mov_b32 s30, exec_lo
	s_delay_alu instid0(VALU_DEP_4) | instskip(NEXT) | instid1(VALU_DEP_2)
	v_add3_u32 v18, v18, v22, v21
	v_add3_u32 v20, v20, v24, v23
	s_delay_alu instid0(VALU_DEP_2) | instskip(NEXT) | instid1(VALU_DEP_2)
	v_lshlrev_b64 v[17:18], 2, v[17:18]
	v_lshlrev_b64 v[21:22], 2, v[19:20]
	s_delay_alu instid0(VALU_DEP_2) | instskip(NEXT) | instid1(VALU_DEP_3)
	v_add_co_u32 v19, vcc_lo, s16, v17
	v_add_co_ci_u32_e32 v20, vcc_lo, s17, v18, vcc_lo
	s_delay_alu instid0(VALU_DEP_3) | instskip(NEXT) | instid1(VALU_DEP_4)
	v_add_co_u32 v17, vcc_lo, s16, v21
	v_add_co_ci_u32_e32 v18, vcc_lo, s17, v22, vcc_lo
	s_clause 0x1
	global_load_b32 v21, v[19:20], off
	global_load_b32 v22, v[17:18], off
	s_waitcnt vmcnt(0)
	v_cmpx_eq_u32_e64 v21, v22
	s_cbranch_execz .LBB1569_303
; %bb.297:
	v_add_co_u32 v17, vcc_lo, v17, 4
	v_add_co_ci_u32_e32 v18, vcc_lo, 0, v18, vcc_lo
	v_add_co_u32 v19, vcc_lo, v19, 4
	v_add_co_ci_u32_e32 v20, vcc_lo, 0, v20, vcc_lo
	s_add_u32 s4, s14, -1
	s_addc_u32 s5, s15, -1
	s_mov_b64 s[6:7], 0
	s_mov_b32 s33, 0
                                        ; implicit-def: $sgpr34
	s_set_inst_prefetch_distance 0x1
	s_branch .LBB1569_300
	.p2align	6
.LBB1569_298:                           ;   in Loop: Header=BB1569_300 Depth=1
	global_load_b32 v21, v[19:20], off
	global_load_b32 v22, v[17:18], off
	v_add_co_u32 v17, vcc_lo, v17, 4
	v_add_co_ci_u32_e32 v18, vcc_lo, 0, v18, vcc_lo
	v_add_co_u32 v19, s0, v19, 4
	s_delay_alu instid0(VALU_DEP_1)
	v_add_co_ci_u32_e64 v20, s0, 0, v20, s0
	s_add_u32 s6, s6, 1
	s_addc_u32 s7, s7, 0
	s_and_not1_b32 s0, s34, exec_lo
	s_waitcnt vmcnt(0)
	v_cmp_ne_u32_e32 vcc_lo, v21, v22
	s_and_b32 s34, vcc_lo, exec_lo
	s_delay_alu instid0(SALU_CYCLE_1)
	s_or_b32 s34, s0, s34
.LBB1569_299:                           ;   in Loop: Header=BB1569_300 Depth=1
	v_dual_mov_b32 v22, s7 :: v_dual_mov_b32 v21, s6
	s_and_b32 s0, exec_lo, s34
	s_delay_alu instid0(SALU_CYCLE_1) | instskip(NEXT) | instid1(SALU_CYCLE_1)
	s_or_b32 s33, s0, s33
	s_and_not1_b32 exec_lo, exec_lo, s33
	s_cbranch_execz .LBB1569_302
.LBB1569_300:                           ; =>This Inner Loop Header: Depth=1
	s_or_b32 s34, s34, exec_lo
	s_cmp_eq_u64 s[4:5], s[6:7]
	s_cbranch_scc0 .LBB1569_298
; %bb.301:                              ;   in Loop: Header=BB1569_300 Depth=1
	s_mov_b64 s[6:7], s[14:15]
                                        ; implicit-def: $vgpr17_vgpr18
                                        ; implicit-def: $vgpr19_vgpr20
	s_branch .LBB1569_299
.LBB1569_302:
	s_set_inst_prefetch_distance 0x2
	s_or_b32 exec_lo, exec_lo, s33
	v_cmp_gt_i64_e32 vcc_lo, s[14:15], v[21:22]
	s_or_not1_b32 s0, vcc_lo, exec_lo
.LBB1569_303:
	s_or_b32 exec_lo, exec_lo, s30
.LBB1569_304:
	s_delay_alu instid0(SALU_CYCLE_1)
	s_and_b32 s30, s0, exec_lo
.LBB1569_305:
	s_or_b32 exec_lo, exec_lo, s31
	v_or_b32_e32 v17, 4, v39
	s_mov_b32 s31, exec_lo
	s_delay_alu instid0(VALU_DEP_1)
	v_cmpx_gt_u32_e64 s12, v17
	s_cbranch_execz .LBB1569_316
; %bb.306:
	s_and_not1_b32 vcc_lo, exec_lo, s26
	s_mov_b32 s0, 0
	s_cbranch_vccnz .LBB1569_315
; %bb.307:
	v_mul_lo_u32 v21, v12, s14
	v_mul_lo_u32 v22, v11, s15
	v_mad_u64_u32 v[17:18], null, v11, s14, 0
	v_mul_lo_u32 v23, v6, s14
	v_mul_lo_u32 v24, v5, s15
	v_mad_u64_u32 v[19:20], null, v5, s14, 0
	s_mov_b32 s0, -1
	s_mov_b32 s29, exec_lo
	s_delay_alu instid0(VALU_DEP_4) | instskip(NEXT) | instid1(VALU_DEP_2)
	v_add3_u32 v18, v18, v22, v21
	v_add3_u32 v20, v20, v24, v23
	s_delay_alu instid0(VALU_DEP_2) | instskip(NEXT) | instid1(VALU_DEP_2)
	v_lshlrev_b64 v[17:18], 2, v[17:18]
	v_lshlrev_b64 v[21:22], 2, v[19:20]
	s_delay_alu instid0(VALU_DEP_2) | instskip(NEXT) | instid1(VALU_DEP_3)
	v_add_co_u32 v19, vcc_lo, s16, v17
	v_add_co_ci_u32_e32 v20, vcc_lo, s17, v18, vcc_lo
	s_delay_alu instid0(VALU_DEP_3) | instskip(NEXT) | instid1(VALU_DEP_4)
	v_add_co_u32 v17, vcc_lo, s16, v21
	v_add_co_ci_u32_e32 v18, vcc_lo, s17, v22, vcc_lo
	s_clause 0x1
	global_load_b32 v21, v[19:20], off
	global_load_b32 v22, v[17:18], off
	s_waitcnt vmcnt(0)
	v_cmpx_eq_u32_e64 v21, v22
	s_cbranch_execz .LBB1569_314
; %bb.308:
	v_add_co_u32 v17, vcc_lo, v17, 4
	v_add_co_ci_u32_e32 v18, vcc_lo, 0, v18, vcc_lo
	v_add_co_u32 v19, vcc_lo, v19, 4
	v_add_co_ci_u32_e32 v20, vcc_lo, 0, v20, vcc_lo
	s_add_u32 s4, s14, -1
	s_addc_u32 s5, s15, -1
	s_mov_b64 s[6:7], 0
	s_mov_b32 s33, 0
                                        ; implicit-def: $sgpr34
	s_set_inst_prefetch_distance 0x1
	s_branch .LBB1569_311
	.p2align	6
.LBB1569_309:                           ;   in Loop: Header=BB1569_311 Depth=1
	global_load_b32 v21, v[19:20], off
	global_load_b32 v22, v[17:18], off
	v_add_co_u32 v17, vcc_lo, v17, 4
	v_add_co_ci_u32_e32 v18, vcc_lo, 0, v18, vcc_lo
	v_add_co_u32 v19, s0, v19, 4
	s_delay_alu instid0(VALU_DEP_1)
	v_add_co_ci_u32_e64 v20, s0, 0, v20, s0
	s_add_u32 s6, s6, 1
	s_addc_u32 s7, s7, 0
	s_and_not1_b32 s0, s34, exec_lo
	s_waitcnt vmcnt(0)
	v_cmp_ne_u32_e32 vcc_lo, v21, v22
	s_and_b32 s34, vcc_lo, exec_lo
	s_delay_alu instid0(SALU_CYCLE_1)
	s_or_b32 s34, s0, s34
.LBB1569_310:                           ;   in Loop: Header=BB1569_311 Depth=1
	v_dual_mov_b32 v22, s7 :: v_dual_mov_b32 v21, s6
	s_and_b32 s0, exec_lo, s34
	s_delay_alu instid0(SALU_CYCLE_1) | instskip(NEXT) | instid1(SALU_CYCLE_1)
	s_or_b32 s33, s0, s33
	s_and_not1_b32 exec_lo, exec_lo, s33
	s_cbranch_execz .LBB1569_313
.LBB1569_311:                           ; =>This Inner Loop Header: Depth=1
	s_or_b32 s34, s34, exec_lo
	s_cmp_eq_u64 s[4:5], s[6:7]
	s_cbranch_scc0 .LBB1569_309
; %bb.312:                              ;   in Loop: Header=BB1569_311 Depth=1
	s_mov_b64 s[6:7], s[14:15]
                                        ; implicit-def: $vgpr17_vgpr18
                                        ; implicit-def: $vgpr19_vgpr20
	s_branch .LBB1569_310
.LBB1569_313:
	s_set_inst_prefetch_distance 0x2
	s_or_b32 exec_lo, exec_lo, s33
	v_cmp_gt_i64_e32 vcc_lo, s[14:15], v[21:22]
	s_or_not1_b32 s0, vcc_lo, exec_lo
.LBB1569_314:
	s_or_b32 exec_lo, exec_lo, s29
.LBB1569_315:
	s_delay_alu instid0(SALU_CYCLE_1)
	s_and_b32 s29, s0, exec_lo
.LBB1569_316:
	s_or_b32 exec_lo, exec_lo, s31
	v_or_b32_e32 v17, 3, v39
	s_mov_b32 s33, 0
	s_mov_b32 s31, 0
	s_mov_b32 s34, exec_lo
	s_delay_alu instid0(VALU_DEP_1)
	v_cmpx_gt_u32_e64 s12, v17
	s_cbranch_execz .LBB1569_327
; %bb.317:
	s_and_not1_b32 vcc_lo, exec_lo, s26
	s_mov_b32 s0, 0
	s_cbranch_vccnz .LBB1569_326
; %bb.318:
	v_mul_lo_u32 v21, v10, s14
	v_mul_lo_u32 v22, v9, s15
	v_mad_u64_u32 v[17:18], null, v9, s14, 0
	v_mul_lo_u32 v23, v12, s14
	v_mul_lo_u32 v24, v11, s15
	v_mad_u64_u32 v[19:20], null, v11, s14, 0
	s_mov_b32 s0, -1
	s_mov_b32 s31, exec_lo
	s_delay_alu instid0(VALU_DEP_4) | instskip(NEXT) | instid1(VALU_DEP_2)
	v_add3_u32 v18, v18, v22, v21
	v_add3_u32 v20, v20, v24, v23
	s_delay_alu instid0(VALU_DEP_2) | instskip(NEXT) | instid1(VALU_DEP_2)
	v_lshlrev_b64 v[17:18], 2, v[17:18]
	v_lshlrev_b64 v[21:22], 2, v[19:20]
	s_delay_alu instid0(VALU_DEP_2) | instskip(NEXT) | instid1(VALU_DEP_3)
	v_add_co_u32 v19, vcc_lo, s16, v17
	v_add_co_ci_u32_e32 v20, vcc_lo, s17, v18, vcc_lo
	s_delay_alu instid0(VALU_DEP_3) | instskip(NEXT) | instid1(VALU_DEP_4)
	v_add_co_u32 v17, vcc_lo, s16, v21
	v_add_co_ci_u32_e32 v18, vcc_lo, s17, v22, vcc_lo
	s_clause 0x1
	global_load_b32 v21, v[19:20], off
	global_load_b32 v22, v[17:18], off
	s_waitcnt vmcnt(0)
	v_cmpx_eq_u32_e64 v21, v22
	s_cbranch_execz .LBB1569_325
; %bb.319:
	v_add_co_u32 v17, vcc_lo, v17, 4
	v_add_co_ci_u32_e32 v18, vcc_lo, 0, v18, vcc_lo
	v_add_co_u32 v19, vcc_lo, v19, 4
	v_add_co_ci_u32_e32 v20, vcc_lo, 0, v20, vcc_lo
	s_add_u32 s4, s14, -1
	s_addc_u32 s5, s15, -1
	s_mov_b64 s[6:7], 0
	s_mov_b32 s35, 0
                                        ; implicit-def: $sgpr36
	s_set_inst_prefetch_distance 0x1
	s_branch .LBB1569_322
	.p2align	6
.LBB1569_320:                           ;   in Loop: Header=BB1569_322 Depth=1
	global_load_b32 v21, v[19:20], off
	global_load_b32 v22, v[17:18], off
	v_add_co_u32 v17, vcc_lo, v17, 4
	v_add_co_ci_u32_e32 v18, vcc_lo, 0, v18, vcc_lo
	v_add_co_u32 v19, s0, v19, 4
	s_delay_alu instid0(VALU_DEP_1)
	v_add_co_ci_u32_e64 v20, s0, 0, v20, s0
	s_add_u32 s6, s6, 1
	s_addc_u32 s7, s7, 0
	s_and_not1_b32 s0, s36, exec_lo
	s_waitcnt vmcnt(0)
	v_cmp_ne_u32_e32 vcc_lo, v21, v22
	s_and_b32 s36, vcc_lo, exec_lo
	s_delay_alu instid0(SALU_CYCLE_1)
	s_or_b32 s36, s0, s36
.LBB1569_321:                           ;   in Loop: Header=BB1569_322 Depth=1
	v_dual_mov_b32 v22, s7 :: v_dual_mov_b32 v21, s6
	s_and_b32 s0, exec_lo, s36
	s_delay_alu instid0(SALU_CYCLE_1) | instskip(NEXT) | instid1(SALU_CYCLE_1)
	s_or_b32 s35, s0, s35
	s_and_not1_b32 exec_lo, exec_lo, s35
	s_cbranch_execz .LBB1569_324
.LBB1569_322:                           ; =>This Inner Loop Header: Depth=1
	s_or_b32 s36, s36, exec_lo
	s_cmp_eq_u64 s[4:5], s[6:7]
	s_cbranch_scc0 .LBB1569_320
; %bb.323:                              ;   in Loop: Header=BB1569_322 Depth=1
	s_mov_b64 s[6:7], s[14:15]
                                        ; implicit-def: $vgpr17_vgpr18
                                        ; implicit-def: $vgpr19_vgpr20
	s_branch .LBB1569_321
.LBB1569_324:
	s_set_inst_prefetch_distance 0x2
	s_or_b32 exec_lo, exec_lo, s35
	v_cmp_gt_i64_e32 vcc_lo, s[14:15], v[21:22]
	s_or_not1_b32 s0, vcc_lo, exec_lo
.LBB1569_325:
	s_or_b32 exec_lo, exec_lo, s31
.LBB1569_326:
	s_delay_alu instid0(SALU_CYCLE_1)
	s_and_b32 s31, s0, exec_lo
.LBB1569_327:
	s_or_b32 exec_lo, exec_lo, s34
	v_or_b32_e32 v17, 2, v39
	s_mov_b32 s34, exec_lo
	s_delay_alu instid0(VALU_DEP_1)
	v_cmpx_gt_u32_e64 s12, v17
	s_cbranch_execz .LBB1569_338
; %bb.328:
	s_and_not1_b32 vcc_lo, exec_lo, s26
	s_mov_b32 s0, 0
	s_cbranch_vccnz .LBB1569_337
; %bb.329:
	v_mul_lo_u32 v21, v16, s14
	v_mul_lo_u32 v22, v15, s15
	v_mad_u64_u32 v[17:18], null, v15, s14, 0
	v_mul_lo_u32 v23, v10, s14
	v_mul_lo_u32 v24, v9, s15
	v_mad_u64_u32 v[19:20], null, v9, s14, 0
	s_mov_b32 s0, -1
	s_mov_b32 s33, exec_lo
	s_delay_alu instid0(VALU_DEP_4) | instskip(NEXT) | instid1(VALU_DEP_2)
	v_add3_u32 v18, v18, v22, v21
	v_add3_u32 v20, v20, v24, v23
	s_delay_alu instid0(VALU_DEP_2) | instskip(NEXT) | instid1(VALU_DEP_2)
	v_lshlrev_b64 v[17:18], 2, v[17:18]
	v_lshlrev_b64 v[21:22], 2, v[19:20]
	s_delay_alu instid0(VALU_DEP_2) | instskip(NEXT) | instid1(VALU_DEP_3)
	v_add_co_u32 v19, vcc_lo, s16, v17
	v_add_co_ci_u32_e32 v20, vcc_lo, s17, v18, vcc_lo
	s_delay_alu instid0(VALU_DEP_3) | instskip(NEXT) | instid1(VALU_DEP_4)
	v_add_co_u32 v17, vcc_lo, s16, v21
	v_add_co_ci_u32_e32 v18, vcc_lo, s17, v22, vcc_lo
	s_clause 0x1
	global_load_b32 v21, v[19:20], off
	global_load_b32 v22, v[17:18], off
	s_waitcnt vmcnt(0)
	v_cmpx_eq_u32_e64 v21, v22
	s_cbranch_execz .LBB1569_336
; %bb.330:
	v_add_co_u32 v17, vcc_lo, v17, 4
	v_add_co_ci_u32_e32 v18, vcc_lo, 0, v18, vcc_lo
	v_add_co_u32 v19, vcc_lo, v19, 4
	v_add_co_ci_u32_e32 v20, vcc_lo, 0, v20, vcc_lo
	s_add_u32 s4, s14, -1
	s_addc_u32 s5, s15, -1
	s_mov_b64 s[6:7], 0
	s_mov_b32 s35, 0
                                        ; implicit-def: $sgpr36
	s_set_inst_prefetch_distance 0x1
	s_branch .LBB1569_333
	.p2align	6
.LBB1569_331:                           ;   in Loop: Header=BB1569_333 Depth=1
	global_load_b32 v21, v[19:20], off
	global_load_b32 v22, v[17:18], off
	v_add_co_u32 v17, vcc_lo, v17, 4
	v_add_co_ci_u32_e32 v18, vcc_lo, 0, v18, vcc_lo
	v_add_co_u32 v19, s0, v19, 4
	s_delay_alu instid0(VALU_DEP_1)
	v_add_co_ci_u32_e64 v20, s0, 0, v20, s0
	s_add_u32 s6, s6, 1
	s_addc_u32 s7, s7, 0
	s_and_not1_b32 s0, s36, exec_lo
	s_waitcnt vmcnt(0)
	v_cmp_ne_u32_e32 vcc_lo, v21, v22
	s_and_b32 s36, vcc_lo, exec_lo
	s_delay_alu instid0(SALU_CYCLE_1)
	s_or_b32 s36, s0, s36
.LBB1569_332:                           ;   in Loop: Header=BB1569_333 Depth=1
	v_dual_mov_b32 v22, s7 :: v_dual_mov_b32 v21, s6
	s_and_b32 s0, exec_lo, s36
	s_delay_alu instid0(SALU_CYCLE_1) | instskip(NEXT) | instid1(SALU_CYCLE_1)
	s_or_b32 s35, s0, s35
	s_and_not1_b32 exec_lo, exec_lo, s35
	s_cbranch_execz .LBB1569_335
.LBB1569_333:                           ; =>This Inner Loop Header: Depth=1
	s_or_b32 s36, s36, exec_lo
	s_cmp_eq_u64 s[4:5], s[6:7]
	s_cbranch_scc0 .LBB1569_331
; %bb.334:                              ;   in Loop: Header=BB1569_333 Depth=1
	s_mov_b64 s[6:7], s[14:15]
                                        ; implicit-def: $vgpr17_vgpr18
                                        ; implicit-def: $vgpr19_vgpr20
	s_branch .LBB1569_332
.LBB1569_335:
	s_set_inst_prefetch_distance 0x2
	s_or_b32 exec_lo, exec_lo, s35
	v_cmp_gt_i64_e32 vcc_lo, s[14:15], v[21:22]
	s_or_not1_b32 s0, vcc_lo, exec_lo
.LBB1569_336:
	s_or_b32 exec_lo, exec_lo, s33
.LBB1569_337:
	s_delay_alu instid0(SALU_CYCLE_1)
	s_and_b32 s33, s0, exec_lo
.LBB1569_338:
	s_or_b32 exec_lo, exec_lo, s34
	v_or_b32_e32 v17, 1, v39
	s_mov_b32 s0, 0
	s_mov_b32 s34, exec_lo
	s_delay_alu instid0(VALU_DEP_1)
	v_cmpx_gt_u32_e64 s12, v17
	s_cbranch_execz .LBB1569_349
; %bb.339:
	s_and_not1_b32 vcc_lo, exec_lo, s26
	s_cbranch_vccnz .LBB1569_348
; %bb.340:
	v_mul_lo_u32 v21, v14, s14
	v_mul_lo_u32 v22, v13, s15
	v_mad_u64_u32 v[17:18], null, v13, s14, 0
	v_mul_lo_u32 v23, v16, s14
	v_mul_lo_u32 v24, v15, s15
	v_mad_u64_u32 v[19:20], null, v15, s14, 0
	s_mov_b32 s0, -1
	s_mov_b32 s35, exec_lo
	s_delay_alu instid0(VALU_DEP_4) | instskip(NEXT) | instid1(VALU_DEP_2)
	v_add3_u32 v18, v18, v22, v21
	v_add3_u32 v20, v20, v24, v23
	s_delay_alu instid0(VALU_DEP_2) | instskip(NEXT) | instid1(VALU_DEP_2)
	v_lshlrev_b64 v[17:18], 2, v[17:18]
	v_lshlrev_b64 v[21:22], 2, v[19:20]
	s_delay_alu instid0(VALU_DEP_2) | instskip(NEXT) | instid1(VALU_DEP_3)
	v_add_co_u32 v19, vcc_lo, s16, v17
	v_add_co_ci_u32_e32 v20, vcc_lo, s17, v18, vcc_lo
	s_delay_alu instid0(VALU_DEP_3) | instskip(NEXT) | instid1(VALU_DEP_4)
	v_add_co_u32 v17, vcc_lo, s16, v21
	v_add_co_ci_u32_e32 v18, vcc_lo, s17, v22, vcc_lo
	s_clause 0x1
	global_load_b32 v21, v[19:20], off
	global_load_b32 v22, v[17:18], off
	s_waitcnt vmcnt(0)
	v_cmpx_eq_u32_e64 v21, v22
	s_cbranch_execz .LBB1569_347
; %bb.341:
	v_add_co_u32 v17, vcc_lo, v17, 4
	v_add_co_ci_u32_e32 v18, vcc_lo, 0, v18, vcc_lo
	v_add_co_u32 v19, vcc_lo, v19, 4
	v_add_co_ci_u32_e32 v20, vcc_lo, 0, v20, vcc_lo
	s_add_u32 s4, s14, -1
	s_addc_u32 s5, s15, -1
	s_mov_b64 s[6:7], 0
	s_mov_b32 s36, 0
                                        ; implicit-def: $sgpr37
	s_set_inst_prefetch_distance 0x1
	s_branch .LBB1569_344
	.p2align	6
.LBB1569_342:                           ;   in Loop: Header=BB1569_344 Depth=1
	global_load_b32 v21, v[19:20], off
	global_load_b32 v22, v[17:18], off
	v_add_co_u32 v17, vcc_lo, v17, 4
	v_add_co_ci_u32_e32 v18, vcc_lo, 0, v18, vcc_lo
	v_add_co_u32 v19, s0, v19, 4
	s_delay_alu instid0(VALU_DEP_1)
	v_add_co_ci_u32_e64 v20, s0, 0, v20, s0
	s_add_u32 s6, s6, 1
	s_addc_u32 s7, s7, 0
	s_and_not1_b32 s0, s37, exec_lo
	s_waitcnt vmcnt(0)
	v_cmp_ne_u32_e32 vcc_lo, v21, v22
	s_and_b32 s37, vcc_lo, exec_lo
	s_delay_alu instid0(SALU_CYCLE_1)
	s_or_b32 s37, s0, s37
.LBB1569_343:                           ;   in Loop: Header=BB1569_344 Depth=1
	v_dual_mov_b32 v22, s7 :: v_dual_mov_b32 v21, s6
	s_and_b32 s0, exec_lo, s37
	s_delay_alu instid0(SALU_CYCLE_1) | instskip(NEXT) | instid1(SALU_CYCLE_1)
	s_or_b32 s36, s0, s36
	s_and_not1_b32 exec_lo, exec_lo, s36
	s_cbranch_execz .LBB1569_346
.LBB1569_344:                           ; =>This Inner Loop Header: Depth=1
	s_or_b32 s37, s37, exec_lo
	s_cmp_eq_u64 s[4:5], s[6:7]
	s_cbranch_scc0 .LBB1569_342
; %bb.345:                              ;   in Loop: Header=BB1569_344 Depth=1
	s_mov_b64 s[6:7], s[14:15]
                                        ; implicit-def: $vgpr17_vgpr18
                                        ; implicit-def: $vgpr19_vgpr20
	s_branch .LBB1569_343
.LBB1569_346:
	s_set_inst_prefetch_distance 0x2
	s_or_b32 exec_lo, exec_lo, s36
	v_cmp_gt_i64_e32 vcc_lo, s[14:15], v[21:22]
	s_or_not1_b32 s0, vcc_lo, exec_lo
.LBB1569_347:
	s_or_b32 exec_lo, exec_lo, s35
.LBB1569_348:
	s_delay_alu instid0(SALU_CYCLE_1)
	s_and_b32 s0, s0, exec_lo
.LBB1569_349:
	s_or_b32 exec_lo, exec_lo, s34
	v_cndmask_b32_e64 v18, 0, 1, s31
	v_cndmask_b32_e64 v19, 0, 1, s30
	;; [unrolled: 1-line block ×7, first 2 shown]
	v_lshlrev_b16 v19, 8, v19
	v_lshlrev_b16 v20, 8, v20
	;; [unrolled: 1-line block ×4, first 2 shown]
	s_waitcnt lgkmcnt(0)
	v_or_b32_e32 v19, v22, v19
	v_or_b32_e32 v20, v23, v20
	;; [unrolled: 1-line block ×4, first 2 shown]
	s_barrier
	v_and_b32_e32 v18, 0xffff, v19
	v_lshlrev_b32_e32 v19, 16, v20
	v_and_b32_e32 v21, 0xffff, v21
	v_lshlrev_b32_e32 v17, 16, v17
	buffer_gl0_inv
                                        ; implicit-def: $sgpr0
	v_or_b32_e32 v20, v18, v19
	v_or_b32_e32 v19, v21, v17
	s_and_saveexec_b32 s27, s3
	s_cbranch_execz .LBB1569_362
; %bb.350:
	s_mov_b32 s0, 0
	s_mov_b32 s3, exec_lo
	v_cmpx_gt_u32_e64 s12, v39
	s_cbranch_execz .LBB1569_361
; %bb.351:
	s_and_not1_b32 vcc_lo, exec_lo, s26
	s_cbranch_vccnz .LBB1569_360
; %bb.352:
	v_add_nc_u32_e32 v17, -8, v39
	v_mul_lo_u32 v25, v14, s14
	v_mul_lo_u32 v26, v13, s15
	s_mov_b32 s0, -1
	ds_load_b64 v[17:18], v17
	s_waitcnt lgkmcnt(0)
	v_mul_lo_u32 v23, v18, s14
	v_mul_lo_u32 v24, v17, s15
	v_mad_u64_u32 v[21:22], null, v17, s14, 0
	v_mad_u64_u32 v[17:18], null, v13, s14, 0
	s_delay_alu instid0(VALU_DEP_2) | instskip(NEXT) | instid1(VALU_DEP_2)
	v_add3_u32 v22, v22, v24, v23
	v_add3_u32 v18, v18, v26, v25
	s_delay_alu instid0(VALU_DEP_2) | instskip(NEXT) | instid1(VALU_DEP_2)
	v_lshlrev_b64 v[21:22], 2, v[21:22]
	v_lshlrev_b64 v[17:18], 2, v[17:18]
	s_delay_alu instid0(VALU_DEP_2) | instskip(NEXT) | instid1(VALU_DEP_3)
	v_add_co_u32 v21, vcc_lo, s16, v21
	v_add_co_ci_u32_e32 v22, vcc_lo, s17, v22, vcc_lo
	s_delay_alu instid0(VALU_DEP_3) | instskip(NEXT) | instid1(VALU_DEP_4)
	v_add_co_u32 v17, vcc_lo, s16, v17
	v_add_co_ci_u32_e32 v18, vcc_lo, s17, v18, vcc_lo
	s_clause 0x1
	global_load_b32 v23, v[21:22], off
	global_load_b32 v24, v[17:18], off
	s_mov_b32 s16, exec_lo
	s_waitcnt vmcnt(0)
	v_cmpx_eq_u32_e64 v23, v24
	s_cbranch_execz .LBB1569_359
; %bb.353:
	v_add_co_u32 v17, vcc_lo, v17, 4
	v_add_co_ci_u32_e32 v18, vcc_lo, 0, v18, vcc_lo
	v_add_co_u32 v21, vcc_lo, v21, 4
	v_add_co_ci_u32_e32 v22, vcc_lo, 0, v22, vcc_lo
	s_add_u32 s4, s14, -1
	s_addc_u32 s5, s15, -1
	s_mov_b64 s[6:7], 0
	s_mov_b32 s17, 0
                                        ; implicit-def: $sgpr26
	s_set_inst_prefetch_distance 0x1
	s_branch .LBB1569_356
	.p2align	6
.LBB1569_354:                           ;   in Loop: Header=BB1569_356 Depth=1
	global_load_b32 v23, v[21:22], off
	global_load_b32 v24, v[17:18], off
	v_add_co_u32 v17, vcc_lo, v17, 4
	v_add_co_ci_u32_e32 v18, vcc_lo, 0, v18, vcc_lo
	v_add_co_u32 v21, s0, v21, 4
	s_delay_alu instid0(VALU_DEP_1)
	v_add_co_ci_u32_e64 v22, s0, 0, v22, s0
	s_add_u32 s6, s6, 1
	s_addc_u32 s7, s7, 0
	s_and_not1_b32 s0, s26, exec_lo
	s_waitcnt vmcnt(0)
	v_cmp_ne_u32_e32 vcc_lo, v23, v24
	s_and_b32 s26, vcc_lo, exec_lo
	s_delay_alu instid0(SALU_CYCLE_1)
	s_or_b32 s26, s0, s26
.LBB1569_355:                           ;   in Loop: Header=BB1569_356 Depth=1
	v_dual_mov_b32 v24, s7 :: v_dual_mov_b32 v23, s6
	s_and_b32 s0, exec_lo, s26
	s_delay_alu instid0(SALU_CYCLE_1) | instskip(NEXT) | instid1(SALU_CYCLE_1)
	s_or_b32 s17, s0, s17
	s_and_not1_b32 exec_lo, exec_lo, s17
	s_cbranch_execz .LBB1569_358
.LBB1569_356:                           ; =>This Inner Loop Header: Depth=1
	s_or_b32 s26, s26, exec_lo
	s_cmp_eq_u64 s[4:5], s[6:7]
	s_cbranch_scc0 .LBB1569_354
; %bb.357:                              ;   in Loop: Header=BB1569_356 Depth=1
	s_mov_b64 s[6:7], s[14:15]
                                        ; implicit-def: $vgpr17_vgpr18
                                        ; implicit-def: $vgpr21_vgpr22
	s_branch .LBB1569_355
.LBB1569_358:
	s_set_inst_prefetch_distance 0x2
	s_or_b32 exec_lo, exec_lo, s17
	v_cmp_gt_i64_e32 vcc_lo, s[14:15], v[23:24]
	s_or_not1_b32 s0, vcc_lo, exec_lo
.LBB1569_359:
	s_or_b32 exec_lo, exec_lo, s16
.LBB1569_360:
	s_delay_alu instid0(SALU_CYCLE_1)
	s_and_b32 s0, s0, exec_lo
.LBB1569_361:
	s_or_b32 exec_lo, exec_lo, s3
	s_delay_alu instid0(SALU_CYCLE_1)
	s_and_b32 s0, s0, exec_lo
	s_or_b32 s25, s25, exec_lo
.LBB1569_362:
	s_or_b32 exec_lo, exec_lo, s27
.LBB1569_363:
	s_and_saveexec_b32 s3, s25
	s_cbranch_execz .LBB1569_365
; %bb.364:
	s_waitcnt vmcnt(0) lgkmcnt(0)
	v_and_b32_e32 v17, 0xffffff00, v19
	v_cndmask_b32_e64 v18, 0, 1, s0
	s_delay_alu instid0(VALU_DEP_1) | instskip(NEXT) | instid1(VALU_DEP_1)
	v_or_b32_e32 v17, v18, v17
	v_and_b32_e32 v17, 0xffff, v17
	s_delay_alu instid0(VALU_DEP_1)
	v_and_or_b32 v19, 0xffff0000, v19, v17
.LBB1569_365:
	s_or_b32 exec_lo, exec_lo, s3
	s_delay_alu instid0(SALU_CYCLE_1)
	s_and_not1_b32 vcc_lo, exec_lo, s1
	s_cbranch_vccnz .LBB1569_367
; %bb.366:
	v_cmp_gt_u32_e32 vcc_lo, s12, v39
	s_waitcnt vmcnt(0) lgkmcnt(0)
	v_or_b32_e32 v18, 1, v39
	v_and_b32_e32 v21, 0xffffff00, v20
	v_or_b32_e32 v22, 2, v39
	v_cndmask_b32_e32 v17, 0, v19, vcc_lo
	s_delay_alu instid0(VALU_DEP_4) | instskip(SKIP_1) | instid1(VALU_DEP_4)
	v_cmp_gt_u32_e32 vcc_lo, s12, v18
	v_or_b32_e32 v18, 4, v39
	v_cmp_gt_u32_e64 s0, s12, v22
	v_or_b32_e32 v22, 3, v39
	v_and_b32_e32 v17, 0xff, v17
	s_delay_alu instid0(VALU_DEP_2) | instskip(NEXT) | instid1(VALU_DEP_2)
	v_cmp_gt_u32_e64 s1, s12, v22
	v_cndmask_b32_e32 v17, v17, v19, vcc_lo
	v_cmp_gt_u32_e32 vcc_lo, s12, v18
	v_cndmask_b32_e32 v18, v21, v20, vcc_lo
	v_or_b32_e32 v21, 5, v39
	s_delay_alu instid0(VALU_DEP_2) | instskip(SKIP_1) | instid1(VALU_DEP_1)
	v_and_b32_e32 v18, 0xffff00ff, v18
	v_and_b32_e32 v17, 0xffff, v17
	v_cndmask_b32_e64 v17, v17, v19, s0
	s_delay_alu instid0(VALU_DEP_4) | instskip(SKIP_1) | instid1(VALU_DEP_3)
	v_cmp_gt_u32_e64 s0, s12, v21
	v_or_b32_e32 v21, 6, v39
	v_and_b32_e32 v17, 0xffffff, v17
	s_delay_alu instid0(VALU_DEP_3) | instskip(NEXT) | instid1(VALU_DEP_2)
	v_cndmask_b32_e64 v18, v18, v20, s0
	v_cndmask_b32_e64 v17, v17, v19, s1
	s_delay_alu instid0(VALU_DEP_1) | instskip(SKIP_2) | instid1(VALU_DEP_3)
	v_dual_cndmask_b32 v17, v17, v19 :: v_dual_and_b32 v18, 0xff00ffff, v18
	v_cmp_gt_u32_e32 vcc_lo, s12, v21
	v_or_b32_e32 v21, 7, v39
	v_cndmask_b32_e64 v17, v17, v19, s0
	s_delay_alu instid0(VALU_DEP_1) | instskip(NEXT) | instid1(VALU_DEP_1)
	v_dual_cndmask_b32 v18, v18, v20 :: v_dual_cndmask_b32 v17, v17, v19
	v_and_b32_e32 v18, 0xffffff, v18
	s_delay_alu instid0(VALU_DEP_4) | instskip(NEXT) | instid1(VALU_DEP_2)
	v_cmp_gt_u32_e32 vcc_lo, s12, v21
	v_dual_cndmask_b32 v20, v18, v20 :: v_dual_cndmask_b32 v19, v17, v19
.LBB1569_367:
	s_delay_alu instid0(VALU_DEP_1) | instskip(SKIP_1) | instid1(VALU_DEP_2)
	v_and_b32_e32 v28, 0xff, v19
	s_waitcnt vmcnt(0) lgkmcnt(0)
	v_alignbit_b32 v17, v20, v19, 24
	v_bfe_u32 v30, v19, 8, 8
	v_bfe_u32 v32, v19, 16, 8
	v_and_b32_e32 v36, 0xff, v20
	v_bfe_u32 v38, v20, 8, 8
	v_and_b32_e32 v34, 0xff, v17
	v_add_nc_u32_e32 v17, v30, v28
	v_mbcnt_lo_u32_b32 v42, -1, 0
	v_bfe_u32 v41, v20, 16, 8
	v_lshrrev_b32_e32 v40, 24, v20
	v_lshrrev_b32_e32 v43, 5, v0
	v_add3_u32 v17, v17, v32, v34
	v_and_b32_e32 v18, 15, v42
	v_and_b32_e32 v21, 16, v42
	s_and_b32 vcc_lo, exec_lo, s24
	s_mov_b32 s7, -1
	v_add3_u32 v17, v17, v36, v38
	v_cmp_eq_u32_e64 s3, 0, v18
	v_cmp_lt_u32_e64 s0, 1, v18
	v_cmp_lt_u32_e64 s4, 3, v18
	;; [unrolled: 1-line block ×3, first 2 shown]
	v_add3_u32 v44, v17, v41, v40
	v_or_b32_e32 v17, 31, v0
	v_cmp_eq_u32_e64 s6, 0, v21
	s_barrier
	buffer_gl0_inv
	v_cmp_eq_u32_e64 s5, v17, v0
	s_cbranch_vccz .LBB1569_393
; %bb.368:
	v_mov_b32_dpp v17, v44 row_shr:1 row_mask:0xf bank_mask:0xf
	s_delay_alu instid0(VALU_DEP_1) | instskip(NEXT) | instid1(VALU_DEP_1)
	v_cndmask_b32_e64 v17, v17, 0, s3
	v_add_nc_u32_e32 v17, v17, v44
	s_delay_alu instid0(VALU_DEP_1) | instskip(NEXT) | instid1(VALU_DEP_1)
	v_mov_b32_dpp v18, v17 row_shr:2 row_mask:0xf bank_mask:0xf
	v_cndmask_b32_e64 v18, 0, v18, s0
	s_delay_alu instid0(VALU_DEP_1) | instskip(NEXT) | instid1(VALU_DEP_1)
	v_add_nc_u32_e32 v17, v17, v18
	v_mov_b32_dpp v18, v17 row_shr:4 row_mask:0xf bank_mask:0xf
	s_delay_alu instid0(VALU_DEP_1) | instskip(NEXT) | instid1(VALU_DEP_1)
	v_cndmask_b32_e64 v18, 0, v18, s4
	v_add_nc_u32_e32 v17, v17, v18
	s_delay_alu instid0(VALU_DEP_1) | instskip(NEXT) | instid1(VALU_DEP_1)
	v_mov_b32_dpp v18, v17 row_shr:8 row_mask:0xf bank_mask:0xf
	v_cndmask_b32_e64 v18, 0, v18, s1
	s_delay_alu instid0(VALU_DEP_1) | instskip(SKIP_3) | instid1(VALU_DEP_1)
	v_add_nc_u32_e32 v17, v17, v18
	ds_swizzle_b32 v18, v17 offset:swizzle(BROADCAST,32,15)
	s_waitcnt lgkmcnt(0)
	v_cndmask_b32_e64 v18, v18, 0, s6
	v_add_nc_u32_e32 v17, v17, v18
	s_and_saveexec_b32 s7, s5
	s_cbranch_execz .LBB1569_370
; %bb.369:
	v_lshlrev_b32_e32 v18, 2, v43
	ds_store_b32 v18, v17
.LBB1569_370:
	s_or_b32 exec_lo, exec_lo, s7
	s_delay_alu instid0(SALU_CYCLE_1)
	s_mov_b32 s7, exec_lo
	s_waitcnt lgkmcnt(0)
	s_barrier
	buffer_gl0_inv
	v_cmpx_gt_u32_e32 16, v0
	s_cbranch_execz .LBB1569_372
; %bb.371:
	v_lshlrev_b32_e32 v18, 2, v0
	ds_load_b32 v21, v18
	s_waitcnt lgkmcnt(0)
	v_mov_b32_dpp v22, v21 row_shr:1 row_mask:0xf bank_mask:0xf
	s_delay_alu instid0(VALU_DEP_1) | instskip(NEXT) | instid1(VALU_DEP_1)
	v_cndmask_b32_e64 v22, v22, 0, s3
	v_add_nc_u32_e32 v21, v22, v21
	s_delay_alu instid0(VALU_DEP_1) | instskip(NEXT) | instid1(VALU_DEP_1)
	v_mov_b32_dpp v22, v21 row_shr:2 row_mask:0xf bank_mask:0xf
	v_cndmask_b32_e64 v22, 0, v22, s0
	s_delay_alu instid0(VALU_DEP_1) | instskip(NEXT) | instid1(VALU_DEP_1)
	v_add_nc_u32_e32 v21, v21, v22
	v_mov_b32_dpp v22, v21 row_shr:4 row_mask:0xf bank_mask:0xf
	s_delay_alu instid0(VALU_DEP_1) | instskip(NEXT) | instid1(VALU_DEP_1)
	v_cndmask_b32_e64 v22, 0, v22, s4
	v_add_nc_u32_e32 v21, v21, v22
	s_delay_alu instid0(VALU_DEP_1) | instskip(NEXT) | instid1(VALU_DEP_1)
	v_mov_b32_dpp v22, v21 row_shr:8 row_mask:0xf bank_mask:0xf
	v_cndmask_b32_e64 v22, 0, v22, s1
	s_delay_alu instid0(VALU_DEP_1)
	v_add_nc_u32_e32 v21, v21, v22
	ds_store_b32 v18, v21
.LBB1569_372:
	s_or_b32 exec_lo, exec_lo, s7
	v_cmp_gt_u32_e32 vcc_lo, 32, v0
	s_mov_b32 s12, exec_lo
	s_waitcnt lgkmcnt(0)
	s_barrier
	buffer_gl0_inv
                                        ; implicit-def: $vgpr27
	v_cmpx_lt_u32_e32 31, v0
	s_cbranch_execz .LBB1569_374
; %bb.373:
	v_lshl_add_u32 v18, v43, 2, -4
	ds_load_b32 v27, v18
	s_waitcnt lgkmcnt(0)
	v_add_nc_u32_e32 v17, v27, v17
.LBB1569_374:
	s_or_b32 exec_lo, exec_lo, s12
	v_add_nc_u32_e32 v18, -1, v42
	s_delay_alu instid0(VALU_DEP_1) | instskip(NEXT) | instid1(VALU_DEP_1)
	v_cmp_gt_i32_e64 s7, 0, v18
	v_cndmask_b32_e64 v18, v18, v42, s7
	v_cmp_eq_u32_e64 s7, 0, v42
	s_delay_alu instid0(VALU_DEP_2)
	v_lshlrev_b32_e32 v18, 2, v18
	ds_bpermute_b32 v29, v18, v17
	s_and_saveexec_b32 s12, vcc_lo
	s_cbranch_execz .LBB1569_392
; %bb.375:
	v_mov_b32_e32 v23, 0
	ds_load_b32 v17, v23 offset:60
	s_and_saveexec_b32 s14, s7
	s_cbranch_execz .LBB1569_377
; %bb.376:
	s_add_i32 s16, s23, 32
	s_mov_b32 s17, 0
	v_mov_b32_e32 v18, 1
	s_lshl_b64 s[16:17], s[16:17], 3
	s_delay_alu instid0(SALU_CYCLE_1)
	s_add_u32 s16, s18, s16
	s_addc_u32 s17, s19, s17
	s_waitcnt lgkmcnt(0)
	global_store_b64 v23, v[17:18], s[16:17]
.LBB1569_377:
	s_or_b32 exec_lo, exec_lo, s14
	v_xad_u32 v21, v42, -1, s23
	s_mov_b32 s15, 0
	s_mov_b32 s14, exec_lo
	s_delay_alu instid0(VALU_DEP_1) | instskip(NEXT) | instid1(VALU_DEP_1)
	v_add_nc_u32_e32 v22, 32, v21
	v_lshlrev_b64 v[22:23], 3, v[22:23]
	s_delay_alu instid0(VALU_DEP_1) | instskip(NEXT) | instid1(VALU_DEP_2)
	v_add_co_u32 v25, vcc_lo, s18, v22
	v_add_co_ci_u32_e32 v26, vcc_lo, s19, v23, vcc_lo
	global_load_b64 v[23:24], v[25:26], off glc
	s_waitcnt vmcnt(0)
	v_and_b32_e32 v18, 0xff, v24
	s_delay_alu instid0(VALU_DEP_1)
	v_cmpx_eq_u16_e32 0, v18
	s_cbranch_execz .LBB1569_380
.LBB1569_378:                           ; =>This Inner Loop Header: Depth=1
	global_load_b64 v[23:24], v[25:26], off glc
	s_waitcnt vmcnt(0)
	v_and_b32_e32 v18, 0xff, v24
	s_delay_alu instid0(VALU_DEP_1) | instskip(SKIP_1) | instid1(SALU_CYCLE_1)
	v_cmp_ne_u16_e32 vcc_lo, 0, v18
	s_or_b32 s15, vcc_lo, s15
	s_and_not1_b32 exec_lo, exec_lo, s15
	s_cbranch_execnz .LBB1569_378
; %bb.379:
	s_or_b32 exec_lo, exec_lo, s15
.LBB1569_380:
	s_delay_alu instid0(SALU_CYCLE_1)
	s_or_b32 exec_lo, exec_lo, s14
	v_cmp_ne_u32_e32 vcc_lo, 31, v42
	v_and_b32_e32 v22, 0xff, v24
	v_lshlrev_b32_e64 v31, v42, -1
	v_add_nc_u32_e32 v35, 2, v42
	v_add_nc_u32_e32 v45, 4, v42
	v_add_co_ci_u32_e32 v18, vcc_lo, 0, v42, vcc_lo
	v_cmp_eq_u16_e32 vcc_lo, 2, v22
	v_add_nc_u32_e32 v48, 8, v42
	v_add_nc_u32_e32 v50, 16, v42
	v_and_or_b32 v22, vcc_lo, v31, 0x80000000
	v_cmp_gt_u32_e32 vcc_lo, 30, v42
	s_delay_alu instid0(VALU_DEP_2) | instskip(SKIP_1) | instid1(VALU_DEP_2)
	v_ctz_i32_b32_e32 v22, v22
	v_cndmask_b32_e64 v26, 0, 1, vcc_lo
	v_cmp_lt_u32_e32 vcc_lo, v42, v22
	v_lshlrev_b32_e32 v18, 2, v18
	s_delay_alu instid0(VALU_DEP_3)
	v_lshlrev_b32_e32 v26, 1, v26
	ds_bpermute_b32 v25, v18, v23
	v_add_lshl_u32 v33, v26, v42, 2
	s_waitcnt lgkmcnt(0)
	v_cndmask_b32_e32 v25, 0, v25, vcc_lo
	v_cmp_gt_u32_e32 vcc_lo, 28, v42
	s_delay_alu instid0(VALU_DEP_2) | instskip(SKIP_4) | instid1(VALU_DEP_1)
	v_add_nc_u32_e32 v23, v25, v23
	v_cndmask_b32_e64 v26, 0, 1, vcc_lo
	v_cmp_le_u32_e32 vcc_lo, v35, v22
	ds_bpermute_b32 v25, v33, v23
	v_lshlrev_b32_e32 v26, 2, v26
	v_add_lshl_u32 v37, v26, v42, 2
	s_waitcnt lgkmcnt(0)
	v_cndmask_b32_e32 v25, 0, v25, vcc_lo
	v_cmp_gt_u32_e32 vcc_lo, 24, v42
	s_delay_alu instid0(VALU_DEP_2) | instskip(SKIP_4) | instid1(VALU_DEP_1)
	v_add_nc_u32_e32 v23, v23, v25
	v_cndmask_b32_e64 v26, 0, 1, vcc_lo
	v_cmp_le_u32_e32 vcc_lo, v45, v22
	ds_bpermute_b32 v25, v37, v23
	v_lshlrev_b32_e32 v26, 3, v26
	;; [unrolled: 10-line block ×3, first 2 shown]
	v_add_lshl_u32 v49, v26, v42, 2
	s_waitcnt lgkmcnt(0)
	v_cndmask_b32_e32 v25, 0, v25, vcc_lo
	v_cmp_le_u32_e32 vcc_lo, v50, v22
	s_delay_alu instid0(VALU_DEP_2) | instskip(SKIP_3) | instid1(VALU_DEP_1)
	v_add_nc_u32_e32 v23, v23, v25
	ds_bpermute_b32 v25, v49, v23
	s_waitcnt lgkmcnt(0)
	v_cndmask_b32_e32 v22, 0, v25, vcc_lo
	v_dual_mov_b32 v22, 0 :: v_dual_add_nc_u32 v23, v23, v22
	s_branch .LBB1569_382
.LBB1569_381:                           ;   in Loop: Header=BB1569_382 Depth=1
	s_or_b32 exec_lo, exec_lo, s14
	ds_bpermute_b32 v26, v18, v23
	v_and_b32_e32 v25, 0xff, v24
	v_subrev_nc_u32_e32 v21, 32, v21
	s_delay_alu instid0(VALU_DEP_2) | instskip(SKIP_1) | instid1(VALU_DEP_1)
	v_cmp_eq_u16_e32 vcc_lo, 2, v25
	v_and_or_b32 v25, vcc_lo, v31, 0x80000000
	v_ctz_i32_b32_e32 v25, v25
	s_delay_alu instid0(VALU_DEP_1) | instskip(SKIP_3) | instid1(VALU_DEP_2)
	v_cmp_lt_u32_e32 vcc_lo, v42, v25
	s_waitcnt lgkmcnt(0)
	v_cndmask_b32_e32 v26, 0, v26, vcc_lo
	v_cmp_le_u32_e32 vcc_lo, v35, v25
	v_add_nc_u32_e32 v23, v26, v23
	ds_bpermute_b32 v26, v33, v23
	s_waitcnt lgkmcnt(0)
	v_cndmask_b32_e32 v26, 0, v26, vcc_lo
	v_cmp_le_u32_e32 vcc_lo, v45, v25
	s_delay_alu instid0(VALU_DEP_2) | instskip(SKIP_4) | instid1(VALU_DEP_2)
	v_add_nc_u32_e32 v23, v23, v26
	ds_bpermute_b32 v26, v37, v23
	s_waitcnt lgkmcnt(0)
	v_cndmask_b32_e32 v26, 0, v26, vcc_lo
	v_cmp_le_u32_e32 vcc_lo, v48, v25
	v_add_nc_u32_e32 v23, v23, v26
	ds_bpermute_b32 v26, v47, v23
	s_waitcnt lgkmcnt(0)
	v_cndmask_b32_e32 v26, 0, v26, vcc_lo
	v_cmp_le_u32_e32 vcc_lo, v50, v25
	s_delay_alu instid0(VALU_DEP_2) | instskip(SKIP_3) | instid1(VALU_DEP_1)
	v_add_nc_u32_e32 v23, v23, v26
	ds_bpermute_b32 v26, v49, v23
	s_waitcnt lgkmcnt(0)
	v_cndmask_b32_e32 v25, 0, v26, vcc_lo
	v_add3_u32 v23, v25, v46, v23
.LBB1569_382:                           ; =>This Loop Header: Depth=1
                                        ;     Child Loop BB1569_385 Depth 2
	v_and_b32_e32 v24, 0xff, v24
	s_delay_alu instid0(VALU_DEP_2) | instskip(NEXT) | instid1(VALU_DEP_2)
	v_mov_b32_e32 v46, v23
	v_cmp_ne_u16_e32 vcc_lo, 2, v24
	v_cndmask_b32_e64 v24, 0, 1, vcc_lo
	;;#ASMSTART
	;;#ASMEND
	s_delay_alu instid0(VALU_DEP_1)
	v_cmp_ne_u32_e32 vcc_lo, 0, v24
	s_cmp_lg_u32 vcc_lo, exec_lo
	s_cbranch_scc1 .LBB1569_387
; %bb.383:                              ;   in Loop: Header=BB1569_382 Depth=1
	v_lshlrev_b64 v[23:24], 3, v[21:22]
	s_mov_b32 s14, exec_lo
	s_delay_alu instid0(VALU_DEP_1) | instskip(NEXT) | instid1(VALU_DEP_2)
	v_add_co_u32 v25, vcc_lo, s18, v23
	v_add_co_ci_u32_e32 v26, vcc_lo, s19, v24, vcc_lo
	global_load_b64 v[23:24], v[25:26], off glc
	s_waitcnt vmcnt(0)
	v_and_b32_e32 v51, 0xff, v24
	s_delay_alu instid0(VALU_DEP_1)
	v_cmpx_eq_u16_e32 0, v51
	s_cbranch_execz .LBB1569_381
; %bb.384:                              ;   in Loop: Header=BB1569_382 Depth=1
	s_mov_b32 s15, 0
.LBB1569_385:                           ;   Parent Loop BB1569_382 Depth=1
                                        ; =>  This Inner Loop Header: Depth=2
	global_load_b64 v[23:24], v[25:26], off glc
	s_waitcnt vmcnt(0)
	v_and_b32_e32 v51, 0xff, v24
	s_delay_alu instid0(VALU_DEP_1) | instskip(SKIP_1) | instid1(SALU_CYCLE_1)
	v_cmp_ne_u16_e32 vcc_lo, 0, v51
	s_or_b32 s15, vcc_lo, s15
	s_and_not1_b32 exec_lo, exec_lo, s15
	s_cbranch_execnz .LBB1569_385
; %bb.386:                              ;   in Loop: Header=BB1569_382 Depth=1
	s_or_b32 exec_lo, exec_lo, s15
	s_branch .LBB1569_381
.LBB1569_387:                           ;   in Loop: Header=BB1569_382 Depth=1
                                        ; implicit-def: $vgpr23
                                        ; implicit-def: $vgpr24
	s_cbranch_execz .LBB1569_382
; %bb.388:
	s_and_saveexec_b32 s14, s7
	s_cbranch_execz .LBB1569_390
; %bb.389:
	s_add_i32 s16, s23, 32
	s_mov_b32 s17, 0
	v_dual_mov_b32 v22, 2 :: v_dual_add_nc_u32 v21, v46, v17
	s_lshl_b64 s[16:17], s[16:17], 3
	v_mov_b32_e32 v18, 0
	v_add_nc_u32_e64 v23, 0x8400, 0
	s_add_u32 s16, s18, s16
	s_addc_u32 s17, s19, s17
	global_store_b64 v18, v[21:22], s[16:17]
	ds_store_2addr_b32 v23, v17, v46 offset1:2
.LBB1569_390:
	s_or_b32 exec_lo, exec_lo, s14
	s_delay_alu instid0(SALU_CYCLE_1)
	s_and_b32 exec_lo, exec_lo, s2
	s_cbranch_execz .LBB1569_392
; %bb.391:
	v_mov_b32_e32 v17, 0
	ds_store_b32 v17, v46 offset:60
.LBB1569_392:
	s_or_b32 exec_lo, exec_lo, s12
	v_mov_b32_e32 v17, 0
	s_waitcnt lgkmcnt(0)
	s_waitcnt_vscnt null, 0x0
	s_barrier
	buffer_gl0_inv
	v_cndmask_b32_e64 v18, v29, v27, s7
	ds_load_b32 v17, v17 offset:60
	s_waitcnt lgkmcnt(0)
	s_barrier
	buffer_gl0_inv
	v_cndmask_b32_e64 v18, v18, 0, s2
	s_delay_alu instid0(VALU_DEP_1) | instskip(SKIP_1) | instid1(VALU_DEP_2)
	v_add_nc_u32_e32 v37, v17, v18
	v_add_nc_u32_e64 v17, 0x8400, 0
	v_add_nc_u32_e32 v35, v37, v28
	ds_load_2addr_b32 v[17:18], v17 offset1:2
	v_add_nc_u32_e32 v33, v35, v30
	s_delay_alu instid0(VALU_DEP_1) | instskip(NEXT) | instid1(VALU_DEP_1)
	v_add_nc_u32_e32 v31, v33, v32
	v_add_nc_u32_e32 v29, v31, v34
	s_delay_alu instid0(VALU_DEP_1) | instskip(NEXT) | instid1(VALU_DEP_1)
	v_add_nc_u32_e32 v27, v29, v36
	v_add_nc_u32_e32 v25, v27, v38
	s_delay_alu instid0(VALU_DEP_1)
	v_add_nc_u32_e32 v23, v25, v41
	v_lshrrev_b64 v[21:22], 24, v[19:20]
	s_branch .LBB1569_403
.LBB1569_393:
                                        ; implicit-def: $vgpr23
                                        ; implicit-def: $vgpr25
                                        ; implicit-def: $vgpr27
                                        ; implicit-def: $vgpr29
                                        ; implicit-def: $vgpr31
                                        ; implicit-def: $vgpr33
                                        ; implicit-def: $vgpr35
                                        ; implicit-def: $vgpr37
                                        ; implicit-def: $vgpr18
	v_lshrrev_b64 v[21:22], 24, v[19:20]
	s_and_b32 vcc_lo, exec_lo, s7
	s_cbranch_vccz .LBB1569_403
; %bb.394:
	s_waitcnt lgkmcnt(0)
	v_mov_b32_dpp v17, v44 row_shr:1 row_mask:0xf bank_mask:0xf
	s_delay_alu instid0(VALU_DEP_1) | instskip(NEXT) | instid1(VALU_DEP_1)
	v_cndmask_b32_e64 v17, v17, 0, s3
	v_add_nc_u32_e32 v17, v17, v44
	s_delay_alu instid0(VALU_DEP_1) | instskip(NEXT) | instid1(VALU_DEP_1)
	v_mov_b32_dpp v18, v17 row_shr:2 row_mask:0xf bank_mask:0xf
	v_cndmask_b32_e64 v18, 0, v18, s0
	s_delay_alu instid0(VALU_DEP_1) | instskip(NEXT) | instid1(VALU_DEP_1)
	v_add_nc_u32_e32 v17, v17, v18
	v_mov_b32_dpp v18, v17 row_shr:4 row_mask:0xf bank_mask:0xf
	s_delay_alu instid0(VALU_DEP_1) | instskip(NEXT) | instid1(VALU_DEP_1)
	v_cndmask_b32_e64 v18, 0, v18, s4
	v_add_nc_u32_e32 v17, v17, v18
	s_delay_alu instid0(VALU_DEP_1) | instskip(NEXT) | instid1(VALU_DEP_1)
	v_mov_b32_dpp v18, v17 row_shr:8 row_mask:0xf bank_mask:0xf
	v_cndmask_b32_e64 v18, 0, v18, s1
	s_delay_alu instid0(VALU_DEP_1) | instskip(SKIP_3) | instid1(VALU_DEP_1)
	v_add_nc_u32_e32 v17, v17, v18
	ds_swizzle_b32 v18, v17 offset:swizzle(BROADCAST,32,15)
	s_waitcnt lgkmcnt(0)
	v_cndmask_b32_e64 v18, v18, 0, s6
	v_add_nc_u32_e32 v17, v17, v18
	s_and_saveexec_b32 s6, s5
	s_cbranch_execz .LBB1569_396
; %bb.395:
	v_lshlrev_b32_e32 v18, 2, v43
	ds_store_b32 v18, v17
.LBB1569_396:
	s_or_b32 exec_lo, exec_lo, s6
	s_delay_alu instid0(SALU_CYCLE_1)
	s_mov_b32 s5, exec_lo
	s_waitcnt lgkmcnt(0)
	s_barrier
	buffer_gl0_inv
	v_cmpx_gt_u32_e32 16, v0
	s_cbranch_execz .LBB1569_398
; %bb.397:
	v_lshlrev_b32_e32 v18, 2, v0
	ds_load_b32 v22, v18
	s_waitcnt lgkmcnt(0)
	v_mov_b32_dpp v23, v22 row_shr:1 row_mask:0xf bank_mask:0xf
	s_delay_alu instid0(VALU_DEP_1) | instskip(NEXT) | instid1(VALU_DEP_1)
	v_cndmask_b32_e64 v23, v23, 0, s3
	v_add_nc_u32_e32 v22, v23, v22
	s_delay_alu instid0(VALU_DEP_1) | instskip(NEXT) | instid1(VALU_DEP_1)
	v_mov_b32_dpp v23, v22 row_shr:2 row_mask:0xf bank_mask:0xf
	v_cndmask_b32_e64 v23, 0, v23, s0
	s_delay_alu instid0(VALU_DEP_1) | instskip(NEXT) | instid1(VALU_DEP_1)
	v_add_nc_u32_e32 v22, v22, v23
	v_mov_b32_dpp v23, v22 row_shr:4 row_mask:0xf bank_mask:0xf
	s_delay_alu instid0(VALU_DEP_1) | instskip(NEXT) | instid1(VALU_DEP_1)
	v_cndmask_b32_e64 v23, 0, v23, s4
	v_add_nc_u32_e32 v22, v22, v23
	s_delay_alu instid0(VALU_DEP_1) | instskip(NEXT) | instid1(VALU_DEP_1)
	v_mov_b32_dpp v23, v22 row_shr:8 row_mask:0xf bank_mask:0xf
	v_cndmask_b32_e64 v23, 0, v23, s1
	s_delay_alu instid0(VALU_DEP_1)
	v_add_nc_u32_e32 v22, v22, v23
	ds_store_b32 v18, v22
.LBB1569_398:
	s_or_b32 exec_lo, exec_lo, s5
	v_mov_b32_e32 v18, 0
	v_mov_b32_e32 v22, 0
	s_mov_b32 s0, exec_lo
	s_waitcnt lgkmcnt(0)
	s_barrier
	buffer_gl0_inv
	v_cmpx_lt_u32_e32 31, v0
	s_cbranch_execz .LBB1569_400
; %bb.399:
	v_lshl_add_u32 v22, v43, 2, -4
	ds_load_b32 v22, v22
.LBB1569_400:
	s_or_b32 exec_lo, exec_lo, s0
	v_add_nc_u32_e32 v23, -1, v42
	s_waitcnt lgkmcnt(0)
	v_add_nc_u32_e32 v17, v22, v17
	s_delay_alu instid0(VALU_DEP_2) | instskip(SKIP_1) | instid1(VALU_DEP_1)
	v_cmp_gt_i32_e32 vcc_lo, 0, v23
	v_cndmask_b32_e32 v23, v23, v42, vcc_lo
	v_lshlrev_b32_e32 v23, 2, v23
	ds_bpermute_b32 v23, v23, v17
	ds_load_b32 v17, v18 offset:60
	s_and_saveexec_b32 s0, s2
	s_cbranch_execz .LBB1569_402
; %bb.401:
	v_mov_b32_e32 v24, 0
	v_mov_b32_e32 v18, 2
	s_waitcnt lgkmcnt(0)
	global_store_b64 v24, v[17:18], s[18:19] offset:256
.LBB1569_402:
	s_or_b32 exec_lo, exec_lo, s0
	v_cmp_eq_u32_e32 vcc_lo, 0, v42
	s_waitcnt lgkmcnt(0)
	s_waitcnt_vscnt null, 0x0
	s_barrier
	buffer_gl0_inv
	v_cndmask_b32_e32 v18, v23, v22, vcc_lo
	s_delay_alu instid0(VALU_DEP_1) | instskip(NEXT) | instid1(VALU_DEP_1)
	v_cndmask_b32_e64 v37, v18, 0, s2
	v_dual_mov_b32 v18, 0 :: v_dual_add_nc_u32 v35, v37, v28
	s_delay_alu instid0(VALU_DEP_1) | instskip(NEXT) | instid1(VALU_DEP_1)
	v_add_nc_u32_e32 v33, v35, v30
	v_add_nc_u32_e32 v31, v33, v32
	s_delay_alu instid0(VALU_DEP_1) | instskip(NEXT) | instid1(VALU_DEP_1)
	v_add_nc_u32_e32 v29, v31, v34
	v_add_nc_u32_e32 v27, v29, v36
	;; [unrolled: 3-line block ×3, first 2 shown]
.LBB1569_403:
	s_waitcnt lgkmcnt(0)
	v_cmp_gt_u32_e32 vcc_lo, 0x201, v17
	v_lshrrev_b32_e32 v43, 8, v19
	v_lshrrev_b32_e32 v42, 16, v19
	v_lshrrev_b32_e32 v41, 8, v20
	v_lshrrev_b32_e32 v22, 16, v20
	s_mov_b32 s0, -1
	s_cbranch_vccnz .LBB1569_407
; %bb.404:
	s_and_b32 vcc_lo, exec_lo, s0
	s_cbranch_vccnz .LBB1569_432
.LBB1569_405:
	s_and_b32 s0, s2, s13
	s_delay_alu instid0(SALU_CYCLE_1)
	s_and_saveexec_b32 s1, s0
	s_cbranch_execnz .LBB1569_452
.LBB1569_406:
	s_nop 0
	s_sendmsg sendmsg(MSG_DEALLOC_VGPRS)
	s_endpgm
.LBB1569_407:
	v_add_nc_u32_e32 v24, v18, v17
	s_delay_alu instid0(VALU_DEP_1) | instskip(SKIP_1) | instid1(SALU_CYCLE_1)
	v_cmp_lt_u32_e32 vcc_lo, v37, v24
	s_or_b32 s1, s22, vcc_lo
	s_and_saveexec_b32 s0, s1
	s_cbranch_execz .LBB1569_410
; %bb.408:
	v_and_b32_e32 v26, 1, v19
	s_delay_alu instid0(VALU_DEP_1)
	v_cmp_eq_u32_e32 vcc_lo, 1, v26
	s_and_b32 exec_lo, exec_lo, vcc_lo
	s_cbranch_execz .LBB1569_410
; %bb.409:
	v_mov_b32_e32 v38, 0
	s_lshl_b64 s[4:5], s[10:11], 3
	s_delay_alu instid0(SALU_CYCLE_1) | instskip(SKIP_1) | instid1(VALU_DEP_1)
	s_add_u32 s1, s20, s4
	s_addc_u32 s3, s21, s5
	v_lshlrev_b64 v[44:45], 3, v[37:38]
	s_delay_alu instid0(VALU_DEP_1) | instskip(NEXT) | instid1(VALU_DEP_2)
	v_add_co_u32 v44, vcc_lo, s1, v44
	v_add_co_ci_u32_e32 v45, vcc_lo, s3, v45, vcc_lo
	global_store_b64 v[44:45], v[13:14], off
.LBB1569_410:
	s_or_b32 exec_lo, exec_lo, s0
	v_cmp_lt_u32_e32 vcc_lo, v35, v24
	s_or_b32 s1, s22, vcc_lo
	s_delay_alu instid0(SALU_CYCLE_1)
	s_and_saveexec_b32 s0, s1
	s_cbranch_execz .LBB1569_413
; %bb.411:
	v_and_b32_e32 v26, 1, v43
	s_delay_alu instid0(VALU_DEP_1)
	v_cmp_eq_u32_e32 vcc_lo, 1, v26
	s_and_b32 exec_lo, exec_lo, vcc_lo
	s_cbranch_execz .LBB1569_413
; %bb.412:
	v_mov_b32_e32 v36, 0
	s_lshl_b64 s[4:5], s[10:11], 3
	s_delay_alu instid0(SALU_CYCLE_1) | instskip(SKIP_1) | instid1(VALU_DEP_1)
	s_add_u32 s1, s20, s4
	s_addc_u32 s3, s21, s5
	v_lshlrev_b64 v[44:45], 3, v[35:36]
	s_delay_alu instid0(VALU_DEP_1) | instskip(NEXT) | instid1(VALU_DEP_2)
	v_add_co_u32 v44, vcc_lo, s1, v44
	v_add_co_ci_u32_e32 v45, vcc_lo, s3, v45, vcc_lo
	global_store_b64 v[44:45], v[15:16], off
.LBB1569_413:
	s_or_b32 exec_lo, exec_lo, s0
	v_cmp_lt_u32_e32 vcc_lo, v33, v24
	s_or_b32 s1, s22, vcc_lo
	s_delay_alu instid0(SALU_CYCLE_1)
	;; [unrolled: 24-line block ×7, first 2 shown]
	s_and_saveexec_b32 s0, s1
	s_cbranch_execz .LBB1569_431
; %bb.429:
	v_and_b32_e32 v24, 1, v40
	s_delay_alu instid0(VALU_DEP_1)
	v_cmp_eq_u32_e32 vcc_lo, 1, v24
	s_and_b32 exec_lo, exec_lo, vcc_lo
	s_cbranch_execz .LBB1569_431
; %bb.430:
	v_mov_b32_e32 v24, 0
	s_lshl_b64 s[4:5], s[10:11], 3
	s_delay_alu instid0(SALU_CYCLE_1) | instskip(SKIP_1) | instid1(VALU_DEP_1)
	s_add_u32 s1, s20, s4
	s_addc_u32 s3, s21, s5
	v_lshlrev_b64 v[44:45], 3, v[23:24]
	s_delay_alu instid0(VALU_DEP_1) | instskip(NEXT) | instid1(VALU_DEP_2)
	v_add_co_u32 v44, vcc_lo, s1, v44
	v_add_co_ci_u32_e32 v45, vcc_lo, s3, v45, vcc_lo
	global_store_b64 v[44:45], v[3:4], off
.LBB1569_431:
	s_or_b32 exec_lo, exec_lo, s0
	s_branch .LBB1569_405
.LBB1569_432:
	v_and_b32_e32 v19, 1, v19
	s_mov_b32 s0, exec_lo
	s_delay_alu instid0(VALU_DEP_1)
	v_cmpx_eq_u32_e32 1, v19
	s_cbranch_execz .LBB1569_434
; %bb.433:
	v_sub_nc_u32_e32 v19, v37, v18
	s_delay_alu instid0(VALU_DEP_1)
	v_lshlrev_b32_e32 v19, 3, v19
	ds_store_b64 v19, v[13:14]
.LBB1569_434:
	s_or_b32 exec_lo, exec_lo, s0
	v_and_b32_e32 v13, 1, v43
	s_mov_b32 s0, exec_lo
	s_delay_alu instid0(VALU_DEP_1)
	v_cmpx_eq_u32_e32 1, v13
	s_cbranch_execz .LBB1569_436
; %bb.435:
	v_sub_nc_u32_e32 v13, v35, v18
	s_delay_alu instid0(VALU_DEP_1)
	v_lshlrev_b32_e32 v13, 3, v13
	ds_store_b64 v13, v[15:16]
.LBB1569_436:
	s_or_b32 exec_lo, exec_lo, s0
	v_and_b32_e32 v13, 1, v42
	s_mov_b32 s0, exec_lo
	s_delay_alu instid0(VALU_DEP_1)
	v_cmpx_eq_u32_e32 1, v13
	s_cbranch_execz .LBB1569_438
; %bb.437:
	v_sub_nc_u32_e32 v13, v33, v18
	s_delay_alu instid0(VALU_DEP_1)
	v_lshlrev_b32_e32 v13, 3, v13
	ds_store_b64 v13, v[9:10]
.LBB1569_438:
	s_or_b32 exec_lo, exec_lo, s0
	v_and_b32_e32 v9, 1, v21
	s_mov_b32 s0, exec_lo
	s_delay_alu instid0(VALU_DEP_1)
	v_cmpx_eq_u32_e32 1, v9
	s_cbranch_execz .LBB1569_440
; %bb.439:
	v_sub_nc_u32_e32 v9, v31, v18
	s_delay_alu instid0(VALU_DEP_1)
	v_lshlrev_b32_e32 v9, 3, v9
	ds_store_b64 v9, v[11:12]
.LBB1569_440:
	s_or_b32 exec_lo, exec_lo, s0
	v_and_b32_e32 v9, 1, v20
	s_mov_b32 s0, exec_lo
	s_delay_alu instid0(VALU_DEP_1)
	v_cmpx_eq_u32_e32 1, v9
	s_cbranch_execz .LBB1569_442
; %bb.441:
	v_sub_nc_u32_e32 v9, v29, v18
	s_delay_alu instid0(VALU_DEP_1)
	v_lshlrev_b32_e32 v9, 3, v9
	ds_store_b64 v9, v[5:6]
.LBB1569_442:
	s_or_b32 exec_lo, exec_lo, s0
	v_and_b32_e32 v5, 1, v41
	s_mov_b32 s0, exec_lo
	s_delay_alu instid0(VALU_DEP_1)
	v_cmpx_eq_u32_e32 1, v5
	s_cbranch_execz .LBB1569_444
; %bb.443:
	v_sub_nc_u32_e32 v5, v27, v18
	s_delay_alu instid0(VALU_DEP_1)
	v_lshlrev_b32_e32 v5, 3, v5
	ds_store_b64 v5, v[7:8]
.LBB1569_444:
	s_or_b32 exec_lo, exec_lo, s0
	v_and_b32_e32 v5, 1, v22
	s_mov_b32 s0, exec_lo
	s_delay_alu instid0(VALU_DEP_1)
	v_cmpx_eq_u32_e32 1, v5
	s_cbranch_execz .LBB1569_446
; %bb.445:
	v_sub_nc_u32_e32 v5, v25, v18
	s_delay_alu instid0(VALU_DEP_1)
	v_lshlrev_b32_e32 v5, 3, v5
	ds_store_b64 v5, v[1:2]
.LBB1569_446:
	s_or_b32 exec_lo, exec_lo, s0
	v_and_b32_e32 v1, 1, v40
	s_mov_b32 s0, exec_lo
	s_delay_alu instid0(VALU_DEP_1)
	v_cmpx_eq_u32_e32 1, v1
	s_cbranch_execz .LBB1569_448
; %bb.447:
	v_sub_nc_u32_e32 v1, v23, v18
	s_delay_alu instid0(VALU_DEP_1)
	v_lshlrev_b32_e32 v1, 3, v1
	ds_store_b64 v1, v[3:4]
.LBB1569_448:
	s_or_b32 exec_lo, exec_lo, s0
	s_delay_alu instid0(SALU_CYCLE_1)
	s_mov_b32 s1, exec_lo
	s_waitcnt lgkmcnt(0)
	s_waitcnt_vscnt null, 0x0
	s_barrier
	buffer_gl0_inv
	v_cmpx_lt_u32_e64 v0, v17
	s_cbranch_execz .LBB1569_451
; %bb.449:
	v_dual_mov_b32 v2, 0 :: v_dual_mov_b32 v1, v18
	s_lshl_b64 s[4:5], s[10:11], 3
	s_mov_b32 s3, 0
	s_delay_alu instid0(VALU_DEP_1) | instskip(NEXT) | instid1(VALU_DEP_1)
	v_lshlrev_b64 v[1:2], 3, v[1:2]
	v_add_co_u32 v1, vcc_lo, s4, v1
	s_delay_alu instid0(VALU_DEP_2) | instskip(NEXT) | instid1(VALU_DEP_2)
	v_add_co_ci_u32_e32 v2, vcc_lo, s5, v2, vcc_lo
	v_add_co_u32 v1, vcc_lo, s20, v1
	s_delay_alu instid0(VALU_DEP_2) | instskip(NEXT) | instid1(VALU_DEP_2)
	v_add_co_ci_u32_e32 v2, vcc_lo, s21, v2, vcc_lo
	v_add_co_u32 v1, vcc_lo, v1, v39
	s_delay_alu instid0(VALU_DEP_2)
	v_add_co_ci_u32_e32 v2, vcc_lo, 0, v2, vcc_lo
	.p2align	6
.LBB1569_450:                           ; =>This Inner Loop Header: Depth=1
	ds_load_b64 v[3:4], v39
	v_add_nc_u32_e32 v0, 0x200, v0
	v_add_nc_u32_e32 v39, 0x1000, v39
	s_delay_alu instid0(VALU_DEP_2) | instskip(SKIP_4) | instid1(VALU_DEP_1)
	v_cmp_ge_u32_e32 vcc_lo, v0, v17
	s_or_b32 s3, vcc_lo, s3
	s_waitcnt lgkmcnt(0)
	global_store_b64 v[1:2], v[3:4], off
	v_add_co_u32 v1, s0, 0x1000, v1
	v_add_co_ci_u32_e64 v2, s0, 0, v2, s0
	s_and_not1_b32 exec_lo, exec_lo, s3
	s_cbranch_execnz .LBB1569_450
.LBB1569_451:
	s_or_b32 exec_lo, exec_lo, s1
	s_and_b32 s0, s2, s13
	s_delay_alu instid0(SALU_CYCLE_1)
	s_and_saveexec_b32 s1, s0
	s_cbranch_execz .LBB1569_406
.LBB1569_452:
	v_add_co_u32 v0, s0, s10, v17
	s_delay_alu instid0(VALU_DEP_1) | instskip(SKIP_1) | instid1(VALU_DEP_3)
	v_add_co_ci_u32_e64 v1, null, s11, 0, s0
	v_mov_b32_e32 v2, 0
	v_add_co_u32 v0, vcc_lo, v0, v18
	s_delay_alu instid0(VALU_DEP_3)
	v_add_co_ci_u32_e32 v1, vcc_lo, 0, v1, vcc_lo
	global_store_b64 v2, v[0:1], s[8:9]
	s_nop 0
	s_sendmsg sendmsg(MSG_DEALLOC_VGPRS)
	s_endpgm
	.section	.rodata,"a",@progbits
	.p2align	6, 0x0
	.amdhsa_kernel _ZN7rocprim17ROCPRIM_400000_NS6detail17trampoline_kernelINS0_14default_configENS1_25partition_config_selectorILNS1_17partition_subalgoE8ElNS0_10empty_typeEbEEZZNS1_14partition_implILS5_8ELb0ES3_jPlPS6_PKS6_NS0_5tupleIJS9_S6_EEENSD_IJSA_SA_EEENS0_18inequality_wrapperIZN2at6native12_GLOBAL__N_124unique_dim_cuda_templateIjEESt5tupleIJNSH_6TensorESM_SM_EERKSM_lbbbEUlllE0_EEPmJS6_EEE10hipError_tPvRmT3_T4_T5_T6_T7_T9_mT8_P12ihipStream_tbDpT10_ENKUlT_T0_E_clISt17integral_constantIbLb0EES1B_IbLb1EEEEDaS17_S18_EUlS17_E_NS1_11comp_targetILNS1_3genE9ELNS1_11target_archE1100ELNS1_3gpuE3ELNS1_3repE0EEENS1_30default_config_static_selectorELNS0_4arch9wavefront6targetE0EEEvT1_
		.amdhsa_group_segment_fixed_size 33804
		.amdhsa_private_segment_fixed_size 0
		.amdhsa_kernarg_size 136
		.amdhsa_user_sgpr_count 15
		.amdhsa_user_sgpr_dispatch_ptr 0
		.amdhsa_user_sgpr_queue_ptr 0
		.amdhsa_user_sgpr_kernarg_segment_ptr 1
		.amdhsa_user_sgpr_dispatch_id 0
		.amdhsa_user_sgpr_private_segment_size 0
		.amdhsa_wavefront_size32 1
		.amdhsa_uses_dynamic_stack 0
		.amdhsa_enable_private_segment 0
		.amdhsa_system_sgpr_workgroup_id_x 1
		.amdhsa_system_sgpr_workgroup_id_y 0
		.amdhsa_system_sgpr_workgroup_id_z 0
		.amdhsa_system_sgpr_workgroup_info 0
		.amdhsa_system_vgpr_workitem_id 0
		.amdhsa_next_free_vgpr 52
		.amdhsa_next_free_sgpr 38
		.amdhsa_reserve_vcc 1
		.amdhsa_float_round_mode_32 0
		.amdhsa_float_round_mode_16_64 0
		.amdhsa_float_denorm_mode_32 3
		.amdhsa_float_denorm_mode_16_64 3
		.amdhsa_dx10_clamp 1
		.amdhsa_ieee_mode 1
		.amdhsa_fp16_overflow 0
		.amdhsa_workgroup_processor_mode 1
		.amdhsa_memory_ordered 1
		.amdhsa_forward_progress 0
		.amdhsa_shared_vgpr_count 0
		.amdhsa_exception_fp_ieee_invalid_op 0
		.amdhsa_exception_fp_denorm_src 0
		.amdhsa_exception_fp_ieee_div_zero 0
		.amdhsa_exception_fp_ieee_overflow 0
		.amdhsa_exception_fp_ieee_underflow 0
		.amdhsa_exception_fp_ieee_inexact 0
		.amdhsa_exception_int_div_zero 0
	.end_amdhsa_kernel
	.section	.text._ZN7rocprim17ROCPRIM_400000_NS6detail17trampoline_kernelINS0_14default_configENS1_25partition_config_selectorILNS1_17partition_subalgoE8ElNS0_10empty_typeEbEEZZNS1_14partition_implILS5_8ELb0ES3_jPlPS6_PKS6_NS0_5tupleIJS9_S6_EEENSD_IJSA_SA_EEENS0_18inequality_wrapperIZN2at6native12_GLOBAL__N_124unique_dim_cuda_templateIjEESt5tupleIJNSH_6TensorESM_SM_EERKSM_lbbbEUlllE0_EEPmJS6_EEE10hipError_tPvRmT3_T4_T5_T6_T7_T9_mT8_P12ihipStream_tbDpT10_ENKUlT_T0_E_clISt17integral_constantIbLb0EES1B_IbLb1EEEEDaS17_S18_EUlS17_E_NS1_11comp_targetILNS1_3genE9ELNS1_11target_archE1100ELNS1_3gpuE3ELNS1_3repE0EEENS1_30default_config_static_selectorELNS0_4arch9wavefront6targetE0EEEvT1_,"axG",@progbits,_ZN7rocprim17ROCPRIM_400000_NS6detail17trampoline_kernelINS0_14default_configENS1_25partition_config_selectorILNS1_17partition_subalgoE8ElNS0_10empty_typeEbEEZZNS1_14partition_implILS5_8ELb0ES3_jPlPS6_PKS6_NS0_5tupleIJS9_S6_EEENSD_IJSA_SA_EEENS0_18inequality_wrapperIZN2at6native12_GLOBAL__N_124unique_dim_cuda_templateIjEESt5tupleIJNSH_6TensorESM_SM_EERKSM_lbbbEUlllE0_EEPmJS6_EEE10hipError_tPvRmT3_T4_T5_T6_T7_T9_mT8_P12ihipStream_tbDpT10_ENKUlT_T0_E_clISt17integral_constantIbLb0EES1B_IbLb1EEEEDaS17_S18_EUlS17_E_NS1_11comp_targetILNS1_3genE9ELNS1_11target_archE1100ELNS1_3gpuE3ELNS1_3repE0EEENS1_30default_config_static_selectorELNS0_4arch9wavefront6targetE0EEEvT1_,comdat
.Lfunc_end1569:
	.size	_ZN7rocprim17ROCPRIM_400000_NS6detail17trampoline_kernelINS0_14default_configENS1_25partition_config_selectorILNS1_17partition_subalgoE8ElNS0_10empty_typeEbEEZZNS1_14partition_implILS5_8ELb0ES3_jPlPS6_PKS6_NS0_5tupleIJS9_S6_EEENSD_IJSA_SA_EEENS0_18inequality_wrapperIZN2at6native12_GLOBAL__N_124unique_dim_cuda_templateIjEESt5tupleIJNSH_6TensorESM_SM_EERKSM_lbbbEUlllE0_EEPmJS6_EEE10hipError_tPvRmT3_T4_T5_T6_T7_T9_mT8_P12ihipStream_tbDpT10_ENKUlT_T0_E_clISt17integral_constantIbLb0EES1B_IbLb1EEEEDaS17_S18_EUlS17_E_NS1_11comp_targetILNS1_3genE9ELNS1_11target_archE1100ELNS1_3gpuE3ELNS1_3repE0EEENS1_30default_config_static_selectorELNS0_4arch9wavefront6targetE0EEEvT1_, .Lfunc_end1569-_ZN7rocprim17ROCPRIM_400000_NS6detail17trampoline_kernelINS0_14default_configENS1_25partition_config_selectorILNS1_17partition_subalgoE8ElNS0_10empty_typeEbEEZZNS1_14partition_implILS5_8ELb0ES3_jPlPS6_PKS6_NS0_5tupleIJS9_S6_EEENSD_IJSA_SA_EEENS0_18inequality_wrapperIZN2at6native12_GLOBAL__N_124unique_dim_cuda_templateIjEESt5tupleIJNSH_6TensorESM_SM_EERKSM_lbbbEUlllE0_EEPmJS6_EEE10hipError_tPvRmT3_T4_T5_T6_T7_T9_mT8_P12ihipStream_tbDpT10_ENKUlT_T0_E_clISt17integral_constantIbLb0EES1B_IbLb1EEEEDaS17_S18_EUlS17_E_NS1_11comp_targetILNS1_3genE9ELNS1_11target_archE1100ELNS1_3gpuE3ELNS1_3repE0EEENS1_30default_config_static_selectorELNS0_4arch9wavefront6targetE0EEEvT1_
                                        ; -- End function
	.section	.AMDGPU.csdata,"",@progbits
; Kernel info:
; codeLenInByte = 18420
; NumSgprs: 40
; NumVgprs: 52
; ScratchSize: 0
; MemoryBound: 0
; FloatMode: 240
; IeeeMode: 1
; LDSByteSize: 33804 bytes/workgroup (compile time only)
; SGPRBlocks: 4
; VGPRBlocks: 6
; NumSGPRsForWavesPerEU: 40
; NumVGPRsForWavesPerEU: 52
; Occupancy: 12
; WaveLimiterHint : 1
; COMPUTE_PGM_RSRC2:SCRATCH_EN: 0
; COMPUTE_PGM_RSRC2:USER_SGPR: 15
; COMPUTE_PGM_RSRC2:TRAP_HANDLER: 0
; COMPUTE_PGM_RSRC2:TGID_X_EN: 1
; COMPUTE_PGM_RSRC2:TGID_Y_EN: 0
; COMPUTE_PGM_RSRC2:TGID_Z_EN: 0
; COMPUTE_PGM_RSRC2:TIDIG_COMP_CNT: 0
	.section	.text._ZN7rocprim17ROCPRIM_400000_NS6detail17trampoline_kernelINS0_14default_configENS1_25partition_config_selectorILNS1_17partition_subalgoE8ElNS0_10empty_typeEbEEZZNS1_14partition_implILS5_8ELb0ES3_jPlPS6_PKS6_NS0_5tupleIJS9_S6_EEENSD_IJSA_SA_EEENS0_18inequality_wrapperIZN2at6native12_GLOBAL__N_124unique_dim_cuda_templateIjEESt5tupleIJNSH_6TensorESM_SM_EERKSM_lbbbEUlllE0_EEPmJS6_EEE10hipError_tPvRmT3_T4_T5_T6_T7_T9_mT8_P12ihipStream_tbDpT10_ENKUlT_T0_E_clISt17integral_constantIbLb0EES1B_IbLb1EEEEDaS17_S18_EUlS17_E_NS1_11comp_targetILNS1_3genE8ELNS1_11target_archE1030ELNS1_3gpuE2ELNS1_3repE0EEENS1_30default_config_static_selectorELNS0_4arch9wavefront6targetE0EEEvT1_,"axG",@progbits,_ZN7rocprim17ROCPRIM_400000_NS6detail17trampoline_kernelINS0_14default_configENS1_25partition_config_selectorILNS1_17partition_subalgoE8ElNS0_10empty_typeEbEEZZNS1_14partition_implILS5_8ELb0ES3_jPlPS6_PKS6_NS0_5tupleIJS9_S6_EEENSD_IJSA_SA_EEENS0_18inequality_wrapperIZN2at6native12_GLOBAL__N_124unique_dim_cuda_templateIjEESt5tupleIJNSH_6TensorESM_SM_EERKSM_lbbbEUlllE0_EEPmJS6_EEE10hipError_tPvRmT3_T4_T5_T6_T7_T9_mT8_P12ihipStream_tbDpT10_ENKUlT_T0_E_clISt17integral_constantIbLb0EES1B_IbLb1EEEEDaS17_S18_EUlS17_E_NS1_11comp_targetILNS1_3genE8ELNS1_11target_archE1030ELNS1_3gpuE2ELNS1_3repE0EEENS1_30default_config_static_selectorELNS0_4arch9wavefront6targetE0EEEvT1_,comdat
	.globl	_ZN7rocprim17ROCPRIM_400000_NS6detail17trampoline_kernelINS0_14default_configENS1_25partition_config_selectorILNS1_17partition_subalgoE8ElNS0_10empty_typeEbEEZZNS1_14partition_implILS5_8ELb0ES3_jPlPS6_PKS6_NS0_5tupleIJS9_S6_EEENSD_IJSA_SA_EEENS0_18inequality_wrapperIZN2at6native12_GLOBAL__N_124unique_dim_cuda_templateIjEESt5tupleIJNSH_6TensorESM_SM_EERKSM_lbbbEUlllE0_EEPmJS6_EEE10hipError_tPvRmT3_T4_T5_T6_T7_T9_mT8_P12ihipStream_tbDpT10_ENKUlT_T0_E_clISt17integral_constantIbLb0EES1B_IbLb1EEEEDaS17_S18_EUlS17_E_NS1_11comp_targetILNS1_3genE8ELNS1_11target_archE1030ELNS1_3gpuE2ELNS1_3repE0EEENS1_30default_config_static_selectorELNS0_4arch9wavefront6targetE0EEEvT1_ ; -- Begin function _ZN7rocprim17ROCPRIM_400000_NS6detail17trampoline_kernelINS0_14default_configENS1_25partition_config_selectorILNS1_17partition_subalgoE8ElNS0_10empty_typeEbEEZZNS1_14partition_implILS5_8ELb0ES3_jPlPS6_PKS6_NS0_5tupleIJS9_S6_EEENSD_IJSA_SA_EEENS0_18inequality_wrapperIZN2at6native12_GLOBAL__N_124unique_dim_cuda_templateIjEESt5tupleIJNSH_6TensorESM_SM_EERKSM_lbbbEUlllE0_EEPmJS6_EEE10hipError_tPvRmT3_T4_T5_T6_T7_T9_mT8_P12ihipStream_tbDpT10_ENKUlT_T0_E_clISt17integral_constantIbLb0EES1B_IbLb1EEEEDaS17_S18_EUlS17_E_NS1_11comp_targetILNS1_3genE8ELNS1_11target_archE1030ELNS1_3gpuE2ELNS1_3repE0EEENS1_30default_config_static_selectorELNS0_4arch9wavefront6targetE0EEEvT1_
	.p2align	8
	.type	_ZN7rocprim17ROCPRIM_400000_NS6detail17trampoline_kernelINS0_14default_configENS1_25partition_config_selectorILNS1_17partition_subalgoE8ElNS0_10empty_typeEbEEZZNS1_14partition_implILS5_8ELb0ES3_jPlPS6_PKS6_NS0_5tupleIJS9_S6_EEENSD_IJSA_SA_EEENS0_18inequality_wrapperIZN2at6native12_GLOBAL__N_124unique_dim_cuda_templateIjEESt5tupleIJNSH_6TensorESM_SM_EERKSM_lbbbEUlllE0_EEPmJS6_EEE10hipError_tPvRmT3_T4_T5_T6_T7_T9_mT8_P12ihipStream_tbDpT10_ENKUlT_T0_E_clISt17integral_constantIbLb0EES1B_IbLb1EEEEDaS17_S18_EUlS17_E_NS1_11comp_targetILNS1_3genE8ELNS1_11target_archE1030ELNS1_3gpuE2ELNS1_3repE0EEENS1_30default_config_static_selectorELNS0_4arch9wavefront6targetE0EEEvT1_,@function
_ZN7rocprim17ROCPRIM_400000_NS6detail17trampoline_kernelINS0_14default_configENS1_25partition_config_selectorILNS1_17partition_subalgoE8ElNS0_10empty_typeEbEEZZNS1_14partition_implILS5_8ELb0ES3_jPlPS6_PKS6_NS0_5tupleIJS9_S6_EEENSD_IJSA_SA_EEENS0_18inequality_wrapperIZN2at6native12_GLOBAL__N_124unique_dim_cuda_templateIjEESt5tupleIJNSH_6TensorESM_SM_EERKSM_lbbbEUlllE0_EEPmJS6_EEE10hipError_tPvRmT3_T4_T5_T6_T7_T9_mT8_P12ihipStream_tbDpT10_ENKUlT_T0_E_clISt17integral_constantIbLb0EES1B_IbLb1EEEEDaS17_S18_EUlS17_E_NS1_11comp_targetILNS1_3genE8ELNS1_11target_archE1030ELNS1_3gpuE2ELNS1_3repE0EEENS1_30default_config_static_selectorELNS0_4arch9wavefront6targetE0EEEvT1_: ; @_ZN7rocprim17ROCPRIM_400000_NS6detail17trampoline_kernelINS0_14default_configENS1_25partition_config_selectorILNS1_17partition_subalgoE8ElNS0_10empty_typeEbEEZZNS1_14partition_implILS5_8ELb0ES3_jPlPS6_PKS6_NS0_5tupleIJS9_S6_EEENSD_IJSA_SA_EEENS0_18inequality_wrapperIZN2at6native12_GLOBAL__N_124unique_dim_cuda_templateIjEESt5tupleIJNSH_6TensorESM_SM_EERKSM_lbbbEUlllE0_EEPmJS6_EEE10hipError_tPvRmT3_T4_T5_T6_T7_T9_mT8_P12ihipStream_tbDpT10_ENKUlT_T0_E_clISt17integral_constantIbLb0EES1B_IbLb1EEEEDaS17_S18_EUlS17_E_NS1_11comp_targetILNS1_3genE8ELNS1_11target_archE1030ELNS1_3gpuE2ELNS1_3repE0EEENS1_30default_config_static_selectorELNS0_4arch9wavefront6targetE0EEEvT1_
; %bb.0:
	.section	.rodata,"a",@progbits
	.p2align	6, 0x0
	.amdhsa_kernel _ZN7rocprim17ROCPRIM_400000_NS6detail17trampoline_kernelINS0_14default_configENS1_25partition_config_selectorILNS1_17partition_subalgoE8ElNS0_10empty_typeEbEEZZNS1_14partition_implILS5_8ELb0ES3_jPlPS6_PKS6_NS0_5tupleIJS9_S6_EEENSD_IJSA_SA_EEENS0_18inequality_wrapperIZN2at6native12_GLOBAL__N_124unique_dim_cuda_templateIjEESt5tupleIJNSH_6TensorESM_SM_EERKSM_lbbbEUlllE0_EEPmJS6_EEE10hipError_tPvRmT3_T4_T5_T6_T7_T9_mT8_P12ihipStream_tbDpT10_ENKUlT_T0_E_clISt17integral_constantIbLb0EES1B_IbLb1EEEEDaS17_S18_EUlS17_E_NS1_11comp_targetILNS1_3genE8ELNS1_11target_archE1030ELNS1_3gpuE2ELNS1_3repE0EEENS1_30default_config_static_selectorELNS0_4arch9wavefront6targetE0EEEvT1_
		.amdhsa_group_segment_fixed_size 0
		.amdhsa_private_segment_fixed_size 0
		.amdhsa_kernarg_size 136
		.amdhsa_user_sgpr_count 15
		.amdhsa_user_sgpr_dispatch_ptr 0
		.amdhsa_user_sgpr_queue_ptr 0
		.amdhsa_user_sgpr_kernarg_segment_ptr 1
		.amdhsa_user_sgpr_dispatch_id 0
		.amdhsa_user_sgpr_private_segment_size 0
		.amdhsa_wavefront_size32 1
		.amdhsa_uses_dynamic_stack 0
		.amdhsa_enable_private_segment 0
		.amdhsa_system_sgpr_workgroup_id_x 1
		.amdhsa_system_sgpr_workgroup_id_y 0
		.amdhsa_system_sgpr_workgroup_id_z 0
		.amdhsa_system_sgpr_workgroup_info 0
		.amdhsa_system_vgpr_workitem_id 0
		.amdhsa_next_free_vgpr 1
		.amdhsa_next_free_sgpr 1
		.amdhsa_reserve_vcc 0
		.amdhsa_float_round_mode_32 0
		.amdhsa_float_round_mode_16_64 0
		.amdhsa_float_denorm_mode_32 3
		.amdhsa_float_denorm_mode_16_64 3
		.amdhsa_dx10_clamp 1
		.amdhsa_ieee_mode 1
		.amdhsa_fp16_overflow 0
		.amdhsa_workgroup_processor_mode 1
		.amdhsa_memory_ordered 1
		.amdhsa_forward_progress 0
		.amdhsa_shared_vgpr_count 0
		.amdhsa_exception_fp_ieee_invalid_op 0
		.amdhsa_exception_fp_denorm_src 0
		.amdhsa_exception_fp_ieee_div_zero 0
		.amdhsa_exception_fp_ieee_overflow 0
		.amdhsa_exception_fp_ieee_underflow 0
		.amdhsa_exception_fp_ieee_inexact 0
		.amdhsa_exception_int_div_zero 0
	.end_amdhsa_kernel
	.section	.text._ZN7rocprim17ROCPRIM_400000_NS6detail17trampoline_kernelINS0_14default_configENS1_25partition_config_selectorILNS1_17partition_subalgoE8ElNS0_10empty_typeEbEEZZNS1_14partition_implILS5_8ELb0ES3_jPlPS6_PKS6_NS0_5tupleIJS9_S6_EEENSD_IJSA_SA_EEENS0_18inequality_wrapperIZN2at6native12_GLOBAL__N_124unique_dim_cuda_templateIjEESt5tupleIJNSH_6TensorESM_SM_EERKSM_lbbbEUlllE0_EEPmJS6_EEE10hipError_tPvRmT3_T4_T5_T6_T7_T9_mT8_P12ihipStream_tbDpT10_ENKUlT_T0_E_clISt17integral_constantIbLb0EES1B_IbLb1EEEEDaS17_S18_EUlS17_E_NS1_11comp_targetILNS1_3genE8ELNS1_11target_archE1030ELNS1_3gpuE2ELNS1_3repE0EEENS1_30default_config_static_selectorELNS0_4arch9wavefront6targetE0EEEvT1_,"axG",@progbits,_ZN7rocprim17ROCPRIM_400000_NS6detail17trampoline_kernelINS0_14default_configENS1_25partition_config_selectorILNS1_17partition_subalgoE8ElNS0_10empty_typeEbEEZZNS1_14partition_implILS5_8ELb0ES3_jPlPS6_PKS6_NS0_5tupleIJS9_S6_EEENSD_IJSA_SA_EEENS0_18inequality_wrapperIZN2at6native12_GLOBAL__N_124unique_dim_cuda_templateIjEESt5tupleIJNSH_6TensorESM_SM_EERKSM_lbbbEUlllE0_EEPmJS6_EEE10hipError_tPvRmT3_T4_T5_T6_T7_T9_mT8_P12ihipStream_tbDpT10_ENKUlT_T0_E_clISt17integral_constantIbLb0EES1B_IbLb1EEEEDaS17_S18_EUlS17_E_NS1_11comp_targetILNS1_3genE8ELNS1_11target_archE1030ELNS1_3gpuE2ELNS1_3repE0EEENS1_30default_config_static_selectorELNS0_4arch9wavefront6targetE0EEEvT1_,comdat
.Lfunc_end1570:
	.size	_ZN7rocprim17ROCPRIM_400000_NS6detail17trampoline_kernelINS0_14default_configENS1_25partition_config_selectorILNS1_17partition_subalgoE8ElNS0_10empty_typeEbEEZZNS1_14partition_implILS5_8ELb0ES3_jPlPS6_PKS6_NS0_5tupleIJS9_S6_EEENSD_IJSA_SA_EEENS0_18inequality_wrapperIZN2at6native12_GLOBAL__N_124unique_dim_cuda_templateIjEESt5tupleIJNSH_6TensorESM_SM_EERKSM_lbbbEUlllE0_EEPmJS6_EEE10hipError_tPvRmT3_T4_T5_T6_T7_T9_mT8_P12ihipStream_tbDpT10_ENKUlT_T0_E_clISt17integral_constantIbLb0EES1B_IbLb1EEEEDaS17_S18_EUlS17_E_NS1_11comp_targetILNS1_3genE8ELNS1_11target_archE1030ELNS1_3gpuE2ELNS1_3repE0EEENS1_30default_config_static_selectorELNS0_4arch9wavefront6targetE0EEEvT1_, .Lfunc_end1570-_ZN7rocprim17ROCPRIM_400000_NS6detail17trampoline_kernelINS0_14default_configENS1_25partition_config_selectorILNS1_17partition_subalgoE8ElNS0_10empty_typeEbEEZZNS1_14partition_implILS5_8ELb0ES3_jPlPS6_PKS6_NS0_5tupleIJS9_S6_EEENSD_IJSA_SA_EEENS0_18inequality_wrapperIZN2at6native12_GLOBAL__N_124unique_dim_cuda_templateIjEESt5tupleIJNSH_6TensorESM_SM_EERKSM_lbbbEUlllE0_EEPmJS6_EEE10hipError_tPvRmT3_T4_T5_T6_T7_T9_mT8_P12ihipStream_tbDpT10_ENKUlT_T0_E_clISt17integral_constantIbLb0EES1B_IbLb1EEEEDaS17_S18_EUlS17_E_NS1_11comp_targetILNS1_3genE8ELNS1_11target_archE1030ELNS1_3gpuE2ELNS1_3repE0EEENS1_30default_config_static_selectorELNS0_4arch9wavefront6targetE0EEEvT1_
                                        ; -- End function
	.section	.AMDGPU.csdata,"",@progbits
; Kernel info:
; codeLenInByte = 0
; NumSgprs: 0
; NumVgprs: 0
; ScratchSize: 0
; MemoryBound: 0
; FloatMode: 240
; IeeeMode: 1
; LDSByteSize: 0 bytes/workgroup (compile time only)
; SGPRBlocks: 0
; VGPRBlocks: 0
; NumSGPRsForWavesPerEU: 1
; NumVGPRsForWavesPerEU: 1
; Occupancy: 16
; WaveLimiterHint : 0
; COMPUTE_PGM_RSRC2:SCRATCH_EN: 0
; COMPUTE_PGM_RSRC2:USER_SGPR: 15
; COMPUTE_PGM_RSRC2:TRAP_HANDLER: 0
; COMPUTE_PGM_RSRC2:TGID_X_EN: 1
; COMPUTE_PGM_RSRC2:TGID_Y_EN: 0
; COMPUTE_PGM_RSRC2:TGID_Z_EN: 0
; COMPUTE_PGM_RSRC2:TIDIG_COMP_CNT: 0
	.section	.text._ZN7rocprim17ROCPRIM_400000_NS6detail17trampoline_kernelINS0_14default_configENS1_25partition_config_selectorILNS1_17partition_subalgoE9EllbEEZZNS1_14partition_implILS5_9ELb0ES3_jPlS8_PNS0_10empty_typeENS0_5tupleIJS8_S9_EEENSB_IJS8_SA_EEENS0_18inequality_wrapperIZN2at6native12_GLOBAL__N_124unique_dim_cuda_templateIjEESt5tupleIJNSF_6TensorESK_SK_EERKSK_lbbbEUlllE0_EEPmJS9_EEE10hipError_tPvRmT3_T4_T5_T6_T7_T9_mT8_P12ihipStream_tbDpT10_ENKUlT_T0_E_clISt17integral_constantIbLb0EES1A_EEDaS15_S16_EUlS15_E_NS1_11comp_targetILNS1_3genE0ELNS1_11target_archE4294967295ELNS1_3gpuE0ELNS1_3repE0EEENS1_30default_config_static_selectorELNS0_4arch9wavefront6targetE0EEEvT1_,"axG",@progbits,_ZN7rocprim17ROCPRIM_400000_NS6detail17trampoline_kernelINS0_14default_configENS1_25partition_config_selectorILNS1_17partition_subalgoE9EllbEEZZNS1_14partition_implILS5_9ELb0ES3_jPlS8_PNS0_10empty_typeENS0_5tupleIJS8_S9_EEENSB_IJS8_SA_EEENS0_18inequality_wrapperIZN2at6native12_GLOBAL__N_124unique_dim_cuda_templateIjEESt5tupleIJNSF_6TensorESK_SK_EERKSK_lbbbEUlllE0_EEPmJS9_EEE10hipError_tPvRmT3_T4_T5_T6_T7_T9_mT8_P12ihipStream_tbDpT10_ENKUlT_T0_E_clISt17integral_constantIbLb0EES1A_EEDaS15_S16_EUlS15_E_NS1_11comp_targetILNS1_3genE0ELNS1_11target_archE4294967295ELNS1_3gpuE0ELNS1_3repE0EEENS1_30default_config_static_selectorELNS0_4arch9wavefront6targetE0EEEvT1_,comdat
	.globl	_ZN7rocprim17ROCPRIM_400000_NS6detail17trampoline_kernelINS0_14default_configENS1_25partition_config_selectorILNS1_17partition_subalgoE9EllbEEZZNS1_14partition_implILS5_9ELb0ES3_jPlS8_PNS0_10empty_typeENS0_5tupleIJS8_S9_EEENSB_IJS8_SA_EEENS0_18inequality_wrapperIZN2at6native12_GLOBAL__N_124unique_dim_cuda_templateIjEESt5tupleIJNSF_6TensorESK_SK_EERKSK_lbbbEUlllE0_EEPmJS9_EEE10hipError_tPvRmT3_T4_T5_T6_T7_T9_mT8_P12ihipStream_tbDpT10_ENKUlT_T0_E_clISt17integral_constantIbLb0EES1A_EEDaS15_S16_EUlS15_E_NS1_11comp_targetILNS1_3genE0ELNS1_11target_archE4294967295ELNS1_3gpuE0ELNS1_3repE0EEENS1_30default_config_static_selectorELNS0_4arch9wavefront6targetE0EEEvT1_ ; -- Begin function _ZN7rocprim17ROCPRIM_400000_NS6detail17trampoline_kernelINS0_14default_configENS1_25partition_config_selectorILNS1_17partition_subalgoE9EllbEEZZNS1_14partition_implILS5_9ELb0ES3_jPlS8_PNS0_10empty_typeENS0_5tupleIJS8_S9_EEENSB_IJS8_SA_EEENS0_18inequality_wrapperIZN2at6native12_GLOBAL__N_124unique_dim_cuda_templateIjEESt5tupleIJNSF_6TensorESK_SK_EERKSK_lbbbEUlllE0_EEPmJS9_EEE10hipError_tPvRmT3_T4_T5_T6_T7_T9_mT8_P12ihipStream_tbDpT10_ENKUlT_T0_E_clISt17integral_constantIbLb0EES1A_EEDaS15_S16_EUlS15_E_NS1_11comp_targetILNS1_3genE0ELNS1_11target_archE4294967295ELNS1_3gpuE0ELNS1_3repE0EEENS1_30default_config_static_selectorELNS0_4arch9wavefront6targetE0EEEvT1_
	.p2align	8
	.type	_ZN7rocprim17ROCPRIM_400000_NS6detail17trampoline_kernelINS0_14default_configENS1_25partition_config_selectorILNS1_17partition_subalgoE9EllbEEZZNS1_14partition_implILS5_9ELb0ES3_jPlS8_PNS0_10empty_typeENS0_5tupleIJS8_S9_EEENSB_IJS8_SA_EEENS0_18inequality_wrapperIZN2at6native12_GLOBAL__N_124unique_dim_cuda_templateIjEESt5tupleIJNSF_6TensorESK_SK_EERKSK_lbbbEUlllE0_EEPmJS9_EEE10hipError_tPvRmT3_T4_T5_T6_T7_T9_mT8_P12ihipStream_tbDpT10_ENKUlT_T0_E_clISt17integral_constantIbLb0EES1A_EEDaS15_S16_EUlS15_E_NS1_11comp_targetILNS1_3genE0ELNS1_11target_archE4294967295ELNS1_3gpuE0ELNS1_3repE0EEENS1_30default_config_static_selectorELNS0_4arch9wavefront6targetE0EEEvT1_,@function
_ZN7rocprim17ROCPRIM_400000_NS6detail17trampoline_kernelINS0_14default_configENS1_25partition_config_selectorILNS1_17partition_subalgoE9EllbEEZZNS1_14partition_implILS5_9ELb0ES3_jPlS8_PNS0_10empty_typeENS0_5tupleIJS8_S9_EEENSB_IJS8_SA_EEENS0_18inequality_wrapperIZN2at6native12_GLOBAL__N_124unique_dim_cuda_templateIjEESt5tupleIJNSF_6TensorESK_SK_EERKSK_lbbbEUlllE0_EEPmJS9_EEE10hipError_tPvRmT3_T4_T5_T6_T7_T9_mT8_P12ihipStream_tbDpT10_ENKUlT_T0_E_clISt17integral_constantIbLb0EES1A_EEDaS15_S16_EUlS15_E_NS1_11comp_targetILNS1_3genE0ELNS1_11target_archE4294967295ELNS1_3gpuE0ELNS1_3repE0EEENS1_30default_config_static_selectorELNS0_4arch9wavefront6targetE0EEEvT1_: ; @_ZN7rocprim17ROCPRIM_400000_NS6detail17trampoline_kernelINS0_14default_configENS1_25partition_config_selectorILNS1_17partition_subalgoE9EllbEEZZNS1_14partition_implILS5_9ELb0ES3_jPlS8_PNS0_10empty_typeENS0_5tupleIJS8_S9_EEENSB_IJS8_SA_EEENS0_18inequality_wrapperIZN2at6native12_GLOBAL__N_124unique_dim_cuda_templateIjEESt5tupleIJNSF_6TensorESK_SK_EERKSK_lbbbEUlllE0_EEPmJS9_EEE10hipError_tPvRmT3_T4_T5_T6_T7_T9_mT8_P12ihipStream_tbDpT10_ENKUlT_T0_E_clISt17integral_constantIbLb0EES1A_EEDaS15_S16_EUlS15_E_NS1_11comp_targetILNS1_3genE0ELNS1_11target_archE4294967295ELNS1_3gpuE0ELNS1_3repE0EEENS1_30default_config_static_selectorELNS0_4arch9wavefront6targetE0EEEvT1_
; %bb.0:
	.section	.rodata,"a",@progbits
	.p2align	6, 0x0
	.amdhsa_kernel _ZN7rocprim17ROCPRIM_400000_NS6detail17trampoline_kernelINS0_14default_configENS1_25partition_config_selectorILNS1_17partition_subalgoE9EllbEEZZNS1_14partition_implILS5_9ELb0ES3_jPlS8_PNS0_10empty_typeENS0_5tupleIJS8_S9_EEENSB_IJS8_SA_EEENS0_18inequality_wrapperIZN2at6native12_GLOBAL__N_124unique_dim_cuda_templateIjEESt5tupleIJNSF_6TensorESK_SK_EERKSK_lbbbEUlllE0_EEPmJS9_EEE10hipError_tPvRmT3_T4_T5_T6_T7_T9_mT8_P12ihipStream_tbDpT10_ENKUlT_T0_E_clISt17integral_constantIbLb0EES1A_EEDaS15_S16_EUlS15_E_NS1_11comp_targetILNS1_3genE0ELNS1_11target_archE4294967295ELNS1_3gpuE0ELNS1_3repE0EEENS1_30default_config_static_selectorELNS0_4arch9wavefront6targetE0EEEvT1_
		.amdhsa_group_segment_fixed_size 0
		.amdhsa_private_segment_fixed_size 0
		.amdhsa_kernarg_size 120
		.amdhsa_user_sgpr_count 15
		.amdhsa_user_sgpr_dispatch_ptr 0
		.amdhsa_user_sgpr_queue_ptr 0
		.amdhsa_user_sgpr_kernarg_segment_ptr 1
		.amdhsa_user_sgpr_dispatch_id 0
		.amdhsa_user_sgpr_private_segment_size 0
		.amdhsa_wavefront_size32 1
		.amdhsa_uses_dynamic_stack 0
		.amdhsa_enable_private_segment 0
		.amdhsa_system_sgpr_workgroup_id_x 1
		.amdhsa_system_sgpr_workgroup_id_y 0
		.amdhsa_system_sgpr_workgroup_id_z 0
		.amdhsa_system_sgpr_workgroup_info 0
		.amdhsa_system_vgpr_workitem_id 0
		.amdhsa_next_free_vgpr 1
		.amdhsa_next_free_sgpr 1
		.amdhsa_reserve_vcc 0
		.amdhsa_float_round_mode_32 0
		.amdhsa_float_round_mode_16_64 0
		.amdhsa_float_denorm_mode_32 3
		.amdhsa_float_denorm_mode_16_64 3
		.amdhsa_dx10_clamp 1
		.amdhsa_ieee_mode 1
		.amdhsa_fp16_overflow 0
		.amdhsa_workgroup_processor_mode 1
		.amdhsa_memory_ordered 1
		.amdhsa_forward_progress 0
		.amdhsa_shared_vgpr_count 0
		.amdhsa_exception_fp_ieee_invalid_op 0
		.amdhsa_exception_fp_denorm_src 0
		.amdhsa_exception_fp_ieee_div_zero 0
		.amdhsa_exception_fp_ieee_overflow 0
		.amdhsa_exception_fp_ieee_underflow 0
		.amdhsa_exception_fp_ieee_inexact 0
		.amdhsa_exception_int_div_zero 0
	.end_amdhsa_kernel
	.section	.text._ZN7rocprim17ROCPRIM_400000_NS6detail17trampoline_kernelINS0_14default_configENS1_25partition_config_selectorILNS1_17partition_subalgoE9EllbEEZZNS1_14partition_implILS5_9ELb0ES3_jPlS8_PNS0_10empty_typeENS0_5tupleIJS8_S9_EEENSB_IJS8_SA_EEENS0_18inequality_wrapperIZN2at6native12_GLOBAL__N_124unique_dim_cuda_templateIjEESt5tupleIJNSF_6TensorESK_SK_EERKSK_lbbbEUlllE0_EEPmJS9_EEE10hipError_tPvRmT3_T4_T5_T6_T7_T9_mT8_P12ihipStream_tbDpT10_ENKUlT_T0_E_clISt17integral_constantIbLb0EES1A_EEDaS15_S16_EUlS15_E_NS1_11comp_targetILNS1_3genE0ELNS1_11target_archE4294967295ELNS1_3gpuE0ELNS1_3repE0EEENS1_30default_config_static_selectorELNS0_4arch9wavefront6targetE0EEEvT1_,"axG",@progbits,_ZN7rocprim17ROCPRIM_400000_NS6detail17trampoline_kernelINS0_14default_configENS1_25partition_config_selectorILNS1_17partition_subalgoE9EllbEEZZNS1_14partition_implILS5_9ELb0ES3_jPlS8_PNS0_10empty_typeENS0_5tupleIJS8_S9_EEENSB_IJS8_SA_EEENS0_18inequality_wrapperIZN2at6native12_GLOBAL__N_124unique_dim_cuda_templateIjEESt5tupleIJNSF_6TensorESK_SK_EERKSK_lbbbEUlllE0_EEPmJS9_EEE10hipError_tPvRmT3_T4_T5_T6_T7_T9_mT8_P12ihipStream_tbDpT10_ENKUlT_T0_E_clISt17integral_constantIbLb0EES1A_EEDaS15_S16_EUlS15_E_NS1_11comp_targetILNS1_3genE0ELNS1_11target_archE4294967295ELNS1_3gpuE0ELNS1_3repE0EEENS1_30default_config_static_selectorELNS0_4arch9wavefront6targetE0EEEvT1_,comdat
.Lfunc_end1571:
	.size	_ZN7rocprim17ROCPRIM_400000_NS6detail17trampoline_kernelINS0_14default_configENS1_25partition_config_selectorILNS1_17partition_subalgoE9EllbEEZZNS1_14partition_implILS5_9ELb0ES3_jPlS8_PNS0_10empty_typeENS0_5tupleIJS8_S9_EEENSB_IJS8_SA_EEENS0_18inequality_wrapperIZN2at6native12_GLOBAL__N_124unique_dim_cuda_templateIjEESt5tupleIJNSF_6TensorESK_SK_EERKSK_lbbbEUlllE0_EEPmJS9_EEE10hipError_tPvRmT3_T4_T5_T6_T7_T9_mT8_P12ihipStream_tbDpT10_ENKUlT_T0_E_clISt17integral_constantIbLb0EES1A_EEDaS15_S16_EUlS15_E_NS1_11comp_targetILNS1_3genE0ELNS1_11target_archE4294967295ELNS1_3gpuE0ELNS1_3repE0EEENS1_30default_config_static_selectorELNS0_4arch9wavefront6targetE0EEEvT1_, .Lfunc_end1571-_ZN7rocprim17ROCPRIM_400000_NS6detail17trampoline_kernelINS0_14default_configENS1_25partition_config_selectorILNS1_17partition_subalgoE9EllbEEZZNS1_14partition_implILS5_9ELb0ES3_jPlS8_PNS0_10empty_typeENS0_5tupleIJS8_S9_EEENSB_IJS8_SA_EEENS0_18inequality_wrapperIZN2at6native12_GLOBAL__N_124unique_dim_cuda_templateIjEESt5tupleIJNSF_6TensorESK_SK_EERKSK_lbbbEUlllE0_EEPmJS9_EEE10hipError_tPvRmT3_T4_T5_T6_T7_T9_mT8_P12ihipStream_tbDpT10_ENKUlT_T0_E_clISt17integral_constantIbLb0EES1A_EEDaS15_S16_EUlS15_E_NS1_11comp_targetILNS1_3genE0ELNS1_11target_archE4294967295ELNS1_3gpuE0ELNS1_3repE0EEENS1_30default_config_static_selectorELNS0_4arch9wavefront6targetE0EEEvT1_
                                        ; -- End function
	.section	.AMDGPU.csdata,"",@progbits
; Kernel info:
; codeLenInByte = 0
; NumSgprs: 0
; NumVgprs: 0
; ScratchSize: 0
; MemoryBound: 0
; FloatMode: 240
; IeeeMode: 1
; LDSByteSize: 0 bytes/workgroup (compile time only)
; SGPRBlocks: 0
; VGPRBlocks: 0
; NumSGPRsForWavesPerEU: 1
; NumVGPRsForWavesPerEU: 1
; Occupancy: 16
; WaveLimiterHint : 0
; COMPUTE_PGM_RSRC2:SCRATCH_EN: 0
; COMPUTE_PGM_RSRC2:USER_SGPR: 15
; COMPUTE_PGM_RSRC2:TRAP_HANDLER: 0
; COMPUTE_PGM_RSRC2:TGID_X_EN: 1
; COMPUTE_PGM_RSRC2:TGID_Y_EN: 0
; COMPUTE_PGM_RSRC2:TGID_Z_EN: 0
; COMPUTE_PGM_RSRC2:TIDIG_COMP_CNT: 0
	.section	.text._ZN7rocprim17ROCPRIM_400000_NS6detail17trampoline_kernelINS0_14default_configENS1_25partition_config_selectorILNS1_17partition_subalgoE9EllbEEZZNS1_14partition_implILS5_9ELb0ES3_jPlS8_PNS0_10empty_typeENS0_5tupleIJS8_S9_EEENSB_IJS8_SA_EEENS0_18inequality_wrapperIZN2at6native12_GLOBAL__N_124unique_dim_cuda_templateIjEESt5tupleIJNSF_6TensorESK_SK_EERKSK_lbbbEUlllE0_EEPmJS9_EEE10hipError_tPvRmT3_T4_T5_T6_T7_T9_mT8_P12ihipStream_tbDpT10_ENKUlT_T0_E_clISt17integral_constantIbLb0EES1A_EEDaS15_S16_EUlS15_E_NS1_11comp_targetILNS1_3genE5ELNS1_11target_archE942ELNS1_3gpuE9ELNS1_3repE0EEENS1_30default_config_static_selectorELNS0_4arch9wavefront6targetE0EEEvT1_,"axG",@progbits,_ZN7rocprim17ROCPRIM_400000_NS6detail17trampoline_kernelINS0_14default_configENS1_25partition_config_selectorILNS1_17partition_subalgoE9EllbEEZZNS1_14partition_implILS5_9ELb0ES3_jPlS8_PNS0_10empty_typeENS0_5tupleIJS8_S9_EEENSB_IJS8_SA_EEENS0_18inequality_wrapperIZN2at6native12_GLOBAL__N_124unique_dim_cuda_templateIjEESt5tupleIJNSF_6TensorESK_SK_EERKSK_lbbbEUlllE0_EEPmJS9_EEE10hipError_tPvRmT3_T4_T5_T6_T7_T9_mT8_P12ihipStream_tbDpT10_ENKUlT_T0_E_clISt17integral_constantIbLb0EES1A_EEDaS15_S16_EUlS15_E_NS1_11comp_targetILNS1_3genE5ELNS1_11target_archE942ELNS1_3gpuE9ELNS1_3repE0EEENS1_30default_config_static_selectorELNS0_4arch9wavefront6targetE0EEEvT1_,comdat
	.globl	_ZN7rocprim17ROCPRIM_400000_NS6detail17trampoline_kernelINS0_14default_configENS1_25partition_config_selectorILNS1_17partition_subalgoE9EllbEEZZNS1_14partition_implILS5_9ELb0ES3_jPlS8_PNS0_10empty_typeENS0_5tupleIJS8_S9_EEENSB_IJS8_SA_EEENS0_18inequality_wrapperIZN2at6native12_GLOBAL__N_124unique_dim_cuda_templateIjEESt5tupleIJNSF_6TensorESK_SK_EERKSK_lbbbEUlllE0_EEPmJS9_EEE10hipError_tPvRmT3_T4_T5_T6_T7_T9_mT8_P12ihipStream_tbDpT10_ENKUlT_T0_E_clISt17integral_constantIbLb0EES1A_EEDaS15_S16_EUlS15_E_NS1_11comp_targetILNS1_3genE5ELNS1_11target_archE942ELNS1_3gpuE9ELNS1_3repE0EEENS1_30default_config_static_selectorELNS0_4arch9wavefront6targetE0EEEvT1_ ; -- Begin function _ZN7rocprim17ROCPRIM_400000_NS6detail17trampoline_kernelINS0_14default_configENS1_25partition_config_selectorILNS1_17partition_subalgoE9EllbEEZZNS1_14partition_implILS5_9ELb0ES3_jPlS8_PNS0_10empty_typeENS0_5tupleIJS8_S9_EEENSB_IJS8_SA_EEENS0_18inequality_wrapperIZN2at6native12_GLOBAL__N_124unique_dim_cuda_templateIjEESt5tupleIJNSF_6TensorESK_SK_EERKSK_lbbbEUlllE0_EEPmJS9_EEE10hipError_tPvRmT3_T4_T5_T6_T7_T9_mT8_P12ihipStream_tbDpT10_ENKUlT_T0_E_clISt17integral_constantIbLb0EES1A_EEDaS15_S16_EUlS15_E_NS1_11comp_targetILNS1_3genE5ELNS1_11target_archE942ELNS1_3gpuE9ELNS1_3repE0EEENS1_30default_config_static_selectorELNS0_4arch9wavefront6targetE0EEEvT1_
	.p2align	8
	.type	_ZN7rocprim17ROCPRIM_400000_NS6detail17trampoline_kernelINS0_14default_configENS1_25partition_config_selectorILNS1_17partition_subalgoE9EllbEEZZNS1_14partition_implILS5_9ELb0ES3_jPlS8_PNS0_10empty_typeENS0_5tupleIJS8_S9_EEENSB_IJS8_SA_EEENS0_18inequality_wrapperIZN2at6native12_GLOBAL__N_124unique_dim_cuda_templateIjEESt5tupleIJNSF_6TensorESK_SK_EERKSK_lbbbEUlllE0_EEPmJS9_EEE10hipError_tPvRmT3_T4_T5_T6_T7_T9_mT8_P12ihipStream_tbDpT10_ENKUlT_T0_E_clISt17integral_constantIbLb0EES1A_EEDaS15_S16_EUlS15_E_NS1_11comp_targetILNS1_3genE5ELNS1_11target_archE942ELNS1_3gpuE9ELNS1_3repE0EEENS1_30default_config_static_selectorELNS0_4arch9wavefront6targetE0EEEvT1_,@function
_ZN7rocprim17ROCPRIM_400000_NS6detail17trampoline_kernelINS0_14default_configENS1_25partition_config_selectorILNS1_17partition_subalgoE9EllbEEZZNS1_14partition_implILS5_9ELb0ES3_jPlS8_PNS0_10empty_typeENS0_5tupleIJS8_S9_EEENSB_IJS8_SA_EEENS0_18inequality_wrapperIZN2at6native12_GLOBAL__N_124unique_dim_cuda_templateIjEESt5tupleIJNSF_6TensorESK_SK_EERKSK_lbbbEUlllE0_EEPmJS9_EEE10hipError_tPvRmT3_T4_T5_T6_T7_T9_mT8_P12ihipStream_tbDpT10_ENKUlT_T0_E_clISt17integral_constantIbLb0EES1A_EEDaS15_S16_EUlS15_E_NS1_11comp_targetILNS1_3genE5ELNS1_11target_archE942ELNS1_3gpuE9ELNS1_3repE0EEENS1_30default_config_static_selectorELNS0_4arch9wavefront6targetE0EEEvT1_: ; @_ZN7rocprim17ROCPRIM_400000_NS6detail17trampoline_kernelINS0_14default_configENS1_25partition_config_selectorILNS1_17partition_subalgoE9EllbEEZZNS1_14partition_implILS5_9ELb0ES3_jPlS8_PNS0_10empty_typeENS0_5tupleIJS8_S9_EEENSB_IJS8_SA_EEENS0_18inequality_wrapperIZN2at6native12_GLOBAL__N_124unique_dim_cuda_templateIjEESt5tupleIJNSF_6TensorESK_SK_EERKSK_lbbbEUlllE0_EEPmJS9_EEE10hipError_tPvRmT3_T4_T5_T6_T7_T9_mT8_P12ihipStream_tbDpT10_ENKUlT_T0_E_clISt17integral_constantIbLb0EES1A_EEDaS15_S16_EUlS15_E_NS1_11comp_targetILNS1_3genE5ELNS1_11target_archE942ELNS1_3gpuE9ELNS1_3repE0EEENS1_30default_config_static_selectorELNS0_4arch9wavefront6targetE0EEEvT1_
; %bb.0:
	.section	.rodata,"a",@progbits
	.p2align	6, 0x0
	.amdhsa_kernel _ZN7rocprim17ROCPRIM_400000_NS6detail17trampoline_kernelINS0_14default_configENS1_25partition_config_selectorILNS1_17partition_subalgoE9EllbEEZZNS1_14partition_implILS5_9ELb0ES3_jPlS8_PNS0_10empty_typeENS0_5tupleIJS8_S9_EEENSB_IJS8_SA_EEENS0_18inequality_wrapperIZN2at6native12_GLOBAL__N_124unique_dim_cuda_templateIjEESt5tupleIJNSF_6TensorESK_SK_EERKSK_lbbbEUlllE0_EEPmJS9_EEE10hipError_tPvRmT3_T4_T5_T6_T7_T9_mT8_P12ihipStream_tbDpT10_ENKUlT_T0_E_clISt17integral_constantIbLb0EES1A_EEDaS15_S16_EUlS15_E_NS1_11comp_targetILNS1_3genE5ELNS1_11target_archE942ELNS1_3gpuE9ELNS1_3repE0EEENS1_30default_config_static_selectorELNS0_4arch9wavefront6targetE0EEEvT1_
		.amdhsa_group_segment_fixed_size 0
		.amdhsa_private_segment_fixed_size 0
		.amdhsa_kernarg_size 120
		.amdhsa_user_sgpr_count 15
		.amdhsa_user_sgpr_dispatch_ptr 0
		.amdhsa_user_sgpr_queue_ptr 0
		.amdhsa_user_sgpr_kernarg_segment_ptr 1
		.amdhsa_user_sgpr_dispatch_id 0
		.amdhsa_user_sgpr_private_segment_size 0
		.amdhsa_wavefront_size32 1
		.amdhsa_uses_dynamic_stack 0
		.amdhsa_enable_private_segment 0
		.amdhsa_system_sgpr_workgroup_id_x 1
		.amdhsa_system_sgpr_workgroup_id_y 0
		.amdhsa_system_sgpr_workgroup_id_z 0
		.amdhsa_system_sgpr_workgroup_info 0
		.amdhsa_system_vgpr_workitem_id 0
		.amdhsa_next_free_vgpr 1
		.amdhsa_next_free_sgpr 1
		.amdhsa_reserve_vcc 0
		.amdhsa_float_round_mode_32 0
		.amdhsa_float_round_mode_16_64 0
		.amdhsa_float_denorm_mode_32 3
		.amdhsa_float_denorm_mode_16_64 3
		.amdhsa_dx10_clamp 1
		.amdhsa_ieee_mode 1
		.amdhsa_fp16_overflow 0
		.amdhsa_workgroup_processor_mode 1
		.amdhsa_memory_ordered 1
		.amdhsa_forward_progress 0
		.amdhsa_shared_vgpr_count 0
		.amdhsa_exception_fp_ieee_invalid_op 0
		.amdhsa_exception_fp_denorm_src 0
		.amdhsa_exception_fp_ieee_div_zero 0
		.amdhsa_exception_fp_ieee_overflow 0
		.amdhsa_exception_fp_ieee_underflow 0
		.amdhsa_exception_fp_ieee_inexact 0
		.amdhsa_exception_int_div_zero 0
	.end_amdhsa_kernel
	.section	.text._ZN7rocprim17ROCPRIM_400000_NS6detail17trampoline_kernelINS0_14default_configENS1_25partition_config_selectorILNS1_17partition_subalgoE9EllbEEZZNS1_14partition_implILS5_9ELb0ES3_jPlS8_PNS0_10empty_typeENS0_5tupleIJS8_S9_EEENSB_IJS8_SA_EEENS0_18inequality_wrapperIZN2at6native12_GLOBAL__N_124unique_dim_cuda_templateIjEESt5tupleIJNSF_6TensorESK_SK_EERKSK_lbbbEUlllE0_EEPmJS9_EEE10hipError_tPvRmT3_T4_T5_T6_T7_T9_mT8_P12ihipStream_tbDpT10_ENKUlT_T0_E_clISt17integral_constantIbLb0EES1A_EEDaS15_S16_EUlS15_E_NS1_11comp_targetILNS1_3genE5ELNS1_11target_archE942ELNS1_3gpuE9ELNS1_3repE0EEENS1_30default_config_static_selectorELNS0_4arch9wavefront6targetE0EEEvT1_,"axG",@progbits,_ZN7rocprim17ROCPRIM_400000_NS6detail17trampoline_kernelINS0_14default_configENS1_25partition_config_selectorILNS1_17partition_subalgoE9EllbEEZZNS1_14partition_implILS5_9ELb0ES3_jPlS8_PNS0_10empty_typeENS0_5tupleIJS8_S9_EEENSB_IJS8_SA_EEENS0_18inequality_wrapperIZN2at6native12_GLOBAL__N_124unique_dim_cuda_templateIjEESt5tupleIJNSF_6TensorESK_SK_EERKSK_lbbbEUlllE0_EEPmJS9_EEE10hipError_tPvRmT3_T4_T5_T6_T7_T9_mT8_P12ihipStream_tbDpT10_ENKUlT_T0_E_clISt17integral_constantIbLb0EES1A_EEDaS15_S16_EUlS15_E_NS1_11comp_targetILNS1_3genE5ELNS1_11target_archE942ELNS1_3gpuE9ELNS1_3repE0EEENS1_30default_config_static_selectorELNS0_4arch9wavefront6targetE0EEEvT1_,comdat
.Lfunc_end1572:
	.size	_ZN7rocprim17ROCPRIM_400000_NS6detail17trampoline_kernelINS0_14default_configENS1_25partition_config_selectorILNS1_17partition_subalgoE9EllbEEZZNS1_14partition_implILS5_9ELb0ES3_jPlS8_PNS0_10empty_typeENS0_5tupleIJS8_S9_EEENSB_IJS8_SA_EEENS0_18inequality_wrapperIZN2at6native12_GLOBAL__N_124unique_dim_cuda_templateIjEESt5tupleIJNSF_6TensorESK_SK_EERKSK_lbbbEUlllE0_EEPmJS9_EEE10hipError_tPvRmT3_T4_T5_T6_T7_T9_mT8_P12ihipStream_tbDpT10_ENKUlT_T0_E_clISt17integral_constantIbLb0EES1A_EEDaS15_S16_EUlS15_E_NS1_11comp_targetILNS1_3genE5ELNS1_11target_archE942ELNS1_3gpuE9ELNS1_3repE0EEENS1_30default_config_static_selectorELNS0_4arch9wavefront6targetE0EEEvT1_, .Lfunc_end1572-_ZN7rocprim17ROCPRIM_400000_NS6detail17trampoline_kernelINS0_14default_configENS1_25partition_config_selectorILNS1_17partition_subalgoE9EllbEEZZNS1_14partition_implILS5_9ELb0ES3_jPlS8_PNS0_10empty_typeENS0_5tupleIJS8_S9_EEENSB_IJS8_SA_EEENS0_18inequality_wrapperIZN2at6native12_GLOBAL__N_124unique_dim_cuda_templateIjEESt5tupleIJNSF_6TensorESK_SK_EERKSK_lbbbEUlllE0_EEPmJS9_EEE10hipError_tPvRmT3_T4_T5_T6_T7_T9_mT8_P12ihipStream_tbDpT10_ENKUlT_T0_E_clISt17integral_constantIbLb0EES1A_EEDaS15_S16_EUlS15_E_NS1_11comp_targetILNS1_3genE5ELNS1_11target_archE942ELNS1_3gpuE9ELNS1_3repE0EEENS1_30default_config_static_selectorELNS0_4arch9wavefront6targetE0EEEvT1_
                                        ; -- End function
	.section	.AMDGPU.csdata,"",@progbits
; Kernel info:
; codeLenInByte = 0
; NumSgprs: 0
; NumVgprs: 0
; ScratchSize: 0
; MemoryBound: 0
; FloatMode: 240
; IeeeMode: 1
; LDSByteSize: 0 bytes/workgroup (compile time only)
; SGPRBlocks: 0
; VGPRBlocks: 0
; NumSGPRsForWavesPerEU: 1
; NumVGPRsForWavesPerEU: 1
; Occupancy: 16
; WaveLimiterHint : 0
; COMPUTE_PGM_RSRC2:SCRATCH_EN: 0
; COMPUTE_PGM_RSRC2:USER_SGPR: 15
; COMPUTE_PGM_RSRC2:TRAP_HANDLER: 0
; COMPUTE_PGM_RSRC2:TGID_X_EN: 1
; COMPUTE_PGM_RSRC2:TGID_Y_EN: 0
; COMPUTE_PGM_RSRC2:TGID_Z_EN: 0
; COMPUTE_PGM_RSRC2:TIDIG_COMP_CNT: 0
	.section	.text._ZN7rocprim17ROCPRIM_400000_NS6detail17trampoline_kernelINS0_14default_configENS1_25partition_config_selectorILNS1_17partition_subalgoE9EllbEEZZNS1_14partition_implILS5_9ELb0ES3_jPlS8_PNS0_10empty_typeENS0_5tupleIJS8_S9_EEENSB_IJS8_SA_EEENS0_18inequality_wrapperIZN2at6native12_GLOBAL__N_124unique_dim_cuda_templateIjEESt5tupleIJNSF_6TensorESK_SK_EERKSK_lbbbEUlllE0_EEPmJS9_EEE10hipError_tPvRmT3_T4_T5_T6_T7_T9_mT8_P12ihipStream_tbDpT10_ENKUlT_T0_E_clISt17integral_constantIbLb0EES1A_EEDaS15_S16_EUlS15_E_NS1_11comp_targetILNS1_3genE4ELNS1_11target_archE910ELNS1_3gpuE8ELNS1_3repE0EEENS1_30default_config_static_selectorELNS0_4arch9wavefront6targetE0EEEvT1_,"axG",@progbits,_ZN7rocprim17ROCPRIM_400000_NS6detail17trampoline_kernelINS0_14default_configENS1_25partition_config_selectorILNS1_17partition_subalgoE9EllbEEZZNS1_14partition_implILS5_9ELb0ES3_jPlS8_PNS0_10empty_typeENS0_5tupleIJS8_S9_EEENSB_IJS8_SA_EEENS0_18inequality_wrapperIZN2at6native12_GLOBAL__N_124unique_dim_cuda_templateIjEESt5tupleIJNSF_6TensorESK_SK_EERKSK_lbbbEUlllE0_EEPmJS9_EEE10hipError_tPvRmT3_T4_T5_T6_T7_T9_mT8_P12ihipStream_tbDpT10_ENKUlT_T0_E_clISt17integral_constantIbLb0EES1A_EEDaS15_S16_EUlS15_E_NS1_11comp_targetILNS1_3genE4ELNS1_11target_archE910ELNS1_3gpuE8ELNS1_3repE0EEENS1_30default_config_static_selectorELNS0_4arch9wavefront6targetE0EEEvT1_,comdat
	.globl	_ZN7rocprim17ROCPRIM_400000_NS6detail17trampoline_kernelINS0_14default_configENS1_25partition_config_selectorILNS1_17partition_subalgoE9EllbEEZZNS1_14partition_implILS5_9ELb0ES3_jPlS8_PNS0_10empty_typeENS0_5tupleIJS8_S9_EEENSB_IJS8_SA_EEENS0_18inequality_wrapperIZN2at6native12_GLOBAL__N_124unique_dim_cuda_templateIjEESt5tupleIJNSF_6TensorESK_SK_EERKSK_lbbbEUlllE0_EEPmJS9_EEE10hipError_tPvRmT3_T4_T5_T6_T7_T9_mT8_P12ihipStream_tbDpT10_ENKUlT_T0_E_clISt17integral_constantIbLb0EES1A_EEDaS15_S16_EUlS15_E_NS1_11comp_targetILNS1_3genE4ELNS1_11target_archE910ELNS1_3gpuE8ELNS1_3repE0EEENS1_30default_config_static_selectorELNS0_4arch9wavefront6targetE0EEEvT1_ ; -- Begin function _ZN7rocprim17ROCPRIM_400000_NS6detail17trampoline_kernelINS0_14default_configENS1_25partition_config_selectorILNS1_17partition_subalgoE9EllbEEZZNS1_14partition_implILS5_9ELb0ES3_jPlS8_PNS0_10empty_typeENS0_5tupleIJS8_S9_EEENSB_IJS8_SA_EEENS0_18inequality_wrapperIZN2at6native12_GLOBAL__N_124unique_dim_cuda_templateIjEESt5tupleIJNSF_6TensorESK_SK_EERKSK_lbbbEUlllE0_EEPmJS9_EEE10hipError_tPvRmT3_T4_T5_T6_T7_T9_mT8_P12ihipStream_tbDpT10_ENKUlT_T0_E_clISt17integral_constantIbLb0EES1A_EEDaS15_S16_EUlS15_E_NS1_11comp_targetILNS1_3genE4ELNS1_11target_archE910ELNS1_3gpuE8ELNS1_3repE0EEENS1_30default_config_static_selectorELNS0_4arch9wavefront6targetE0EEEvT1_
	.p2align	8
	.type	_ZN7rocprim17ROCPRIM_400000_NS6detail17trampoline_kernelINS0_14default_configENS1_25partition_config_selectorILNS1_17partition_subalgoE9EllbEEZZNS1_14partition_implILS5_9ELb0ES3_jPlS8_PNS0_10empty_typeENS0_5tupleIJS8_S9_EEENSB_IJS8_SA_EEENS0_18inequality_wrapperIZN2at6native12_GLOBAL__N_124unique_dim_cuda_templateIjEESt5tupleIJNSF_6TensorESK_SK_EERKSK_lbbbEUlllE0_EEPmJS9_EEE10hipError_tPvRmT3_T4_T5_T6_T7_T9_mT8_P12ihipStream_tbDpT10_ENKUlT_T0_E_clISt17integral_constantIbLb0EES1A_EEDaS15_S16_EUlS15_E_NS1_11comp_targetILNS1_3genE4ELNS1_11target_archE910ELNS1_3gpuE8ELNS1_3repE0EEENS1_30default_config_static_selectorELNS0_4arch9wavefront6targetE0EEEvT1_,@function
_ZN7rocprim17ROCPRIM_400000_NS6detail17trampoline_kernelINS0_14default_configENS1_25partition_config_selectorILNS1_17partition_subalgoE9EllbEEZZNS1_14partition_implILS5_9ELb0ES3_jPlS8_PNS0_10empty_typeENS0_5tupleIJS8_S9_EEENSB_IJS8_SA_EEENS0_18inequality_wrapperIZN2at6native12_GLOBAL__N_124unique_dim_cuda_templateIjEESt5tupleIJNSF_6TensorESK_SK_EERKSK_lbbbEUlllE0_EEPmJS9_EEE10hipError_tPvRmT3_T4_T5_T6_T7_T9_mT8_P12ihipStream_tbDpT10_ENKUlT_T0_E_clISt17integral_constantIbLb0EES1A_EEDaS15_S16_EUlS15_E_NS1_11comp_targetILNS1_3genE4ELNS1_11target_archE910ELNS1_3gpuE8ELNS1_3repE0EEENS1_30default_config_static_selectorELNS0_4arch9wavefront6targetE0EEEvT1_: ; @_ZN7rocprim17ROCPRIM_400000_NS6detail17trampoline_kernelINS0_14default_configENS1_25partition_config_selectorILNS1_17partition_subalgoE9EllbEEZZNS1_14partition_implILS5_9ELb0ES3_jPlS8_PNS0_10empty_typeENS0_5tupleIJS8_S9_EEENSB_IJS8_SA_EEENS0_18inequality_wrapperIZN2at6native12_GLOBAL__N_124unique_dim_cuda_templateIjEESt5tupleIJNSF_6TensorESK_SK_EERKSK_lbbbEUlllE0_EEPmJS9_EEE10hipError_tPvRmT3_T4_T5_T6_T7_T9_mT8_P12ihipStream_tbDpT10_ENKUlT_T0_E_clISt17integral_constantIbLb0EES1A_EEDaS15_S16_EUlS15_E_NS1_11comp_targetILNS1_3genE4ELNS1_11target_archE910ELNS1_3gpuE8ELNS1_3repE0EEENS1_30default_config_static_selectorELNS0_4arch9wavefront6targetE0EEEvT1_
; %bb.0:
	.section	.rodata,"a",@progbits
	.p2align	6, 0x0
	.amdhsa_kernel _ZN7rocprim17ROCPRIM_400000_NS6detail17trampoline_kernelINS0_14default_configENS1_25partition_config_selectorILNS1_17partition_subalgoE9EllbEEZZNS1_14partition_implILS5_9ELb0ES3_jPlS8_PNS0_10empty_typeENS0_5tupleIJS8_S9_EEENSB_IJS8_SA_EEENS0_18inequality_wrapperIZN2at6native12_GLOBAL__N_124unique_dim_cuda_templateIjEESt5tupleIJNSF_6TensorESK_SK_EERKSK_lbbbEUlllE0_EEPmJS9_EEE10hipError_tPvRmT3_T4_T5_T6_T7_T9_mT8_P12ihipStream_tbDpT10_ENKUlT_T0_E_clISt17integral_constantIbLb0EES1A_EEDaS15_S16_EUlS15_E_NS1_11comp_targetILNS1_3genE4ELNS1_11target_archE910ELNS1_3gpuE8ELNS1_3repE0EEENS1_30default_config_static_selectorELNS0_4arch9wavefront6targetE0EEEvT1_
		.amdhsa_group_segment_fixed_size 0
		.amdhsa_private_segment_fixed_size 0
		.amdhsa_kernarg_size 120
		.amdhsa_user_sgpr_count 15
		.amdhsa_user_sgpr_dispatch_ptr 0
		.amdhsa_user_sgpr_queue_ptr 0
		.amdhsa_user_sgpr_kernarg_segment_ptr 1
		.amdhsa_user_sgpr_dispatch_id 0
		.amdhsa_user_sgpr_private_segment_size 0
		.amdhsa_wavefront_size32 1
		.amdhsa_uses_dynamic_stack 0
		.amdhsa_enable_private_segment 0
		.amdhsa_system_sgpr_workgroup_id_x 1
		.amdhsa_system_sgpr_workgroup_id_y 0
		.amdhsa_system_sgpr_workgroup_id_z 0
		.amdhsa_system_sgpr_workgroup_info 0
		.amdhsa_system_vgpr_workitem_id 0
		.amdhsa_next_free_vgpr 1
		.amdhsa_next_free_sgpr 1
		.amdhsa_reserve_vcc 0
		.amdhsa_float_round_mode_32 0
		.amdhsa_float_round_mode_16_64 0
		.amdhsa_float_denorm_mode_32 3
		.amdhsa_float_denorm_mode_16_64 3
		.amdhsa_dx10_clamp 1
		.amdhsa_ieee_mode 1
		.amdhsa_fp16_overflow 0
		.amdhsa_workgroup_processor_mode 1
		.amdhsa_memory_ordered 1
		.amdhsa_forward_progress 0
		.amdhsa_shared_vgpr_count 0
		.amdhsa_exception_fp_ieee_invalid_op 0
		.amdhsa_exception_fp_denorm_src 0
		.amdhsa_exception_fp_ieee_div_zero 0
		.amdhsa_exception_fp_ieee_overflow 0
		.amdhsa_exception_fp_ieee_underflow 0
		.amdhsa_exception_fp_ieee_inexact 0
		.amdhsa_exception_int_div_zero 0
	.end_amdhsa_kernel
	.section	.text._ZN7rocprim17ROCPRIM_400000_NS6detail17trampoline_kernelINS0_14default_configENS1_25partition_config_selectorILNS1_17partition_subalgoE9EllbEEZZNS1_14partition_implILS5_9ELb0ES3_jPlS8_PNS0_10empty_typeENS0_5tupleIJS8_S9_EEENSB_IJS8_SA_EEENS0_18inequality_wrapperIZN2at6native12_GLOBAL__N_124unique_dim_cuda_templateIjEESt5tupleIJNSF_6TensorESK_SK_EERKSK_lbbbEUlllE0_EEPmJS9_EEE10hipError_tPvRmT3_T4_T5_T6_T7_T9_mT8_P12ihipStream_tbDpT10_ENKUlT_T0_E_clISt17integral_constantIbLb0EES1A_EEDaS15_S16_EUlS15_E_NS1_11comp_targetILNS1_3genE4ELNS1_11target_archE910ELNS1_3gpuE8ELNS1_3repE0EEENS1_30default_config_static_selectorELNS0_4arch9wavefront6targetE0EEEvT1_,"axG",@progbits,_ZN7rocprim17ROCPRIM_400000_NS6detail17trampoline_kernelINS0_14default_configENS1_25partition_config_selectorILNS1_17partition_subalgoE9EllbEEZZNS1_14partition_implILS5_9ELb0ES3_jPlS8_PNS0_10empty_typeENS0_5tupleIJS8_S9_EEENSB_IJS8_SA_EEENS0_18inequality_wrapperIZN2at6native12_GLOBAL__N_124unique_dim_cuda_templateIjEESt5tupleIJNSF_6TensorESK_SK_EERKSK_lbbbEUlllE0_EEPmJS9_EEE10hipError_tPvRmT3_T4_T5_T6_T7_T9_mT8_P12ihipStream_tbDpT10_ENKUlT_T0_E_clISt17integral_constantIbLb0EES1A_EEDaS15_S16_EUlS15_E_NS1_11comp_targetILNS1_3genE4ELNS1_11target_archE910ELNS1_3gpuE8ELNS1_3repE0EEENS1_30default_config_static_selectorELNS0_4arch9wavefront6targetE0EEEvT1_,comdat
.Lfunc_end1573:
	.size	_ZN7rocprim17ROCPRIM_400000_NS6detail17trampoline_kernelINS0_14default_configENS1_25partition_config_selectorILNS1_17partition_subalgoE9EllbEEZZNS1_14partition_implILS5_9ELb0ES3_jPlS8_PNS0_10empty_typeENS0_5tupleIJS8_S9_EEENSB_IJS8_SA_EEENS0_18inequality_wrapperIZN2at6native12_GLOBAL__N_124unique_dim_cuda_templateIjEESt5tupleIJNSF_6TensorESK_SK_EERKSK_lbbbEUlllE0_EEPmJS9_EEE10hipError_tPvRmT3_T4_T5_T6_T7_T9_mT8_P12ihipStream_tbDpT10_ENKUlT_T0_E_clISt17integral_constantIbLb0EES1A_EEDaS15_S16_EUlS15_E_NS1_11comp_targetILNS1_3genE4ELNS1_11target_archE910ELNS1_3gpuE8ELNS1_3repE0EEENS1_30default_config_static_selectorELNS0_4arch9wavefront6targetE0EEEvT1_, .Lfunc_end1573-_ZN7rocprim17ROCPRIM_400000_NS6detail17trampoline_kernelINS0_14default_configENS1_25partition_config_selectorILNS1_17partition_subalgoE9EllbEEZZNS1_14partition_implILS5_9ELb0ES3_jPlS8_PNS0_10empty_typeENS0_5tupleIJS8_S9_EEENSB_IJS8_SA_EEENS0_18inequality_wrapperIZN2at6native12_GLOBAL__N_124unique_dim_cuda_templateIjEESt5tupleIJNSF_6TensorESK_SK_EERKSK_lbbbEUlllE0_EEPmJS9_EEE10hipError_tPvRmT3_T4_T5_T6_T7_T9_mT8_P12ihipStream_tbDpT10_ENKUlT_T0_E_clISt17integral_constantIbLb0EES1A_EEDaS15_S16_EUlS15_E_NS1_11comp_targetILNS1_3genE4ELNS1_11target_archE910ELNS1_3gpuE8ELNS1_3repE0EEENS1_30default_config_static_selectorELNS0_4arch9wavefront6targetE0EEEvT1_
                                        ; -- End function
	.section	.AMDGPU.csdata,"",@progbits
; Kernel info:
; codeLenInByte = 0
; NumSgprs: 0
; NumVgprs: 0
; ScratchSize: 0
; MemoryBound: 0
; FloatMode: 240
; IeeeMode: 1
; LDSByteSize: 0 bytes/workgroup (compile time only)
; SGPRBlocks: 0
; VGPRBlocks: 0
; NumSGPRsForWavesPerEU: 1
; NumVGPRsForWavesPerEU: 1
; Occupancy: 16
; WaveLimiterHint : 0
; COMPUTE_PGM_RSRC2:SCRATCH_EN: 0
; COMPUTE_PGM_RSRC2:USER_SGPR: 15
; COMPUTE_PGM_RSRC2:TRAP_HANDLER: 0
; COMPUTE_PGM_RSRC2:TGID_X_EN: 1
; COMPUTE_PGM_RSRC2:TGID_Y_EN: 0
; COMPUTE_PGM_RSRC2:TGID_Z_EN: 0
; COMPUTE_PGM_RSRC2:TIDIG_COMP_CNT: 0
	.section	.text._ZN7rocprim17ROCPRIM_400000_NS6detail17trampoline_kernelINS0_14default_configENS1_25partition_config_selectorILNS1_17partition_subalgoE9EllbEEZZNS1_14partition_implILS5_9ELb0ES3_jPlS8_PNS0_10empty_typeENS0_5tupleIJS8_S9_EEENSB_IJS8_SA_EEENS0_18inequality_wrapperIZN2at6native12_GLOBAL__N_124unique_dim_cuda_templateIjEESt5tupleIJNSF_6TensorESK_SK_EERKSK_lbbbEUlllE0_EEPmJS9_EEE10hipError_tPvRmT3_T4_T5_T6_T7_T9_mT8_P12ihipStream_tbDpT10_ENKUlT_T0_E_clISt17integral_constantIbLb0EES1A_EEDaS15_S16_EUlS15_E_NS1_11comp_targetILNS1_3genE3ELNS1_11target_archE908ELNS1_3gpuE7ELNS1_3repE0EEENS1_30default_config_static_selectorELNS0_4arch9wavefront6targetE0EEEvT1_,"axG",@progbits,_ZN7rocprim17ROCPRIM_400000_NS6detail17trampoline_kernelINS0_14default_configENS1_25partition_config_selectorILNS1_17partition_subalgoE9EllbEEZZNS1_14partition_implILS5_9ELb0ES3_jPlS8_PNS0_10empty_typeENS0_5tupleIJS8_S9_EEENSB_IJS8_SA_EEENS0_18inequality_wrapperIZN2at6native12_GLOBAL__N_124unique_dim_cuda_templateIjEESt5tupleIJNSF_6TensorESK_SK_EERKSK_lbbbEUlllE0_EEPmJS9_EEE10hipError_tPvRmT3_T4_T5_T6_T7_T9_mT8_P12ihipStream_tbDpT10_ENKUlT_T0_E_clISt17integral_constantIbLb0EES1A_EEDaS15_S16_EUlS15_E_NS1_11comp_targetILNS1_3genE3ELNS1_11target_archE908ELNS1_3gpuE7ELNS1_3repE0EEENS1_30default_config_static_selectorELNS0_4arch9wavefront6targetE0EEEvT1_,comdat
	.globl	_ZN7rocprim17ROCPRIM_400000_NS6detail17trampoline_kernelINS0_14default_configENS1_25partition_config_selectorILNS1_17partition_subalgoE9EllbEEZZNS1_14partition_implILS5_9ELb0ES3_jPlS8_PNS0_10empty_typeENS0_5tupleIJS8_S9_EEENSB_IJS8_SA_EEENS0_18inequality_wrapperIZN2at6native12_GLOBAL__N_124unique_dim_cuda_templateIjEESt5tupleIJNSF_6TensorESK_SK_EERKSK_lbbbEUlllE0_EEPmJS9_EEE10hipError_tPvRmT3_T4_T5_T6_T7_T9_mT8_P12ihipStream_tbDpT10_ENKUlT_T0_E_clISt17integral_constantIbLb0EES1A_EEDaS15_S16_EUlS15_E_NS1_11comp_targetILNS1_3genE3ELNS1_11target_archE908ELNS1_3gpuE7ELNS1_3repE0EEENS1_30default_config_static_selectorELNS0_4arch9wavefront6targetE0EEEvT1_ ; -- Begin function _ZN7rocprim17ROCPRIM_400000_NS6detail17trampoline_kernelINS0_14default_configENS1_25partition_config_selectorILNS1_17partition_subalgoE9EllbEEZZNS1_14partition_implILS5_9ELb0ES3_jPlS8_PNS0_10empty_typeENS0_5tupleIJS8_S9_EEENSB_IJS8_SA_EEENS0_18inequality_wrapperIZN2at6native12_GLOBAL__N_124unique_dim_cuda_templateIjEESt5tupleIJNSF_6TensorESK_SK_EERKSK_lbbbEUlllE0_EEPmJS9_EEE10hipError_tPvRmT3_T4_T5_T6_T7_T9_mT8_P12ihipStream_tbDpT10_ENKUlT_T0_E_clISt17integral_constantIbLb0EES1A_EEDaS15_S16_EUlS15_E_NS1_11comp_targetILNS1_3genE3ELNS1_11target_archE908ELNS1_3gpuE7ELNS1_3repE0EEENS1_30default_config_static_selectorELNS0_4arch9wavefront6targetE0EEEvT1_
	.p2align	8
	.type	_ZN7rocprim17ROCPRIM_400000_NS6detail17trampoline_kernelINS0_14default_configENS1_25partition_config_selectorILNS1_17partition_subalgoE9EllbEEZZNS1_14partition_implILS5_9ELb0ES3_jPlS8_PNS0_10empty_typeENS0_5tupleIJS8_S9_EEENSB_IJS8_SA_EEENS0_18inequality_wrapperIZN2at6native12_GLOBAL__N_124unique_dim_cuda_templateIjEESt5tupleIJNSF_6TensorESK_SK_EERKSK_lbbbEUlllE0_EEPmJS9_EEE10hipError_tPvRmT3_T4_T5_T6_T7_T9_mT8_P12ihipStream_tbDpT10_ENKUlT_T0_E_clISt17integral_constantIbLb0EES1A_EEDaS15_S16_EUlS15_E_NS1_11comp_targetILNS1_3genE3ELNS1_11target_archE908ELNS1_3gpuE7ELNS1_3repE0EEENS1_30default_config_static_selectorELNS0_4arch9wavefront6targetE0EEEvT1_,@function
_ZN7rocprim17ROCPRIM_400000_NS6detail17trampoline_kernelINS0_14default_configENS1_25partition_config_selectorILNS1_17partition_subalgoE9EllbEEZZNS1_14partition_implILS5_9ELb0ES3_jPlS8_PNS0_10empty_typeENS0_5tupleIJS8_S9_EEENSB_IJS8_SA_EEENS0_18inequality_wrapperIZN2at6native12_GLOBAL__N_124unique_dim_cuda_templateIjEESt5tupleIJNSF_6TensorESK_SK_EERKSK_lbbbEUlllE0_EEPmJS9_EEE10hipError_tPvRmT3_T4_T5_T6_T7_T9_mT8_P12ihipStream_tbDpT10_ENKUlT_T0_E_clISt17integral_constantIbLb0EES1A_EEDaS15_S16_EUlS15_E_NS1_11comp_targetILNS1_3genE3ELNS1_11target_archE908ELNS1_3gpuE7ELNS1_3repE0EEENS1_30default_config_static_selectorELNS0_4arch9wavefront6targetE0EEEvT1_: ; @_ZN7rocprim17ROCPRIM_400000_NS6detail17trampoline_kernelINS0_14default_configENS1_25partition_config_selectorILNS1_17partition_subalgoE9EllbEEZZNS1_14partition_implILS5_9ELb0ES3_jPlS8_PNS0_10empty_typeENS0_5tupleIJS8_S9_EEENSB_IJS8_SA_EEENS0_18inequality_wrapperIZN2at6native12_GLOBAL__N_124unique_dim_cuda_templateIjEESt5tupleIJNSF_6TensorESK_SK_EERKSK_lbbbEUlllE0_EEPmJS9_EEE10hipError_tPvRmT3_T4_T5_T6_T7_T9_mT8_P12ihipStream_tbDpT10_ENKUlT_T0_E_clISt17integral_constantIbLb0EES1A_EEDaS15_S16_EUlS15_E_NS1_11comp_targetILNS1_3genE3ELNS1_11target_archE908ELNS1_3gpuE7ELNS1_3repE0EEENS1_30default_config_static_selectorELNS0_4arch9wavefront6targetE0EEEvT1_
; %bb.0:
	.section	.rodata,"a",@progbits
	.p2align	6, 0x0
	.amdhsa_kernel _ZN7rocprim17ROCPRIM_400000_NS6detail17trampoline_kernelINS0_14default_configENS1_25partition_config_selectorILNS1_17partition_subalgoE9EllbEEZZNS1_14partition_implILS5_9ELb0ES3_jPlS8_PNS0_10empty_typeENS0_5tupleIJS8_S9_EEENSB_IJS8_SA_EEENS0_18inequality_wrapperIZN2at6native12_GLOBAL__N_124unique_dim_cuda_templateIjEESt5tupleIJNSF_6TensorESK_SK_EERKSK_lbbbEUlllE0_EEPmJS9_EEE10hipError_tPvRmT3_T4_T5_T6_T7_T9_mT8_P12ihipStream_tbDpT10_ENKUlT_T0_E_clISt17integral_constantIbLb0EES1A_EEDaS15_S16_EUlS15_E_NS1_11comp_targetILNS1_3genE3ELNS1_11target_archE908ELNS1_3gpuE7ELNS1_3repE0EEENS1_30default_config_static_selectorELNS0_4arch9wavefront6targetE0EEEvT1_
		.amdhsa_group_segment_fixed_size 0
		.amdhsa_private_segment_fixed_size 0
		.amdhsa_kernarg_size 120
		.amdhsa_user_sgpr_count 15
		.amdhsa_user_sgpr_dispatch_ptr 0
		.amdhsa_user_sgpr_queue_ptr 0
		.amdhsa_user_sgpr_kernarg_segment_ptr 1
		.amdhsa_user_sgpr_dispatch_id 0
		.amdhsa_user_sgpr_private_segment_size 0
		.amdhsa_wavefront_size32 1
		.amdhsa_uses_dynamic_stack 0
		.amdhsa_enable_private_segment 0
		.amdhsa_system_sgpr_workgroup_id_x 1
		.amdhsa_system_sgpr_workgroup_id_y 0
		.amdhsa_system_sgpr_workgroup_id_z 0
		.amdhsa_system_sgpr_workgroup_info 0
		.amdhsa_system_vgpr_workitem_id 0
		.amdhsa_next_free_vgpr 1
		.amdhsa_next_free_sgpr 1
		.amdhsa_reserve_vcc 0
		.amdhsa_float_round_mode_32 0
		.amdhsa_float_round_mode_16_64 0
		.amdhsa_float_denorm_mode_32 3
		.amdhsa_float_denorm_mode_16_64 3
		.amdhsa_dx10_clamp 1
		.amdhsa_ieee_mode 1
		.amdhsa_fp16_overflow 0
		.amdhsa_workgroup_processor_mode 1
		.amdhsa_memory_ordered 1
		.amdhsa_forward_progress 0
		.amdhsa_shared_vgpr_count 0
		.amdhsa_exception_fp_ieee_invalid_op 0
		.amdhsa_exception_fp_denorm_src 0
		.amdhsa_exception_fp_ieee_div_zero 0
		.amdhsa_exception_fp_ieee_overflow 0
		.amdhsa_exception_fp_ieee_underflow 0
		.amdhsa_exception_fp_ieee_inexact 0
		.amdhsa_exception_int_div_zero 0
	.end_amdhsa_kernel
	.section	.text._ZN7rocprim17ROCPRIM_400000_NS6detail17trampoline_kernelINS0_14default_configENS1_25partition_config_selectorILNS1_17partition_subalgoE9EllbEEZZNS1_14partition_implILS5_9ELb0ES3_jPlS8_PNS0_10empty_typeENS0_5tupleIJS8_S9_EEENSB_IJS8_SA_EEENS0_18inequality_wrapperIZN2at6native12_GLOBAL__N_124unique_dim_cuda_templateIjEESt5tupleIJNSF_6TensorESK_SK_EERKSK_lbbbEUlllE0_EEPmJS9_EEE10hipError_tPvRmT3_T4_T5_T6_T7_T9_mT8_P12ihipStream_tbDpT10_ENKUlT_T0_E_clISt17integral_constantIbLb0EES1A_EEDaS15_S16_EUlS15_E_NS1_11comp_targetILNS1_3genE3ELNS1_11target_archE908ELNS1_3gpuE7ELNS1_3repE0EEENS1_30default_config_static_selectorELNS0_4arch9wavefront6targetE0EEEvT1_,"axG",@progbits,_ZN7rocprim17ROCPRIM_400000_NS6detail17trampoline_kernelINS0_14default_configENS1_25partition_config_selectorILNS1_17partition_subalgoE9EllbEEZZNS1_14partition_implILS5_9ELb0ES3_jPlS8_PNS0_10empty_typeENS0_5tupleIJS8_S9_EEENSB_IJS8_SA_EEENS0_18inequality_wrapperIZN2at6native12_GLOBAL__N_124unique_dim_cuda_templateIjEESt5tupleIJNSF_6TensorESK_SK_EERKSK_lbbbEUlllE0_EEPmJS9_EEE10hipError_tPvRmT3_T4_T5_T6_T7_T9_mT8_P12ihipStream_tbDpT10_ENKUlT_T0_E_clISt17integral_constantIbLb0EES1A_EEDaS15_S16_EUlS15_E_NS1_11comp_targetILNS1_3genE3ELNS1_11target_archE908ELNS1_3gpuE7ELNS1_3repE0EEENS1_30default_config_static_selectorELNS0_4arch9wavefront6targetE0EEEvT1_,comdat
.Lfunc_end1574:
	.size	_ZN7rocprim17ROCPRIM_400000_NS6detail17trampoline_kernelINS0_14default_configENS1_25partition_config_selectorILNS1_17partition_subalgoE9EllbEEZZNS1_14partition_implILS5_9ELb0ES3_jPlS8_PNS0_10empty_typeENS0_5tupleIJS8_S9_EEENSB_IJS8_SA_EEENS0_18inequality_wrapperIZN2at6native12_GLOBAL__N_124unique_dim_cuda_templateIjEESt5tupleIJNSF_6TensorESK_SK_EERKSK_lbbbEUlllE0_EEPmJS9_EEE10hipError_tPvRmT3_T4_T5_T6_T7_T9_mT8_P12ihipStream_tbDpT10_ENKUlT_T0_E_clISt17integral_constantIbLb0EES1A_EEDaS15_S16_EUlS15_E_NS1_11comp_targetILNS1_3genE3ELNS1_11target_archE908ELNS1_3gpuE7ELNS1_3repE0EEENS1_30default_config_static_selectorELNS0_4arch9wavefront6targetE0EEEvT1_, .Lfunc_end1574-_ZN7rocprim17ROCPRIM_400000_NS6detail17trampoline_kernelINS0_14default_configENS1_25partition_config_selectorILNS1_17partition_subalgoE9EllbEEZZNS1_14partition_implILS5_9ELb0ES3_jPlS8_PNS0_10empty_typeENS0_5tupleIJS8_S9_EEENSB_IJS8_SA_EEENS0_18inequality_wrapperIZN2at6native12_GLOBAL__N_124unique_dim_cuda_templateIjEESt5tupleIJNSF_6TensorESK_SK_EERKSK_lbbbEUlllE0_EEPmJS9_EEE10hipError_tPvRmT3_T4_T5_T6_T7_T9_mT8_P12ihipStream_tbDpT10_ENKUlT_T0_E_clISt17integral_constantIbLb0EES1A_EEDaS15_S16_EUlS15_E_NS1_11comp_targetILNS1_3genE3ELNS1_11target_archE908ELNS1_3gpuE7ELNS1_3repE0EEENS1_30default_config_static_selectorELNS0_4arch9wavefront6targetE0EEEvT1_
                                        ; -- End function
	.section	.AMDGPU.csdata,"",@progbits
; Kernel info:
; codeLenInByte = 0
; NumSgprs: 0
; NumVgprs: 0
; ScratchSize: 0
; MemoryBound: 0
; FloatMode: 240
; IeeeMode: 1
; LDSByteSize: 0 bytes/workgroup (compile time only)
; SGPRBlocks: 0
; VGPRBlocks: 0
; NumSGPRsForWavesPerEU: 1
; NumVGPRsForWavesPerEU: 1
; Occupancy: 16
; WaveLimiterHint : 0
; COMPUTE_PGM_RSRC2:SCRATCH_EN: 0
; COMPUTE_PGM_RSRC2:USER_SGPR: 15
; COMPUTE_PGM_RSRC2:TRAP_HANDLER: 0
; COMPUTE_PGM_RSRC2:TGID_X_EN: 1
; COMPUTE_PGM_RSRC2:TGID_Y_EN: 0
; COMPUTE_PGM_RSRC2:TGID_Z_EN: 0
; COMPUTE_PGM_RSRC2:TIDIG_COMP_CNT: 0
	.section	.text._ZN7rocprim17ROCPRIM_400000_NS6detail17trampoline_kernelINS0_14default_configENS1_25partition_config_selectorILNS1_17partition_subalgoE9EllbEEZZNS1_14partition_implILS5_9ELb0ES3_jPlS8_PNS0_10empty_typeENS0_5tupleIJS8_S9_EEENSB_IJS8_SA_EEENS0_18inequality_wrapperIZN2at6native12_GLOBAL__N_124unique_dim_cuda_templateIjEESt5tupleIJNSF_6TensorESK_SK_EERKSK_lbbbEUlllE0_EEPmJS9_EEE10hipError_tPvRmT3_T4_T5_T6_T7_T9_mT8_P12ihipStream_tbDpT10_ENKUlT_T0_E_clISt17integral_constantIbLb0EES1A_EEDaS15_S16_EUlS15_E_NS1_11comp_targetILNS1_3genE2ELNS1_11target_archE906ELNS1_3gpuE6ELNS1_3repE0EEENS1_30default_config_static_selectorELNS0_4arch9wavefront6targetE0EEEvT1_,"axG",@progbits,_ZN7rocprim17ROCPRIM_400000_NS6detail17trampoline_kernelINS0_14default_configENS1_25partition_config_selectorILNS1_17partition_subalgoE9EllbEEZZNS1_14partition_implILS5_9ELb0ES3_jPlS8_PNS0_10empty_typeENS0_5tupleIJS8_S9_EEENSB_IJS8_SA_EEENS0_18inequality_wrapperIZN2at6native12_GLOBAL__N_124unique_dim_cuda_templateIjEESt5tupleIJNSF_6TensorESK_SK_EERKSK_lbbbEUlllE0_EEPmJS9_EEE10hipError_tPvRmT3_T4_T5_T6_T7_T9_mT8_P12ihipStream_tbDpT10_ENKUlT_T0_E_clISt17integral_constantIbLb0EES1A_EEDaS15_S16_EUlS15_E_NS1_11comp_targetILNS1_3genE2ELNS1_11target_archE906ELNS1_3gpuE6ELNS1_3repE0EEENS1_30default_config_static_selectorELNS0_4arch9wavefront6targetE0EEEvT1_,comdat
	.globl	_ZN7rocprim17ROCPRIM_400000_NS6detail17trampoline_kernelINS0_14default_configENS1_25partition_config_selectorILNS1_17partition_subalgoE9EllbEEZZNS1_14partition_implILS5_9ELb0ES3_jPlS8_PNS0_10empty_typeENS0_5tupleIJS8_S9_EEENSB_IJS8_SA_EEENS0_18inequality_wrapperIZN2at6native12_GLOBAL__N_124unique_dim_cuda_templateIjEESt5tupleIJNSF_6TensorESK_SK_EERKSK_lbbbEUlllE0_EEPmJS9_EEE10hipError_tPvRmT3_T4_T5_T6_T7_T9_mT8_P12ihipStream_tbDpT10_ENKUlT_T0_E_clISt17integral_constantIbLb0EES1A_EEDaS15_S16_EUlS15_E_NS1_11comp_targetILNS1_3genE2ELNS1_11target_archE906ELNS1_3gpuE6ELNS1_3repE0EEENS1_30default_config_static_selectorELNS0_4arch9wavefront6targetE0EEEvT1_ ; -- Begin function _ZN7rocprim17ROCPRIM_400000_NS6detail17trampoline_kernelINS0_14default_configENS1_25partition_config_selectorILNS1_17partition_subalgoE9EllbEEZZNS1_14partition_implILS5_9ELb0ES3_jPlS8_PNS0_10empty_typeENS0_5tupleIJS8_S9_EEENSB_IJS8_SA_EEENS0_18inequality_wrapperIZN2at6native12_GLOBAL__N_124unique_dim_cuda_templateIjEESt5tupleIJNSF_6TensorESK_SK_EERKSK_lbbbEUlllE0_EEPmJS9_EEE10hipError_tPvRmT3_T4_T5_T6_T7_T9_mT8_P12ihipStream_tbDpT10_ENKUlT_T0_E_clISt17integral_constantIbLb0EES1A_EEDaS15_S16_EUlS15_E_NS1_11comp_targetILNS1_3genE2ELNS1_11target_archE906ELNS1_3gpuE6ELNS1_3repE0EEENS1_30default_config_static_selectorELNS0_4arch9wavefront6targetE0EEEvT1_
	.p2align	8
	.type	_ZN7rocprim17ROCPRIM_400000_NS6detail17trampoline_kernelINS0_14default_configENS1_25partition_config_selectorILNS1_17partition_subalgoE9EllbEEZZNS1_14partition_implILS5_9ELb0ES3_jPlS8_PNS0_10empty_typeENS0_5tupleIJS8_S9_EEENSB_IJS8_SA_EEENS0_18inequality_wrapperIZN2at6native12_GLOBAL__N_124unique_dim_cuda_templateIjEESt5tupleIJNSF_6TensorESK_SK_EERKSK_lbbbEUlllE0_EEPmJS9_EEE10hipError_tPvRmT3_T4_T5_T6_T7_T9_mT8_P12ihipStream_tbDpT10_ENKUlT_T0_E_clISt17integral_constantIbLb0EES1A_EEDaS15_S16_EUlS15_E_NS1_11comp_targetILNS1_3genE2ELNS1_11target_archE906ELNS1_3gpuE6ELNS1_3repE0EEENS1_30default_config_static_selectorELNS0_4arch9wavefront6targetE0EEEvT1_,@function
_ZN7rocprim17ROCPRIM_400000_NS6detail17trampoline_kernelINS0_14default_configENS1_25partition_config_selectorILNS1_17partition_subalgoE9EllbEEZZNS1_14partition_implILS5_9ELb0ES3_jPlS8_PNS0_10empty_typeENS0_5tupleIJS8_S9_EEENSB_IJS8_SA_EEENS0_18inequality_wrapperIZN2at6native12_GLOBAL__N_124unique_dim_cuda_templateIjEESt5tupleIJNSF_6TensorESK_SK_EERKSK_lbbbEUlllE0_EEPmJS9_EEE10hipError_tPvRmT3_T4_T5_T6_T7_T9_mT8_P12ihipStream_tbDpT10_ENKUlT_T0_E_clISt17integral_constantIbLb0EES1A_EEDaS15_S16_EUlS15_E_NS1_11comp_targetILNS1_3genE2ELNS1_11target_archE906ELNS1_3gpuE6ELNS1_3repE0EEENS1_30default_config_static_selectorELNS0_4arch9wavefront6targetE0EEEvT1_: ; @_ZN7rocprim17ROCPRIM_400000_NS6detail17trampoline_kernelINS0_14default_configENS1_25partition_config_selectorILNS1_17partition_subalgoE9EllbEEZZNS1_14partition_implILS5_9ELb0ES3_jPlS8_PNS0_10empty_typeENS0_5tupleIJS8_S9_EEENSB_IJS8_SA_EEENS0_18inequality_wrapperIZN2at6native12_GLOBAL__N_124unique_dim_cuda_templateIjEESt5tupleIJNSF_6TensorESK_SK_EERKSK_lbbbEUlllE0_EEPmJS9_EEE10hipError_tPvRmT3_T4_T5_T6_T7_T9_mT8_P12ihipStream_tbDpT10_ENKUlT_T0_E_clISt17integral_constantIbLb0EES1A_EEDaS15_S16_EUlS15_E_NS1_11comp_targetILNS1_3genE2ELNS1_11target_archE906ELNS1_3gpuE6ELNS1_3repE0EEENS1_30default_config_static_selectorELNS0_4arch9wavefront6targetE0EEEvT1_
; %bb.0:
	.section	.rodata,"a",@progbits
	.p2align	6, 0x0
	.amdhsa_kernel _ZN7rocprim17ROCPRIM_400000_NS6detail17trampoline_kernelINS0_14default_configENS1_25partition_config_selectorILNS1_17partition_subalgoE9EllbEEZZNS1_14partition_implILS5_9ELb0ES3_jPlS8_PNS0_10empty_typeENS0_5tupleIJS8_S9_EEENSB_IJS8_SA_EEENS0_18inequality_wrapperIZN2at6native12_GLOBAL__N_124unique_dim_cuda_templateIjEESt5tupleIJNSF_6TensorESK_SK_EERKSK_lbbbEUlllE0_EEPmJS9_EEE10hipError_tPvRmT3_T4_T5_T6_T7_T9_mT8_P12ihipStream_tbDpT10_ENKUlT_T0_E_clISt17integral_constantIbLb0EES1A_EEDaS15_S16_EUlS15_E_NS1_11comp_targetILNS1_3genE2ELNS1_11target_archE906ELNS1_3gpuE6ELNS1_3repE0EEENS1_30default_config_static_selectorELNS0_4arch9wavefront6targetE0EEEvT1_
		.amdhsa_group_segment_fixed_size 0
		.amdhsa_private_segment_fixed_size 0
		.amdhsa_kernarg_size 120
		.amdhsa_user_sgpr_count 15
		.amdhsa_user_sgpr_dispatch_ptr 0
		.amdhsa_user_sgpr_queue_ptr 0
		.amdhsa_user_sgpr_kernarg_segment_ptr 1
		.amdhsa_user_sgpr_dispatch_id 0
		.amdhsa_user_sgpr_private_segment_size 0
		.amdhsa_wavefront_size32 1
		.amdhsa_uses_dynamic_stack 0
		.amdhsa_enable_private_segment 0
		.amdhsa_system_sgpr_workgroup_id_x 1
		.amdhsa_system_sgpr_workgroup_id_y 0
		.amdhsa_system_sgpr_workgroup_id_z 0
		.amdhsa_system_sgpr_workgroup_info 0
		.amdhsa_system_vgpr_workitem_id 0
		.amdhsa_next_free_vgpr 1
		.amdhsa_next_free_sgpr 1
		.amdhsa_reserve_vcc 0
		.amdhsa_float_round_mode_32 0
		.amdhsa_float_round_mode_16_64 0
		.amdhsa_float_denorm_mode_32 3
		.amdhsa_float_denorm_mode_16_64 3
		.amdhsa_dx10_clamp 1
		.amdhsa_ieee_mode 1
		.amdhsa_fp16_overflow 0
		.amdhsa_workgroup_processor_mode 1
		.amdhsa_memory_ordered 1
		.amdhsa_forward_progress 0
		.amdhsa_shared_vgpr_count 0
		.amdhsa_exception_fp_ieee_invalid_op 0
		.amdhsa_exception_fp_denorm_src 0
		.amdhsa_exception_fp_ieee_div_zero 0
		.amdhsa_exception_fp_ieee_overflow 0
		.amdhsa_exception_fp_ieee_underflow 0
		.amdhsa_exception_fp_ieee_inexact 0
		.amdhsa_exception_int_div_zero 0
	.end_amdhsa_kernel
	.section	.text._ZN7rocprim17ROCPRIM_400000_NS6detail17trampoline_kernelINS0_14default_configENS1_25partition_config_selectorILNS1_17partition_subalgoE9EllbEEZZNS1_14partition_implILS5_9ELb0ES3_jPlS8_PNS0_10empty_typeENS0_5tupleIJS8_S9_EEENSB_IJS8_SA_EEENS0_18inequality_wrapperIZN2at6native12_GLOBAL__N_124unique_dim_cuda_templateIjEESt5tupleIJNSF_6TensorESK_SK_EERKSK_lbbbEUlllE0_EEPmJS9_EEE10hipError_tPvRmT3_T4_T5_T6_T7_T9_mT8_P12ihipStream_tbDpT10_ENKUlT_T0_E_clISt17integral_constantIbLb0EES1A_EEDaS15_S16_EUlS15_E_NS1_11comp_targetILNS1_3genE2ELNS1_11target_archE906ELNS1_3gpuE6ELNS1_3repE0EEENS1_30default_config_static_selectorELNS0_4arch9wavefront6targetE0EEEvT1_,"axG",@progbits,_ZN7rocprim17ROCPRIM_400000_NS6detail17trampoline_kernelINS0_14default_configENS1_25partition_config_selectorILNS1_17partition_subalgoE9EllbEEZZNS1_14partition_implILS5_9ELb0ES3_jPlS8_PNS0_10empty_typeENS0_5tupleIJS8_S9_EEENSB_IJS8_SA_EEENS0_18inequality_wrapperIZN2at6native12_GLOBAL__N_124unique_dim_cuda_templateIjEESt5tupleIJNSF_6TensorESK_SK_EERKSK_lbbbEUlllE0_EEPmJS9_EEE10hipError_tPvRmT3_T4_T5_T6_T7_T9_mT8_P12ihipStream_tbDpT10_ENKUlT_T0_E_clISt17integral_constantIbLb0EES1A_EEDaS15_S16_EUlS15_E_NS1_11comp_targetILNS1_3genE2ELNS1_11target_archE906ELNS1_3gpuE6ELNS1_3repE0EEENS1_30default_config_static_selectorELNS0_4arch9wavefront6targetE0EEEvT1_,comdat
.Lfunc_end1575:
	.size	_ZN7rocprim17ROCPRIM_400000_NS6detail17trampoline_kernelINS0_14default_configENS1_25partition_config_selectorILNS1_17partition_subalgoE9EllbEEZZNS1_14partition_implILS5_9ELb0ES3_jPlS8_PNS0_10empty_typeENS0_5tupleIJS8_S9_EEENSB_IJS8_SA_EEENS0_18inequality_wrapperIZN2at6native12_GLOBAL__N_124unique_dim_cuda_templateIjEESt5tupleIJNSF_6TensorESK_SK_EERKSK_lbbbEUlllE0_EEPmJS9_EEE10hipError_tPvRmT3_T4_T5_T6_T7_T9_mT8_P12ihipStream_tbDpT10_ENKUlT_T0_E_clISt17integral_constantIbLb0EES1A_EEDaS15_S16_EUlS15_E_NS1_11comp_targetILNS1_3genE2ELNS1_11target_archE906ELNS1_3gpuE6ELNS1_3repE0EEENS1_30default_config_static_selectorELNS0_4arch9wavefront6targetE0EEEvT1_, .Lfunc_end1575-_ZN7rocprim17ROCPRIM_400000_NS6detail17trampoline_kernelINS0_14default_configENS1_25partition_config_selectorILNS1_17partition_subalgoE9EllbEEZZNS1_14partition_implILS5_9ELb0ES3_jPlS8_PNS0_10empty_typeENS0_5tupleIJS8_S9_EEENSB_IJS8_SA_EEENS0_18inequality_wrapperIZN2at6native12_GLOBAL__N_124unique_dim_cuda_templateIjEESt5tupleIJNSF_6TensorESK_SK_EERKSK_lbbbEUlllE0_EEPmJS9_EEE10hipError_tPvRmT3_T4_T5_T6_T7_T9_mT8_P12ihipStream_tbDpT10_ENKUlT_T0_E_clISt17integral_constantIbLb0EES1A_EEDaS15_S16_EUlS15_E_NS1_11comp_targetILNS1_3genE2ELNS1_11target_archE906ELNS1_3gpuE6ELNS1_3repE0EEENS1_30default_config_static_selectorELNS0_4arch9wavefront6targetE0EEEvT1_
                                        ; -- End function
	.section	.AMDGPU.csdata,"",@progbits
; Kernel info:
; codeLenInByte = 0
; NumSgprs: 0
; NumVgprs: 0
; ScratchSize: 0
; MemoryBound: 0
; FloatMode: 240
; IeeeMode: 1
; LDSByteSize: 0 bytes/workgroup (compile time only)
; SGPRBlocks: 0
; VGPRBlocks: 0
; NumSGPRsForWavesPerEU: 1
; NumVGPRsForWavesPerEU: 1
; Occupancy: 15
; WaveLimiterHint : 0
; COMPUTE_PGM_RSRC2:SCRATCH_EN: 0
; COMPUTE_PGM_RSRC2:USER_SGPR: 15
; COMPUTE_PGM_RSRC2:TRAP_HANDLER: 0
; COMPUTE_PGM_RSRC2:TGID_X_EN: 1
; COMPUTE_PGM_RSRC2:TGID_Y_EN: 0
; COMPUTE_PGM_RSRC2:TGID_Z_EN: 0
; COMPUTE_PGM_RSRC2:TIDIG_COMP_CNT: 0
	.section	.text._ZN7rocprim17ROCPRIM_400000_NS6detail17trampoline_kernelINS0_14default_configENS1_25partition_config_selectorILNS1_17partition_subalgoE9EllbEEZZNS1_14partition_implILS5_9ELb0ES3_jPlS8_PNS0_10empty_typeENS0_5tupleIJS8_S9_EEENSB_IJS8_SA_EEENS0_18inequality_wrapperIZN2at6native12_GLOBAL__N_124unique_dim_cuda_templateIjEESt5tupleIJNSF_6TensorESK_SK_EERKSK_lbbbEUlllE0_EEPmJS9_EEE10hipError_tPvRmT3_T4_T5_T6_T7_T9_mT8_P12ihipStream_tbDpT10_ENKUlT_T0_E_clISt17integral_constantIbLb0EES1A_EEDaS15_S16_EUlS15_E_NS1_11comp_targetILNS1_3genE10ELNS1_11target_archE1200ELNS1_3gpuE4ELNS1_3repE0EEENS1_30default_config_static_selectorELNS0_4arch9wavefront6targetE0EEEvT1_,"axG",@progbits,_ZN7rocprim17ROCPRIM_400000_NS6detail17trampoline_kernelINS0_14default_configENS1_25partition_config_selectorILNS1_17partition_subalgoE9EllbEEZZNS1_14partition_implILS5_9ELb0ES3_jPlS8_PNS0_10empty_typeENS0_5tupleIJS8_S9_EEENSB_IJS8_SA_EEENS0_18inequality_wrapperIZN2at6native12_GLOBAL__N_124unique_dim_cuda_templateIjEESt5tupleIJNSF_6TensorESK_SK_EERKSK_lbbbEUlllE0_EEPmJS9_EEE10hipError_tPvRmT3_T4_T5_T6_T7_T9_mT8_P12ihipStream_tbDpT10_ENKUlT_T0_E_clISt17integral_constantIbLb0EES1A_EEDaS15_S16_EUlS15_E_NS1_11comp_targetILNS1_3genE10ELNS1_11target_archE1200ELNS1_3gpuE4ELNS1_3repE0EEENS1_30default_config_static_selectorELNS0_4arch9wavefront6targetE0EEEvT1_,comdat
	.globl	_ZN7rocprim17ROCPRIM_400000_NS6detail17trampoline_kernelINS0_14default_configENS1_25partition_config_selectorILNS1_17partition_subalgoE9EllbEEZZNS1_14partition_implILS5_9ELb0ES3_jPlS8_PNS0_10empty_typeENS0_5tupleIJS8_S9_EEENSB_IJS8_SA_EEENS0_18inequality_wrapperIZN2at6native12_GLOBAL__N_124unique_dim_cuda_templateIjEESt5tupleIJNSF_6TensorESK_SK_EERKSK_lbbbEUlllE0_EEPmJS9_EEE10hipError_tPvRmT3_T4_T5_T6_T7_T9_mT8_P12ihipStream_tbDpT10_ENKUlT_T0_E_clISt17integral_constantIbLb0EES1A_EEDaS15_S16_EUlS15_E_NS1_11comp_targetILNS1_3genE10ELNS1_11target_archE1200ELNS1_3gpuE4ELNS1_3repE0EEENS1_30default_config_static_selectorELNS0_4arch9wavefront6targetE0EEEvT1_ ; -- Begin function _ZN7rocprim17ROCPRIM_400000_NS6detail17trampoline_kernelINS0_14default_configENS1_25partition_config_selectorILNS1_17partition_subalgoE9EllbEEZZNS1_14partition_implILS5_9ELb0ES3_jPlS8_PNS0_10empty_typeENS0_5tupleIJS8_S9_EEENSB_IJS8_SA_EEENS0_18inequality_wrapperIZN2at6native12_GLOBAL__N_124unique_dim_cuda_templateIjEESt5tupleIJNSF_6TensorESK_SK_EERKSK_lbbbEUlllE0_EEPmJS9_EEE10hipError_tPvRmT3_T4_T5_T6_T7_T9_mT8_P12ihipStream_tbDpT10_ENKUlT_T0_E_clISt17integral_constantIbLb0EES1A_EEDaS15_S16_EUlS15_E_NS1_11comp_targetILNS1_3genE10ELNS1_11target_archE1200ELNS1_3gpuE4ELNS1_3repE0EEENS1_30default_config_static_selectorELNS0_4arch9wavefront6targetE0EEEvT1_
	.p2align	8
	.type	_ZN7rocprim17ROCPRIM_400000_NS6detail17trampoline_kernelINS0_14default_configENS1_25partition_config_selectorILNS1_17partition_subalgoE9EllbEEZZNS1_14partition_implILS5_9ELb0ES3_jPlS8_PNS0_10empty_typeENS0_5tupleIJS8_S9_EEENSB_IJS8_SA_EEENS0_18inequality_wrapperIZN2at6native12_GLOBAL__N_124unique_dim_cuda_templateIjEESt5tupleIJNSF_6TensorESK_SK_EERKSK_lbbbEUlllE0_EEPmJS9_EEE10hipError_tPvRmT3_T4_T5_T6_T7_T9_mT8_P12ihipStream_tbDpT10_ENKUlT_T0_E_clISt17integral_constantIbLb0EES1A_EEDaS15_S16_EUlS15_E_NS1_11comp_targetILNS1_3genE10ELNS1_11target_archE1200ELNS1_3gpuE4ELNS1_3repE0EEENS1_30default_config_static_selectorELNS0_4arch9wavefront6targetE0EEEvT1_,@function
_ZN7rocprim17ROCPRIM_400000_NS6detail17trampoline_kernelINS0_14default_configENS1_25partition_config_selectorILNS1_17partition_subalgoE9EllbEEZZNS1_14partition_implILS5_9ELb0ES3_jPlS8_PNS0_10empty_typeENS0_5tupleIJS8_S9_EEENSB_IJS8_SA_EEENS0_18inequality_wrapperIZN2at6native12_GLOBAL__N_124unique_dim_cuda_templateIjEESt5tupleIJNSF_6TensorESK_SK_EERKSK_lbbbEUlllE0_EEPmJS9_EEE10hipError_tPvRmT3_T4_T5_T6_T7_T9_mT8_P12ihipStream_tbDpT10_ENKUlT_T0_E_clISt17integral_constantIbLb0EES1A_EEDaS15_S16_EUlS15_E_NS1_11comp_targetILNS1_3genE10ELNS1_11target_archE1200ELNS1_3gpuE4ELNS1_3repE0EEENS1_30default_config_static_selectorELNS0_4arch9wavefront6targetE0EEEvT1_: ; @_ZN7rocprim17ROCPRIM_400000_NS6detail17trampoline_kernelINS0_14default_configENS1_25partition_config_selectorILNS1_17partition_subalgoE9EllbEEZZNS1_14partition_implILS5_9ELb0ES3_jPlS8_PNS0_10empty_typeENS0_5tupleIJS8_S9_EEENSB_IJS8_SA_EEENS0_18inequality_wrapperIZN2at6native12_GLOBAL__N_124unique_dim_cuda_templateIjEESt5tupleIJNSF_6TensorESK_SK_EERKSK_lbbbEUlllE0_EEPmJS9_EEE10hipError_tPvRmT3_T4_T5_T6_T7_T9_mT8_P12ihipStream_tbDpT10_ENKUlT_T0_E_clISt17integral_constantIbLb0EES1A_EEDaS15_S16_EUlS15_E_NS1_11comp_targetILNS1_3genE10ELNS1_11target_archE1200ELNS1_3gpuE4ELNS1_3repE0EEENS1_30default_config_static_selectorELNS0_4arch9wavefront6targetE0EEEvT1_
; %bb.0:
	.section	.rodata,"a",@progbits
	.p2align	6, 0x0
	.amdhsa_kernel _ZN7rocprim17ROCPRIM_400000_NS6detail17trampoline_kernelINS0_14default_configENS1_25partition_config_selectorILNS1_17partition_subalgoE9EllbEEZZNS1_14partition_implILS5_9ELb0ES3_jPlS8_PNS0_10empty_typeENS0_5tupleIJS8_S9_EEENSB_IJS8_SA_EEENS0_18inequality_wrapperIZN2at6native12_GLOBAL__N_124unique_dim_cuda_templateIjEESt5tupleIJNSF_6TensorESK_SK_EERKSK_lbbbEUlllE0_EEPmJS9_EEE10hipError_tPvRmT3_T4_T5_T6_T7_T9_mT8_P12ihipStream_tbDpT10_ENKUlT_T0_E_clISt17integral_constantIbLb0EES1A_EEDaS15_S16_EUlS15_E_NS1_11comp_targetILNS1_3genE10ELNS1_11target_archE1200ELNS1_3gpuE4ELNS1_3repE0EEENS1_30default_config_static_selectorELNS0_4arch9wavefront6targetE0EEEvT1_
		.amdhsa_group_segment_fixed_size 0
		.amdhsa_private_segment_fixed_size 0
		.amdhsa_kernarg_size 120
		.amdhsa_user_sgpr_count 15
		.amdhsa_user_sgpr_dispatch_ptr 0
		.amdhsa_user_sgpr_queue_ptr 0
		.amdhsa_user_sgpr_kernarg_segment_ptr 1
		.amdhsa_user_sgpr_dispatch_id 0
		.amdhsa_user_sgpr_private_segment_size 0
		.amdhsa_wavefront_size32 1
		.amdhsa_uses_dynamic_stack 0
		.amdhsa_enable_private_segment 0
		.amdhsa_system_sgpr_workgroup_id_x 1
		.amdhsa_system_sgpr_workgroup_id_y 0
		.amdhsa_system_sgpr_workgroup_id_z 0
		.amdhsa_system_sgpr_workgroup_info 0
		.amdhsa_system_vgpr_workitem_id 0
		.amdhsa_next_free_vgpr 1
		.amdhsa_next_free_sgpr 1
		.amdhsa_reserve_vcc 0
		.amdhsa_float_round_mode_32 0
		.amdhsa_float_round_mode_16_64 0
		.amdhsa_float_denorm_mode_32 3
		.amdhsa_float_denorm_mode_16_64 3
		.amdhsa_dx10_clamp 1
		.amdhsa_ieee_mode 1
		.amdhsa_fp16_overflow 0
		.amdhsa_workgroup_processor_mode 1
		.amdhsa_memory_ordered 1
		.amdhsa_forward_progress 0
		.amdhsa_shared_vgpr_count 0
		.amdhsa_exception_fp_ieee_invalid_op 0
		.amdhsa_exception_fp_denorm_src 0
		.amdhsa_exception_fp_ieee_div_zero 0
		.amdhsa_exception_fp_ieee_overflow 0
		.amdhsa_exception_fp_ieee_underflow 0
		.amdhsa_exception_fp_ieee_inexact 0
		.amdhsa_exception_int_div_zero 0
	.end_amdhsa_kernel
	.section	.text._ZN7rocprim17ROCPRIM_400000_NS6detail17trampoline_kernelINS0_14default_configENS1_25partition_config_selectorILNS1_17partition_subalgoE9EllbEEZZNS1_14partition_implILS5_9ELb0ES3_jPlS8_PNS0_10empty_typeENS0_5tupleIJS8_S9_EEENSB_IJS8_SA_EEENS0_18inequality_wrapperIZN2at6native12_GLOBAL__N_124unique_dim_cuda_templateIjEESt5tupleIJNSF_6TensorESK_SK_EERKSK_lbbbEUlllE0_EEPmJS9_EEE10hipError_tPvRmT3_T4_T5_T6_T7_T9_mT8_P12ihipStream_tbDpT10_ENKUlT_T0_E_clISt17integral_constantIbLb0EES1A_EEDaS15_S16_EUlS15_E_NS1_11comp_targetILNS1_3genE10ELNS1_11target_archE1200ELNS1_3gpuE4ELNS1_3repE0EEENS1_30default_config_static_selectorELNS0_4arch9wavefront6targetE0EEEvT1_,"axG",@progbits,_ZN7rocprim17ROCPRIM_400000_NS6detail17trampoline_kernelINS0_14default_configENS1_25partition_config_selectorILNS1_17partition_subalgoE9EllbEEZZNS1_14partition_implILS5_9ELb0ES3_jPlS8_PNS0_10empty_typeENS0_5tupleIJS8_S9_EEENSB_IJS8_SA_EEENS0_18inequality_wrapperIZN2at6native12_GLOBAL__N_124unique_dim_cuda_templateIjEESt5tupleIJNSF_6TensorESK_SK_EERKSK_lbbbEUlllE0_EEPmJS9_EEE10hipError_tPvRmT3_T4_T5_T6_T7_T9_mT8_P12ihipStream_tbDpT10_ENKUlT_T0_E_clISt17integral_constantIbLb0EES1A_EEDaS15_S16_EUlS15_E_NS1_11comp_targetILNS1_3genE10ELNS1_11target_archE1200ELNS1_3gpuE4ELNS1_3repE0EEENS1_30default_config_static_selectorELNS0_4arch9wavefront6targetE0EEEvT1_,comdat
.Lfunc_end1576:
	.size	_ZN7rocprim17ROCPRIM_400000_NS6detail17trampoline_kernelINS0_14default_configENS1_25partition_config_selectorILNS1_17partition_subalgoE9EllbEEZZNS1_14partition_implILS5_9ELb0ES3_jPlS8_PNS0_10empty_typeENS0_5tupleIJS8_S9_EEENSB_IJS8_SA_EEENS0_18inequality_wrapperIZN2at6native12_GLOBAL__N_124unique_dim_cuda_templateIjEESt5tupleIJNSF_6TensorESK_SK_EERKSK_lbbbEUlllE0_EEPmJS9_EEE10hipError_tPvRmT3_T4_T5_T6_T7_T9_mT8_P12ihipStream_tbDpT10_ENKUlT_T0_E_clISt17integral_constantIbLb0EES1A_EEDaS15_S16_EUlS15_E_NS1_11comp_targetILNS1_3genE10ELNS1_11target_archE1200ELNS1_3gpuE4ELNS1_3repE0EEENS1_30default_config_static_selectorELNS0_4arch9wavefront6targetE0EEEvT1_, .Lfunc_end1576-_ZN7rocprim17ROCPRIM_400000_NS6detail17trampoline_kernelINS0_14default_configENS1_25partition_config_selectorILNS1_17partition_subalgoE9EllbEEZZNS1_14partition_implILS5_9ELb0ES3_jPlS8_PNS0_10empty_typeENS0_5tupleIJS8_S9_EEENSB_IJS8_SA_EEENS0_18inequality_wrapperIZN2at6native12_GLOBAL__N_124unique_dim_cuda_templateIjEESt5tupleIJNSF_6TensorESK_SK_EERKSK_lbbbEUlllE0_EEPmJS9_EEE10hipError_tPvRmT3_T4_T5_T6_T7_T9_mT8_P12ihipStream_tbDpT10_ENKUlT_T0_E_clISt17integral_constantIbLb0EES1A_EEDaS15_S16_EUlS15_E_NS1_11comp_targetILNS1_3genE10ELNS1_11target_archE1200ELNS1_3gpuE4ELNS1_3repE0EEENS1_30default_config_static_selectorELNS0_4arch9wavefront6targetE0EEEvT1_
                                        ; -- End function
	.section	.AMDGPU.csdata,"",@progbits
; Kernel info:
; codeLenInByte = 0
; NumSgprs: 0
; NumVgprs: 0
; ScratchSize: 0
; MemoryBound: 0
; FloatMode: 240
; IeeeMode: 1
; LDSByteSize: 0 bytes/workgroup (compile time only)
; SGPRBlocks: 0
; VGPRBlocks: 0
; NumSGPRsForWavesPerEU: 1
; NumVGPRsForWavesPerEU: 1
; Occupancy: 15
; WaveLimiterHint : 0
; COMPUTE_PGM_RSRC2:SCRATCH_EN: 0
; COMPUTE_PGM_RSRC2:USER_SGPR: 15
; COMPUTE_PGM_RSRC2:TRAP_HANDLER: 0
; COMPUTE_PGM_RSRC2:TGID_X_EN: 1
; COMPUTE_PGM_RSRC2:TGID_Y_EN: 0
; COMPUTE_PGM_RSRC2:TGID_Z_EN: 0
; COMPUTE_PGM_RSRC2:TIDIG_COMP_CNT: 0
	.section	.text._ZN7rocprim17ROCPRIM_400000_NS6detail17trampoline_kernelINS0_14default_configENS1_25partition_config_selectorILNS1_17partition_subalgoE9EllbEEZZNS1_14partition_implILS5_9ELb0ES3_jPlS8_PNS0_10empty_typeENS0_5tupleIJS8_S9_EEENSB_IJS8_SA_EEENS0_18inequality_wrapperIZN2at6native12_GLOBAL__N_124unique_dim_cuda_templateIjEESt5tupleIJNSF_6TensorESK_SK_EERKSK_lbbbEUlllE0_EEPmJS9_EEE10hipError_tPvRmT3_T4_T5_T6_T7_T9_mT8_P12ihipStream_tbDpT10_ENKUlT_T0_E_clISt17integral_constantIbLb0EES1A_EEDaS15_S16_EUlS15_E_NS1_11comp_targetILNS1_3genE9ELNS1_11target_archE1100ELNS1_3gpuE3ELNS1_3repE0EEENS1_30default_config_static_selectorELNS0_4arch9wavefront6targetE0EEEvT1_,"axG",@progbits,_ZN7rocprim17ROCPRIM_400000_NS6detail17trampoline_kernelINS0_14default_configENS1_25partition_config_selectorILNS1_17partition_subalgoE9EllbEEZZNS1_14partition_implILS5_9ELb0ES3_jPlS8_PNS0_10empty_typeENS0_5tupleIJS8_S9_EEENSB_IJS8_SA_EEENS0_18inequality_wrapperIZN2at6native12_GLOBAL__N_124unique_dim_cuda_templateIjEESt5tupleIJNSF_6TensorESK_SK_EERKSK_lbbbEUlllE0_EEPmJS9_EEE10hipError_tPvRmT3_T4_T5_T6_T7_T9_mT8_P12ihipStream_tbDpT10_ENKUlT_T0_E_clISt17integral_constantIbLb0EES1A_EEDaS15_S16_EUlS15_E_NS1_11comp_targetILNS1_3genE9ELNS1_11target_archE1100ELNS1_3gpuE3ELNS1_3repE0EEENS1_30default_config_static_selectorELNS0_4arch9wavefront6targetE0EEEvT1_,comdat
	.globl	_ZN7rocprim17ROCPRIM_400000_NS6detail17trampoline_kernelINS0_14default_configENS1_25partition_config_selectorILNS1_17partition_subalgoE9EllbEEZZNS1_14partition_implILS5_9ELb0ES3_jPlS8_PNS0_10empty_typeENS0_5tupleIJS8_S9_EEENSB_IJS8_SA_EEENS0_18inequality_wrapperIZN2at6native12_GLOBAL__N_124unique_dim_cuda_templateIjEESt5tupleIJNSF_6TensorESK_SK_EERKSK_lbbbEUlllE0_EEPmJS9_EEE10hipError_tPvRmT3_T4_T5_T6_T7_T9_mT8_P12ihipStream_tbDpT10_ENKUlT_T0_E_clISt17integral_constantIbLb0EES1A_EEDaS15_S16_EUlS15_E_NS1_11comp_targetILNS1_3genE9ELNS1_11target_archE1100ELNS1_3gpuE3ELNS1_3repE0EEENS1_30default_config_static_selectorELNS0_4arch9wavefront6targetE0EEEvT1_ ; -- Begin function _ZN7rocprim17ROCPRIM_400000_NS6detail17trampoline_kernelINS0_14default_configENS1_25partition_config_selectorILNS1_17partition_subalgoE9EllbEEZZNS1_14partition_implILS5_9ELb0ES3_jPlS8_PNS0_10empty_typeENS0_5tupleIJS8_S9_EEENSB_IJS8_SA_EEENS0_18inequality_wrapperIZN2at6native12_GLOBAL__N_124unique_dim_cuda_templateIjEESt5tupleIJNSF_6TensorESK_SK_EERKSK_lbbbEUlllE0_EEPmJS9_EEE10hipError_tPvRmT3_T4_T5_T6_T7_T9_mT8_P12ihipStream_tbDpT10_ENKUlT_T0_E_clISt17integral_constantIbLb0EES1A_EEDaS15_S16_EUlS15_E_NS1_11comp_targetILNS1_3genE9ELNS1_11target_archE1100ELNS1_3gpuE3ELNS1_3repE0EEENS1_30default_config_static_selectorELNS0_4arch9wavefront6targetE0EEEvT1_
	.p2align	8
	.type	_ZN7rocprim17ROCPRIM_400000_NS6detail17trampoline_kernelINS0_14default_configENS1_25partition_config_selectorILNS1_17partition_subalgoE9EllbEEZZNS1_14partition_implILS5_9ELb0ES3_jPlS8_PNS0_10empty_typeENS0_5tupleIJS8_S9_EEENSB_IJS8_SA_EEENS0_18inequality_wrapperIZN2at6native12_GLOBAL__N_124unique_dim_cuda_templateIjEESt5tupleIJNSF_6TensorESK_SK_EERKSK_lbbbEUlllE0_EEPmJS9_EEE10hipError_tPvRmT3_T4_T5_T6_T7_T9_mT8_P12ihipStream_tbDpT10_ENKUlT_T0_E_clISt17integral_constantIbLb0EES1A_EEDaS15_S16_EUlS15_E_NS1_11comp_targetILNS1_3genE9ELNS1_11target_archE1100ELNS1_3gpuE3ELNS1_3repE0EEENS1_30default_config_static_selectorELNS0_4arch9wavefront6targetE0EEEvT1_,@function
_ZN7rocprim17ROCPRIM_400000_NS6detail17trampoline_kernelINS0_14default_configENS1_25partition_config_selectorILNS1_17partition_subalgoE9EllbEEZZNS1_14partition_implILS5_9ELb0ES3_jPlS8_PNS0_10empty_typeENS0_5tupleIJS8_S9_EEENSB_IJS8_SA_EEENS0_18inequality_wrapperIZN2at6native12_GLOBAL__N_124unique_dim_cuda_templateIjEESt5tupleIJNSF_6TensorESK_SK_EERKSK_lbbbEUlllE0_EEPmJS9_EEE10hipError_tPvRmT3_T4_T5_T6_T7_T9_mT8_P12ihipStream_tbDpT10_ENKUlT_T0_E_clISt17integral_constantIbLb0EES1A_EEDaS15_S16_EUlS15_E_NS1_11comp_targetILNS1_3genE9ELNS1_11target_archE1100ELNS1_3gpuE3ELNS1_3repE0EEENS1_30default_config_static_selectorELNS0_4arch9wavefront6targetE0EEEvT1_: ; @_ZN7rocprim17ROCPRIM_400000_NS6detail17trampoline_kernelINS0_14default_configENS1_25partition_config_selectorILNS1_17partition_subalgoE9EllbEEZZNS1_14partition_implILS5_9ELb0ES3_jPlS8_PNS0_10empty_typeENS0_5tupleIJS8_S9_EEENSB_IJS8_SA_EEENS0_18inequality_wrapperIZN2at6native12_GLOBAL__N_124unique_dim_cuda_templateIjEESt5tupleIJNSF_6TensorESK_SK_EERKSK_lbbbEUlllE0_EEPmJS9_EEE10hipError_tPvRmT3_T4_T5_T6_T7_T9_mT8_P12ihipStream_tbDpT10_ENKUlT_T0_E_clISt17integral_constantIbLb0EES1A_EEDaS15_S16_EUlS15_E_NS1_11comp_targetILNS1_3genE9ELNS1_11target_archE1100ELNS1_3gpuE3ELNS1_3repE0EEENS1_30default_config_static_selectorELNS0_4arch9wavefront6targetE0EEEvT1_
; %bb.0:
	s_clause 0x3
	s_load_b128 s[4:7], s[0:1], 0x8
	s_load_b32 s8, s[0:1], 0x70
	s_load_b256 s[16:23], s[0:1], 0x40
	s_load_b64 s[24:25], s[0:1], 0x18
	s_mov_b32 s3, 0
	v_lshlrev_b32_e32 v55, 3, v0
	v_lshrrev_b32_e32 v33, 2, v0
	v_or_b32_e32 v38, 0x200, v0
	v_or_b32_e32 v36, 0x400, v0
	;; [unrolled: 1-line block ×7, first 2 shown]
	s_waitcnt lgkmcnt(0)
	s_lshl_b64 s[26:27], s[6:7], 3
	s_delay_alu instid0(SALU_CYCLE_1)
	s_add_u32 s9, s4, s26
	s_addc_u32 s10, s5, s27
	s_add_i32 s11, s8, -1
	s_load_b64 s[12:13], s[18:19], 0x0
	s_lshl_b32 s4, s11, 12
	s_lshl_b32 s5, s8, 12
	s_add_i32 s4, s6, s4
	s_lshl_b32 s2, s15, 12
	s_sub_i32 s28, s20, s4
	s_add_u32 s4, s6, s5
	s_addc_u32 s5, s7, 0
	s_cmp_eq_u32 s15, s11
	v_cmp_ge_u64_e64 s4, s[4:5], s[20:21]
	s_cselect_b32 s14, -1, 0
	s_lshl_b64 s[18:19], s[2:3], 3
	s_mov_b32 s3, -1
	s_delay_alu instid0(VALU_DEP_1) | instskip(NEXT) | instid1(SALU_CYCLE_1)
	s_and_b32 s21, s14, s4
	s_xor_b32 s20, s21, -1
	s_add_u32 s4, s9, s18
	s_addc_u32 s5, s10, s19
	s_and_b32 vcc_lo, exec_lo, s20
	s_cbranch_vccz .LBB1577_2
; %bb.1:
	v_add_co_u32 v9, s2, s4, v55
	s_delay_alu instid0(VALU_DEP_1)
	v_add_co_ci_u32_e64 v10, null, s5, 0, s2
	global_load_b64 v[1:2], v55, s[4:5]
	v_add_co_u32 v3, vcc_lo, v9, 0x2000
	v_add_co_ci_u32_e32 v4, vcc_lo, 0, v10, vcc_lo
	v_add_co_u32 v5, vcc_lo, v9, 0x4000
	v_add_co_ci_u32_e32 v6, vcc_lo, 0, v10, vcc_lo
	;; [unrolled: 2-line block ×4, first 2 shown]
	s_clause 0x6
	global_load_b64 v[11:12], v[3:4], off offset:-4096
	global_load_b64 v[3:4], v[3:4], off
	global_load_b64 v[13:14], v[5:6], off offset:-4096
	global_load_b64 v[5:6], v[5:6], off
	;; [unrolled: 2-line block ×3, first 2 shown]
	global_load_b64 v[9:10], v[9:10], off
	v_lshrrev_b32_e32 v18, 2, v38
	v_lshrrev_b32_e32 v19, 2, v36
	v_lshrrev_b32_e32 v20, 2, v40
	v_lshrrev_b32_e32 v21, 2, v39
	v_and_b32_e32 v17, 0x78, v33
	v_lshrrev_b32_e32 v22, 2, v37
	v_lshrrev_b32_e32 v23, 2, v34
	;; [unrolled: 1-line block ×3, first 2 shown]
	v_and_b32_e32 v18, 0xf8, v18
	v_and_b32_e32 v19, 0x178, v19
	;; [unrolled: 1-line block ×4, first 2 shown]
	v_add_nc_u32_e32 v17, v17, v55
	v_and_b32_e32 v22, 0x2f8, v22
	v_and_b32_e32 v23, 0x378, v23
	v_and_b32_e32 v24, 0x3f8, v24
	v_add_nc_u32_e32 v18, v18, v55
	v_add_nc_u32_e32 v19, v19, v55
	;; [unrolled: 1-line block ×4, first 2 shown]
	s_mov_b32 s3, 0
	v_add_nc_u32_e32 v22, v22, v55
	v_add_nc_u32_e32 v23, v23, v55
	v_add_nc_u32_e32 v24, v24, v55
	s_waitcnt vmcnt(7)
	ds_store_b64 v17, v[1:2]
	s_waitcnt vmcnt(6)
	ds_store_b64 v18, v[11:12] offset:4096
	s_waitcnt vmcnt(5)
	ds_store_b64 v19, v[3:4] offset:8192
	;; [unrolled: 2-line block ×7, first 2 shown]
	s_waitcnt lgkmcnt(0)
	s_barrier
.LBB1577_2:
	s_load_b128 s[8:11], s[0:1], 0x60
	v_cmp_gt_u32_e64 s2, s28, v0
	s_and_not1_b32 vcc_lo, exec_lo, s3
	s_cbranch_vccnz .LBB1577_20
; %bb.3:
                                        ; implicit-def: $vgpr1_vgpr2_vgpr3_vgpr4_vgpr5_vgpr6_vgpr7_vgpr8_vgpr9_vgpr10_vgpr11_vgpr12_vgpr13_vgpr14_vgpr15_vgpr16
	s_delay_alu instid0(VALU_DEP_1)
	s_and_saveexec_b32 s3, s2
	s_cbranch_execz .LBB1577_11
; %bb.4:
	global_load_b64 v[1:2], v55, s[4:5]
	s_or_b32 exec_lo, exec_lo, s3
	s_delay_alu instid0(SALU_CYCLE_1)
	s_mov_b32 s2, exec_lo
	v_cmpx_gt_u32_e64 s28, v38
	s_cbranch_execnz .LBB1577_12
.LBB1577_5:
	s_or_b32 exec_lo, exec_lo, s2
	s_delay_alu instid0(SALU_CYCLE_1)
	s_mov_b32 s2, exec_lo
	v_cmpx_gt_u32_e64 s28, v36
	s_cbranch_execz .LBB1577_13
.LBB1577_6:
	v_lshlrev_b32_e32 v5, 3, v36
	global_load_b64 v[5:6], v5, s[4:5]
	s_or_b32 exec_lo, exec_lo, s2
	s_delay_alu instid0(SALU_CYCLE_1)
	s_mov_b32 s2, exec_lo
	v_cmpx_gt_u32_e64 s28, v40
	s_cbranch_execnz .LBB1577_14
.LBB1577_7:
	s_or_b32 exec_lo, exec_lo, s2
	s_delay_alu instid0(SALU_CYCLE_1)
	s_mov_b32 s2, exec_lo
	v_cmpx_gt_u32_e64 s28, v39
	s_cbranch_execz .LBB1577_15
.LBB1577_8:
	v_lshlrev_b32_e32 v9, 3, v39
	global_load_b64 v[9:10], v9, s[4:5]
	s_or_b32 exec_lo, exec_lo, s2
	s_delay_alu instid0(SALU_CYCLE_1)
	s_mov_b32 s2, exec_lo
	v_cmpx_gt_u32_e64 s28, v37
	s_cbranch_execnz .LBB1577_16
.LBB1577_9:
	s_or_b32 exec_lo, exec_lo, s2
	s_delay_alu instid0(SALU_CYCLE_1)
	s_mov_b32 s2, exec_lo
	v_cmpx_gt_u32_e64 s28, v34
	s_cbranch_execz .LBB1577_17
.LBB1577_10:
	v_lshlrev_b32_e32 v13, 3, v34
	global_load_b64 v[13:14], v13, s[4:5]
	s_or_b32 exec_lo, exec_lo, s2
	s_delay_alu instid0(SALU_CYCLE_1)
	s_mov_b32 s2, exec_lo
	v_cmpx_gt_u32_e64 s28, v35
	s_cbranch_execnz .LBB1577_18
	s_branch .LBB1577_19
.LBB1577_11:
	s_or_b32 exec_lo, exec_lo, s3
	s_delay_alu instid0(SALU_CYCLE_1)
	s_mov_b32 s2, exec_lo
	v_cmpx_gt_u32_e64 s28, v38
	s_cbranch_execz .LBB1577_5
.LBB1577_12:
	v_lshlrev_b32_e32 v3, 3, v38
	global_load_b64 v[3:4], v3, s[4:5]
	s_or_b32 exec_lo, exec_lo, s2
	s_delay_alu instid0(SALU_CYCLE_1)
	s_mov_b32 s2, exec_lo
	v_cmpx_gt_u32_e64 s28, v36
	s_cbranch_execnz .LBB1577_6
.LBB1577_13:
	s_or_b32 exec_lo, exec_lo, s2
	s_delay_alu instid0(SALU_CYCLE_1)
	s_mov_b32 s2, exec_lo
	v_cmpx_gt_u32_e64 s28, v40
	s_cbranch_execz .LBB1577_7
.LBB1577_14:
	v_lshlrev_b32_e32 v7, 3, v40
	global_load_b64 v[7:8], v7, s[4:5]
	s_or_b32 exec_lo, exec_lo, s2
	s_delay_alu instid0(SALU_CYCLE_1)
	s_mov_b32 s2, exec_lo
	v_cmpx_gt_u32_e64 s28, v39
	s_cbranch_execnz .LBB1577_8
.LBB1577_15:
	s_or_b32 exec_lo, exec_lo, s2
	s_delay_alu instid0(SALU_CYCLE_1)
	s_mov_b32 s2, exec_lo
	v_cmpx_gt_u32_e64 s28, v37
	s_cbranch_execz .LBB1577_9
.LBB1577_16:
	v_lshlrev_b32_e32 v11, 3, v37
	global_load_b64 v[11:12], v11, s[4:5]
	s_or_b32 exec_lo, exec_lo, s2
	s_delay_alu instid0(SALU_CYCLE_1)
	s_mov_b32 s2, exec_lo
	v_cmpx_gt_u32_e64 s28, v34
	s_cbranch_execnz .LBB1577_10
.LBB1577_17:
	s_or_b32 exec_lo, exec_lo, s2
	s_delay_alu instid0(SALU_CYCLE_1)
	s_mov_b32 s2, exec_lo
	v_cmpx_gt_u32_e64 s28, v35
	s_cbranch_execz .LBB1577_19
.LBB1577_18:
	v_lshlrev_b32_e32 v15, 3, v35
	global_load_b64 v[15:16], v15, s[4:5]
.LBB1577_19:
	s_or_b32 exec_lo, exec_lo, s2
	v_lshrrev_b32_e32 v17, 2, v38
	v_lshrrev_b32_e32 v18, 2, v36
	;; [unrolled: 1-line block ×4, first 2 shown]
	v_and_b32_e32 v19, 0x78, v33
	v_lshrrev_b32_e32 v22, 2, v37
	v_lshrrev_b32_e32 v23, 2, v34
	;; [unrolled: 1-line block ×3, first 2 shown]
	v_and_b32_e32 v17, 0xf8, v17
	v_and_b32_e32 v18, 0x1f8, v18
	v_and_b32_e32 v20, 0x1f8, v20
	v_and_b32_e32 v21, 0x3f8, v21
	v_add_nc_u32_e32 v19, v19, v55
	v_and_b32_e32 v22, 0x3f8, v22
	v_and_b32_e32 v23, 0x3f8, v23
	;; [unrolled: 1-line block ×3, first 2 shown]
	v_add_nc_u32_e32 v17, v17, v55
	v_add_nc_u32_e32 v18, v18, v55
	;; [unrolled: 1-line block ×7, first 2 shown]
	s_waitcnt vmcnt(0)
	ds_store_b64 v19, v[1:2]
	ds_store_b64 v17, v[3:4] offset:4096
	ds_store_b64 v18, v[5:6] offset:8192
	;; [unrolled: 1-line block ×7, first 2 shown]
	s_waitcnt lgkmcnt(0)
	s_barrier
.LBB1577_20:
	v_add_lshl_u32 v41, v33, v55, 3
	s_waitcnt lgkmcnt(0)
	buffer_gl0_inv
	s_add_u32 s2, s24, s26
	s_addc_u32 s3, s25, s27
	s_add_u32 s2, s2, s18
	ds_load_2addr_b64 v[29:32], v41 offset1:1
	ds_load_2addr_b64 v[25:28], v41 offset0:2 offset1:3
	ds_load_2addr_b64 v[21:24], v41 offset0:4 offset1:5
	;; [unrolled: 1-line block ×3, first 2 shown]
	s_addc_u32 s3, s3, s19
	s_and_b32 vcc_lo, exec_lo, s20
	s_mov_b32 s18, -1
	s_waitcnt lgkmcnt(0)
	s_barrier
	buffer_gl0_inv
	s_cbranch_vccz .LBB1577_22
; %bb.21:
	v_add_co_u32 v9, s18, s2, v55
	s_delay_alu instid0(VALU_DEP_1)
	v_add_co_ci_u32_e64 v10, null, s3, 0, s18
	global_load_b64 v[1:2], v55, s[2:3]
	v_add_co_u32 v3, vcc_lo, v9, 0x2000
	v_add_co_ci_u32_e32 v4, vcc_lo, 0, v10, vcc_lo
	v_add_co_u32 v5, vcc_lo, v9, 0x4000
	v_add_co_ci_u32_e32 v6, vcc_lo, 0, v10, vcc_lo
	;; [unrolled: 2-line block ×4, first 2 shown]
	s_clause 0x6
	global_load_b64 v[11:12], v[3:4], off offset:-4096
	global_load_b64 v[3:4], v[3:4], off
	global_load_b64 v[13:14], v[5:6], off offset:-4096
	global_load_b64 v[5:6], v[5:6], off
	;; [unrolled: 2-line block ×3, first 2 shown]
	global_load_b64 v[9:10], v[9:10], off
	v_lshrrev_b32_e32 v43, 2, v38
	v_lshrrev_b32_e32 v44, 2, v36
	;; [unrolled: 1-line block ×4, first 2 shown]
	v_and_b32_e32 v42, 0x78, v33
	v_lshrrev_b32_e32 v47, 2, v37
	v_lshrrev_b32_e32 v48, 2, v34
	;; [unrolled: 1-line block ×3, first 2 shown]
	v_and_b32_e32 v43, 0xf8, v43
	v_and_b32_e32 v44, 0x178, v44
	;; [unrolled: 1-line block ×4, first 2 shown]
	v_add_nc_u32_e32 v42, v42, v55
	v_and_b32_e32 v47, 0x2f8, v47
	v_and_b32_e32 v48, 0x378, v48
	;; [unrolled: 1-line block ×3, first 2 shown]
	v_add_nc_u32_e32 v43, v43, v55
	v_add_nc_u32_e32 v44, v44, v55
	;; [unrolled: 1-line block ×4, first 2 shown]
	s_mov_b32 s18, 0
	v_add_nc_u32_e32 v47, v47, v55
	v_add_nc_u32_e32 v48, v48, v55
	v_add_nc_u32_e32 v49, v49, v55
	s_waitcnt vmcnt(7)
	ds_store_b64 v42, v[1:2]
	s_waitcnt vmcnt(6)
	ds_store_b64 v43, v[11:12] offset:4096
	s_waitcnt vmcnt(5)
	ds_store_b64 v44, v[3:4] offset:8192
	;; [unrolled: 2-line block ×7, first 2 shown]
	s_waitcnt lgkmcnt(0)
	s_barrier
.LBB1577_22:
	s_and_not1_b32 vcc_lo, exec_lo, s18
	s_cbranch_vccnz .LBB1577_40
; %bb.23:
	s_mov_b32 s18, exec_lo
                                        ; implicit-def: $vgpr1_vgpr2
	v_cmpx_gt_u32_e64 s28, v0
	s_cbranch_execz .LBB1577_25
; %bb.24:
	global_load_b64 v[1:2], v55, s[2:3]
.LBB1577_25:
	s_or_b32 exec_lo, exec_lo, s18
	s_delay_alu instid0(SALU_CYCLE_1)
	s_mov_b32 s18, exec_lo
                                        ; implicit-def: $vgpr3_vgpr4
	v_cmpx_gt_u32_e64 s28, v38
	s_cbranch_execz .LBB1577_27
; %bb.26:
	v_lshlrev_b32_e32 v3, 3, v38
	global_load_b64 v[3:4], v3, s[2:3]
.LBB1577_27:
	s_or_b32 exec_lo, exec_lo, s18
	s_delay_alu instid0(SALU_CYCLE_1)
	s_mov_b32 s18, exec_lo
                                        ; implicit-def: $vgpr5_vgpr6
	v_cmpx_gt_u32_e64 s28, v36
	s_cbranch_execz .LBB1577_29
; %bb.28:
	v_lshlrev_b32_e32 v5, 3, v36
	global_load_b64 v[5:6], v5, s[2:3]
.LBB1577_29:
	s_or_b32 exec_lo, exec_lo, s18
	s_delay_alu instid0(SALU_CYCLE_1)
	s_mov_b32 s18, exec_lo
                                        ; implicit-def: $vgpr7_vgpr8
	v_cmpx_gt_u32_e64 s28, v40
	s_cbranch_execz .LBB1577_31
; %bb.30:
	v_lshlrev_b32_e32 v7, 3, v40
	global_load_b64 v[7:8], v7, s[2:3]
.LBB1577_31:
	s_or_b32 exec_lo, exec_lo, s18
	s_delay_alu instid0(SALU_CYCLE_1)
	s_mov_b32 s18, exec_lo
                                        ; implicit-def: $vgpr9_vgpr10
	v_cmpx_gt_u32_e64 s28, v39
	s_cbranch_execz .LBB1577_33
; %bb.32:
	v_lshlrev_b32_e32 v9, 3, v39
	global_load_b64 v[9:10], v9, s[2:3]
.LBB1577_33:
	s_or_b32 exec_lo, exec_lo, s18
	s_delay_alu instid0(SALU_CYCLE_1)
	s_mov_b32 s18, exec_lo
                                        ; implicit-def: $vgpr11_vgpr12
	v_cmpx_gt_u32_e64 s28, v37
	s_cbranch_execz .LBB1577_35
; %bb.34:
	v_lshlrev_b32_e32 v11, 3, v37
	global_load_b64 v[11:12], v11, s[2:3]
.LBB1577_35:
	s_or_b32 exec_lo, exec_lo, s18
	s_delay_alu instid0(SALU_CYCLE_1)
	s_mov_b32 s18, exec_lo
                                        ; implicit-def: $vgpr13_vgpr14
	v_cmpx_gt_u32_e64 s28, v34
	s_cbranch_execz .LBB1577_37
; %bb.36:
	v_lshlrev_b32_e32 v13, 3, v34
	global_load_b64 v[13:14], v13, s[2:3]
.LBB1577_37:
	s_or_b32 exec_lo, exec_lo, s18
	s_delay_alu instid0(SALU_CYCLE_1)
	s_mov_b32 s18, exec_lo
                                        ; implicit-def: $vgpr15_vgpr16
	v_cmpx_gt_u32_e64 s28, v35
	s_cbranch_execz .LBB1577_39
; %bb.38:
	v_lshlrev_b32_e32 v15, 3, v35
	global_load_b64 v[15:16], v15, s[2:3]
.LBB1577_39:
	s_or_b32 exec_lo, exec_lo, s18
	v_lshrrev_b32_e32 v38, 2, v38
	v_lshrrev_b32_e32 v36, 2, v36
	;; [unrolled: 1-line block ×4, first 2 shown]
	v_and_b32_e32 v33, 0x78, v33
	v_lshrrev_b32_e32 v37, 2, v37
	v_lshrrev_b32_e32 v34, 2, v34
	v_lshrrev_b32_e32 v35, 2, v35
	v_and_b32_e32 v38, 0xf8, v38
	v_and_b32_e32 v36, 0x1f8, v36
	;; [unrolled: 1-line block ×4, first 2 shown]
	v_add_nc_u32_e32 v33, v33, v55
	v_and_b32_e32 v37, 0x3f8, v37
	v_and_b32_e32 v34, 0x3f8, v34
	;; [unrolled: 1-line block ×3, first 2 shown]
	v_add_nc_u32_e32 v38, v38, v55
	v_add_nc_u32_e32 v36, v36, v55
	;; [unrolled: 1-line block ×7, first 2 shown]
	s_waitcnt vmcnt(0)
	ds_store_b64 v33, v[1:2]
	ds_store_b64 v38, v[3:4] offset:4096
	ds_store_b64 v36, v[5:6] offset:8192
	;; [unrolled: 1-line block ×7, first 2 shown]
	s_waitcnt lgkmcnt(0)
	s_barrier
.LBB1577_40:
	buffer_gl0_inv
	ds_load_2addr_b64 v[13:16], v41 offset1:1
	ds_load_2addr_b64 v[9:12], v41 offset0:2 offset1:3
	ds_load_2addr_b64 v[5:8], v41 offset0:4 offset1:5
	;; [unrolled: 1-line block ×3, first 2 shown]
	s_cmp_lg_u32 s15, 0
	v_cmp_gt_i64_e64 s25, s[22:23], 0
	s_cselect_b32 s24, -1, 0
	s_cmp_lg_u64 s[6:7], 0
	s_mov_b32 s3, 0
	s_cselect_b32 s2, -1, 0
	s_waitcnt lgkmcnt(0)
	s_or_b32 s2, s24, s2
	s_barrier
	s_and_b32 vcc_lo, exec_lo, s2
	buffer_gl0_inv
	s_cbranch_vccz .LBB1577_49
; %bb.41:
	s_add_u32 s2, s4, -8
	s_addc_u32 s3, s5, -1
	v_cndmask_b32_e64 v41, 0, 1, s25
	s_load_b64 s[4:5], s[2:3], 0x0
	s_and_b32 vcc_lo, exec_lo, s20
	ds_store_b64 v55, v[19:20]
	v_cmp_ne_u32_e64 s2, 1, v41
	s_cbranch_vccz .LBB1577_50
; %bb.42:
	v_mul_lo_u32 v35, v18, s22
	v_mul_lo_u32 v36, v17, s23
	v_mad_u64_u32 v[33:34], null, v17, s22, 0
	s_mov_b32 s3, 0
	s_and_b32 vcc_lo, exec_lo, s2
	s_mov_b32 s26, 0
	s_delay_alu instid0(VALU_DEP_1) | instskip(NEXT) | instid1(VALU_DEP_1)
	v_add3_u32 v34, v34, v36, v35
	v_lshlrev_b64 v[33:34], 2, v[33:34]
	s_cbranch_vccnz .LBB1577_53
; %bb.43:
	v_mul_lo_u32 v37, v20, s22
	v_mul_lo_u32 v38, v19, s23
	v_mad_u64_u32 v[35:36], null, v19, s22, 0
	s_mov_b32 s26, -1
	s_mov_b32 s27, exec_lo
	s_delay_alu instid0(VALU_DEP_1) | instskip(SKIP_2) | instid1(VALU_DEP_3)
	v_add3_u32 v36, v36, v38, v37
	v_add_co_u32 v37, vcc_lo, s8, v33
	v_add_co_ci_u32_e32 v38, vcc_lo, s9, v34, vcc_lo
	v_lshlrev_b64 v[35:36], 2, v[35:36]
	s_delay_alu instid0(VALU_DEP_1) | instskip(NEXT) | instid1(VALU_DEP_2)
	v_add_co_u32 v35, vcc_lo, s8, v35
	v_add_co_ci_u32_e32 v36, vcc_lo, s9, v36, vcc_lo
	s_clause 0x1
	global_load_b32 v39, v[37:38], off
	global_load_b32 v40, v[35:36], off
	s_waitcnt vmcnt(0)
	v_cmpx_eq_u32_e64 v39, v40
	s_cbranch_execz .LBB1577_52
; %bb.44:
	v_add_co_u32 v35, vcc_lo, v35, 4
	v_add_co_ci_u32_e32 v36, vcc_lo, 0, v36, vcc_lo
	v_add_co_u32 v37, vcc_lo, v37, 4
	v_add_co_ci_u32_e32 v38, vcc_lo, 0, v38, vcc_lo
	s_add_u32 s6, s22, -1
	s_addc_u32 s7, s23, -1
	s_mov_b64 s[18:19], 0
	s_mov_b32 s26, 0
                                        ; implicit-def: $sgpr29
	s_set_inst_prefetch_distance 0x1
	s_branch .LBB1577_47
	.p2align	6
.LBB1577_45:                            ;   in Loop: Header=BB1577_47 Depth=1
	global_load_b32 v39, v[37:38], off
	global_load_b32 v40, v[35:36], off
	v_add_co_u32 v35, vcc_lo, v35, 4
	v_add_co_ci_u32_e32 v36, vcc_lo, 0, v36, vcc_lo
	v_add_co_u32 v37, s2, v37, 4
	s_delay_alu instid0(VALU_DEP_1)
	v_add_co_ci_u32_e64 v38, s2, 0, v38, s2
	s_add_u32 s18, s18, 1
	s_addc_u32 s19, s19, 0
	s_and_not1_b32 s2, s29, exec_lo
	s_waitcnt vmcnt(0)
	v_cmp_ne_u32_e32 vcc_lo, v39, v40
	s_and_b32 s29, vcc_lo, exec_lo
	s_delay_alu instid0(SALU_CYCLE_1)
	s_or_b32 s29, s2, s29
.LBB1577_46:                            ;   in Loop: Header=BB1577_47 Depth=1
	v_dual_mov_b32 v40, s19 :: v_dual_mov_b32 v39, s18
	s_and_b32 s2, exec_lo, s29
	s_delay_alu instid0(SALU_CYCLE_1) | instskip(NEXT) | instid1(SALU_CYCLE_1)
	s_or_b32 s26, s2, s26
	s_and_not1_b32 exec_lo, exec_lo, s26
	s_cbranch_execz .LBB1577_51
.LBB1577_47:                            ; =>This Inner Loop Header: Depth=1
	s_or_b32 s29, s29, exec_lo
	s_cmp_eq_u64 s[6:7], s[18:19]
	s_cbranch_scc0 .LBB1577_45
; %bb.48:                               ;   in Loop: Header=BB1577_47 Depth=1
	s_mov_b64 s[18:19], s[22:23]
                                        ; implicit-def: $vgpr35_vgpr36
                                        ; implicit-def: $vgpr37_vgpr38
	s_branch .LBB1577_46
.LBB1577_49:
                                        ; implicit-def: $sgpr2
                                        ; implicit-def: $vgpr34
	s_branch .LBB1577_211
.LBB1577_50:
                                        ; implicit-def: $sgpr2
                                        ; implicit-def: $vgpr34
	s_cbranch_execnz .LBB1577_119
	s_branch .LBB1577_210
.LBB1577_51:
	s_set_inst_prefetch_distance 0x2
	s_or_b32 exec_lo, exec_lo, s26
	v_cmp_gt_i64_e32 vcc_lo, s[22:23], v[39:40]
	s_or_not1_b32 s26, vcc_lo, exec_lo
.LBB1577_52:
	s_or_b32 exec_lo, exec_lo, s27
.LBB1577_53:
	v_mul_lo_u32 v37, v24, s22
	v_mul_lo_u32 v38, v23, s23
	v_mad_u64_u32 v[35:36], null, v23, s22, 0
	s_and_not1_b32 vcc_lo, exec_lo, s25
	s_delay_alu instid0(VALU_DEP_1) | instskip(NEXT) | instid1(VALU_DEP_1)
	v_add3_u32 v36, v36, v38, v37
	v_lshlrev_b64 v[35:36], 2, v[35:36]
	s_cbranch_vccnz .LBB1577_62
; %bb.54:
	s_delay_alu instid0(VALU_DEP_1) | instskip(NEXT) | instid1(VALU_DEP_2)
	v_add_co_u32 v37, vcc_lo, s8, v35
	v_add_co_ci_u32_e32 v38, vcc_lo, s9, v36, vcc_lo
	v_add_co_u32 v33, vcc_lo, s8, v33
	v_add_co_ci_u32_e32 v34, vcc_lo, s9, v34, vcc_lo
	s_mov_b32 s3, -1
	s_clause 0x1
	global_load_b32 v39, v[37:38], off
	global_load_b32 v40, v[33:34], off
	s_mov_b32 s27, exec_lo
	s_waitcnt vmcnt(0)
	v_cmpx_eq_u32_e64 v39, v40
	s_cbranch_execz .LBB1577_61
; %bb.55:
	v_add_co_u32 v33, vcc_lo, v33, 4
	v_add_co_ci_u32_e32 v34, vcc_lo, 0, v34, vcc_lo
	v_add_co_u32 v37, vcc_lo, v37, 4
	v_add_co_ci_u32_e32 v38, vcc_lo, 0, v38, vcc_lo
	s_add_u32 s6, s22, -1
	s_addc_u32 s7, s23, -1
	s_mov_b64 s[18:19], 0
	s_mov_b32 s3, 0
                                        ; implicit-def: $sgpr29
	s_set_inst_prefetch_distance 0x1
	s_branch .LBB1577_58
	.p2align	6
.LBB1577_56:                            ;   in Loop: Header=BB1577_58 Depth=1
	global_load_b32 v39, v[37:38], off
	global_load_b32 v40, v[33:34], off
	v_add_co_u32 v33, vcc_lo, v33, 4
	v_add_co_ci_u32_e32 v34, vcc_lo, 0, v34, vcc_lo
	v_add_co_u32 v37, s2, v37, 4
	s_delay_alu instid0(VALU_DEP_1)
	v_add_co_ci_u32_e64 v38, s2, 0, v38, s2
	s_add_u32 s18, s18, 1
	s_addc_u32 s19, s19, 0
	s_and_not1_b32 s2, s29, exec_lo
	s_waitcnt vmcnt(0)
	v_cmp_ne_u32_e32 vcc_lo, v39, v40
	s_and_b32 s29, vcc_lo, exec_lo
	s_delay_alu instid0(SALU_CYCLE_1)
	s_or_b32 s29, s2, s29
.LBB1577_57:                            ;   in Loop: Header=BB1577_58 Depth=1
	v_dual_mov_b32 v40, s19 :: v_dual_mov_b32 v39, s18
	s_and_b32 s2, exec_lo, s29
	s_delay_alu instid0(SALU_CYCLE_1) | instskip(NEXT) | instid1(SALU_CYCLE_1)
	s_or_b32 s3, s2, s3
	s_and_not1_b32 exec_lo, exec_lo, s3
	s_cbranch_execz .LBB1577_60
.LBB1577_58:                            ; =>This Inner Loop Header: Depth=1
	s_or_b32 s29, s29, exec_lo
	s_cmp_eq_u64 s[6:7], s[18:19]
	s_cbranch_scc0 .LBB1577_56
; %bb.59:                               ;   in Loop: Header=BB1577_58 Depth=1
	s_mov_b64 s[18:19], s[22:23]
                                        ; implicit-def: $vgpr33_vgpr34
                                        ; implicit-def: $vgpr37_vgpr38
	s_branch .LBB1577_57
.LBB1577_60:
	s_set_inst_prefetch_distance 0x2
	s_or_b32 exec_lo, exec_lo, s3
	v_cmp_gt_i64_e32 vcc_lo, s[22:23], v[39:40]
	s_or_not1_b32 s3, vcc_lo, exec_lo
.LBB1577_61:
	s_or_b32 exec_lo, exec_lo, s27
.LBB1577_62:
	v_mul_lo_u32 v37, v22, s22
	v_mul_lo_u32 v38, v21, s23
	v_mad_u64_u32 v[33:34], null, v21, s22, 0
	s_mov_b32 s27, 0
	s_and_not1_b32 vcc_lo, exec_lo, s25
	s_mov_b32 s29, 0
	s_delay_alu instid0(VALU_DEP_1) | instskip(NEXT) | instid1(VALU_DEP_1)
	v_add3_u32 v34, v34, v38, v37
	v_lshlrev_b64 v[37:38], 2, v[33:34]
	s_cbranch_vccnz .LBB1577_71
; %bb.63:
	s_delay_alu instid0(VALU_DEP_1) | instskip(NEXT) | instid1(VALU_DEP_2)
	v_add_co_u32 v39, vcc_lo, s8, v37
	v_add_co_ci_u32_e32 v40, vcc_lo, s9, v38, vcc_lo
	v_add_co_u32 v33, vcc_lo, s8, v35
	v_add_co_ci_u32_e32 v34, vcc_lo, s9, v36, vcc_lo
	s_mov_b32 s29, -1
	s_clause 0x1
	global_load_b32 v35, v[39:40], off
	global_load_b32 v36, v[33:34], off
	s_mov_b32 s30, exec_lo
	s_waitcnt vmcnt(0)
	v_cmpx_eq_u32_e64 v35, v36
	s_cbranch_execz .LBB1577_70
; %bb.64:
	v_add_co_u32 v33, vcc_lo, v33, 4
	v_add_co_ci_u32_e32 v34, vcc_lo, 0, v34, vcc_lo
	v_add_co_u32 v35, vcc_lo, v39, 4
	v_add_co_ci_u32_e32 v36, vcc_lo, 0, v40, vcc_lo
	s_add_u32 s6, s22, -1
	s_addc_u32 s7, s23, -1
	s_mov_b64 s[18:19], 0
	s_mov_b32 s29, 0
                                        ; implicit-def: $sgpr31
	s_set_inst_prefetch_distance 0x1
	s_branch .LBB1577_67
	.p2align	6
.LBB1577_65:                            ;   in Loop: Header=BB1577_67 Depth=1
	global_load_b32 v39, v[35:36], off
	global_load_b32 v40, v[33:34], off
	v_add_co_u32 v33, vcc_lo, v33, 4
	v_add_co_ci_u32_e32 v34, vcc_lo, 0, v34, vcc_lo
	v_add_co_u32 v35, s2, v35, 4
	s_delay_alu instid0(VALU_DEP_1)
	v_add_co_ci_u32_e64 v36, s2, 0, v36, s2
	s_add_u32 s18, s18, 1
	s_addc_u32 s19, s19, 0
	s_and_not1_b32 s2, s31, exec_lo
	s_waitcnt vmcnt(0)
	v_cmp_ne_u32_e32 vcc_lo, v39, v40
	s_and_b32 s31, vcc_lo, exec_lo
	s_delay_alu instid0(SALU_CYCLE_1)
	s_or_b32 s31, s2, s31
.LBB1577_66:                            ;   in Loop: Header=BB1577_67 Depth=1
	v_dual_mov_b32 v40, s19 :: v_dual_mov_b32 v39, s18
	s_and_b32 s2, exec_lo, s31
	s_delay_alu instid0(SALU_CYCLE_1) | instskip(NEXT) | instid1(SALU_CYCLE_1)
	s_or_b32 s29, s2, s29
	s_and_not1_b32 exec_lo, exec_lo, s29
	s_cbranch_execz .LBB1577_69
.LBB1577_67:                            ; =>This Inner Loop Header: Depth=1
	s_or_b32 s31, s31, exec_lo
	s_cmp_eq_u64 s[6:7], s[18:19]
	s_cbranch_scc0 .LBB1577_65
; %bb.68:                               ;   in Loop: Header=BB1577_67 Depth=1
	s_mov_b64 s[18:19], s[22:23]
                                        ; implicit-def: $vgpr33_vgpr34
                                        ; implicit-def: $vgpr35_vgpr36
	s_branch .LBB1577_66
.LBB1577_69:
	s_set_inst_prefetch_distance 0x2
	s_or_b32 exec_lo, exec_lo, s29
	v_cmp_gt_i64_e32 vcc_lo, s[22:23], v[39:40]
	s_or_not1_b32 s29, vcc_lo, exec_lo
.LBB1577_70:
	s_or_b32 exec_lo, exec_lo, s30
.LBB1577_71:
	v_mul_lo_u32 v35, v28, s22
	v_mul_lo_u32 v36, v27, s23
	v_mad_u64_u32 v[33:34], null, v27, s22, 0
	s_and_not1_b32 vcc_lo, exec_lo, s25
	s_delay_alu instid0(VALU_DEP_1) | instskip(NEXT) | instid1(VALU_DEP_1)
	v_add3_u32 v34, v34, v36, v35
	v_lshlrev_b64 v[33:34], 2, v[33:34]
	s_cbranch_vccnz .LBB1577_80
; %bb.72:
	s_delay_alu instid0(VALU_DEP_1) | instskip(NEXT) | instid1(VALU_DEP_2)
	v_add_co_u32 v39, vcc_lo, s8, v33
	v_add_co_ci_u32_e32 v40, vcc_lo, s9, v34, vcc_lo
	v_add_co_u32 v35, vcc_lo, s8, v37
	v_add_co_ci_u32_e32 v36, vcc_lo, s9, v38, vcc_lo
	s_mov_b32 s27, -1
	s_clause 0x1
	global_load_b32 v37, v[39:40], off
	global_load_b32 v38, v[35:36], off
	s_mov_b32 s30, exec_lo
	s_waitcnt vmcnt(0)
	v_cmpx_eq_u32_e64 v37, v38
	s_cbranch_execz .LBB1577_79
; %bb.73:
	v_add_co_u32 v35, vcc_lo, v35, 4
	v_add_co_ci_u32_e32 v36, vcc_lo, 0, v36, vcc_lo
	v_add_co_u32 v37, vcc_lo, v39, 4
	v_add_co_ci_u32_e32 v38, vcc_lo, 0, v40, vcc_lo
	s_add_u32 s6, s22, -1
	s_addc_u32 s7, s23, -1
	s_mov_b64 s[18:19], 0
	s_mov_b32 s27, 0
                                        ; implicit-def: $sgpr31
	s_set_inst_prefetch_distance 0x1
	s_branch .LBB1577_76
	.p2align	6
.LBB1577_74:                            ;   in Loop: Header=BB1577_76 Depth=1
	global_load_b32 v39, v[37:38], off
	global_load_b32 v40, v[35:36], off
	v_add_co_u32 v35, vcc_lo, v35, 4
	v_add_co_ci_u32_e32 v36, vcc_lo, 0, v36, vcc_lo
	v_add_co_u32 v37, s2, v37, 4
	s_delay_alu instid0(VALU_DEP_1)
	v_add_co_ci_u32_e64 v38, s2, 0, v38, s2
	s_add_u32 s18, s18, 1
	s_addc_u32 s19, s19, 0
	s_and_not1_b32 s2, s31, exec_lo
	s_waitcnt vmcnt(0)
	v_cmp_ne_u32_e32 vcc_lo, v39, v40
	s_and_b32 s31, vcc_lo, exec_lo
	s_delay_alu instid0(SALU_CYCLE_1)
	s_or_b32 s31, s2, s31
.LBB1577_75:                            ;   in Loop: Header=BB1577_76 Depth=1
	v_dual_mov_b32 v40, s19 :: v_dual_mov_b32 v39, s18
	s_and_b32 s2, exec_lo, s31
	s_delay_alu instid0(SALU_CYCLE_1) | instskip(NEXT) | instid1(SALU_CYCLE_1)
	s_or_b32 s27, s2, s27
	s_and_not1_b32 exec_lo, exec_lo, s27
	s_cbranch_execz .LBB1577_78
.LBB1577_76:                            ; =>This Inner Loop Header: Depth=1
	s_or_b32 s31, s31, exec_lo
	s_cmp_eq_u64 s[6:7], s[18:19]
	s_cbranch_scc0 .LBB1577_74
; %bb.77:                               ;   in Loop: Header=BB1577_76 Depth=1
	s_mov_b64 s[18:19], s[22:23]
                                        ; implicit-def: $vgpr35_vgpr36
                                        ; implicit-def: $vgpr37_vgpr38
	s_branch .LBB1577_75
.LBB1577_78:
	s_set_inst_prefetch_distance 0x2
	s_or_b32 exec_lo, exec_lo, s27
	v_cmp_gt_i64_e32 vcc_lo, s[22:23], v[39:40]
	s_or_not1_b32 s27, vcc_lo, exec_lo
.LBB1577_79:
	s_or_b32 exec_lo, exec_lo, s30
.LBB1577_80:
	v_mul_lo_u32 v37, v26, s22
	v_mul_lo_u32 v38, v25, s23
	v_mad_u64_u32 v[35:36], null, v25, s22, 0
	s_mov_b32 s30, 0
	s_and_not1_b32 vcc_lo, exec_lo, s25
	s_mov_b32 s31, 0
	s_delay_alu instid0(VALU_DEP_1) | instskip(NEXT) | instid1(VALU_DEP_1)
	v_add3_u32 v36, v36, v38, v37
	v_lshlrev_b64 v[37:38], 2, v[35:36]
	s_cbranch_vccnz .LBB1577_89
; %bb.81:
	s_delay_alu instid0(VALU_DEP_1) | instskip(NEXT) | instid1(VALU_DEP_2)
	v_add_co_u32 v35, vcc_lo, s8, v37
	v_add_co_ci_u32_e32 v36, vcc_lo, s9, v38, vcc_lo
	v_add_co_u32 v33, vcc_lo, s8, v33
	v_add_co_ci_u32_e32 v34, vcc_lo, s9, v34, vcc_lo
	s_mov_b32 s31, -1
	s_clause 0x1
	global_load_b32 v39, v[35:36], off
	global_load_b32 v40, v[33:34], off
	s_mov_b32 s33, exec_lo
	s_waitcnt vmcnt(0)
	v_cmpx_eq_u32_e64 v39, v40
	s_cbranch_execz .LBB1577_88
; %bb.82:
	v_add_co_u32 v33, vcc_lo, v33, 4
	v_add_co_ci_u32_e32 v34, vcc_lo, 0, v34, vcc_lo
	v_add_co_u32 v35, vcc_lo, v35, 4
	v_add_co_ci_u32_e32 v36, vcc_lo, 0, v36, vcc_lo
	s_add_u32 s6, s22, -1
	s_addc_u32 s7, s23, -1
	s_mov_b64 s[18:19], 0
	s_mov_b32 s31, 0
                                        ; implicit-def: $sgpr34
	s_set_inst_prefetch_distance 0x1
	s_branch .LBB1577_85
	.p2align	6
.LBB1577_83:                            ;   in Loop: Header=BB1577_85 Depth=1
	global_load_b32 v39, v[35:36], off
	global_load_b32 v40, v[33:34], off
	v_add_co_u32 v33, vcc_lo, v33, 4
	v_add_co_ci_u32_e32 v34, vcc_lo, 0, v34, vcc_lo
	v_add_co_u32 v35, s2, v35, 4
	s_delay_alu instid0(VALU_DEP_1)
	v_add_co_ci_u32_e64 v36, s2, 0, v36, s2
	s_add_u32 s18, s18, 1
	s_addc_u32 s19, s19, 0
	s_and_not1_b32 s2, s34, exec_lo
	s_waitcnt vmcnt(0)
	v_cmp_ne_u32_e32 vcc_lo, v39, v40
	s_and_b32 s34, vcc_lo, exec_lo
	s_delay_alu instid0(SALU_CYCLE_1)
	s_or_b32 s34, s2, s34
.LBB1577_84:                            ;   in Loop: Header=BB1577_85 Depth=1
	v_dual_mov_b32 v40, s19 :: v_dual_mov_b32 v39, s18
	s_and_b32 s2, exec_lo, s34
	s_delay_alu instid0(SALU_CYCLE_1) | instskip(NEXT) | instid1(SALU_CYCLE_1)
	s_or_b32 s31, s2, s31
	s_and_not1_b32 exec_lo, exec_lo, s31
	s_cbranch_execz .LBB1577_87
.LBB1577_85:                            ; =>This Inner Loop Header: Depth=1
	s_or_b32 s34, s34, exec_lo
	s_cmp_eq_u64 s[6:7], s[18:19]
	s_cbranch_scc0 .LBB1577_83
; %bb.86:                               ;   in Loop: Header=BB1577_85 Depth=1
	s_mov_b64 s[18:19], s[22:23]
                                        ; implicit-def: $vgpr33_vgpr34
                                        ; implicit-def: $vgpr35_vgpr36
	s_branch .LBB1577_84
.LBB1577_87:
	s_set_inst_prefetch_distance 0x2
	s_or_b32 exec_lo, exec_lo, s31
	v_cmp_gt_i64_e32 vcc_lo, s[22:23], v[39:40]
	s_or_not1_b32 s31, vcc_lo, exec_lo
.LBB1577_88:
	s_or_b32 exec_lo, exec_lo, s33
.LBB1577_89:
	v_mul_lo_u32 v35, v32, s22
	v_mul_lo_u32 v36, v31, s23
	v_mad_u64_u32 v[33:34], null, v31, s22, 0
	s_and_not1_b32 vcc_lo, exec_lo, s25
	s_delay_alu instid0(VALU_DEP_1) | instskip(NEXT) | instid1(VALU_DEP_1)
	v_add3_u32 v34, v34, v36, v35
	v_lshlrev_b64 v[35:36], 2, v[33:34]
	s_cbranch_vccnz .LBB1577_98
; %bb.90:
	s_delay_alu instid0(VALU_DEP_1) | instskip(NEXT) | instid1(VALU_DEP_2)
	v_add_co_u32 v39, vcc_lo, s8, v35
	v_add_co_ci_u32_e32 v40, vcc_lo, s9, v36, vcc_lo
	v_add_co_u32 v33, vcc_lo, s8, v37
	v_add_co_ci_u32_e32 v34, vcc_lo, s9, v38, vcc_lo
	s_mov_b32 s30, -1
	s_clause 0x1
	global_load_b32 v37, v[39:40], off
	global_load_b32 v38, v[33:34], off
	s_mov_b32 s33, exec_lo
	s_waitcnt vmcnt(0)
	v_cmpx_eq_u32_e64 v37, v38
	s_cbranch_execz .LBB1577_97
; %bb.91:
	v_add_co_u32 v33, vcc_lo, v33, 4
	v_add_co_ci_u32_e32 v34, vcc_lo, 0, v34, vcc_lo
	v_add_co_u32 v37, vcc_lo, v39, 4
	v_add_co_ci_u32_e32 v38, vcc_lo, 0, v40, vcc_lo
	s_add_u32 s6, s22, -1
	s_addc_u32 s7, s23, -1
	s_mov_b64 s[18:19], 0
	s_mov_b32 s30, 0
                                        ; implicit-def: $sgpr34
	s_set_inst_prefetch_distance 0x1
	s_branch .LBB1577_94
	.p2align	6
.LBB1577_92:                            ;   in Loop: Header=BB1577_94 Depth=1
	global_load_b32 v39, v[37:38], off
	global_load_b32 v40, v[33:34], off
	v_add_co_u32 v33, vcc_lo, v33, 4
	v_add_co_ci_u32_e32 v34, vcc_lo, 0, v34, vcc_lo
	v_add_co_u32 v37, s2, v37, 4
	s_delay_alu instid0(VALU_DEP_1)
	v_add_co_ci_u32_e64 v38, s2, 0, v38, s2
	s_add_u32 s18, s18, 1
	s_addc_u32 s19, s19, 0
	s_and_not1_b32 s2, s34, exec_lo
	s_waitcnt vmcnt(0)
	v_cmp_ne_u32_e32 vcc_lo, v39, v40
	s_and_b32 s34, vcc_lo, exec_lo
	s_delay_alu instid0(SALU_CYCLE_1)
	s_or_b32 s34, s2, s34
.LBB1577_93:                            ;   in Loop: Header=BB1577_94 Depth=1
	v_dual_mov_b32 v40, s19 :: v_dual_mov_b32 v39, s18
	s_and_b32 s2, exec_lo, s34
	s_delay_alu instid0(SALU_CYCLE_1) | instskip(NEXT) | instid1(SALU_CYCLE_1)
	s_or_b32 s30, s2, s30
	s_and_not1_b32 exec_lo, exec_lo, s30
	s_cbranch_execz .LBB1577_96
.LBB1577_94:                            ; =>This Inner Loop Header: Depth=1
	s_or_b32 s34, s34, exec_lo
	s_cmp_eq_u64 s[6:7], s[18:19]
	s_cbranch_scc0 .LBB1577_92
; %bb.95:                               ;   in Loop: Header=BB1577_94 Depth=1
	s_mov_b64 s[18:19], s[22:23]
                                        ; implicit-def: $vgpr33_vgpr34
                                        ; implicit-def: $vgpr37_vgpr38
	s_branch .LBB1577_93
.LBB1577_96:
	s_set_inst_prefetch_distance 0x2
	s_or_b32 exec_lo, exec_lo, s30
	v_cmp_gt_i64_e32 vcc_lo, s[22:23], v[39:40]
	s_or_not1_b32 s30, vcc_lo, exec_lo
.LBB1577_97:
	s_or_b32 exec_lo, exec_lo, s33
.LBB1577_98:
	v_mul_lo_u32 v37, v30, s22
	v_mul_lo_u32 v38, v29, s23
	v_mad_u64_u32 v[33:34], null, v29, s22, 0
	s_and_not1_b32 vcc_lo, exec_lo, s25
	s_mov_b32 s2, 0
	s_delay_alu instid0(VALU_DEP_1) | instskip(NEXT) | instid1(VALU_DEP_1)
	v_add3_u32 v34, v34, v38, v37
	v_lshlrev_b64 v[33:34], 2, v[33:34]
	s_cbranch_vccnz .LBB1577_107
; %bb.99:
	s_delay_alu instid0(VALU_DEP_1) | instskip(NEXT) | instid1(VALU_DEP_2)
	v_add_co_u32 v37, vcc_lo, s8, v33
	v_add_co_ci_u32_e32 v38, vcc_lo, s9, v34, vcc_lo
	v_add_co_u32 v35, vcc_lo, s8, v35
	v_add_co_ci_u32_e32 v36, vcc_lo, s9, v36, vcc_lo
	s_mov_b32 s2, -1
	s_clause 0x1
	global_load_b32 v39, v[37:38], off
	global_load_b32 v40, v[35:36], off
	s_mov_b32 s33, exec_lo
	s_waitcnt vmcnt(0)
	v_cmpx_eq_u32_e64 v39, v40
	s_cbranch_execz .LBB1577_106
; %bb.100:
	v_add_co_u32 v35, vcc_lo, v35, 4
	v_add_co_ci_u32_e32 v36, vcc_lo, 0, v36, vcc_lo
	v_add_co_u32 v37, vcc_lo, v37, 4
	v_add_co_ci_u32_e32 v38, vcc_lo, 0, v38, vcc_lo
	s_add_u32 s6, s22, -1
	s_addc_u32 s7, s23, -1
	s_mov_b64 s[18:19], 0
	s_mov_b32 s34, 0
                                        ; implicit-def: $sgpr35
	s_set_inst_prefetch_distance 0x1
	s_branch .LBB1577_103
	.p2align	6
.LBB1577_101:                           ;   in Loop: Header=BB1577_103 Depth=1
	global_load_b32 v39, v[37:38], off
	global_load_b32 v40, v[35:36], off
	v_add_co_u32 v35, vcc_lo, v35, 4
	v_add_co_ci_u32_e32 v36, vcc_lo, 0, v36, vcc_lo
	v_add_co_u32 v37, s2, v37, 4
	s_delay_alu instid0(VALU_DEP_1)
	v_add_co_ci_u32_e64 v38, s2, 0, v38, s2
	s_add_u32 s18, s18, 1
	s_addc_u32 s19, s19, 0
	s_and_not1_b32 s2, s35, exec_lo
	s_waitcnt vmcnt(0)
	v_cmp_ne_u32_e32 vcc_lo, v39, v40
	s_and_b32 s35, vcc_lo, exec_lo
	s_delay_alu instid0(SALU_CYCLE_1)
	s_or_b32 s35, s2, s35
.LBB1577_102:                           ;   in Loop: Header=BB1577_103 Depth=1
	v_dual_mov_b32 v40, s19 :: v_dual_mov_b32 v39, s18
	s_and_b32 s2, exec_lo, s35
	s_delay_alu instid0(SALU_CYCLE_1) | instskip(NEXT) | instid1(SALU_CYCLE_1)
	s_or_b32 s34, s2, s34
	s_and_not1_b32 exec_lo, exec_lo, s34
	s_cbranch_execz .LBB1577_105
.LBB1577_103:                           ; =>This Inner Loop Header: Depth=1
	s_or_b32 s35, s35, exec_lo
	s_cmp_eq_u64 s[6:7], s[18:19]
	s_cbranch_scc0 .LBB1577_101
; %bb.104:                              ;   in Loop: Header=BB1577_103 Depth=1
	s_mov_b64 s[18:19], s[22:23]
                                        ; implicit-def: $vgpr35_vgpr36
                                        ; implicit-def: $vgpr37_vgpr38
	s_branch .LBB1577_102
.LBB1577_105:
	s_set_inst_prefetch_distance 0x2
	s_or_b32 exec_lo, exec_lo, s34
	v_cmp_gt_i64_e32 vcc_lo, s[22:23], v[39:40]
	s_or_not1_b32 s2, vcc_lo, exec_lo
.LBB1577_106:
	s_or_b32 exec_lo, exec_lo, s33
.LBB1577_107:
	s_waitcnt lgkmcnt(0)
	v_dual_mov_b32 v36, s5 :: v_dual_mov_b32 v35, s4
	s_mov_b32 s6, exec_lo
	s_barrier
	buffer_gl0_inv
	v_cmpx_ne_u32_e32 0, v0
	s_cbranch_execz .LBB1577_109
; %bb.108:
	v_add_nc_u32_e32 v35, -8, v55
	ds_load_b64 v[35:36], v35
.LBB1577_109:
	s_or_b32 exec_lo, exec_lo, s6
	v_cndmask_b32_e64 v38, 0, 1, s31
	v_cndmask_b32_e64 v40, 0, 1, s29
	;; [unrolled: 1-line block ×7, first 2 shown]
	v_lshlrev_b16 v38, 8, v38
	v_lshlrev_b16 v40, 8, v40
	;; [unrolled: 1-line block ×4, first 2 shown]
	s_mov_b32 s3, 0
	v_or_b32_e32 v37, v37, v38
	v_or_b32_e32 v38, v39, v40
	;; [unrolled: 1-line block ×3, first 2 shown]
	v_and_b32_e32 v39, 0xffff, v43
	s_and_not1_b32 vcc_lo, exec_lo, s25
	v_lshlrev_b32_e32 v40, 16, v37
	v_and_b32_e32 v42, 0xffff, v38
	v_lshlrev_b32_e32 v43, 16, v44
	s_mov_b32 s2, 0
	s_cbranch_vccnz .LBB1577_118
; %bb.110:
	s_waitcnt lgkmcnt(0)
	v_mul_lo_u32 v38, v36, s22
	v_mul_lo_u32 v44, v35, s23
	v_mad_u64_u32 v[36:37], null, v35, s22, 0
	s_mov_b32 s2, -1
	s_mov_b32 s26, exec_lo
	s_delay_alu instid0(VALU_DEP_1) | instskip(NEXT) | instid1(VALU_DEP_1)
	v_add3_u32 v37, v37, v44, v38
	v_lshlrev_b64 v[35:36], 2, v[36:37]
	s_delay_alu instid0(VALU_DEP_1) | instskip(NEXT) | instid1(VALU_DEP_2)
	v_add_co_u32 v35, vcc_lo, s8, v35
	v_add_co_ci_u32_e32 v36, vcc_lo, s9, v36, vcc_lo
	v_add_co_u32 v33, vcc_lo, s8, v33
	v_add_co_ci_u32_e32 v34, vcc_lo, s9, v34, vcc_lo
	s_clause 0x1
	global_load_b32 v37, v[35:36], off
	global_load_b32 v38, v[33:34], off
	s_waitcnt vmcnt(0)
	v_cmpx_eq_u32_e64 v37, v38
	s_cbranch_execz .LBB1577_117
; %bb.111:
	v_add_co_u32 v33, vcc_lo, v33, 4
	v_add_co_ci_u32_e32 v34, vcc_lo, 0, v34, vcc_lo
	v_add_co_u32 v35, vcc_lo, v35, 4
	v_add_co_ci_u32_e32 v36, vcc_lo, 0, v36, vcc_lo
	s_add_u32 s6, s22, -1
	s_addc_u32 s7, s23, -1
	s_mov_b64 s[18:19], 0
	s_mov_b32 s27, 0
                                        ; implicit-def: $sgpr29
	s_set_inst_prefetch_distance 0x1
	s_branch .LBB1577_114
	.p2align	6
.LBB1577_112:                           ;   in Loop: Header=BB1577_114 Depth=1
	global_load_b32 v37, v[35:36], off
	global_load_b32 v38, v[33:34], off
	v_add_co_u32 v33, vcc_lo, v33, 4
	v_add_co_ci_u32_e32 v34, vcc_lo, 0, v34, vcc_lo
	v_add_co_u32 v35, s2, v35, 4
	s_delay_alu instid0(VALU_DEP_1)
	v_add_co_ci_u32_e64 v36, s2, 0, v36, s2
	s_add_u32 s18, s18, 1
	s_addc_u32 s19, s19, 0
	s_and_not1_b32 s2, s29, exec_lo
	s_waitcnt vmcnt(0)
	v_cmp_ne_u32_e32 vcc_lo, v37, v38
	s_and_b32 s29, vcc_lo, exec_lo
	s_delay_alu instid0(SALU_CYCLE_1)
	s_or_b32 s29, s2, s29
.LBB1577_113:                           ;   in Loop: Header=BB1577_114 Depth=1
	v_dual_mov_b32 v38, s19 :: v_dual_mov_b32 v37, s18
	s_and_b32 s2, exec_lo, s29
	s_delay_alu instid0(SALU_CYCLE_1) | instskip(NEXT) | instid1(SALU_CYCLE_1)
	s_or_b32 s27, s2, s27
	s_and_not1_b32 exec_lo, exec_lo, s27
	s_cbranch_execz .LBB1577_116
.LBB1577_114:                           ; =>This Inner Loop Header: Depth=1
	s_or_b32 s29, s29, exec_lo
	s_cmp_eq_u64 s[6:7], s[18:19]
	s_cbranch_scc0 .LBB1577_112
; %bb.115:                              ;   in Loop: Header=BB1577_114 Depth=1
	s_mov_b64 s[18:19], s[22:23]
                                        ; implicit-def: $vgpr33_vgpr34
                                        ; implicit-def: $vgpr35_vgpr36
	s_branch .LBB1577_113
.LBB1577_116:
	s_set_inst_prefetch_distance 0x2
	s_or_b32 exec_lo, exec_lo, s27
	v_cmp_gt_i64_e32 vcc_lo, s[22:23], v[37:38]
	s_or_not1_b32 s2, vcc_lo, exec_lo
.LBB1577_117:
	s_or_b32 exec_lo, exec_lo, s26
.LBB1577_118:
	v_or_b32_e32 v33, v39, v40
	s_delay_alu instid0(VALU_DEP_2)
	v_or_b32_e32 v34, v42, v43
	s_and_b32 vcc_lo, exec_lo, s3
	s_cbranch_vccz .LBB1577_210
.LBB1577_119:
	v_or_b32_e32 v33, 7, v55
	s_mov_b32 s3, 0
	s_mov_b32 s26, 0
	s_mov_b32 s27, exec_lo
	s_delay_alu instid0(VALU_DEP_1)
	v_cmpx_gt_u32_e64 s28, v33
	s_cbranch_execz .LBB1577_130
; %bb.120:
	s_and_not1_b32 vcc_lo, exec_lo, s25
	s_mov_b32 s2, 0
	s_cbranch_vccnz .LBB1577_129
; %bb.121:
	v_mul_lo_u32 v37, v18, s22
	v_mul_lo_u32 v38, v17, s23
	v_mad_u64_u32 v[33:34], null, v17, s22, 0
	v_mul_lo_u32 v39, v20, s22
	v_mul_lo_u32 v40, v19, s23
	s_waitcnt lgkmcnt(0)
	v_mad_u64_u32 v[35:36], null, v19, s22, 0
	s_mov_b32 s2, -1
	s_mov_b32 s25, exec_lo
	s_delay_alu instid0(VALU_DEP_4) | instskip(NEXT) | instid1(VALU_DEP_2)
	v_add3_u32 v34, v34, v38, v37
	v_add3_u32 v36, v36, v40, v39
	s_delay_alu instid0(VALU_DEP_2) | instskip(NEXT) | instid1(VALU_DEP_2)
	v_lshlrev_b64 v[33:34], 2, v[33:34]
	v_lshlrev_b64 v[37:38], 2, v[35:36]
	s_delay_alu instid0(VALU_DEP_2) | instskip(NEXT) | instid1(VALU_DEP_3)
	v_add_co_u32 v35, vcc_lo, s8, v33
	v_add_co_ci_u32_e32 v36, vcc_lo, s9, v34, vcc_lo
	s_delay_alu instid0(VALU_DEP_3) | instskip(NEXT) | instid1(VALU_DEP_4)
	v_add_co_u32 v33, vcc_lo, s8, v37
	v_add_co_ci_u32_e32 v34, vcc_lo, s9, v38, vcc_lo
	s_clause 0x1
	global_load_b32 v37, v[35:36], off
	global_load_b32 v38, v[33:34], off
	s_waitcnt vmcnt(0)
	v_cmpx_eq_u32_e64 v37, v38
	s_cbranch_execz .LBB1577_128
; %bb.122:
	v_add_co_u32 v33, vcc_lo, v33, 4
	v_add_co_ci_u32_e32 v34, vcc_lo, 0, v34, vcc_lo
	v_add_co_u32 v35, vcc_lo, v35, 4
	v_add_co_ci_u32_e32 v36, vcc_lo, 0, v36, vcc_lo
	s_add_u32 s6, s22, -1
	s_addc_u32 s7, s23, -1
	s_mov_b64 s[18:19], 0
                                        ; implicit-def: $sgpr29
	s_set_inst_prefetch_distance 0x1
	s_branch .LBB1577_125
	.p2align	6
.LBB1577_123:                           ;   in Loop: Header=BB1577_125 Depth=1
	global_load_b32 v37, v[35:36], off
	global_load_b32 v38, v[33:34], off
	v_add_co_u32 v33, vcc_lo, v33, 4
	v_add_co_ci_u32_e32 v34, vcc_lo, 0, v34, vcc_lo
	v_add_co_u32 v35, s2, v35, 4
	s_delay_alu instid0(VALU_DEP_1)
	v_add_co_ci_u32_e64 v36, s2, 0, v36, s2
	s_add_u32 s18, s18, 1
	s_addc_u32 s19, s19, 0
	s_and_not1_b32 s2, s29, exec_lo
	s_waitcnt vmcnt(0)
	v_cmp_ne_u32_e32 vcc_lo, v37, v38
	s_and_b32 s29, vcc_lo, exec_lo
	s_delay_alu instid0(SALU_CYCLE_1)
	s_or_b32 s29, s2, s29
.LBB1577_124:                           ;   in Loop: Header=BB1577_125 Depth=1
	v_dual_mov_b32 v38, s19 :: v_dual_mov_b32 v37, s18
	s_and_b32 s2, exec_lo, s29
	s_delay_alu instid0(SALU_CYCLE_1) | instskip(NEXT) | instid1(SALU_CYCLE_1)
	s_or_b32 s26, s2, s26
	s_and_not1_b32 exec_lo, exec_lo, s26
	s_cbranch_execz .LBB1577_127
.LBB1577_125:                           ; =>This Inner Loop Header: Depth=1
	s_or_b32 s29, s29, exec_lo
	s_cmp_eq_u64 s[6:7], s[18:19]
	s_cbranch_scc0 .LBB1577_123
; %bb.126:                              ;   in Loop: Header=BB1577_125 Depth=1
	s_mov_b64 s[18:19], s[22:23]
                                        ; implicit-def: $vgpr33_vgpr34
                                        ; implicit-def: $vgpr35_vgpr36
	s_branch .LBB1577_124
.LBB1577_127:
	s_set_inst_prefetch_distance 0x2
	s_or_b32 exec_lo, exec_lo, s26
	v_cmp_gt_i64_e32 vcc_lo, s[22:23], v[37:38]
	s_or_not1_b32 s2, vcc_lo, exec_lo
.LBB1577_128:
	s_or_b32 exec_lo, exec_lo, s25
.LBB1577_129:
	s_delay_alu instid0(SALU_CYCLE_1)
	s_and_b32 s26, s2, exec_lo
.LBB1577_130:
	s_or_b32 exec_lo, exec_lo, s27
	v_or_b32_e32 v33, 6, v55
	s_mov_b32 s25, exec_lo
	s_delay_alu instid0(VALU_DEP_1)
	v_cmpx_gt_u32_e64 s28, v33
	s_cbranch_execz .LBB1577_141
; %bb.131:
	v_cmp_ne_u32_e32 vcc_lo, 1, v41
	s_mov_b32 s2, 0
	s_cbranch_vccnz .LBB1577_140
; %bb.132:
	v_mul_lo_u32 v37, v24, s22
	v_mul_lo_u32 v38, v23, s23
	v_mad_u64_u32 v[33:34], null, v23, s22, 0
	v_mul_lo_u32 v39, v18, s22
	v_mul_lo_u32 v40, v17, s23
	s_waitcnt lgkmcnt(0)
	v_mad_u64_u32 v[35:36], null, v17, s22, 0
	s_mov_b32 s2, -1
	s_mov_b32 s3, exec_lo
	s_delay_alu instid0(VALU_DEP_4) | instskip(NEXT) | instid1(VALU_DEP_2)
	v_add3_u32 v34, v34, v38, v37
	v_add3_u32 v36, v36, v40, v39
	s_delay_alu instid0(VALU_DEP_2) | instskip(NEXT) | instid1(VALU_DEP_2)
	v_lshlrev_b64 v[33:34], 2, v[33:34]
	v_lshlrev_b64 v[37:38], 2, v[35:36]
	s_delay_alu instid0(VALU_DEP_2) | instskip(NEXT) | instid1(VALU_DEP_3)
	v_add_co_u32 v35, vcc_lo, s8, v33
	v_add_co_ci_u32_e32 v36, vcc_lo, s9, v34, vcc_lo
	s_delay_alu instid0(VALU_DEP_3) | instskip(NEXT) | instid1(VALU_DEP_4)
	v_add_co_u32 v33, vcc_lo, s8, v37
	v_add_co_ci_u32_e32 v34, vcc_lo, s9, v38, vcc_lo
	s_clause 0x1
	global_load_b32 v37, v[35:36], off
	global_load_b32 v38, v[33:34], off
	s_waitcnt vmcnt(0)
	v_cmpx_eq_u32_e64 v37, v38
	s_cbranch_execz .LBB1577_139
; %bb.133:
	v_add_co_u32 v33, vcc_lo, v33, 4
	v_add_co_ci_u32_e32 v34, vcc_lo, 0, v34, vcc_lo
	v_add_co_u32 v35, vcc_lo, v35, 4
	v_add_co_ci_u32_e32 v36, vcc_lo, 0, v36, vcc_lo
	s_add_u32 s6, s22, -1
	s_addc_u32 s7, s23, -1
	s_mov_b64 s[18:19], 0
	s_mov_b32 s27, 0
                                        ; implicit-def: $sgpr29
	s_set_inst_prefetch_distance 0x1
	s_branch .LBB1577_136
	.p2align	6
.LBB1577_134:                           ;   in Loop: Header=BB1577_136 Depth=1
	global_load_b32 v37, v[35:36], off
	global_load_b32 v38, v[33:34], off
	v_add_co_u32 v33, vcc_lo, v33, 4
	v_add_co_ci_u32_e32 v34, vcc_lo, 0, v34, vcc_lo
	v_add_co_u32 v35, s2, v35, 4
	s_delay_alu instid0(VALU_DEP_1)
	v_add_co_ci_u32_e64 v36, s2, 0, v36, s2
	s_add_u32 s18, s18, 1
	s_addc_u32 s19, s19, 0
	s_and_not1_b32 s2, s29, exec_lo
	s_waitcnt vmcnt(0)
	v_cmp_ne_u32_e32 vcc_lo, v37, v38
	s_and_b32 s29, vcc_lo, exec_lo
	s_delay_alu instid0(SALU_CYCLE_1)
	s_or_b32 s29, s2, s29
.LBB1577_135:                           ;   in Loop: Header=BB1577_136 Depth=1
	v_dual_mov_b32 v38, s19 :: v_dual_mov_b32 v37, s18
	s_and_b32 s2, exec_lo, s29
	s_delay_alu instid0(SALU_CYCLE_1) | instskip(NEXT) | instid1(SALU_CYCLE_1)
	s_or_b32 s27, s2, s27
	s_and_not1_b32 exec_lo, exec_lo, s27
	s_cbranch_execz .LBB1577_138
.LBB1577_136:                           ; =>This Inner Loop Header: Depth=1
	s_or_b32 s29, s29, exec_lo
	s_cmp_eq_u64 s[6:7], s[18:19]
	s_cbranch_scc0 .LBB1577_134
; %bb.137:                              ;   in Loop: Header=BB1577_136 Depth=1
	s_mov_b64 s[18:19], s[22:23]
                                        ; implicit-def: $vgpr33_vgpr34
                                        ; implicit-def: $vgpr35_vgpr36
	s_branch .LBB1577_135
.LBB1577_138:
	s_set_inst_prefetch_distance 0x2
	s_or_b32 exec_lo, exec_lo, s27
	v_cmp_gt_i64_e32 vcc_lo, s[22:23], v[37:38]
	s_or_not1_b32 s2, vcc_lo, exec_lo
.LBB1577_139:
	s_or_b32 exec_lo, exec_lo, s3
.LBB1577_140:
	s_delay_alu instid0(SALU_CYCLE_1)
	s_and_b32 s3, s2, exec_lo
.LBB1577_141:
	s_or_b32 exec_lo, exec_lo, s25
	v_or_b32_e32 v33, 5, v55
	s_mov_b32 s27, 0
	s_mov_b32 s25, 0
	s_mov_b32 s29, exec_lo
	s_delay_alu instid0(VALU_DEP_1)
	v_cmpx_gt_u32_e64 s28, v33
	s_cbranch_execz .LBB1577_152
; %bb.142:
	v_cmp_ne_u32_e32 vcc_lo, 1, v41
	s_mov_b32 s2, 0
	s_cbranch_vccnz .LBB1577_151
; %bb.143:
	v_mul_lo_u32 v37, v22, s22
	v_mul_lo_u32 v38, v21, s23
	v_mad_u64_u32 v[33:34], null, v21, s22, 0
	v_mul_lo_u32 v39, v24, s22
	v_mul_lo_u32 v40, v23, s23
	s_waitcnt lgkmcnt(0)
	v_mad_u64_u32 v[35:36], null, v23, s22, 0
	s_mov_b32 s2, -1
	s_mov_b32 s25, exec_lo
	s_delay_alu instid0(VALU_DEP_4) | instskip(NEXT) | instid1(VALU_DEP_2)
	v_add3_u32 v34, v34, v38, v37
	v_add3_u32 v36, v36, v40, v39
	s_delay_alu instid0(VALU_DEP_2) | instskip(NEXT) | instid1(VALU_DEP_2)
	v_lshlrev_b64 v[33:34], 2, v[33:34]
	v_lshlrev_b64 v[37:38], 2, v[35:36]
	s_delay_alu instid0(VALU_DEP_2) | instskip(NEXT) | instid1(VALU_DEP_3)
	v_add_co_u32 v35, vcc_lo, s8, v33
	v_add_co_ci_u32_e32 v36, vcc_lo, s9, v34, vcc_lo
	s_delay_alu instid0(VALU_DEP_3) | instskip(NEXT) | instid1(VALU_DEP_4)
	v_add_co_u32 v33, vcc_lo, s8, v37
	v_add_co_ci_u32_e32 v34, vcc_lo, s9, v38, vcc_lo
	s_clause 0x1
	global_load_b32 v37, v[35:36], off
	global_load_b32 v38, v[33:34], off
	s_waitcnt vmcnt(0)
	v_cmpx_eq_u32_e64 v37, v38
	s_cbranch_execz .LBB1577_150
; %bb.144:
	v_add_co_u32 v33, vcc_lo, v33, 4
	v_add_co_ci_u32_e32 v34, vcc_lo, 0, v34, vcc_lo
	v_add_co_u32 v35, vcc_lo, v35, 4
	v_add_co_ci_u32_e32 v36, vcc_lo, 0, v36, vcc_lo
	s_add_u32 s6, s22, -1
	s_addc_u32 s7, s23, -1
	s_mov_b64 s[18:19], 0
	s_mov_b32 s30, 0
                                        ; implicit-def: $sgpr31
	s_set_inst_prefetch_distance 0x1
	s_branch .LBB1577_147
	.p2align	6
.LBB1577_145:                           ;   in Loop: Header=BB1577_147 Depth=1
	global_load_b32 v37, v[35:36], off
	global_load_b32 v38, v[33:34], off
	v_add_co_u32 v33, vcc_lo, v33, 4
	v_add_co_ci_u32_e32 v34, vcc_lo, 0, v34, vcc_lo
	v_add_co_u32 v35, s2, v35, 4
	s_delay_alu instid0(VALU_DEP_1)
	v_add_co_ci_u32_e64 v36, s2, 0, v36, s2
	s_add_u32 s18, s18, 1
	s_addc_u32 s19, s19, 0
	s_and_not1_b32 s2, s31, exec_lo
	s_waitcnt vmcnt(0)
	v_cmp_ne_u32_e32 vcc_lo, v37, v38
	s_and_b32 s31, vcc_lo, exec_lo
	s_delay_alu instid0(SALU_CYCLE_1)
	s_or_b32 s31, s2, s31
.LBB1577_146:                           ;   in Loop: Header=BB1577_147 Depth=1
	v_dual_mov_b32 v38, s19 :: v_dual_mov_b32 v37, s18
	s_and_b32 s2, exec_lo, s31
	s_delay_alu instid0(SALU_CYCLE_1) | instskip(NEXT) | instid1(SALU_CYCLE_1)
	s_or_b32 s30, s2, s30
	s_and_not1_b32 exec_lo, exec_lo, s30
	s_cbranch_execz .LBB1577_149
.LBB1577_147:                           ; =>This Inner Loop Header: Depth=1
	s_or_b32 s31, s31, exec_lo
	s_cmp_eq_u64 s[6:7], s[18:19]
	s_cbranch_scc0 .LBB1577_145
; %bb.148:                              ;   in Loop: Header=BB1577_147 Depth=1
	s_mov_b64 s[18:19], s[22:23]
                                        ; implicit-def: $vgpr33_vgpr34
                                        ; implicit-def: $vgpr35_vgpr36
	s_branch .LBB1577_146
.LBB1577_149:
	s_set_inst_prefetch_distance 0x2
	s_or_b32 exec_lo, exec_lo, s30
	v_cmp_gt_i64_e32 vcc_lo, s[22:23], v[37:38]
	s_or_not1_b32 s2, vcc_lo, exec_lo
.LBB1577_150:
	s_or_b32 exec_lo, exec_lo, s25
.LBB1577_151:
	s_delay_alu instid0(SALU_CYCLE_1)
	s_and_b32 s25, s2, exec_lo
.LBB1577_152:
	s_or_b32 exec_lo, exec_lo, s29
	v_or_b32_e32 v33, 4, v55
	s_mov_b32 s29, exec_lo
	s_delay_alu instid0(VALU_DEP_1)
	v_cmpx_gt_u32_e64 s28, v33
	s_cbranch_execz .LBB1577_163
; %bb.153:
	v_cmp_ne_u32_e32 vcc_lo, 1, v41
	s_mov_b32 s2, 0
	s_cbranch_vccnz .LBB1577_162
; %bb.154:
	v_mul_lo_u32 v37, v28, s22
	v_mul_lo_u32 v38, v27, s23
	v_mad_u64_u32 v[33:34], null, v27, s22, 0
	v_mul_lo_u32 v39, v22, s22
	v_mul_lo_u32 v40, v21, s23
	s_waitcnt lgkmcnt(0)
	v_mad_u64_u32 v[35:36], null, v21, s22, 0
	s_mov_b32 s2, -1
	s_mov_b32 s27, exec_lo
	s_delay_alu instid0(VALU_DEP_4) | instskip(NEXT) | instid1(VALU_DEP_2)
	v_add3_u32 v34, v34, v38, v37
	v_add3_u32 v36, v36, v40, v39
	s_delay_alu instid0(VALU_DEP_2) | instskip(NEXT) | instid1(VALU_DEP_2)
	v_lshlrev_b64 v[33:34], 2, v[33:34]
	v_lshlrev_b64 v[37:38], 2, v[35:36]
	s_delay_alu instid0(VALU_DEP_2) | instskip(NEXT) | instid1(VALU_DEP_3)
	v_add_co_u32 v35, vcc_lo, s8, v33
	v_add_co_ci_u32_e32 v36, vcc_lo, s9, v34, vcc_lo
	s_delay_alu instid0(VALU_DEP_3) | instskip(NEXT) | instid1(VALU_DEP_4)
	v_add_co_u32 v33, vcc_lo, s8, v37
	v_add_co_ci_u32_e32 v34, vcc_lo, s9, v38, vcc_lo
	s_clause 0x1
	global_load_b32 v37, v[35:36], off
	global_load_b32 v38, v[33:34], off
	s_waitcnt vmcnt(0)
	v_cmpx_eq_u32_e64 v37, v38
	s_cbranch_execz .LBB1577_161
; %bb.155:
	v_add_co_u32 v33, vcc_lo, v33, 4
	v_add_co_ci_u32_e32 v34, vcc_lo, 0, v34, vcc_lo
	v_add_co_u32 v35, vcc_lo, v35, 4
	v_add_co_ci_u32_e32 v36, vcc_lo, 0, v36, vcc_lo
	s_add_u32 s6, s22, -1
	s_addc_u32 s7, s23, -1
	s_mov_b64 s[18:19], 0
	s_mov_b32 s30, 0
                                        ; implicit-def: $sgpr31
	s_set_inst_prefetch_distance 0x1
	s_branch .LBB1577_158
	.p2align	6
.LBB1577_156:                           ;   in Loop: Header=BB1577_158 Depth=1
	global_load_b32 v37, v[35:36], off
	global_load_b32 v38, v[33:34], off
	v_add_co_u32 v33, vcc_lo, v33, 4
	v_add_co_ci_u32_e32 v34, vcc_lo, 0, v34, vcc_lo
	v_add_co_u32 v35, s2, v35, 4
	s_delay_alu instid0(VALU_DEP_1)
	v_add_co_ci_u32_e64 v36, s2, 0, v36, s2
	s_add_u32 s18, s18, 1
	s_addc_u32 s19, s19, 0
	s_and_not1_b32 s2, s31, exec_lo
	s_waitcnt vmcnt(0)
	v_cmp_ne_u32_e32 vcc_lo, v37, v38
	s_and_b32 s31, vcc_lo, exec_lo
	s_delay_alu instid0(SALU_CYCLE_1)
	s_or_b32 s31, s2, s31
.LBB1577_157:                           ;   in Loop: Header=BB1577_158 Depth=1
	v_dual_mov_b32 v38, s19 :: v_dual_mov_b32 v37, s18
	s_and_b32 s2, exec_lo, s31
	s_delay_alu instid0(SALU_CYCLE_1) | instskip(NEXT) | instid1(SALU_CYCLE_1)
	s_or_b32 s30, s2, s30
	s_and_not1_b32 exec_lo, exec_lo, s30
	s_cbranch_execz .LBB1577_160
.LBB1577_158:                           ; =>This Inner Loop Header: Depth=1
	s_or_b32 s31, s31, exec_lo
	s_cmp_eq_u64 s[6:7], s[18:19]
	s_cbranch_scc0 .LBB1577_156
; %bb.159:                              ;   in Loop: Header=BB1577_158 Depth=1
	s_mov_b64 s[18:19], s[22:23]
                                        ; implicit-def: $vgpr33_vgpr34
                                        ; implicit-def: $vgpr35_vgpr36
	s_branch .LBB1577_157
.LBB1577_160:
	s_set_inst_prefetch_distance 0x2
	s_or_b32 exec_lo, exec_lo, s30
	v_cmp_gt_i64_e32 vcc_lo, s[22:23], v[37:38]
	s_or_not1_b32 s2, vcc_lo, exec_lo
.LBB1577_161:
	s_or_b32 exec_lo, exec_lo, s27
.LBB1577_162:
	s_delay_alu instid0(SALU_CYCLE_1)
	s_and_b32 s27, s2, exec_lo
.LBB1577_163:
	s_or_b32 exec_lo, exec_lo, s29
	v_or_b32_e32 v33, 3, v55
	s_mov_b32 s30, 0
	s_mov_b32 s29, 0
	s_mov_b32 s31, exec_lo
	s_delay_alu instid0(VALU_DEP_1)
	v_cmpx_gt_u32_e64 s28, v33
	s_cbranch_execz .LBB1577_174
; %bb.164:
	v_cmp_ne_u32_e32 vcc_lo, 1, v41
	s_mov_b32 s2, 0
	s_cbranch_vccnz .LBB1577_173
; %bb.165:
	v_mul_lo_u32 v37, v26, s22
	v_mul_lo_u32 v38, v25, s23
	v_mad_u64_u32 v[33:34], null, v25, s22, 0
	v_mul_lo_u32 v39, v28, s22
	v_mul_lo_u32 v40, v27, s23
	s_waitcnt lgkmcnt(0)
	v_mad_u64_u32 v[35:36], null, v27, s22, 0
	s_mov_b32 s2, -1
	s_mov_b32 s29, exec_lo
	s_delay_alu instid0(VALU_DEP_4) | instskip(NEXT) | instid1(VALU_DEP_2)
	v_add3_u32 v34, v34, v38, v37
	v_add3_u32 v36, v36, v40, v39
	s_delay_alu instid0(VALU_DEP_2) | instskip(NEXT) | instid1(VALU_DEP_2)
	v_lshlrev_b64 v[33:34], 2, v[33:34]
	v_lshlrev_b64 v[37:38], 2, v[35:36]
	s_delay_alu instid0(VALU_DEP_2) | instskip(NEXT) | instid1(VALU_DEP_3)
	v_add_co_u32 v35, vcc_lo, s8, v33
	v_add_co_ci_u32_e32 v36, vcc_lo, s9, v34, vcc_lo
	s_delay_alu instid0(VALU_DEP_3) | instskip(NEXT) | instid1(VALU_DEP_4)
	v_add_co_u32 v33, vcc_lo, s8, v37
	v_add_co_ci_u32_e32 v34, vcc_lo, s9, v38, vcc_lo
	s_clause 0x1
	global_load_b32 v37, v[35:36], off
	global_load_b32 v38, v[33:34], off
	s_waitcnt vmcnt(0)
	v_cmpx_eq_u32_e64 v37, v38
	s_cbranch_execz .LBB1577_172
; %bb.166:
	v_add_co_u32 v33, vcc_lo, v33, 4
	v_add_co_ci_u32_e32 v34, vcc_lo, 0, v34, vcc_lo
	v_add_co_u32 v35, vcc_lo, v35, 4
	v_add_co_ci_u32_e32 v36, vcc_lo, 0, v36, vcc_lo
	s_add_u32 s6, s22, -1
	s_addc_u32 s7, s23, -1
	s_mov_b64 s[18:19], 0
	s_mov_b32 s33, 0
                                        ; implicit-def: $sgpr34
	s_set_inst_prefetch_distance 0x1
	s_branch .LBB1577_169
	.p2align	6
.LBB1577_167:                           ;   in Loop: Header=BB1577_169 Depth=1
	global_load_b32 v37, v[35:36], off
	global_load_b32 v38, v[33:34], off
	v_add_co_u32 v33, vcc_lo, v33, 4
	v_add_co_ci_u32_e32 v34, vcc_lo, 0, v34, vcc_lo
	v_add_co_u32 v35, s2, v35, 4
	s_delay_alu instid0(VALU_DEP_1)
	v_add_co_ci_u32_e64 v36, s2, 0, v36, s2
	s_add_u32 s18, s18, 1
	s_addc_u32 s19, s19, 0
	s_and_not1_b32 s2, s34, exec_lo
	s_waitcnt vmcnt(0)
	v_cmp_ne_u32_e32 vcc_lo, v37, v38
	s_and_b32 s34, vcc_lo, exec_lo
	s_delay_alu instid0(SALU_CYCLE_1)
	s_or_b32 s34, s2, s34
.LBB1577_168:                           ;   in Loop: Header=BB1577_169 Depth=1
	v_dual_mov_b32 v38, s19 :: v_dual_mov_b32 v37, s18
	s_and_b32 s2, exec_lo, s34
	s_delay_alu instid0(SALU_CYCLE_1) | instskip(NEXT) | instid1(SALU_CYCLE_1)
	s_or_b32 s33, s2, s33
	s_and_not1_b32 exec_lo, exec_lo, s33
	s_cbranch_execz .LBB1577_171
.LBB1577_169:                           ; =>This Inner Loop Header: Depth=1
	s_or_b32 s34, s34, exec_lo
	s_cmp_eq_u64 s[6:7], s[18:19]
	s_cbranch_scc0 .LBB1577_167
; %bb.170:                              ;   in Loop: Header=BB1577_169 Depth=1
	s_mov_b64 s[18:19], s[22:23]
                                        ; implicit-def: $vgpr33_vgpr34
                                        ; implicit-def: $vgpr35_vgpr36
	s_branch .LBB1577_168
.LBB1577_171:
	s_set_inst_prefetch_distance 0x2
	s_or_b32 exec_lo, exec_lo, s33
	v_cmp_gt_i64_e32 vcc_lo, s[22:23], v[37:38]
	s_or_not1_b32 s2, vcc_lo, exec_lo
.LBB1577_172:
	s_or_b32 exec_lo, exec_lo, s29
.LBB1577_173:
	s_delay_alu instid0(SALU_CYCLE_1)
	s_and_b32 s29, s2, exec_lo
.LBB1577_174:
	s_or_b32 exec_lo, exec_lo, s31
	v_or_b32_e32 v33, 2, v55
	s_mov_b32 s31, exec_lo
	s_delay_alu instid0(VALU_DEP_1)
	v_cmpx_gt_u32_e64 s28, v33
	s_cbranch_execz .LBB1577_185
; %bb.175:
	v_cmp_ne_u32_e32 vcc_lo, 1, v41
	s_mov_b32 s2, 0
	s_cbranch_vccnz .LBB1577_184
; %bb.176:
	v_mul_lo_u32 v37, v32, s22
	v_mul_lo_u32 v38, v31, s23
	v_mad_u64_u32 v[33:34], null, v31, s22, 0
	v_mul_lo_u32 v39, v26, s22
	v_mul_lo_u32 v40, v25, s23
	s_waitcnt lgkmcnt(0)
	v_mad_u64_u32 v[35:36], null, v25, s22, 0
	s_mov_b32 s2, -1
	s_mov_b32 s30, exec_lo
	s_delay_alu instid0(VALU_DEP_4) | instskip(NEXT) | instid1(VALU_DEP_2)
	v_add3_u32 v34, v34, v38, v37
	v_add3_u32 v36, v36, v40, v39
	s_delay_alu instid0(VALU_DEP_2) | instskip(NEXT) | instid1(VALU_DEP_2)
	v_lshlrev_b64 v[33:34], 2, v[33:34]
	v_lshlrev_b64 v[37:38], 2, v[35:36]
	s_delay_alu instid0(VALU_DEP_2) | instskip(NEXT) | instid1(VALU_DEP_3)
	v_add_co_u32 v35, vcc_lo, s8, v33
	v_add_co_ci_u32_e32 v36, vcc_lo, s9, v34, vcc_lo
	s_delay_alu instid0(VALU_DEP_3) | instskip(NEXT) | instid1(VALU_DEP_4)
	v_add_co_u32 v33, vcc_lo, s8, v37
	v_add_co_ci_u32_e32 v34, vcc_lo, s9, v38, vcc_lo
	s_clause 0x1
	global_load_b32 v37, v[35:36], off
	global_load_b32 v38, v[33:34], off
	s_waitcnt vmcnt(0)
	v_cmpx_eq_u32_e64 v37, v38
	s_cbranch_execz .LBB1577_183
; %bb.177:
	v_add_co_u32 v33, vcc_lo, v33, 4
	v_add_co_ci_u32_e32 v34, vcc_lo, 0, v34, vcc_lo
	v_add_co_u32 v35, vcc_lo, v35, 4
	v_add_co_ci_u32_e32 v36, vcc_lo, 0, v36, vcc_lo
	s_add_u32 s6, s22, -1
	s_addc_u32 s7, s23, -1
	s_mov_b64 s[18:19], 0
	s_mov_b32 s33, 0
                                        ; implicit-def: $sgpr34
	s_set_inst_prefetch_distance 0x1
	s_branch .LBB1577_180
	.p2align	6
.LBB1577_178:                           ;   in Loop: Header=BB1577_180 Depth=1
	global_load_b32 v37, v[35:36], off
	global_load_b32 v38, v[33:34], off
	v_add_co_u32 v33, vcc_lo, v33, 4
	v_add_co_ci_u32_e32 v34, vcc_lo, 0, v34, vcc_lo
	v_add_co_u32 v35, s2, v35, 4
	s_delay_alu instid0(VALU_DEP_1)
	v_add_co_ci_u32_e64 v36, s2, 0, v36, s2
	s_add_u32 s18, s18, 1
	s_addc_u32 s19, s19, 0
	s_and_not1_b32 s2, s34, exec_lo
	s_waitcnt vmcnt(0)
	v_cmp_ne_u32_e32 vcc_lo, v37, v38
	s_and_b32 s34, vcc_lo, exec_lo
	s_delay_alu instid0(SALU_CYCLE_1)
	s_or_b32 s34, s2, s34
.LBB1577_179:                           ;   in Loop: Header=BB1577_180 Depth=1
	v_dual_mov_b32 v38, s19 :: v_dual_mov_b32 v37, s18
	s_and_b32 s2, exec_lo, s34
	s_delay_alu instid0(SALU_CYCLE_1) | instskip(NEXT) | instid1(SALU_CYCLE_1)
	s_or_b32 s33, s2, s33
	s_and_not1_b32 exec_lo, exec_lo, s33
	s_cbranch_execz .LBB1577_182
.LBB1577_180:                           ; =>This Inner Loop Header: Depth=1
	s_or_b32 s34, s34, exec_lo
	s_cmp_eq_u64 s[6:7], s[18:19]
	s_cbranch_scc0 .LBB1577_178
; %bb.181:                              ;   in Loop: Header=BB1577_180 Depth=1
	s_mov_b64 s[18:19], s[22:23]
                                        ; implicit-def: $vgpr33_vgpr34
                                        ; implicit-def: $vgpr35_vgpr36
	s_branch .LBB1577_179
.LBB1577_182:
	s_set_inst_prefetch_distance 0x2
	s_or_b32 exec_lo, exec_lo, s33
	v_cmp_gt_i64_e32 vcc_lo, s[22:23], v[37:38]
	s_or_not1_b32 s2, vcc_lo, exec_lo
.LBB1577_183:
	s_or_b32 exec_lo, exec_lo, s30
.LBB1577_184:
	s_delay_alu instid0(SALU_CYCLE_1)
	s_and_b32 s30, s2, exec_lo
.LBB1577_185:
	s_or_b32 exec_lo, exec_lo, s31
	v_or_b32_e32 v33, 1, v55
	s_mov_b32 s2, 0
	s_mov_b32 s31, exec_lo
	s_delay_alu instid0(VALU_DEP_1)
	v_cmpx_gt_u32_e64 s28, v33
	s_cbranch_execz .LBB1577_196
; %bb.186:
	v_cmp_ne_u32_e32 vcc_lo, 1, v41
	s_cbranch_vccnz .LBB1577_195
; %bb.187:
	v_mul_lo_u32 v37, v30, s22
	v_mul_lo_u32 v38, v29, s23
	v_mad_u64_u32 v[33:34], null, v29, s22, 0
	v_mul_lo_u32 v39, v32, s22
	v_mul_lo_u32 v40, v31, s23
	s_waitcnt lgkmcnt(0)
	v_mad_u64_u32 v[35:36], null, v31, s22, 0
	s_mov_b32 s2, -1
	s_mov_b32 s33, exec_lo
	s_delay_alu instid0(VALU_DEP_4) | instskip(NEXT) | instid1(VALU_DEP_2)
	v_add3_u32 v34, v34, v38, v37
	v_add3_u32 v36, v36, v40, v39
	s_delay_alu instid0(VALU_DEP_2) | instskip(NEXT) | instid1(VALU_DEP_2)
	v_lshlrev_b64 v[33:34], 2, v[33:34]
	v_lshlrev_b64 v[37:38], 2, v[35:36]
	s_delay_alu instid0(VALU_DEP_2) | instskip(NEXT) | instid1(VALU_DEP_3)
	v_add_co_u32 v35, vcc_lo, s8, v33
	v_add_co_ci_u32_e32 v36, vcc_lo, s9, v34, vcc_lo
	s_delay_alu instid0(VALU_DEP_3) | instskip(NEXT) | instid1(VALU_DEP_4)
	v_add_co_u32 v33, vcc_lo, s8, v37
	v_add_co_ci_u32_e32 v34, vcc_lo, s9, v38, vcc_lo
	s_clause 0x1
	global_load_b32 v37, v[35:36], off
	global_load_b32 v38, v[33:34], off
	s_waitcnt vmcnt(0)
	v_cmpx_eq_u32_e64 v37, v38
	s_cbranch_execz .LBB1577_194
; %bb.188:
	v_add_co_u32 v33, vcc_lo, v33, 4
	v_add_co_ci_u32_e32 v34, vcc_lo, 0, v34, vcc_lo
	v_add_co_u32 v35, vcc_lo, v35, 4
	v_add_co_ci_u32_e32 v36, vcc_lo, 0, v36, vcc_lo
	s_add_u32 s6, s22, -1
	s_addc_u32 s7, s23, -1
	s_mov_b64 s[18:19], 0
	s_mov_b32 s34, 0
                                        ; implicit-def: $sgpr35
	s_set_inst_prefetch_distance 0x1
	s_branch .LBB1577_191
	.p2align	6
.LBB1577_189:                           ;   in Loop: Header=BB1577_191 Depth=1
	global_load_b32 v37, v[35:36], off
	global_load_b32 v38, v[33:34], off
	v_add_co_u32 v33, vcc_lo, v33, 4
	v_add_co_ci_u32_e32 v34, vcc_lo, 0, v34, vcc_lo
	v_add_co_u32 v35, s2, v35, 4
	s_delay_alu instid0(VALU_DEP_1)
	v_add_co_ci_u32_e64 v36, s2, 0, v36, s2
	s_add_u32 s18, s18, 1
	s_addc_u32 s19, s19, 0
	s_and_not1_b32 s2, s35, exec_lo
	s_waitcnt vmcnt(0)
	v_cmp_ne_u32_e32 vcc_lo, v37, v38
	s_and_b32 s35, vcc_lo, exec_lo
	s_delay_alu instid0(SALU_CYCLE_1)
	s_or_b32 s35, s2, s35
.LBB1577_190:                           ;   in Loop: Header=BB1577_191 Depth=1
	v_dual_mov_b32 v38, s19 :: v_dual_mov_b32 v37, s18
	s_and_b32 s2, exec_lo, s35
	s_delay_alu instid0(SALU_CYCLE_1) | instskip(NEXT) | instid1(SALU_CYCLE_1)
	s_or_b32 s34, s2, s34
	s_and_not1_b32 exec_lo, exec_lo, s34
	s_cbranch_execz .LBB1577_193
.LBB1577_191:                           ; =>This Inner Loop Header: Depth=1
	s_or_b32 s35, s35, exec_lo
	s_cmp_eq_u64 s[6:7], s[18:19]
	s_cbranch_scc0 .LBB1577_189
; %bb.192:                              ;   in Loop: Header=BB1577_191 Depth=1
	s_mov_b64 s[18:19], s[22:23]
                                        ; implicit-def: $vgpr33_vgpr34
                                        ; implicit-def: $vgpr35_vgpr36
	s_branch .LBB1577_190
.LBB1577_193:
	s_set_inst_prefetch_distance 0x2
	s_or_b32 exec_lo, exec_lo, s34
	v_cmp_gt_i64_e32 vcc_lo, s[22:23], v[37:38]
	s_or_not1_b32 s2, vcc_lo, exec_lo
.LBB1577_194:
	s_or_b32 exec_lo, exec_lo, s33
.LBB1577_195:
	s_delay_alu instid0(SALU_CYCLE_1)
	s_and_b32 s2, s2, exec_lo
.LBB1577_196:
	s_or_b32 exec_lo, exec_lo, s31
	s_waitcnt lgkmcnt(0)
	v_dual_mov_b32 v34, s5 :: v_dual_mov_b32 v33, s4
	s_mov_b32 s4, exec_lo
	s_barrier
	buffer_gl0_inv
	v_cmpx_ne_u32_e32 0, v0
	s_cbranch_execz .LBB1577_198
; %bb.197:
	v_add_nc_u32_e32 v33, -8, v55
	ds_load_b64 v[33:34], v33
.LBB1577_198:
	s_or_b32 exec_lo, exec_lo, s4
	v_cndmask_b32_e64 v36, 0, 1, s29
	v_cndmask_b32_e64 v38, 0, 1, s25
	;; [unrolled: 1-line block ×7, first 2 shown]
	v_lshlrev_b16 v36, 8, v36
	v_lshlrev_b16 v38, 8, v38
	v_lshlrev_b16 v39, 8, v39
	s_mov_b32 s2, 0
	v_lshlrev_b16 v42, 8, v42
	v_or_b32_e32 v35, v35, v36
	v_or_b32_e32 v36, v37, v38
	;; [unrolled: 1-line block ×3, first 2 shown]
	s_mov_b32 s3, exec_lo
	v_and_b32_e32 v39, 0xffff, v42
	v_lshlrev_b32_e32 v40, 16, v35
	v_and_b32_e32 v42, 0xffff, v36
	v_lshlrev_b32_e32 v43, 16, v37
	v_cmpx_gt_u32_e64 s28, v55
	s_cbranch_execz .LBB1577_209
; %bb.199:
	v_cmp_ne_u32_e32 vcc_lo, 1, v41
	s_cbranch_vccnz .LBB1577_208
; %bb.200:
	s_waitcnt lgkmcnt(0)
	v_mul_lo_u32 v38, v34, s22
	v_mul_lo_u32 v41, v33, s23
	v_mad_u64_u32 v[34:35], null, v33, s22, 0
	v_mul_lo_u32 v33, v30, s22
	v_mul_lo_u32 v44, v29, s23
	v_mad_u64_u32 v[36:37], null, v29, s22, 0
	s_mov_b32 s2, -1
	s_mov_b32 s18, exec_lo
	s_delay_alu instid0(VALU_DEP_4) | instskip(NEXT) | instid1(VALU_DEP_2)
	v_add3_u32 v35, v35, v41, v38
	v_add3_u32 v37, v37, v44, v33
	s_delay_alu instid0(VALU_DEP_2) | instskip(NEXT) | instid1(VALU_DEP_2)
	v_lshlrev_b64 v[33:34], 2, v[34:35]
	v_lshlrev_b64 v[37:38], 2, v[36:37]
	s_delay_alu instid0(VALU_DEP_2) | instskip(NEXT) | instid1(VALU_DEP_3)
	v_add_co_u32 v35, vcc_lo, s8, v33
	v_add_co_ci_u32_e32 v36, vcc_lo, s9, v34, vcc_lo
	s_delay_alu instid0(VALU_DEP_3) | instskip(NEXT) | instid1(VALU_DEP_4)
	v_add_co_u32 v33, vcc_lo, s8, v37
	v_add_co_ci_u32_e32 v34, vcc_lo, s9, v38, vcc_lo
	s_clause 0x1
	global_load_b32 v37, v[35:36], off
	global_load_b32 v38, v[33:34], off
	s_waitcnt vmcnt(0)
	v_cmpx_eq_u32_e64 v37, v38
	s_cbranch_execz .LBB1577_207
; %bb.201:
	v_add_co_u32 v33, vcc_lo, v33, 4
	v_add_co_ci_u32_e32 v34, vcc_lo, 0, v34, vcc_lo
	v_add_co_u32 v35, vcc_lo, v35, 4
	v_add_co_ci_u32_e32 v36, vcc_lo, 0, v36, vcc_lo
	s_add_u32 s4, s22, -1
	s_addc_u32 s5, s23, -1
	s_mov_b64 s[6:7], 0
	s_mov_b32 s19, 0
                                        ; implicit-def: $sgpr25
	s_set_inst_prefetch_distance 0x1
	s_branch .LBB1577_204
	.p2align	6
.LBB1577_202:                           ;   in Loop: Header=BB1577_204 Depth=1
	global_load_b32 v37, v[35:36], off
	global_load_b32 v38, v[33:34], off
	v_add_co_u32 v33, vcc_lo, v33, 4
	v_add_co_ci_u32_e32 v34, vcc_lo, 0, v34, vcc_lo
	v_add_co_u32 v35, s2, v35, 4
	s_delay_alu instid0(VALU_DEP_1)
	v_add_co_ci_u32_e64 v36, s2, 0, v36, s2
	s_add_u32 s6, s6, 1
	s_addc_u32 s7, s7, 0
	s_and_not1_b32 s2, s25, exec_lo
	s_waitcnt vmcnt(0)
	v_cmp_ne_u32_e32 vcc_lo, v37, v38
	s_and_b32 s25, vcc_lo, exec_lo
	s_delay_alu instid0(SALU_CYCLE_1)
	s_or_b32 s25, s2, s25
.LBB1577_203:                           ;   in Loop: Header=BB1577_204 Depth=1
	v_dual_mov_b32 v38, s7 :: v_dual_mov_b32 v37, s6
	s_and_b32 s2, exec_lo, s25
	s_delay_alu instid0(SALU_CYCLE_1) | instskip(NEXT) | instid1(SALU_CYCLE_1)
	s_or_b32 s19, s2, s19
	s_and_not1_b32 exec_lo, exec_lo, s19
	s_cbranch_execz .LBB1577_206
.LBB1577_204:                           ; =>This Inner Loop Header: Depth=1
	s_or_b32 s25, s25, exec_lo
	s_cmp_eq_u64 s[4:5], s[6:7]
	s_cbranch_scc0 .LBB1577_202
; %bb.205:                              ;   in Loop: Header=BB1577_204 Depth=1
	s_mov_b64 s[6:7], s[22:23]
                                        ; implicit-def: $vgpr33_vgpr34
                                        ; implicit-def: $vgpr35_vgpr36
	s_branch .LBB1577_203
.LBB1577_206:
	s_set_inst_prefetch_distance 0x2
	s_or_b32 exec_lo, exec_lo, s19
	v_cmp_gt_i64_e32 vcc_lo, s[22:23], v[37:38]
	s_or_not1_b32 s2, vcc_lo, exec_lo
.LBB1577_207:
	s_or_b32 exec_lo, exec_lo, s18
.LBB1577_208:
	s_delay_alu instid0(SALU_CYCLE_1)
	s_and_b32 s2, s2, exec_lo
.LBB1577_209:
	s_or_b32 exec_lo, exec_lo, s3
	s_waitcnt lgkmcnt(0)
	v_or_b32_e32 v33, v39, v40
	v_or_b32_e32 v34, v42, v43
.LBB1577_210:
	s_waitcnt lgkmcnt(0)
	s_mov_b32 s3, -1
	s_cbranch_execnz .LBB1577_379
.LBB1577_211:
	v_cmp_gt_i64_e64 s18, s[22:23], 0
	s_and_b32 vcc_lo, exec_lo, s20
	ds_store_b64 v55, v[19:20]
	s_cbranch_vccz .LBB1577_219
; %bb.212:
	v_mul_lo_u32 v35, v18, s22
	v_mul_lo_u32 v36, v17, s23
	v_mad_u64_u32 v[33:34], null, v17, s22, 0
	s_mov_b32 s19, 0
	s_and_not1_b32 vcc_lo, exec_lo, s18
	s_mov_b32 s25, 0
	s_delay_alu instid0(VALU_DEP_1) | instskip(NEXT) | instid1(VALU_DEP_1)
	v_add3_u32 v34, v34, v36, v35
	v_lshlrev_b64 v[33:34], 2, v[33:34]
	s_cbranch_vccnz .LBB1577_222
; %bb.213:
	v_mul_lo_u32 v37, v20, s22
	v_mul_lo_u32 v38, v19, s23
	v_mad_u64_u32 v[35:36], null, v19, s22, 0
	s_mov_b32 s25, -1
	s_mov_b32 s26, exec_lo
	s_delay_alu instid0(VALU_DEP_1) | instskip(SKIP_2) | instid1(VALU_DEP_3)
	v_add3_u32 v36, v36, v38, v37
	v_add_co_u32 v37, vcc_lo, s8, v33
	v_add_co_ci_u32_e32 v38, vcc_lo, s9, v34, vcc_lo
	v_lshlrev_b64 v[35:36], 2, v[35:36]
	s_delay_alu instid0(VALU_DEP_1) | instskip(NEXT) | instid1(VALU_DEP_2)
	v_add_co_u32 v35, vcc_lo, s8, v35
	v_add_co_ci_u32_e32 v36, vcc_lo, s9, v36, vcc_lo
	s_clause 0x1
	global_load_b32 v39, v[37:38], off
	global_load_b32 v40, v[35:36], off
	s_waitcnt vmcnt(0)
	v_cmpx_eq_u32_e64 v39, v40
	s_cbranch_execz .LBB1577_221
; %bb.214:
	v_add_co_u32 v35, vcc_lo, v35, 4
	v_add_co_ci_u32_e32 v36, vcc_lo, 0, v36, vcc_lo
	v_add_co_u32 v37, vcc_lo, v37, 4
	v_add_co_ci_u32_e32 v38, vcc_lo, 0, v38, vcc_lo
	s_add_u32 s4, s22, -1
	s_addc_u32 s5, s23, -1
	s_mov_b64 s[6:7], 0
	s_mov_b32 s25, 0
                                        ; implicit-def: $sgpr27
	s_set_inst_prefetch_distance 0x1
	s_branch .LBB1577_217
	.p2align	6
.LBB1577_215:                           ;   in Loop: Header=BB1577_217 Depth=1
	global_load_b32 v39, v[37:38], off
	global_load_b32 v40, v[35:36], off
	v_add_co_u32 v35, vcc_lo, v35, 4
	v_add_co_ci_u32_e32 v36, vcc_lo, 0, v36, vcc_lo
	v_add_co_u32 v37, s2, v37, 4
	s_delay_alu instid0(VALU_DEP_1)
	v_add_co_ci_u32_e64 v38, s2, 0, v38, s2
	s_add_u32 s6, s6, 1
	s_addc_u32 s7, s7, 0
	s_and_not1_b32 s2, s27, exec_lo
	s_waitcnt vmcnt(0)
	v_cmp_ne_u32_e32 vcc_lo, v39, v40
	s_and_b32 s27, vcc_lo, exec_lo
	s_delay_alu instid0(SALU_CYCLE_1)
	s_or_b32 s27, s2, s27
.LBB1577_216:                           ;   in Loop: Header=BB1577_217 Depth=1
	v_dual_mov_b32 v40, s7 :: v_dual_mov_b32 v39, s6
	s_and_b32 s2, exec_lo, s27
	s_delay_alu instid0(SALU_CYCLE_1) | instskip(NEXT) | instid1(SALU_CYCLE_1)
	s_or_b32 s25, s2, s25
	s_and_not1_b32 exec_lo, exec_lo, s25
	s_cbranch_execz .LBB1577_220
.LBB1577_217:                           ; =>This Inner Loop Header: Depth=1
	s_or_b32 s27, s27, exec_lo
	s_cmp_eq_u64 s[4:5], s[6:7]
	s_cbranch_scc0 .LBB1577_215
; %bb.218:                              ;   in Loop: Header=BB1577_217 Depth=1
	s_mov_b64 s[6:7], s[22:23]
                                        ; implicit-def: $vgpr35_vgpr36
                                        ; implicit-def: $vgpr37_vgpr38
	s_branch .LBB1577_216
.LBB1577_219:
                                        ; implicit-def: $sgpr2
                                        ; implicit-def: $vgpr34
	s_cbranch_execnz .LBB1577_288
	s_branch .LBB1577_379
.LBB1577_220:
	s_set_inst_prefetch_distance 0x2
	s_or_b32 exec_lo, exec_lo, s25
	v_cmp_gt_i64_e32 vcc_lo, s[22:23], v[39:40]
	s_or_not1_b32 s25, vcc_lo, exec_lo
.LBB1577_221:
	s_or_b32 exec_lo, exec_lo, s26
.LBB1577_222:
	v_mul_lo_u32 v37, v24, s22
	v_mul_lo_u32 v38, v23, s23
	v_mad_u64_u32 v[35:36], null, v23, s22, 0
	s_and_not1_b32 vcc_lo, exec_lo, s18
	s_delay_alu instid0(VALU_DEP_1) | instskip(NEXT) | instid1(VALU_DEP_1)
	v_add3_u32 v36, v36, v38, v37
	v_lshlrev_b64 v[35:36], 2, v[35:36]
	s_cbranch_vccnz .LBB1577_231
; %bb.223:
	s_delay_alu instid0(VALU_DEP_1) | instskip(NEXT) | instid1(VALU_DEP_2)
	v_add_co_u32 v37, vcc_lo, s8, v35
	v_add_co_ci_u32_e32 v38, vcc_lo, s9, v36, vcc_lo
	v_add_co_u32 v33, vcc_lo, s8, v33
	v_add_co_ci_u32_e32 v34, vcc_lo, s9, v34, vcc_lo
	s_mov_b32 s19, -1
	s_clause 0x1
	global_load_b32 v39, v[37:38], off
	global_load_b32 v40, v[33:34], off
	s_mov_b32 s26, exec_lo
	s_waitcnt vmcnt(0)
	v_cmpx_eq_u32_e64 v39, v40
	s_cbranch_execz .LBB1577_230
; %bb.224:
	v_add_co_u32 v33, vcc_lo, v33, 4
	v_add_co_ci_u32_e32 v34, vcc_lo, 0, v34, vcc_lo
	v_add_co_u32 v37, vcc_lo, v37, 4
	v_add_co_ci_u32_e32 v38, vcc_lo, 0, v38, vcc_lo
	s_add_u32 s4, s22, -1
	s_addc_u32 s5, s23, -1
	s_mov_b64 s[6:7], 0
	s_mov_b32 s19, 0
                                        ; implicit-def: $sgpr27
	s_set_inst_prefetch_distance 0x1
	s_branch .LBB1577_227
	.p2align	6
.LBB1577_225:                           ;   in Loop: Header=BB1577_227 Depth=1
	global_load_b32 v39, v[37:38], off
	global_load_b32 v40, v[33:34], off
	v_add_co_u32 v33, vcc_lo, v33, 4
	v_add_co_ci_u32_e32 v34, vcc_lo, 0, v34, vcc_lo
	v_add_co_u32 v37, s2, v37, 4
	s_delay_alu instid0(VALU_DEP_1)
	v_add_co_ci_u32_e64 v38, s2, 0, v38, s2
	s_add_u32 s6, s6, 1
	s_addc_u32 s7, s7, 0
	s_and_not1_b32 s2, s27, exec_lo
	s_waitcnt vmcnt(0)
	v_cmp_ne_u32_e32 vcc_lo, v39, v40
	s_and_b32 s27, vcc_lo, exec_lo
	s_delay_alu instid0(SALU_CYCLE_1)
	s_or_b32 s27, s2, s27
.LBB1577_226:                           ;   in Loop: Header=BB1577_227 Depth=1
	v_dual_mov_b32 v40, s7 :: v_dual_mov_b32 v39, s6
	s_and_b32 s2, exec_lo, s27
	s_delay_alu instid0(SALU_CYCLE_1) | instskip(NEXT) | instid1(SALU_CYCLE_1)
	s_or_b32 s19, s2, s19
	s_and_not1_b32 exec_lo, exec_lo, s19
	s_cbranch_execz .LBB1577_229
.LBB1577_227:                           ; =>This Inner Loop Header: Depth=1
	s_or_b32 s27, s27, exec_lo
	s_cmp_eq_u64 s[4:5], s[6:7]
	s_cbranch_scc0 .LBB1577_225
; %bb.228:                              ;   in Loop: Header=BB1577_227 Depth=1
	s_mov_b64 s[6:7], s[22:23]
                                        ; implicit-def: $vgpr33_vgpr34
                                        ; implicit-def: $vgpr37_vgpr38
	s_branch .LBB1577_226
.LBB1577_229:
	s_set_inst_prefetch_distance 0x2
	s_or_b32 exec_lo, exec_lo, s19
	v_cmp_gt_i64_e32 vcc_lo, s[22:23], v[39:40]
	s_or_not1_b32 s19, vcc_lo, exec_lo
.LBB1577_230:
	s_or_b32 exec_lo, exec_lo, s26
.LBB1577_231:
	v_mul_lo_u32 v37, v22, s22
	v_mul_lo_u32 v38, v21, s23
	v_mad_u64_u32 v[33:34], null, v21, s22, 0
	s_mov_b32 s26, 0
	s_and_not1_b32 vcc_lo, exec_lo, s18
	s_mov_b32 s27, 0
	s_delay_alu instid0(VALU_DEP_1) | instskip(NEXT) | instid1(VALU_DEP_1)
	v_add3_u32 v34, v34, v38, v37
	v_lshlrev_b64 v[37:38], 2, v[33:34]
	s_cbranch_vccnz .LBB1577_240
; %bb.232:
	s_delay_alu instid0(VALU_DEP_1) | instskip(NEXT) | instid1(VALU_DEP_2)
	v_add_co_u32 v39, vcc_lo, s8, v37
	v_add_co_ci_u32_e32 v40, vcc_lo, s9, v38, vcc_lo
	v_add_co_u32 v33, vcc_lo, s8, v35
	v_add_co_ci_u32_e32 v34, vcc_lo, s9, v36, vcc_lo
	s_mov_b32 s27, -1
	s_clause 0x1
	global_load_b32 v35, v[39:40], off
	global_load_b32 v36, v[33:34], off
	s_mov_b32 s29, exec_lo
	s_waitcnt vmcnt(0)
	v_cmpx_eq_u32_e64 v35, v36
	s_cbranch_execz .LBB1577_239
; %bb.233:
	v_add_co_u32 v33, vcc_lo, v33, 4
	v_add_co_ci_u32_e32 v34, vcc_lo, 0, v34, vcc_lo
	v_add_co_u32 v35, vcc_lo, v39, 4
	v_add_co_ci_u32_e32 v36, vcc_lo, 0, v40, vcc_lo
	s_add_u32 s4, s22, -1
	s_addc_u32 s5, s23, -1
	s_mov_b64 s[6:7], 0
	s_mov_b32 s27, 0
                                        ; implicit-def: $sgpr30
	s_set_inst_prefetch_distance 0x1
	s_branch .LBB1577_236
	.p2align	6
.LBB1577_234:                           ;   in Loop: Header=BB1577_236 Depth=1
	global_load_b32 v39, v[35:36], off
	global_load_b32 v40, v[33:34], off
	v_add_co_u32 v33, vcc_lo, v33, 4
	v_add_co_ci_u32_e32 v34, vcc_lo, 0, v34, vcc_lo
	v_add_co_u32 v35, s2, v35, 4
	s_delay_alu instid0(VALU_DEP_1)
	v_add_co_ci_u32_e64 v36, s2, 0, v36, s2
	s_add_u32 s6, s6, 1
	s_addc_u32 s7, s7, 0
	s_and_not1_b32 s2, s30, exec_lo
	s_waitcnt vmcnt(0)
	v_cmp_ne_u32_e32 vcc_lo, v39, v40
	s_and_b32 s30, vcc_lo, exec_lo
	s_delay_alu instid0(SALU_CYCLE_1)
	s_or_b32 s30, s2, s30
.LBB1577_235:                           ;   in Loop: Header=BB1577_236 Depth=1
	v_dual_mov_b32 v40, s7 :: v_dual_mov_b32 v39, s6
	s_and_b32 s2, exec_lo, s30
	s_delay_alu instid0(SALU_CYCLE_1) | instskip(NEXT) | instid1(SALU_CYCLE_1)
	s_or_b32 s27, s2, s27
	s_and_not1_b32 exec_lo, exec_lo, s27
	s_cbranch_execz .LBB1577_238
.LBB1577_236:                           ; =>This Inner Loop Header: Depth=1
	s_or_b32 s30, s30, exec_lo
	s_cmp_eq_u64 s[4:5], s[6:7]
	s_cbranch_scc0 .LBB1577_234
; %bb.237:                              ;   in Loop: Header=BB1577_236 Depth=1
	s_mov_b64 s[6:7], s[22:23]
                                        ; implicit-def: $vgpr33_vgpr34
                                        ; implicit-def: $vgpr35_vgpr36
	s_branch .LBB1577_235
.LBB1577_238:
	s_set_inst_prefetch_distance 0x2
	s_or_b32 exec_lo, exec_lo, s27
	v_cmp_gt_i64_e32 vcc_lo, s[22:23], v[39:40]
	s_or_not1_b32 s27, vcc_lo, exec_lo
.LBB1577_239:
	s_or_b32 exec_lo, exec_lo, s29
.LBB1577_240:
	v_mul_lo_u32 v35, v28, s22
	v_mul_lo_u32 v36, v27, s23
	v_mad_u64_u32 v[33:34], null, v27, s22, 0
	s_and_not1_b32 vcc_lo, exec_lo, s18
	s_delay_alu instid0(VALU_DEP_1) | instskip(NEXT) | instid1(VALU_DEP_1)
	v_add3_u32 v34, v34, v36, v35
	v_lshlrev_b64 v[33:34], 2, v[33:34]
	s_cbranch_vccnz .LBB1577_249
; %bb.241:
	s_delay_alu instid0(VALU_DEP_1) | instskip(NEXT) | instid1(VALU_DEP_2)
	v_add_co_u32 v39, vcc_lo, s8, v33
	v_add_co_ci_u32_e32 v40, vcc_lo, s9, v34, vcc_lo
	v_add_co_u32 v35, vcc_lo, s8, v37
	v_add_co_ci_u32_e32 v36, vcc_lo, s9, v38, vcc_lo
	s_mov_b32 s26, -1
	s_clause 0x1
	global_load_b32 v37, v[39:40], off
	global_load_b32 v38, v[35:36], off
	s_mov_b32 s29, exec_lo
	s_waitcnt vmcnt(0)
	v_cmpx_eq_u32_e64 v37, v38
	s_cbranch_execz .LBB1577_248
; %bb.242:
	v_add_co_u32 v35, vcc_lo, v35, 4
	v_add_co_ci_u32_e32 v36, vcc_lo, 0, v36, vcc_lo
	v_add_co_u32 v37, vcc_lo, v39, 4
	v_add_co_ci_u32_e32 v38, vcc_lo, 0, v40, vcc_lo
	s_add_u32 s4, s22, -1
	s_addc_u32 s5, s23, -1
	s_mov_b64 s[6:7], 0
	s_mov_b32 s26, 0
                                        ; implicit-def: $sgpr30
	s_set_inst_prefetch_distance 0x1
	s_branch .LBB1577_245
	.p2align	6
.LBB1577_243:                           ;   in Loop: Header=BB1577_245 Depth=1
	global_load_b32 v39, v[37:38], off
	global_load_b32 v40, v[35:36], off
	v_add_co_u32 v35, vcc_lo, v35, 4
	v_add_co_ci_u32_e32 v36, vcc_lo, 0, v36, vcc_lo
	v_add_co_u32 v37, s2, v37, 4
	s_delay_alu instid0(VALU_DEP_1)
	v_add_co_ci_u32_e64 v38, s2, 0, v38, s2
	s_add_u32 s6, s6, 1
	s_addc_u32 s7, s7, 0
	s_and_not1_b32 s2, s30, exec_lo
	s_waitcnt vmcnt(0)
	v_cmp_ne_u32_e32 vcc_lo, v39, v40
	s_and_b32 s30, vcc_lo, exec_lo
	s_delay_alu instid0(SALU_CYCLE_1)
	s_or_b32 s30, s2, s30
.LBB1577_244:                           ;   in Loop: Header=BB1577_245 Depth=1
	v_dual_mov_b32 v40, s7 :: v_dual_mov_b32 v39, s6
	s_and_b32 s2, exec_lo, s30
	s_delay_alu instid0(SALU_CYCLE_1) | instskip(NEXT) | instid1(SALU_CYCLE_1)
	s_or_b32 s26, s2, s26
	s_and_not1_b32 exec_lo, exec_lo, s26
	s_cbranch_execz .LBB1577_247
.LBB1577_245:                           ; =>This Inner Loop Header: Depth=1
	s_or_b32 s30, s30, exec_lo
	s_cmp_eq_u64 s[4:5], s[6:7]
	s_cbranch_scc0 .LBB1577_243
; %bb.246:                              ;   in Loop: Header=BB1577_245 Depth=1
	s_mov_b64 s[6:7], s[22:23]
                                        ; implicit-def: $vgpr35_vgpr36
                                        ; implicit-def: $vgpr37_vgpr38
	s_branch .LBB1577_244
.LBB1577_247:
	s_set_inst_prefetch_distance 0x2
	s_or_b32 exec_lo, exec_lo, s26
	v_cmp_gt_i64_e32 vcc_lo, s[22:23], v[39:40]
	s_or_not1_b32 s26, vcc_lo, exec_lo
.LBB1577_248:
	s_or_b32 exec_lo, exec_lo, s29
.LBB1577_249:
	v_mul_lo_u32 v37, v26, s22
	v_mul_lo_u32 v38, v25, s23
	v_mad_u64_u32 v[35:36], null, v25, s22, 0
	s_mov_b32 s29, 0
	s_and_not1_b32 vcc_lo, exec_lo, s18
	s_mov_b32 s30, 0
	s_delay_alu instid0(VALU_DEP_1) | instskip(NEXT) | instid1(VALU_DEP_1)
	v_add3_u32 v36, v36, v38, v37
	v_lshlrev_b64 v[35:36], 2, v[35:36]
	s_cbranch_vccnz .LBB1577_258
; %bb.250:
	s_delay_alu instid0(VALU_DEP_1) | instskip(NEXT) | instid1(VALU_DEP_2)
	v_add_co_u32 v37, vcc_lo, s8, v35
	v_add_co_ci_u32_e32 v38, vcc_lo, s9, v36, vcc_lo
	v_add_co_u32 v33, vcc_lo, s8, v33
	v_add_co_ci_u32_e32 v34, vcc_lo, s9, v34, vcc_lo
	s_mov_b32 s30, -1
	s_clause 0x1
	global_load_b32 v39, v[37:38], off
	global_load_b32 v40, v[33:34], off
	s_mov_b32 s31, exec_lo
	s_waitcnt vmcnt(0)
	v_cmpx_eq_u32_e64 v39, v40
	s_cbranch_execz .LBB1577_257
; %bb.251:
	v_add_co_u32 v33, vcc_lo, v33, 4
	v_add_co_ci_u32_e32 v34, vcc_lo, 0, v34, vcc_lo
	v_add_co_u32 v37, vcc_lo, v37, 4
	v_add_co_ci_u32_e32 v38, vcc_lo, 0, v38, vcc_lo
	s_add_u32 s4, s22, -1
	s_addc_u32 s5, s23, -1
	s_mov_b64 s[6:7], 0
	s_mov_b32 s30, 0
                                        ; implicit-def: $sgpr33
	s_set_inst_prefetch_distance 0x1
	s_branch .LBB1577_254
	.p2align	6
.LBB1577_252:                           ;   in Loop: Header=BB1577_254 Depth=1
	global_load_b32 v39, v[37:38], off
	global_load_b32 v40, v[33:34], off
	v_add_co_u32 v33, vcc_lo, v33, 4
	v_add_co_ci_u32_e32 v34, vcc_lo, 0, v34, vcc_lo
	v_add_co_u32 v37, s2, v37, 4
	s_delay_alu instid0(VALU_DEP_1)
	v_add_co_ci_u32_e64 v38, s2, 0, v38, s2
	s_add_u32 s6, s6, 1
	s_addc_u32 s7, s7, 0
	s_and_not1_b32 s2, s33, exec_lo
	s_waitcnt vmcnt(0)
	v_cmp_ne_u32_e32 vcc_lo, v39, v40
	s_and_b32 s33, vcc_lo, exec_lo
	s_delay_alu instid0(SALU_CYCLE_1)
	s_or_b32 s33, s2, s33
.LBB1577_253:                           ;   in Loop: Header=BB1577_254 Depth=1
	v_dual_mov_b32 v40, s7 :: v_dual_mov_b32 v39, s6
	s_and_b32 s2, exec_lo, s33
	s_delay_alu instid0(SALU_CYCLE_1) | instskip(NEXT) | instid1(SALU_CYCLE_1)
	s_or_b32 s30, s2, s30
	s_and_not1_b32 exec_lo, exec_lo, s30
	s_cbranch_execz .LBB1577_256
.LBB1577_254:                           ; =>This Inner Loop Header: Depth=1
	s_or_b32 s33, s33, exec_lo
	s_cmp_eq_u64 s[4:5], s[6:7]
	s_cbranch_scc0 .LBB1577_252
; %bb.255:                              ;   in Loop: Header=BB1577_254 Depth=1
	s_mov_b64 s[6:7], s[22:23]
                                        ; implicit-def: $vgpr33_vgpr34
                                        ; implicit-def: $vgpr37_vgpr38
	s_branch .LBB1577_253
.LBB1577_256:
	s_set_inst_prefetch_distance 0x2
	s_or_b32 exec_lo, exec_lo, s30
	v_cmp_gt_i64_e32 vcc_lo, s[22:23], v[39:40]
	s_or_not1_b32 s30, vcc_lo, exec_lo
.LBB1577_257:
	s_or_b32 exec_lo, exec_lo, s31
.LBB1577_258:
	v_mul_lo_u32 v37, v32, s22
	v_mul_lo_u32 v38, v31, s23
	v_mad_u64_u32 v[33:34], null, v31, s22, 0
	s_and_not1_b32 vcc_lo, exec_lo, s18
	s_delay_alu instid0(VALU_DEP_1) | instskip(NEXT) | instid1(VALU_DEP_1)
	v_add3_u32 v34, v34, v38, v37
	v_lshlrev_b64 v[33:34], 2, v[33:34]
	s_cbranch_vccnz .LBB1577_267
; %bb.259:
	s_delay_alu instid0(VALU_DEP_1) | instskip(NEXT) | instid1(VALU_DEP_2)
	v_add_co_u32 v37, vcc_lo, s8, v33
	v_add_co_ci_u32_e32 v38, vcc_lo, s9, v34, vcc_lo
	v_add_co_u32 v35, vcc_lo, s8, v35
	v_add_co_ci_u32_e32 v36, vcc_lo, s9, v36, vcc_lo
	s_mov_b32 s29, -1
	s_clause 0x1
	global_load_b32 v39, v[37:38], off
	global_load_b32 v40, v[35:36], off
	s_mov_b32 s31, exec_lo
	s_waitcnt vmcnt(0)
	v_cmpx_eq_u32_e64 v39, v40
	s_cbranch_execz .LBB1577_266
; %bb.260:
	v_add_co_u32 v35, vcc_lo, v35, 4
	v_add_co_ci_u32_e32 v36, vcc_lo, 0, v36, vcc_lo
	v_add_co_u32 v37, vcc_lo, v37, 4
	v_add_co_ci_u32_e32 v38, vcc_lo, 0, v38, vcc_lo
	s_add_u32 s4, s22, -1
	s_addc_u32 s5, s23, -1
	s_mov_b64 s[6:7], 0
	s_mov_b32 s29, 0
                                        ; implicit-def: $sgpr33
	s_set_inst_prefetch_distance 0x1
	s_branch .LBB1577_263
	.p2align	6
.LBB1577_261:                           ;   in Loop: Header=BB1577_263 Depth=1
	global_load_b32 v39, v[37:38], off
	global_load_b32 v40, v[35:36], off
	v_add_co_u32 v35, vcc_lo, v35, 4
	v_add_co_ci_u32_e32 v36, vcc_lo, 0, v36, vcc_lo
	v_add_co_u32 v37, s2, v37, 4
	s_delay_alu instid0(VALU_DEP_1)
	v_add_co_ci_u32_e64 v38, s2, 0, v38, s2
	s_add_u32 s6, s6, 1
	s_addc_u32 s7, s7, 0
	s_and_not1_b32 s2, s33, exec_lo
	s_waitcnt vmcnt(0)
	v_cmp_ne_u32_e32 vcc_lo, v39, v40
	s_and_b32 s33, vcc_lo, exec_lo
	s_delay_alu instid0(SALU_CYCLE_1)
	s_or_b32 s33, s2, s33
.LBB1577_262:                           ;   in Loop: Header=BB1577_263 Depth=1
	v_dual_mov_b32 v40, s7 :: v_dual_mov_b32 v39, s6
	s_and_b32 s2, exec_lo, s33
	s_delay_alu instid0(SALU_CYCLE_1) | instskip(NEXT) | instid1(SALU_CYCLE_1)
	s_or_b32 s29, s2, s29
	s_and_not1_b32 exec_lo, exec_lo, s29
	s_cbranch_execz .LBB1577_265
.LBB1577_263:                           ; =>This Inner Loop Header: Depth=1
	s_or_b32 s33, s33, exec_lo
	s_cmp_eq_u64 s[4:5], s[6:7]
	s_cbranch_scc0 .LBB1577_261
; %bb.264:                              ;   in Loop: Header=BB1577_263 Depth=1
	s_mov_b64 s[6:7], s[22:23]
                                        ; implicit-def: $vgpr35_vgpr36
                                        ; implicit-def: $vgpr37_vgpr38
	s_branch .LBB1577_262
.LBB1577_265:
	s_set_inst_prefetch_distance 0x2
	s_or_b32 exec_lo, exec_lo, s29
	v_cmp_gt_i64_e32 vcc_lo, s[22:23], v[39:40]
	s_or_not1_b32 s29, vcc_lo, exec_lo
.LBB1577_266:
	s_or_b32 exec_lo, exec_lo, s31
.LBB1577_267:
	v_mul_lo_u32 v37, v30, s22
	v_mul_lo_u32 v38, v29, s23
	v_mad_u64_u32 v[35:36], null, v29, s22, 0
	s_and_not1_b32 vcc_lo, exec_lo, s18
	s_mov_b32 s2, 0
	s_delay_alu instid0(VALU_DEP_1)
	v_add3_u32 v36, v36, v38, v37
	s_cbranch_vccnz .LBB1577_276
; %bb.268:
	s_delay_alu instid0(VALU_DEP_1) | instskip(SKIP_2) | instid1(VALU_DEP_1)
	v_lshlrev_b64 v[37:38], 2, v[35:36]
	s_mov_b32 s2, -1
	s_mov_b32 s31, exec_lo
	v_add_co_u32 v37, vcc_lo, s8, v37
	s_delay_alu instid0(VALU_DEP_2)
	v_add_co_ci_u32_e32 v38, vcc_lo, s9, v38, vcc_lo
	v_add_co_u32 v33, vcc_lo, s8, v33
	v_add_co_ci_u32_e32 v34, vcc_lo, s9, v34, vcc_lo
	s_clause 0x1
	global_load_b32 v39, v[37:38], off
	global_load_b32 v40, v[33:34], off
	s_waitcnt vmcnt(0)
	v_cmpx_eq_u32_e64 v39, v40
	s_cbranch_execz .LBB1577_275
; %bb.269:
	v_add_co_u32 v33, vcc_lo, v33, 4
	v_add_co_ci_u32_e32 v34, vcc_lo, 0, v34, vcc_lo
	v_add_co_u32 v37, vcc_lo, v37, 4
	v_add_co_ci_u32_e32 v38, vcc_lo, 0, v38, vcc_lo
	s_add_u32 s4, s22, -1
	s_addc_u32 s5, s23, -1
	s_mov_b64 s[6:7], 0
	s_mov_b32 s33, 0
                                        ; implicit-def: $sgpr34
	s_set_inst_prefetch_distance 0x1
	s_branch .LBB1577_272
	.p2align	6
.LBB1577_270:                           ;   in Loop: Header=BB1577_272 Depth=1
	global_load_b32 v39, v[37:38], off
	global_load_b32 v40, v[33:34], off
	v_add_co_u32 v33, vcc_lo, v33, 4
	v_add_co_ci_u32_e32 v34, vcc_lo, 0, v34, vcc_lo
	v_add_co_u32 v37, s2, v37, 4
	s_delay_alu instid0(VALU_DEP_1)
	v_add_co_ci_u32_e64 v38, s2, 0, v38, s2
	s_add_u32 s6, s6, 1
	s_addc_u32 s7, s7, 0
	s_and_not1_b32 s2, s34, exec_lo
	s_waitcnt vmcnt(0)
	v_cmp_ne_u32_e32 vcc_lo, v39, v40
	s_and_b32 s34, vcc_lo, exec_lo
	s_delay_alu instid0(SALU_CYCLE_1)
	s_or_b32 s34, s2, s34
.LBB1577_271:                           ;   in Loop: Header=BB1577_272 Depth=1
	v_dual_mov_b32 v40, s7 :: v_dual_mov_b32 v39, s6
	s_and_b32 s2, exec_lo, s34
	s_delay_alu instid0(SALU_CYCLE_1) | instskip(NEXT) | instid1(SALU_CYCLE_1)
	s_or_b32 s33, s2, s33
	s_and_not1_b32 exec_lo, exec_lo, s33
	s_cbranch_execz .LBB1577_274
.LBB1577_272:                           ; =>This Inner Loop Header: Depth=1
	s_or_b32 s34, s34, exec_lo
	s_cmp_eq_u64 s[4:5], s[6:7]
	s_cbranch_scc0 .LBB1577_270
; %bb.273:                              ;   in Loop: Header=BB1577_272 Depth=1
	s_mov_b64 s[6:7], s[22:23]
                                        ; implicit-def: $vgpr33_vgpr34
                                        ; implicit-def: $vgpr37_vgpr38
	s_branch .LBB1577_271
.LBB1577_274:
	s_set_inst_prefetch_distance 0x2
	s_or_b32 exec_lo, exec_lo, s33
	v_cmp_gt_i64_e32 vcc_lo, s[22:23], v[39:40]
	s_or_not1_b32 s2, vcc_lo, exec_lo
.LBB1577_275:
	s_or_b32 exec_lo, exec_lo, s31
.LBB1577_276:
	v_cndmask_b32_e64 v34, 0, 1, s30
	v_cndmask_b32_e64 v37, 0, 1, s27
	;; [unrolled: 1-line block ×7, first 2 shown]
	v_lshlrev_b16 v37, 8, v37
	v_lshlrev_b16 v38, 8, v38
	;; [unrolled: 1-line block ×4, first 2 shown]
	s_waitcnt lgkmcnt(0)
	v_or_b32_e32 v37, v40, v37
	v_or_b32_e32 v38, v41, v38
	;; [unrolled: 1-line block ×4, first 2 shown]
	s_barrier
	v_and_b32_e32 v34, 0xffff, v37
	v_lshlrev_b32_e32 v37, 16, v38
	v_and_b32_e32 v38, 0xffff, v39
	v_lshlrev_b32_e32 v33, 16, v33
	buffer_gl0_inv
                                        ; implicit-def: $sgpr2
	s_mov_b32 s4, exec_lo
	v_or_b32_e32 v34, v34, v37
	v_or_b32_e32 v33, v38, v33
	v_cmpx_ne_u32_e32 0, v0
	s_xor_b32 s19, exec_lo, s4
	s_cbranch_execz .LBB1577_287
; %bb.277:
	s_and_not1_b32 vcc_lo, exec_lo, s18
	s_mov_b32 s2, 0
	s_cbranch_vccnz .LBB1577_286
; %bb.278:
	v_add_nc_u32_e32 v37, -8, v55
	v_lshlrev_b64 v[35:36], 2, v[35:36]
	s_mov_b32 s2, -1
	s_mov_b32 s25, exec_lo
	ds_load_b64 v[37:38], v37
	s_waitcnt lgkmcnt(0)
	v_mul_lo_u32 v40, v38, s22
	v_mul_lo_u32 v41, v37, s23
	v_mad_u64_u32 v[38:39], null, v37, s22, 0
	s_delay_alu instid0(VALU_DEP_1) | instskip(NEXT) | instid1(VALU_DEP_1)
	v_add3_u32 v39, v39, v41, v40
	v_lshlrev_b64 v[37:38], 2, v[38:39]
	s_delay_alu instid0(VALU_DEP_1) | instskip(NEXT) | instid1(VALU_DEP_2)
	v_add_co_u32 v37, vcc_lo, s8, v37
	v_add_co_ci_u32_e32 v38, vcc_lo, s9, v38, vcc_lo
	v_add_co_u32 v35, vcc_lo, s8, v35
	v_add_co_ci_u32_e32 v36, vcc_lo, s9, v36, vcc_lo
	s_clause 0x1
	global_load_b32 v39, v[37:38], off
	global_load_b32 v40, v[35:36], off
	s_waitcnt vmcnt(0)
	v_cmpx_eq_u32_e64 v39, v40
	s_cbranch_execz .LBB1577_285
; %bb.279:
	v_add_co_u32 v35, vcc_lo, v35, 4
	v_add_co_ci_u32_e32 v36, vcc_lo, 0, v36, vcc_lo
	v_add_co_u32 v37, vcc_lo, v37, 4
	v_add_co_ci_u32_e32 v38, vcc_lo, 0, v38, vcc_lo
	s_add_u32 s4, s22, -1
	s_addc_u32 s5, s23, -1
	s_mov_b64 s[6:7], 0
	s_mov_b32 s26, 0
                                        ; implicit-def: $sgpr27
	s_set_inst_prefetch_distance 0x1
	s_branch .LBB1577_282
	.p2align	6
.LBB1577_280:                           ;   in Loop: Header=BB1577_282 Depth=1
	global_load_b32 v39, v[37:38], off
	global_load_b32 v40, v[35:36], off
	v_add_co_u32 v35, vcc_lo, v35, 4
	v_add_co_ci_u32_e32 v36, vcc_lo, 0, v36, vcc_lo
	v_add_co_u32 v37, s2, v37, 4
	s_delay_alu instid0(VALU_DEP_1)
	v_add_co_ci_u32_e64 v38, s2, 0, v38, s2
	s_add_u32 s6, s6, 1
	s_addc_u32 s7, s7, 0
	s_and_not1_b32 s2, s27, exec_lo
	s_waitcnt vmcnt(0)
	v_cmp_ne_u32_e32 vcc_lo, v39, v40
	s_and_b32 s27, vcc_lo, exec_lo
	s_delay_alu instid0(SALU_CYCLE_1)
	s_or_b32 s27, s2, s27
.LBB1577_281:                           ;   in Loop: Header=BB1577_282 Depth=1
	v_dual_mov_b32 v40, s7 :: v_dual_mov_b32 v39, s6
	s_and_b32 s2, exec_lo, s27
	s_delay_alu instid0(SALU_CYCLE_1) | instskip(NEXT) | instid1(SALU_CYCLE_1)
	s_or_b32 s26, s2, s26
	s_and_not1_b32 exec_lo, exec_lo, s26
	s_cbranch_execz .LBB1577_284
.LBB1577_282:                           ; =>This Inner Loop Header: Depth=1
	s_or_b32 s27, s27, exec_lo
	s_cmp_eq_u64 s[4:5], s[6:7]
	s_cbranch_scc0 .LBB1577_280
; %bb.283:                              ;   in Loop: Header=BB1577_282 Depth=1
	s_mov_b64 s[6:7], s[22:23]
                                        ; implicit-def: $vgpr35_vgpr36
                                        ; implicit-def: $vgpr37_vgpr38
	s_branch .LBB1577_281
.LBB1577_284:
	s_set_inst_prefetch_distance 0x2
	s_or_b32 exec_lo, exec_lo, s26
	v_cmp_gt_i64_e32 vcc_lo, s[22:23], v[39:40]
	s_or_not1_b32 s2, vcc_lo, exec_lo
.LBB1577_285:
	s_or_b32 exec_lo, exec_lo, s25
.LBB1577_286:
	s_delay_alu instid0(SALU_CYCLE_1)
	s_and_b32 s2, s2, exec_lo
	s_or_b32 s3, s3, exec_lo
.LBB1577_287:
	s_or_b32 exec_lo, exec_lo, s19
	s_branch .LBB1577_379
.LBB1577_288:
	v_or_b32_e32 v33, 7, v55
	s_mov_b32 s19, 0
	s_mov_b32 s25, 0
	s_mov_b32 s26, exec_lo
	s_delay_alu instid0(VALU_DEP_1)
	v_cmpx_gt_u32_e64 s28, v33
	s_cbranch_execz .LBB1577_299
; %bb.289:
	s_and_not1_b32 vcc_lo, exec_lo, s18
	s_mov_b32 s2, 0
	s_cbranch_vccnz .LBB1577_298
; %bb.290:
	v_mul_lo_u32 v37, v18, s22
	v_mul_lo_u32 v38, v17, s23
	v_mad_u64_u32 v[33:34], null, v17, s22, 0
	v_mul_lo_u32 v39, v20, s22
	v_mul_lo_u32 v40, v19, s23
	v_mad_u64_u32 v[35:36], null, v19, s22, 0
	s_mov_b32 s2, -1
	s_mov_b32 s25, exec_lo
	s_delay_alu instid0(VALU_DEP_4) | instskip(NEXT) | instid1(VALU_DEP_2)
	v_add3_u32 v34, v34, v38, v37
	v_add3_u32 v36, v36, v40, v39
	s_delay_alu instid0(VALU_DEP_2) | instskip(NEXT) | instid1(VALU_DEP_2)
	v_lshlrev_b64 v[33:34], 2, v[33:34]
	v_lshlrev_b64 v[37:38], 2, v[35:36]
	s_delay_alu instid0(VALU_DEP_2) | instskip(NEXT) | instid1(VALU_DEP_3)
	v_add_co_u32 v35, vcc_lo, s8, v33
	v_add_co_ci_u32_e32 v36, vcc_lo, s9, v34, vcc_lo
	s_delay_alu instid0(VALU_DEP_3) | instskip(NEXT) | instid1(VALU_DEP_4)
	v_add_co_u32 v33, vcc_lo, s8, v37
	v_add_co_ci_u32_e32 v34, vcc_lo, s9, v38, vcc_lo
	s_clause 0x1
	global_load_b32 v37, v[35:36], off
	global_load_b32 v38, v[33:34], off
	s_waitcnt vmcnt(0)
	v_cmpx_eq_u32_e64 v37, v38
	s_cbranch_execz .LBB1577_297
; %bb.291:
	v_add_co_u32 v33, vcc_lo, v33, 4
	v_add_co_ci_u32_e32 v34, vcc_lo, 0, v34, vcc_lo
	v_add_co_u32 v35, vcc_lo, v35, 4
	v_add_co_ci_u32_e32 v36, vcc_lo, 0, v36, vcc_lo
	s_add_u32 s4, s22, -1
	s_addc_u32 s5, s23, -1
	s_mov_b64 s[6:7], 0
	s_mov_b32 s27, 0
                                        ; implicit-def: $sgpr29
	s_set_inst_prefetch_distance 0x1
	s_branch .LBB1577_294
	.p2align	6
.LBB1577_292:                           ;   in Loop: Header=BB1577_294 Depth=1
	global_load_b32 v37, v[35:36], off
	global_load_b32 v38, v[33:34], off
	v_add_co_u32 v33, vcc_lo, v33, 4
	v_add_co_ci_u32_e32 v34, vcc_lo, 0, v34, vcc_lo
	v_add_co_u32 v35, s2, v35, 4
	s_delay_alu instid0(VALU_DEP_1)
	v_add_co_ci_u32_e64 v36, s2, 0, v36, s2
	s_add_u32 s6, s6, 1
	s_addc_u32 s7, s7, 0
	s_and_not1_b32 s2, s29, exec_lo
	s_waitcnt vmcnt(0)
	v_cmp_ne_u32_e32 vcc_lo, v37, v38
	s_and_b32 s29, vcc_lo, exec_lo
	s_delay_alu instid0(SALU_CYCLE_1)
	s_or_b32 s29, s2, s29
.LBB1577_293:                           ;   in Loop: Header=BB1577_294 Depth=1
	v_dual_mov_b32 v38, s7 :: v_dual_mov_b32 v37, s6
	s_and_b32 s2, exec_lo, s29
	s_delay_alu instid0(SALU_CYCLE_1) | instskip(NEXT) | instid1(SALU_CYCLE_1)
	s_or_b32 s27, s2, s27
	s_and_not1_b32 exec_lo, exec_lo, s27
	s_cbranch_execz .LBB1577_296
.LBB1577_294:                           ; =>This Inner Loop Header: Depth=1
	s_or_b32 s29, s29, exec_lo
	s_cmp_eq_u64 s[4:5], s[6:7]
	s_cbranch_scc0 .LBB1577_292
; %bb.295:                              ;   in Loop: Header=BB1577_294 Depth=1
	s_mov_b64 s[6:7], s[22:23]
                                        ; implicit-def: $vgpr33_vgpr34
                                        ; implicit-def: $vgpr35_vgpr36
	s_branch .LBB1577_293
.LBB1577_296:
	s_set_inst_prefetch_distance 0x2
	s_or_b32 exec_lo, exec_lo, s27
	v_cmp_gt_i64_e32 vcc_lo, s[22:23], v[37:38]
	s_or_not1_b32 s2, vcc_lo, exec_lo
.LBB1577_297:
	s_or_b32 exec_lo, exec_lo, s25
.LBB1577_298:
	s_delay_alu instid0(SALU_CYCLE_1)
	s_and_b32 s25, s2, exec_lo
.LBB1577_299:
	s_or_b32 exec_lo, exec_lo, s26
	v_or_b32_e32 v33, 6, v55
	s_mov_b32 s26, exec_lo
	s_delay_alu instid0(VALU_DEP_1)
	v_cmpx_gt_u32_e64 s28, v33
	s_cbranch_execz .LBB1577_310
; %bb.300:
	s_and_not1_b32 vcc_lo, exec_lo, s18
	s_mov_b32 s2, 0
	s_cbranch_vccnz .LBB1577_309
; %bb.301:
	v_mul_lo_u32 v37, v24, s22
	v_mul_lo_u32 v38, v23, s23
	v_mad_u64_u32 v[33:34], null, v23, s22, 0
	v_mul_lo_u32 v39, v18, s22
	v_mul_lo_u32 v40, v17, s23
	v_mad_u64_u32 v[35:36], null, v17, s22, 0
	s_mov_b32 s2, -1
	s_mov_b32 s19, exec_lo
	s_delay_alu instid0(VALU_DEP_4) | instskip(NEXT) | instid1(VALU_DEP_2)
	v_add3_u32 v34, v34, v38, v37
	v_add3_u32 v36, v36, v40, v39
	s_delay_alu instid0(VALU_DEP_2) | instskip(NEXT) | instid1(VALU_DEP_2)
	v_lshlrev_b64 v[33:34], 2, v[33:34]
	v_lshlrev_b64 v[37:38], 2, v[35:36]
	s_delay_alu instid0(VALU_DEP_2) | instskip(NEXT) | instid1(VALU_DEP_3)
	v_add_co_u32 v35, vcc_lo, s8, v33
	v_add_co_ci_u32_e32 v36, vcc_lo, s9, v34, vcc_lo
	s_delay_alu instid0(VALU_DEP_3) | instskip(NEXT) | instid1(VALU_DEP_4)
	v_add_co_u32 v33, vcc_lo, s8, v37
	v_add_co_ci_u32_e32 v34, vcc_lo, s9, v38, vcc_lo
	s_clause 0x1
	global_load_b32 v37, v[35:36], off
	global_load_b32 v38, v[33:34], off
	s_waitcnt vmcnt(0)
	v_cmpx_eq_u32_e64 v37, v38
	s_cbranch_execz .LBB1577_308
; %bb.302:
	v_add_co_u32 v33, vcc_lo, v33, 4
	v_add_co_ci_u32_e32 v34, vcc_lo, 0, v34, vcc_lo
	v_add_co_u32 v35, vcc_lo, v35, 4
	v_add_co_ci_u32_e32 v36, vcc_lo, 0, v36, vcc_lo
	s_add_u32 s4, s22, -1
	s_addc_u32 s5, s23, -1
	s_mov_b64 s[6:7], 0
	s_mov_b32 s27, 0
                                        ; implicit-def: $sgpr29
	s_set_inst_prefetch_distance 0x1
	s_branch .LBB1577_305
	.p2align	6
.LBB1577_303:                           ;   in Loop: Header=BB1577_305 Depth=1
	global_load_b32 v37, v[35:36], off
	global_load_b32 v38, v[33:34], off
	v_add_co_u32 v33, vcc_lo, v33, 4
	v_add_co_ci_u32_e32 v34, vcc_lo, 0, v34, vcc_lo
	v_add_co_u32 v35, s2, v35, 4
	s_delay_alu instid0(VALU_DEP_1)
	v_add_co_ci_u32_e64 v36, s2, 0, v36, s2
	s_add_u32 s6, s6, 1
	s_addc_u32 s7, s7, 0
	s_and_not1_b32 s2, s29, exec_lo
	s_waitcnt vmcnt(0)
	v_cmp_ne_u32_e32 vcc_lo, v37, v38
	s_and_b32 s29, vcc_lo, exec_lo
	s_delay_alu instid0(SALU_CYCLE_1)
	s_or_b32 s29, s2, s29
.LBB1577_304:                           ;   in Loop: Header=BB1577_305 Depth=1
	v_dual_mov_b32 v38, s7 :: v_dual_mov_b32 v37, s6
	s_and_b32 s2, exec_lo, s29
	s_delay_alu instid0(SALU_CYCLE_1) | instskip(NEXT) | instid1(SALU_CYCLE_1)
	s_or_b32 s27, s2, s27
	s_and_not1_b32 exec_lo, exec_lo, s27
	s_cbranch_execz .LBB1577_307
.LBB1577_305:                           ; =>This Inner Loop Header: Depth=1
	s_or_b32 s29, s29, exec_lo
	s_cmp_eq_u64 s[4:5], s[6:7]
	s_cbranch_scc0 .LBB1577_303
; %bb.306:                              ;   in Loop: Header=BB1577_305 Depth=1
	s_mov_b64 s[6:7], s[22:23]
                                        ; implicit-def: $vgpr33_vgpr34
                                        ; implicit-def: $vgpr35_vgpr36
	s_branch .LBB1577_304
.LBB1577_307:
	s_set_inst_prefetch_distance 0x2
	s_or_b32 exec_lo, exec_lo, s27
	v_cmp_gt_i64_e32 vcc_lo, s[22:23], v[37:38]
	s_or_not1_b32 s2, vcc_lo, exec_lo
.LBB1577_308:
	s_or_b32 exec_lo, exec_lo, s19
.LBB1577_309:
	s_delay_alu instid0(SALU_CYCLE_1)
	s_and_b32 s19, s2, exec_lo
.LBB1577_310:
	s_or_b32 exec_lo, exec_lo, s26
	v_or_b32_e32 v33, 5, v55
	s_mov_b32 s26, 0
	s_mov_b32 s27, 0
	s_mov_b32 s29, exec_lo
	s_delay_alu instid0(VALU_DEP_1)
	v_cmpx_gt_u32_e64 s28, v33
	s_cbranch_execz .LBB1577_321
; %bb.311:
	s_and_not1_b32 vcc_lo, exec_lo, s18
	s_mov_b32 s2, 0
	s_cbranch_vccnz .LBB1577_320
; %bb.312:
	v_mul_lo_u32 v37, v22, s22
	v_mul_lo_u32 v38, v21, s23
	v_mad_u64_u32 v[33:34], null, v21, s22, 0
	v_mul_lo_u32 v39, v24, s22
	v_mul_lo_u32 v40, v23, s23
	v_mad_u64_u32 v[35:36], null, v23, s22, 0
	s_mov_b32 s2, -1
	s_mov_b32 s27, exec_lo
	s_delay_alu instid0(VALU_DEP_4) | instskip(NEXT) | instid1(VALU_DEP_2)
	v_add3_u32 v34, v34, v38, v37
	v_add3_u32 v36, v36, v40, v39
	s_delay_alu instid0(VALU_DEP_2) | instskip(NEXT) | instid1(VALU_DEP_2)
	v_lshlrev_b64 v[33:34], 2, v[33:34]
	v_lshlrev_b64 v[37:38], 2, v[35:36]
	s_delay_alu instid0(VALU_DEP_2) | instskip(NEXT) | instid1(VALU_DEP_3)
	v_add_co_u32 v35, vcc_lo, s8, v33
	v_add_co_ci_u32_e32 v36, vcc_lo, s9, v34, vcc_lo
	s_delay_alu instid0(VALU_DEP_3) | instskip(NEXT) | instid1(VALU_DEP_4)
	v_add_co_u32 v33, vcc_lo, s8, v37
	v_add_co_ci_u32_e32 v34, vcc_lo, s9, v38, vcc_lo
	s_clause 0x1
	global_load_b32 v37, v[35:36], off
	global_load_b32 v38, v[33:34], off
	s_waitcnt vmcnt(0)
	v_cmpx_eq_u32_e64 v37, v38
	s_cbranch_execz .LBB1577_319
; %bb.313:
	v_add_co_u32 v33, vcc_lo, v33, 4
	v_add_co_ci_u32_e32 v34, vcc_lo, 0, v34, vcc_lo
	v_add_co_u32 v35, vcc_lo, v35, 4
	v_add_co_ci_u32_e32 v36, vcc_lo, 0, v36, vcc_lo
	s_add_u32 s4, s22, -1
	s_addc_u32 s5, s23, -1
	s_mov_b64 s[6:7], 0
	s_mov_b32 s30, 0
                                        ; implicit-def: $sgpr31
	s_set_inst_prefetch_distance 0x1
	s_branch .LBB1577_316
	.p2align	6
.LBB1577_314:                           ;   in Loop: Header=BB1577_316 Depth=1
	global_load_b32 v37, v[35:36], off
	global_load_b32 v38, v[33:34], off
	v_add_co_u32 v33, vcc_lo, v33, 4
	v_add_co_ci_u32_e32 v34, vcc_lo, 0, v34, vcc_lo
	v_add_co_u32 v35, s2, v35, 4
	s_delay_alu instid0(VALU_DEP_1)
	v_add_co_ci_u32_e64 v36, s2, 0, v36, s2
	s_add_u32 s6, s6, 1
	s_addc_u32 s7, s7, 0
	s_and_not1_b32 s2, s31, exec_lo
	s_waitcnt vmcnt(0)
	v_cmp_ne_u32_e32 vcc_lo, v37, v38
	s_and_b32 s31, vcc_lo, exec_lo
	s_delay_alu instid0(SALU_CYCLE_1)
	s_or_b32 s31, s2, s31
.LBB1577_315:                           ;   in Loop: Header=BB1577_316 Depth=1
	v_dual_mov_b32 v38, s7 :: v_dual_mov_b32 v37, s6
	s_and_b32 s2, exec_lo, s31
	s_delay_alu instid0(SALU_CYCLE_1) | instskip(NEXT) | instid1(SALU_CYCLE_1)
	s_or_b32 s30, s2, s30
	s_and_not1_b32 exec_lo, exec_lo, s30
	s_cbranch_execz .LBB1577_318
.LBB1577_316:                           ; =>This Inner Loop Header: Depth=1
	s_or_b32 s31, s31, exec_lo
	s_cmp_eq_u64 s[4:5], s[6:7]
	s_cbranch_scc0 .LBB1577_314
; %bb.317:                              ;   in Loop: Header=BB1577_316 Depth=1
	s_mov_b64 s[6:7], s[22:23]
                                        ; implicit-def: $vgpr33_vgpr34
                                        ; implicit-def: $vgpr35_vgpr36
	s_branch .LBB1577_315
.LBB1577_318:
	s_set_inst_prefetch_distance 0x2
	s_or_b32 exec_lo, exec_lo, s30
	v_cmp_gt_i64_e32 vcc_lo, s[22:23], v[37:38]
	s_or_not1_b32 s2, vcc_lo, exec_lo
.LBB1577_319:
	s_or_b32 exec_lo, exec_lo, s27
.LBB1577_320:
	s_delay_alu instid0(SALU_CYCLE_1)
	s_and_b32 s27, s2, exec_lo
.LBB1577_321:
	s_or_b32 exec_lo, exec_lo, s29
	v_or_b32_e32 v33, 4, v55
	s_mov_b32 s29, exec_lo
	s_delay_alu instid0(VALU_DEP_1)
	v_cmpx_gt_u32_e64 s28, v33
	s_cbranch_execz .LBB1577_332
; %bb.322:
	s_and_not1_b32 vcc_lo, exec_lo, s18
	s_mov_b32 s2, 0
	s_cbranch_vccnz .LBB1577_331
; %bb.323:
	v_mul_lo_u32 v37, v28, s22
	v_mul_lo_u32 v38, v27, s23
	v_mad_u64_u32 v[33:34], null, v27, s22, 0
	v_mul_lo_u32 v39, v22, s22
	v_mul_lo_u32 v40, v21, s23
	v_mad_u64_u32 v[35:36], null, v21, s22, 0
	s_mov_b32 s2, -1
	s_mov_b32 s26, exec_lo
	s_delay_alu instid0(VALU_DEP_4) | instskip(NEXT) | instid1(VALU_DEP_2)
	v_add3_u32 v34, v34, v38, v37
	v_add3_u32 v36, v36, v40, v39
	s_delay_alu instid0(VALU_DEP_2) | instskip(NEXT) | instid1(VALU_DEP_2)
	v_lshlrev_b64 v[33:34], 2, v[33:34]
	v_lshlrev_b64 v[37:38], 2, v[35:36]
	s_delay_alu instid0(VALU_DEP_2) | instskip(NEXT) | instid1(VALU_DEP_3)
	v_add_co_u32 v35, vcc_lo, s8, v33
	v_add_co_ci_u32_e32 v36, vcc_lo, s9, v34, vcc_lo
	s_delay_alu instid0(VALU_DEP_3) | instskip(NEXT) | instid1(VALU_DEP_4)
	v_add_co_u32 v33, vcc_lo, s8, v37
	v_add_co_ci_u32_e32 v34, vcc_lo, s9, v38, vcc_lo
	s_clause 0x1
	global_load_b32 v37, v[35:36], off
	global_load_b32 v38, v[33:34], off
	s_waitcnt vmcnt(0)
	v_cmpx_eq_u32_e64 v37, v38
	s_cbranch_execz .LBB1577_330
; %bb.324:
	v_add_co_u32 v33, vcc_lo, v33, 4
	v_add_co_ci_u32_e32 v34, vcc_lo, 0, v34, vcc_lo
	v_add_co_u32 v35, vcc_lo, v35, 4
	v_add_co_ci_u32_e32 v36, vcc_lo, 0, v36, vcc_lo
	s_add_u32 s4, s22, -1
	s_addc_u32 s5, s23, -1
	s_mov_b64 s[6:7], 0
	s_mov_b32 s30, 0
                                        ; implicit-def: $sgpr31
	s_set_inst_prefetch_distance 0x1
	s_branch .LBB1577_327
	.p2align	6
.LBB1577_325:                           ;   in Loop: Header=BB1577_327 Depth=1
	global_load_b32 v37, v[35:36], off
	global_load_b32 v38, v[33:34], off
	v_add_co_u32 v33, vcc_lo, v33, 4
	v_add_co_ci_u32_e32 v34, vcc_lo, 0, v34, vcc_lo
	v_add_co_u32 v35, s2, v35, 4
	s_delay_alu instid0(VALU_DEP_1)
	v_add_co_ci_u32_e64 v36, s2, 0, v36, s2
	s_add_u32 s6, s6, 1
	s_addc_u32 s7, s7, 0
	s_and_not1_b32 s2, s31, exec_lo
	s_waitcnt vmcnt(0)
	v_cmp_ne_u32_e32 vcc_lo, v37, v38
	s_and_b32 s31, vcc_lo, exec_lo
	s_delay_alu instid0(SALU_CYCLE_1)
	s_or_b32 s31, s2, s31
.LBB1577_326:                           ;   in Loop: Header=BB1577_327 Depth=1
	v_dual_mov_b32 v38, s7 :: v_dual_mov_b32 v37, s6
	s_and_b32 s2, exec_lo, s31
	s_delay_alu instid0(SALU_CYCLE_1) | instskip(NEXT) | instid1(SALU_CYCLE_1)
	s_or_b32 s30, s2, s30
	s_and_not1_b32 exec_lo, exec_lo, s30
	s_cbranch_execz .LBB1577_329
.LBB1577_327:                           ; =>This Inner Loop Header: Depth=1
	s_or_b32 s31, s31, exec_lo
	s_cmp_eq_u64 s[4:5], s[6:7]
	s_cbranch_scc0 .LBB1577_325
; %bb.328:                              ;   in Loop: Header=BB1577_327 Depth=1
	s_mov_b64 s[6:7], s[22:23]
                                        ; implicit-def: $vgpr33_vgpr34
                                        ; implicit-def: $vgpr35_vgpr36
	s_branch .LBB1577_326
.LBB1577_329:
	s_set_inst_prefetch_distance 0x2
	s_or_b32 exec_lo, exec_lo, s30
	v_cmp_gt_i64_e32 vcc_lo, s[22:23], v[37:38]
	s_or_not1_b32 s2, vcc_lo, exec_lo
.LBB1577_330:
	s_or_b32 exec_lo, exec_lo, s26
.LBB1577_331:
	s_delay_alu instid0(SALU_CYCLE_1)
	s_and_b32 s26, s2, exec_lo
.LBB1577_332:
	s_or_b32 exec_lo, exec_lo, s29
	v_or_b32_e32 v33, 3, v55
	s_mov_b32 s30, 0
	s_mov_b32 s29, 0
	s_mov_b32 s31, exec_lo
	s_delay_alu instid0(VALU_DEP_1)
	v_cmpx_gt_u32_e64 s28, v33
	s_cbranch_execz .LBB1577_343
; %bb.333:
	s_and_not1_b32 vcc_lo, exec_lo, s18
	s_mov_b32 s2, 0
	s_cbranch_vccnz .LBB1577_342
; %bb.334:
	v_mul_lo_u32 v37, v26, s22
	v_mul_lo_u32 v38, v25, s23
	v_mad_u64_u32 v[33:34], null, v25, s22, 0
	v_mul_lo_u32 v39, v28, s22
	v_mul_lo_u32 v40, v27, s23
	v_mad_u64_u32 v[35:36], null, v27, s22, 0
	s_mov_b32 s2, -1
	s_mov_b32 s29, exec_lo
	s_delay_alu instid0(VALU_DEP_4) | instskip(NEXT) | instid1(VALU_DEP_2)
	v_add3_u32 v34, v34, v38, v37
	v_add3_u32 v36, v36, v40, v39
	s_delay_alu instid0(VALU_DEP_2) | instskip(NEXT) | instid1(VALU_DEP_2)
	v_lshlrev_b64 v[33:34], 2, v[33:34]
	v_lshlrev_b64 v[37:38], 2, v[35:36]
	s_delay_alu instid0(VALU_DEP_2) | instskip(NEXT) | instid1(VALU_DEP_3)
	v_add_co_u32 v35, vcc_lo, s8, v33
	v_add_co_ci_u32_e32 v36, vcc_lo, s9, v34, vcc_lo
	s_delay_alu instid0(VALU_DEP_3) | instskip(NEXT) | instid1(VALU_DEP_4)
	v_add_co_u32 v33, vcc_lo, s8, v37
	v_add_co_ci_u32_e32 v34, vcc_lo, s9, v38, vcc_lo
	s_clause 0x1
	global_load_b32 v37, v[35:36], off
	global_load_b32 v38, v[33:34], off
	s_waitcnt vmcnt(0)
	v_cmpx_eq_u32_e64 v37, v38
	s_cbranch_execz .LBB1577_341
; %bb.335:
	v_add_co_u32 v33, vcc_lo, v33, 4
	v_add_co_ci_u32_e32 v34, vcc_lo, 0, v34, vcc_lo
	v_add_co_u32 v35, vcc_lo, v35, 4
	v_add_co_ci_u32_e32 v36, vcc_lo, 0, v36, vcc_lo
	s_add_u32 s4, s22, -1
	s_addc_u32 s5, s23, -1
	s_mov_b64 s[6:7], 0
	s_mov_b32 s33, 0
                                        ; implicit-def: $sgpr34
	s_set_inst_prefetch_distance 0x1
	s_branch .LBB1577_338
	.p2align	6
.LBB1577_336:                           ;   in Loop: Header=BB1577_338 Depth=1
	global_load_b32 v37, v[35:36], off
	global_load_b32 v38, v[33:34], off
	v_add_co_u32 v33, vcc_lo, v33, 4
	v_add_co_ci_u32_e32 v34, vcc_lo, 0, v34, vcc_lo
	v_add_co_u32 v35, s2, v35, 4
	s_delay_alu instid0(VALU_DEP_1)
	v_add_co_ci_u32_e64 v36, s2, 0, v36, s2
	s_add_u32 s6, s6, 1
	s_addc_u32 s7, s7, 0
	s_and_not1_b32 s2, s34, exec_lo
	s_waitcnt vmcnt(0)
	v_cmp_ne_u32_e32 vcc_lo, v37, v38
	s_and_b32 s34, vcc_lo, exec_lo
	s_delay_alu instid0(SALU_CYCLE_1)
	s_or_b32 s34, s2, s34
.LBB1577_337:                           ;   in Loop: Header=BB1577_338 Depth=1
	v_dual_mov_b32 v38, s7 :: v_dual_mov_b32 v37, s6
	s_and_b32 s2, exec_lo, s34
	s_delay_alu instid0(SALU_CYCLE_1) | instskip(NEXT) | instid1(SALU_CYCLE_1)
	s_or_b32 s33, s2, s33
	s_and_not1_b32 exec_lo, exec_lo, s33
	s_cbranch_execz .LBB1577_340
.LBB1577_338:                           ; =>This Inner Loop Header: Depth=1
	s_or_b32 s34, s34, exec_lo
	s_cmp_eq_u64 s[4:5], s[6:7]
	s_cbranch_scc0 .LBB1577_336
; %bb.339:                              ;   in Loop: Header=BB1577_338 Depth=1
	s_mov_b64 s[6:7], s[22:23]
                                        ; implicit-def: $vgpr33_vgpr34
                                        ; implicit-def: $vgpr35_vgpr36
	s_branch .LBB1577_337
.LBB1577_340:
	s_set_inst_prefetch_distance 0x2
	s_or_b32 exec_lo, exec_lo, s33
	v_cmp_gt_i64_e32 vcc_lo, s[22:23], v[37:38]
	s_or_not1_b32 s2, vcc_lo, exec_lo
.LBB1577_341:
	s_or_b32 exec_lo, exec_lo, s29
.LBB1577_342:
	s_delay_alu instid0(SALU_CYCLE_1)
	s_and_b32 s29, s2, exec_lo
.LBB1577_343:
	s_or_b32 exec_lo, exec_lo, s31
	v_or_b32_e32 v33, 2, v55
	s_mov_b32 s31, exec_lo
	s_delay_alu instid0(VALU_DEP_1)
	v_cmpx_gt_u32_e64 s28, v33
	s_cbranch_execz .LBB1577_354
; %bb.344:
	s_and_not1_b32 vcc_lo, exec_lo, s18
	s_mov_b32 s2, 0
	s_cbranch_vccnz .LBB1577_353
; %bb.345:
	v_mul_lo_u32 v37, v32, s22
	v_mul_lo_u32 v38, v31, s23
	v_mad_u64_u32 v[33:34], null, v31, s22, 0
	v_mul_lo_u32 v39, v26, s22
	v_mul_lo_u32 v40, v25, s23
	v_mad_u64_u32 v[35:36], null, v25, s22, 0
	s_mov_b32 s2, -1
	s_mov_b32 s30, exec_lo
	s_delay_alu instid0(VALU_DEP_4) | instskip(NEXT) | instid1(VALU_DEP_2)
	v_add3_u32 v34, v34, v38, v37
	v_add3_u32 v36, v36, v40, v39
	s_delay_alu instid0(VALU_DEP_2) | instskip(NEXT) | instid1(VALU_DEP_2)
	v_lshlrev_b64 v[33:34], 2, v[33:34]
	v_lshlrev_b64 v[37:38], 2, v[35:36]
	s_delay_alu instid0(VALU_DEP_2) | instskip(NEXT) | instid1(VALU_DEP_3)
	v_add_co_u32 v35, vcc_lo, s8, v33
	v_add_co_ci_u32_e32 v36, vcc_lo, s9, v34, vcc_lo
	s_delay_alu instid0(VALU_DEP_3) | instskip(NEXT) | instid1(VALU_DEP_4)
	v_add_co_u32 v33, vcc_lo, s8, v37
	v_add_co_ci_u32_e32 v34, vcc_lo, s9, v38, vcc_lo
	s_clause 0x1
	global_load_b32 v37, v[35:36], off
	global_load_b32 v38, v[33:34], off
	s_waitcnt vmcnt(0)
	v_cmpx_eq_u32_e64 v37, v38
	s_cbranch_execz .LBB1577_352
; %bb.346:
	v_add_co_u32 v33, vcc_lo, v33, 4
	v_add_co_ci_u32_e32 v34, vcc_lo, 0, v34, vcc_lo
	v_add_co_u32 v35, vcc_lo, v35, 4
	v_add_co_ci_u32_e32 v36, vcc_lo, 0, v36, vcc_lo
	s_add_u32 s4, s22, -1
	s_addc_u32 s5, s23, -1
	s_mov_b64 s[6:7], 0
	s_mov_b32 s33, 0
                                        ; implicit-def: $sgpr34
	s_set_inst_prefetch_distance 0x1
	s_branch .LBB1577_349
	.p2align	6
.LBB1577_347:                           ;   in Loop: Header=BB1577_349 Depth=1
	global_load_b32 v37, v[35:36], off
	global_load_b32 v38, v[33:34], off
	v_add_co_u32 v33, vcc_lo, v33, 4
	v_add_co_ci_u32_e32 v34, vcc_lo, 0, v34, vcc_lo
	v_add_co_u32 v35, s2, v35, 4
	s_delay_alu instid0(VALU_DEP_1)
	v_add_co_ci_u32_e64 v36, s2, 0, v36, s2
	s_add_u32 s6, s6, 1
	s_addc_u32 s7, s7, 0
	s_and_not1_b32 s2, s34, exec_lo
	s_waitcnt vmcnt(0)
	v_cmp_ne_u32_e32 vcc_lo, v37, v38
	s_and_b32 s34, vcc_lo, exec_lo
	s_delay_alu instid0(SALU_CYCLE_1)
	s_or_b32 s34, s2, s34
.LBB1577_348:                           ;   in Loop: Header=BB1577_349 Depth=1
	v_dual_mov_b32 v38, s7 :: v_dual_mov_b32 v37, s6
	s_and_b32 s2, exec_lo, s34
	s_delay_alu instid0(SALU_CYCLE_1) | instskip(NEXT) | instid1(SALU_CYCLE_1)
	s_or_b32 s33, s2, s33
	s_and_not1_b32 exec_lo, exec_lo, s33
	s_cbranch_execz .LBB1577_351
.LBB1577_349:                           ; =>This Inner Loop Header: Depth=1
	s_or_b32 s34, s34, exec_lo
	s_cmp_eq_u64 s[4:5], s[6:7]
	s_cbranch_scc0 .LBB1577_347
; %bb.350:                              ;   in Loop: Header=BB1577_349 Depth=1
	s_mov_b64 s[6:7], s[22:23]
                                        ; implicit-def: $vgpr33_vgpr34
                                        ; implicit-def: $vgpr35_vgpr36
	s_branch .LBB1577_348
.LBB1577_351:
	s_set_inst_prefetch_distance 0x2
	s_or_b32 exec_lo, exec_lo, s33
	v_cmp_gt_i64_e32 vcc_lo, s[22:23], v[37:38]
	s_or_not1_b32 s2, vcc_lo, exec_lo
.LBB1577_352:
	s_or_b32 exec_lo, exec_lo, s30
.LBB1577_353:
	s_delay_alu instid0(SALU_CYCLE_1)
	s_and_b32 s30, s2, exec_lo
.LBB1577_354:
	s_or_b32 exec_lo, exec_lo, s31
	v_or_b32_e32 v33, 1, v55
	s_mov_b32 s2, 0
	s_mov_b32 s31, exec_lo
	s_delay_alu instid0(VALU_DEP_1)
	v_cmpx_gt_u32_e64 s28, v33
	s_cbranch_execz .LBB1577_365
; %bb.355:
	s_and_not1_b32 vcc_lo, exec_lo, s18
	s_cbranch_vccnz .LBB1577_364
; %bb.356:
	v_mul_lo_u32 v37, v30, s22
	v_mul_lo_u32 v38, v29, s23
	v_mad_u64_u32 v[33:34], null, v29, s22, 0
	v_mul_lo_u32 v39, v32, s22
	v_mul_lo_u32 v40, v31, s23
	v_mad_u64_u32 v[35:36], null, v31, s22, 0
	s_mov_b32 s2, -1
	s_mov_b32 s33, exec_lo
	s_delay_alu instid0(VALU_DEP_4) | instskip(NEXT) | instid1(VALU_DEP_2)
	v_add3_u32 v34, v34, v38, v37
	v_add3_u32 v36, v36, v40, v39
	s_delay_alu instid0(VALU_DEP_2) | instskip(NEXT) | instid1(VALU_DEP_2)
	v_lshlrev_b64 v[33:34], 2, v[33:34]
	v_lshlrev_b64 v[37:38], 2, v[35:36]
	s_delay_alu instid0(VALU_DEP_2) | instskip(NEXT) | instid1(VALU_DEP_3)
	v_add_co_u32 v35, vcc_lo, s8, v33
	v_add_co_ci_u32_e32 v36, vcc_lo, s9, v34, vcc_lo
	s_delay_alu instid0(VALU_DEP_3) | instskip(NEXT) | instid1(VALU_DEP_4)
	v_add_co_u32 v33, vcc_lo, s8, v37
	v_add_co_ci_u32_e32 v34, vcc_lo, s9, v38, vcc_lo
	s_clause 0x1
	global_load_b32 v37, v[35:36], off
	global_load_b32 v38, v[33:34], off
	s_waitcnt vmcnt(0)
	v_cmpx_eq_u32_e64 v37, v38
	s_cbranch_execz .LBB1577_363
; %bb.357:
	v_add_co_u32 v33, vcc_lo, v33, 4
	v_add_co_ci_u32_e32 v34, vcc_lo, 0, v34, vcc_lo
	v_add_co_u32 v35, vcc_lo, v35, 4
	v_add_co_ci_u32_e32 v36, vcc_lo, 0, v36, vcc_lo
	s_add_u32 s4, s22, -1
	s_addc_u32 s5, s23, -1
	s_mov_b64 s[6:7], 0
	s_mov_b32 s34, 0
                                        ; implicit-def: $sgpr35
	s_set_inst_prefetch_distance 0x1
	s_branch .LBB1577_360
	.p2align	6
.LBB1577_358:                           ;   in Loop: Header=BB1577_360 Depth=1
	global_load_b32 v37, v[35:36], off
	global_load_b32 v38, v[33:34], off
	v_add_co_u32 v33, vcc_lo, v33, 4
	v_add_co_ci_u32_e32 v34, vcc_lo, 0, v34, vcc_lo
	v_add_co_u32 v35, s2, v35, 4
	s_delay_alu instid0(VALU_DEP_1)
	v_add_co_ci_u32_e64 v36, s2, 0, v36, s2
	s_add_u32 s6, s6, 1
	s_addc_u32 s7, s7, 0
	s_and_not1_b32 s2, s35, exec_lo
	s_waitcnt vmcnt(0)
	v_cmp_ne_u32_e32 vcc_lo, v37, v38
	s_and_b32 s35, vcc_lo, exec_lo
	s_delay_alu instid0(SALU_CYCLE_1)
	s_or_b32 s35, s2, s35
.LBB1577_359:                           ;   in Loop: Header=BB1577_360 Depth=1
	v_dual_mov_b32 v38, s7 :: v_dual_mov_b32 v37, s6
	s_and_b32 s2, exec_lo, s35
	s_delay_alu instid0(SALU_CYCLE_1) | instskip(NEXT) | instid1(SALU_CYCLE_1)
	s_or_b32 s34, s2, s34
	s_and_not1_b32 exec_lo, exec_lo, s34
	s_cbranch_execz .LBB1577_362
.LBB1577_360:                           ; =>This Inner Loop Header: Depth=1
	s_or_b32 s35, s35, exec_lo
	s_cmp_eq_u64 s[4:5], s[6:7]
	s_cbranch_scc0 .LBB1577_358
; %bb.361:                              ;   in Loop: Header=BB1577_360 Depth=1
	s_mov_b64 s[6:7], s[22:23]
                                        ; implicit-def: $vgpr33_vgpr34
                                        ; implicit-def: $vgpr35_vgpr36
	s_branch .LBB1577_359
.LBB1577_362:
	s_set_inst_prefetch_distance 0x2
	s_or_b32 exec_lo, exec_lo, s34
	v_cmp_gt_i64_e32 vcc_lo, s[22:23], v[37:38]
	s_or_not1_b32 s2, vcc_lo, exec_lo
.LBB1577_363:
	s_or_b32 exec_lo, exec_lo, s33
.LBB1577_364:
	s_delay_alu instid0(SALU_CYCLE_1)
	s_and_b32 s2, s2, exec_lo
.LBB1577_365:
	s_or_b32 exec_lo, exec_lo, s31
	v_cndmask_b32_e64 v34, 0, 1, s29
	v_cndmask_b32_e64 v35, 0, 1, s27
	;; [unrolled: 1-line block ×7, first 2 shown]
	v_lshlrev_b16 v35, 8, v35
	v_lshlrev_b16 v36, 8, v36
	;; [unrolled: 1-line block ×4, first 2 shown]
	s_mov_b32 s19, exec_lo
	v_or_b32_e32 v35, v38, v35
	v_or_b32_e32 v36, v39, v36
	;; [unrolled: 1-line block ×4, first 2 shown]
	s_waitcnt lgkmcnt(0)
	v_and_b32_e32 v34, 0xffff, v35
	v_lshlrev_b32_e32 v35, 16, v36
	v_and_b32_e32 v36, 0xffff, v37
	v_lshlrev_b32_e32 v33, 16, v33
	s_barrier
	buffer_gl0_inv
	v_or_b32_e32 v34, v34, v35
                                        ; implicit-def: $sgpr2
	v_or_b32_e32 v33, v36, v33
	v_cmpx_ne_u32_e32 0, v0
	s_cbranch_execz .LBB1577_378
; %bb.366:
	s_mov_b32 s2, 0
	s_mov_b32 s25, exec_lo
	v_cmpx_gt_u32_e64 s28, v55
	s_cbranch_execz .LBB1577_377
; %bb.367:
	s_and_not1_b32 vcc_lo, exec_lo, s18
	s_cbranch_vccnz .LBB1577_376
; %bb.368:
	v_add_nc_u32_e32 v35, -8, v55
	v_mul_lo_u32 v42, v29, s23
	v_mad_u64_u32 v[38:39], null, v29, s22, 0
	s_mov_b32 s2, -1
	ds_load_b64 v[35:36], v35
	s_waitcnt lgkmcnt(0)
	v_mul_lo_u32 v40, v36, s22
	v_mul_lo_u32 v41, v35, s23
	v_mad_u64_u32 v[36:37], null, v35, s22, 0
	v_mul_lo_u32 v35, v30, s22
	s_delay_alu instid0(VALU_DEP_2) | instskip(NEXT) | instid1(VALU_DEP_2)
	v_add3_u32 v37, v37, v41, v40
	v_add3_u32 v39, v39, v42, v35
	s_delay_alu instid0(VALU_DEP_2) | instskip(NEXT) | instid1(VALU_DEP_2)
	v_lshlrev_b64 v[35:36], 2, v[36:37]
	v_lshlrev_b64 v[39:40], 2, v[38:39]
	s_delay_alu instid0(VALU_DEP_2) | instskip(NEXT) | instid1(VALU_DEP_3)
	v_add_co_u32 v37, vcc_lo, s8, v35
	v_add_co_ci_u32_e32 v38, vcc_lo, s9, v36, vcc_lo
	s_delay_alu instid0(VALU_DEP_3) | instskip(NEXT) | instid1(VALU_DEP_4)
	v_add_co_u32 v35, vcc_lo, s8, v39
	v_add_co_ci_u32_e32 v36, vcc_lo, s9, v40, vcc_lo
	s_clause 0x1
	global_load_b32 v39, v[37:38], off
	global_load_b32 v40, v[35:36], off
	s_mov_b32 s8, exec_lo
	s_waitcnt vmcnt(0)
	v_cmpx_eq_u32_e64 v39, v40
	s_cbranch_execz .LBB1577_375
; %bb.369:
	v_add_co_u32 v35, vcc_lo, v35, 4
	v_add_co_ci_u32_e32 v36, vcc_lo, 0, v36, vcc_lo
	v_add_co_u32 v37, vcc_lo, v37, 4
	v_add_co_ci_u32_e32 v38, vcc_lo, 0, v38, vcc_lo
	s_add_u32 s4, s22, -1
	s_addc_u32 s5, s23, -1
	s_mov_b64 s[6:7], 0
	s_mov_b32 s9, 0
                                        ; implicit-def: $sgpr18
	s_set_inst_prefetch_distance 0x1
	s_branch .LBB1577_372
	.p2align	6
.LBB1577_370:                           ;   in Loop: Header=BB1577_372 Depth=1
	global_load_b32 v39, v[37:38], off
	global_load_b32 v40, v[35:36], off
	v_add_co_u32 v35, vcc_lo, v35, 4
	v_add_co_ci_u32_e32 v36, vcc_lo, 0, v36, vcc_lo
	v_add_co_u32 v37, s2, v37, 4
	s_delay_alu instid0(VALU_DEP_1)
	v_add_co_ci_u32_e64 v38, s2, 0, v38, s2
	s_add_u32 s6, s6, 1
	s_addc_u32 s7, s7, 0
	s_and_not1_b32 s2, s18, exec_lo
	s_waitcnt vmcnt(0)
	v_cmp_ne_u32_e32 vcc_lo, v39, v40
	s_and_b32 s18, vcc_lo, exec_lo
	s_delay_alu instid0(SALU_CYCLE_1)
	s_or_b32 s18, s2, s18
.LBB1577_371:                           ;   in Loop: Header=BB1577_372 Depth=1
	v_dual_mov_b32 v40, s7 :: v_dual_mov_b32 v39, s6
	s_and_b32 s2, exec_lo, s18
	s_delay_alu instid0(SALU_CYCLE_1) | instskip(NEXT) | instid1(SALU_CYCLE_1)
	s_or_b32 s9, s2, s9
	s_and_not1_b32 exec_lo, exec_lo, s9
	s_cbranch_execz .LBB1577_374
.LBB1577_372:                           ; =>This Inner Loop Header: Depth=1
	s_or_b32 s18, s18, exec_lo
	s_cmp_eq_u64 s[4:5], s[6:7]
	s_cbranch_scc0 .LBB1577_370
; %bb.373:                              ;   in Loop: Header=BB1577_372 Depth=1
	s_mov_b64 s[6:7], s[22:23]
                                        ; implicit-def: $vgpr35_vgpr36
                                        ; implicit-def: $vgpr37_vgpr38
	s_branch .LBB1577_371
.LBB1577_374:
	s_set_inst_prefetch_distance 0x2
	s_or_b32 exec_lo, exec_lo, s9
	v_cmp_gt_i64_e32 vcc_lo, s[22:23], v[39:40]
	s_or_not1_b32 s2, vcc_lo, exec_lo
.LBB1577_375:
	s_or_b32 exec_lo, exec_lo, s8
.LBB1577_376:
	s_delay_alu instid0(SALU_CYCLE_1)
	s_and_b32 s2, s2, exec_lo
.LBB1577_377:
	s_or_b32 exec_lo, exec_lo, s25
	s_delay_alu instid0(SALU_CYCLE_1)
	s_and_b32 s2, s2, exec_lo
	s_or_b32 s3, s3, exec_lo
.LBB1577_378:
	s_or_b32 exec_lo, exec_lo, s19
.LBB1577_379:
	s_and_saveexec_b32 s4, s3
; %bb.380:
	v_and_b32_e32 v35, 0xffffff00, v33
	v_cndmask_b32_e64 v36, 0, 1, s2
	s_delay_alu instid0(VALU_DEP_1) | instskip(NEXT) | instid1(VALU_DEP_1)
	v_or_b32_e32 v35, v36, v35
	v_and_b32_e32 v35, 0xffff, v35
	s_delay_alu instid0(VALU_DEP_1)
	v_and_or_b32 v33, 0xffff0000, v33, v35
; %bb.381:
	s_or_b32 exec_lo, exec_lo, s4
	s_delay_alu instid0(SALU_CYCLE_1)
	s_and_not1_b32 vcc_lo, exec_lo, s21
	s_cbranch_vccnz .LBB1577_383
; %bb.382:
	v_cmp_gt_u32_e32 vcc_lo, s28, v55
	v_or_b32_e32 v36, 1, v55
	v_and_b32_e32 v37, 0xffffff00, v34
	v_or_b32_e32 v38, 2, v55
	v_cndmask_b32_e32 v35, 0, v33, vcc_lo
	s_delay_alu instid0(VALU_DEP_4) | instskip(SKIP_1) | instid1(VALU_DEP_4)
	v_cmp_gt_u32_e32 vcc_lo, s28, v36
	v_or_b32_e32 v36, 4, v55
	v_cmp_gt_u32_e64 s2, s28, v38
	v_or_b32_e32 v38, 3, v55
	v_and_b32_e32 v35, 0xff, v35
	s_delay_alu instid0(VALU_DEP_2) | instskip(NEXT) | instid1(VALU_DEP_2)
	v_cmp_gt_u32_e64 s3, s28, v38
	v_cndmask_b32_e32 v35, v35, v33, vcc_lo
	v_cmp_gt_u32_e32 vcc_lo, s28, v36
	v_cndmask_b32_e32 v36, v37, v34, vcc_lo
	v_or_b32_e32 v37, 5, v55
	s_delay_alu instid0(VALU_DEP_2) | instskip(SKIP_1) | instid1(VALU_DEP_1)
	v_and_b32_e32 v36, 0xffff00ff, v36
	v_and_b32_e32 v35, 0xffff, v35
	v_cndmask_b32_e64 v35, v35, v33, s2
	s_delay_alu instid0(VALU_DEP_4) | instskip(SKIP_1) | instid1(VALU_DEP_3)
	v_cmp_gt_u32_e64 s2, s28, v37
	v_or_b32_e32 v37, 6, v55
	v_and_b32_e32 v35, 0xffffff, v35
	s_delay_alu instid0(VALU_DEP_3) | instskip(NEXT) | instid1(VALU_DEP_2)
	v_cndmask_b32_e64 v36, v36, v34, s2
	v_cndmask_b32_e64 v35, v35, v33, s3
	s_delay_alu instid0(VALU_DEP_1) | instskip(SKIP_2) | instid1(VALU_DEP_3)
	v_dual_cndmask_b32 v35, v35, v33 :: v_dual_and_b32 v36, 0xff00ffff, v36
	v_cmp_gt_u32_e32 vcc_lo, s28, v37
	v_or_b32_e32 v37, 7, v55
	v_cndmask_b32_e64 v35, v35, v33, s2
	s_delay_alu instid0(VALU_DEP_1) | instskip(NEXT) | instid1(VALU_DEP_1)
	v_dual_cndmask_b32 v36, v36, v34 :: v_dual_cndmask_b32 v35, v35, v33
	v_and_b32_e32 v36, 0xffffff, v36
	s_delay_alu instid0(VALU_DEP_4) | instskip(NEXT) | instid1(VALU_DEP_2)
	v_cmp_gt_u32_e32 vcc_lo, s28, v37
	v_dual_cndmask_b32 v34, v36, v34 :: v_dual_cndmask_b32 v33, v35, v33
.LBB1577_383:
	s_delay_alu instid0(VALU_DEP_1) | instskip(NEXT) | instid1(VALU_DEP_2)
	v_and_b32_e32 v42, 0xff, v33
	v_alignbit_b32 v35, v34, v33, 24
	v_bfe_u32 v44, v33, 8, 8
	v_bfe_u32 v46, v33, 16, 8
	v_and_b32_e32 v50, 0xff, v34
	v_bfe_u32 v52, v34, 8, 8
	v_and_b32_e32 v48, 0xff, v35
	v_add_nc_u32_e32 v35, v44, v42
	v_mbcnt_lo_u32_b32 v57, -1, 0
	v_bfe_u32 v54, v34, 16, 8
	v_lshrrev_b32_e32 v56, 24, v34
	v_lshrrev_b32_e32 v58, 5, v0
	v_add3_u32 v35, v35, v46, v48
	v_and_b32_e32 v36, 15, v57
	v_and_b32_e32 v37, 16, v57
	s_and_b32 vcc_lo, exec_lo, s24
	s_mov_b32 s9, -1
	v_add3_u32 v35, v35, v50, v52
	v_cmp_eq_u32_e64 s4, 0, v36
	v_cmp_lt_u32_e64 s2, 1, v36
	v_cmp_lt_u32_e64 s5, 3, v36
	;; [unrolled: 1-line block ×3, first 2 shown]
	v_add3_u32 v59, v35, v54, v56
	v_or_b32_e32 v35, 31, v0
	v_cmp_eq_u32_e64 s7, 0, v37
	s_waitcnt lgkmcnt(0)
	s_barrier
	buffer_gl0_inv
	v_cmp_eq_u32_e64 s6, v35, v0
	s_cbranch_vccz .LBB1577_409
; %bb.384:
	v_mov_b32_dpp v35, v59 row_shr:1 row_mask:0xf bank_mask:0xf
	s_delay_alu instid0(VALU_DEP_1) | instskip(NEXT) | instid1(VALU_DEP_1)
	v_cndmask_b32_e64 v35, v35, 0, s4
	v_add_nc_u32_e32 v35, v35, v59
	s_delay_alu instid0(VALU_DEP_1) | instskip(NEXT) | instid1(VALU_DEP_1)
	v_mov_b32_dpp v36, v35 row_shr:2 row_mask:0xf bank_mask:0xf
	v_cndmask_b32_e64 v36, 0, v36, s2
	s_delay_alu instid0(VALU_DEP_1) | instskip(NEXT) | instid1(VALU_DEP_1)
	v_add_nc_u32_e32 v35, v35, v36
	v_mov_b32_dpp v36, v35 row_shr:4 row_mask:0xf bank_mask:0xf
	s_delay_alu instid0(VALU_DEP_1) | instskip(NEXT) | instid1(VALU_DEP_1)
	v_cndmask_b32_e64 v36, 0, v36, s5
	v_add_nc_u32_e32 v35, v35, v36
	s_delay_alu instid0(VALU_DEP_1) | instskip(NEXT) | instid1(VALU_DEP_1)
	v_mov_b32_dpp v36, v35 row_shr:8 row_mask:0xf bank_mask:0xf
	v_cndmask_b32_e64 v36, 0, v36, s3
	s_delay_alu instid0(VALU_DEP_1) | instskip(SKIP_3) | instid1(VALU_DEP_1)
	v_add_nc_u32_e32 v35, v35, v36
	ds_swizzle_b32 v36, v35 offset:swizzle(BROADCAST,32,15)
	s_waitcnt lgkmcnt(0)
	v_cndmask_b32_e64 v36, v36, 0, s7
	v_add_nc_u32_e32 v35, v35, v36
	s_and_saveexec_b32 s8, s6
	s_cbranch_execz .LBB1577_386
; %bb.385:
	v_lshlrev_b32_e32 v36, 2, v58
	ds_store_b32 v36, v35
.LBB1577_386:
	s_or_b32 exec_lo, exec_lo, s8
	s_delay_alu instid0(SALU_CYCLE_1)
	s_mov_b32 s8, exec_lo
	s_waitcnt lgkmcnt(0)
	s_barrier
	buffer_gl0_inv
	v_cmpx_gt_u32_e32 16, v0
	s_cbranch_execz .LBB1577_388
; %bb.387:
	v_lshlrev_b32_e32 v36, 2, v0
	ds_load_b32 v37, v36
	s_waitcnt lgkmcnt(0)
	v_mov_b32_dpp v38, v37 row_shr:1 row_mask:0xf bank_mask:0xf
	s_delay_alu instid0(VALU_DEP_1) | instskip(NEXT) | instid1(VALU_DEP_1)
	v_cndmask_b32_e64 v38, v38, 0, s4
	v_add_nc_u32_e32 v37, v38, v37
	s_delay_alu instid0(VALU_DEP_1) | instskip(NEXT) | instid1(VALU_DEP_1)
	v_mov_b32_dpp v38, v37 row_shr:2 row_mask:0xf bank_mask:0xf
	v_cndmask_b32_e64 v38, 0, v38, s2
	s_delay_alu instid0(VALU_DEP_1) | instskip(NEXT) | instid1(VALU_DEP_1)
	v_add_nc_u32_e32 v37, v37, v38
	v_mov_b32_dpp v38, v37 row_shr:4 row_mask:0xf bank_mask:0xf
	s_delay_alu instid0(VALU_DEP_1) | instskip(NEXT) | instid1(VALU_DEP_1)
	v_cndmask_b32_e64 v38, 0, v38, s5
	v_add_nc_u32_e32 v37, v37, v38
	s_delay_alu instid0(VALU_DEP_1) | instskip(NEXT) | instid1(VALU_DEP_1)
	v_mov_b32_dpp v38, v37 row_shr:8 row_mask:0xf bank_mask:0xf
	v_cndmask_b32_e64 v38, 0, v38, s3
	s_delay_alu instid0(VALU_DEP_1)
	v_add_nc_u32_e32 v37, v37, v38
	ds_store_b32 v36, v37
.LBB1577_388:
	s_or_b32 exec_lo, exec_lo, s8
	v_cmp_gt_u32_e32 vcc_lo, 32, v0
	s_mov_b32 s9, exec_lo
	s_waitcnt lgkmcnt(0)
	s_barrier
	buffer_gl0_inv
                                        ; implicit-def: $vgpr43
	v_cmpx_lt_u32_e32 31, v0
	s_cbranch_execz .LBB1577_390
; %bb.389:
	v_lshl_add_u32 v36, v58, 2, -4
	ds_load_b32 v43, v36
	s_waitcnt lgkmcnt(0)
	v_add_nc_u32_e32 v35, v43, v35
.LBB1577_390:
	s_or_b32 exec_lo, exec_lo, s9
	v_add_nc_u32_e32 v36, -1, v57
	s_delay_alu instid0(VALU_DEP_1) | instskip(NEXT) | instid1(VALU_DEP_1)
	v_cmp_gt_i32_e64 s8, 0, v36
	v_cndmask_b32_e64 v36, v36, v57, s8
	v_cmp_eq_u32_e64 s8, 0, v57
	s_delay_alu instid0(VALU_DEP_2)
	v_lshlrev_b32_e32 v36, 2, v36
	ds_bpermute_b32 v45, v36, v35
	s_and_saveexec_b32 s9, vcc_lo
	s_cbranch_execz .LBB1577_408
; %bb.391:
	v_mov_b32_e32 v38, 0
	ds_load_b32 v35, v38 offset:60
	s_and_saveexec_b32 s18, s8
	s_cbranch_execz .LBB1577_393
; %bb.392:
	s_add_i32 s22, s15, 32
	s_mov_b32 s23, 0
	v_mov_b32_e32 v36, 1
	s_lshl_b64 s[22:23], s[22:23], 3
	s_delay_alu instid0(SALU_CYCLE_1)
	s_add_u32 s22, s10, s22
	s_addc_u32 s23, s11, s23
	s_waitcnt lgkmcnt(0)
	global_store_b64 v38, v[35:36], s[22:23]
.LBB1577_393:
	s_or_b32 exec_lo, exec_lo, s18
	v_xad_u32 v36, v57, -1, s15
	s_mov_b32 s19, 0
	s_mov_b32 s18, exec_lo
	s_delay_alu instid0(VALU_DEP_1) | instskip(NEXT) | instid1(VALU_DEP_1)
	v_add_nc_u32_e32 v37, 32, v36
	v_lshlrev_b64 v[37:38], 3, v[37:38]
	s_delay_alu instid0(VALU_DEP_1) | instskip(NEXT) | instid1(VALU_DEP_2)
	v_add_co_u32 v40, vcc_lo, s10, v37
	v_add_co_ci_u32_e32 v41, vcc_lo, s11, v38, vcc_lo
	global_load_b64 v[38:39], v[40:41], off glc
	s_waitcnt vmcnt(0)
	v_and_b32_e32 v37, 0xff, v39
	s_delay_alu instid0(VALU_DEP_1)
	v_cmpx_eq_u16_e32 0, v37
	s_cbranch_execz .LBB1577_396
.LBB1577_394:                           ; =>This Inner Loop Header: Depth=1
	global_load_b64 v[38:39], v[40:41], off glc
	s_waitcnt vmcnt(0)
	v_and_b32_e32 v37, 0xff, v39
	s_delay_alu instid0(VALU_DEP_1) | instskip(SKIP_1) | instid1(SALU_CYCLE_1)
	v_cmp_ne_u16_e32 vcc_lo, 0, v37
	s_or_b32 s19, vcc_lo, s19
	s_and_not1_b32 exec_lo, exec_lo, s19
	s_cbranch_execnz .LBB1577_394
; %bb.395:
	s_or_b32 exec_lo, exec_lo, s19
.LBB1577_396:
	s_delay_alu instid0(SALU_CYCLE_1)
	s_or_b32 exec_lo, exec_lo, s18
	v_cmp_ne_u32_e32 vcc_lo, 31, v57
	v_lshlrev_b32_e64 v49, v57, -1
	v_add_nc_u32_e32 v53, 2, v57
	v_add_nc_u32_e32 v62, 4, v57
	;; [unrolled: 1-line block ×3, first 2 shown]
	v_add_co_ci_u32_e32 v37, vcc_lo, 0, v57, vcc_lo
	v_add_nc_u32_e32 v66, 16, v57
	s_delay_alu instid0(VALU_DEP_2)
	v_lshlrev_b32_e32 v47, 2, v37
	v_and_b32_e32 v37, 0xff, v39
	ds_bpermute_b32 v40, v47, v38
	v_cmp_eq_u16_e32 vcc_lo, 2, v37
	v_and_or_b32 v37, vcc_lo, v49, 0x80000000
	v_cmp_gt_u32_e32 vcc_lo, 30, v57
	s_delay_alu instid0(VALU_DEP_2) | instskip(SKIP_1) | instid1(VALU_DEP_2)
	v_ctz_i32_b32_e32 v37, v37
	v_cndmask_b32_e64 v41, 0, 1, vcc_lo
	v_cmp_lt_u32_e32 vcc_lo, v57, v37
	s_waitcnt lgkmcnt(0)
	s_delay_alu instid0(VALU_DEP_2) | instskip(NEXT) | instid1(VALU_DEP_1)
	v_dual_cndmask_b32 v40, 0, v40 :: v_dual_lshlrev_b32 v41, 1, v41
	v_add_lshl_u32 v51, v41, v57, 2
	v_cmp_gt_u32_e32 vcc_lo, 28, v57
	s_delay_alu instid0(VALU_DEP_3) | instskip(SKIP_4) | instid1(VALU_DEP_1)
	v_add_nc_u32_e32 v38, v40, v38
	v_cndmask_b32_e64 v41, 0, 1, vcc_lo
	v_cmp_le_u32_e32 vcc_lo, v53, v37
	ds_bpermute_b32 v40, v51, v38
	v_lshlrev_b32_e32 v41, 2, v41
	v_add_lshl_u32 v60, v41, v57, 2
	s_waitcnt lgkmcnt(0)
	v_cndmask_b32_e32 v40, 0, v40, vcc_lo
	v_cmp_gt_u32_e32 vcc_lo, 24, v57
	s_delay_alu instid0(VALU_DEP_2) | instskip(SKIP_4) | instid1(VALU_DEP_1)
	v_add_nc_u32_e32 v38, v38, v40
	v_cndmask_b32_e64 v41, 0, 1, vcc_lo
	v_cmp_le_u32_e32 vcc_lo, v62, v37
	ds_bpermute_b32 v40, v60, v38
	v_lshlrev_b32_e32 v41, 3, v41
	v_add_lshl_u32 v63, v41, v57, 2
	s_waitcnt lgkmcnt(0)
	v_cndmask_b32_e32 v40, 0, v40, vcc_lo
	v_cmp_gt_u32_e32 vcc_lo, 16, v57
	s_delay_alu instid0(VALU_DEP_2) | instskip(SKIP_4) | instid1(VALU_DEP_1)
	v_add_nc_u32_e32 v38, v38, v40
	v_cndmask_b32_e64 v41, 0, 1, vcc_lo
	v_cmp_le_u32_e32 vcc_lo, v64, v37
	ds_bpermute_b32 v40, v63, v38
	v_lshlrev_b32_e32 v41, 4, v41
	v_add_lshl_u32 v65, v41, v57, 2
	s_waitcnt lgkmcnt(0)
	v_cndmask_b32_e32 v40, 0, v40, vcc_lo
	v_cmp_le_u32_e32 vcc_lo, v66, v37
	s_delay_alu instid0(VALU_DEP_2) | instskip(SKIP_3) | instid1(VALU_DEP_1)
	v_add_nc_u32_e32 v38, v38, v40
	ds_bpermute_b32 v40, v65, v38
	s_waitcnt lgkmcnt(0)
	v_cndmask_b32_e32 v37, 0, v40, vcc_lo
	v_dual_mov_b32 v37, 0 :: v_dual_add_nc_u32 v38, v38, v37
	s_branch .LBB1577_398
.LBB1577_397:                           ;   in Loop: Header=BB1577_398 Depth=1
	s_or_b32 exec_lo, exec_lo, s18
	ds_bpermute_b32 v41, v47, v38
	v_and_b32_e32 v40, 0xff, v39
	v_subrev_nc_u32_e32 v36, 32, v36
	s_delay_alu instid0(VALU_DEP_2) | instskip(SKIP_1) | instid1(VALU_DEP_1)
	v_cmp_eq_u16_e32 vcc_lo, 2, v40
	v_and_or_b32 v40, vcc_lo, v49, 0x80000000
	v_ctz_i32_b32_e32 v40, v40
	s_delay_alu instid0(VALU_DEP_1) | instskip(SKIP_3) | instid1(VALU_DEP_2)
	v_cmp_lt_u32_e32 vcc_lo, v57, v40
	s_waitcnt lgkmcnt(0)
	v_cndmask_b32_e32 v41, 0, v41, vcc_lo
	v_cmp_le_u32_e32 vcc_lo, v53, v40
	v_add_nc_u32_e32 v38, v41, v38
	ds_bpermute_b32 v41, v51, v38
	s_waitcnt lgkmcnt(0)
	v_cndmask_b32_e32 v41, 0, v41, vcc_lo
	v_cmp_le_u32_e32 vcc_lo, v62, v40
	s_delay_alu instid0(VALU_DEP_2) | instskip(SKIP_4) | instid1(VALU_DEP_2)
	v_add_nc_u32_e32 v38, v38, v41
	ds_bpermute_b32 v41, v60, v38
	s_waitcnt lgkmcnt(0)
	v_cndmask_b32_e32 v41, 0, v41, vcc_lo
	v_cmp_le_u32_e32 vcc_lo, v64, v40
	v_add_nc_u32_e32 v38, v38, v41
	ds_bpermute_b32 v41, v63, v38
	s_waitcnt lgkmcnt(0)
	v_cndmask_b32_e32 v41, 0, v41, vcc_lo
	v_cmp_le_u32_e32 vcc_lo, v66, v40
	s_delay_alu instid0(VALU_DEP_2) | instskip(SKIP_3) | instid1(VALU_DEP_1)
	v_add_nc_u32_e32 v38, v38, v41
	ds_bpermute_b32 v41, v65, v38
	s_waitcnt lgkmcnt(0)
	v_cndmask_b32_e32 v40, 0, v41, vcc_lo
	v_add3_u32 v38, v40, v61, v38
.LBB1577_398:                           ; =>This Loop Header: Depth=1
                                        ;     Child Loop BB1577_401 Depth 2
	v_and_b32_e32 v39, 0xff, v39
	s_delay_alu instid0(VALU_DEP_2) | instskip(NEXT) | instid1(VALU_DEP_2)
	v_mov_b32_e32 v61, v38
	v_cmp_ne_u16_e32 vcc_lo, 2, v39
	v_cndmask_b32_e64 v39, 0, 1, vcc_lo
	;;#ASMSTART
	;;#ASMEND
	s_delay_alu instid0(VALU_DEP_1)
	v_cmp_ne_u32_e32 vcc_lo, 0, v39
	s_cmp_lg_u32 vcc_lo, exec_lo
	s_cbranch_scc1 .LBB1577_403
; %bb.399:                              ;   in Loop: Header=BB1577_398 Depth=1
	v_lshlrev_b64 v[38:39], 3, v[36:37]
	s_mov_b32 s18, exec_lo
	s_delay_alu instid0(VALU_DEP_1) | instskip(NEXT) | instid1(VALU_DEP_2)
	v_add_co_u32 v40, vcc_lo, s10, v38
	v_add_co_ci_u32_e32 v41, vcc_lo, s11, v39, vcc_lo
	global_load_b64 v[38:39], v[40:41], off glc
	s_waitcnt vmcnt(0)
	v_and_b32_e32 v67, 0xff, v39
	s_delay_alu instid0(VALU_DEP_1)
	v_cmpx_eq_u16_e32 0, v67
	s_cbranch_execz .LBB1577_397
; %bb.400:                              ;   in Loop: Header=BB1577_398 Depth=1
	s_mov_b32 s19, 0
.LBB1577_401:                           ;   Parent Loop BB1577_398 Depth=1
                                        ; =>  This Inner Loop Header: Depth=2
	global_load_b64 v[38:39], v[40:41], off glc
	s_waitcnt vmcnt(0)
	v_and_b32_e32 v67, 0xff, v39
	s_delay_alu instid0(VALU_DEP_1) | instskip(SKIP_1) | instid1(SALU_CYCLE_1)
	v_cmp_ne_u16_e32 vcc_lo, 0, v67
	s_or_b32 s19, vcc_lo, s19
	s_and_not1_b32 exec_lo, exec_lo, s19
	s_cbranch_execnz .LBB1577_401
; %bb.402:                              ;   in Loop: Header=BB1577_398 Depth=1
	s_or_b32 exec_lo, exec_lo, s19
	s_branch .LBB1577_397
.LBB1577_403:                           ;   in Loop: Header=BB1577_398 Depth=1
                                        ; implicit-def: $vgpr38
                                        ; implicit-def: $vgpr39
	s_cbranch_execz .LBB1577_398
; %bb.404:
	s_and_saveexec_b32 s18, s8
	s_cbranch_execz .LBB1577_406
; %bb.405:
	s_add_i32 s22, s15, 32
	s_mov_b32 s23, 0
	v_dual_mov_b32 v37, 2 :: v_dual_add_nc_u32 v36, v61, v35
	s_lshl_b64 s[22:23], s[22:23], 3
	v_mov_b32_e32 v38, 0
	v_add_nc_u32_e64 v39, 0x8400, 0
	s_add_u32 s22, s10, s22
	s_addc_u32 s23, s11, s23
	global_store_b64 v38, v[36:37], s[22:23]
	ds_store_2addr_b32 v39, v35, v61 offset1:2
.LBB1577_406:
	s_or_b32 exec_lo, exec_lo, s18
	v_cmp_eq_u32_e32 vcc_lo, 0, v0
	s_and_b32 exec_lo, exec_lo, vcc_lo
	s_cbranch_execz .LBB1577_408
; %bb.407:
	v_mov_b32_e32 v35, 0
	ds_store_b32 v35, v61 offset:60
.LBB1577_408:
	s_or_b32 exec_lo, exec_lo, s9
	s_waitcnt lgkmcnt(0)
	v_cndmask_b32_e64 v36, v45, v43, s8
	v_cmp_ne_u32_e32 vcc_lo, 0, v0
	v_mov_b32_e32 v35, 0
	s_waitcnt_vscnt null, 0x0
	s_barrier
	buffer_gl0_inv
	v_cndmask_b32_e32 v36, 0, v36, vcc_lo
	ds_load_b32 v35, v35 offset:60
	s_waitcnt lgkmcnt(0)
	s_barrier
	buffer_gl0_inv
	v_add_nc_u32_e32 v53, v35, v36
	v_add_nc_u32_e64 v35, 0x8400, 0
	s_delay_alu instid0(VALU_DEP_2) | instskip(SKIP_2) | instid1(VALU_DEP_1)
	v_add_nc_u32_e32 v51, v53, v42
	ds_load_2addr_b32 v[35:36], v35 offset1:2
	v_add_nc_u32_e32 v49, v51, v44
	v_add_nc_u32_e32 v47, v49, v46
	s_delay_alu instid0(VALU_DEP_1) | instskip(NEXT) | instid1(VALU_DEP_1)
	v_add_nc_u32_e32 v45, v47, v48
	v_add_nc_u32_e32 v43, v45, v50
	s_waitcnt lgkmcnt(0)
	v_readfirstlane_b32 s8, v36
	s_delay_alu instid0(VALU_DEP_2) | instskip(NEXT) | instid1(VALU_DEP_1)
	v_add_nc_u32_e32 v41, v43, v52
	v_add_nc_u32_e32 v39, v41, v54
	v_lshrrev_b64 v[37:38], 24, v[33:34]
	s_branch .LBB1577_419
.LBB1577_409:
                                        ; implicit-def: $vgpr39
                                        ; implicit-def: $vgpr41
                                        ; implicit-def: $vgpr43
                                        ; implicit-def: $vgpr45
                                        ; implicit-def: $vgpr47
                                        ; implicit-def: $vgpr49
                                        ; implicit-def: $vgpr51
                                        ; implicit-def: $vgpr53
                                        ; implicit-def: $sgpr8
                                        ; implicit-def: $vgpr35
	v_lshrrev_b64 v[37:38], 24, v[33:34]
	s_and_b32 vcc_lo, exec_lo, s9
	s_cbranch_vccz .LBB1577_419
; %bb.410:
	v_mov_b32_dpp v35, v59 row_shr:1 row_mask:0xf bank_mask:0xf
	s_delay_alu instid0(VALU_DEP_1) | instskip(NEXT) | instid1(VALU_DEP_1)
	v_cndmask_b32_e64 v35, v35, 0, s4
	v_add_nc_u32_e32 v35, v35, v59
	s_delay_alu instid0(VALU_DEP_1) | instskip(NEXT) | instid1(VALU_DEP_1)
	v_mov_b32_dpp v36, v35 row_shr:2 row_mask:0xf bank_mask:0xf
	v_cndmask_b32_e64 v36, 0, v36, s2
	s_delay_alu instid0(VALU_DEP_1) | instskip(NEXT) | instid1(VALU_DEP_1)
	v_add_nc_u32_e32 v35, v35, v36
	v_mov_b32_dpp v36, v35 row_shr:4 row_mask:0xf bank_mask:0xf
	s_delay_alu instid0(VALU_DEP_1) | instskip(NEXT) | instid1(VALU_DEP_1)
	v_cndmask_b32_e64 v36, 0, v36, s5
	v_add_nc_u32_e32 v35, v35, v36
	s_delay_alu instid0(VALU_DEP_1) | instskip(NEXT) | instid1(VALU_DEP_1)
	v_mov_b32_dpp v36, v35 row_shr:8 row_mask:0xf bank_mask:0xf
	v_cndmask_b32_e64 v36, 0, v36, s3
	s_delay_alu instid0(VALU_DEP_1) | instskip(SKIP_3) | instid1(VALU_DEP_1)
	v_add_nc_u32_e32 v35, v35, v36
	ds_swizzle_b32 v36, v35 offset:swizzle(BROADCAST,32,15)
	s_waitcnt lgkmcnt(0)
	v_cndmask_b32_e64 v36, v36, 0, s7
	v_add_nc_u32_e32 v35, v35, v36
	s_and_saveexec_b32 s7, s6
	s_cbranch_execz .LBB1577_412
; %bb.411:
	v_lshlrev_b32_e32 v36, 2, v58
	ds_store_b32 v36, v35
.LBB1577_412:
	s_or_b32 exec_lo, exec_lo, s7
	s_delay_alu instid0(SALU_CYCLE_1)
	s_mov_b32 s6, exec_lo
	s_waitcnt lgkmcnt(0)
	s_barrier
	buffer_gl0_inv
	v_cmpx_gt_u32_e32 16, v0
	s_cbranch_execz .LBB1577_414
; %bb.413:
	v_lshlrev_b32_e32 v36, 2, v0
	ds_load_b32 v38, v36
	s_waitcnt lgkmcnt(0)
	v_mov_b32_dpp v39, v38 row_shr:1 row_mask:0xf bank_mask:0xf
	s_delay_alu instid0(VALU_DEP_1) | instskip(NEXT) | instid1(VALU_DEP_1)
	v_cndmask_b32_e64 v39, v39, 0, s4
	v_add_nc_u32_e32 v38, v39, v38
	s_delay_alu instid0(VALU_DEP_1) | instskip(NEXT) | instid1(VALU_DEP_1)
	v_mov_b32_dpp v39, v38 row_shr:2 row_mask:0xf bank_mask:0xf
	v_cndmask_b32_e64 v39, 0, v39, s2
	s_delay_alu instid0(VALU_DEP_1) | instskip(NEXT) | instid1(VALU_DEP_1)
	v_add_nc_u32_e32 v38, v38, v39
	v_mov_b32_dpp v39, v38 row_shr:4 row_mask:0xf bank_mask:0xf
	s_delay_alu instid0(VALU_DEP_1) | instskip(NEXT) | instid1(VALU_DEP_1)
	v_cndmask_b32_e64 v39, 0, v39, s5
	v_add_nc_u32_e32 v38, v38, v39
	s_delay_alu instid0(VALU_DEP_1) | instskip(NEXT) | instid1(VALU_DEP_1)
	v_mov_b32_dpp v39, v38 row_shr:8 row_mask:0xf bank_mask:0xf
	v_cndmask_b32_e64 v39, 0, v39, s3
	s_delay_alu instid0(VALU_DEP_1)
	v_add_nc_u32_e32 v38, v38, v39
	ds_store_b32 v36, v38
.LBB1577_414:
	s_or_b32 exec_lo, exec_lo, s6
	v_mov_b32_e32 v36, 0
	v_mov_b32_e32 v38, 0
	s_mov_b32 s2, exec_lo
	s_waitcnt lgkmcnt(0)
	s_barrier
	buffer_gl0_inv
	v_cmpx_lt_u32_e32 31, v0
	s_cbranch_execz .LBB1577_416
; %bb.415:
	v_lshl_add_u32 v38, v58, 2, -4
	ds_load_b32 v38, v38
.LBB1577_416:
	s_or_b32 exec_lo, exec_lo, s2
	v_add_nc_u32_e32 v39, -1, v57
	s_waitcnt lgkmcnt(0)
	v_add_nc_u32_e32 v35, v38, v35
	s_mov_b32 s8, 0
	s_delay_alu instid0(VALU_DEP_2) | instskip(SKIP_2) | instid1(VALU_DEP_2)
	v_cmp_gt_i32_e32 vcc_lo, 0, v39
	v_cndmask_b32_e32 v39, v39, v57, vcc_lo
	v_cmp_eq_u32_e32 vcc_lo, 0, v0
	v_lshlrev_b32_e32 v39, 2, v39
	ds_bpermute_b32 v39, v39, v35
	ds_load_b32 v35, v36 offset:60
	s_and_saveexec_b32 s2, vcc_lo
	s_cbranch_execz .LBB1577_418
; %bb.417:
	v_mov_b32_e32 v40, 0
	v_mov_b32_e32 v36, 2
	s_waitcnt lgkmcnt(0)
	global_store_b64 v40, v[35:36], s[10:11] offset:256
.LBB1577_418:
	s_or_b32 exec_lo, exec_lo, s2
	v_cmp_eq_u32_e64 s2, 0, v57
	s_waitcnt lgkmcnt(0)
	s_waitcnt_vscnt null, 0x0
	s_barrier
	buffer_gl0_inv
	v_cndmask_b32_e64 v36, v39, v38, s2
	s_delay_alu instid0(VALU_DEP_1) | instskip(NEXT) | instid1(VALU_DEP_1)
	v_cndmask_b32_e64 v53, v36, 0, vcc_lo
	v_add_nc_u32_e32 v51, v53, v42
	s_delay_alu instid0(VALU_DEP_1) | instskip(NEXT) | instid1(VALU_DEP_1)
	v_add_nc_u32_e32 v49, v51, v44
	v_add_nc_u32_e32 v47, v49, v46
	s_delay_alu instid0(VALU_DEP_1) | instskip(NEXT) | instid1(VALU_DEP_1)
	v_add_nc_u32_e32 v45, v47, v48
	;; [unrolled: 3-line block ×3, first 2 shown]
	v_add_nc_u32_e32 v39, v41, v54
.LBB1577_419:
	s_load_b128 s[4:7], s[0:1], 0x28
	v_add_nc_u32_e32 v59, s8, v35
	v_cmp_gt_u32_e64 s0, 0x201, v35
	v_lshrrev_b32_e32 v58, 8, v33
	v_lshrrev_b32_e32 v57, 16, v33
	;; [unrolled: 1-line block ×4, first 2 shown]
	v_cmp_lt_u32_e64 s1, v53, v59
	s_and_b32 vcc_lo, exec_lo, s0
	s_mov_b32 s2, -1
	s_cbranch_vccz .LBB1577_445
; %bb.420:
	s_delay_alu instid0(VALU_DEP_1) | instskip(NEXT) | instid1(SALU_CYCLE_1)
	s_or_b32 s2, s20, s1
	s_and_saveexec_b32 s1, s2
	s_cbranch_execz .LBB1577_423
; %bb.421:
	v_and_b32_e32 v40, 1, v33
	s_delay_alu instid0(VALU_DEP_1)
	v_cmp_eq_u32_e32 vcc_lo, 1, v40
	s_and_b32 exec_lo, exec_lo, vcc_lo
	s_cbranch_execz .LBB1577_423
; %bb.422:
	v_mov_b32_e32 v54, 0
	s_lshl_b64 s[2:3], s[12:13], 3
	s_waitcnt lgkmcnt(0)
	s_add_u32 s2, s4, s2
	s_addc_u32 s3, s5, s3
	v_lshlrev_b64 v[60:61], 3, v[53:54]
	s_delay_alu instid0(VALU_DEP_1) | instskip(NEXT) | instid1(VALU_DEP_2)
	v_add_co_u32 v60, vcc_lo, s2, v60
	v_add_co_ci_u32_e32 v61, vcc_lo, s3, v61, vcc_lo
	global_store_b64 v[60:61], v[29:30], off
.LBB1577_423:
	s_or_b32 exec_lo, exec_lo, s1
	v_cmp_lt_u32_e32 vcc_lo, v51, v59
	s_or_b32 s2, s20, vcc_lo
	s_delay_alu instid0(SALU_CYCLE_1)
	s_and_saveexec_b32 s1, s2
	s_cbranch_execz .LBB1577_426
; %bb.424:
	v_and_b32_e32 v40, 1, v58
	s_delay_alu instid0(VALU_DEP_1)
	v_cmp_eq_u32_e32 vcc_lo, 1, v40
	s_and_b32 exec_lo, exec_lo, vcc_lo
	s_cbranch_execz .LBB1577_426
; %bb.425:
	v_mov_b32_e32 v52, 0
	s_lshl_b64 s[2:3], s[12:13], 3
	s_waitcnt lgkmcnt(0)
	s_add_u32 s2, s4, s2
	s_addc_u32 s3, s5, s3
	v_lshlrev_b64 v[60:61], 3, v[51:52]
	s_delay_alu instid0(VALU_DEP_1) | instskip(NEXT) | instid1(VALU_DEP_2)
	v_add_co_u32 v60, vcc_lo, s2, v60
	v_add_co_ci_u32_e32 v61, vcc_lo, s3, v61, vcc_lo
	global_store_b64 v[60:61], v[31:32], off
.LBB1577_426:
	s_or_b32 exec_lo, exec_lo, s1
	v_cmp_lt_u32_e32 vcc_lo, v49, v59
	s_or_b32 s2, s20, vcc_lo
	s_delay_alu instid0(SALU_CYCLE_1)
	;; [unrolled: 24-line block ×7, first 2 shown]
	s_and_saveexec_b32 s1, s2
	s_cbranch_execz .LBB1577_444
; %bb.442:
	v_and_b32_e32 v40, 1, v56
	s_delay_alu instid0(VALU_DEP_1)
	v_cmp_eq_u32_e32 vcc_lo, 1, v40
	s_and_b32 exec_lo, exec_lo, vcc_lo
	s_cbranch_execz .LBB1577_444
; %bb.443:
	v_mov_b32_e32 v40, 0
	s_lshl_b64 s[2:3], s[12:13], 3
	s_waitcnt lgkmcnt(0)
	s_add_u32 s2, s4, s2
	s_addc_u32 s3, s5, s3
	v_lshlrev_b64 v[60:61], 3, v[39:40]
	s_delay_alu instid0(VALU_DEP_1) | instskip(NEXT) | instid1(VALU_DEP_2)
	v_add_co_u32 v60, vcc_lo, s2, v60
	v_add_co_ci_u32_e32 v61, vcc_lo, s3, v61, vcc_lo
	global_store_b64 v[60:61], v[19:20], off
.LBB1577_444:
	s_or_b32 exec_lo, exec_lo, s1
	s_mov_b32 s2, 0
.LBB1577_445:
	v_and_b32_e32 v33, 1, v33
	s_and_b32 vcc_lo, exec_lo, s2
	s_delay_alu instid0(VALU_DEP_1)
	v_cmp_eq_u32_e64 s1, 1, v33
	s_cbranch_vccz .LBB1577_466
; %bb.446:
	s_delay_alu instid0(VALU_DEP_1)
	s_and_saveexec_b32 s2, s1
	s_cbranch_execz .LBB1577_448
; %bb.447:
	v_subrev_nc_u32_e32 v40, s8, v53
	s_delay_alu instid0(VALU_DEP_1)
	v_lshlrev_b32_e32 v40, 3, v40
	ds_store_b64 v40, v[29:30]
.LBB1577_448:
	s_or_b32 exec_lo, exec_lo, s2
	v_and_b32_e32 v29, 1, v58
	s_mov_b32 s1, exec_lo
	s_delay_alu instid0(VALU_DEP_1)
	v_cmpx_eq_u32_e32 1, v29
	s_cbranch_execz .LBB1577_450
; %bb.449:
	v_subrev_nc_u32_e32 v29, s8, v51
	s_delay_alu instid0(VALU_DEP_1)
	v_lshlrev_b32_e32 v29, 3, v29
	ds_store_b64 v29, v[31:32]
.LBB1577_450:
	s_or_b32 exec_lo, exec_lo, s1
	v_and_b32_e32 v29, 1, v57
	s_mov_b32 s1, exec_lo
	s_delay_alu instid0(VALU_DEP_1)
	v_cmpx_eq_u32_e32 1, v29
	;; [unrolled: 12-line block ×7, first 2 shown]
	s_cbranch_execz .LBB1577_462
; %bb.461:
	v_subrev_nc_u32_e32 v17, s8, v39
	s_delay_alu instid0(VALU_DEP_1)
	v_lshlrev_b32_e32 v17, 3, v17
	ds_store_b64 v17, v[19:20]
.LBB1577_462:
	s_or_b32 exec_lo, exec_lo, s1
	s_delay_alu instid0(SALU_CYCLE_1)
	s_mov_b32 s2, exec_lo
	s_waitcnt lgkmcnt(0)
	s_waitcnt_vscnt null, 0x0
	s_barrier
	buffer_gl0_inv
	v_cmpx_lt_u32_e64 v0, v35
	s_cbranch_execz .LBB1577_465
; %bb.463:
	s_mov_b32 s9, 0
	s_lshl_b64 s[10:11], s[12:13], 3
	s_lshl_b64 s[18:19], s[8:9], 3
	v_dual_mov_b32 v19, v55 :: v_dual_mov_b32 v20, v0
	s_add_u32 s1, s10, s18
	s_addc_u32 s3, s11, s19
	s_add_u32 s1, s4, s1
	s_addc_u32 s3, s5, s3
	v_add_co_u32 v17, s1, s1, v55
	s_delay_alu instid0(VALU_DEP_1)
	v_add_co_ci_u32_e64 v18, null, s3, 0, s1
	.p2align	6
.LBB1577_464:                           ; =>This Inner Loop Header: Depth=1
	ds_load_b64 v[21:22], v19
	v_add_nc_u32_e32 v20, 0x200, v20
	v_add_nc_u32_e32 v19, 0x1000, v19
	s_delay_alu instid0(VALU_DEP_2) | instskip(SKIP_4) | instid1(VALU_DEP_1)
	v_cmp_ge_u32_e32 vcc_lo, v20, v35
	s_or_b32 s9, vcc_lo, s9
	s_waitcnt lgkmcnt(0)
	global_store_b64 v[17:18], v[21:22], off
	v_add_co_u32 v17, s1, 0x1000, v17
	v_add_co_ci_u32_e64 v18, s1, 0, v18, s1
	s_and_not1_b32 exec_lo, exec_lo, s9
	s_cbranch_execnz .LBB1577_464
.LBB1577_465:
	s_or_b32 exec_lo, exec_lo, s2
.LBB1577_466:
	s_delay_alu instid0(SALU_CYCLE_1)
	s_and_b32 vcc_lo, exec_lo, s0
	s_mov_b32 s0, -1
	s_waitcnt lgkmcnt(0)
	s_waitcnt_vscnt null, 0x0
	s_barrier
	buffer_gl0_inv
	s_cbranch_vccz .LBB1577_494
; %bb.467:
	v_cmp_lt_u32_e32 vcc_lo, v53, v59
	s_or_b32 s1, s20, vcc_lo
	s_delay_alu instid0(SALU_CYCLE_1)
	s_and_saveexec_b32 s0, s1
	s_cbranch_execz .LBB1577_470
; %bb.468:
	v_cmp_eq_u32_e32 vcc_lo, 1, v33
	s_and_b32 exec_lo, exec_lo, vcc_lo
	s_cbranch_execz .LBB1577_470
; %bb.469:
	v_mov_b32_e32 v54, 0
	s_lshl_b64 s[2:3], s[12:13], 3
	s_delay_alu instid0(SALU_CYCLE_1) | instskip(SKIP_1) | instid1(VALU_DEP_1)
	s_add_u32 s1, s6, s2
	s_addc_u32 s2, s7, s3
	v_lshlrev_b64 v[17:18], 3, v[53:54]
	s_delay_alu instid0(VALU_DEP_1) | instskip(NEXT) | instid1(VALU_DEP_2)
	v_add_co_u32 v17, vcc_lo, s1, v17
	v_add_co_ci_u32_e32 v18, vcc_lo, s2, v18, vcc_lo
	global_store_b64 v[17:18], v[13:14], off
.LBB1577_470:
	s_or_b32 exec_lo, exec_lo, s0
	v_cmp_lt_u32_e32 vcc_lo, v51, v59
	s_or_b32 s1, s20, vcc_lo
	s_delay_alu instid0(SALU_CYCLE_1)
	s_and_saveexec_b32 s0, s1
	s_cbranch_execz .LBB1577_473
; %bb.471:
	v_and_b32_e32 v17, 1, v58
	s_delay_alu instid0(VALU_DEP_1)
	v_cmp_eq_u32_e32 vcc_lo, 1, v17
	s_and_b32 exec_lo, exec_lo, vcc_lo
	s_cbranch_execz .LBB1577_473
; %bb.472:
	v_mov_b32_e32 v52, 0
	s_lshl_b64 s[2:3], s[12:13], 3
	s_delay_alu instid0(SALU_CYCLE_1) | instskip(SKIP_1) | instid1(VALU_DEP_1)
	s_add_u32 s1, s6, s2
	s_addc_u32 s2, s7, s3
	v_lshlrev_b64 v[17:18], 3, v[51:52]
	s_delay_alu instid0(VALU_DEP_1) | instskip(NEXT) | instid1(VALU_DEP_2)
	v_add_co_u32 v17, vcc_lo, s1, v17
	v_add_co_ci_u32_e32 v18, vcc_lo, s2, v18, vcc_lo
	global_store_b64 v[17:18], v[15:16], off
.LBB1577_473:
	s_or_b32 exec_lo, exec_lo, s0
	v_cmp_lt_u32_e32 vcc_lo, v49, v59
	s_or_b32 s1, s20, vcc_lo
	s_delay_alu instid0(SALU_CYCLE_1)
	s_and_saveexec_b32 s0, s1
	s_cbranch_execz .LBB1577_476
; %bb.474:
	v_and_b32_e32 v17, 1, v57
	s_delay_alu instid0(VALU_DEP_1)
	v_cmp_eq_u32_e32 vcc_lo, 1, v17
	s_and_b32 exec_lo, exec_lo, vcc_lo
	s_cbranch_execz .LBB1577_476
; %bb.475:
	v_mov_b32_e32 v50, 0
	s_lshl_b64 s[2:3], s[12:13], 3
	s_delay_alu instid0(SALU_CYCLE_1) | instskip(SKIP_1) | instid1(VALU_DEP_1)
	s_add_u32 s1, s6, s2
	s_addc_u32 s2, s7, s3
	v_lshlrev_b64 v[17:18], 3, v[49:50]
	s_delay_alu instid0(VALU_DEP_1) | instskip(NEXT) | instid1(VALU_DEP_2)
	v_add_co_u32 v17, vcc_lo, s1, v17
	v_add_co_ci_u32_e32 v18, vcc_lo, s2, v18, vcc_lo
	global_store_b64 v[17:18], v[9:10], off
.LBB1577_476:
	;; [unrolled: 24-line block ×7, first 2 shown]
	s_or_b32 exec_lo, exec_lo, s0
.LBB1577_492:
	v_cmp_eq_u32_e32 vcc_lo, 0, v0
	s_and_b32 s0, vcc_lo, s14
	s_delay_alu instid0(SALU_CYCLE_1)
	s_and_saveexec_b32 s1, s0
	s_cbranch_execz .LBB1577_515
.LBB1577_493:
	v_add_co_u32 v0, s0, s12, v35
	s_delay_alu instid0(VALU_DEP_1) | instskip(SKIP_1) | instid1(VALU_DEP_3)
	v_add_co_ci_u32_e64 v1, null, s13, 0, s0
	v_mov_b32_e32 v2, 0
	v_add_co_u32 v0, vcc_lo, v0, s8
	s_delay_alu instid0(VALU_DEP_3)
	v_add_co_ci_u32_e32 v1, vcc_lo, 0, v1, vcc_lo
	global_store_b64 v2, v[0:1], s[16:17]
	s_nop 0
	s_sendmsg sendmsg(MSG_DEALLOC_VGPRS)
	s_endpgm
.LBB1577_494:
	s_and_b32 vcc_lo, exec_lo, s0
	s_cbranch_vccz .LBB1577_492
; %bb.495:
	s_mov_b32 s0, exec_lo
	v_cmpx_eq_u32_e32 1, v33
	s_cbranch_execz .LBB1577_497
; %bb.496:
	v_subrev_nc_u32_e32 v17, s8, v53
	s_delay_alu instid0(VALU_DEP_1)
	v_lshlrev_b32_e32 v17, 3, v17
	ds_store_b64 v17, v[13:14]
.LBB1577_497:
	s_or_b32 exec_lo, exec_lo, s0
	v_and_b32_e32 v13, 1, v58
	s_mov_b32 s0, exec_lo
	s_delay_alu instid0(VALU_DEP_1)
	v_cmpx_eq_u32_e32 1, v13
	s_cbranch_execz .LBB1577_499
; %bb.498:
	v_subrev_nc_u32_e32 v13, s8, v51
	s_delay_alu instid0(VALU_DEP_1)
	v_lshlrev_b32_e32 v13, 3, v13
	ds_store_b64 v13, v[15:16]
.LBB1577_499:
	s_or_b32 exec_lo, exec_lo, s0
	v_and_b32_e32 v13, 1, v57
	s_mov_b32 s0, exec_lo
	s_delay_alu instid0(VALU_DEP_1)
	;; [unrolled: 12-line block ×7, first 2 shown]
	v_cmpx_eq_u32_e32 1, v1
	s_cbranch_execz .LBB1577_511
; %bb.510:
	v_subrev_nc_u32_e32 v1, s8, v39
	s_delay_alu instid0(VALU_DEP_1)
	v_lshlrev_b32_e32 v1, 3, v1
	ds_store_b64 v1, v[3:4]
.LBB1577_511:
	s_or_b32 exec_lo, exec_lo, s0
	s_delay_alu instid0(SALU_CYCLE_1)
	s_mov_b32 s1, exec_lo
	s_waitcnt lgkmcnt(0)
	s_waitcnt_vscnt null, 0x0
	s_barrier
	buffer_gl0_inv
	v_cmpx_lt_u32_e64 v0, v35
	s_cbranch_execz .LBB1577_514
; %bb.512:
	s_mov_b32 s9, 0
	s_lshl_b64 s[2:3], s[12:13], 3
	s_lshl_b64 s[4:5], s[8:9], 3
	v_mov_b32_e32 v3, v0
	s_add_u32 s0, s2, s4
	s_addc_u32 s2, s3, s5
	s_add_u32 s0, s6, s0
	s_addc_u32 s2, s7, s2
	v_add_co_u32 v1, s0, s0, v55
	s_delay_alu instid0(VALU_DEP_1)
	v_add_co_ci_u32_e64 v2, null, s2, 0, s0
	.p2align	6
.LBB1577_513:                           ; =>This Inner Loop Header: Depth=1
	ds_load_b64 v[4:5], v55
	v_add_nc_u32_e32 v3, 0x200, v3
	v_add_nc_u32_e32 v55, 0x1000, v55
	s_delay_alu instid0(VALU_DEP_2) | instskip(SKIP_4) | instid1(VALU_DEP_1)
	v_cmp_ge_u32_e32 vcc_lo, v3, v35
	s_or_b32 s9, vcc_lo, s9
	s_waitcnt lgkmcnt(0)
	global_store_b64 v[1:2], v[4:5], off
	v_add_co_u32 v1, s0, 0x1000, v1
	v_add_co_ci_u32_e64 v2, s0, 0, v2, s0
	s_and_not1_b32 exec_lo, exec_lo, s9
	s_cbranch_execnz .LBB1577_513
.LBB1577_514:
	s_or_b32 exec_lo, exec_lo, s1
	v_cmp_eq_u32_e32 vcc_lo, 0, v0
	s_and_b32 s0, vcc_lo, s14
	s_delay_alu instid0(SALU_CYCLE_1)
	s_and_saveexec_b32 s1, s0
	s_cbranch_execnz .LBB1577_493
.LBB1577_515:
	s_nop 0
	s_sendmsg sendmsg(MSG_DEALLOC_VGPRS)
	s_endpgm
	.section	.rodata,"a",@progbits
	.p2align	6, 0x0
	.amdhsa_kernel _ZN7rocprim17ROCPRIM_400000_NS6detail17trampoline_kernelINS0_14default_configENS1_25partition_config_selectorILNS1_17partition_subalgoE9EllbEEZZNS1_14partition_implILS5_9ELb0ES3_jPlS8_PNS0_10empty_typeENS0_5tupleIJS8_S9_EEENSB_IJS8_SA_EEENS0_18inequality_wrapperIZN2at6native12_GLOBAL__N_124unique_dim_cuda_templateIjEESt5tupleIJNSF_6TensorESK_SK_EERKSK_lbbbEUlllE0_EEPmJS9_EEE10hipError_tPvRmT3_T4_T5_T6_T7_T9_mT8_P12ihipStream_tbDpT10_ENKUlT_T0_E_clISt17integral_constantIbLb0EES1A_EEDaS15_S16_EUlS15_E_NS1_11comp_targetILNS1_3genE9ELNS1_11target_archE1100ELNS1_3gpuE3ELNS1_3repE0EEENS1_30default_config_static_selectorELNS0_4arch9wavefront6targetE0EEEvT1_
		.amdhsa_group_segment_fixed_size 33804
		.amdhsa_private_segment_fixed_size 0
		.amdhsa_kernarg_size 120
		.amdhsa_user_sgpr_count 15
		.amdhsa_user_sgpr_dispatch_ptr 0
		.amdhsa_user_sgpr_queue_ptr 0
		.amdhsa_user_sgpr_kernarg_segment_ptr 1
		.amdhsa_user_sgpr_dispatch_id 0
		.amdhsa_user_sgpr_private_segment_size 0
		.amdhsa_wavefront_size32 1
		.amdhsa_uses_dynamic_stack 0
		.amdhsa_enable_private_segment 0
		.amdhsa_system_sgpr_workgroup_id_x 1
		.amdhsa_system_sgpr_workgroup_id_y 0
		.amdhsa_system_sgpr_workgroup_id_z 0
		.amdhsa_system_sgpr_workgroup_info 0
		.amdhsa_system_vgpr_workitem_id 0
		.amdhsa_next_free_vgpr 68
		.amdhsa_next_free_sgpr 36
		.amdhsa_reserve_vcc 1
		.amdhsa_float_round_mode_32 0
		.amdhsa_float_round_mode_16_64 0
		.amdhsa_float_denorm_mode_32 3
		.amdhsa_float_denorm_mode_16_64 3
		.amdhsa_dx10_clamp 1
		.amdhsa_ieee_mode 1
		.amdhsa_fp16_overflow 0
		.amdhsa_workgroup_processor_mode 1
		.amdhsa_memory_ordered 1
		.amdhsa_forward_progress 0
		.amdhsa_shared_vgpr_count 0
		.amdhsa_exception_fp_ieee_invalid_op 0
		.amdhsa_exception_fp_denorm_src 0
		.amdhsa_exception_fp_ieee_div_zero 0
		.amdhsa_exception_fp_ieee_overflow 0
		.amdhsa_exception_fp_ieee_underflow 0
		.amdhsa_exception_fp_ieee_inexact 0
		.amdhsa_exception_int_div_zero 0
	.end_amdhsa_kernel
	.section	.text._ZN7rocprim17ROCPRIM_400000_NS6detail17trampoline_kernelINS0_14default_configENS1_25partition_config_selectorILNS1_17partition_subalgoE9EllbEEZZNS1_14partition_implILS5_9ELb0ES3_jPlS8_PNS0_10empty_typeENS0_5tupleIJS8_S9_EEENSB_IJS8_SA_EEENS0_18inequality_wrapperIZN2at6native12_GLOBAL__N_124unique_dim_cuda_templateIjEESt5tupleIJNSF_6TensorESK_SK_EERKSK_lbbbEUlllE0_EEPmJS9_EEE10hipError_tPvRmT3_T4_T5_T6_T7_T9_mT8_P12ihipStream_tbDpT10_ENKUlT_T0_E_clISt17integral_constantIbLb0EES1A_EEDaS15_S16_EUlS15_E_NS1_11comp_targetILNS1_3genE9ELNS1_11target_archE1100ELNS1_3gpuE3ELNS1_3repE0EEENS1_30default_config_static_selectorELNS0_4arch9wavefront6targetE0EEEvT1_,"axG",@progbits,_ZN7rocprim17ROCPRIM_400000_NS6detail17trampoline_kernelINS0_14default_configENS1_25partition_config_selectorILNS1_17partition_subalgoE9EllbEEZZNS1_14partition_implILS5_9ELb0ES3_jPlS8_PNS0_10empty_typeENS0_5tupleIJS8_S9_EEENSB_IJS8_SA_EEENS0_18inequality_wrapperIZN2at6native12_GLOBAL__N_124unique_dim_cuda_templateIjEESt5tupleIJNSF_6TensorESK_SK_EERKSK_lbbbEUlllE0_EEPmJS9_EEE10hipError_tPvRmT3_T4_T5_T6_T7_T9_mT8_P12ihipStream_tbDpT10_ENKUlT_T0_E_clISt17integral_constantIbLb0EES1A_EEDaS15_S16_EUlS15_E_NS1_11comp_targetILNS1_3genE9ELNS1_11target_archE1100ELNS1_3gpuE3ELNS1_3repE0EEENS1_30default_config_static_selectorELNS0_4arch9wavefront6targetE0EEEvT1_,comdat
.Lfunc_end1577:
	.size	_ZN7rocprim17ROCPRIM_400000_NS6detail17trampoline_kernelINS0_14default_configENS1_25partition_config_selectorILNS1_17partition_subalgoE9EllbEEZZNS1_14partition_implILS5_9ELb0ES3_jPlS8_PNS0_10empty_typeENS0_5tupleIJS8_S9_EEENSB_IJS8_SA_EEENS0_18inequality_wrapperIZN2at6native12_GLOBAL__N_124unique_dim_cuda_templateIjEESt5tupleIJNSF_6TensorESK_SK_EERKSK_lbbbEUlllE0_EEPmJS9_EEE10hipError_tPvRmT3_T4_T5_T6_T7_T9_mT8_P12ihipStream_tbDpT10_ENKUlT_T0_E_clISt17integral_constantIbLb0EES1A_EEDaS15_S16_EUlS15_E_NS1_11comp_targetILNS1_3genE9ELNS1_11target_archE1100ELNS1_3gpuE3ELNS1_3repE0EEENS1_30default_config_static_selectorELNS0_4arch9wavefront6targetE0EEEvT1_, .Lfunc_end1577-_ZN7rocprim17ROCPRIM_400000_NS6detail17trampoline_kernelINS0_14default_configENS1_25partition_config_selectorILNS1_17partition_subalgoE9EllbEEZZNS1_14partition_implILS5_9ELb0ES3_jPlS8_PNS0_10empty_typeENS0_5tupleIJS8_S9_EEENSB_IJS8_SA_EEENS0_18inequality_wrapperIZN2at6native12_GLOBAL__N_124unique_dim_cuda_templateIjEESt5tupleIJNSF_6TensorESK_SK_EERKSK_lbbbEUlllE0_EEPmJS9_EEE10hipError_tPvRmT3_T4_T5_T6_T7_T9_mT8_P12ihipStream_tbDpT10_ENKUlT_T0_E_clISt17integral_constantIbLb0EES1A_EEDaS15_S16_EUlS15_E_NS1_11comp_targetILNS1_3genE9ELNS1_11target_archE1100ELNS1_3gpuE3ELNS1_3repE0EEENS1_30default_config_static_selectorELNS0_4arch9wavefront6targetE0EEEvT1_
                                        ; -- End function
	.section	.AMDGPU.csdata,"",@progbits
; Kernel info:
; codeLenInByte = 20488
; NumSgprs: 38
; NumVgprs: 68
; ScratchSize: 0
; MemoryBound: 0
; FloatMode: 240
; IeeeMode: 1
; LDSByteSize: 33804 bytes/workgroup (compile time only)
; SGPRBlocks: 4
; VGPRBlocks: 8
; NumSGPRsForWavesPerEU: 38
; NumVGPRsForWavesPerEU: 68
; Occupancy: 12
; WaveLimiterHint : 1
; COMPUTE_PGM_RSRC2:SCRATCH_EN: 0
; COMPUTE_PGM_RSRC2:USER_SGPR: 15
; COMPUTE_PGM_RSRC2:TRAP_HANDLER: 0
; COMPUTE_PGM_RSRC2:TGID_X_EN: 1
; COMPUTE_PGM_RSRC2:TGID_Y_EN: 0
; COMPUTE_PGM_RSRC2:TGID_Z_EN: 0
; COMPUTE_PGM_RSRC2:TIDIG_COMP_CNT: 0
	.section	.text._ZN7rocprim17ROCPRIM_400000_NS6detail17trampoline_kernelINS0_14default_configENS1_25partition_config_selectorILNS1_17partition_subalgoE9EllbEEZZNS1_14partition_implILS5_9ELb0ES3_jPlS8_PNS0_10empty_typeENS0_5tupleIJS8_S9_EEENSB_IJS8_SA_EEENS0_18inequality_wrapperIZN2at6native12_GLOBAL__N_124unique_dim_cuda_templateIjEESt5tupleIJNSF_6TensorESK_SK_EERKSK_lbbbEUlllE0_EEPmJS9_EEE10hipError_tPvRmT3_T4_T5_T6_T7_T9_mT8_P12ihipStream_tbDpT10_ENKUlT_T0_E_clISt17integral_constantIbLb0EES1A_EEDaS15_S16_EUlS15_E_NS1_11comp_targetILNS1_3genE8ELNS1_11target_archE1030ELNS1_3gpuE2ELNS1_3repE0EEENS1_30default_config_static_selectorELNS0_4arch9wavefront6targetE0EEEvT1_,"axG",@progbits,_ZN7rocprim17ROCPRIM_400000_NS6detail17trampoline_kernelINS0_14default_configENS1_25partition_config_selectorILNS1_17partition_subalgoE9EllbEEZZNS1_14partition_implILS5_9ELb0ES3_jPlS8_PNS0_10empty_typeENS0_5tupleIJS8_S9_EEENSB_IJS8_SA_EEENS0_18inequality_wrapperIZN2at6native12_GLOBAL__N_124unique_dim_cuda_templateIjEESt5tupleIJNSF_6TensorESK_SK_EERKSK_lbbbEUlllE0_EEPmJS9_EEE10hipError_tPvRmT3_T4_T5_T6_T7_T9_mT8_P12ihipStream_tbDpT10_ENKUlT_T0_E_clISt17integral_constantIbLb0EES1A_EEDaS15_S16_EUlS15_E_NS1_11comp_targetILNS1_3genE8ELNS1_11target_archE1030ELNS1_3gpuE2ELNS1_3repE0EEENS1_30default_config_static_selectorELNS0_4arch9wavefront6targetE0EEEvT1_,comdat
	.globl	_ZN7rocprim17ROCPRIM_400000_NS6detail17trampoline_kernelINS0_14default_configENS1_25partition_config_selectorILNS1_17partition_subalgoE9EllbEEZZNS1_14partition_implILS5_9ELb0ES3_jPlS8_PNS0_10empty_typeENS0_5tupleIJS8_S9_EEENSB_IJS8_SA_EEENS0_18inequality_wrapperIZN2at6native12_GLOBAL__N_124unique_dim_cuda_templateIjEESt5tupleIJNSF_6TensorESK_SK_EERKSK_lbbbEUlllE0_EEPmJS9_EEE10hipError_tPvRmT3_T4_T5_T6_T7_T9_mT8_P12ihipStream_tbDpT10_ENKUlT_T0_E_clISt17integral_constantIbLb0EES1A_EEDaS15_S16_EUlS15_E_NS1_11comp_targetILNS1_3genE8ELNS1_11target_archE1030ELNS1_3gpuE2ELNS1_3repE0EEENS1_30default_config_static_selectorELNS0_4arch9wavefront6targetE0EEEvT1_ ; -- Begin function _ZN7rocprim17ROCPRIM_400000_NS6detail17trampoline_kernelINS0_14default_configENS1_25partition_config_selectorILNS1_17partition_subalgoE9EllbEEZZNS1_14partition_implILS5_9ELb0ES3_jPlS8_PNS0_10empty_typeENS0_5tupleIJS8_S9_EEENSB_IJS8_SA_EEENS0_18inequality_wrapperIZN2at6native12_GLOBAL__N_124unique_dim_cuda_templateIjEESt5tupleIJNSF_6TensorESK_SK_EERKSK_lbbbEUlllE0_EEPmJS9_EEE10hipError_tPvRmT3_T4_T5_T6_T7_T9_mT8_P12ihipStream_tbDpT10_ENKUlT_T0_E_clISt17integral_constantIbLb0EES1A_EEDaS15_S16_EUlS15_E_NS1_11comp_targetILNS1_3genE8ELNS1_11target_archE1030ELNS1_3gpuE2ELNS1_3repE0EEENS1_30default_config_static_selectorELNS0_4arch9wavefront6targetE0EEEvT1_
	.p2align	8
	.type	_ZN7rocprim17ROCPRIM_400000_NS6detail17trampoline_kernelINS0_14default_configENS1_25partition_config_selectorILNS1_17partition_subalgoE9EllbEEZZNS1_14partition_implILS5_9ELb0ES3_jPlS8_PNS0_10empty_typeENS0_5tupleIJS8_S9_EEENSB_IJS8_SA_EEENS0_18inequality_wrapperIZN2at6native12_GLOBAL__N_124unique_dim_cuda_templateIjEESt5tupleIJNSF_6TensorESK_SK_EERKSK_lbbbEUlllE0_EEPmJS9_EEE10hipError_tPvRmT3_T4_T5_T6_T7_T9_mT8_P12ihipStream_tbDpT10_ENKUlT_T0_E_clISt17integral_constantIbLb0EES1A_EEDaS15_S16_EUlS15_E_NS1_11comp_targetILNS1_3genE8ELNS1_11target_archE1030ELNS1_3gpuE2ELNS1_3repE0EEENS1_30default_config_static_selectorELNS0_4arch9wavefront6targetE0EEEvT1_,@function
_ZN7rocprim17ROCPRIM_400000_NS6detail17trampoline_kernelINS0_14default_configENS1_25partition_config_selectorILNS1_17partition_subalgoE9EllbEEZZNS1_14partition_implILS5_9ELb0ES3_jPlS8_PNS0_10empty_typeENS0_5tupleIJS8_S9_EEENSB_IJS8_SA_EEENS0_18inequality_wrapperIZN2at6native12_GLOBAL__N_124unique_dim_cuda_templateIjEESt5tupleIJNSF_6TensorESK_SK_EERKSK_lbbbEUlllE0_EEPmJS9_EEE10hipError_tPvRmT3_T4_T5_T6_T7_T9_mT8_P12ihipStream_tbDpT10_ENKUlT_T0_E_clISt17integral_constantIbLb0EES1A_EEDaS15_S16_EUlS15_E_NS1_11comp_targetILNS1_3genE8ELNS1_11target_archE1030ELNS1_3gpuE2ELNS1_3repE0EEENS1_30default_config_static_selectorELNS0_4arch9wavefront6targetE0EEEvT1_: ; @_ZN7rocprim17ROCPRIM_400000_NS6detail17trampoline_kernelINS0_14default_configENS1_25partition_config_selectorILNS1_17partition_subalgoE9EllbEEZZNS1_14partition_implILS5_9ELb0ES3_jPlS8_PNS0_10empty_typeENS0_5tupleIJS8_S9_EEENSB_IJS8_SA_EEENS0_18inequality_wrapperIZN2at6native12_GLOBAL__N_124unique_dim_cuda_templateIjEESt5tupleIJNSF_6TensorESK_SK_EERKSK_lbbbEUlllE0_EEPmJS9_EEE10hipError_tPvRmT3_T4_T5_T6_T7_T9_mT8_P12ihipStream_tbDpT10_ENKUlT_T0_E_clISt17integral_constantIbLb0EES1A_EEDaS15_S16_EUlS15_E_NS1_11comp_targetILNS1_3genE8ELNS1_11target_archE1030ELNS1_3gpuE2ELNS1_3repE0EEENS1_30default_config_static_selectorELNS0_4arch9wavefront6targetE0EEEvT1_
; %bb.0:
	.section	.rodata,"a",@progbits
	.p2align	6, 0x0
	.amdhsa_kernel _ZN7rocprim17ROCPRIM_400000_NS6detail17trampoline_kernelINS0_14default_configENS1_25partition_config_selectorILNS1_17partition_subalgoE9EllbEEZZNS1_14partition_implILS5_9ELb0ES3_jPlS8_PNS0_10empty_typeENS0_5tupleIJS8_S9_EEENSB_IJS8_SA_EEENS0_18inequality_wrapperIZN2at6native12_GLOBAL__N_124unique_dim_cuda_templateIjEESt5tupleIJNSF_6TensorESK_SK_EERKSK_lbbbEUlllE0_EEPmJS9_EEE10hipError_tPvRmT3_T4_T5_T6_T7_T9_mT8_P12ihipStream_tbDpT10_ENKUlT_T0_E_clISt17integral_constantIbLb0EES1A_EEDaS15_S16_EUlS15_E_NS1_11comp_targetILNS1_3genE8ELNS1_11target_archE1030ELNS1_3gpuE2ELNS1_3repE0EEENS1_30default_config_static_selectorELNS0_4arch9wavefront6targetE0EEEvT1_
		.amdhsa_group_segment_fixed_size 0
		.amdhsa_private_segment_fixed_size 0
		.amdhsa_kernarg_size 120
		.amdhsa_user_sgpr_count 15
		.amdhsa_user_sgpr_dispatch_ptr 0
		.amdhsa_user_sgpr_queue_ptr 0
		.amdhsa_user_sgpr_kernarg_segment_ptr 1
		.amdhsa_user_sgpr_dispatch_id 0
		.amdhsa_user_sgpr_private_segment_size 0
		.amdhsa_wavefront_size32 1
		.amdhsa_uses_dynamic_stack 0
		.amdhsa_enable_private_segment 0
		.amdhsa_system_sgpr_workgroup_id_x 1
		.amdhsa_system_sgpr_workgroup_id_y 0
		.amdhsa_system_sgpr_workgroup_id_z 0
		.amdhsa_system_sgpr_workgroup_info 0
		.amdhsa_system_vgpr_workitem_id 0
		.amdhsa_next_free_vgpr 1
		.amdhsa_next_free_sgpr 1
		.amdhsa_reserve_vcc 0
		.amdhsa_float_round_mode_32 0
		.amdhsa_float_round_mode_16_64 0
		.amdhsa_float_denorm_mode_32 3
		.amdhsa_float_denorm_mode_16_64 3
		.amdhsa_dx10_clamp 1
		.amdhsa_ieee_mode 1
		.amdhsa_fp16_overflow 0
		.amdhsa_workgroup_processor_mode 1
		.amdhsa_memory_ordered 1
		.amdhsa_forward_progress 0
		.amdhsa_shared_vgpr_count 0
		.amdhsa_exception_fp_ieee_invalid_op 0
		.amdhsa_exception_fp_denorm_src 0
		.amdhsa_exception_fp_ieee_div_zero 0
		.amdhsa_exception_fp_ieee_overflow 0
		.amdhsa_exception_fp_ieee_underflow 0
		.amdhsa_exception_fp_ieee_inexact 0
		.amdhsa_exception_int_div_zero 0
	.end_amdhsa_kernel
	.section	.text._ZN7rocprim17ROCPRIM_400000_NS6detail17trampoline_kernelINS0_14default_configENS1_25partition_config_selectorILNS1_17partition_subalgoE9EllbEEZZNS1_14partition_implILS5_9ELb0ES3_jPlS8_PNS0_10empty_typeENS0_5tupleIJS8_S9_EEENSB_IJS8_SA_EEENS0_18inequality_wrapperIZN2at6native12_GLOBAL__N_124unique_dim_cuda_templateIjEESt5tupleIJNSF_6TensorESK_SK_EERKSK_lbbbEUlllE0_EEPmJS9_EEE10hipError_tPvRmT3_T4_T5_T6_T7_T9_mT8_P12ihipStream_tbDpT10_ENKUlT_T0_E_clISt17integral_constantIbLb0EES1A_EEDaS15_S16_EUlS15_E_NS1_11comp_targetILNS1_3genE8ELNS1_11target_archE1030ELNS1_3gpuE2ELNS1_3repE0EEENS1_30default_config_static_selectorELNS0_4arch9wavefront6targetE0EEEvT1_,"axG",@progbits,_ZN7rocprim17ROCPRIM_400000_NS6detail17trampoline_kernelINS0_14default_configENS1_25partition_config_selectorILNS1_17partition_subalgoE9EllbEEZZNS1_14partition_implILS5_9ELb0ES3_jPlS8_PNS0_10empty_typeENS0_5tupleIJS8_S9_EEENSB_IJS8_SA_EEENS0_18inequality_wrapperIZN2at6native12_GLOBAL__N_124unique_dim_cuda_templateIjEESt5tupleIJNSF_6TensorESK_SK_EERKSK_lbbbEUlllE0_EEPmJS9_EEE10hipError_tPvRmT3_T4_T5_T6_T7_T9_mT8_P12ihipStream_tbDpT10_ENKUlT_T0_E_clISt17integral_constantIbLb0EES1A_EEDaS15_S16_EUlS15_E_NS1_11comp_targetILNS1_3genE8ELNS1_11target_archE1030ELNS1_3gpuE2ELNS1_3repE0EEENS1_30default_config_static_selectorELNS0_4arch9wavefront6targetE0EEEvT1_,comdat
.Lfunc_end1578:
	.size	_ZN7rocprim17ROCPRIM_400000_NS6detail17trampoline_kernelINS0_14default_configENS1_25partition_config_selectorILNS1_17partition_subalgoE9EllbEEZZNS1_14partition_implILS5_9ELb0ES3_jPlS8_PNS0_10empty_typeENS0_5tupleIJS8_S9_EEENSB_IJS8_SA_EEENS0_18inequality_wrapperIZN2at6native12_GLOBAL__N_124unique_dim_cuda_templateIjEESt5tupleIJNSF_6TensorESK_SK_EERKSK_lbbbEUlllE0_EEPmJS9_EEE10hipError_tPvRmT3_T4_T5_T6_T7_T9_mT8_P12ihipStream_tbDpT10_ENKUlT_T0_E_clISt17integral_constantIbLb0EES1A_EEDaS15_S16_EUlS15_E_NS1_11comp_targetILNS1_3genE8ELNS1_11target_archE1030ELNS1_3gpuE2ELNS1_3repE0EEENS1_30default_config_static_selectorELNS0_4arch9wavefront6targetE0EEEvT1_, .Lfunc_end1578-_ZN7rocprim17ROCPRIM_400000_NS6detail17trampoline_kernelINS0_14default_configENS1_25partition_config_selectorILNS1_17partition_subalgoE9EllbEEZZNS1_14partition_implILS5_9ELb0ES3_jPlS8_PNS0_10empty_typeENS0_5tupleIJS8_S9_EEENSB_IJS8_SA_EEENS0_18inequality_wrapperIZN2at6native12_GLOBAL__N_124unique_dim_cuda_templateIjEESt5tupleIJNSF_6TensorESK_SK_EERKSK_lbbbEUlllE0_EEPmJS9_EEE10hipError_tPvRmT3_T4_T5_T6_T7_T9_mT8_P12ihipStream_tbDpT10_ENKUlT_T0_E_clISt17integral_constantIbLb0EES1A_EEDaS15_S16_EUlS15_E_NS1_11comp_targetILNS1_3genE8ELNS1_11target_archE1030ELNS1_3gpuE2ELNS1_3repE0EEENS1_30default_config_static_selectorELNS0_4arch9wavefront6targetE0EEEvT1_
                                        ; -- End function
	.section	.AMDGPU.csdata,"",@progbits
; Kernel info:
; codeLenInByte = 0
; NumSgprs: 0
; NumVgprs: 0
; ScratchSize: 0
; MemoryBound: 0
; FloatMode: 240
; IeeeMode: 1
; LDSByteSize: 0 bytes/workgroup (compile time only)
; SGPRBlocks: 0
; VGPRBlocks: 0
; NumSGPRsForWavesPerEU: 1
; NumVGPRsForWavesPerEU: 1
; Occupancy: 16
; WaveLimiterHint : 0
; COMPUTE_PGM_RSRC2:SCRATCH_EN: 0
; COMPUTE_PGM_RSRC2:USER_SGPR: 15
; COMPUTE_PGM_RSRC2:TRAP_HANDLER: 0
; COMPUTE_PGM_RSRC2:TGID_X_EN: 1
; COMPUTE_PGM_RSRC2:TGID_Y_EN: 0
; COMPUTE_PGM_RSRC2:TGID_Z_EN: 0
; COMPUTE_PGM_RSRC2:TIDIG_COMP_CNT: 0
	.section	.text._ZN7rocprim17ROCPRIM_400000_NS6detail17trampoline_kernelINS0_14default_configENS1_25partition_config_selectorILNS1_17partition_subalgoE9EllbEEZZNS1_14partition_implILS5_9ELb0ES3_jPlS8_PNS0_10empty_typeENS0_5tupleIJS8_S9_EEENSB_IJS8_SA_EEENS0_18inequality_wrapperIZN2at6native12_GLOBAL__N_124unique_dim_cuda_templateIjEESt5tupleIJNSF_6TensorESK_SK_EERKSK_lbbbEUlllE0_EEPmJS9_EEE10hipError_tPvRmT3_T4_T5_T6_T7_T9_mT8_P12ihipStream_tbDpT10_ENKUlT_T0_E_clISt17integral_constantIbLb1EES1A_EEDaS15_S16_EUlS15_E_NS1_11comp_targetILNS1_3genE0ELNS1_11target_archE4294967295ELNS1_3gpuE0ELNS1_3repE0EEENS1_30default_config_static_selectorELNS0_4arch9wavefront6targetE0EEEvT1_,"axG",@progbits,_ZN7rocprim17ROCPRIM_400000_NS6detail17trampoline_kernelINS0_14default_configENS1_25partition_config_selectorILNS1_17partition_subalgoE9EllbEEZZNS1_14partition_implILS5_9ELb0ES3_jPlS8_PNS0_10empty_typeENS0_5tupleIJS8_S9_EEENSB_IJS8_SA_EEENS0_18inequality_wrapperIZN2at6native12_GLOBAL__N_124unique_dim_cuda_templateIjEESt5tupleIJNSF_6TensorESK_SK_EERKSK_lbbbEUlllE0_EEPmJS9_EEE10hipError_tPvRmT3_T4_T5_T6_T7_T9_mT8_P12ihipStream_tbDpT10_ENKUlT_T0_E_clISt17integral_constantIbLb1EES1A_EEDaS15_S16_EUlS15_E_NS1_11comp_targetILNS1_3genE0ELNS1_11target_archE4294967295ELNS1_3gpuE0ELNS1_3repE0EEENS1_30default_config_static_selectorELNS0_4arch9wavefront6targetE0EEEvT1_,comdat
	.globl	_ZN7rocprim17ROCPRIM_400000_NS6detail17trampoline_kernelINS0_14default_configENS1_25partition_config_selectorILNS1_17partition_subalgoE9EllbEEZZNS1_14partition_implILS5_9ELb0ES3_jPlS8_PNS0_10empty_typeENS0_5tupleIJS8_S9_EEENSB_IJS8_SA_EEENS0_18inequality_wrapperIZN2at6native12_GLOBAL__N_124unique_dim_cuda_templateIjEESt5tupleIJNSF_6TensorESK_SK_EERKSK_lbbbEUlllE0_EEPmJS9_EEE10hipError_tPvRmT3_T4_T5_T6_T7_T9_mT8_P12ihipStream_tbDpT10_ENKUlT_T0_E_clISt17integral_constantIbLb1EES1A_EEDaS15_S16_EUlS15_E_NS1_11comp_targetILNS1_3genE0ELNS1_11target_archE4294967295ELNS1_3gpuE0ELNS1_3repE0EEENS1_30default_config_static_selectorELNS0_4arch9wavefront6targetE0EEEvT1_ ; -- Begin function _ZN7rocprim17ROCPRIM_400000_NS6detail17trampoline_kernelINS0_14default_configENS1_25partition_config_selectorILNS1_17partition_subalgoE9EllbEEZZNS1_14partition_implILS5_9ELb0ES3_jPlS8_PNS0_10empty_typeENS0_5tupleIJS8_S9_EEENSB_IJS8_SA_EEENS0_18inequality_wrapperIZN2at6native12_GLOBAL__N_124unique_dim_cuda_templateIjEESt5tupleIJNSF_6TensorESK_SK_EERKSK_lbbbEUlllE0_EEPmJS9_EEE10hipError_tPvRmT3_T4_T5_T6_T7_T9_mT8_P12ihipStream_tbDpT10_ENKUlT_T0_E_clISt17integral_constantIbLb1EES1A_EEDaS15_S16_EUlS15_E_NS1_11comp_targetILNS1_3genE0ELNS1_11target_archE4294967295ELNS1_3gpuE0ELNS1_3repE0EEENS1_30default_config_static_selectorELNS0_4arch9wavefront6targetE0EEEvT1_
	.p2align	8
	.type	_ZN7rocprim17ROCPRIM_400000_NS6detail17trampoline_kernelINS0_14default_configENS1_25partition_config_selectorILNS1_17partition_subalgoE9EllbEEZZNS1_14partition_implILS5_9ELb0ES3_jPlS8_PNS0_10empty_typeENS0_5tupleIJS8_S9_EEENSB_IJS8_SA_EEENS0_18inequality_wrapperIZN2at6native12_GLOBAL__N_124unique_dim_cuda_templateIjEESt5tupleIJNSF_6TensorESK_SK_EERKSK_lbbbEUlllE0_EEPmJS9_EEE10hipError_tPvRmT3_T4_T5_T6_T7_T9_mT8_P12ihipStream_tbDpT10_ENKUlT_T0_E_clISt17integral_constantIbLb1EES1A_EEDaS15_S16_EUlS15_E_NS1_11comp_targetILNS1_3genE0ELNS1_11target_archE4294967295ELNS1_3gpuE0ELNS1_3repE0EEENS1_30default_config_static_selectorELNS0_4arch9wavefront6targetE0EEEvT1_,@function
_ZN7rocprim17ROCPRIM_400000_NS6detail17trampoline_kernelINS0_14default_configENS1_25partition_config_selectorILNS1_17partition_subalgoE9EllbEEZZNS1_14partition_implILS5_9ELb0ES3_jPlS8_PNS0_10empty_typeENS0_5tupleIJS8_S9_EEENSB_IJS8_SA_EEENS0_18inequality_wrapperIZN2at6native12_GLOBAL__N_124unique_dim_cuda_templateIjEESt5tupleIJNSF_6TensorESK_SK_EERKSK_lbbbEUlllE0_EEPmJS9_EEE10hipError_tPvRmT3_T4_T5_T6_T7_T9_mT8_P12ihipStream_tbDpT10_ENKUlT_T0_E_clISt17integral_constantIbLb1EES1A_EEDaS15_S16_EUlS15_E_NS1_11comp_targetILNS1_3genE0ELNS1_11target_archE4294967295ELNS1_3gpuE0ELNS1_3repE0EEENS1_30default_config_static_selectorELNS0_4arch9wavefront6targetE0EEEvT1_: ; @_ZN7rocprim17ROCPRIM_400000_NS6detail17trampoline_kernelINS0_14default_configENS1_25partition_config_selectorILNS1_17partition_subalgoE9EllbEEZZNS1_14partition_implILS5_9ELb0ES3_jPlS8_PNS0_10empty_typeENS0_5tupleIJS8_S9_EEENSB_IJS8_SA_EEENS0_18inequality_wrapperIZN2at6native12_GLOBAL__N_124unique_dim_cuda_templateIjEESt5tupleIJNSF_6TensorESK_SK_EERKSK_lbbbEUlllE0_EEPmJS9_EEE10hipError_tPvRmT3_T4_T5_T6_T7_T9_mT8_P12ihipStream_tbDpT10_ENKUlT_T0_E_clISt17integral_constantIbLb1EES1A_EEDaS15_S16_EUlS15_E_NS1_11comp_targetILNS1_3genE0ELNS1_11target_archE4294967295ELNS1_3gpuE0ELNS1_3repE0EEENS1_30default_config_static_selectorELNS0_4arch9wavefront6targetE0EEEvT1_
; %bb.0:
	.section	.rodata,"a",@progbits
	.p2align	6, 0x0
	.amdhsa_kernel _ZN7rocprim17ROCPRIM_400000_NS6detail17trampoline_kernelINS0_14default_configENS1_25partition_config_selectorILNS1_17partition_subalgoE9EllbEEZZNS1_14partition_implILS5_9ELb0ES3_jPlS8_PNS0_10empty_typeENS0_5tupleIJS8_S9_EEENSB_IJS8_SA_EEENS0_18inequality_wrapperIZN2at6native12_GLOBAL__N_124unique_dim_cuda_templateIjEESt5tupleIJNSF_6TensorESK_SK_EERKSK_lbbbEUlllE0_EEPmJS9_EEE10hipError_tPvRmT3_T4_T5_T6_T7_T9_mT8_P12ihipStream_tbDpT10_ENKUlT_T0_E_clISt17integral_constantIbLb1EES1A_EEDaS15_S16_EUlS15_E_NS1_11comp_targetILNS1_3genE0ELNS1_11target_archE4294967295ELNS1_3gpuE0ELNS1_3repE0EEENS1_30default_config_static_selectorELNS0_4arch9wavefront6targetE0EEEvT1_
		.amdhsa_group_segment_fixed_size 0
		.amdhsa_private_segment_fixed_size 0
		.amdhsa_kernarg_size 136
		.amdhsa_user_sgpr_count 15
		.amdhsa_user_sgpr_dispatch_ptr 0
		.amdhsa_user_sgpr_queue_ptr 0
		.amdhsa_user_sgpr_kernarg_segment_ptr 1
		.amdhsa_user_sgpr_dispatch_id 0
		.amdhsa_user_sgpr_private_segment_size 0
		.amdhsa_wavefront_size32 1
		.amdhsa_uses_dynamic_stack 0
		.amdhsa_enable_private_segment 0
		.amdhsa_system_sgpr_workgroup_id_x 1
		.amdhsa_system_sgpr_workgroup_id_y 0
		.amdhsa_system_sgpr_workgroup_id_z 0
		.amdhsa_system_sgpr_workgroup_info 0
		.amdhsa_system_vgpr_workitem_id 0
		.amdhsa_next_free_vgpr 1
		.amdhsa_next_free_sgpr 1
		.amdhsa_reserve_vcc 0
		.amdhsa_float_round_mode_32 0
		.amdhsa_float_round_mode_16_64 0
		.amdhsa_float_denorm_mode_32 3
		.amdhsa_float_denorm_mode_16_64 3
		.amdhsa_dx10_clamp 1
		.amdhsa_ieee_mode 1
		.amdhsa_fp16_overflow 0
		.amdhsa_workgroup_processor_mode 1
		.amdhsa_memory_ordered 1
		.amdhsa_forward_progress 0
		.amdhsa_shared_vgpr_count 0
		.amdhsa_exception_fp_ieee_invalid_op 0
		.amdhsa_exception_fp_denorm_src 0
		.amdhsa_exception_fp_ieee_div_zero 0
		.amdhsa_exception_fp_ieee_overflow 0
		.amdhsa_exception_fp_ieee_underflow 0
		.amdhsa_exception_fp_ieee_inexact 0
		.amdhsa_exception_int_div_zero 0
	.end_amdhsa_kernel
	.section	.text._ZN7rocprim17ROCPRIM_400000_NS6detail17trampoline_kernelINS0_14default_configENS1_25partition_config_selectorILNS1_17partition_subalgoE9EllbEEZZNS1_14partition_implILS5_9ELb0ES3_jPlS8_PNS0_10empty_typeENS0_5tupleIJS8_S9_EEENSB_IJS8_SA_EEENS0_18inequality_wrapperIZN2at6native12_GLOBAL__N_124unique_dim_cuda_templateIjEESt5tupleIJNSF_6TensorESK_SK_EERKSK_lbbbEUlllE0_EEPmJS9_EEE10hipError_tPvRmT3_T4_T5_T6_T7_T9_mT8_P12ihipStream_tbDpT10_ENKUlT_T0_E_clISt17integral_constantIbLb1EES1A_EEDaS15_S16_EUlS15_E_NS1_11comp_targetILNS1_3genE0ELNS1_11target_archE4294967295ELNS1_3gpuE0ELNS1_3repE0EEENS1_30default_config_static_selectorELNS0_4arch9wavefront6targetE0EEEvT1_,"axG",@progbits,_ZN7rocprim17ROCPRIM_400000_NS6detail17trampoline_kernelINS0_14default_configENS1_25partition_config_selectorILNS1_17partition_subalgoE9EllbEEZZNS1_14partition_implILS5_9ELb0ES3_jPlS8_PNS0_10empty_typeENS0_5tupleIJS8_S9_EEENSB_IJS8_SA_EEENS0_18inequality_wrapperIZN2at6native12_GLOBAL__N_124unique_dim_cuda_templateIjEESt5tupleIJNSF_6TensorESK_SK_EERKSK_lbbbEUlllE0_EEPmJS9_EEE10hipError_tPvRmT3_T4_T5_T6_T7_T9_mT8_P12ihipStream_tbDpT10_ENKUlT_T0_E_clISt17integral_constantIbLb1EES1A_EEDaS15_S16_EUlS15_E_NS1_11comp_targetILNS1_3genE0ELNS1_11target_archE4294967295ELNS1_3gpuE0ELNS1_3repE0EEENS1_30default_config_static_selectorELNS0_4arch9wavefront6targetE0EEEvT1_,comdat
.Lfunc_end1579:
	.size	_ZN7rocprim17ROCPRIM_400000_NS6detail17trampoline_kernelINS0_14default_configENS1_25partition_config_selectorILNS1_17partition_subalgoE9EllbEEZZNS1_14partition_implILS5_9ELb0ES3_jPlS8_PNS0_10empty_typeENS0_5tupleIJS8_S9_EEENSB_IJS8_SA_EEENS0_18inequality_wrapperIZN2at6native12_GLOBAL__N_124unique_dim_cuda_templateIjEESt5tupleIJNSF_6TensorESK_SK_EERKSK_lbbbEUlllE0_EEPmJS9_EEE10hipError_tPvRmT3_T4_T5_T6_T7_T9_mT8_P12ihipStream_tbDpT10_ENKUlT_T0_E_clISt17integral_constantIbLb1EES1A_EEDaS15_S16_EUlS15_E_NS1_11comp_targetILNS1_3genE0ELNS1_11target_archE4294967295ELNS1_3gpuE0ELNS1_3repE0EEENS1_30default_config_static_selectorELNS0_4arch9wavefront6targetE0EEEvT1_, .Lfunc_end1579-_ZN7rocprim17ROCPRIM_400000_NS6detail17trampoline_kernelINS0_14default_configENS1_25partition_config_selectorILNS1_17partition_subalgoE9EllbEEZZNS1_14partition_implILS5_9ELb0ES3_jPlS8_PNS0_10empty_typeENS0_5tupleIJS8_S9_EEENSB_IJS8_SA_EEENS0_18inequality_wrapperIZN2at6native12_GLOBAL__N_124unique_dim_cuda_templateIjEESt5tupleIJNSF_6TensorESK_SK_EERKSK_lbbbEUlllE0_EEPmJS9_EEE10hipError_tPvRmT3_T4_T5_T6_T7_T9_mT8_P12ihipStream_tbDpT10_ENKUlT_T0_E_clISt17integral_constantIbLb1EES1A_EEDaS15_S16_EUlS15_E_NS1_11comp_targetILNS1_3genE0ELNS1_11target_archE4294967295ELNS1_3gpuE0ELNS1_3repE0EEENS1_30default_config_static_selectorELNS0_4arch9wavefront6targetE0EEEvT1_
                                        ; -- End function
	.section	.AMDGPU.csdata,"",@progbits
; Kernel info:
; codeLenInByte = 0
; NumSgprs: 0
; NumVgprs: 0
; ScratchSize: 0
; MemoryBound: 0
; FloatMode: 240
; IeeeMode: 1
; LDSByteSize: 0 bytes/workgroup (compile time only)
; SGPRBlocks: 0
; VGPRBlocks: 0
; NumSGPRsForWavesPerEU: 1
; NumVGPRsForWavesPerEU: 1
; Occupancy: 16
; WaveLimiterHint : 0
; COMPUTE_PGM_RSRC2:SCRATCH_EN: 0
; COMPUTE_PGM_RSRC2:USER_SGPR: 15
; COMPUTE_PGM_RSRC2:TRAP_HANDLER: 0
; COMPUTE_PGM_RSRC2:TGID_X_EN: 1
; COMPUTE_PGM_RSRC2:TGID_Y_EN: 0
; COMPUTE_PGM_RSRC2:TGID_Z_EN: 0
; COMPUTE_PGM_RSRC2:TIDIG_COMP_CNT: 0
	.section	.text._ZN7rocprim17ROCPRIM_400000_NS6detail17trampoline_kernelINS0_14default_configENS1_25partition_config_selectorILNS1_17partition_subalgoE9EllbEEZZNS1_14partition_implILS5_9ELb0ES3_jPlS8_PNS0_10empty_typeENS0_5tupleIJS8_S9_EEENSB_IJS8_SA_EEENS0_18inequality_wrapperIZN2at6native12_GLOBAL__N_124unique_dim_cuda_templateIjEESt5tupleIJNSF_6TensorESK_SK_EERKSK_lbbbEUlllE0_EEPmJS9_EEE10hipError_tPvRmT3_T4_T5_T6_T7_T9_mT8_P12ihipStream_tbDpT10_ENKUlT_T0_E_clISt17integral_constantIbLb1EES1A_EEDaS15_S16_EUlS15_E_NS1_11comp_targetILNS1_3genE5ELNS1_11target_archE942ELNS1_3gpuE9ELNS1_3repE0EEENS1_30default_config_static_selectorELNS0_4arch9wavefront6targetE0EEEvT1_,"axG",@progbits,_ZN7rocprim17ROCPRIM_400000_NS6detail17trampoline_kernelINS0_14default_configENS1_25partition_config_selectorILNS1_17partition_subalgoE9EllbEEZZNS1_14partition_implILS5_9ELb0ES3_jPlS8_PNS0_10empty_typeENS0_5tupleIJS8_S9_EEENSB_IJS8_SA_EEENS0_18inequality_wrapperIZN2at6native12_GLOBAL__N_124unique_dim_cuda_templateIjEESt5tupleIJNSF_6TensorESK_SK_EERKSK_lbbbEUlllE0_EEPmJS9_EEE10hipError_tPvRmT3_T4_T5_T6_T7_T9_mT8_P12ihipStream_tbDpT10_ENKUlT_T0_E_clISt17integral_constantIbLb1EES1A_EEDaS15_S16_EUlS15_E_NS1_11comp_targetILNS1_3genE5ELNS1_11target_archE942ELNS1_3gpuE9ELNS1_3repE0EEENS1_30default_config_static_selectorELNS0_4arch9wavefront6targetE0EEEvT1_,comdat
	.globl	_ZN7rocprim17ROCPRIM_400000_NS6detail17trampoline_kernelINS0_14default_configENS1_25partition_config_selectorILNS1_17partition_subalgoE9EllbEEZZNS1_14partition_implILS5_9ELb0ES3_jPlS8_PNS0_10empty_typeENS0_5tupleIJS8_S9_EEENSB_IJS8_SA_EEENS0_18inequality_wrapperIZN2at6native12_GLOBAL__N_124unique_dim_cuda_templateIjEESt5tupleIJNSF_6TensorESK_SK_EERKSK_lbbbEUlllE0_EEPmJS9_EEE10hipError_tPvRmT3_T4_T5_T6_T7_T9_mT8_P12ihipStream_tbDpT10_ENKUlT_T0_E_clISt17integral_constantIbLb1EES1A_EEDaS15_S16_EUlS15_E_NS1_11comp_targetILNS1_3genE5ELNS1_11target_archE942ELNS1_3gpuE9ELNS1_3repE0EEENS1_30default_config_static_selectorELNS0_4arch9wavefront6targetE0EEEvT1_ ; -- Begin function _ZN7rocprim17ROCPRIM_400000_NS6detail17trampoline_kernelINS0_14default_configENS1_25partition_config_selectorILNS1_17partition_subalgoE9EllbEEZZNS1_14partition_implILS5_9ELb0ES3_jPlS8_PNS0_10empty_typeENS0_5tupleIJS8_S9_EEENSB_IJS8_SA_EEENS0_18inequality_wrapperIZN2at6native12_GLOBAL__N_124unique_dim_cuda_templateIjEESt5tupleIJNSF_6TensorESK_SK_EERKSK_lbbbEUlllE0_EEPmJS9_EEE10hipError_tPvRmT3_T4_T5_T6_T7_T9_mT8_P12ihipStream_tbDpT10_ENKUlT_T0_E_clISt17integral_constantIbLb1EES1A_EEDaS15_S16_EUlS15_E_NS1_11comp_targetILNS1_3genE5ELNS1_11target_archE942ELNS1_3gpuE9ELNS1_3repE0EEENS1_30default_config_static_selectorELNS0_4arch9wavefront6targetE0EEEvT1_
	.p2align	8
	.type	_ZN7rocprim17ROCPRIM_400000_NS6detail17trampoline_kernelINS0_14default_configENS1_25partition_config_selectorILNS1_17partition_subalgoE9EllbEEZZNS1_14partition_implILS5_9ELb0ES3_jPlS8_PNS0_10empty_typeENS0_5tupleIJS8_S9_EEENSB_IJS8_SA_EEENS0_18inequality_wrapperIZN2at6native12_GLOBAL__N_124unique_dim_cuda_templateIjEESt5tupleIJNSF_6TensorESK_SK_EERKSK_lbbbEUlllE0_EEPmJS9_EEE10hipError_tPvRmT3_T4_T5_T6_T7_T9_mT8_P12ihipStream_tbDpT10_ENKUlT_T0_E_clISt17integral_constantIbLb1EES1A_EEDaS15_S16_EUlS15_E_NS1_11comp_targetILNS1_3genE5ELNS1_11target_archE942ELNS1_3gpuE9ELNS1_3repE0EEENS1_30default_config_static_selectorELNS0_4arch9wavefront6targetE0EEEvT1_,@function
_ZN7rocprim17ROCPRIM_400000_NS6detail17trampoline_kernelINS0_14default_configENS1_25partition_config_selectorILNS1_17partition_subalgoE9EllbEEZZNS1_14partition_implILS5_9ELb0ES3_jPlS8_PNS0_10empty_typeENS0_5tupleIJS8_S9_EEENSB_IJS8_SA_EEENS0_18inequality_wrapperIZN2at6native12_GLOBAL__N_124unique_dim_cuda_templateIjEESt5tupleIJNSF_6TensorESK_SK_EERKSK_lbbbEUlllE0_EEPmJS9_EEE10hipError_tPvRmT3_T4_T5_T6_T7_T9_mT8_P12ihipStream_tbDpT10_ENKUlT_T0_E_clISt17integral_constantIbLb1EES1A_EEDaS15_S16_EUlS15_E_NS1_11comp_targetILNS1_3genE5ELNS1_11target_archE942ELNS1_3gpuE9ELNS1_3repE0EEENS1_30default_config_static_selectorELNS0_4arch9wavefront6targetE0EEEvT1_: ; @_ZN7rocprim17ROCPRIM_400000_NS6detail17trampoline_kernelINS0_14default_configENS1_25partition_config_selectorILNS1_17partition_subalgoE9EllbEEZZNS1_14partition_implILS5_9ELb0ES3_jPlS8_PNS0_10empty_typeENS0_5tupleIJS8_S9_EEENSB_IJS8_SA_EEENS0_18inequality_wrapperIZN2at6native12_GLOBAL__N_124unique_dim_cuda_templateIjEESt5tupleIJNSF_6TensorESK_SK_EERKSK_lbbbEUlllE0_EEPmJS9_EEE10hipError_tPvRmT3_T4_T5_T6_T7_T9_mT8_P12ihipStream_tbDpT10_ENKUlT_T0_E_clISt17integral_constantIbLb1EES1A_EEDaS15_S16_EUlS15_E_NS1_11comp_targetILNS1_3genE5ELNS1_11target_archE942ELNS1_3gpuE9ELNS1_3repE0EEENS1_30default_config_static_selectorELNS0_4arch9wavefront6targetE0EEEvT1_
; %bb.0:
	.section	.rodata,"a",@progbits
	.p2align	6, 0x0
	.amdhsa_kernel _ZN7rocprim17ROCPRIM_400000_NS6detail17trampoline_kernelINS0_14default_configENS1_25partition_config_selectorILNS1_17partition_subalgoE9EllbEEZZNS1_14partition_implILS5_9ELb0ES3_jPlS8_PNS0_10empty_typeENS0_5tupleIJS8_S9_EEENSB_IJS8_SA_EEENS0_18inequality_wrapperIZN2at6native12_GLOBAL__N_124unique_dim_cuda_templateIjEESt5tupleIJNSF_6TensorESK_SK_EERKSK_lbbbEUlllE0_EEPmJS9_EEE10hipError_tPvRmT3_T4_T5_T6_T7_T9_mT8_P12ihipStream_tbDpT10_ENKUlT_T0_E_clISt17integral_constantIbLb1EES1A_EEDaS15_S16_EUlS15_E_NS1_11comp_targetILNS1_3genE5ELNS1_11target_archE942ELNS1_3gpuE9ELNS1_3repE0EEENS1_30default_config_static_selectorELNS0_4arch9wavefront6targetE0EEEvT1_
		.amdhsa_group_segment_fixed_size 0
		.amdhsa_private_segment_fixed_size 0
		.amdhsa_kernarg_size 136
		.amdhsa_user_sgpr_count 15
		.amdhsa_user_sgpr_dispatch_ptr 0
		.amdhsa_user_sgpr_queue_ptr 0
		.amdhsa_user_sgpr_kernarg_segment_ptr 1
		.amdhsa_user_sgpr_dispatch_id 0
		.amdhsa_user_sgpr_private_segment_size 0
		.amdhsa_wavefront_size32 1
		.amdhsa_uses_dynamic_stack 0
		.amdhsa_enable_private_segment 0
		.amdhsa_system_sgpr_workgroup_id_x 1
		.amdhsa_system_sgpr_workgroup_id_y 0
		.amdhsa_system_sgpr_workgroup_id_z 0
		.amdhsa_system_sgpr_workgroup_info 0
		.amdhsa_system_vgpr_workitem_id 0
		.amdhsa_next_free_vgpr 1
		.amdhsa_next_free_sgpr 1
		.amdhsa_reserve_vcc 0
		.amdhsa_float_round_mode_32 0
		.amdhsa_float_round_mode_16_64 0
		.amdhsa_float_denorm_mode_32 3
		.amdhsa_float_denorm_mode_16_64 3
		.amdhsa_dx10_clamp 1
		.amdhsa_ieee_mode 1
		.amdhsa_fp16_overflow 0
		.amdhsa_workgroup_processor_mode 1
		.amdhsa_memory_ordered 1
		.amdhsa_forward_progress 0
		.amdhsa_shared_vgpr_count 0
		.amdhsa_exception_fp_ieee_invalid_op 0
		.amdhsa_exception_fp_denorm_src 0
		.amdhsa_exception_fp_ieee_div_zero 0
		.amdhsa_exception_fp_ieee_overflow 0
		.amdhsa_exception_fp_ieee_underflow 0
		.amdhsa_exception_fp_ieee_inexact 0
		.amdhsa_exception_int_div_zero 0
	.end_amdhsa_kernel
	.section	.text._ZN7rocprim17ROCPRIM_400000_NS6detail17trampoline_kernelINS0_14default_configENS1_25partition_config_selectorILNS1_17partition_subalgoE9EllbEEZZNS1_14partition_implILS5_9ELb0ES3_jPlS8_PNS0_10empty_typeENS0_5tupleIJS8_S9_EEENSB_IJS8_SA_EEENS0_18inequality_wrapperIZN2at6native12_GLOBAL__N_124unique_dim_cuda_templateIjEESt5tupleIJNSF_6TensorESK_SK_EERKSK_lbbbEUlllE0_EEPmJS9_EEE10hipError_tPvRmT3_T4_T5_T6_T7_T9_mT8_P12ihipStream_tbDpT10_ENKUlT_T0_E_clISt17integral_constantIbLb1EES1A_EEDaS15_S16_EUlS15_E_NS1_11comp_targetILNS1_3genE5ELNS1_11target_archE942ELNS1_3gpuE9ELNS1_3repE0EEENS1_30default_config_static_selectorELNS0_4arch9wavefront6targetE0EEEvT1_,"axG",@progbits,_ZN7rocprim17ROCPRIM_400000_NS6detail17trampoline_kernelINS0_14default_configENS1_25partition_config_selectorILNS1_17partition_subalgoE9EllbEEZZNS1_14partition_implILS5_9ELb0ES3_jPlS8_PNS0_10empty_typeENS0_5tupleIJS8_S9_EEENSB_IJS8_SA_EEENS0_18inequality_wrapperIZN2at6native12_GLOBAL__N_124unique_dim_cuda_templateIjEESt5tupleIJNSF_6TensorESK_SK_EERKSK_lbbbEUlllE0_EEPmJS9_EEE10hipError_tPvRmT3_T4_T5_T6_T7_T9_mT8_P12ihipStream_tbDpT10_ENKUlT_T0_E_clISt17integral_constantIbLb1EES1A_EEDaS15_S16_EUlS15_E_NS1_11comp_targetILNS1_3genE5ELNS1_11target_archE942ELNS1_3gpuE9ELNS1_3repE0EEENS1_30default_config_static_selectorELNS0_4arch9wavefront6targetE0EEEvT1_,comdat
.Lfunc_end1580:
	.size	_ZN7rocprim17ROCPRIM_400000_NS6detail17trampoline_kernelINS0_14default_configENS1_25partition_config_selectorILNS1_17partition_subalgoE9EllbEEZZNS1_14partition_implILS5_9ELb0ES3_jPlS8_PNS0_10empty_typeENS0_5tupleIJS8_S9_EEENSB_IJS8_SA_EEENS0_18inequality_wrapperIZN2at6native12_GLOBAL__N_124unique_dim_cuda_templateIjEESt5tupleIJNSF_6TensorESK_SK_EERKSK_lbbbEUlllE0_EEPmJS9_EEE10hipError_tPvRmT3_T4_T5_T6_T7_T9_mT8_P12ihipStream_tbDpT10_ENKUlT_T0_E_clISt17integral_constantIbLb1EES1A_EEDaS15_S16_EUlS15_E_NS1_11comp_targetILNS1_3genE5ELNS1_11target_archE942ELNS1_3gpuE9ELNS1_3repE0EEENS1_30default_config_static_selectorELNS0_4arch9wavefront6targetE0EEEvT1_, .Lfunc_end1580-_ZN7rocprim17ROCPRIM_400000_NS6detail17trampoline_kernelINS0_14default_configENS1_25partition_config_selectorILNS1_17partition_subalgoE9EllbEEZZNS1_14partition_implILS5_9ELb0ES3_jPlS8_PNS0_10empty_typeENS0_5tupleIJS8_S9_EEENSB_IJS8_SA_EEENS0_18inequality_wrapperIZN2at6native12_GLOBAL__N_124unique_dim_cuda_templateIjEESt5tupleIJNSF_6TensorESK_SK_EERKSK_lbbbEUlllE0_EEPmJS9_EEE10hipError_tPvRmT3_T4_T5_T6_T7_T9_mT8_P12ihipStream_tbDpT10_ENKUlT_T0_E_clISt17integral_constantIbLb1EES1A_EEDaS15_S16_EUlS15_E_NS1_11comp_targetILNS1_3genE5ELNS1_11target_archE942ELNS1_3gpuE9ELNS1_3repE0EEENS1_30default_config_static_selectorELNS0_4arch9wavefront6targetE0EEEvT1_
                                        ; -- End function
	.section	.AMDGPU.csdata,"",@progbits
; Kernel info:
; codeLenInByte = 0
; NumSgprs: 0
; NumVgprs: 0
; ScratchSize: 0
; MemoryBound: 0
; FloatMode: 240
; IeeeMode: 1
; LDSByteSize: 0 bytes/workgroup (compile time only)
; SGPRBlocks: 0
; VGPRBlocks: 0
; NumSGPRsForWavesPerEU: 1
; NumVGPRsForWavesPerEU: 1
; Occupancy: 16
; WaveLimiterHint : 0
; COMPUTE_PGM_RSRC2:SCRATCH_EN: 0
; COMPUTE_PGM_RSRC2:USER_SGPR: 15
; COMPUTE_PGM_RSRC2:TRAP_HANDLER: 0
; COMPUTE_PGM_RSRC2:TGID_X_EN: 1
; COMPUTE_PGM_RSRC2:TGID_Y_EN: 0
; COMPUTE_PGM_RSRC2:TGID_Z_EN: 0
; COMPUTE_PGM_RSRC2:TIDIG_COMP_CNT: 0
	.section	.text._ZN7rocprim17ROCPRIM_400000_NS6detail17trampoline_kernelINS0_14default_configENS1_25partition_config_selectorILNS1_17partition_subalgoE9EllbEEZZNS1_14partition_implILS5_9ELb0ES3_jPlS8_PNS0_10empty_typeENS0_5tupleIJS8_S9_EEENSB_IJS8_SA_EEENS0_18inequality_wrapperIZN2at6native12_GLOBAL__N_124unique_dim_cuda_templateIjEESt5tupleIJNSF_6TensorESK_SK_EERKSK_lbbbEUlllE0_EEPmJS9_EEE10hipError_tPvRmT3_T4_T5_T6_T7_T9_mT8_P12ihipStream_tbDpT10_ENKUlT_T0_E_clISt17integral_constantIbLb1EES1A_EEDaS15_S16_EUlS15_E_NS1_11comp_targetILNS1_3genE4ELNS1_11target_archE910ELNS1_3gpuE8ELNS1_3repE0EEENS1_30default_config_static_selectorELNS0_4arch9wavefront6targetE0EEEvT1_,"axG",@progbits,_ZN7rocprim17ROCPRIM_400000_NS6detail17trampoline_kernelINS0_14default_configENS1_25partition_config_selectorILNS1_17partition_subalgoE9EllbEEZZNS1_14partition_implILS5_9ELb0ES3_jPlS8_PNS0_10empty_typeENS0_5tupleIJS8_S9_EEENSB_IJS8_SA_EEENS0_18inequality_wrapperIZN2at6native12_GLOBAL__N_124unique_dim_cuda_templateIjEESt5tupleIJNSF_6TensorESK_SK_EERKSK_lbbbEUlllE0_EEPmJS9_EEE10hipError_tPvRmT3_T4_T5_T6_T7_T9_mT8_P12ihipStream_tbDpT10_ENKUlT_T0_E_clISt17integral_constantIbLb1EES1A_EEDaS15_S16_EUlS15_E_NS1_11comp_targetILNS1_3genE4ELNS1_11target_archE910ELNS1_3gpuE8ELNS1_3repE0EEENS1_30default_config_static_selectorELNS0_4arch9wavefront6targetE0EEEvT1_,comdat
	.globl	_ZN7rocprim17ROCPRIM_400000_NS6detail17trampoline_kernelINS0_14default_configENS1_25partition_config_selectorILNS1_17partition_subalgoE9EllbEEZZNS1_14partition_implILS5_9ELb0ES3_jPlS8_PNS0_10empty_typeENS0_5tupleIJS8_S9_EEENSB_IJS8_SA_EEENS0_18inequality_wrapperIZN2at6native12_GLOBAL__N_124unique_dim_cuda_templateIjEESt5tupleIJNSF_6TensorESK_SK_EERKSK_lbbbEUlllE0_EEPmJS9_EEE10hipError_tPvRmT3_T4_T5_T6_T7_T9_mT8_P12ihipStream_tbDpT10_ENKUlT_T0_E_clISt17integral_constantIbLb1EES1A_EEDaS15_S16_EUlS15_E_NS1_11comp_targetILNS1_3genE4ELNS1_11target_archE910ELNS1_3gpuE8ELNS1_3repE0EEENS1_30default_config_static_selectorELNS0_4arch9wavefront6targetE0EEEvT1_ ; -- Begin function _ZN7rocprim17ROCPRIM_400000_NS6detail17trampoline_kernelINS0_14default_configENS1_25partition_config_selectorILNS1_17partition_subalgoE9EllbEEZZNS1_14partition_implILS5_9ELb0ES3_jPlS8_PNS0_10empty_typeENS0_5tupleIJS8_S9_EEENSB_IJS8_SA_EEENS0_18inequality_wrapperIZN2at6native12_GLOBAL__N_124unique_dim_cuda_templateIjEESt5tupleIJNSF_6TensorESK_SK_EERKSK_lbbbEUlllE0_EEPmJS9_EEE10hipError_tPvRmT3_T4_T5_T6_T7_T9_mT8_P12ihipStream_tbDpT10_ENKUlT_T0_E_clISt17integral_constantIbLb1EES1A_EEDaS15_S16_EUlS15_E_NS1_11comp_targetILNS1_3genE4ELNS1_11target_archE910ELNS1_3gpuE8ELNS1_3repE0EEENS1_30default_config_static_selectorELNS0_4arch9wavefront6targetE0EEEvT1_
	.p2align	8
	.type	_ZN7rocprim17ROCPRIM_400000_NS6detail17trampoline_kernelINS0_14default_configENS1_25partition_config_selectorILNS1_17partition_subalgoE9EllbEEZZNS1_14partition_implILS5_9ELb0ES3_jPlS8_PNS0_10empty_typeENS0_5tupleIJS8_S9_EEENSB_IJS8_SA_EEENS0_18inequality_wrapperIZN2at6native12_GLOBAL__N_124unique_dim_cuda_templateIjEESt5tupleIJNSF_6TensorESK_SK_EERKSK_lbbbEUlllE0_EEPmJS9_EEE10hipError_tPvRmT3_T4_T5_T6_T7_T9_mT8_P12ihipStream_tbDpT10_ENKUlT_T0_E_clISt17integral_constantIbLb1EES1A_EEDaS15_S16_EUlS15_E_NS1_11comp_targetILNS1_3genE4ELNS1_11target_archE910ELNS1_3gpuE8ELNS1_3repE0EEENS1_30default_config_static_selectorELNS0_4arch9wavefront6targetE0EEEvT1_,@function
_ZN7rocprim17ROCPRIM_400000_NS6detail17trampoline_kernelINS0_14default_configENS1_25partition_config_selectorILNS1_17partition_subalgoE9EllbEEZZNS1_14partition_implILS5_9ELb0ES3_jPlS8_PNS0_10empty_typeENS0_5tupleIJS8_S9_EEENSB_IJS8_SA_EEENS0_18inequality_wrapperIZN2at6native12_GLOBAL__N_124unique_dim_cuda_templateIjEESt5tupleIJNSF_6TensorESK_SK_EERKSK_lbbbEUlllE0_EEPmJS9_EEE10hipError_tPvRmT3_T4_T5_T6_T7_T9_mT8_P12ihipStream_tbDpT10_ENKUlT_T0_E_clISt17integral_constantIbLb1EES1A_EEDaS15_S16_EUlS15_E_NS1_11comp_targetILNS1_3genE4ELNS1_11target_archE910ELNS1_3gpuE8ELNS1_3repE0EEENS1_30default_config_static_selectorELNS0_4arch9wavefront6targetE0EEEvT1_: ; @_ZN7rocprim17ROCPRIM_400000_NS6detail17trampoline_kernelINS0_14default_configENS1_25partition_config_selectorILNS1_17partition_subalgoE9EllbEEZZNS1_14partition_implILS5_9ELb0ES3_jPlS8_PNS0_10empty_typeENS0_5tupleIJS8_S9_EEENSB_IJS8_SA_EEENS0_18inequality_wrapperIZN2at6native12_GLOBAL__N_124unique_dim_cuda_templateIjEESt5tupleIJNSF_6TensorESK_SK_EERKSK_lbbbEUlllE0_EEPmJS9_EEE10hipError_tPvRmT3_T4_T5_T6_T7_T9_mT8_P12ihipStream_tbDpT10_ENKUlT_T0_E_clISt17integral_constantIbLb1EES1A_EEDaS15_S16_EUlS15_E_NS1_11comp_targetILNS1_3genE4ELNS1_11target_archE910ELNS1_3gpuE8ELNS1_3repE0EEENS1_30default_config_static_selectorELNS0_4arch9wavefront6targetE0EEEvT1_
; %bb.0:
	.section	.rodata,"a",@progbits
	.p2align	6, 0x0
	.amdhsa_kernel _ZN7rocprim17ROCPRIM_400000_NS6detail17trampoline_kernelINS0_14default_configENS1_25partition_config_selectorILNS1_17partition_subalgoE9EllbEEZZNS1_14partition_implILS5_9ELb0ES3_jPlS8_PNS0_10empty_typeENS0_5tupleIJS8_S9_EEENSB_IJS8_SA_EEENS0_18inequality_wrapperIZN2at6native12_GLOBAL__N_124unique_dim_cuda_templateIjEESt5tupleIJNSF_6TensorESK_SK_EERKSK_lbbbEUlllE0_EEPmJS9_EEE10hipError_tPvRmT3_T4_T5_T6_T7_T9_mT8_P12ihipStream_tbDpT10_ENKUlT_T0_E_clISt17integral_constantIbLb1EES1A_EEDaS15_S16_EUlS15_E_NS1_11comp_targetILNS1_3genE4ELNS1_11target_archE910ELNS1_3gpuE8ELNS1_3repE0EEENS1_30default_config_static_selectorELNS0_4arch9wavefront6targetE0EEEvT1_
		.amdhsa_group_segment_fixed_size 0
		.amdhsa_private_segment_fixed_size 0
		.amdhsa_kernarg_size 136
		.amdhsa_user_sgpr_count 15
		.amdhsa_user_sgpr_dispatch_ptr 0
		.amdhsa_user_sgpr_queue_ptr 0
		.amdhsa_user_sgpr_kernarg_segment_ptr 1
		.amdhsa_user_sgpr_dispatch_id 0
		.amdhsa_user_sgpr_private_segment_size 0
		.amdhsa_wavefront_size32 1
		.amdhsa_uses_dynamic_stack 0
		.amdhsa_enable_private_segment 0
		.amdhsa_system_sgpr_workgroup_id_x 1
		.amdhsa_system_sgpr_workgroup_id_y 0
		.amdhsa_system_sgpr_workgroup_id_z 0
		.amdhsa_system_sgpr_workgroup_info 0
		.amdhsa_system_vgpr_workitem_id 0
		.amdhsa_next_free_vgpr 1
		.amdhsa_next_free_sgpr 1
		.amdhsa_reserve_vcc 0
		.amdhsa_float_round_mode_32 0
		.amdhsa_float_round_mode_16_64 0
		.amdhsa_float_denorm_mode_32 3
		.amdhsa_float_denorm_mode_16_64 3
		.amdhsa_dx10_clamp 1
		.amdhsa_ieee_mode 1
		.amdhsa_fp16_overflow 0
		.amdhsa_workgroup_processor_mode 1
		.amdhsa_memory_ordered 1
		.amdhsa_forward_progress 0
		.amdhsa_shared_vgpr_count 0
		.amdhsa_exception_fp_ieee_invalid_op 0
		.amdhsa_exception_fp_denorm_src 0
		.amdhsa_exception_fp_ieee_div_zero 0
		.amdhsa_exception_fp_ieee_overflow 0
		.amdhsa_exception_fp_ieee_underflow 0
		.amdhsa_exception_fp_ieee_inexact 0
		.amdhsa_exception_int_div_zero 0
	.end_amdhsa_kernel
	.section	.text._ZN7rocprim17ROCPRIM_400000_NS6detail17trampoline_kernelINS0_14default_configENS1_25partition_config_selectorILNS1_17partition_subalgoE9EllbEEZZNS1_14partition_implILS5_9ELb0ES3_jPlS8_PNS0_10empty_typeENS0_5tupleIJS8_S9_EEENSB_IJS8_SA_EEENS0_18inequality_wrapperIZN2at6native12_GLOBAL__N_124unique_dim_cuda_templateIjEESt5tupleIJNSF_6TensorESK_SK_EERKSK_lbbbEUlllE0_EEPmJS9_EEE10hipError_tPvRmT3_T4_T5_T6_T7_T9_mT8_P12ihipStream_tbDpT10_ENKUlT_T0_E_clISt17integral_constantIbLb1EES1A_EEDaS15_S16_EUlS15_E_NS1_11comp_targetILNS1_3genE4ELNS1_11target_archE910ELNS1_3gpuE8ELNS1_3repE0EEENS1_30default_config_static_selectorELNS0_4arch9wavefront6targetE0EEEvT1_,"axG",@progbits,_ZN7rocprim17ROCPRIM_400000_NS6detail17trampoline_kernelINS0_14default_configENS1_25partition_config_selectorILNS1_17partition_subalgoE9EllbEEZZNS1_14partition_implILS5_9ELb0ES3_jPlS8_PNS0_10empty_typeENS0_5tupleIJS8_S9_EEENSB_IJS8_SA_EEENS0_18inequality_wrapperIZN2at6native12_GLOBAL__N_124unique_dim_cuda_templateIjEESt5tupleIJNSF_6TensorESK_SK_EERKSK_lbbbEUlllE0_EEPmJS9_EEE10hipError_tPvRmT3_T4_T5_T6_T7_T9_mT8_P12ihipStream_tbDpT10_ENKUlT_T0_E_clISt17integral_constantIbLb1EES1A_EEDaS15_S16_EUlS15_E_NS1_11comp_targetILNS1_3genE4ELNS1_11target_archE910ELNS1_3gpuE8ELNS1_3repE0EEENS1_30default_config_static_selectorELNS0_4arch9wavefront6targetE0EEEvT1_,comdat
.Lfunc_end1581:
	.size	_ZN7rocprim17ROCPRIM_400000_NS6detail17trampoline_kernelINS0_14default_configENS1_25partition_config_selectorILNS1_17partition_subalgoE9EllbEEZZNS1_14partition_implILS5_9ELb0ES3_jPlS8_PNS0_10empty_typeENS0_5tupleIJS8_S9_EEENSB_IJS8_SA_EEENS0_18inequality_wrapperIZN2at6native12_GLOBAL__N_124unique_dim_cuda_templateIjEESt5tupleIJNSF_6TensorESK_SK_EERKSK_lbbbEUlllE0_EEPmJS9_EEE10hipError_tPvRmT3_T4_T5_T6_T7_T9_mT8_P12ihipStream_tbDpT10_ENKUlT_T0_E_clISt17integral_constantIbLb1EES1A_EEDaS15_S16_EUlS15_E_NS1_11comp_targetILNS1_3genE4ELNS1_11target_archE910ELNS1_3gpuE8ELNS1_3repE0EEENS1_30default_config_static_selectorELNS0_4arch9wavefront6targetE0EEEvT1_, .Lfunc_end1581-_ZN7rocprim17ROCPRIM_400000_NS6detail17trampoline_kernelINS0_14default_configENS1_25partition_config_selectorILNS1_17partition_subalgoE9EllbEEZZNS1_14partition_implILS5_9ELb0ES3_jPlS8_PNS0_10empty_typeENS0_5tupleIJS8_S9_EEENSB_IJS8_SA_EEENS0_18inequality_wrapperIZN2at6native12_GLOBAL__N_124unique_dim_cuda_templateIjEESt5tupleIJNSF_6TensorESK_SK_EERKSK_lbbbEUlllE0_EEPmJS9_EEE10hipError_tPvRmT3_T4_T5_T6_T7_T9_mT8_P12ihipStream_tbDpT10_ENKUlT_T0_E_clISt17integral_constantIbLb1EES1A_EEDaS15_S16_EUlS15_E_NS1_11comp_targetILNS1_3genE4ELNS1_11target_archE910ELNS1_3gpuE8ELNS1_3repE0EEENS1_30default_config_static_selectorELNS0_4arch9wavefront6targetE0EEEvT1_
                                        ; -- End function
	.section	.AMDGPU.csdata,"",@progbits
; Kernel info:
; codeLenInByte = 0
; NumSgprs: 0
; NumVgprs: 0
; ScratchSize: 0
; MemoryBound: 0
; FloatMode: 240
; IeeeMode: 1
; LDSByteSize: 0 bytes/workgroup (compile time only)
; SGPRBlocks: 0
; VGPRBlocks: 0
; NumSGPRsForWavesPerEU: 1
; NumVGPRsForWavesPerEU: 1
; Occupancy: 16
; WaveLimiterHint : 0
; COMPUTE_PGM_RSRC2:SCRATCH_EN: 0
; COMPUTE_PGM_RSRC2:USER_SGPR: 15
; COMPUTE_PGM_RSRC2:TRAP_HANDLER: 0
; COMPUTE_PGM_RSRC2:TGID_X_EN: 1
; COMPUTE_PGM_RSRC2:TGID_Y_EN: 0
; COMPUTE_PGM_RSRC2:TGID_Z_EN: 0
; COMPUTE_PGM_RSRC2:TIDIG_COMP_CNT: 0
	.section	.text._ZN7rocprim17ROCPRIM_400000_NS6detail17trampoline_kernelINS0_14default_configENS1_25partition_config_selectorILNS1_17partition_subalgoE9EllbEEZZNS1_14partition_implILS5_9ELb0ES3_jPlS8_PNS0_10empty_typeENS0_5tupleIJS8_S9_EEENSB_IJS8_SA_EEENS0_18inequality_wrapperIZN2at6native12_GLOBAL__N_124unique_dim_cuda_templateIjEESt5tupleIJNSF_6TensorESK_SK_EERKSK_lbbbEUlllE0_EEPmJS9_EEE10hipError_tPvRmT3_T4_T5_T6_T7_T9_mT8_P12ihipStream_tbDpT10_ENKUlT_T0_E_clISt17integral_constantIbLb1EES1A_EEDaS15_S16_EUlS15_E_NS1_11comp_targetILNS1_3genE3ELNS1_11target_archE908ELNS1_3gpuE7ELNS1_3repE0EEENS1_30default_config_static_selectorELNS0_4arch9wavefront6targetE0EEEvT1_,"axG",@progbits,_ZN7rocprim17ROCPRIM_400000_NS6detail17trampoline_kernelINS0_14default_configENS1_25partition_config_selectorILNS1_17partition_subalgoE9EllbEEZZNS1_14partition_implILS5_9ELb0ES3_jPlS8_PNS0_10empty_typeENS0_5tupleIJS8_S9_EEENSB_IJS8_SA_EEENS0_18inequality_wrapperIZN2at6native12_GLOBAL__N_124unique_dim_cuda_templateIjEESt5tupleIJNSF_6TensorESK_SK_EERKSK_lbbbEUlllE0_EEPmJS9_EEE10hipError_tPvRmT3_T4_T5_T6_T7_T9_mT8_P12ihipStream_tbDpT10_ENKUlT_T0_E_clISt17integral_constantIbLb1EES1A_EEDaS15_S16_EUlS15_E_NS1_11comp_targetILNS1_3genE3ELNS1_11target_archE908ELNS1_3gpuE7ELNS1_3repE0EEENS1_30default_config_static_selectorELNS0_4arch9wavefront6targetE0EEEvT1_,comdat
	.globl	_ZN7rocprim17ROCPRIM_400000_NS6detail17trampoline_kernelINS0_14default_configENS1_25partition_config_selectorILNS1_17partition_subalgoE9EllbEEZZNS1_14partition_implILS5_9ELb0ES3_jPlS8_PNS0_10empty_typeENS0_5tupleIJS8_S9_EEENSB_IJS8_SA_EEENS0_18inequality_wrapperIZN2at6native12_GLOBAL__N_124unique_dim_cuda_templateIjEESt5tupleIJNSF_6TensorESK_SK_EERKSK_lbbbEUlllE0_EEPmJS9_EEE10hipError_tPvRmT3_T4_T5_T6_T7_T9_mT8_P12ihipStream_tbDpT10_ENKUlT_T0_E_clISt17integral_constantIbLb1EES1A_EEDaS15_S16_EUlS15_E_NS1_11comp_targetILNS1_3genE3ELNS1_11target_archE908ELNS1_3gpuE7ELNS1_3repE0EEENS1_30default_config_static_selectorELNS0_4arch9wavefront6targetE0EEEvT1_ ; -- Begin function _ZN7rocprim17ROCPRIM_400000_NS6detail17trampoline_kernelINS0_14default_configENS1_25partition_config_selectorILNS1_17partition_subalgoE9EllbEEZZNS1_14partition_implILS5_9ELb0ES3_jPlS8_PNS0_10empty_typeENS0_5tupleIJS8_S9_EEENSB_IJS8_SA_EEENS0_18inequality_wrapperIZN2at6native12_GLOBAL__N_124unique_dim_cuda_templateIjEESt5tupleIJNSF_6TensorESK_SK_EERKSK_lbbbEUlllE0_EEPmJS9_EEE10hipError_tPvRmT3_T4_T5_T6_T7_T9_mT8_P12ihipStream_tbDpT10_ENKUlT_T0_E_clISt17integral_constantIbLb1EES1A_EEDaS15_S16_EUlS15_E_NS1_11comp_targetILNS1_3genE3ELNS1_11target_archE908ELNS1_3gpuE7ELNS1_3repE0EEENS1_30default_config_static_selectorELNS0_4arch9wavefront6targetE0EEEvT1_
	.p2align	8
	.type	_ZN7rocprim17ROCPRIM_400000_NS6detail17trampoline_kernelINS0_14default_configENS1_25partition_config_selectorILNS1_17partition_subalgoE9EllbEEZZNS1_14partition_implILS5_9ELb0ES3_jPlS8_PNS0_10empty_typeENS0_5tupleIJS8_S9_EEENSB_IJS8_SA_EEENS0_18inequality_wrapperIZN2at6native12_GLOBAL__N_124unique_dim_cuda_templateIjEESt5tupleIJNSF_6TensorESK_SK_EERKSK_lbbbEUlllE0_EEPmJS9_EEE10hipError_tPvRmT3_T4_T5_T6_T7_T9_mT8_P12ihipStream_tbDpT10_ENKUlT_T0_E_clISt17integral_constantIbLb1EES1A_EEDaS15_S16_EUlS15_E_NS1_11comp_targetILNS1_3genE3ELNS1_11target_archE908ELNS1_3gpuE7ELNS1_3repE0EEENS1_30default_config_static_selectorELNS0_4arch9wavefront6targetE0EEEvT1_,@function
_ZN7rocprim17ROCPRIM_400000_NS6detail17trampoline_kernelINS0_14default_configENS1_25partition_config_selectorILNS1_17partition_subalgoE9EllbEEZZNS1_14partition_implILS5_9ELb0ES3_jPlS8_PNS0_10empty_typeENS0_5tupleIJS8_S9_EEENSB_IJS8_SA_EEENS0_18inequality_wrapperIZN2at6native12_GLOBAL__N_124unique_dim_cuda_templateIjEESt5tupleIJNSF_6TensorESK_SK_EERKSK_lbbbEUlllE0_EEPmJS9_EEE10hipError_tPvRmT3_T4_T5_T6_T7_T9_mT8_P12ihipStream_tbDpT10_ENKUlT_T0_E_clISt17integral_constantIbLb1EES1A_EEDaS15_S16_EUlS15_E_NS1_11comp_targetILNS1_3genE3ELNS1_11target_archE908ELNS1_3gpuE7ELNS1_3repE0EEENS1_30default_config_static_selectorELNS0_4arch9wavefront6targetE0EEEvT1_: ; @_ZN7rocprim17ROCPRIM_400000_NS6detail17trampoline_kernelINS0_14default_configENS1_25partition_config_selectorILNS1_17partition_subalgoE9EllbEEZZNS1_14partition_implILS5_9ELb0ES3_jPlS8_PNS0_10empty_typeENS0_5tupleIJS8_S9_EEENSB_IJS8_SA_EEENS0_18inequality_wrapperIZN2at6native12_GLOBAL__N_124unique_dim_cuda_templateIjEESt5tupleIJNSF_6TensorESK_SK_EERKSK_lbbbEUlllE0_EEPmJS9_EEE10hipError_tPvRmT3_T4_T5_T6_T7_T9_mT8_P12ihipStream_tbDpT10_ENKUlT_T0_E_clISt17integral_constantIbLb1EES1A_EEDaS15_S16_EUlS15_E_NS1_11comp_targetILNS1_3genE3ELNS1_11target_archE908ELNS1_3gpuE7ELNS1_3repE0EEENS1_30default_config_static_selectorELNS0_4arch9wavefront6targetE0EEEvT1_
; %bb.0:
	.section	.rodata,"a",@progbits
	.p2align	6, 0x0
	.amdhsa_kernel _ZN7rocprim17ROCPRIM_400000_NS6detail17trampoline_kernelINS0_14default_configENS1_25partition_config_selectorILNS1_17partition_subalgoE9EllbEEZZNS1_14partition_implILS5_9ELb0ES3_jPlS8_PNS0_10empty_typeENS0_5tupleIJS8_S9_EEENSB_IJS8_SA_EEENS0_18inequality_wrapperIZN2at6native12_GLOBAL__N_124unique_dim_cuda_templateIjEESt5tupleIJNSF_6TensorESK_SK_EERKSK_lbbbEUlllE0_EEPmJS9_EEE10hipError_tPvRmT3_T4_T5_T6_T7_T9_mT8_P12ihipStream_tbDpT10_ENKUlT_T0_E_clISt17integral_constantIbLb1EES1A_EEDaS15_S16_EUlS15_E_NS1_11comp_targetILNS1_3genE3ELNS1_11target_archE908ELNS1_3gpuE7ELNS1_3repE0EEENS1_30default_config_static_selectorELNS0_4arch9wavefront6targetE0EEEvT1_
		.amdhsa_group_segment_fixed_size 0
		.amdhsa_private_segment_fixed_size 0
		.amdhsa_kernarg_size 136
		.amdhsa_user_sgpr_count 15
		.amdhsa_user_sgpr_dispatch_ptr 0
		.amdhsa_user_sgpr_queue_ptr 0
		.amdhsa_user_sgpr_kernarg_segment_ptr 1
		.amdhsa_user_sgpr_dispatch_id 0
		.amdhsa_user_sgpr_private_segment_size 0
		.amdhsa_wavefront_size32 1
		.amdhsa_uses_dynamic_stack 0
		.amdhsa_enable_private_segment 0
		.amdhsa_system_sgpr_workgroup_id_x 1
		.amdhsa_system_sgpr_workgroup_id_y 0
		.amdhsa_system_sgpr_workgroup_id_z 0
		.amdhsa_system_sgpr_workgroup_info 0
		.amdhsa_system_vgpr_workitem_id 0
		.amdhsa_next_free_vgpr 1
		.amdhsa_next_free_sgpr 1
		.amdhsa_reserve_vcc 0
		.amdhsa_float_round_mode_32 0
		.amdhsa_float_round_mode_16_64 0
		.amdhsa_float_denorm_mode_32 3
		.amdhsa_float_denorm_mode_16_64 3
		.amdhsa_dx10_clamp 1
		.amdhsa_ieee_mode 1
		.amdhsa_fp16_overflow 0
		.amdhsa_workgroup_processor_mode 1
		.amdhsa_memory_ordered 1
		.amdhsa_forward_progress 0
		.amdhsa_shared_vgpr_count 0
		.amdhsa_exception_fp_ieee_invalid_op 0
		.amdhsa_exception_fp_denorm_src 0
		.amdhsa_exception_fp_ieee_div_zero 0
		.amdhsa_exception_fp_ieee_overflow 0
		.amdhsa_exception_fp_ieee_underflow 0
		.amdhsa_exception_fp_ieee_inexact 0
		.amdhsa_exception_int_div_zero 0
	.end_amdhsa_kernel
	.section	.text._ZN7rocprim17ROCPRIM_400000_NS6detail17trampoline_kernelINS0_14default_configENS1_25partition_config_selectorILNS1_17partition_subalgoE9EllbEEZZNS1_14partition_implILS5_9ELb0ES3_jPlS8_PNS0_10empty_typeENS0_5tupleIJS8_S9_EEENSB_IJS8_SA_EEENS0_18inequality_wrapperIZN2at6native12_GLOBAL__N_124unique_dim_cuda_templateIjEESt5tupleIJNSF_6TensorESK_SK_EERKSK_lbbbEUlllE0_EEPmJS9_EEE10hipError_tPvRmT3_T4_T5_T6_T7_T9_mT8_P12ihipStream_tbDpT10_ENKUlT_T0_E_clISt17integral_constantIbLb1EES1A_EEDaS15_S16_EUlS15_E_NS1_11comp_targetILNS1_3genE3ELNS1_11target_archE908ELNS1_3gpuE7ELNS1_3repE0EEENS1_30default_config_static_selectorELNS0_4arch9wavefront6targetE0EEEvT1_,"axG",@progbits,_ZN7rocprim17ROCPRIM_400000_NS6detail17trampoline_kernelINS0_14default_configENS1_25partition_config_selectorILNS1_17partition_subalgoE9EllbEEZZNS1_14partition_implILS5_9ELb0ES3_jPlS8_PNS0_10empty_typeENS0_5tupleIJS8_S9_EEENSB_IJS8_SA_EEENS0_18inequality_wrapperIZN2at6native12_GLOBAL__N_124unique_dim_cuda_templateIjEESt5tupleIJNSF_6TensorESK_SK_EERKSK_lbbbEUlllE0_EEPmJS9_EEE10hipError_tPvRmT3_T4_T5_T6_T7_T9_mT8_P12ihipStream_tbDpT10_ENKUlT_T0_E_clISt17integral_constantIbLb1EES1A_EEDaS15_S16_EUlS15_E_NS1_11comp_targetILNS1_3genE3ELNS1_11target_archE908ELNS1_3gpuE7ELNS1_3repE0EEENS1_30default_config_static_selectorELNS0_4arch9wavefront6targetE0EEEvT1_,comdat
.Lfunc_end1582:
	.size	_ZN7rocprim17ROCPRIM_400000_NS6detail17trampoline_kernelINS0_14default_configENS1_25partition_config_selectorILNS1_17partition_subalgoE9EllbEEZZNS1_14partition_implILS5_9ELb0ES3_jPlS8_PNS0_10empty_typeENS0_5tupleIJS8_S9_EEENSB_IJS8_SA_EEENS0_18inequality_wrapperIZN2at6native12_GLOBAL__N_124unique_dim_cuda_templateIjEESt5tupleIJNSF_6TensorESK_SK_EERKSK_lbbbEUlllE0_EEPmJS9_EEE10hipError_tPvRmT3_T4_T5_T6_T7_T9_mT8_P12ihipStream_tbDpT10_ENKUlT_T0_E_clISt17integral_constantIbLb1EES1A_EEDaS15_S16_EUlS15_E_NS1_11comp_targetILNS1_3genE3ELNS1_11target_archE908ELNS1_3gpuE7ELNS1_3repE0EEENS1_30default_config_static_selectorELNS0_4arch9wavefront6targetE0EEEvT1_, .Lfunc_end1582-_ZN7rocprim17ROCPRIM_400000_NS6detail17trampoline_kernelINS0_14default_configENS1_25partition_config_selectorILNS1_17partition_subalgoE9EllbEEZZNS1_14partition_implILS5_9ELb0ES3_jPlS8_PNS0_10empty_typeENS0_5tupleIJS8_S9_EEENSB_IJS8_SA_EEENS0_18inequality_wrapperIZN2at6native12_GLOBAL__N_124unique_dim_cuda_templateIjEESt5tupleIJNSF_6TensorESK_SK_EERKSK_lbbbEUlllE0_EEPmJS9_EEE10hipError_tPvRmT3_T4_T5_T6_T7_T9_mT8_P12ihipStream_tbDpT10_ENKUlT_T0_E_clISt17integral_constantIbLb1EES1A_EEDaS15_S16_EUlS15_E_NS1_11comp_targetILNS1_3genE3ELNS1_11target_archE908ELNS1_3gpuE7ELNS1_3repE0EEENS1_30default_config_static_selectorELNS0_4arch9wavefront6targetE0EEEvT1_
                                        ; -- End function
	.section	.AMDGPU.csdata,"",@progbits
; Kernel info:
; codeLenInByte = 0
; NumSgprs: 0
; NumVgprs: 0
; ScratchSize: 0
; MemoryBound: 0
; FloatMode: 240
; IeeeMode: 1
; LDSByteSize: 0 bytes/workgroup (compile time only)
; SGPRBlocks: 0
; VGPRBlocks: 0
; NumSGPRsForWavesPerEU: 1
; NumVGPRsForWavesPerEU: 1
; Occupancy: 16
; WaveLimiterHint : 0
; COMPUTE_PGM_RSRC2:SCRATCH_EN: 0
; COMPUTE_PGM_RSRC2:USER_SGPR: 15
; COMPUTE_PGM_RSRC2:TRAP_HANDLER: 0
; COMPUTE_PGM_RSRC2:TGID_X_EN: 1
; COMPUTE_PGM_RSRC2:TGID_Y_EN: 0
; COMPUTE_PGM_RSRC2:TGID_Z_EN: 0
; COMPUTE_PGM_RSRC2:TIDIG_COMP_CNT: 0
	.section	.text._ZN7rocprim17ROCPRIM_400000_NS6detail17trampoline_kernelINS0_14default_configENS1_25partition_config_selectorILNS1_17partition_subalgoE9EllbEEZZNS1_14partition_implILS5_9ELb0ES3_jPlS8_PNS0_10empty_typeENS0_5tupleIJS8_S9_EEENSB_IJS8_SA_EEENS0_18inequality_wrapperIZN2at6native12_GLOBAL__N_124unique_dim_cuda_templateIjEESt5tupleIJNSF_6TensorESK_SK_EERKSK_lbbbEUlllE0_EEPmJS9_EEE10hipError_tPvRmT3_T4_T5_T6_T7_T9_mT8_P12ihipStream_tbDpT10_ENKUlT_T0_E_clISt17integral_constantIbLb1EES1A_EEDaS15_S16_EUlS15_E_NS1_11comp_targetILNS1_3genE2ELNS1_11target_archE906ELNS1_3gpuE6ELNS1_3repE0EEENS1_30default_config_static_selectorELNS0_4arch9wavefront6targetE0EEEvT1_,"axG",@progbits,_ZN7rocprim17ROCPRIM_400000_NS6detail17trampoline_kernelINS0_14default_configENS1_25partition_config_selectorILNS1_17partition_subalgoE9EllbEEZZNS1_14partition_implILS5_9ELb0ES3_jPlS8_PNS0_10empty_typeENS0_5tupleIJS8_S9_EEENSB_IJS8_SA_EEENS0_18inequality_wrapperIZN2at6native12_GLOBAL__N_124unique_dim_cuda_templateIjEESt5tupleIJNSF_6TensorESK_SK_EERKSK_lbbbEUlllE0_EEPmJS9_EEE10hipError_tPvRmT3_T4_T5_T6_T7_T9_mT8_P12ihipStream_tbDpT10_ENKUlT_T0_E_clISt17integral_constantIbLb1EES1A_EEDaS15_S16_EUlS15_E_NS1_11comp_targetILNS1_3genE2ELNS1_11target_archE906ELNS1_3gpuE6ELNS1_3repE0EEENS1_30default_config_static_selectorELNS0_4arch9wavefront6targetE0EEEvT1_,comdat
	.globl	_ZN7rocprim17ROCPRIM_400000_NS6detail17trampoline_kernelINS0_14default_configENS1_25partition_config_selectorILNS1_17partition_subalgoE9EllbEEZZNS1_14partition_implILS5_9ELb0ES3_jPlS8_PNS0_10empty_typeENS0_5tupleIJS8_S9_EEENSB_IJS8_SA_EEENS0_18inequality_wrapperIZN2at6native12_GLOBAL__N_124unique_dim_cuda_templateIjEESt5tupleIJNSF_6TensorESK_SK_EERKSK_lbbbEUlllE0_EEPmJS9_EEE10hipError_tPvRmT3_T4_T5_T6_T7_T9_mT8_P12ihipStream_tbDpT10_ENKUlT_T0_E_clISt17integral_constantIbLb1EES1A_EEDaS15_S16_EUlS15_E_NS1_11comp_targetILNS1_3genE2ELNS1_11target_archE906ELNS1_3gpuE6ELNS1_3repE0EEENS1_30default_config_static_selectorELNS0_4arch9wavefront6targetE0EEEvT1_ ; -- Begin function _ZN7rocprim17ROCPRIM_400000_NS6detail17trampoline_kernelINS0_14default_configENS1_25partition_config_selectorILNS1_17partition_subalgoE9EllbEEZZNS1_14partition_implILS5_9ELb0ES3_jPlS8_PNS0_10empty_typeENS0_5tupleIJS8_S9_EEENSB_IJS8_SA_EEENS0_18inequality_wrapperIZN2at6native12_GLOBAL__N_124unique_dim_cuda_templateIjEESt5tupleIJNSF_6TensorESK_SK_EERKSK_lbbbEUlllE0_EEPmJS9_EEE10hipError_tPvRmT3_T4_T5_T6_T7_T9_mT8_P12ihipStream_tbDpT10_ENKUlT_T0_E_clISt17integral_constantIbLb1EES1A_EEDaS15_S16_EUlS15_E_NS1_11comp_targetILNS1_3genE2ELNS1_11target_archE906ELNS1_3gpuE6ELNS1_3repE0EEENS1_30default_config_static_selectorELNS0_4arch9wavefront6targetE0EEEvT1_
	.p2align	8
	.type	_ZN7rocprim17ROCPRIM_400000_NS6detail17trampoline_kernelINS0_14default_configENS1_25partition_config_selectorILNS1_17partition_subalgoE9EllbEEZZNS1_14partition_implILS5_9ELb0ES3_jPlS8_PNS0_10empty_typeENS0_5tupleIJS8_S9_EEENSB_IJS8_SA_EEENS0_18inequality_wrapperIZN2at6native12_GLOBAL__N_124unique_dim_cuda_templateIjEESt5tupleIJNSF_6TensorESK_SK_EERKSK_lbbbEUlllE0_EEPmJS9_EEE10hipError_tPvRmT3_T4_T5_T6_T7_T9_mT8_P12ihipStream_tbDpT10_ENKUlT_T0_E_clISt17integral_constantIbLb1EES1A_EEDaS15_S16_EUlS15_E_NS1_11comp_targetILNS1_3genE2ELNS1_11target_archE906ELNS1_3gpuE6ELNS1_3repE0EEENS1_30default_config_static_selectorELNS0_4arch9wavefront6targetE0EEEvT1_,@function
_ZN7rocprim17ROCPRIM_400000_NS6detail17trampoline_kernelINS0_14default_configENS1_25partition_config_selectorILNS1_17partition_subalgoE9EllbEEZZNS1_14partition_implILS5_9ELb0ES3_jPlS8_PNS0_10empty_typeENS0_5tupleIJS8_S9_EEENSB_IJS8_SA_EEENS0_18inequality_wrapperIZN2at6native12_GLOBAL__N_124unique_dim_cuda_templateIjEESt5tupleIJNSF_6TensorESK_SK_EERKSK_lbbbEUlllE0_EEPmJS9_EEE10hipError_tPvRmT3_T4_T5_T6_T7_T9_mT8_P12ihipStream_tbDpT10_ENKUlT_T0_E_clISt17integral_constantIbLb1EES1A_EEDaS15_S16_EUlS15_E_NS1_11comp_targetILNS1_3genE2ELNS1_11target_archE906ELNS1_3gpuE6ELNS1_3repE0EEENS1_30default_config_static_selectorELNS0_4arch9wavefront6targetE0EEEvT1_: ; @_ZN7rocprim17ROCPRIM_400000_NS6detail17trampoline_kernelINS0_14default_configENS1_25partition_config_selectorILNS1_17partition_subalgoE9EllbEEZZNS1_14partition_implILS5_9ELb0ES3_jPlS8_PNS0_10empty_typeENS0_5tupleIJS8_S9_EEENSB_IJS8_SA_EEENS0_18inequality_wrapperIZN2at6native12_GLOBAL__N_124unique_dim_cuda_templateIjEESt5tupleIJNSF_6TensorESK_SK_EERKSK_lbbbEUlllE0_EEPmJS9_EEE10hipError_tPvRmT3_T4_T5_T6_T7_T9_mT8_P12ihipStream_tbDpT10_ENKUlT_T0_E_clISt17integral_constantIbLb1EES1A_EEDaS15_S16_EUlS15_E_NS1_11comp_targetILNS1_3genE2ELNS1_11target_archE906ELNS1_3gpuE6ELNS1_3repE0EEENS1_30default_config_static_selectorELNS0_4arch9wavefront6targetE0EEEvT1_
; %bb.0:
	.section	.rodata,"a",@progbits
	.p2align	6, 0x0
	.amdhsa_kernel _ZN7rocprim17ROCPRIM_400000_NS6detail17trampoline_kernelINS0_14default_configENS1_25partition_config_selectorILNS1_17partition_subalgoE9EllbEEZZNS1_14partition_implILS5_9ELb0ES3_jPlS8_PNS0_10empty_typeENS0_5tupleIJS8_S9_EEENSB_IJS8_SA_EEENS0_18inequality_wrapperIZN2at6native12_GLOBAL__N_124unique_dim_cuda_templateIjEESt5tupleIJNSF_6TensorESK_SK_EERKSK_lbbbEUlllE0_EEPmJS9_EEE10hipError_tPvRmT3_T4_T5_T6_T7_T9_mT8_P12ihipStream_tbDpT10_ENKUlT_T0_E_clISt17integral_constantIbLb1EES1A_EEDaS15_S16_EUlS15_E_NS1_11comp_targetILNS1_3genE2ELNS1_11target_archE906ELNS1_3gpuE6ELNS1_3repE0EEENS1_30default_config_static_selectorELNS0_4arch9wavefront6targetE0EEEvT1_
		.amdhsa_group_segment_fixed_size 0
		.amdhsa_private_segment_fixed_size 0
		.amdhsa_kernarg_size 136
		.amdhsa_user_sgpr_count 15
		.amdhsa_user_sgpr_dispatch_ptr 0
		.amdhsa_user_sgpr_queue_ptr 0
		.amdhsa_user_sgpr_kernarg_segment_ptr 1
		.amdhsa_user_sgpr_dispatch_id 0
		.amdhsa_user_sgpr_private_segment_size 0
		.amdhsa_wavefront_size32 1
		.amdhsa_uses_dynamic_stack 0
		.amdhsa_enable_private_segment 0
		.amdhsa_system_sgpr_workgroup_id_x 1
		.amdhsa_system_sgpr_workgroup_id_y 0
		.amdhsa_system_sgpr_workgroup_id_z 0
		.amdhsa_system_sgpr_workgroup_info 0
		.amdhsa_system_vgpr_workitem_id 0
		.amdhsa_next_free_vgpr 1
		.amdhsa_next_free_sgpr 1
		.amdhsa_reserve_vcc 0
		.amdhsa_float_round_mode_32 0
		.amdhsa_float_round_mode_16_64 0
		.amdhsa_float_denorm_mode_32 3
		.amdhsa_float_denorm_mode_16_64 3
		.amdhsa_dx10_clamp 1
		.amdhsa_ieee_mode 1
		.amdhsa_fp16_overflow 0
		.amdhsa_workgroup_processor_mode 1
		.amdhsa_memory_ordered 1
		.amdhsa_forward_progress 0
		.amdhsa_shared_vgpr_count 0
		.amdhsa_exception_fp_ieee_invalid_op 0
		.amdhsa_exception_fp_denorm_src 0
		.amdhsa_exception_fp_ieee_div_zero 0
		.amdhsa_exception_fp_ieee_overflow 0
		.amdhsa_exception_fp_ieee_underflow 0
		.amdhsa_exception_fp_ieee_inexact 0
		.amdhsa_exception_int_div_zero 0
	.end_amdhsa_kernel
	.section	.text._ZN7rocprim17ROCPRIM_400000_NS6detail17trampoline_kernelINS0_14default_configENS1_25partition_config_selectorILNS1_17partition_subalgoE9EllbEEZZNS1_14partition_implILS5_9ELb0ES3_jPlS8_PNS0_10empty_typeENS0_5tupleIJS8_S9_EEENSB_IJS8_SA_EEENS0_18inequality_wrapperIZN2at6native12_GLOBAL__N_124unique_dim_cuda_templateIjEESt5tupleIJNSF_6TensorESK_SK_EERKSK_lbbbEUlllE0_EEPmJS9_EEE10hipError_tPvRmT3_T4_T5_T6_T7_T9_mT8_P12ihipStream_tbDpT10_ENKUlT_T0_E_clISt17integral_constantIbLb1EES1A_EEDaS15_S16_EUlS15_E_NS1_11comp_targetILNS1_3genE2ELNS1_11target_archE906ELNS1_3gpuE6ELNS1_3repE0EEENS1_30default_config_static_selectorELNS0_4arch9wavefront6targetE0EEEvT1_,"axG",@progbits,_ZN7rocprim17ROCPRIM_400000_NS6detail17trampoline_kernelINS0_14default_configENS1_25partition_config_selectorILNS1_17partition_subalgoE9EllbEEZZNS1_14partition_implILS5_9ELb0ES3_jPlS8_PNS0_10empty_typeENS0_5tupleIJS8_S9_EEENSB_IJS8_SA_EEENS0_18inequality_wrapperIZN2at6native12_GLOBAL__N_124unique_dim_cuda_templateIjEESt5tupleIJNSF_6TensorESK_SK_EERKSK_lbbbEUlllE0_EEPmJS9_EEE10hipError_tPvRmT3_T4_T5_T6_T7_T9_mT8_P12ihipStream_tbDpT10_ENKUlT_T0_E_clISt17integral_constantIbLb1EES1A_EEDaS15_S16_EUlS15_E_NS1_11comp_targetILNS1_3genE2ELNS1_11target_archE906ELNS1_3gpuE6ELNS1_3repE0EEENS1_30default_config_static_selectorELNS0_4arch9wavefront6targetE0EEEvT1_,comdat
.Lfunc_end1583:
	.size	_ZN7rocprim17ROCPRIM_400000_NS6detail17trampoline_kernelINS0_14default_configENS1_25partition_config_selectorILNS1_17partition_subalgoE9EllbEEZZNS1_14partition_implILS5_9ELb0ES3_jPlS8_PNS0_10empty_typeENS0_5tupleIJS8_S9_EEENSB_IJS8_SA_EEENS0_18inequality_wrapperIZN2at6native12_GLOBAL__N_124unique_dim_cuda_templateIjEESt5tupleIJNSF_6TensorESK_SK_EERKSK_lbbbEUlllE0_EEPmJS9_EEE10hipError_tPvRmT3_T4_T5_T6_T7_T9_mT8_P12ihipStream_tbDpT10_ENKUlT_T0_E_clISt17integral_constantIbLb1EES1A_EEDaS15_S16_EUlS15_E_NS1_11comp_targetILNS1_3genE2ELNS1_11target_archE906ELNS1_3gpuE6ELNS1_3repE0EEENS1_30default_config_static_selectorELNS0_4arch9wavefront6targetE0EEEvT1_, .Lfunc_end1583-_ZN7rocprim17ROCPRIM_400000_NS6detail17trampoline_kernelINS0_14default_configENS1_25partition_config_selectorILNS1_17partition_subalgoE9EllbEEZZNS1_14partition_implILS5_9ELb0ES3_jPlS8_PNS0_10empty_typeENS0_5tupleIJS8_S9_EEENSB_IJS8_SA_EEENS0_18inequality_wrapperIZN2at6native12_GLOBAL__N_124unique_dim_cuda_templateIjEESt5tupleIJNSF_6TensorESK_SK_EERKSK_lbbbEUlllE0_EEPmJS9_EEE10hipError_tPvRmT3_T4_T5_T6_T7_T9_mT8_P12ihipStream_tbDpT10_ENKUlT_T0_E_clISt17integral_constantIbLb1EES1A_EEDaS15_S16_EUlS15_E_NS1_11comp_targetILNS1_3genE2ELNS1_11target_archE906ELNS1_3gpuE6ELNS1_3repE0EEENS1_30default_config_static_selectorELNS0_4arch9wavefront6targetE0EEEvT1_
                                        ; -- End function
	.section	.AMDGPU.csdata,"",@progbits
; Kernel info:
; codeLenInByte = 0
; NumSgprs: 0
; NumVgprs: 0
; ScratchSize: 0
; MemoryBound: 0
; FloatMode: 240
; IeeeMode: 1
; LDSByteSize: 0 bytes/workgroup (compile time only)
; SGPRBlocks: 0
; VGPRBlocks: 0
; NumSGPRsForWavesPerEU: 1
; NumVGPRsForWavesPerEU: 1
; Occupancy: 15
; WaveLimiterHint : 0
; COMPUTE_PGM_RSRC2:SCRATCH_EN: 0
; COMPUTE_PGM_RSRC2:USER_SGPR: 15
; COMPUTE_PGM_RSRC2:TRAP_HANDLER: 0
; COMPUTE_PGM_RSRC2:TGID_X_EN: 1
; COMPUTE_PGM_RSRC2:TGID_Y_EN: 0
; COMPUTE_PGM_RSRC2:TGID_Z_EN: 0
; COMPUTE_PGM_RSRC2:TIDIG_COMP_CNT: 0
	.section	.text._ZN7rocprim17ROCPRIM_400000_NS6detail17trampoline_kernelINS0_14default_configENS1_25partition_config_selectorILNS1_17partition_subalgoE9EllbEEZZNS1_14partition_implILS5_9ELb0ES3_jPlS8_PNS0_10empty_typeENS0_5tupleIJS8_S9_EEENSB_IJS8_SA_EEENS0_18inequality_wrapperIZN2at6native12_GLOBAL__N_124unique_dim_cuda_templateIjEESt5tupleIJNSF_6TensorESK_SK_EERKSK_lbbbEUlllE0_EEPmJS9_EEE10hipError_tPvRmT3_T4_T5_T6_T7_T9_mT8_P12ihipStream_tbDpT10_ENKUlT_T0_E_clISt17integral_constantIbLb1EES1A_EEDaS15_S16_EUlS15_E_NS1_11comp_targetILNS1_3genE10ELNS1_11target_archE1200ELNS1_3gpuE4ELNS1_3repE0EEENS1_30default_config_static_selectorELNS0_4arch9wavefront6targetE0EEEvT1_,"axG",@progbits,_ZN7rocprim17ROCPRIM_400000_NS6detail17trampoline_kernelINS0_14default_configENS1_25partition_config_selectorILNS1_17partition_subalgoE9EllbEEZZNS1_14partition_implILS5_9ELb0ES3_jPlS8_PNS0_10empty_typeENS0_5tupleIJS8_S9_EEENSB_IJS8_SA_EEENS0_18inequality_wrapperIZN2at6native12_GLOBAL__N_124unique_dim_cuda_templateIjEESt5tupleIJNSF_6TensorESK_SK_EERKSK_lbbbEUlllE0_EEPmJS9_EEE10hipError_tPvRmT3_T4_T5_T6_T7_T9_mT8_P12ihipStream_tbDpT10_ENKUlT_T0_E_clISt17integral_constantIbLb1EES1A_EEDaS15_S16_EUlS15_E_NS1_11comp_targetILNS1_3genE10ELNS1_11target_archE1200ELNS1_3gpuE4ELNS1_3repE0EEENS1_30default_config_static_selectorELNS0_4arch9wavefront6targetE0EEEvT1_,comdat
	.globl	_ZN7rocprim17ROCPRIM_400000_NS6detail17trampoline_kernelINS0_14default_configENS1_25partition_config_selectorILNS1_17partition_subalgoE9EllbEEZZNS1_14partition_implILS5_9ELb0ES3_jPlS8_PNS0_10empty_typeENS0_5tupleIJS8_S9_EEENSB_IJS8_SA_EEENS0_18inequality_wrapperIZN2at6native12_GLOBAL__N_124unique_dim_cuda_templateIjEESt5tupleIJNSF_6TensorESK_SK_EERKSK_lbbbEUlllE0_EEPmJS9_EEE10hipError_tPvRmT3_T4_T5_T6_T7_T9_mT8_P12ihipStream_tbDpT10_ENKUlT_T0_E_clISt17integral_constantIbLb1EES1A_EEDaS15_S16_EUlS15_E_NS1_11comp_targetILNS1_3genE10ELNS1_11target_archE1200ELNS1_3gpuE4ELNS1_3repE0EEENS1_30default_config_static_selectorELNS0_4arch9wavefront6targetE0EEEvT1_ ; -- Begin function _ZN7rocprim17ROCPRIM_400000_NS6detail17trampoline_kernelINS0_14default_configENS1_25partition_config_selectorILNS1_17partition_subalgoE9EllbEEZZNS1_14partition_implILS5_9ELb0ES3_jPlS8_PNS0_10empty_typeENS0_5tupleIJS8_S9_EEENSB_IJS8_SA_EEENS0_18inequality_wrapperIZN2at6native12_GLOBAL__N_124unique_dim_cuda_templateIjEESt5tupleIJNSF_6TensorESK_SK_EERKSK_lbbbEUlllE0_EEPmJS9_EEE10hipError_tPvRmT3_T4_T5_T6_T7_T9_mT8_P12ihipStream_tbDpT10_ENKUlT_T0_E_clISt17integral_constantIbLb1EES1A_EEDaS15_S16_EUlS15_E_NS1_11comp_targetILNS1_3genE10ELNS1_11target_archE1200ELNS1_3gpuE4ELNS1_3repE0EEENS1_30default_config_static_selectorELNS0_4arch9wavefront6targetE0EEEvT1_
	.p2align	8
	.type	_ZN7rocprim17ROCPRIM_400000_NS6detail17trampoline_kernelINS0_14default_configENS1_25partition_config_selectorILNS1_17partition_subalgoE9EllbEEZZNS1_14partition_implILS5_9ELb0ES3_jPlS8_PNS0_10empty_typeENS0_5tupleIJS8_S9_EEENSB_IJS8_SA_EEENS0_18inequality_wrapperIZN2at6native12_GLOBAL__N_124unique_dim_cuda_templateIjEESt5tupleIJNSF_6TensorESK_SK_EERKSK_lbbbEUlllE0_EEPmJS9_EEE10hipError_tPvRmT3_T4_T5_T6_T7_T9_mT8_P12ihipStream_tbDpT10_ENKUlT_T0_E_clISt17integral_constantIbLb1EES1A_EEDaS15_S16_EUlS15_E_NS1_11comp_targetILNS1_3genE10ELNS1_11target_archE1200ELNS1_3gpuE4ELNS1_3repE0EEENS1_30default_config_static_selectorELNS0_4arch9wavefront6targetE0EEEvT1_,@function
_ZN7rocprim17ROCPRIM_400000_NS6detail17trampoline_kernelINS0_14default_configENS1_25partition_config_selectorILNS1_17partition_subalgoE9EllbEEZZNS1_14partition_implILS5_9ELb0ES3_jPlS8_PNS0_10empty_typeENS0_5tupleIJS8_S9_EEENSB_IJS8_SA_EEENS0_18inequality_wrapperIZN2at6native12_GLOBAL__N_124unique_dim_cuda_templateIjEESt5tupleIJNSF_6TensorESK_SK_EERKSK_lbbbEUlllE0_EEPmJS9_EEE10hipError_tPvRmT3_T4_T5_T6_T7_T9_mT8_P12ihipStream_tbDpT10_ENKUlT_T0_E_clISt17integral_constantIbLb1EES1A_EEDaS15_S16_EUlS15_E_NS1_11comp_targetILNS1_3genE10ELNS1_11target_archE1200ELNS1_3gpuE4ELNS1_3repE0EEENS1_30default_config_static_selectorELNS0_4arch9wavefront6targetE0EEEvT1_: ; @_ZN7rocprim17ROCPRIM_400000_NS6detail17trampoline_kernelINS0_14default_configENS1_25partition_config_selectorILNS1_17partition_subalgoE9EllbEEZZNS1_14partition_implILS5_9ELb0ES3_jPlS8_PNS0_10empty_typeENS0_5tupleIJS8_S9_EEENSB_IJS8_SA_EEENS0_18inequality_wrapperIZN2at6native12_GLOBAL__N_124unique_dim_cuda_templateIjEESt5tupleIJNSF_6TensorESK_SK_EERKSK_lbbbEUlllE0_EEPmJS9_EEE10hipError_tPvRmT3_T4_T5_T6_T7_T9_mT8_P12ihipStream_tbDpT10_ENKUlT_T0_E_clISt17integral_constantIbLb1EES1A_EEDaS15_S16_EUlS15_E_NS1_11comp_targetILNS1_3genE10ELNS1_11target_archE1200ELNS1_3gpuE4ELNS1_3repE0EEENS1_30default_config_static_selectorELNS0_4arch9wavefront6targetE0EEEvT1_
; %bb.0:
	.section	.rodata,"a",@progbits
	.p2align	6, 0x0
	.amdhsa_kernel _ZN7rocprim17ROCPRIM_400000_NS6detail17trampoline_kernelINS0_14default_configENS1_25partition_config_selectorILNS1_17partition_subalgoE9EllbEEZZNS1_14partition_implILS5_9ELb0ES3_jPlS8_PNS0_10empty_typeENS0_5tupleIJS8_S9_EEENSB_IJS8_SA_EEENS0_18inequality_wrapperIZN2at6native12_GLOBAL__N_124unique_dim_cuda_templateIjEESt5tupleIJNSF_6TensorESK_SK_EERKSK_lbbbEUlllE0_EEPmJS9_EEE10hipError_tPvRmT3_T4_T5_T6_T7_T9_mT8_P12ihipStream_tbDpT10_ENKUlT_T0_E_clISt17integral_constantIbLb1EES1A_EEDaS15_S16_EUlS15_E_NS1_11comp_targetILNS1_3genE10ELNS1_11target_archE1200ELNS1_3gpuE4ELNS1_3repE0EEENS1_30default_config_static_selectorELNS0_4arch9wavefront6targetE0EEEvT1_
		.amdhsa_group_segment_fixed_size 0
		.amdhsa_private_segment_fixed_size 0
		.amdhsa_kernarg_size 136
		.amdhsa_user_sgpr_count 15
		.amdhsa_user_sgpr_dispatch_ptr 0
		.amdhsa_user_sgpr_queue_ptr 0
		.amdhsa_user_sgpr_kernarg_segment_ptr 1
		.amdhsa_user_sgpr_dispatch_id 0
		.amdhsa_user_sgpr_private_segment_size 0
		.amdhsa_wavefront_size32 1
		.amdhsa_uses_dynamic_stack 0
		.amdhsa_enable_private_segment 0
		.amdhsa_system_sgpr_workgroup_id_x 1
		.amdhsa_system_sgpr_workgroup_id_y 0
		.amdhsa_system_sgpr_workgroup_id_z 0
		.amdhsa_system_sgpr_workgroup_info 0
		.amdhsa_system_vgpr_workitem_id 0
		.amdhsa_next_free_vgpr 1
		.amdhsa_next_free_sgpr 1
		.amdhsa_reserve_vcc 0
		.amdhsa_float_round_mode_32 0
		.amdhsa_float_round_mode_16_64 0
		.amdhsa_float_denorm_mode_32 3
		.amdhsa_float_denorm_mode_16_64 3
		.amdhsa_dx10_clamp 1
		.amdhsa_ieee_mode 1
		.amdhsa_fp16_overflow 0
		.amdhsa_workgroup_processor_mode 1
		.amdhsa_memory_ordered 1
		.amdhsa_forward_progress 0
		.amdhsa_shared_vgpr_count 0
		.amdhsa_exception_fp_ieee_invalid_op 0
		.amdhsa_exception_fp_denorm_src 0
		.amdhsa_exception_fp_ieee_div_zero 0
		.amdhsa_exception_fp_ieee_overflow 0
		.amdhsa_exception_fp_ieee_underflow 0
		.amdhsa_exception_fp_ieee_inexact 0
		.amdhsa_exception_int_div_zero 0
	.end_amdhsa_kernel
	.section	.text._ZN7rocprim17ROCPRIM_400000_NS6detail17trampoline_kernelINS0_14default_configENS1_25partition_config_selectorILNS1_17partition_subalgoE9EllbEEZZNS1_14partition_implILS5_9ELb0ES3_jPlS8_PNS0_10empty_typeENS0_5tupleIJS8_S9_EEENSB_IJS8_SA_EEENS0_18inequality_wrapperIZN2at6native12_GLOBAL__N_124unique_dim_cuda_templateIjEESt5tupleIJNSF_6TensorESK_SK_EERKSK_lbbbEUlllE0_EEPmJS9_EEE10hipError_tPvRmT3_T4_T5_T6_T7_T9_mT8_P12ihipStream_tbDpT10_ENKUlT_T0_E_clISt17integral_constantIbLb1EES1A_EEDaS15_S16_EUlS15_E_NS1_11comp_targetILNS1_3genE10ELNS1_11target_archE1200ELNS1_3gpuE4ELNS1_3repE0EEENS1_30default_config_static_selectorELNS0_4arch9wavefront6targetE0EEEvT1_,"axG",@progbits,_ZN7rocprim17ROCPRIM_400000_NS6detail17trampoline_kernelINS0_14default_configENS1_25partition_config_selectorILNS1_17partition_subalgoE9EllbEEZZNS1_14partition_implILS5_9ELb0ES3_jPlS8_PNS0_10empty_typeENS0_5tupleIJS8_S9_EEENSB_IJS8_SA_EEENS0_18inequality_wrapperIZN2at6native12_GLOBAL__N_124unique_dim_cuda_templateIjEESt5tupleIJNSF_6TensorESK_SK_EERKSK_lbbbEUlllE0_EEPmJS9_EEE10hipError_tPvRmT3_T4_T5_T6_T7_T9_mT8_P12ihipStream_tbDpT10_ENKUlT_T0_E_clISt17integral_constantIbLb1EES1A_EEDaS15_S16_EUlS15_E_NS1_11comp_targetILNS1_3genE10ELNS1_11target_archE1200ELNS1_3gpuE4ELNS1_3repE0EEENS1_30default_config_static_selectorELNS0_4arch9wavefront6targetE0EEEvT1_,comdat
.Lfunc_end1584:
	.size	_ZN7rocprim17ROCPRIM_400000_NS6detail17trampoline_kernelINS0_14default_configENS1_25partition_config_selectorILNS1_17partition_subalgoE9EllbEEZZNS1_14partition_implILS5_9ELb0ES3_jPlS8_PNS0_10empty_typeENS0_5tupleIJS8_S9_EEENSB_IJS8_SA_EEENS0_18inequality_wrapperIZN2at6native12_GLOBAL__N_124unique_dim_cuda_templateIjEESt5tupleIJNSF_6TensorESK_SK_EERKSK_lbbbEUlllE0_EEPmJS9_EEE10hipError_tPvRmT3_T4_T5_T6_T7_T9_mT8_P12ihipStream_tbDpT10_ENKUlT_T0_E_clISt17integral_constantIbLb1EES1A_EEDaS15_S16_EUlS15_E_NS1_11comp_targetILNS1_3genE10ELNS1_11target_archE1200ELNS1_3gpuE4ELNS1_3repE0EEENS1_30default_config_static_selectorELNS0_4arch9wavefront6targetE0EEEvT1_, .Lfunc_end1584-_ZN7rocprim17ROCPRIM_400000_NS6detail17trampoline_kernelINS0_14default_configENS1_25partition_config_selectorILNS1_17partition_subalgoE9EllbEEZZNS1_14partition_implILS5_9ELb0ES3_jPlS8_PNS0_10empty_typeENS0_5tupleIJS8_S9_EEENSB_IJS8_SA_EEENS0_18inequality_wrapperIZN2at6native12_GLOBAL__N_124unique_dim_cuda_templateIjEESt5tupleIJNSF_6TensorESK_SK_EERKSK_lbbbEUlllE0_EEPmJS9_EEE10hipError_tPvRmT3_T4_T5_T6_T7_T9_mT8_P12ihipStream_tbDpT10_ENKUlT_T0_E_clISt17integral_constantIbLb1EES1A_EEDaS15_S16_EUlS15_E_NS1_11comp_targetILNS1_3genE10ELNS1_11target_archE1200ELNS1_3gpuE4ELNS1_3repE0EEENS1_30default_config_static_selectorELNS0_4arch9wavefront6targetE0EEEvT1_
                                        ; -- End function
	.section	.AMDGPU.csdata,"",@progbits
; Kernel info:
; codeLenInByte = 0
; NumSgprs: 0
; NumVgprs: 0
; ScratchSize: 0
; MemoryBound: 0
; FloatMode: 240
; IeeeMode: 1
; LDSByteSize: 0 bytes/workgroup (compile time only)
; SGPRBlocks: 0
; VGPRBlocks: 0
; NumSGPRsForWavesPerEU: 1
; NumVGPRsForWavesPerEU: 1
; Occupancy: 15
; WaveLimiterHint : 0
; COMPUTE_PGM_RSRC2:SCRATCH_EN: 0
; COMPUTE_PGM_RSRC2:USER_SGPR: 15
; COMPUTE_PGM_RSRC2:TRAP_HANDLER: 0
; COMPUTE_PGM_RSRC2:TGID_X_EN: 1
; COMPUTE_PGM_RSRC2:TGID_Y_EN: 0
; COMPUTE_PGM_RSRC2:TGID_Z_EN: 0
; COMPUTE_PGM_RSRC2:TIDIG_COMP_CNT: 0
	.section	.text._ZN7rocprim17ROCPRIM_400000_NS6detail17trampoline_kernelINS0_14default_configENS1_25partition_config_selectorILNS1_17partition_subalgoE9EllbEEZZNS1_14partition_implILS5_9ELb0ES3_jPlS8_PNS0_10empty_typeENS0_5tupleIJS8_S9_EEENSB_IJS8_SA_EEENS0_18inequality_wrapperIZN2at6native12_GLOBAL__N_124unique_dim_cuda_templateIjEESt5tupleIJNSF_6TensorESK_SK_EERKSK_lbbbEUlllE0_EEPmJS9_EEE10hipError_tPvRmT3_T4_T5_T6_T7_T9_mT8_P12ihipStream_tbDpT10_ENKUlT_T0_E_clISt17integral_constantIbLb1EES1A_EEDaS15_S16_EUlS15_E_NS1_11comp_targetILNS1_3genE9ELNS1_11target_archE1100ELNS1_3gpuE3ELNS1_3repE0EEENS1_30default_config_static_selectorELNS0_4arch9wavefront6targetE0EEEvT1_,"axG",@progbits,_ZN7rocprim17ROCPRIM_400000_NS6detail17trampoline_kernelINS0_14default_configENS1_25partition_config_selectorILNS1_17partition_subalgoE9EllbEEZZNS1_14partition_implILS5_9ELb0ES3_jPlS8_PNS0_10empty_typeENS0_5tupleIJS8_S9_EEENSB_IJS8_SA_EEENS0_18inequality_wrapperIZN2at6native12_GLOBAL__N_124unique_dim_cuda_templateIjEESt5tupleIJNSF_6TensorESK_SK_EERKSK_lbbbEUlllE0_EEPmJS9_EEE10hipError_tPvRmT3_T4_T5_T6_T7_T9_mT8_P12ihipStream_tbDpT10_ENKUlT_T0_E_clISt17integral_constantIbLb1EES1A_EEDaS15_S16_EUlS15_E_NS1_11comp_targetILNS1_3genE9ELNS1_11target_archE1100ELNS1_3gpuE3ELNS1_3repE0EEENS1_30default_config_static_selectorELNS0_4arch9wavefront6targetE0EEEvT1_,comdat
	.globl	_ZN7rocprim17ROCPRIM_400000_NS6detail17trampoline_kernelINS0_14default_configENS1_25partition_config_selectorILNS1_17partition_subalgoE9EllbEEZZNS1_14partition_implILS5_9ELb0ES3_jPlS8_PNS0_10empty_typeENS0_5tupleIJS8_S9_EEENSB_IJS8_SA_EEENS0_18inequality_wrapperIZN2at6native12_GLOBAL__N_124unique_dim_cuda_templateIjEESt5tupleIJNSF_6TensorESK_SK_EERKSK_lbbbEUlllE0_EEPmJS9_EEE10hipError_tPvRmT3_T4_T5_T6_T7_T9_mT8_P12ihipStream_tbDpT10_ENKUlT_T0_E_clISt17integral_constantIbLb1EES1A_EEDaS15_S16_EUlS15_E_NS1_11comp_targetILNS1_3genE9ELNS1_11target_archE1100ELNS1_3gpuE3ELNS1_3repE0EEENS1_30default_config_static_selectorELNS0_4arch9wavefront6targetE0EEEvT1_ ; -- Begin function _ZN7rocprim17ROCPRIM_400000_NS6detail17trampoline_kernelINS0_14default_configENS1_25partition_config_selectorILNS1_17partition_subalgoE9EllbEEZZNS1_14partition_implILS5_9ELb0ES3_jPlS8_PNS0_10empty_typeENS0_5tupleIJS8_S9_EEENSB_IJS8_SA_EEENS0_18inequality_wrapperIZN2at6native12_GLOBAL__N_124unique_dim_cuda_templateIjEESt5tupleIJNSF_6TensorESK_SK_EERKSK_lbbbEUlllE0_EEPmJS9_EEE10hipError_tPvRmT3_T4_T5_T6_T7_T9_mT8_P12ihipStream_tbDpT10_ENKUlT_T0_E_clISt17integral_constantIbLb1EES1A_EEDaS15_S16_EUlS15_E_NS1_11comp_targetILNS1_3genE9ELNS1_11target_archE1100ELNS1_3gpuE3ELNS1_3repE0EEENS1_30default_config_static_selectorELNS0_4arch9wavefront6targetE0EEEvT1_
	.p2align	8
	.type	_ZN7rocprim17ROCPRIM_400000_NS6detail17trampoline_kernelINS0_14default_configENS1_25partition_config_selectorILNS1_17partition_subalgoE9EllbEEZZNS1_14partition_implILS5_9ELb0ES3_jPlS8_PNS0_10empty_typeENS0_5tupleIJS8_S9_EEENSB_IJS8_SA_EEENS0_18inequality_wrapperIZN2at6native12_GLOBAL__N_124unique_dim_cuda_templateIjEESt5tupleIJNSF_6TensorESK_SK_EERKSK_lbbbEUlllE0_EEPmJS9_EEE10hipError_tPvRmT3_T4_T5_T6_T7_T9_mT8_P12ihipStream_tbDpT10_ENKUlT_T0_E_clISt17integral_constantIbLb1EES1A_EEDaS15_S16_EUlS15_E_NS1_11comp_targetILNS1_3genE9ELNS1_11target_archE1100ELNS1_3gpuE3ELNS1_3repE0EEENS1_30default_config_static_selectorELNS0_4arch9wavefront6targetE0EEEvT1_,@function
_ZN7rocprim17ROCPRIM_400000_NS6detail17trampoline_kernelINS0_14default_configENS1_25partition_config_selectorILNS1_17partition_subalgoE9EllbEEZZNS1_14partition_implILS5_9ELb0ES3_jPlS8_PNS0_10empty_typeENS0_5tupleIJS8_S9_EEENSB_IJS8_SA_EEENS0_18inequality_wrapperIZN2at6native12_GLOBAL__N_124unique_dim_cuda_templateIjEESt5tupleIJNSF_6TensorESK_SK_EERKSK_lbbbEUlllE0_EEPmJS9_EEE10hipError_tPvRmT3_T4_T5_T6_T7_T9_mT8_P12ihipStream_tbDpT10_ENKUlT_T0_E_clISt17integral_constantIbLb1EES1A_EEDaS15_S16_EUlS15_E_NS1_11comp_targetILNS1_3genE9ELNS1_11target_archE1100ELNS1_3gpuE3ELNS1_3repE0EEENS1_30default_config_static_selectorELNS0_4arch9wavefront6targetE0EEEvT1_: ; @_ZN7rocprim17ROCPRIM_400000_NS6detail17trampoline_kernelINS0_14default_configENS1_25partition_config_selectorILNS1_17partition_subalgoE9EllbEEZZNS1_14partition_implILS5_9ELb0ES3_jPlS8_PNS0_10empty_typeENS0_5tupleIJS8_S9_EEENSB_IJS8_SA_EEENS0_18inequality_wrapperIZN2at6native12_GLOBAL__N_124unique_dim_cuda_templateIjEESt5tupleIJNSF_6TensorESK_SK_EERKSK_lbbbEUlllE0_EEPmJS9_EEE10hipError_tPvRmT3_T4_T5_T6_T7_T9_mT8_P12ihipStream_tbDpT10_ENKUlT_T0_E_clISt17integral_constantIbLb1EES1A_EEDaS15_S16_EUlS15_E_NS1_11comp_targetILNS1_3genE9ELNS1_11target_archE1100ELNS1_3gpuE3ELNS1_3repE0EEENS1_30default_config_static_selectorELNS0_4arch9wavefront6targetE0EEEvT1_
; %bb.0:
	s_clause 0x3
	s_load_b128 s[4:7], s[0:1], 0x8
	s_load_b64 s[24:25], s[0:1], 0x18
	s_load_b256 s[8:15], s[0:1], 0x40
	s_load_b128 s[20:23], s[0:1], 0x60
	v_cmp_ne_u32_e64 s3, 0, v0
	v_cmp_eq_u32_e64 s2, 0, v0
	s_delay_alu instid0(VALU_DEP_1)
	s_and_saveexec_b32 s16, s2
	s_cbranch_execz .LBB1585_4
; %bb.1:
	s_mov_b32 s18, exec_lo
	s_mov_b32 s17, exec_lo
	v_mbcnt_lo_u32_b32 v1, s18, 0
                                        ; implicit-def: $vgpr2
	s_delay_alu instid0(VALU_DEP_1)
	v_cmpx_eq_u32_e32 0, v1
	s_cbranch_execz .LBB1585_3
; %bb.2:
	s_load_b64 s[26:27], s[0:1], 0x78
	s_bcnt1_i32_b32 s18, s18
	s_delay_alu instid0(SALU_CYCLE_1)
	v_dual_mov_b32 v2, 0 :: v_dual_mov_b32 v3, s18
	s_waitcnt lgkmcnt(0)
	global_atomic_add_u32 v2, v2, v3, s[26:27] glc
.LBB1585_3:
	s_or_b32 exec_lo, exec_lo, s17
	s_waitcnt vmcnt(0)
	v_readfirstlane_b32 s17, v2
	s_delay_alu instid0(VALU_DEP_1)
	v_dual_mov_b32 v2, 0 :: v_dual_add_nc_u32 v1, s17, v1
	ds_store_b32 v2, v1
.LBB1585_4:
	s_or_b32 exec_lo, exec_lo, s16
	v_mov_b32_e32 v1, 0
	s_clause 0x1
	s_load_b128 s[16:19], s[0:1], 0x28
	s_load_b32 s0, s[0:1], 0x70
	s_waitcnt lgkmcnt(0)
	s_barrier
	buffer_gl0_inv
	ds_load_b32 v3, v1
	s_waitcnt lgkmcnt(0)
	s_barrier
	buffer_gl0_inv
	global_load_b64 v[1:2], v1, s[10:11]
	s_lshl_b64 s[26:27], s[6:7], 3
	s_mov_b32 s1, 0
	s_add_u32 s10, s4, s26
	s_addc_u32 s11, s5, s27
	v_lshlrev_b32_e32 v55, 3, v0
	v_lshrrev_b32_e32 v34, 2, v0
	v_or_b32_e32 v39, 0x200, v0
	v_or_b32_e32 v38, 0x400, v0
	;; [unrolled: 1-line block ×5, first 2 shown]
	s_add_i32 s28, s0, -1
	s_lshl_b32 s5, s0, 12
	s_lshl_b32 s4, s28, 12
	v_or_b32_e32 v33, 0xc00, v0
	v_readfirstlane_b32 s30, v3
	s_add_i32 s4, s6, s4
	v_or_b32_e32 v36, 0xe00, v0
	s_sub_i32 s31, s12, s4
	s_delay_alu instid0(VALU_DEP_2)
	s_lshl_b32 s0, s30, 12
	s_add_u32 s4, s6, s5
	s_addc_u32 s5, s7, 0
	s_cmp_eq_u32 s30, s28
	v_cmp_ge_u64_e64 s4, s[4:5], s[12:13]
	s_cselect_b32 s28, -1, 0
	s_lshl_b64 s[12:13], s[0:1], 3
	s_mov_b32 s1, -1
	s_delay_alu instid0(VALU_DEP_1) | instskip(NEXT) | instid1(SALU_CYCLE_1)
	s_and_b32 s33, s4, s28
	s_xor_b32 s29, s33, -1
	s_add_u32 s4, s10, s12
	s_addc_u32 s5, s11, s13
	s_and_b32 vcc_lo, exec_lo, s29
	s_waitcnt vmcnt(0)
	v_readfirstlane_b32 s10, v1
	v_readfirstlane_b32 s11, v2
	s_cbranch_vccz .LBB1585_6
; %bb.5:
	v_add_co_u32 v9, s0, s4, v55
	s_delay_alu instid0(VALU_DEP_1)
	v_add_co_ci_u32_e64 v10, null, s5, 0, s0
	global_load_b64 v[1:2], v55, s[4:5]
	v_add_co_u32 v3, vcc_lo, v9, 0x2000
	v_add_co_ci_u32_e32 v4, vcc_lo, 0, v10, vcc_lo
	v_add_co_u32 v5, vcc_lo, v9, 0x4000
	v_add_co_ci_u32_e32 v6, vcc_lo, 0, v10, vcc_lo
	;; [unrolled: 2-line block ×4, first 2 shown]
	s_clause 0x6
	global_load_b64 v[11:12], v[3:4], off offset:-4096
	global_load_b64 v[3:4], v[3:4], off
	global_load_b64 v[13:14], v[5:6], off offset:-4096
	global_load_b64 v[5:6], v[5:6], off
	;; [unrolled: 2-line block ×3, first 2 shown]
	global_load_b64 v[9:10], v[9:10], off
	v_lshrrev_b32_e32 v18, 2, v39
	v_lshrrev_b32_e32 v19, 2, v38
	v_lshrrev_b32_e32 v20, 2, v40
	v_lshrrev_b32_e32 v21, 2, v37
	v_and_b32_e32 v17, 0x78, v34
	v_lshrrev_b32_e32 v22, 2, v35
	v_lshrrev_b32_e32 v23, 2, v33
	;; [unrolled: 1-line block ×3, first 2 shown]
	v_and_b32_e32 v18, 0xf8, v18
	v_and_b32_e32 v19, 0x178, v19
	;; [unrolled: 1-line block ×4, first 2 shown]
	v_add_nc_u32_e32 v17, v17, v55
	v_and_b32_e32 v22, 0x2f8, v22
	v_and_b32_e32 v23, 0x378, v23
	;; [unrolled: 1-line block ×3, first 2 shown]
	v_add_nc_u32_e32 v18, v18, v55
	v_add_nc_u32_e32 v19, v19, v55
	;; [unrolled: 1-line block ×4, first 2 shown]
	s_mov_b32 s1, 0
	v_add_nc_u32_e32 v22, v22, v55
	v_add_nc_u32_e32 v23, v23, v55
	;; [unrolled: 1-line block ×3, first 2 shown]
	s_waitcnt vmcnt(7)
	ds_store_b64 v17, v[1:2]
	s_waitcnt vmcnt(6)
	ds_store_b64 v18, v[11:12] offset:4096
	s_waitcnt vmcnt(5)
	ds_store_b64 v19, v[3:4] offset:8192
	;; [unrolled: 2-line block ×7, first 2 shown]
	s_waitcnt lgkmcnt(0)
	s_barrier
.LBB1585_6:
	v_cmp_gt_u32_e64 s0, s31, v0
	s_and_not1_b32 vcc_lo, exec_lo, s1
	s_cbranch_vccnz .LBB1585_24
; %bb.7:
                                        ; implicit-def: $vgpr1_vgpr2_vgpr3_vgpr4_vgpr5_vgpr6_vgpr7_vgpr8_vgpr9_vgpr10_vgpr11_vgpr12_vgpr13_vgpr14_vgpr15_vgpr16
	s_delay_alu instid0(VALU_DEP_1)
	s_and_saveexec_b32 s1, s0
	s_cbranch_execz .LBB1585_15
; %bb.8:
	global_load_b64 v[1:2], v55, s[4:5]
	s_or_b32 exec_lo, exec_lo, s1
	s_delay_alu instid0(SALU_CYCLE_1)
	s_mov_b32 s0, exec_lo
	v_cmpx_gt_u32_e64 s31, v39
	s_cbranch_execnz .LBB1585_16
.LBB1585_9:
	s_or_b32 exec_lo, exec_lo, s0
	s_delay_alu instid0(SALU_CYCLE_1)
	s_mov_b32 s0, exec_lo
	v_cmpx_gt_u32_e64 s31, v38
	s_cbranch_execz .LBB1585_17
.LBB1585_10:
	v_lshlrev_b32_e32 v5, 3, v38
	global_load_b64 v[5:6], v5, s[4:5]
	s_or_b32 exec_lo, exec_lo, s0
	s_delay_alu instid0(SALU_CYCLE_1)
	s_mov_b32 s0, exec_lo
	v_cmpx_gt_u32_e64 s31, v40
	s_cbranch_execnz .LBB1585_18
.LBB1585_11:
	s_or_b32 exec_lo, exec_lo, s0
	s_delay_alu instid0(SALU_CYCLE_1)
	s_mov_b32 s0, exec_lo
	v_cmpx_gt_u32_e64 s31, v37
	s_cbranch_execz .LBB1585_19
.LBB1585_12:
	v_lshlrev_b32_e32 v9, 3, v37
	global_load_b64 v[9:10], v9, s[4:5]
	s_or_b32 exec_lo, exec_lo, s0
	s_delay_alu instid0(SALU_CYCLE_1)
	s_mov_b32 s0, exec_lo
	v_cmpx_gt_u32_e64 s31, v35
	s_cbranch_execnz .LBB1585_20
.LBB1585_13:
	s_or_b32 exec_lo, exec_lo, s0
	s_delay_alu instid0(SALU_CYCLE_1)
	s_mov_b32 s0, exec_lo
	v_cmpx_gt_u32_e64 s31, v33
	s_cbranch_execz .LBB1585_21
.LBB1585_14:
	v_lshlrev_b32_e32 v13, 3, v33
	global_load_b64 v[13:14], v13, s[4:5]
	s_or_b32 exec_lo, exec_lo, s0
	s_delay_alu instid0(SALU_CYCLE_1)
	s_mov_b32 s0, exec_lo
	v_cmpx_gt_u32_e64 s31, v36
	s_cbranch_execnz .LBB1585_22
	s_branch .LBB1585_23
.LBB1585_15:
	s_or_b32 exec_lo, exec_lo, s1
	s_delay_alu instid0(SALU_CYCLE_1)
	s_mov_b32 s0, exec_lo
	v_cmpx_gt_u32_e64 s31, v39
	s_cbranch_execz .LBB1585_9
.LBB1585_16:
	v_lshlrev_b32_e32 v3, 3, v39
	global_load_b64 v[3:4], v3, s[4:5]
	s_or_b32 exec_lo, exec_lo, s0
	s_delay_alu instid0(SALU_CYCLE_1)
	s_mov_b32 s0, exec_lo
	v_cmpx_gt_u32_e64 s31, v38
	s_cbranch_execnz .LBB1585_10
.LBB1585_17:
	s_or_b32 exec_lo, exec_lo, s0
	s_delay_alu instid0(SALU_CYCLE_1)
	s_mov_b32 s0, exec_lo
	v_cmpx_gt_u32_e64 s31, v40
	s_cbranch_execz .LBB1585_11
.LBB1585_18:
	v_lshlrev_b32_e32 v7, 3, v40
	global_load_b64 v[7:8], v7, s[4:5]
	s_or_b32 exec_lo, exec_lo, s0
	s_delay_alu instid0(SALU_CYCLE_1)
	s_mov_b32 s0, exec_lo
	v_cmpx_gt_u32_e64 s31, v37
	s_cbranch_execnz .LBB1585_12
.LBB1585_19:
	s_or_b32 exec_lo, exec_lo, s0
	s_delay_alu instid0(SALU_CYCLE_1)
	s_mov_b32 s0, exec_lo
	v_cmpx_gt_u32_e64 s31, v35
	s_cbranch_execz .LBB1585_13
.LBB1585_20:
	v_lshlrev_b32_e32 v11, 3, v35
	global_load_b64 v[11:12], v11, s[4:5]
	s_or_b32 exec_lo, exec_lo, s0
	s_delay_alu instid0(SALU_CYCLE_1)
	s_mov_b32 s0, exec_lo
	v_cmpx_gt_u32_e64 s31, v33
	s_cbranch_execnz .LBB1585_14
.LBB1585_21:
	s_or_b32 exec_lo, exec_lo, s0
	s_delay_alu instid0(SALU_CYCLE_1)
	s_mov_b32 s0, exec_lo
	v_cmpx_gt_u32_e64 s31, v36
	s_cbranch_execz .LBB1585_23
.LBB1585_22:
	v_lshlrev_b32_e32 v15, 3, v36
	global_load_b64 v[15:16], v15, s[4:5]
.LBB1585_23:
	s_or_b32 exec_lo, exec_lo, s0
	v_lshrrev_b32_e32 v17, 2, v39
	v_lshrrev_b32_e32 v18, 2, v38
	;; [unrolled: 1-line block ×4, first 2 shown]
	v_and_b32_e32 v19, 0x78, v34
	v_lshrrev_b32_e32 v22, 2, v35
	v_lshrrev_b32_e32 v23, 2, v33
	;; [unrolled: 1-line block ×3, first 2 shown]
	v_and_b32_e32 v17, 0xf8, v17
	v_and_b32_e32 v18, 0x1f8, v18
	;; [unrolled: 1-line block ×4, first 2 shown]
	v_add_nc_u32_e32 v19, v19, v55
	v_and_b32_e32 v22, 0x3f8, v22
	v_and_b32_e32 v23, 0x3f8, v23
	;; [unrolled: 1-line block ×3, first 2 shown]
	v_add_nc_u32_e32 v17, v17, v55
	v_add_nc_u32_e32 v18, v18, v55
	;; [unrolled: 1-line block ×7, first 2 shown]
	s_waitcnt vmcnt(0)
	ds_store_b64 v19, v[1:2]
	ds_store_b64 v17, v[3:4] offset:4096
	ds_store_b64 v18, v[5:6] offset:8192
	;; [unrolled: 1-line block ×7, first 2 shown]
	s_waitcnt lgkmcnt(0)
	s_barrier
.LBB1585_24:
	v_add_lshl_u32 v41, v34, v55, 3
	buffer_gl0_inv
	s_add_u32 s0, s24, s26
	s_addc_u32 s1, s25, s27
	s_add_u32 s0, s0, s12
	ds_load_2addr_b64 v[29:32], v41 offset1:1
	ds_load_2addr_b64 v[25:28], v41 offset0:2 offset1:3
	ds_load_2addr_b64 v[21:24], v41 offset0:4 offset1:5
	;; [unrolled: 1-line block ×3, first 2 shown]
	s_addc_u32 s1, s1, s13
	s_and_b32 vcc_lo, exec_lo, s29
	s_mov_b32 s12, -1
	s_waitcnt lgkmcnt(0)
	s_barrier
	buffer_gl0_inv
	s_cbranch_vccz .LBB1585_26
; %bb.25:
	v_add_co_u32 v9, s12, s0, v55
	s_delay_alu instid0(VALU_DEP_1)
	v_add_co_ci_u32_e64 v10, null, s1, 0, s12
	global_load_b64 v[1:2], v55, s[0:1]
	v_add_co_u32 v3, vcc_lo, v9, 0x2000
	v_add_co_ci_u32_e32 v4, vcc_lo, 0, v10, vcc_lo
	v_add_co_u32 v5, vcc_lo, v9, 0x4000
	v_add_co_ci_u32_e32 v6, vcc_lo, 0, v10, vcc_lo
	;; [unrolled: 2-line block ×4, first 2 shown]
	s_clause 0x6
	global_load_b64 v[11:12], v[3:4], off offset:-4096
	global_load_b64 v[3:4], v[3:4], off
	global_load_b64 v[13:14], v[5:6], off offset:-4096
	global_load_b64 v[5:6], v[5:6], off
	;; [unrolled: 2-line block ×3, first 2 shown]
	global_load_b64 v[9:10], v[9:10], off
	v_lshrrev_b32_e32 v43, 2, v39
	v_lshrrev_b32_e32 v44, 2, v38
	;; [unrolled: 1-line block ×4, first 2 shown]
	v_and_b32_e32 v42, 0x78, v34
	v_lshrrev_b32_e32 v47, 2, v35
	v_lshrrev_b32_e32 v48, 2, v33
	;; [unrolled: 1-line block ×3, first 2 shown]
	v_and_b32_e32 v43, 0xf8, v43
	v_and_b32_e32 v44, 0x178, v44
	;; [unrolled: 1-line block ×4, first 2 shown]
	v_add_nc_u32_e32 v42, v42, v55
	v_and_b32_e32 v47, 0x2f8, v47
	v_and_b32_e32 v48, 0x378, v48
	;; [unrolled: 1-line block ×3, first 2 shown]
	v_add_nc_u32_e32 v43, v43, v55
	v_add_nc_u32_e32 v44, v44, v55
	;; [unrolled: 1-line block ×4, first 2 shown]
	s_mov_b32 s12, 0
	v_add_nc_u32_e32 v47, v47, v55
	v_add_nc_u32_e32 v48, v48, v55
	;; [unrolled: 1-line block ×3, first 2 shown]
	s_waitcnt vmcnt(7)
	ds_store_b64 v42, v[1:2]
	s_waitcnt vmcnt(6)
	ds_store_b64 v43, v[11:12] offset:4096
	s_waitcnt vmcnt(5)
	ds_store_b64 v44, v[3:4] offset:8192
	;; [unrolled: 2-line block ×7, first 2 shown]
	s_waitcnt lgkmcnt(0)
	s_barrier
.LBB1585_26:
	s_and_not1_b32 vcc_lo, exec_lo, s12
	s_cbranch_vccnz .LBB1585_44
; %bb.27:
	s_mov_b32 s12, exec_lo
                                        ; implicit-def: $vgpr1_vgpr2
	v_cmpx_gt_u32_e64 s31, v0
	s_cbranch_execz .LBB1585_29
; %bb.28:
	global_load_b64 v[1:2], v55, s[0:1]
.LBB1585_29:
	s_or_b32 exec_lo, exec_lo, s12
	s_delay_alu instid0(SALU_CYCLE_1)
	s_mov_b32 s12, exec_lo
                                        ; implicit-def: $vgpr3_vgpr4
	v_cmpx_gt_u32_e64 s31, v39
	s_cbranch_execz .LBB1585_31
; %bb.30:
	v_lshlrev_b32_e32 v3, 3, v39
	global_load_b64 v[3:4], v3, s[0:1]
.LBB1585_31:
	s_or_b32 exec_lo, exec_lo, s12
	s_delay_alu instid0(SALU_CYCLE_1)
	s_mov_b32 s12, exec_lo
                                        ; implicit-def: $vgpr5_vgpr6
	v_cmpx_gt_u32_e64 s31, v38
	s_cbranch_execz .LBB1585_33
; %bb.32:
	v_lshlrev_b32_e32 v5, 3, v38
	global_load_b64 v[5:6], v5, s[0:1]
.LBB1585_33:
	s_or_b32 exec_lo, exec_lo, s12
	s_delay_alu instid0(SALU_CYCLE_1)
	s_mov_b32 s12, exec_lo
                                        ; implicit-def: $vgpr7_vgpr8
	v_cmpx_gt_u32_e64 s31, v40
	s_cbranch_execz .LBB1585_35
; %bb.34:
	v_lshlrev_b32_e32 v7, 3, v40
	global_load_b64 v[7:8], v7, s[0:1]
.LBB1585_35:
	s_or_b32 exec_lo, exec_lo, s12
	s_delay_alu instid0(SALU_CYCLE_1)
	s_mov_b32 s12, exec_lo
                                        ; implicit-def: $vgpr9_vgpr10
	v_cmpx_gt_u32_e64 s31, v37
	s_cbranch_execz .LBB1585_37
; %bb.36:
	v_lshlrev_b32_e32 v9, 3, v37
	global_load_b64 v[9:10], v9, s[0:1]
.LBB1585_37:
	s_or_b32 exec_lo, exec_lo, s12
	s_delay_alu instid0(SALU_CYCLE_1)
	s_mov_b32 s12, exec_lo
                                        ; implicit-def: $vgpr11_vgpr12
	v_cmpx_gt_u32_e64 s31, v35
	s_cbranch_execz .LBB1585_39
; %bb.38:
	v_lshlrev_b32_e32 v11, 3, v35
	global_load_b64 v[11:12], v11, s[0:1]
.LBB1585_39:
	s_or_b32 exec_lo, exec_lo, s12
	s_delay_alu instid0(SALU_CYCLE_1)
	s_mov_b32 s12, exec_lo
                                        ; implicit-def: $vgpr13_vgpr14
	v_cmpx_gt_u32_e64 s31, v33
	s_cbranch_execz .LBB1585_41
; %bb.40:
	v_lshlrev_b32_e32 v13, 3, v33
	global_load_b64 v[13:14], v13, s[0:1]
.LBB1585_41:
	s_or_b32 exec_lo, exec_lo, s12
	s_delay_alu instid0(SALU_CYCLE_1)
	s_mov_b32 s12, exec_lo
                                        ; implicit-def: $vgpr15_vgpr16
	v_cmpx_gt_u32_e64 s31, v36
	s_cbranch_execz .LBB1585_43
; %bb.42:
	v_lshlrev_b32_e32 v15, 3, v36
	global_load_b64 v[15:16], v15, s[0:1]
.LBB1585_43:
	s_or_b32 exec_lo, exec_lo, s12
	v_lshrrev_b32_e32 v39, 2, v39
	v_lshrrev_b32_e32 v38, 2, v38
	;; [unrolled: 1-line block ×4, first 2 shown]
	v_and_b32_e32 v34, 0x78, v34
	v_lshrrev_b32_e32 v35, 2, v35
	v_lshrrev_b32_e32 v33, 2, v33
	;; [unrolled: 1-line block ×3, first 2 shown]
	v_and_b32_e32 v39, 0xf8, v39
	v_and_b32_e32 v38, 0x1f8, v38
	;; [unrolled: 1-line block ×4, first 2 shown]
	v_add_nc_u32_e32 v34, v34, v55
	v_and_b32_e32 v35, 0x3f8, v35
	v_and_b32_e32 v33, 0x3f8, v33
	v_and_b32_e32 v36, 0x3f8, v36
	v_add_nc_u32_e32 v39, v39, v55
	v_add_nc_u32_e32 v38, v38, v55
	;; [unrolled: 1-line block ×7, first 2 shown]
	s_waitcnt vmcnt(0)
	ds_store_b64 v34, v[1:2]
	ds_store_b64 v39, v[3:4] offset:4096
	ds_store_b64 v38, v[5:6] offset:8192
	;; [unrolled: 1-line block ×7, first 2 shown]
	s_waitcnt lgkmcnt(0)
	s_barrier
.LBB1585_44:
	buffer_gl0_inv
	ds_load_2addr_b64 v[13:16], v41 offset1:1
	ds_load_2addr_b64 v[9:12], v41 offset0:2 offset1:3
	ds_load_2addr_b64 v[5:8], v41 offset0:4 offset1:5
	;; [unrolled: 1-line block ×3, first 2 shown]
	s_cmp_lg_u32 s30, 0
	v_cmp_gt_i64_e64 s13, s[14:15], 0
	s_cselect_b32 s12, -1, 0
	s_cmp_lg_u64 s[6:7], 0
	s_mov_b32 s1, 0
	s_cselect_b32 s0, -1, 0
	s_waitcnt lgkmcnt(0)
	s_or_b32 s0, s0, s12
	s_barrier
	s_and_b32 vcc_lo, exec_lo, s0
	buffer_gl0_inv
	s_cbranch_vccz .LBB1585_53
; %bb.45:
	v_mov_b32_e32 v33, 0
	v_cndmask_b32_e64 v43, 0, 1, s13
	s_and_b32 vcc_lo, exec_lo, s29
	ds_store_b64 v55, v[19:20]
	global_load_b64 v[33:34], v33, s[4:5] offset:-8
	v_cmp_ne_u32_e64 s0, 1, v43
	s_cbranch_vccz .LBB1585_54
; %bb.46:
	v_mul_lo_u32 v37, v18, s14
	v_mul_lo_u32 v38, v17, s15
	v_mad_u64_u32 v[35:36], null, v17, s14, 0
	s_and_b32 vcc_lo, exec_lo, s0
	s_mov_b32 s24, 0
	s_delay_alu instid0(VALU_DEP_1) | instskip(NEXT) | instid1(VALU_DEP_1)
	v_add3_u32 v36, v36, v38, v37
	v_lshlrev_b64 v[35:36], 2, v[35:36]
	s_cbranch_vccnz .LBB1585_57
; %bb.47:
	v_mul_lo_u32 v39, v20, s14
	v_mul_lo_u32 v40, v19, s15
	v_mad_u64_u32 v[37:38], null, v19, s14, 0
	s_mov_b32 s24, -1
	s_mov_b32 s25, exec_lo
	s_delay_alu instid0(VALU_DEP_1) | instskip(SKIP_2) | instid1(VALU_DEP_3)
	v_add3_u32 v38, v38, v40, v39
	v_add_co_u32 v39, vcc_lo, s20, v35
	v_add_co_ci_u32_e32 v40, vcc_lo, s21, v36, vcc_lo
	v_lshlrev_b64 v[37:38], 2, v[37:38]
	s_delay_alu instid0(VALU_DEP_1) | instskip(NEXT) | instid1(VALU_DEP_2)
	v_add_co_u32 v37, vcc_lo, s20, v37
	v_add_co_ci_u32_e32 v38, vcc_lo, s21, v38, vcc_lo
	s_clause 0x1
	global_load_b32 v41, v[39:40], off
	global_load_b32 v42, v[37:38], off
	s_waitcnt vmcnt(0)
	v_cmpx_eq_u32_e64 v41, v42
	s_cbranch_execz .LBB1585_56
; %bb.48:
	v_add_co_u32 v37, vcc_lo, v37, 4
	v_add_co_ci_u32_e32 v38, vcc_lo, 0, v38, vcc_lo
	v_add_co_u32 v39, vcc_lo, v39, 4
	v_add_co_ci_u32_e32 v40, vcc_lo, 0, v40, vcc_lo
	s_add_u32 s4, s14, -1
	s_addc_u32 s5, s15, -1
	s_mov_b64 s[6:7], 0
	s_mov_b32 s24, 0
                                        ; implicit-def: $sgpr26
	s_set_inst_prefetch_distance 0x1
	s_branch .LBB1585_51
	.p2align	6
.LBB1585_49:                            ;   in Loop: Header=BB1585_51 Depth=1
	global_load_b32 v41, v[39:40], off
	global_load_b32 v42, v[37:38], off
	v_add_co_u32 v37, vcc_lo, v37, 4
	v_add_co_ci_u32_e32 v38, vcc_lo, 0, v38, vcc_lo
	v_add_co_u32 v39, s0, v39, 4
	s_delay_alu instid0(VALU_DEP_1)
	v_add_co_ci_u32_e64 v40, s0, 0, v40, s0
	s_add_u32 s6, s6, 1
	s_addc_u32 s7, s7, 0
	s_and_not1_b32 s0, s26, exec_lo
	s_waitcnt vmcnt(0)
	v_cmp_ne_u32_e32 vcc_lo, v41, v42
	s_and_b32 s26, vcc_lo, exec_lo
	s_delay_alu instid0(SALU_CYCLE_1)
	s_or_b32 s26, s0, s26
.LBB1585_50:                            ;   in Loop: Header=BB1585_51 Depth=1
	v_dual_mov_b32 v42, s7 :: v_dual_mov_b32 v41, s6
	s_and_b32 s0, exec_lo, s26
	s_delay_alu instid0(SALU_CYCLE_1) | instskip(NEXT) | instid1(SALU_CYCLE_1)
	s_or_b32 s24, s0, s24
	s_and_not1_b32 exec_lo, exec_lo, s24
	s_cbranch_execz .LBB1585_55
.LBB1585_51:                            ; =>This Inner Loop Header: Depth=1
	s_or_b32 s26, s26, exec_lo
	s_cmp_eq_u64 s[4:5], s[6:7]
	s_cbranch_scc0 .LBB1585_49
; %bb.52:                               ;   in Loop: Header=BB1585_51 Depth=1
	s_mov_b64 s[6:7], s[14:15]
                                        ; implicit-def: $vgpr37_vgpr38
                                        ; implicit-def: $vgpr39_vgpr40
	s_branch .LBB1585_50
.LBB1585_53:
                                        ; implicit-def: $sgpr0
                                        ; implicit-def: $vgpr36
	s_branch .LBB1585_215
.LBB1585_54:
                                        ; implicit-def: $sgpr0
                                        ; implicit-def: $vgpr36
	s_cbranch_execnz .LBB1585_123
	s_branch .LBB1585_214
.LBB1585_55:
	s_set_inst_prefetch_distance 0x2
	s_or_b32 exec_lo, exec_lo, s24
	v_cmp_gt_i64_e32 vcc_lo, s[14:15], v[41:42]
	s_or_not1_b32 s24, vcc_lo, exec_lo
.LBB1585_56:
	s_or_b32 exec_lo, exec_lo, s25
.LBB1585_57:
	v_mul_lo_u32 v39, v24, s14
	v_mul_lo_u32 v40, v23, s15
	v_mad_u64_u32 v[37:38], null, v23, s14, 0
	s_and_not1_b32 vcc_lo, exec_lo, s13
	s_delay_alu instid0(VALU_DEP_1) | instskip(NEXT) | instid1(VALU_DEP_1)
	v_add3_u32 v38, v38, v40, v39
	v_lshlrev_b64 v[37:38], 2, v[37:38]
	s_cbranch_vccnz .LBB1585_66
; %bb.58:
	s_delay_alu instid0(VALU_DEP_1) | instskip(NEXT) | instid1(VALU_DEP_2)
	v_add_co_u32 v39, vcc_lo, s20, v37
	v_add_co_ci_u32_e32 v40, vcc_lo, s21, v38, vcc_lo
	v_add_co_u32 v35, vcc_lo, s20, v35
	v_add_co_ci_u32_e32 v36, vcc_lo, s21, v36, vcc_lo
	s_mov_b32 s1, -1
	s_clause 0x1
	global_load_b32 v41, v[39:40], off
	global_load_b32 v42, v[35:36], off
	s_mov_b32 s25, exec_lo
	s_waitcnt vmcnt(0)
	v_cmpx_eq_u32_e64 v41, v42
	s_cbranch_execz .LBB1585_65
; %bb.59:
	v_add_co_u32 v35, vcc_lo, v35, 4
	v_add_co_ci_u32_e32 v36, vcc_lo, 0, v36, vcc_lo
	v_add_co_u32 v39, vcc_lo, v39, 4
	v_add_co_ci_u32_e32 v40, vcc_lo, 0, v40, vcc_lo
	s_add_u32 s4, s14, -1
	s_addc_u32 s5, s15, -1
	s_mov_b64 s[6:7], 0
	s_mov_b32 s1, 0
                                        ; implicit-def: $sgpr26
	s_set_inst_prefetch_distance 0x1
	s_branch .LBB1585_62
	.p2align	6
.LBB1585_60:                            ;   in Loop: Header=BB1585_62 Depth=1
	global_load_b32 v41, v[39:40], off
	global_load_b32 v42, v[35:36], off
	v_add_co_u32 v35, vcc_lo, v35, 4
	v_add_co_ci_u32_e32 v36, vcc_lo, 0, v36, vcc_lo
	v_add_co_u32 v39, s0, v39, 4
	s_delay_alu instid0(VALU_DEP_1)
	v_add_co_ci_u32_e64 v40, s0, 0, v40, s0
	s_add_u32 s6, s6, 1
	s_addc_u32 s7, s7, 0
	s_and_not1_b32 s0, s26, exec_lo
	s_waitcnt vmcnt(0)
	v_cmp_ne_u32_e32 vcc_lo, v41, v42
	s_and_b32 s26, vcc_lo, exec_lo
	s_delay_alu instid0(SALU_CYCLE_1)
	s_or_b32 s26, s0, s26
.LBB1585_61:                            ;   in Loop: Header=BB1585_62 Depth=1
	v_dual_mov_b32 v42, s7 :: v_dual_mov_b32 v41, s6
	s_and_b32 s0, exec_lo, s26
	s_delay_alu instid0(SALU_CYCLE_1) | instskip(NEXT) | instid1(SALU_CYCLE_1)
	s_or_b32 s1, s0, s1
	s_and_not1_b32 exec_lo, exec_lo, s1
	s_cbranch_execz .LBB1585_64
.LBB1585_62:                            ; =>This Inner Loop Header: Depth=1
	s_or_b32 s26, s26, exec_lo
	s_cmp_eq_u64 s[4:5], s[6:7]
	s_cbranch_scc0 .LBB1585_60
; %bb.63:                               ;   in Loop: Header=BB1585_62 Depth=1
	s_mov_b64 s[6:7], s[14:15]
                                        ; implicit-def: $vgpr35_vgpr36
                                        ; implicit-def: $vgpr39_vgpr40
	s_branch .LBB1585_61
.LBB1585_64:
	s_set_inst_prefetch_distance 0x2
	s_or_b32 exec_lo, exec_lo, s1
	v_cmp_gt_i64_e32 vcc_lo, s[14:15], v[41:42]
	s_or_not1_b32 s1, vcc_lo, exec_lo
.LBB1585_65:
	s_or_b32 exec_lo, exec_lo, s25
.LBB1585_66:
	v_mul_lo_u32 v39, v22, s14
	v_mul_lo_u32 v40, v21, s15
	v_mad_u64_u32 v[35:36], null, v21, s14, 0
	s_mov_b32 s25, 0
	s_and_not1_b32 vcc_lo, exec_lo, s13
	s_mov_b32 s26, 0
	s_delay_alu instid0(VALU_DEP_1) | instskip(NEXT) | instid1(VALU_DEP_1)
	v_add3_u32 v36, v36, v40, v39
	v_lshlrev_b64 v[39:40], 2, v[35:36]
	s_cbranch_vccnz .LBB1585_75
; %bb.67:
	s_delay_alu instid0(VALU_DEP_1) | instskip(NEXT) | instid1(VALU_DEP_2)
	v_add_co_u32 v41, vcc_lo, s20, v39
	v_add_co_ci_u32_e32 v42, vcc_lo, s21, v40, vcc_lo
	v_add_co_u32 v35, vcc_lo, s20, v37
	v_add_co_ci_u32_e32 v36, vcc_lo, s21, v38, vcc_lo
	s_mov_b32 s26, -1
	s_clause 0x1
	global_load_b32 v37, v[41:42], off
	global_load_b32 v38, v[35:36], off
	s_mov_b32 s27, exec_lo
	s_waitcnt vmcnt(0)
	v_cmpx_eq_u32_e64 v37, v38
	s_cbranch_execz .LBB1585_74
; %bb.68:
	v_add_co_u32 v35, vcc_lo, v35, 4
	v_add_co_ci_u32_e32 v36, vcc_lo, 0, v36, vcc_lo
	v_add_co_u32 v37, vcc_lo, v41, 4
	v_add_co_ci_u32_e32 v38, vcc_lo, 0, v42, vcc_lo
	s_add_u32 s4, s14, -1
	s_addc_u32 s5, s15, -1
	s_mov_b64 s[6:7], 0
	s_mov_b32 s26, 0
                                        ; implicit-def: $sgpr34
	s_set_inst_prefetch_distance 0x1
	s_branch .LBB1585_71
	.p2align	6
.LBB1585_69:                            ;   in Loop: Header=BB1585_71 Depth=1
	global_load_b32 v41, v[37:38], off
	global_load_b32 v42, v[35:36], off
	v_add_co_u32 v35, vcc_lo, v35, 4
	v_add_co_ci_u32_e32 v36, vcc_lo, 0, v36, vcc_lo
	v_add_co_u32 v37, s0, v37, 4
	s_delay_alu instid0(VALU_DEP_1)
	v_add_co_ci_u32_e64 v38, s0, 0, v38, s0
	s_add_u32 s6, s6, 1
	s_addc_u32 s7, s7, 0
	s_and_not1_b32 s0, s34, exec_lo
	s_waitcnt vmcnt(0)
	v_cmp_ne_u32_e32 vcc_lo, v41, v42
	s_and_b32 s34, vcc_lo, exec_lo
	s_delay_alu instid0(SALU_CYCLE_1)
	s_or_b32 s34, s0, s34
.LBB1585_70:                            ;   in Loop: Header=BB1585_71 Depth=1
	v_dual_mov_b32 v42, s7 :: v_dual_mov_b32 v41, s6
	s_and_b32 s0, exec_lo, s34
	s_delay_alu instid0(SALU_CYCLE_1) | instskip(NEXT) | instid1(SALU_CYCLE_1)
	s_or_b32 s26, s0, s26
	s_and_not1_b32 exec_lo, exec_lo, s26
	s_cbranch_execz .LBB1585_73
.LBB1585_71:                            ; =>This Inner Loop Header: Depth=1
	s_or_b32 s34, s34, exec_lo
	s_cmp_eq_u64 s[4:5], s[6:7]
	s_cbranch_scc0 .LBB1585_69
; %bb.72:                               ;   in Loop: Header=BB1585_71 Depth=1
	s_mov_b64 s[6:7], s[14:15]
                                        ; implicit-def: $vgpr35_vgpr36
                                        ; implicit-def: $vgpr37_vgpr38
	s_branch .LBB1585_70
.LBB1585_73:
	s_set_inst_prefetch_distance 0x2
	s_or_b32 exec_lo, exec_lo, s26
	v_cmp_gt_i64_e32 vcc_lo, s[14:15], v[41:42]
	s_or_not1_b32 s26, vcc_lo, exec_lo
.LBB1585_74:
	s_or_b32 exec_lo, exec_lo, s27
.LBB1585_75:
	v_mul_lo_u32 v37, v28, s14
	v_mul_lo_u32 v38, v27, s15
	v_mad_u64_u32 v[35:36], null, v27, s14, 0
	s_and_not1_b32 vcc_lo, exec_lo, s13
	s_delay_alu instid0(VALU_DEP_1) | instskip(NEXT) | instid1(VALU_DEP_1)
	v_add3_u32 v36, v36, v38, v37
	v_lshlrev_b64 v[35:36], 2, v[35:36]
	s_cbranch_vccnz .LBB1585_84
; %bb.76:
	s_delay_alu instid0(VALU_DEP_1) | instskip(NEXT) | instid1(VALU_DEP_2)
	v_add_co_u32 v41, vcc_lo, s20, v35
	v_add_co_ci_u32_e32 v42, vcc_lo, s21, v36, vcc_lo
	v_add_co_u32 v37, vcc_lo, s20, v39
	v_add_co_ci_u32_e32 v38, vcc_lo, s21, v40, vcc_lo
	s_mov_b32 s25, -1
	s_clause 0x1
	global_load_b32 v39, v[41:42], off
	global_load_b32 v40, v[37:38], off
	s_mov_b32 s27, exec_lo
	s_waitcnt vmcnt(0)
	v_cmpx_eq_u32_e64 v39, v40
	s_cbranch_execz .LBB1585_83
; %bb.77:
	v_add_co_u32 v37, vcc_lo, v37, 4
	v_add_co_ci_u32_e32 v38, vcc_lo, 0, v38, vcc_lo
	v_add_co_u32 v39, vcc_lo, v41, 4
	v_add_co_ci_u32_e32 v40, vcc_lo, 0, v42, vcc_lo
	s_add_u32 s4, s14, -1
	s_addc_u32 s5, s15, -1
	s_mov_b64 s[6:7], 0
	s_mov_b32 s25, 0
                                        ; implicit-def: $sgpr34
	s_set_inst_prefetch_distance 0x1
	s_branch .LBB1585_80
	.p2align	6
.LBB1585_78:                            ;   in Loop: Header=BB1585_80 Depth=1
	global_load_b32 v41, v[39:40], off
	global_load_b32 v42, v[37:38], off
	v_add_co_u32 v37, vcc_lo, v37, 4
	v_add_co_ci_u32_e32 v38, vcc_lo, 0, v38, vcc_lo
	v_add_co_u32 v39, s0, v39, 4
	s_delay_alu instid0(VALU_DEP_1)
	v_add_co_ci_u32_e64 v40, s0, 0, v40, s0
	s_add_u32 s6, s6, 1
	s_addc_u32 s7, s7, 0
	s_and_not1_b32 s0, s34, exec_lo
	s_waitcnt vmcnt(0)
	v_cmp_ne_u32_e32 vcc_lo, v41, v42
	s_and_b32 s34, vcc_lo, exec_lo
	s_delay_alu instid0(SALU_CYCLE_1)
	s_or_b32 s34, s0, s34
.LBB1585_79:                            ;   in Loop: Header=BB1585_80 Depth=1
	v_dual_mov_b32 v42, s7 :: v_dual_mov_b32 v41, s6
	s_and_b32 s0, exec_lo, s34
	s_delay_alu instid0(SALU_CYCLE_1) | instskip(NEXT) | instid1(SALU_CYCLE_1)
	s_or_b32 s25, s0, s25
	s_and_not1_b32 exec_lo, exec_lo, s25
	s_cbranch_execz .LBB1585_82
.LBB1585_80:                            ; =>This Inner Loop Header: Depth=1
	s_or_b32 s34, s34, exec_lo
	s_cmp_eq_u64 s[4:5], s[6:7]
	s_cbranch_scc0 .LBB1585_78
; %bb.81:                               ;   in Loop: Header=BB1585_80 Depth=1
	s_mov_b64 s[6:7], s[14:15]
                                        ; implicit-def: $vgpr37_vgpr38
                                        ; implicit-def: $vgpr39_vgpr40
	s_branch .LBB1585_79
.LBB1585_82:
	s_set_inst_prefetch_distance 0x2
	s_or_b32 exec_lo, exec_lo, s25
	v_cmp_gt_i64_e32 vcc_lo, s[14:15], v[41:42]
	s_or_not1_b32 s25, vcc_lo, exec_lo
.LBB1585_83:
	s_or_b32 exec_lo, exec_lo, s27
.LBB1585_84:
	v_mul_lo_u32 v39, v26, s14
	v_mul_lo_u32 v40, v25, s15
	v_mad_u64_u32 v[37:38], null, v25, s14, 0
	s_mov_b32 s27, 0
	s_and_not1_b32 vcc_lo, exec_lo, s13
	s_mov_b32 s34, 0
	s_delay_alu instid0(VALU_DEP_1) | instskip(NEXT) | instid1(VALU_DEP_1)
	v_add3_u32 v38, v38, v40, v39
	v_lshlrev_b64 v[39:40], 2, v[37:38]
	s_cbranch_vccnz .LBB1585_93
; %bb.85:
	s_delay_alu instid0(VALU_DEP_1) | instskip(NEXT) | instid1(VALU_DEP_2)
	v_add_co_u32 v37, vcc_lo, s20, v39
	v_add_co_ci_u32_e32 v38, vcc_lo, s21, v40, vcc_lo
	v_add_co_u32 v35, vcc_lo, s20, v35
	v_add_co_ci_u32_e32 v36, vcc_lo, s21, v36, vcc_lo
	s_mov_b32 s34, -1
	s_clause 0x1
	global_load_b32 v41, v[37:38], off
	global_load_b32 v42, v[35:36], off
	s_mov_b32 s35, exec_lo
	s_waitcnt vmcnt(0)
	v_cmpx_eq_u32_e64 v41, v42
	s_cbranch_execz .LBB1585_92
; %bb.86:
	v_add_co_u32 v35, vcc_lo, v35, 4
	v_add_co_ci_u32_e32 v36, vcc_lo, 0, v36, vcc_lo
	v_add_co_u32 v37, vcc_lo, v37, 4
	v_add_co_ci_u32_e32 v38, vcc_lo, 0, v38, vcc_lo
	s_add_u32 s4, s14, -1
	s_addc_u32 s5, s15, -1
	s_mov_b64 s[6:7], 0
	s_mov_b32 s34, 0
                                        ; implicit-def: $sgpr36
	s_set_inst_prefetch_distance 0x1
	s_branch .LBB1585_89
	.p2align	6
.LBB1585_87:                            ;   in Loop: Header=BB1585_89 Depth=1
	global_load_b32 v41, v[37:38], off
	global_load_b32 v42, v[35:36], off
	v_add_co_u32 v35, vcc_lo, v35, 4
	v_add_co_ci_u32_e32 v36, vcc_lo, 0, v36, vcc_lo
	v_add_co_u32 v37, s0, v37, 4
	s_delay_alu instid0(VALU_DEP_1)
	v_add_co_ci_u32_e64 v38, s0, 0, v38, s0
	s_add_u32 s6, s6, 1
	s_addc_u32 s7, s7, 0
	s_and_not1_b32 s0, s36, exec_lo
	s_waitcnt vmcnt(0)
	v_cmp_ne_u32_e32 vcc_lo, v41, v42
	s_and_b32 s36, vcc_lo, exec_lo
	s_delay_alu instid0(SALU_CYCLE_1)
	s_or_b32 s36, s0, s36
.LBB1585_88:                            ;   in Loop: Header=BB1585_89 Depth=1
	v_dual_mov_b32 v42, s7 :: v_dual_mov_b32 v41, s6
	s_and_b32 s0, exec_lo, s36
	s_delay_alu instid0(SALU_CYCLE_1) | instskip(NEXT) | instid1(SALU_CYCLE_1)
	s_or_b32 s34, s0, s34
	s_and_not1_b32 exec_lo, exec_lo, s34
	s_cbranch_execz .LBB1585_91
.LBB1585_89:                            ; =>This Inner Loop Header: Depth=1
	s_or_b32 s36, s36, exec_lo
	s_cmp_eq_u64 s[4:5], s[6:7]
	s_cbranch_scc0 .LBB1585_87
; %bb.90:                               ;   in Loop: Header=BB1585_89 Depth=1
	s_mov_b64 s[6:7], s[14:15]
                                        ; implicit-def: $vgpr35_vgpr36
                                        ; implicit-def: $vgpr37_vgpr38
	s_branch .LBB1585_88
.LBB1585_91:
	s_set_inst_prefetch_distance 0x2
	s_or_b32 exec_lo, exec_lo, s34
	v_cmp_gt_i64_e32 vcc_lo, s[14:15], v[41:42]
	s_or_not1_b32 s34, vcc_lo, exec_lo
.LBB1585_92:
	s_or_b32 exec_lo, exec_lo, s35
.LBB1585_93:
	v_mul_lo_u32 v37, v32, s14
	v_mul_lo_u32 v38, v31, s15
	v_mad_u64_u32 v[35:36], null, v31, s14, 0
	s_and_not1_b32 vcc_lo, exec_lo, s13
	s_delay_alu instid0(VALU_DEP_1) | instskip(NEXT) | instid1(VALU_DEP_1)
	v_add3_u32 v36, v36, v38, v37
	v_lshlrev_b64 v[37:38], 2, v[35:36]
	s_cbranch_vccnz .LBB1585_102
; %bb.94:
	s_delay_alu instid0(VALU_DEP_1) | instskip(NEXT) | instid1(VALU_DEP_2)
	v_add_co_u32 v41, vcc_lo, s20, v37
	v_add_co_ci_u32_e32 v42, vcc_lo, s21, v38, vcc_lo
	v_add_co_u32 v35, vcc_lo, s20, v39
	v_add_co_ci_u32_e32 v36, vcc_lo, s21, v40, vcc_lo
	s_mov_b32 s27, -1
	s_clause 0x1
	global_load_b32 v39, v[41:42], off
	global_load_b32 v40, v[35:36], off
	s_mov_b32 s35, exec_lo
	s_waitcnt vmcnt(0)
	v_cmpx_eq_u32_e64 v39, v40
	s_cbranch_execz .LBB1585_101
; %bb.95:
	v_add_co_u32 v35, vcc_lo, v35, 4
	v_add_co_ci_u32_e32 v36, vcc_lo, 0, v36, vcc_lo
	v_add_co_u32 v39, vcc_lo, v41, 4
	v_add_co_ci_u32_e32 v40, vcc_lo, 0, v42, vcc_lo
	s_add_u32 s4, s14, -1
	s_addc_u32 s5, s15, -1
	s_mov_b64 s[6:7], 0
	s_mov_b32 s27, 0
                                        ; implicit-def: $sgpr36
	s_set_inst_prefetch_distance 0x1
	s_branch .LBB1585_98
	.p2align	6
.LBB1585_96:                            ;   in Loop: Header=BB1585_98 Depth=1
	global_load_b32 v41, v[39:40], off
	global_load_b32 v42, v[35:36], off
	v_add_co_u32 v35, vcc_lo, v35, 4
	v_add_co_ci_u32_e32 v36, vcc_lo, 0, v36, vcc_lo
	v_add_co_u32 v39, s0, v39, 4
	s_delay_alu instid0(VALU_DEP_1)
	v_add_co_ci_u32_e64 v40, s0, 0, v40, s0
	s_add_u32 s6, s6, 1
	s_addc_u32 s7, s7, 0
	s_and_not1_b32 s0, s36, exec_lo
	s_waitcnt vmcnt(0)
	v_cmp_ne_u32_e32 vcc_lo, v41, v42
	s_and_b32 s36, vcc_lo, exec_lo
	s_delay_alu instid0(SALU_CYCLE_1)
	s_or_b32 s36, s0, s36
.LBB1585_97:                            ;   in Loop: Header=BB1585_98 Depth=1
	v_dual_mov_b32 v42, s7 :: v_dual_mov_b32 v41, s6
	s_and_b32 s0, exec_lo, s36
	s_delay_alu instid0(SALU_CYCLE_1) | instskip(NEXT) | instid1(SALU_CYCLE_1)
	s_or_b32 s27, s0, s27
	s_and_not1_b32 exec_lo, exec_lo, s27
	s_cbranch_execz .LBB1585_100
.LBB1585_98:                            ; =>This Inner Loop Header: Depth=1
	s_or_b32 s36, s36, exec_lo
	s_cmp_eq_u64 s[4:5], s[6:7]
	s_cbranch_scc0 .LBB1585_96
; %bb.99:                               ;   in Loop: Header=BB1585_98 Depth=1
	s_mov_b64 s[6:7], s[14:15]
                                        ; implicit-def: $vgpr35_vgpr36
                                        ; implicit-def: $vgpr39_vgpr40
	s_branch .LBB1585_97
.LBB1585_100:
	s_set_inst_prefetch_distance 0x2
	s_or_b32 exec_lo, exec_lo, s27
	v_cmp_gt_i64_e32 vcc_lo, s[14:15], v[41:42]
	s_or_not1_b32 s27, vcc_lo, exec_lo
.LBB1585_101:
	s_or_b32 exec_lo, exec_lo, s35
.LBB1585_102:
	v_mul_lo_u32 v39, v30, s14
	v_mul_lo_u32 v40, v29, s15
	v_mad_u64_u32 v[35:36], null, v29, s14, 0
	s_and_not1_b32 vcc_lo, exec_lo, s13
	s_mov_b32 s0, 0
	s_delay_alu instid0(VALU_DEP_1) | instskip(NEXT) | instid1(VALU_DEP_1)
	v_add3_u32 v36, v36, v40, v39
	v_lshlrev_b64 v[35:36], 2, v[35:36]
	s_cbranch_vccnz .LBB1585_111
; %bb.103:
	s_delay_alu instid0(VALU_DEP_1) | instskip(NEXT) | instid1(VALU_DEP_2)
	v_add_co_u32 v39, vcc_lo, s20, v35
	v_add_co_ci_u32_e32 v40, vcc_lo, s21, v36, vcc_lo
	v_add_co_u32 v37, vcc_lo, s20, v37
	v_add_co_ci_u32_e32 v38, vcc_lo, s21, v38, vcc_lo
	s_mov_b32 s0, -1
	s_clause 0x1
	global_load_b32 v41, v[39:40], off
	global_load_b32 v42, v[37:38], off
	s_mov_b32 s35, exec_lo
	s_waitcnt vmcnt(0)
	v_cmpx_eq_u32_e64 v41, v42
	s_cbranch_execz .LBB1585_110
; %bb.104:
	v_add_co_u32 v37, vcc_lo, v37, 4
	v_add_co_ci_u32_e32 v38, vcc_lo, 0, v38, vcc_lo
	v_add_co_u32 v39, vcc_lo, v39, 4
	v_add_co_ci_u32_e32 v40, vcc_lo, 0, v40, vcc_lo
	s_add_u32 s4, s14, -1
	s_addc_u32 s5, s15, -1
	s_mov_b64 s[6:7], 0
	s_mov_b32 s36, 0
                                        ; implicit-def: $sgpr37
	s_set_inst_prefetch_distance 0x1
	s_branch .LBB1585_107
	.p2align	6
.LBB1585_105:                           ;   in Loop: Header=BB1585_107 Depth=1
	global_load_b32 v41, v[39:40], off
	global_load_b32 v42, v[37:38], off
	v_add_co_u32 v37, vcc_lo, v37, 4
	v_add_co_ci_u32_e32 v38, vcc_lo, 0, v38, vcc_lo
	v_add_co_u32 v39, s0, v39, 4
	s_delay_alu instid0(VALU_DEP_1)
	v_add_co_ci_u32_e64 v40, s0, 0, v40, s0
	s_add_u32 s6, s6, 1
	s_addc_u32 s7, s7, 0
	s_and_not1_b32 s0, s37, exec_lo
	s_waitcnt vmcnt(0)
	v_cmp_ne_u32_e32 vcc_lo, v41, v42
	s_and_b32 s37, vcc_lo, exec_lo
	s_delay_alu instid0(SALU_CYCLE_1)
	s_or_b32 s37, s0, s37
.LBB1585_106:                           ;   in Loop: Header=BB1585_107 Depth=1
	v_dual_mov_b32 v42, s7 :: v_dual_mov_b32 v41, s6
	s_and_b32 s0, exec_lo, s37
	s_delay_alu instid0(SALU_CYCLE_1) | instskip(NEXT) | instid1(SALU_CYCLE_1)
	s_or_b32 s36, s0, s36
	s_and_not1_b32 exec_lo, exec_lo, s36
	s_cbranch_execz .LBB1585_109
.LBB1585_107:                           ; =>This Inner Loop Header: Depth=1
	s_or_b32 s37, s37, exec_lo
	s_cmp_eq_u64 s[4:5], s[6:7]
	s_cbranch_scc0 .LBB1585_105
; %bb.108:                              ;   in Loop: Header=BB1585_107 Depth=1
	s_mov_b64 s[6:7], s[14:15]
                                        ; implicit-def: $vgpr37_vgpr38
                                        ; implicit-def: $vgpr39_vgpr40
	s_branch .LBB1585_106
.LBB1585_109:
	s_set_inst_prefetch_distance 0x2
	s_or_b32 exec_lo, exec_lo, s36
	v_cmp_gt_i64_e32 vcc_lo, s[14:15], v[41:42]
	s_or_not1_b32 s0, vcc_lo, exec_lo
.LBB1585_110:
	s_or_b32 exec_lo, exec_lo, s35
.LBB1585_111:
	s_waitcnt vmcnt(0)
	v_dual_mov_b32 v38, v34 :: v_dual_mov_b32 v37, v33
	s_waitcnt lgkmcnt(0)
	s_barrier
	buffer_gl0_inv
	s_and_saveexec_b32 s4, s3
	s_cbranch_execz .LBB1585_113
; %bb.112:
	v_add_nc_u32_e32 v37, -8, v55
	ds_load_b64 v[37:38], v37
.LBB1585_113:
	s_or_b32 exec_lo, exec_lo, s4
	v_cndmask_b32_e64 v40, 0, 1, s34
	v_cndmask_b32_e64 v42, 0, 1, s26
	;; [unrolled: 1-line block ×7, first 2 shown]
	v_lshlrev_b16 v40, 8, v40
	v_lshlrev_b16 v42, 8, v42
	;; [unrolled: 1-line block ×4, first 2 shown]
	s_mov_b32 s1, 0
	v_or_b32_e32 v39, v39, v40
	v_or_b32_e32 v40, v41, v42
	;; [unrolled: 1-line block ×3, first 2 shown]
	v_and_b32_e32 v41, 0xffff, v45
	s_and_not1_b32 vcc_lo, exec_lo, s13
	v_lshlrev_b32_e32 v42, 16, v39
	v_and_b32_e32 v44, 0xffff, v40
	v_lshlrev_b32_e32 v45, 16, v46
	s_mov_b32 s0, 0
	s_cbranch_vccnz .LBB1585_122
; %bb.114:
	s_waitcnt lgkmcnt(0)
	v_mul_lo_u32 v40, v38, s14
	v_mul_lo_u32 v46, v37, s15
	v_mad_u64_u32 v[38:39], null, v37, s14, 0
	s_mov_b32 s0, -1
	s_mov_b32 s24, exec_lo
	s_delay_alu instid0(VALU_DEP_1) | instskip(NEXT) | instid1(VALU_DEP_1)
	v_add3_u32 v39, v39, v46, v40
	v_lshlrev_b64 v[37:38], 2, v[38:39]
	s_delay_alu instid0(VALU_DEP_1) | instskip(NEXT) | instid1(VALU_DEP_2)
	v_add_co_u32 v37, vcc_lo, s20, v37
	v_add_co_ci_u32_e32 v38, vcc_lo, s21, v38, vcc_lo
	v_add_co_u32 v35, vcc_lo, s20, v35
	v_add_co_ci_u32_e32 v36, vcc_lo, s21, v36, vcc_lo
	s_clause 0x1
	global_load_b32 v39, v[37:38], off
	global_load_b32 v40, v[35:36], off
	s_waitcnt vmcnt(0)
	v_cmpx_eq_u32_e64 v39, v40
	s_cbranch_execz .LBB1585_121
; %bb.115:
	v_add_co_u32 v35, vcc_lo, v35, 4
	v_add_co_ci_u32_e32 v36, vcc_lo, 0, v36, vcc_lo
	v_add_co_u32 v37, vcc_lo, v37, 4
	v_add_co_ci_u32_e32 v38, vcc_lo, 0, v38, vcc_lo
	s_add_u32 s4, s14, -1
	s_addc_u32 s5, s15, -1
	s_mov_b64 s[6:7], 0
	s_mov_b32 s25, 0
                                        ; implicit-def: $sgpr26
	s_set_inst_prefetch_distance 0x1
	s_branch .LBB1585_118
	.p2align	6
.LBB1585_116:                           ;   in Loop: Header=BB1585_118 Depth=1
	global_load_b32 v39, v[37:38], off
	global_load_b32 v40, v[35:36], off
	v_add_co_u32 v35, vcc_lo, v35, 4
	v_add_co_ci_u32_e32 v36, vcc_lo, 0, v36, vcc_lo
	v_add_co_u32 v37, s0, v37, 4
	s_delay_alu instid0(VALU_DEP_1)
	v_add_co_ci_u32_e64 v38, s0, 0, v38, s0
	s_add_u32 s6, s6, 1
	s_addc_u32 s7, s7, 0
	s_and_not1_b32 s0, s26, exec_lo
	s_waitcnt vmcnt(0)
	v_cmp_ne_u32_e32 vcc_lo, v39, v40
	s_and_b32 s26, vcc_lo, exec_lo
	s_delay_alu instid0(SALU_CYCLE_1)
	s_or_b32 s26, s0, s26
.LBB1585_117:                           ;   in Loop: Header=BB1585_118 Depth=1
	v_dual_mov_b32 v40, s7 :: v_dual_mov_b32 v39, s6
	s_and_b32 s0, exec_lo, s26
	s_delay_alu instid0(SALU_CYCLE_1) | instskip(NEXT) | instid1(SALU_CYCLE_1)
	s_or_b32 s25, s0, s25
	s_and_not1_b32 exec_lo, exec_lo, s25
	s_cbranch_execz .LBB1585_120
.LBB1585_118:                           ; =>This Inner Loop Header: Depth=1
	s_or_b32 s26, s26, exec_lo
	s_cmp_eq_u64 s[4:5], s[6:7]
	s_cbranch_scc0 .LBB1585_116
; %bb.119:                              ;   in Loop: Header=BB1585_118 Depth=1
	s_mov_b64 s[6:7], s[14:15]
                                        ; implicit-def: $vgpr35_vgpr36
                                        ; implicit-def: $vgpr37_vgpr38
	s_branch .LBB1585_117
.LBB1585_120:
	s_set_inst_prefetch_distance 0x2
	s_or_b32 exec_lo, exec_lo, s25
	v_cmp_gt_i64_e32 vcc_lo, s[14:15], v[39:40]
	s_or_not1_b32 s0, vcc_lo, exec_lo
.LBB1585_121:
	s_or_b32 exec_lo, exec_lo, s24
.LBB1585_122:
	v_or_b32_e32 v35, v41, v42
	s_delay_alu instid0(VALU_DEP_2)
	v_or_b32_e32 v36, v44, v45
	s_and_b32 vcc_lo, exec_lo, s1
	s_cbranch_vccz .LBB1585_214
.LBB1585_123:
	v_or_b32_e32 v35, 7, v55
	s_mov_b32 s1, 0
	s_mov_b32 s24, 0
	s_mov_b32 s25, exec_lo
	s_delay_alu instid0(VALU_DEP_1)
	v_cmpx_gt_u32_e64 s31, v35
	s_cbranch_execz .LBB1585_134
; %bb.124:
	s_and_not1_b32 vcc_lo, exec_lo, s13
	s_mov_b32 s0, 0
	s_cbranch_vccnz .LBB1585_133
; %bb.125:
	v_mul_lo_u32 v39, v18, s14
	v_mul_lo_u32 v40, v17, s15
	v_mad_u64_u32 v[35:36], null, v17, s14, 0
	v_mul_lo_u32 v41, v20, s14
	v_mul_lo_u32 v42, v19, s15
	s_waitcnt lgkmcnt(0)
	v_mad_u64_u32 v[37:38], null, v19, s14, 0
	s_mov_b32 s0, -1
	s_mov_b32 s13, exec_lo
	s_delay_alu instid0(VALU_DEP_4) | instskip(NEXT) | instid1(VALU_DEP_2)
	v_add3_u32 v36, v36, v40, v39
	v_add3_u32 v38, v38, v42, v41
	s_delay_alu instid0(VALU_DEP_2) | instskip(NEXT) | instid1(VALU_DEP_2)
	v_lshlrev_b64 v[35:36], 2, v[35:36]
	v_lshlrev_b64 v[39:40], 2, v[37:38]
	s_delay_alu instid0(VALU_DEP_2) | instskip(NEXT) | instid1(VALU_DEP_3)
	v_add_co_u32 v37, vcc_lo, s20, v35
	v_add_co_ci_u32_e32 v38, vcc_lo, s21, v36, vcc_lo
	s_delay_alu instid0(VALU_DEP_3) | instskip(NEXT) | instid1(VALU_DEP_4)
	v_add_co_u32 v35, vcc_lo, s20, v39
	v_add_co_ci_u32_e32 v36, vcc_lo, s21, v40, vcc_lo
	s_clause 0x1
	global_load_b32 v39, v[37:38], off
	global_load_b32 v40, v[35:36], off
	s_waitcnt vmcnt(0)
	v_cmpx_eq_u32_e64 v39, v40
	s_cbranch_execz .LBB1585_132
; %bb.126:
	v_add_co_u32 v35, vcc_lo, v35, 4
	v_add_co_ci_u32_e32 v36, vcc_lo, 0, v36, vcc_lo
	v_add_co_u32 v37, vcc_lo, v37, 4
	v_add_co_ci_u32_e32 v38, vcc_lo, 0, v38, vcc_lo
	s_add_u32 s4, s14, -1
	s_addc_u32 s5, s15, -1
	s_mov_b64 s[6:7], 0
                                        ; implicit-def: $sgpr26
	s_set_inst_prefetch_distance 0x1
	s_branch .LBB1585_129
	.p2align	6
.LBB1585_127:                           ;   in Loop: Header=BB1585_129 Depth=1
	global_load_b32 v39, v[37:38], off
	global_load_b32 v40, v[35:36], off
	v_add_co_u32 v35, vcc_lo, v35, 4
	v_add_co_ci_u32_e32 v36, vcc_lo, 0, v36, vcc_lo
	v_add_co_u32 v37, s0, v37, 4
	s_delay_alu instid0(VALU_DEP_1)
	v_add_co_ci_u32_e64 v38, s0, 0, v38, s0
	s_add_u32 s6, s6, 1
	s_addc_u32 s7, s7, 0
	s_and_not1_b32 s0, s26, exec_lo
	s_waitcnt vmcnt(0)
	v_cmp_ne_u32_e32 vcc_lo, v39, v40
	s_and_b32 s26, vcc_lo, exec_lo
	s_delay_alu instid0(SALU_CYCLE_1)
	s_or_b32 s26, s0, s26
.LBB1585_128:                           ;   in Loop: Header=BB1585_129 Depth=1
	v_dual_mov_b32 v40, s7 :: v_dual_mov_b32 v39, s6
	s_and_b32 s0, exec_lo, s26
	s_delay_alu instid0(SALU_CYCLE_1) | instskip(NEXT) | instid1(SALU_CYCLE_1)
	s_or_b32 s24, s0, s24
	s_and_not1_b32 exec_lo, exec_lo, s24
	s_cbranch_execz .LBB1585_131
.LBB1585_129:                           ; =>This Inner Loop Header: Depth=1
	s_or_b32 s26, s26, exec_lo
	s_cmp_eq_u64 s[4:5], s[6:7]
	s_cbranch_scc0 .LBB1585_127
; %bb.130:                              ;   in Loop: Header=BB1585_129 Depth=1
	s_mov_b64 s[6:7], s[14:15]
                                        ; implicit-def: $vgpr35_vgpr36
                                        ; implicit-def: $vgpr37_vgpr38
	s_branch .LBB1585_128
.LBB1585_131:
	s_set_inst_prefetch_distance 0x2
	s_or_b32 exec_lo, exec_lo, s24
	v_cmp_gt_i64_e32 vcc_lo, s[14:15], v[39:40]
	s_or_not1_b32 s0, vcc_lo, exec_lo
.LBB1585_132:
	s_or_b32 exec_lo, exec_lo, s13
.LBB1585_133:
	s_delay_alu instid0(SALU_CYCLE_1)
	s_and_b32 s24, s0, exec_lo
.LBB1585_134:
	s_or_b32 exec_lo, exec_lo, s25
	v_or_b32_e32 v35, 6, v55
	s_mov_b32 s13, exec_lo
	s_delay_alu instid0(VALU_DEP_1)
	v_cmpx_gt_u32_e64 s31, v35
	s_cbranch_execz .LBB1585_145
; %bb.135:
	v_cmp_ne_u32_e32 vcc_lo, 1, v43
	s_mov_b32 s0, 0
	s_cbranch_vccnz .LBB1585_144
; %bb.136:
	v_mul_lo_u32 v39, v24, s14
	v_mul_lo_u32 v40, v23, s15
	v_mad_u64_u32 v[35:36], null, v23, s14, 0
	v_mul_lo_u32 v41, v18, s14
	v_mul_lo_u32 v42, v17, s15
	s_waitcnt lgkmcnt(0)
	v_mad_u64_u32 v[37:38], null, v17, s14, 0
	s_mov_b32 s0, -1
	s_mov_b32 s1, exec_lo
	s_delay_alu instid0(VALU_DEP_4) | instskip(NEXT) | instid1(VALU_DEP_2)
	v_add3_u32 v36, v36, v40, v39
	v_add3_u32 v38, v38, v42, v41
	s_delay_alu instid0(VALU_DEP_2) | instskip(NEXT) | instid1(VALU_DEP_2)
	v_lshlrev_b64 v[35:36], 2, v[35:36]
	v_lshlrev_b64 v[39:40], 2, v[37:38]
	s_delay_alu instid0(VALU_DEP_2) | instskip(NEXT) | instid1(VALU_DEP_3)
	v_add_co_u32 v37, vcc_lo, s20, v35
	v_add_co_ci_u32_e32 v38, vcc_lo, s21, v36, vcc_lo
	s_delay_alu instid0(VALU_DEP_3) | instskip(NEXT) | instid1(VALU_DEP_4)
	v_add_co_u32 v35, vcc_lo, s20, v39
	v_add_co_ci_u32_e32 v36, vcc_lo, s21, v40, vcc_lo
	s_clause 0x1
	global_load_b32 v39, v[37:38], off
	global_load_b32 v40, v[35:36], off
	s_waitcnt vmcnt(0)
	v_cmpx_eq_u32_e64 v39, v40
	s_cbranch_execz .LBB1585_143
; %bb.137:
	v_add_co_u32 v35, vcc_lo, v35, 4
	v_add_co_ci_u32_e32 v36, vcc_lo, 0, v36, vcc_lo
	v_add_co_u32 v37, vcc_lo, v37, 4
	v_add_co_ci_u32_e32 v38, vcc_lo, 0, v38, vcc_lo
	s_add_u32 s4, s14, -1
	s_addc_u32 s5, s15, -1
	s_mov_b64 s[6:7], 0
	s_mov_b32 s25, 0
                                        ; implicit-def: $sgpr26
	s_set_inst_prefetch_distance 0x1
	s_branch .LBB1585_140
	.p2align	6
.LBB1585_138:                           ;   in Loop: Header=BB1585_140 Depth=1
	global_load_b32 v39, v[37:38], off
	global_load_b32 v40, v[35:36], off
	v_add_co_u32 v35, vcc_lo, v35, 4
	v_add_co_ci_u32_e32 v36, vcc_lo, 0, v36, vcc_lo
	v_add_co_u32 v37, s0, v37, 4
	s_delay_alu instid0(VALU_DEP_1)
	v_add_co_ci_u32_e64 v38, s0, 0, v38, s0
	s_add_u32 s6, s6, 1
	s_addc_u32 s7, s7, 0
	s_and_not1_b32 s0, s26, exec_lo
	s_waitcnt vmcnt(0)
	v_cmp_ne_u32_e32 vcc_lo, v39, v40
	s_and_b32 s26, vcc_lo, exec_lo
	s_delay_alu instid0(SALU_CYCLE_1)
	s_or_b32 s26, s0, s26
.LBB1585_139:                           ;   in Loop: Header=BB1585_140 Depth=1
	v_dual_mov_b32 v40, s7 :: v_dual_mov_b32 v39, s6
	s_and_b32 s0, exec_lo, s26
	s_delay_alu instid0(SALU_CYCLE_1) | instskip(NEXT) | instid1(SALU_CYCLE_1)
	s_or_b32 s25, s0, s25
	s_and_not1_b32 exec_lo, exec_lo, s25
	s_cbranch_execz .LBB1585_142
.LBB1585_140:                           ; =>This Inner Loop Header: Depth=1
	s_or_b32 s26, s26, exec_lo
	s_cmp_eq_u64 s[4:5], s[6:7]
	s_cbranch_scc0 .LBB1585_138
; %bb.141:                              ;   in Loop: Header=BB1585_140 Depth=1
	s_mov_b64 s[6:7], s[14:15]
                                        ; implicit-def: $vgpr35_vgpr36
                                        ; implicit-def: $vgpr37_vgpr38
	s_branch .LBB1585_139
.LBB1585_142:
	s_set_inst_prefetch_distance 0x2
	s_or_b32 exec_lo, exec_lo, s25
	v_cmp_gt_i64_e32 vcc_lo, s[14:15], v[39:40]
	s_or_not1_b32 s0, vcc_lo, exec_lo
.LBB1585_143:
	s_or_b32 exec_lo, exec_lo, s1
.LBB1585_144:
	s_delay_alu instid0(SALU_CYCLE_1)
	s_and_b32 s1, s0, exec_lo
.LBB1585_145:
	s_or_b32 exec_lo, exec_lo, s13
	v_or_b32_e32 v35, 5, v55
	s_mov_b32 s25, 0
	s_mov_b32 s13, 0
	s_mov_b32 s26, exec_lo
	s_delay_alu instid0(VALU_DEP_1)
	v_cmpx_gt_u32_e64 s31, v35
	s_cbranch_execz .LBB1585_156
; %bb.146:
	v_cmp_ne_u32_e32 vcc_lo, 1, v43
	s_mov_b32 s0, 0
	s_cbranch_vccnz .LBB1585_155
; %bb.147:
	v_mul_lo_u32 v39, v22, s14
	v_mul_lo_u32 v40, v21, s15
	v_mad_u64_u32 v[35:36], null, v21, s14, 0
	v_mul_lo_u32 v41, v24, s14
	v_mul_lo_u32 v42, v23, s15
	s_waitcnt lgkmcnt(0)
	v_mad_u64_u32 v[37:38], null, v23, s14, 0
	s_mov_b32 s0, -1
	s_mov_b32 s13, exec_lo
	s_delay_alu instid0(VALU_DEP_4) | instskip(NEXT) | instid1(VALU_DEP_2)
	v_add3_u32 v36, v36, v40, v39
	v_add3_u32 v38, v38, v42, v41
	s_delay_alu instid0(VALU_DEP_2) | instskip(NEXT) | instid1(VALU_DEP_2)
	v_lshlrev_b64 v[35:36], 2, v[35:36]
	v_lshlrev_b64 v[39:40], 2, v[37:38]
	s_delay_alu instid0(VALU_DEP_2) | instskip(NEXT) | instid1(VALU_DEP_3)
	v_add_co_u32 v37, vcc_lo, s20, v35
	v_add_co_ci_u32_e32 v38, vcc_lo, s21, v36, vcc_lo
	s_delay_alu instid0(VALU_DEP_3) | instskip(NEXT) | instid1(VALU_DEP_4)
	v_add_co_u32 v35, vcc_lo, s20, v39
	v_add_co_ci_u32_e32 v36, vcc_lo, s21, v40, vcc_lo
	s_clause 0x1
	global_load_b32 v39, v[37:38], off
	global_load_b32 v40, v[35:36], off
	s_waitcnt vmcnt(0)
	v_cmpx_eq_u32_e64 v39, v40
	s_cbranch_execz .LBB1585_154
; %bb.148:
	v_add_co_u32 v35, vcc_lo, v35, 4
	v_add_co_ci_u32_e32 v36, vcc_lo, 0, v36, vcc_lo
	v_add_co_u32 v37, vcc_lo, v37, 4
	v_add_co_ci_u32_e32 v38, vcc_lo, 0, v38, vcc_lo
	s_add_u32 s4, s14, -1
	s_addc_u32 s5, s15, -1
	s_mov_b64 s[6:7], 0
	s_mov_b32 s27, 0
                                        ; implicit-def: $sgpr34
	s_set_inst_prefetch_distance 0x1
	s_branch .LBB1585_151
	.p2align	6
.LBB1585_149:                           ;   in Loop: Header=BB1585_151 Depth=1
	global_load_b32 v39, v[37:38], off
	global_load_b32 v40, v[35:36], off
	v_add_co_u32 v35, vcc_lo, v35, 4
	v_add_co_ci_u32_e32 v36, vcc_lo, 0, v36, vcc_lo
	v_add_co_u32 v37, s0, v37, 4
	s_delay_alu instid0(VALU_DEP_1)
	v_add_co_ci_u32_e64 v38, s0, 0, v38, s0
	s_add_u32 s6, s6, 1
	s_addc_u32 s7, s7, 0
	s_and_not1_b32 s0, s34, exec_lo
	s_waitcnt vmcnt(0)
	v_cmp_ne_u32_e32 vcc_lo, v39, v40
	s_and_b32 s34, vcc_lo, exec_lo
	s_delay_alu instid0(SALU_CYCLE_1)
	s_or_b32 s34, s0, s34
.LBB1585_150:                           ;   in Loop: Header=BB1585_151 Depth=1
	v_dual_mov_b32 v40, s7 :: v_dual_mov_b32 v39, s6
	s_and_b32 s0, exec_lo, s34
	s_delay_alu instid0(SALU_CYCLE_1) | instskip(NEXT) | instid1(SALU_CYCLE_1)
	s_or_b32 s27, s0, s27
	s_and_not1_b32 exec_lo, exec_lo, s27
	s_cbranch_execz .LBB1585_153
.LBB1585_151:                           ; =>This Inner Loop Header: Depth=1
	s_or_b32 s34, s34, exec_lo
	s_cmp_eq_u64 s[4:5], s[6:7]
	s_cbranch_scc0 .LBB1585_149
; %bb.152:                              ;   in Loop: Header=BB1585_151 Depth=1
	s_mov_b64 s[6:7], s[14:15]
                                        ; implicit-def: $vgpr35_vgpr36
                                        ; implicit-def: $vgpr37_vgpr38
	s_branch .LBB1585_150
.LBB1585_153:
	s_set_inst_prefetch_distance 0x2
	s_or_b32 exec_lo, exec_lo, s27
	v_cmp_gt_i64_e32 vcc_lo, s[14:15], v[39:40]
	s_or_not1_b32 s0, vcc_lo, exec_lo
.LBB1585_154:
	s_or_b32 exec_lo, exec_lo, s13
.LBB1585_155:
	s_delay_alu instid0(SALU_CYCLE_1)
	s_and_b32 s13, s0, exec_lo
.LBB1585_156:
	s_or_b32 exec_lo, exec_lo, s26
	v_or_b32_e32 v35, 4, v55
	s_mov_b32 s26, exec_lo
	s_delay_alu instid0(VALU_DEP_1)
	v_cmpx_gt_u32_e64 s31, v35
	s_cbranch_execz .LBB1585_167
; %bb.157:
	v_cmp_ne_u32_e32 vcc_lo, 1, v43
	s_mov_b32 s0, 0
	s_cbranch_vccnz .LBB1585_166
; %bb.158:
	v_mul_lo_u32 v39, v28, s14
	v_mul_lo_u32 v40, v27, s15
	v_mad_u64_u32 v[35:36], null, v27, s14, 0
	v_mul_lo_u32 v41, v22, s14
	v_mul_lo_u32 v42, v21, s15
	s_waitcnt lgkmcnt(0)
	v_mad_u64_u32 v[37:38], null, v21, s14, 0
	s_mov_b32 s0, -1
	s_mov_b32 s25, exec_lo
	s_delay_alu instid0(VALU_DEP_4) | instskip(NEXT) | instid1(VALU_DEP_2)
	v_add3_u32 v36, v36, v40, v39
	v_add3_u32 v38, v38, v42, v41
	s_delay_alu instid0(VALU_DEP_2) | instskip(NEXT) | instid1(VALU_DEP_2)
	v_lshlrev_b64 v[35:36], 2, v[35:36]
	v_lshlrev_b64 v[39:40], 2, v[37:38]
	s_delay_alu instid0(VALU_DEP_2) | instskip(NEXT) | instid1(VALU_DEP_3)
	v_add_co_u32 v37, vcc_lo, s20, v35
	v_add_co_ci_u32_e32 v38, vcc_lo, s21, v36, vcc_lo
	s_delay_alu instid0(VALU_DEP_3) | instskip(NEXT) | instid1(VALU_DEP_4)
	v_add_co_u32 v35, vcc_lo, s20, v39
	v_add_co_ci_u32_e32 v36, vcc_lo, s21, v40, vcc_lo
	s_clause 0x1
	global_load_b32 v39, v[37:38], off
	global_load_b32 v40, v[35:36], off
	s_waitcnt vmcnt(0)
	v_cmpx_eq_u32_e64 v39, v40
	s_cbranch_execz .LBB1585_165
; %bb.159:
	v_add_co_u32 v35, vcc_lo, v35, 4
	v_add_co_ci_u32_e32 v36, vcc_lo, 0, v36, vcc_lo
	v_add_co_u32 v37, vcc_lo, v37, 4
	v_add_co_ci_u32_e32 v38, vcc_lo, 0, v38, vcc_lo
	s_add_u32 s4, s14, -1
	s_addc_u32 s5, s15, -1
	s_mov_b64 s[6:7], 0
	s_mov_b32 s27, 0
                                        ; implicit-def: $sgpr34
	s_set_inst_prefetch_distance 0x1
	s_branch .LBB1585_162
	.p2align	6
.LBB1585_160:                           ;   in Loop: Header=BB1585_162 Depth=1
	global_load_b32 v39, v[37:38], off
	global_load_b32 v40, v[35:36], off
	v_add_co_u32 v35, vcc_lo, v35, 4
	v_add_co_ci_u32_e32 v36, vcc_lo, 0, v36, vcc_lo
	v_add_co_u32 v37, s0, v37, 4
	s_delay_alu instid0(VALU_DEP_1)
	v_add_co_ci_u32_e64 v38, s0, 0, v38, s0
	s_add_u32 s6, s6, 1
	s_addc_u32 s7, s7, 0
	s_and_not1_b32 s0, s34, exec_lo
	s_waitcnt vmcnt(0)
	v_cmp_ne_u32_e32 vcc_lo, v39, v40
	s_and_b32 s34, vcc_lo, exec_lo
	s_delay_alu instid0(SALU_CYCLE_1)
	s_or_b32 s34, s0, s34
.LBB1585_161:                           ;   in Loop: Header=BB1585_162 Depth=1
	v_dual_mov_b32 v40, s7 :: v_dual_mov_b32 v39, s6
	s_and_b32 s0, exec_lo, s34
	s_delay_alu instid0(SALU_CYCLE_1) | instskip(NEXT) | instid1(SALU_CYCLE_1)
	s_or_b32 s27, s0, s27
	s_and_not1_b32 exec_lo, exec_lo, s27
	s_cbranch_execz .LBB1585_164
.LBB1585_162:                           ; =>This Inner Loop Header: Depth=1
	s_or_b32 s34, s34, exec_lo
	s_cmp_eq_u64 s[4:5], s[6:7]
	s_cbranch_scc0 .LBB1585_160
; %bb.163:                              ;   in Loop: Header=BB1585_162 Depth=1
	s_mov_b64 s[6:7], s[14:15]
                                        ; implicit-def: $vgpr35_vgpr36
                                        ; implicit-def: $vgpr37_vgpr38
	s_branch .LBB1585_161
.LBB1585_164:
	s_set_inst_prefetch_distance 0x2
	s_or_b32 exec_lo, exec_lo, s27
	v_cmp_gt_i64_e32 vcc_lo, s[14:15], v[39:40]
	s_or_not1_b32 s0, vcc_lo, exec_lo
.LBB1585_165:
	s_or_b32 exec_lo, exec_lo, s25
.LBB1585_166:
	s_delay_alu instid0(SALU_CYCLE_1)
	s_and_b32 s25, s0, exec_lo
.LBB1585_167:
	s_or_b32 exec_lo, exec_lo, s26
	v_or_b32_e32 v35, 3, v55
	s_mov_b32 s27, 0
	s_mov_b32 s26, 0
	s_mov_b32 s34, exec_lo
	s_delay_alu instid0(VALU_DEP_1)
	v_cmpx_gt_u32_e64 s31, v35
	s_cbranch_execz .LBB1585_178
; %bb.168:
	v_cmp_ne_u32_e32 vcc_lo, 1, v43
	s_mov_b32 s0, 0
	s_cbranch_vccnz .LBB1585_177
; %bb.169:
	v_mul_lo_u32 v39, v26, s14
	v_mul_lo_u32 v40, v25, s15
	v_mad_u64_u32 v[35:36], null, v25, s14, 0
	v_mul_lo_u32 v41, v28, s14
	v_mul_lo_u32 v42, v27, s15
	s_waitcnt lgkmcnt(0)
	v_mad_u64_u32 v[37:38], null, v27, s14, 0
	s_mov_b32 s0, -1
	s_mov_b32 s26, exec_lo
	s_delay_alu instid0(VALU_DEP_4) | instskip(NEXT) | instid1(VALU_DEP_2)
	v_add3_u32 v36, v36, v40, v39
	v_add3_u32 v38, v38, v42, v41
	s_delay_alu instid0(VALU_DEP_2) | instskip(NEXT) | instid1(VALU_DEP_2)
	v_lshlrev_b64 v[35:36], 2, v[35:36]
	v_lshlrev_b64 v[39:40], 2, v[37:38]
	s_delay_alu instid0(VALU_DEP_2) | instskip(NEXT) | instid1(VALU_DEP_3)
	v_add_co_u32 v37, vcc_lo, s20, v35
	v_add_co_ci_u32_e32 v38, vcc_lo, s21, v36, vcc_lo
	s_delay_alu instid0(VALU_DEP_3) | instskip(NEXT) | instid1(VALU_DEP_4)
	v_add_co_u32 v35, vcc_lo, s20, v39
	v_add_co_ci_u32_e32 v36, vcc_lo, s21, v40, vcc_lo
	s_clause 0x1
	global_load_b32 v39, v[37:38], off
	global_load_b32 v40, v[35:36], off
	s_waitcnt vmcnt(0)
	v_cmpx_eq_u32_e64 v39, v40
	s_cbranch_execz .LBB1585_176
; %bb.170:
	v_add_co_u32 v35, vcc_lo, v35, 4
	v_add_co_ci_u32_e32 v36, vcc_lo, 0, v36, vcc_lo
	v_add_co_u32 v37, vcc_lo, v37, 4
	v_add_co_ci_u32_e32 v38, vcc_lo, 0, v38, vcc_lo
	s_add_u32 s4, s14, -1
	s_addc_u32 s5, s15, -1
	s_mov_b64 s[6:7], 0
	s_mov_b32 s35, 0
                                        ; implicit-def: $sgpr36
	s_set_inst_prefetch_distance 0x1
	s_branch .LBB1585_173
	.p2align	6
.LBB1585_171:                           ;   in Loop: Header=BB1585_173 Depth=1
	global_load_b32 v39, v[37:38], off
	global_load_b32 v40, v[35:36], off
	v_add_co_u32 v35, vcc_lo, v35, 4
	v_add_co_ci_u32_e32 v36, vcc_lo, 0, v36, vcc_lo
	v_add_co_u32 v37, s0, v37, 4
	s_delay_alu instid0(VALU_DEP_1)
	v_add_co_ci_u32_e64 v38, s0, 0, v38, s0
	s_add_u32 s6, s6, 1
	s_addc_u32 s7, s7, 0
	s_and_not1_b32 s0, s36, exec_lo
	s_waitcnt vmcnt(0)
	v_cmp_ne_u32_e32 vcc_lo, v39, v40
	s_and_b32 s36, vcc_lo, exec_lo
	s_delay_alu instid0(SALU_CYCLE_1)
	s_or_b32 s36, s0, s36
.LBB1585_172:                           ;   in Loop: Header=BB1585_173 Depth=1
	v_dual_mov_b32 v40, s7 :: v_dual_mov_b32 v39, s6
	s_and_b32 s0, exec_lo, s36
	s_delay_alu instid0(SALU_CYCLE_1) | instskip(NEXT) | instid1(SALU_CYCLE_1)
	s_or_b32 s35, s0, s35
	s_and_not1_b32 exec_lo, exec_lo, s35
	s_cbranch_execz .LBB1585_175
.LBB1585_173:                           ; =>This Inner Loop Header: Depth=1
	s_or_b32 s36, s36, exec_lo
	s_cmp_eq_u64 s[4:5], s[6:7]
	s_cbranch_scc0 .LBB1585_171
; %bb.174:                              ;   in Loop: Header=BB1585_173 Depth=1
	s_mov_b64 s[6:7], s[14:15]
                                        ; implicit-def: $vgpr35_vgpr36
                                        ; implicit-def: $vgpr37_vgpr38
	s_branch .LBB1585_172
.LBB1585_175:
	s_set_inst_prefetch_distance 0x2
	s_or_b32 exec_lo, exec_lo, s35
	v_cmp_gt_i64_e32 vcc_lo, s[14:15], v[39:40]
	s_or_not1_b32 s0, vcc_lo, exec_lo
.LBB1585_176:
	s_or_b32 exec_lo, exec_lo, s26
.LBB1585_177:
	s_delay_alu instid0(SALU_CYCLE_1)
	s_and_b32 s26, s0, exec_lo
.LBB1585_178:
	s_or_b32 exec_lo, exec_lo, s34
	v_or_b32_e32 v35, 2, v55
	s_mov_b32 s34, exec_lo
	s_delay_alu instid0(VALU_DEP_1)
	v_cmpx_gt_u32_e64 s31, v35
	s_cbranch_execz .LBB1585_189
; %bb.179:
	v_cmp_ne_u32_e32 vcc_lo, 1, v43
	s_mov_b32 s0, 0
	s_cbranch_vccnz .LBB1585_188
; %bb.180:
	v_mul_lo_u32 v39, v32, s14
	v_mul_lo_u32 v40, v31, s15
	v_mad_u64_u32 v[35:36], null, v31, s14, 0
	v_mul_lo_u32 v41, v26, s14
	v_mul_lo_u32 v42, v25, s15
	s_waitcnt lgkmcnt(0)
	v_mad_u64_u32 v[37:38], null, v25, s14, 0
	s_mov_b32 s0, -1
	s_mov_b32 s27, exec_lo
	s_delay_alu instid0(VALU_DEP_4) | instskip(NEXT) | instid1(VALU_DEP_2)
	v_add3_u32 v36, v36, v40, v39
	v_add3_u32 v38, v38, v42, v41
	s_delay_alu instid0(VALU_DEP_2) | instskip(NEXT) | instid1(VALU_DEP_2)
	v_lshlrev_b64 v[35:36], 2, v[35:36]
	v_lshlrev_b64 v[39:40], 2, v[37:38]
	s_delay_alu instid0(VALU_DEP_2) | instskip(NEXT) | instid1(VALU_DEP_3)
	v_add_co_u32 v37, vcc_lo, s20, v35
	v_add_co_ci_u32_e32 v38, vcc_lo, s21, v36, vcc_lo
	s_delay_alu instid0(VALU_DEP_3) | instskip(NEXT) | instid1(VALU_DEP_4)
	v_add_co_u32 v35, vcc_lo, s20, v39
	v_add_co_ci_u32_e32 v36, vcc_lo, s21, v40, vcc_lo
	s_clause 0x1
	global_load_b32 v39, v[37:38], off
	global_load_b32 v40, v[35:36], off
	s_waitcnt vmcnt(0)
	v_cmpx_eq_u32_e64 v39, v40
	s_cbranch_execz .LBB1585_187
; %bb.181:
	v_add_co_u32 v35, vcc_lo, v35, 4
	v_add_co_ci_u32_e32 v36, vcc_lo, 0, v36, vcc_lo
	v_add_co_u32 v37, vcc_lo, v37, 4
	v_add_co_ci_u32_e32 v38, vcc_lo, 0, v38, vcc_lo
	s_add_u32 s4, s14, -1
	s_addc_u32 s5, s15, -1
	s_mov_b64 s[6:7], 0
	s_mov_b32 s35, 0
                                        ; implicit-def: $sgpr36
	s_set_inst_prefetch_distance 0x1
	s_branch .LBB1585_184
	.p2align	6
.LBB1585_182:                           ;   in Loop: Header=BB1585_184 Depth=1
	global_load_b32 v39, v[37:38], off
	global_load_b32 v40, v[35:36], off
	v_add_co_u32 v35, vcc_lo, v35, 4
	v_add_co_ci_u32_e32 v36, vcc_lo, 0, v36, vcc_lo
	v_add_co_u32 v37, s0, v37, 4
	s_delay_alu instid0(VALU_DEP_1)
	v_add_co_ci_u32_e64 v38, s0, 0, v38, s0
	s_add_u32 s6, s6, 1
	s_addc_u32 s7, s7, 0
	s_and_not1_b32 s0, s36, exec_lo
	s_waitcnt vmcnt(0)
	v_cmp_ne_u32_e32 vcc_lo, v39, v40
	s_and_b32 s36, vcc_lo, exec_lo
	s_delay_alu instid0(SALU_CYCLE_1)
	s_or_b32 s36, s0, s36
.LBB1585_183:                           ;   in Loop: Header=BB1585_184 Depth=1
	v_dual_mov_b32 v40, s7 :: v_dual_mov_b32 v39, s6
	s_and_b32 s0, exec_lo, s36
	s_delay_alu instid0(SALU_CYCLE_1) | instskip(NEXT) | instid1(SALU_CYCLE_1)
	s_or_b32 s35, s0, s35
	s_and_not1_b32 exec_lo, exec_lo, s35
	s_cbranch_execz .LBB1585_186
.LBB1585_184:                           ; =>This Inner Loop Header: Depth=1
	s_or_b32 s36, s36, exec_lo
	s_cmp_eq_u64 s[4:5], s[6:7]
	s_cbranch_scc0 .LBB1585_182
; %bb.185:                              ;   in Loop: Header=BB1585_184 Depth=1
	s_mov_b64 s[6:7], s[14:15]
                                        ; implicit-def: $vgpr35_vgpr36
                                        ; implicit-def: $vgpr37_vgpr38
	s_branch .LBB1585_183
.LBB1585_186:
	s_set_inst_prefetch_distance 0x2
	s_or_b32 exec_lo, exec_lo, s35
	v_cmp_gt_i64_e32 vcc_lo, s[14:15], v[39:40]
	s_or_not1_b32 s0, vcc_lo, exec_lo
.LBB1585_187:
	s_or_b32 exec_lo, exec_lo, s27
.LBB1585_188:
	s_delay_alu instid0(SALU_CYCLE_1)
	s_and_b32 s27, s0, exec_lo
.LBB1585_189:
	s_or_b32 exec_lo, exec_lo, s34
	v_or_b32_e32 v35, 1, v55
	s_mov_b32 s0, 0
	s_mov_b32 s34, exec_lo
	s_delay_alu instid0(VALU_DEP_1)
	v_cmpx_gt_u32_e64 s31, v35
	s_cbranch_execz .LBB1585_200
; %bb.190:
	v_cmp_ne_u32_e32 vcc_lo, 1, v43
	s_cbranch_vccnz .LBB1585_199
; %bb.191:
	v_mul_lo_u32 v39, v30, s14
	v_mul_lo_u32 v40, v29, s15
	v_mad_u64_u32 v[35:36], null, v29, s14, 0
	v_mul_lo_u32 v41, v32, s14
	v_mul_lo_u32 v42, v31, s15
	s_waitcnt lgkmcnt(0)
	v_mad_u64_u32 v[37:38], null, v31, s14, 0
	s_mov_b32 s0, -1
	s_mov_b32 s35, exec_lo
	s_delay_alu instid0(VALU_DEP_4) | instskip(NEXT) | instid1(VALU_DEP_2)
	v_add3_u32 v36, v36, v40, v39
	v_add3_u32 v38, v38, v42, v41
	s_delay_alu instid0(VALU_DEP_2) | instskip(NEXT) | instid1(VALU_DEP_2)
	v_lshlrev_b64 v[35:36], 2, v[35:36]
	v_lshlrev_b64 v[39:40], 2, v[37:38]
	s_delay_alu instid0(VALU_DEP_2) | instskip(NEXT) | instid1(VALU_DEP_3)
	v_add_co_u32 v37, vcc_lo, s20, v35
	v_add_co_ci_u32_e32 v38, vcc_lo, s21, v36, vcc_lo
	s_delay_alu instid0(VALU_DEP_3) | instskip(NEXT) | instid1(VALU_DEP_4)
	v_add_co_u32 v35, vcc_lo, s20, v39
	v_add_co_ci_u32_e32 v36, vcc_lo, s21, v40, vcc_lo
	s_clause 0x1
	global_load_b32 v39, v[37:38], off
	global_load_b32 v40, v[35:36], off
	s_waitcnt vmcnt(0)
	v_cmpx_eq_u32_e64 v39, v40
	s_cbranch_execz .LBB1585_198
; %bb.192:
	v_add_co_u32 v35, vcc_lo, v35, 4
	v_add_co_ci_u32_e32 v36, vcc_lo, 0, v36, vcc_lo
	v_add_co_u32 v37, vcc_lo, v37, 4
	v_add_co_ci_u32_e32 v38, vcc_lo, 0, v38, vcc_lo
	s_add_u32 s4, s14, -1
	s_addc_u32 s5, s15, -1
	s_mov_b64 s[6:7], 0
	s_mov_b32 s36, 0
                                        ; implicit-def: $sgpr37
	s_set_inst_prefetch_distance 0x1
	s_branch .LBB1585_195
	.p2align	6
.LBB1585_193:                           ;   in Loop: Header=BB1585_195 Depth=1
	global_load_b32 v39, v[37:38], off
	global_load_b32 v40, v[35:36], off
	v_add_co_u32 v35, vcc_lo, v35, 4
	v_add_co_ci_u32_e32 v36, vcc_lo, 0, v36, vcc_lo
	v_add_co_u32 v37, s0, v37, 4
	s_delay_alu instid0(VALU_DEP_1)
	v_add_co_ci_u32_e64 v38, s0, 0, v38, s0
	s_add_u32 s6, s6, 1
	s_addc_u32 s7, s7, 0
	s_and_not1_b32 s0, s37, exec_lo
	s_waitcnt vmcnt(0)
	v_cmp_ne_u32_e32 vcc_lo, v39, v40
	s_and_b32 s37, vcc_lo, exec_lo
	s_delay_alu instid0(SALU_CYCLE_1)
	s_or_b32 s37, s0, s37
.LBB1585_194:                           ;   in Loop: Header=BB1585_195 Depth=1
	v_dual_mov_b32 v40, s7 :: v_dual_mov_b32 v39, s6
	s_and_b32 s0, exec_lo, s37
	s_delay_alu instid0(SALU_CYCLE_1) | instskip(NEXT) | instid1(SALU_CYCLE_1)
	s_or_b32 s36, s0, s36
	s_and_not1_b32 exec_lo, exec_lo, s36
	s_cbranch_execz .LBB1585_197
.LBB1585_195:                           ; =>This Inner Loop Header: Depth=1
	s_or_b32 s37, s37, exec_lo
	s_cmp_eq_u64 s[4:5], s[6:7]
	s_cbranch_scc0 .LBB1585_193
; %bb.196:                              ;   in Loop: Header=BB1585_195 Depth=1
	s_mov_b64 s[6:7], s[14:15]
                                        ; implicit-def: $vgpr35_vgpr36
                                        ; implicit-def: $vgpr37_vgpr38
	s_branch .LBB1585_194
.LBB1585_197:
	s_set_inst_prefetch_distance 0x2
	s_or_b32 exec_lo, exec_lo, s36
	v_cmp_gt_i64_e32 vcc_lo, s[14:15], v[39:40]
	s_or_not1_b32 s0, vcc_lo, exec_lo
.LBB1585_198:
	s_or_b32 exec_lo, exec_lo, s35
.LBB1585_199:
	s_delay_alu instid0(SALU_CYCLE_1)
	s_and_b32 s0, s0, exec_lo
.LBB1585_200:
	s_or_b32 exec_lo, exec_lo, s34
	s_waitcnt vmcnt(0) lgkmcnt(0)
	s_barrier
	buffer_gl0_inv
	s_and_saveexec_b32 s4, s3
	s_cbranch_execz .LBB1585_202
; %bb.201:
	v_add_nc_u32_e32 v33, -8, v55
	ds_load_b64 v[33:34], v33
.LBB1585_202:
	s_or_b32 exec_lo, exec_lo, s4
	v_cndmask_b32_e64 v36, 0, 1, s26
	v_cndmask_b32_e64 v38, 0, 1, s13
	;; [unrolled: 1-line block ×7, first 2 shown]
	v_lshlrev_b16 v36, 8, v36
	v_lshlrev_b16 v38, 8, v38
	;; [unrolled: 1-line block ×3, first 2 shown]
	s_mov_b32 s0, 0
	v_lshlrev_b16 v41, 8, v41
	v_or_b32_e32 v35, v35, v36
	v_or_b32_e32 v36, v37, v38
	;; [unrolled: 1-line block ×3, first 2 shown]
	s_mov_b32 s1, exec_lo
	v_and_b32_e32 v39, 0xffff, v41
	v_lshlrev_b32_e32 v40, 16, v35
	v_and_b32_e32 v41, 0xffff, v36
	v_lshlrev_b32_e32 v42, 16, v37
	v_cmpx_gt_u32_e64 s31, v55
	s_cbranch_execz .LBB1585_213
; %bb.203:
	v_cmp_ne_u32_e32 vcc_lo, 1, v43
	s_cbranch_vccnz .LBB1585_212
; %bb.204:
	s_waitcnt lgkmcnt(0)
	v_mul_lo_u32 v38, v34, s14
	v_mul_lo_u32 v43, v33, s15
	v_mad_u64_u32 v[34:35], null, v33, s14, 0
	v_mul_lo_u32 v33, v30, s14
	v_mul_lo_u32 v44, v29, s15
	v_mad_u64_u32 v[36:37], null, v29, s14, 0
	s_mov_b32 s0, -1
	s_mov_b32 s13, exec_lo
	s_delay_alu instid0(VALU_DEP_4) | instskip(NEXT) | instid1(VALU_DEP_2)
	v_add3_u32 v35, v35, v43, v38
	v_add3_u32 v37, v37, v44, v33
	s_delay_alu instid0(VALU_DEP_2) | instskip(NEXT) | instid1(VALU_DEP_2)
	v_lshlrev_b64 v[33:34], 2, v[34:35]
	v_lshlrev_b64 v[37:38], 2, v[36:37]
	s_delay_alu instid0(VALU_DEP_2) | instskip(NEXT) | instid1(VALU_DEP_3)
	v_add_co_u32 v35, vcc_lo, s20, v33
	v_add_co_ci_u32_e32 v36, vcc_lo, s21, v34, vcc_lo
	s_delay_alu instid0(VALU_DEP_3) | instskip(NEXT) | instid1(VALU_DEP_4)
	v_add_co_u32 v33, vcc_lo, s20, v37
	v_add_co_ci_u32_e32 v34, vcc_lo, s21, v38, vcc_lo
	s_clause 0x1
	global_load_b32 v37, v[35:36], off
	global_load_b32 v38, v[33:34], off
	s_waitcnt vmcnt(0)
	v_cmpx_eq_u32_e64 v37, v38
	s_cbranch_execz .LBB1585_211
; %bb.205:
	v_add_co_u32 v33, vcc_lo, v33, 4
	v_add_co_ci_u32_e32 v34, vcc_lo, 0, v34, vcc_lo
	v_add_co_u32 v35, vcc_lo, v35, 4
	v_add_co_ci_u32_e32 v36, vcc_lo, 0, v36, vcc_lo
	s_add_u32 s4, s14, -1
	s_addc_u32 s5, s15, -1
	s_mov_b64 s[6:7], 0
	s_mov_b32 s24, 0
                                        ; implicit-def: $sgpr25
	s_set_inst_prefetch_distance 0x1
	s_branch .LBB1585_208
	.p2align	6
.LBB1585_206:                           ;   in Loop: Header=BB1585_208 Depth=1
	global_load_b32 v37, v[35:36], off
	global_load_b32 v38, v[33:34], off
	v_add_co_u32 v33, vcc_lo, v33, 4
	v_add_co_ci_u32_e32 v34, vcc_lo, 0, v34, vcc_lo
	v_add_co_u32 v35, s0, v35, 4
	s_delay_alu instid0(VALU_DEP_1)
	v_add_co_ci_u32_e64 v36, s0, 0, v36, s0
	s_add_u32 s6, s6, 1
	s_addc_u32 s7, s7, 0
	s_and_not1_b32 s0, s25, exec_lo
	s_waitcnt vmcnt(0)
	v_cmp_ne_u32_e32 vcc_lo, v37, v38
	s_and_b32 s25, vcc_lo, exec_lo
	s_delay_alu instid0(SALU_CYCLE_1)
	s_or_b32 s25, s0, s25
.LBB1585_207:                           ;   in Loop: Header=BB1585_208 Depth=1
	v_dual_mov_b32 v38, s7 :: v_dual_mov_b32 v37, s6
	s_and_b32 s0, exec_lo, s25
	s_delay_alu instid0(SALU_CYCLE_1) | instskip(NEXT) | instid1(SALU_CYCLE_1)
	s_or_b32 s24, s0, s24
	s_and_not1_b32 exec_lo, exec_lo, s24
	s_cbranch_execz .LBB1585_210
.LBB1585_208:                           ; =>This Inner Loop Header: Depth=1
	s_or_b32 s25, s25, exec_lo
	s_cmp_eq_u64 s[4:5], s[6:7]
	s_cbranch_scc0 .LBB1585_206
; %bb.209:                              ;   in Loop: Header=BB1585_208 Depth=1
	s_mov_b64 s[6:7], s[14:15]
                                        ; implicit-def: $vgpr33_vgpr34
                                        ; implicit-def: $vgpr35_vgpr36
	s_branch .LBB1585_207
.LBB1585_210:
	s_set_inst_prefetch_distance 0x2
	s_or_b32 exec_lo, exec_lo, s24
	v_cmp_gt_i64_e32 vcc_lo, s[14:15], v[37:38]
	s_or_not1_b32 s0, vcc_lo, exec_lo
.LBB1585_211:
	s_or_b32 exec_lo, exec_lo, s13
.LBB1585_212:
	s_delay_alu instid0(SALU_CYCLE_1)
	s_and_b32 s0, s0, exec_lo
.LBB1585_213:
	s_or_b32 exec_lo, exec_lo, s1
	v_or_b32_e32 v35, v39, v40
	v_or_b32_e32 v36, v41, v42
.LBB1585_214:
	s_mov_b32 s1, -1
	s_cbranch_execnz .LBB1585_383
.LBB1585_215:
	v_cmp_gt_i64_e64 s13, s[14:15], 0
	s_and_b32 vcc_lo, exec_lo, s29
	ds_store_b64 v55, v[19:20]
	s_cbranch_vccz .LBB1585_223
; %bb.216:
	v_mul_lo_u32 v35, v18, s14
	v_mul_lo_u32 v36, v17, s15
	s_waitcnt vmcnt(0) lgkmcnt(1)
	v_mad_u64_u32 v[33:34], null, v17, s14, 0
	s_mov_b32 s24, 0
	s_and_not1_b32 vcc_lo, exec_lo, s13
	s_mov_b32 s25, 0
	s_delay_alu instid0(VALU_DEP_1) | instskip(NEXT) | instid1(VALU_DEP_1)
	v_add3_u32 v34, v34, v36, v35
	v_lshlrev_b64 v[33:34], 2, v[33:34]
	s_cbranch_vccnz .LBB1585_226
; %bb.217:
	v_mul_lo_u32 v37, v20, s14
	v_mul_lo_u32 v38, v19, s15
	v_mad_u64_u32 v[35:36], null, v19, s14, 0
	s_mov_b32 s25, -1
	s_mov_b32 s26, exec_lo
	s_delay_alu instid0(VALU_DEP_1) | instskip(SKIP_2) | instid1(VALU_DEP_3)
	v_add3_u32 v36, v36, v38, v37
	v_add_co_u32 v37, vcc_lo, s20, v33
	v_add_co_ci_u32_e32 v38, vcc_lo, s21, v34, vcc_lo
	v_lshlrev_b64 v[35:36], 2, v[35:36]
	s_delay_alu instid0(VALU_DEP_1) | instskip(NEXT) | instid1(VALU_DEP_2)
	v_add_co_u32 v35, vcc_lo, s20, v35
	v_add_co_ci_u32_e32 v36, vcc_lo, s21, v36, vcc_lo
	s_clause 0x1
	global_load_b32 v39, v[37:38], off
	global_load_b32 v40, v[35:36], off
	s_waitcnt vmcnt(0)
	v_cmpx_eq_u32_e64 v39, v40
	s_cbranch_execz .LBB1585_225
; %bb.218:
	v_add_co_u32 v35, vcc_lo, v35, 4
	v_add_co_ci_u32_e32 v36, vcc_lo, 0, v36, vcc_lo
	v_add_co_u32 v37, vcc_lo, v37, 4
	v_add_co_ci_u32_e32 v38, vcc_lo, 0, v38, vcc_lo
	s_add_u32 s4, s14, -1
	s_addc_u32 s5, s15, -1
	s_mov_b64 s[6:7], 0
	s_mov_b32 s25, 0
                                        ; implicit-def: $sgpr27
	s_set_inst_prefetch_distance 0x1
	s_branch .LBB1585_221
	.p2align	6
.LBB1585_219:                           ;   in Loop: Header=BB1585_221 Depth=1
	global_load_b32 v39, v[37:38], off
	global_load_b32 v40, v[35:36], off
	v_add_co_u32 v35, vcc_lo, v35, 4
	v_add_co_ci_u32_e32 v36, vcc_lo, 0, v36, vcc_lo
	v_add_co_u32 v37, s0, v37, 4
	s_delay_alu instid0(VALU_DEP_1)
	v_add_co_ci_u32_e64 v38, s0, 0, v38, s0
	s_add_u32 s6, s6, 1
	s_addc_u32 s7, s7, 0
	s_and_not1_b32 s0, s27, exec_lo
	s_waitcnt vmcnt(0)
	v_cmp_ne_u32_e32 vcc_lo, v39, v40
	s_and_b32 s27, vcc_lo, exec_lo
	s_delay_alu instid0(SALU_CYCLE_1)
	s_or_b32 s27, s0, s27
.LBB1585_220:                           ;   in Loop: Header=BB1585_221 Depth=1
	v_dual_mov_b32 v40, s7 :: v_dual_mov_b32 v39, s6
	s_and_b32 s0, exec_lo, s27
	s_delay_alu instid0(SALU_CYCLE_1) | instskip(NEXT) | instid1(SALU_CYCLE_1)
	s_or_b32 s25, s0, s25
	s_and_not1_b32 exec_lo, exec_lo, s25
	s_cbranch_execz .LBB1585_224
.LBB1585_221:                           ; =>This Inner Loop Header: Depth=1
	s_or_b32 s27, s27, exec_lo
	s_cmp_eq_u64 s[4:5], s[6:7]
	s_cbranch_scc0 .LBB1585_219
; %bb.222:                              ;   in Loop: Header=BB1585_221 Depth=1
	s_mov_b64 s[6:7], s[14:15]
                                        ; implicit-def: $vgpr35_vgpr36
                                        ; implicit-def: $vgpr37_vgpr38
	s_branch .LBB1585_220
.LBB1585_223:
                                        ; implicit-def: $sgpr0
                                        ; implicit-def: $vgpr36
	s_cbranch_execnz .LBB1585_292
	s_branch .LBB1585_383
.LBB1585_224:
	s_set_inst_prefetch_distance 0x2
	s_or_b32 exec_lo, exec_lo, s25
	v_cmp_gt_i64_e32 vcc_lo, s[14:15], v[39:40]
	s_or_not1_b32 s25, vcc_lo, exec_lo
.LBB1585_225:
	s_or_b32 exec_lo, exec_lo, s26
.LBB1585_226:
	v_mul_lo_u32 v37, v24, s14
	v_mul_lo_u32 v38, v23, s15
	v_mad_u64_u32 v[35:36], null, v23, s14, 0
	s_and_not1_b32 vcc_lo, exec_lo, s13
	s_delay_alu instid0(VALU_DEP_1) | instskip(NEXT) | instid1(VALU_DEP_1)
	v_add3_u32 v36, v36, v38, v37
	v_lshlrev_b64 v[35:36], 2, v[35:36]
	s_cbranch_vccnz .LBB1585_235
; %bb.227:
	s_delay_alu instid0(VALU_DEP_1) | instskip(NEXT) | instid1(VALU_DEP_2)
	v_add_co_u32 v37, vcc_lo, s20, v35
	v_add_co_ci_u32_e32 v38, vcc_lo, s21, v36, vcc_lo
	v_add_co_u32 v33, vcc_lo, s20, v33
	v_add_co_ci_u32_e32 v34, vcc_lo, s21, v34, vcc_lo
	s_mov_b32 s24, -1
	s_clause 0x1
	global_load_b32 v39, v[37:38], off
	global_load_b32 v40, v[33:34], off
	s_mov_b32 s26, exec_lo
	s_waitcnt vmcnt(0)
	v_cmpx_eq_u32_e64 v39, v40
	s_cbranch_execz .LBB1585_234
; %bb.228:
	v_add_co_u32 v33, vcc_lo, v33, 4
	v_add_co_ci_u32_e32 v34, vcc_lo, 0, v34, vcc_lo
	v_add_co_u32 v37, vcc_lo, v37, 4
	v_add_co_ci_u32_e32 v38, vcc_lo, 0, v38, vcc_lo
	s_add_u32 s4, s14, -1
	s_addc_u32 s5, s15, -1
	s_mov_b64 s[6:7], 0
	s_mov_b32 s24, 0
                                        ; implicit-def: $sgpr27
	s_set_inst_prefetch_distance 0x1
	s_branch .LBB1585_231
	.p2align	6
.LBB1585_229:                           ;   in Loop: Header=BB1585_231 Depth=1
	global_load_b32 v39, v[37:38], off
	global_load_b32 v40, v[33:34], off
	v_add_co_u32 v33, vcc_lo, v33, 4
	v_add_co_ci_u32_e32 v34, vcc_lo, 0, v34, vcc_lo
	v_add_co_u32 v37, s0, v37, 4
	s_delay_alu instid0(VALU_DEP_1)
	v_add_co_ci_u32_e64 v38, s0, 0, v38, s0
	s_add_u32 s6, s6, 1
	s_addc_u32 s7, s7, 0
	s_and_not1_b32 s0, s27, exec_lo
	s_waitcnt vmcnt(0)
	v_cmp_ne_u32_e32 vcc_lo, v39, v40
	s_and_b32 s27, vcc_lo, exec_lo
	s_delay_alu instid0(SALU_CYCLE_1)
	s_or_b32 s27, s0, s27
.LBB1585_230:                           ;   in Loop: Header=BB1585_231 Depth=1
	v_dual_mov_b32 v40, s7 :: v_dual_mov_b32 v39, s6
	s_and_b32 s0, exec_lo, s27
	s_delay_alu instid0(SALU_CYCLE_1) | instskip(NEXT) | instid1(SALU_CYCLE_1)
	s_or_b32 s24, s0, s24
	s_and_not1_b32 exec_lo, exec_lo, s24
	s_cbranch_execz .LBB1585_233
.LBB1585_231:                           ; =>This Inner Loop Header: Depth=1
	s_or_b32 s27, s27, exec_lo
	s_cmp_eq_u64 s[4:5], s[6:7]
	s_cbranch_scc0 .LBB1585_229
; %bb.232:                              ;   in Loop: Header=BB1585_231 Depth=1
	s_mov_b64 s[6:7], s[14:15]
                                        ; implicit-def: $vgpr33_vgpr34
                                        ; implicit-def: $vgpr37_vgpr38
	s_branch .LBB1585_230
.LBB1585_233:
	s_set_inst_prefetch_distance 0x2
	s_or_b32 exec_lo, exec_lo, s24
	v_cmp_gt_i64_e32 vcc_lo, s[14:15], v[39:40]
	s_or_not1_b32 s24, vcc_lo, exec_lo
.LBB1585_234:
	s_or_b32 exec_lo, exec_lo, s26
.LBB1585_235:
	v_mul_lo_u32 v37, v22, s14
	v_mul_lo_u32 v38, v21, s15
	v_mad_u64_u32 v[33:34], null, v21, s14, 0
	s_mov_b32 s26, 0
	s_and_not1_b32 vcc_lo, exec_lo, s13
	s_mov_b32 s27, 0
	s_delay_alu instid0(VALU_DEP_1) | instskip(NEXT) | instid1(VALU_DEP_1)
	v_add3_u32 v34, v34, v38, v37
	v_lshlrev_b64 v[37:38], 2, v[33:34]
	s_cbranch_vccnz .LBB1585_244
; %bb.236:
	s_delay_alu instid0(VALU_DEP_1) | instskip(NEXT) | instid1(VALU_DEP_2)
	v_add_co_u32 v39, vcc_lo, s20, v37
	v_add_co_ci_u32_e32 v40, vcc_lo, s21, v38, vcc_lo
	v_add_co_u32 v33, vcc_lo, s20, v35
	v_add_co_ci_u32_e32 v34, vcc_lo, s21, v36, vcc_lo
	s_mov_b32 s27, -1
	s_clause 0x1
	global_load_b32 v35, v[39:40], off
	global_load_b32 v36, v[33:34], off
	s_mov_b32 s34, exec_lo
	s_waitcnt vmcnt(0)
	v_cmpx_eq_u32_e64 v35, v36
	s_cbranch_execz .LBB1585_243
; %bb.237:
	v_add_co_u32 v33, vcc_lo, v33, 4
	v_add_co_ci_u32_e32 v34, vcc_lo, 0, v34, vcc_lo
	v_add_co_u32 v35, vcc_lo, v39, 4
	v_add_co_ci_u32_e32 v36, vcc_lo, 0, v40, vcc_lo
	s_add_u32 s4, s14, -1
	s_addc_u32 s5, s15, -1
	s_mov_b64 s[6:7], 0
	s_mov_b32 s27, 0
                                        ; implicit-def: $sgpr35
	s_set_inst_prefetch_distance 0x1
	s_branch .LBB1585_240
	.p2align	6
.LBB1585_238:                           ;   in Loop: Header=BB1585_240 Depth=1
	global_load_b32 v39, v[35:36], off
	global_load_b32 v40, v[33:34], off
	v_add_co_u32 v33, vcc_lo, v33, 4
	v_add_co_ci_u32_e32 v34, vcc_lo, 0, v34, vcc_lo
	v_add_co_u32 v35, s0, v35, 4
	s_delay_alu instid0(VALU_DEP_1)
	v_add_co_ci_u32_e64 v36, s0, 0, v36, s0
	s_add_u32 s6, s6, 1
	s_addc_u32 s7, s7, 0
	s_and_not1_b32 s0, s35, exec_lo
	s_waitcnt vmcnt(0)
	v_cmp_ne_u32_e32 vcc_lo, v39, v40
	s_and_b32 s35, vcc_lo, exec_lo
	s_delay_alu instid0(SALU_CYCLE_1)
	s_or_b32 s35, s0, s35
.LBB1585_239:                           ;   in Loop: Header=BB1585_240 Depth=1
	v_dual_mov_b32 v40, s7 :: v_dual_mov_b32 v39, s6
	s_and_b32 s0, exec_lo, s35
	s_delay_alu instid0(SALU_CYCLE_1) | instskip(NEXT) | instid1(SALU_CYCLE_1)
	s_or_b32 s27, s0, s27
	s_and_not1_b32 exec_lo, exec_lo, s27
	s_cbranch_execz .LBB1585_242
.LBB1585_240:                           ; =>This Inner Loop Header: Depth=1
	s_or_b32 s35, s35, exec_lo
	s_cmp_eq_u64 s[4:5], s[6:7]
	s_cbranch_scc0 .LBB1585_238
; %bb.241:                              ;   in Loop: Header=BB1585_240 Depth=1
	s_mov_b64 s[6:7], s[14:15]
                                        ; implicit-def: $vgpr33_vgpr34
                                        ; implicit-def: $vgpr35_vgpr36
	s_branch .LBB1585_239
.LBB1585_242:
	s_set_inst_prefetch_distance 0x2
	s_or_b32 exec_lo, exec_lo, s27
	v_cmp_gt_i64_e32 vcc_lo, s[14:15], v[39:40]
	s_or_not1_b32 s27, vcc_lo, exec_lo
.LBB1585_243:
	s_or_b32 exec_lo, exec_lo, s34
.LBB1585_244:
	v_mul_lo_u32 v35, v28, s14
	v_mul_lo_u32 v36, v27, s15
	v_mad_u64_u32 v[33:34], null, v27, s14, 0
	s_and_not1_b32 vcc_lo, exec_lo, s13
	s_delay_alu instid0(VALU_DEP_1) | instskip(NEXT) | instid1(VALU_DEP_1)
	v_add3_u32 v34, v34, v36, v35
	v_lshlrev_b64 v[33:34], 2, v[33:34]
	s_cbranch_vccnz .LBB1585_253
; %bb.245:
	s_delay_alu instid0(VALU_DEP_1) | instskip(NEXT) | instid1(VALU_DEP_2)
	v_add_co_u32 v39, vcc_lo, s20, v33
	v_add_co_ci_u32_e32 v40, vcc_lo, s21, v34, vcc_lo
	v_add_co_u32 v35, vcc_lo, s20, v37
	v_add_co_ci_u32_e32 v36, vcc_lo, s21, v38, vcc_lo
	s_mov_b32 s26, -1
	s_clause 0x1
	global_load_b32 v37, v[39:40], off
	global_load_b32 v38, v[35:36], off
	s_mov_b32 s34, exec_lo
	s_waitcnt vmcnt(0)
	v_cmpx_eq_u32_e64 v37, v38
	s_cbranch_execz .LBB1585_252
; %bb.246:
	v_add_co_u32 v35, vcc_lo, v35, 4
	v_add_co_ci_u32_e32 v36, vcc_lo, 0, v36, vcc_lo
	v_add_co_u32 v37, vcc_lo, v39, 4
	v_add_co_ci_u32_e32 v38, vcc_lo, 0, v40, vcc_lo
	s_add_u32 s4, s14, -1
	s_addc_u32 s5, s15, -1
	s_mov_b64 s[6:7], 0
	s_mov_b32 s26, 0
                                        ; implicit-def: $sgpr35
	s_set_inst_prefetch_distance 0x1
	s_branch .LBB1585_249
	.p2align	6
.LBB1585_247:                           ;   in Loop: Header=BB1585_249 Depth=1
	global_load_b32 v39, v[37:38], off
	global_load_b32 v40, v[35:36], off
	v_add_co_u32 v35, vcc_lo, v35, 4
	v_add_co_ci_u32_e32 v36, vcc_lo, 0, v36, vcc_lo
	v_add_co_u32 v37, s0, v37, 4
	s_delay_alu instid0(VALU_DEP_1)
	v_add_co_ci_u32_e64 v38, s0, 0, v38, s0
	s_add_u32 s6, s6, 1
	s_addc_u32 s7, s7, 0
	s_and_not1_b32 s0, s35, exec_lo
	s_waitcnt vmcnt(0)
	v_cmp_ne_u32_e32 vcc_lo, v39, v40
	s_and_b32 s35, vcc_lo, exec_lo
	s_delay_alu instid0(SALU_CYCLE_1)
	s_or_b32 s35, s0, s35
.LBB1585_248:                           ;   in Loop: Header=BB1585_249 Depth=1
	v_dual_mov_b32 v40, s7 :: v_dual_mov_b32 v39, s6
	s_and_b32 s0, exec_lo, s35
	s_delay_alu instid0(SALU_CYCLE_1) | instskip(NEXT) | instid1(SALU_CYCLE_1)
	s_or_b32 s26, s0, s26
	s_and_not1_b32 exec_lo, exec_lo, s26
	s_cbranch_execz .LBB1585_251
.LBB1585_249:                           ; =>This Inner Loop Header: Depth=1
	s_or_b32 s35, s35, exec_lo
	s_cmp_eq_u64 s[4:5], s[6:7]
	s_cbranch_scc0 .LBB1585_247
; %bb.250:                              ;   in Loop: Header=BB1585_249 Depth=1
	s_mov_b64 s[6:7], s[14:15]
                                        ; implicit-def: $vgpr35_vgpr36
                                        ; implicit-def: $vgpr37_vgpr38
	s_branch .LBB1585_248
.LBB1585_251:
	s_set_inst_prefetch_distance 0x2
	s_or_b32 exec_lo, exec_lo, s26
	v_cmp_gt_i64_e32 vcc_lo, s[14:15], v[39:40]
	s_or_not1_b32 s26, vcc_lo, exec_lo
.LBB1585_252:
	s_or_b32 exec_lo, exec_lo, s34
.LBB1585_253:
	v_mul_lo_u32 v37, v26, s14
	v_mul_lo_u32 v38, v25, s15
	v_mad_u64_u32 v[35:36], null, v25, s14, 0
	s_mov_b32 s34, 0
	s_and_not1_b32 vcc_lo, exec_lo, s13
	s_mov_b32 s35, 0
	s_delay_alu instid0(VALU_DEP_1) | instskip(NEXT) | instid1(VALU_DEP_1)
	v_add3_u32 v36, v36, v38, v37
	v_lshlrev_b64 v[37:38], 2, v[35:36]
	s_cbranch_vccnz .LBB1585_262
; %bb.254:
	s_delay_alu instid0(VALU_DEP_1) | instskip(NEXT) | instid1(VALU_DEP_2)
	v_add_co_u32 v35, vcc_lo, s20, v37
	v_add_co_ci_u32_e32 v36, vcc_lo, s21, v38, vcc_lo
	v_add_co_u32 v33, vcc_lo, s20, v33
	v_add_co_ci_u32_e32 v34, vcc_lo, s21, v34, vcc_lo
	s_mov_b32 s35, -1
	s_clause 0x1
	global_load_b32 v39, v[35:36], off
	global_load_b32 v40, v[33:34], off
	s_mov_b32 s36, exec_lo
	s_waitcnt vmcnt(0)
	v_cmpx_eq_u32_e64 v39, v40
	s_cbranch_execz .LBB1585_261
; %bb.255:
	v_add_co_u32 v33, vcc_lo, v33, 4
	v_add_co_ci_u32_e32 v34, vcc_lo, 0, v34, vcc_lo
	v_add_co_u32 v35, vcc_lo, v35, 4
	v_add_co_ci_u32_e32 v36, vcc_lo, 0, v36, vcc_lo
	s_add_u32 s4, s14, -1
	s_addc_u32 s5, s15, -1
	s_mov_b64 s[6:7], 0
	s_mov_b32 s35, 0
                                        ; implicit-def: $sgpr37
	s_set_inst_prefetch_distance 0x1
	s_branch .LBB1585_258
	.p2align	6
.LBB1585_256:                           ;   in Loop: Header=BB1585_258 Depth=1
	global_load_b32 v39, v[35:36], off
	global_load_b32 v40, v[33:34], off
	v_add_co_u32 v33, vcc_lo, v33, 4
	v_add_co_ci_u32_e32 v34, vcc_lo, 0, v34, vcc_lo
	v_add_co_u32 v35, s0, v35, 4
	s_delay_alu instid0(VALU_DEP_1)
	v_add_co_ci_u32_e64 v36, s0, 0, v36, s0
	s_add_u32 s6, s6, 1
	s_addc_u32 s7, s7, 0
	s_and_not1_b32 s0, s37, exec_lo
	s_waitcnt vmcnt(0)
	v_cmp_ne_u32_e32 vcc_lo, v39, v40
	s_and_b32 s37, vcc_lo, exec_lo
	s_delay_alu instid0(SALU_CYCLE_1)
	s_or_b32 s37, s0, s37
.LBB1585_257:                           ;   in Loop: Header=BB1585_258 Depth=1
	v_dual_mov_b32 v40, s7 :: v_dual_mov_b32 v39, s6
	s_and_b32 s0, exec_lo, s37
	s_delay_alu instid0(SALU_CYCLE_1) | instskip(NEXT) | instid1(SALU_CYCLE_1)
	s_or_b32 s35, s0, s35
	s_and_not1_b32 exec_lo, exec_lo, s35
	s_cbranch_execz .LBB1585_260
.LBB1585_258:                           ; =>This Inner Loop Header: Depth=1
	s_or_b32 s37, s37, exec_lo
	s_cmp_eq_u64 s[4:5], s[6:7]
	s_cbranch_scc0 .LBB1585_256
; %bb.259:                              ;   in Loop: Header=BB1585_258 Depth=1
	s_mov_b64 s[6:7], s[14:15]
                                        ; implicit-def: $vgpr33_vgpr34
                                        ; implicit-def: $vgpr35_vgpr36
	s_branch .LBB1585_257
.LBB1585_260:
	s_set_inst_prefetch_distance 0x2
	s_or_b32 exec_lo, exec_lo, s35
	v_cmp_gt_i64_e32 vcc_lo, s[14:15], v[39:40]
	s_or_not1_b32 s35, vcc_lo, exec_lo
.LBB1585_261:
	s_or_b32 exec_lo, exec_lo, s36
.LBB1585_262:
	v_mul_lo_u32 v35, v32, s14
	v_mul_lo_u32 v36, v31, s15
	v_mad_u64_u32 v[33:34], null, v31, s14, 0
	s_and_not1_b32 vcc_lo, exec_lo, s13
	s_delay_alu instid0(VALU_DEP_1) | instskip(NEXT) | instid1(VALU_DEP_1)
	v_add3_u32 v34, v34, v36, v35
	v_lshlrev_b64 v[35:36], 2, v[33:34]
	s_cbranch_vccnz .LBB1585_271
; %bb.263:
	s_delay_alu instid0(VALU_DEP_1) | instskip(NEXT) | instid1(VALU_DEP_2)
	v_add_co_u32 v39, vcc_lo, s20, v35
	v_add_co_ci_u32_e32 v40, vcc_lo, s21, v36, vcc_lo
	v_add_co_u32 v33, vcc_lo, s20, v37
	v_add_co_ci_u32_e32 v34, vcc_lo, s21, v38, vcc_lo
	s_mov_b32 s34, -1
	s_clause 0x1
	global_load_b32 v37, v[39:40], off
	global_load_b32 v38, v[33:34], off
	s_mov_b32 s36, exec_lo
	s_waitcnt vmcnt(0)
	v_cmpx_eq_u32_e64 v37, v38
	s_cbranch_execz .LBB1585_270
; %bb.264:
	v_add_co_u32 v33, vcc_lo, v33, 4
	v_add_co_ci_u32_e32 v34, vcc_lo, 0, v34, vcc_lo
	v_add_co_u32 v37, vcc_lo, v39, 4
	v_add_co_ci_u32_e32 v38, vcc_lo, 0, v40, vcc_lo
	s_add_u32 s4, s14, -1
	s_addc_u32 s5, s15, -1
	s_mov_b64 s[6:7], 0
	s_mov_b32 s34, 0
                                        ; implicit-def: $sgpr37
	s_set_inst_prefetch_distance 0x1
	s_branch .LBB1585_267
	.p2align	6
.LBB1585_265:                           ;   in Loop: Header=BB1585_267 Depth=1
	global_load_b32 v39, v[37:38], off
	global_load_b32 v40, v[33:34], off
	v_add_co_u32 v33, vcc_lo, v33, 4
	v_add_co_ci_u32_e32 v34, vcc_lo, 0, v34, vcc_lo
	v_add_co_u32 v37, s0, v37, 4
	s_delay_alu instid0(VALU_DEP_1)
	v_add_co_ci_u32_e64 v38, s0, 0, v38, s0
	s_add_u32 s6, s6, 1
	s_addc_u32 s7, s7, 0
	s_and_not1_b32 s0, s37, exec_lo
	s_waitcnt vmcnt(0)
	v_cmp_ne_u32_e32 vcc_lo, v39, v40
	s_and_b32 s37, vcc_lo, exec_lo
	s_delay_alu instid0(SALU_CYCLE_1)
	s_or_b32 s37, s0, s37
.LBB1585_266:                           ;   in Loop: Header=BB1585_267 Depth=1
	v_dual_mov_b32 v40, s7 :: v_dual_mov_b32 v39, s6
	s_and_b32 s0, exec_lo, s37
	s_delay_alu instid0(SALU_CYCLE_1) | instskip(NEXT) | instid1(SALU_CYCLE_1)
	s_or_b32 s34, s0, s34
	s_and_not1_b32 exec_lo, exec_lo, s34
	s_cbranch_execz .LBB1585_269
.LBB1585_267:                           ; =>This Inner Loop Header: Depth=1
	s_or_b32 s37, s37, exec_lo
	s_cmp_eq_u64 s[4:5], s[6:7]
	s_cbranch_scc0 .LBB1585_265
; %bb.268:                              ;   in Loop: Header=BB1585_267 Depth=1
	s_mov_b64 s[6:7], s[14:15]
                                        ; implicit-def: $vgpr33_vgpr34
                                        ; implicit-def: $vgpr37_vgpr38
	s_branch .LBB1585_266
.LBB1585_269:
	s_set_inst_prefetch_distance 0x2
	s_or_b32 exec_lo, exec_lo, s34
	v_cmp_gt_i64_e32 vcc_lo, s[14:15], v[39:40]
	s_or_not1_b32 s34, vcc_lo, exec_lo
.LBB1585_270:
	s_or_b32 exec_lo, exec_lo, s36
.LBB1585_271:
	v_mul_lo_u32 v37, v30, s14
	v_mul_lo_u32 v38, v29, s15
	v_mad_u64_u32 v[33:34], null, v29, s14, 0
	s_and_not1_b32 vcc_lo, exec_lo, s13
	s_mov_b32 s0, 0
	s_delay_alu instid0(VALU_DEP_1)
	v_add3_u32 v34, v34, v38, v37
	s_cbranch_vccnz .LBB1585_280
; %bb.272:
	s_delay_alu instid0(VALU_DEP_1) | instskip(SKIP_2) | instid1(VALU_DEP_1)
	v_lshlrev_b64 v[37:38], 2, v[33:34]
	s_mov_b32 s0, -1
	s_mov_b32 s36, exec_lo
	v_add_co_u32 v37, vcc_lo, s20, v37
	s_delay_alu instid0(VALU_DEP_2)
	v_add_co_ci_u32_e32 v38, vcc_lo, s21, v38, vcc_lo
	v_add_co_u32 v35, vcc_lo, s20, v35
	v_add_co_ci_u32_e32 v36, vcc_lo, s21, v36, vcc_lo
	s_clause 0x1
	global_load_b32 v39, v[37:38], off
	global_load_b32 v40, v[35:36], off
	s_waitcnt vmcnt(0)
	v_cmpx_eq_u32_e64 v39, v40
	s_cbranch_execz .LBB1585_279
; %bb.273:
	v_add_co_u32 v35, vcc_lo, v35, 4
	v_add_co_ci_u32_e32 v36, vcc_lo, 0, v36, vcc_lo
	v_add_co_u32 v37, vcc_lo, v37, 4
	v_add_co_ci_u32_e32 v38, vcc_lo, 0, v38, vcc_lo
	s_add_u32 s4, s14, -1
	s_addc_u32 s5, s15, -1
	s_mov_b64 s[6:7], 0
	s_mov_b32 s37, 0
                                        ; implicit-def: $sgpr38
	s_set_inst_prefetch_distance 0x1
	s_branch .LBB1585_276
	.p2align	6
.LBB1585_274:                           ;   in Loop: Header=BB1585_276 Depth=1
	global_load_b32 v39, v[37:38], off
	global_load_b32 v40, v[35:36], off
	v_add_co_u32 v35, vcc_lo, v35, 4
	v_add_co_ci_u32_e32 v36, vcc_lo, 0, v36, vcc_lo
	v_add_co_u32 v37, s0, v37, 4
	s_delay_alu instid0(VALU_DEP_1)
	v_add_co_ci_u32_e64 v38, s0, 0, v38, s0
	s_add_u32 s6, s6, 1
	s_addc_u32 s7, s7, 0
	s_and_not1_b32 s0, s38, exec_lo
	s_waitcnt vmcnt(0)
	v_cmp_ne_u32_e32 vcc_lo, v39, v40
	s_and_b32 s38, vcc_lo, exec_lo
	s_delay_alu instid0(SALU_CYCLE_1)
	s_or_b32 s38, s0, s38
.LBB1585_275:                           ;   in Loop: Header=BB1585_276 Depth=1
	v_dual_mov_b32 v40, s7 :: v_dual_mov_b32 v39, s6
	s_and_b32 s0, exec_lo, s38
	s_delay_alu instid0(SALU_CYCLE_1) | instskip(NEXT) | instid1(SALU_CYCLE_1)
	s_or_b32 s37, s0, s37
	s_and_not1_b32 exec_lo, exec_lo, s37
	s_cbranch_execz .LBB1585_278
.LBB1585_276:                           ; =>This Inner Loop Header: Depth=1
	s_or_b32 s38, s38, exec_lo
	s_cmp_eq_u64 s[4:5], s[6:7]
	s_cbranch_scc0 .LBB1585_274
; %bb.277:                              ;   in Loop: Header=BB1585_276 Depth=1
	s_mov_b64 s[6:7], s[14:15]
                                        ; implicit-def: $vgpr35_vgpr36
                                        ; implicit-def: $vgpr37_vgpr38
	s_branch .LBB1585_275
.LBB1585_278:
	s_set_inst_prefetch_distance 0x2
	s_or_b32 exec_lo, exec_lo, s37
	v_cmp_gt_i64_e32 vcc_lo, s[14:15], v[39:40]
	s_or_not1_b32 s0, vcc_lo, exec_lo
.LBB1585_279:
	s_or_b32 exec_lo, exec_lo, s36
.LBB1585_280:
	v_cndmask_b32_e64 v36, 0, 1, s35
	v_cndmask_b32_e64 v37, 0, 1, s27
	;; [unrolled: 1-line block ×7, first 2 shown]
	v_lshlrev_b16 v37, 8, v37
	v_lshlrev_b16 v38, 8, v38
	;; [unrolled: 1-line block ×4, first 2 shown]
	s_waitcnt lgkmcnt(0)
	v_or_b32_e32 v37, v40, v37
	v_or_b32_e32 v38, v41, v38
	;; [unrolled: 1-line block ×4, first 2 shown]
	s_barrier
	v_and_b32_e32 v36, 0xffff, v37
	v_lshlrev_b32_e32 v37, 16, v38
	v_and_b32_e32 v38, 0xffff, v39
	v_lshlrev_b32_e32 v35, 16, v35
	buffer_gl0_inv
                                        ; implicit-def: $sgpr0
	v_or_b32_e32 v36, v36, v37
	v_or_b32_e32 v35, v38, v35
	s_and_saveexec_b32 s4, s3
	s_delay_alu instid0(SALU_CYCLE_1)
	s_xor_b32 s24, exec_lo, s4
	s_cbranch_execz .LBB1585_291
; %bb.281:
	s_and_not1_b32 vcc_lo, exec_lo, s13
	s_mov_b32 s0, 0
	s_cbranch_vccnz .LBB1585_290
; %bb.282:
	v_add_nc_u32_e32 v37, -8, v55
	v_lshlrev_b64 v[33:34], 2, v[33:34]
	s_mov_b32 s0, -1
	s_mov_b32 s25, exec_lo
	ds_load_b64 v[37:38], v37
	s_waitcnt lgkmcnt(0)
	v_mul_lo_u32 v40, v38, s14
	v_mul_lo_u32 v41, v37, s15
	v_mad_u64_u32 v[38:39], null, v37, s14, 0
	s_delay_alu instid0(VALU_DEP_1) | instskip(NEXT) | instid1(VALU_DEP_1)
	v_add3_u32 v39, v39, v41, v40
	v_lshlrev_b64 v[37:38], 2, v[38:39]
	s_delay_alu instid0(VALU_DEP_1) | instskip(NEXT) | instid1(VALU_DEP_2)
	v_add_co_u32 v37, vcc_lo, s20, v37
	v_add_co_ci_u32_e32 v38, vcc_lo, s21, v38, vcc_lo
	v_add_co_u32 v33, vcc_lo, s20, v33
	v_add_co_ci_u32_e32 v34, vcc_lo, s21, v34, vcc_lo
	s_clause 0x1
	global_load_b32 v39, v[37:38], off
	global_load_b32 v40, v[33:34], off
	s_waitcnt vmcnt(0)
	v_cmpx_eq_u32_e64 v39, v40
	s_cbranch_execz .LBB1585_289
; %bb.283:
	v_add_co_u32 v33, vcc_lo, v33, 4
	v_add_co_ci_u32_e32 v34, vcc_lo, 0, v34, vcc_lo
	v_add_co_u32 v37, vcc_lo, v37, 4
	v_add_co_ci_u32_e32 v38, vcc_lo, 0, v38, vcc_lo
	s_add_u32 s4, s14, -1
	s_addc_u32 s5, s15, -1
	s_mov_b64 s[6:7], 0
	s_mov_b32 s26, 0
                                        ; implicit-def: $sgpr27
	s_set_inst_prefetch_distance 0x1
	s_branch .LBB1585_286
	.p2align	6
.LBB1585_284:                           ;   in Loop: Header=BB1585_286 Depth=1
	global_load_b32 v39, v[37:38], off
	global_load_b32 v40, v[33:34], off
	v_add_co_u32 v33, vcc_lo, v33, 4
	v_add_co_ci_u32_e32 v34, vcc_lo, 0, v34, vcc_lo
	v_add_co_u32 v37, s0, v37, 4
	s_delay_alu instid0(VALU_DEP_1)
	v_add_co_ci_u32_e64 v38, s0, 0, v38, s0
	s_add_u32 s6, s6, 1
	s_addc_u32 s7, s7, 0
	s_and_not1_b32 s0, s27, exec_lo
	s_waitcnt vmcnt(0)
	v_cmp_ne_u32_e32 vcc_lo, v39, v40
	s_and_b32 s27, vcc_lo, exec_lo
	s_delay_alu instid0(SALU_CYCLE_1)
	s_or_b32 s27, s0, s27
.LBB1585_285:                           ;   in Loop: Header=BB1585_286 Depth=1
	v_dual_mov_b32 v40, s7 :: v_dual_mov_b32 v39, s6
	s_and_b32 s0, exec_lo, s27
	s_delay_alu instid0(SALU_CYCLE_1) | instskip(NEXT) | instid1(SALU_CYCLE_1)
	s_or_b32 s26, s0, s26
	s_and_not1_b32 exec_lo, exec_lo, s26
	s_cbranch_execz .LBB1585_288
.LBB1585_286:                           ; =>This Inner Loop Header: Depth=1
	s_or_b32 s27, s27, exec_lo
	s_cmp_eq_u64 s[4:5], s[6:7]
	s_cbranch_scc0 .LBB1585_284
; %bb.287:                              ;   in Loop: Header=BB1585_286 Depth=1
	s_mov_b64 s[6:7], s[14:15]
                                        ; implicit-def: $vgpr33_vgpr34
                                        ; implicit-def: $vgpr37_vgpr38
	s_branch .LBB1585_285
.LBB1585_288:
	s_set_inst_prefetch_distance 0x2
	s_or_b32 exec_lo, exec_lo, s26
	v_cmp_gt_i64_e32 vcc_lo, s[14:15], v[39:40]
	s_or_not1_b32 s0, vcc_lo, exec_lo
.LBB1585_289:
	s_or_b32 exec_lo, exec_lo, s25
.LBB1585_290:
	s_delay_alu instid0(SALU_CYCLE_1)
	s_and_b32 s0, s0, exec_lo
	s_or_b32 s1, s1, exec_lo
.LBB1585_291:
	s_or_b32 exec_lo, exec_lo, s24
	s_branch .LBB1585_383
.LBB1585_292:
	s_waitcnt vmcnt(0) lgkmcnt(1)
	v_or_b32_e32 v33, 7, v55
	s_mov_b32 s24, 0
	s_mov_b32 s25, 0
	s_mov_b32 s26, exec_lo
	s_delay_alu instid0(VALU_DEP_1)
	v_cmpx_gt_u32_e64 s31, v33
	s_cbranch_execz .LBB1585_303
; %bb.293:
	s_and_not1_b32 vcc_lo, exec_lo, s13
	s_mov_b32 s0, 0
	s_cbranch_vccnz .LBB1585_302
; %bb.294:
	v_mul_lo_u32 v37, v18, s14
	v_mul_lo_u32 v38, v17, s15
	v_mad_u64_u32 v[33:34], null, v17, s14, 0
	v_mul_lo_u32 v39, v20, s14
	v_mul_lo_u32 v40, v19, s15
	v_mad_u64_u32 v[35:36], null, v19, s14, 0
	s_mov_b32 s0, -1
	s_mov_b32 s25, exec_lo
	s_delay_alu instid0(VALU_DEP_4) | instskip(NEXT) | instid1(VALU_DEP_2)
	v_add3_u32 v34, v34, v38, v37
	v_add3_u32 v36, v36, v40, v39
	s_delay_alu instid0(VALU_DEP_2) | instskip(NEXT) | instid1(VALU_DEP_2)
	v_lshlrev_b64 v[33:34], 2, v[33:34]
	v_lshlrev_b64 v[37:38], 2, v[35:36]
	s_delay_alu instid0(VALU_DEP_2) | instskip(NEXT) | instid1(VALU_DEP_3)
	v_add_co_u32 v35, vcc_lo, s20, v33
	v_add_co_ci_u32_e32 v36, vcc_lo, s21, v34, vcc_lo
	s_delay_alu instid0(VALU_DEP_3) | instskip(NEXT) | instid1(VALU_DEP_4)
	v_add_co_u32 v33, vcc_lo, s20, v37
	v_add_co_ci_u32_e32 v34, vcc_lo, s21, v38, vcc_lo
	s_clause 0x1
	global_load_b32 v37, v[35:36], off
	global_load_b32 v38, v[33:34], off
	s_waitcnt vmcnt(0)
	v_cmpx_eq_u32_e64 v37, v38
	s_cbranch_execz .LBB1585_301
; %bb.295:
	v_add_co_u32 v33, vcc_lo, v33, 4
	v_add_co_ci_u32_e32 v34, vcc_lo, 0, v34, vcc_lo
	v_add_co_u32 v35, vcc_lo, v35, 4
	v_add_co_ci_u32_e32 v36, vcc_lo, 0, v36, vcc_lo
	s_add_u32 s4, s14, -1
	s_addc_u32 s5, s15, -1
	s_mov_b64 s[6:7], 0
	s_mov_b32 s27, 0
                                        ; implicit-def: $sgpr34
	s_set_inst_prefetch_distance 0x1
	s_branch .LBB1585_298
	.p2align	6
.LBB1585_296:                           ;   in Loop: Header=BB1585_298 Depth=1
	global_load_b32 v37, v[35:36], off
	global_load_b32 v38, v[33:34], off
	v_add_co_u32 v33, vcc_lo, v33, 4
	v_add_co_ci_u32_e32 v34, vcc_lo, 0, v34, vcc_lo
	v_add_co_u32 v35, s0, v35, 4
	s_delay_alu instid0(VALU_DEP_1)
	v_add_co_ci_u32_e64 v36, s0, 0, v36, s0
	s_add_u32 s6, s6, 1
	s_addc_u32 s7, s7, 0
	s_and_not1_b32 s0, s34, exec_lo
	s_waitcnt vmcnt(0)
	v_cmp_ne_u32_e32 vcc_lo, v37, v38
	s_and_b32 s34, vcc_lo, exec_lo
	s_delay_alu instid0(SALU_CYCLE_1)
	s_or_b32 s34, s0, s34
.LBB1585_297:                           ;   in Loop: Header=BB1585_298 Depth=1
	v_dual_mov_b32 v38, s7 :: v_dual_mov_b32 v37, s6
	s_and_b32 s0, exec_lo, s34
	s_delay_alu instid0(SALU_CYCLE_1) | instskip(NEXT) | instid1(SALU_CYCLE_1)
	s_or_b32 s27, s0, s27
	s_and_not1_b32 exec_lo, exec_lo, s27
	s_cbranch_execz .LBB1585_300
.LBB1585_298:                           ; =>This Inner Loop Header: Depth=1
	s_or_b32 s34, s34, exec_lo
	s_cmp_eq_u64 s[4:5], s[6:7]
	s_cbranch_scc0 .LBB1585_296
; %bb.299:                              ;   in Loop: Header=BB1585_298 Depth=1
	s_mov_b64 s[6:7], s[14:15]
                                        ; implicit-def: $vgpr33_vgpr34
                                        ; implicit-def: $vgpr35_vgpr36
	s_branch .LBB1585_297
.LBB1585_300:
	s_set_inst_prefetch_distance 0x2
	s_or_b32 exec_lo, exec_lo, s27
	v_cmp_gt_i64_e32 vcc_lo, s[14:15], v[37:38]
	s_or_not1_b32 s0, vcc_lo, exec_lo
.LBB1585_301:
	s_or_b32 exec_lo, exec_lo, s25
.LBB1585_302:
	s_delay_alu instid0(SALU_CYCLE_1)
	s_and_b32 s25, s0, exec_lo
.LBB1585_303:
	s_or_b32 exec_lo, exec_lo, s26
	v_or_b32_e32 v33, 6, v55
	s_mov_b32 s26, exec_lo
	s_delay_alu instid0(VALU_DEP_1)
	v_cmpx_gt_u32_e64 s31, v33
	s_cbranch_execz .LBB1585_314
; %bb.304:
	s_and_not1_b32 vcc_lo, exec_lo, s13
	s_mov_b32 s0, 0
	s_cbranch_vccnz .LBB1585_313
; %bb.305:
	v_mul_lo_u32 v37, v24, s14
	v_mul_lo_u32 v38, v23, s15
	v_mad_u64_u32 v[33:34], null, v23, s14, 0
	v_mul_lo_u32 v39, v18, s14
	v_mul_lo_u32 v40, v17, s15
	v_mad_u64_u32 v[35:36], null, v17, s14, 0
	s_mov_b32 s0, -1
	s_mov_b32 s24, exec_lo
	s_delay_alu instid0(VALU_DEP_4) | instskip(NEXT) | instid1(VALU_DEP_2)
	v_add3_u32 v34, v34, v38, v37
	v_add3_u32 v36, v36, v40, v39
	s_delay_alu instid0(VALU_DEP_2) | instskip(NEXT) | instid1(VALU_DEP_2)
	v_lshlrev_b64 v[33:34], 2, v[33:34]
	v_lshlrev_b64 v[37:38], 2, v[35:36]
	s_delay_alu instid0(VALU_DEP_2) | instskip(NEXT) | instid1(VALU_DEP_3)
	v_add_co_u32 v35, vcc_lo, s20, v33
	v_add_co_ci_u32_e32 v36, vcc_lo, s21, v34, vcc_lo
	s_delay_alu instid0(VALU_DEP_3) | instskip(NEXT) | instid1(VALU_DEP_4)
	v_add_co_u32 v33, vcc_lo, s20, v37
	v_add_co_ci_u32_e32 v34, vcc_lo, s21, v38, vcc_lo
	s_clause 0x1
	global_load_b32 v37, v[35:36], off
	global_load_b32 v38, v[33:34], off
	s_waitcnt vmcnt(0)
	v_cmpx_eq_u32_e64 v37, v38
	s_cbranch_execz .LBB1585_312
; %bb.306:
	v_add_co_u32 v33, vcc_lo, v33, 4
	v_add_co_ci_u32_e32 v34, vcc_lo, 0, v34, vcc_lo
	v_add_co_u32 v35, vcc_lo, v35, 4
	v_add_co_ci_u32_e32 v36, vcc_lo, 0, v36, vcc_lo
	s_add_u32 s4, s14, -1
	s_addc_u32 s5, s15, -1
	s_mov_b64 s[6:7], 0
	s_mov_b32 s27, 0
                                        ; implicit-def: $sgpr34
	s_set_inst_prefetch_distance 0x1
	s_branch .LBB1585_309
	.p2align	6
.LBB1585_307:                           ;   in Loop: Header=BB1585_309 Depth=1
	global_load_b32 v37, v[35:36], off
	global_load_b32 v38, v[33:34], off
	v_add_co_u32 v33, vcc_lo, v33, 4
	v_add_co_ci_u32_e32 v34, vcc_lo, 0, v34, vcc_lo
	v_add_co_u32 v35, s0, v35, 4
	s_delay_alu instid0(VALU_DEP_1)
	v_add_co_ci_u32_e64 v36, s0, 0, v36, s0
	s_add_u32 s6, s6, 1
	s_addc_u32 s7, s7, 0
	s_and_not1_b32 s0, s34, exec_lo
	s_waitcnt vmcnt(0)
	v_cmp_ne_u32_e32 vcc_lo, v37, v38
	s_and_b32 s34, vcc_lo, exec_lo
	s_delay_alu instid0(SALU_CYCLE_1)
	s_or_b32 s34, s0, s34
.LBB1585_308:                           ;   in Loop: Header=BB1585_309 Depth=1
	v_dual_mov_b32 v38, s7 :: v_dual_mov_b32 v37, s6
	s_and_b32 s0, exec_lo, s34
	s_delay_alu instid0(SALU_CYCLE_1) | instskip(NEXT) | instid1(SALU_CYCLE_1)
	s_or_b32 s27, s0, s27
	s_and_not1_b32 exec_lo, exec_lo, s27
	s_cbranch_execz .LBB1585_311
.LBB1585_309:                           ; =>This Inner Loop Header: Depth=1
	s_or_b32 s34, s34, exec_lo
	s_cmp_eq_u64 s[4:5], s[6:7]
	s_cbranch_scc0 .LBB1585_307
; %bb.310:                              ;   in Loop: Header=BB1585_309 Depth=1
	s_mov_b64 s[6:7], s[14:15]
                                        ; implicit-def: $vgpr33_vgpr34
                                        ; implicit-def: $vgpr35_vgpr36
	s_branch .LBB1585_308
.LBB1585_311:
	s_set_inst_prefetch_distance 0x2
	s_or_b32 exec_lo, exec_lo, s27
	v_cmp_gt_i64_e32 vcc_lo, s[14:15], v[37:38]
	s_or_not1_b32 s0, vcc_lo, exec_lo
.LBB1585_312:
	s_or_b32 exec_lo, exec_lo, s24
.LBB1585_313:
	s_delay_alu instid0(SALU_CYCLE_1)
	s_and_b32 s24, s0, exec_lo
.LBB1585_314:
	s_or_b32 exec_lo, exec_lo, s26
	v_or_b32_e32 v33, 5, v55
	s_mov_b32 s26, 0
	s_mov_b32 s27, 0
	s_mov_b32 s34, exec_lo
	s_delay_alu instid0(VALU_DEP_1)
	v_cmpx_gt_u32_e64 s31, v33
	s_cbranch_execz .LBB1585_325
; %bb.315:
	s_and_not1_b32 vcc_lo, exec_lo, s13
	s_mov_b32 s0, 0
	s_cbranch_vccnz .LBB1585_324
; %bb.316:
	v_mul_lo_u32 v37, v22, s14
	v_mul_lo_u32 v38, v21, s15
	v_mad_u64_u32 v[33:34], null, v21, s14, 0
	v_mul_lo_u32 v39, v24, s14
	v_mul_lo_u32 v40, v23, s15
	v_mad_u64_u32 v[35:36], null, v23, s14, 0
	s_mov_b32 s0, -1
	s_mov_b32 s27, exec_lo
	s_delay_alu instid0(VALU_DEP_4) | instskip(NEXT) | instid1(VALU_DEP_2)
	v_add3_u32 v34, v34, v38, v37
	v_add3_u32 v36, v36, v40, v39
	s_delay_alu instid0(VALU_DEP_2) | instskip(NEXT) | instid1(VALU_DEP_2)
	v_lshlrev_b64 v[33:34], 2, v[33:34]
	v_lshlrev_b64 v[37:38], 2, v[35:36]
	s_delay_alu instid0(VALU_DEP_2) | instskip(NEXT) | instid1(VALU_DEP_3)
	v_add_co_u32 v35, vcc_lo, s20, v33
	v_add_co_ci_u32_e32 v36, vcc_lo, s21, v34, vcc_lo
	s_delay_alu instid0(VALU_DEP_3) | instskip(NEXT) | instid1(VALU_DEP_4)
	v_add_co_u32 v33, vcc_lo, s20, v37
	v_add_co_ci_u32_e32 v34, vcc_lo, s21, v38, vcc_lo
	s_clause 0x1
	global_load_b32 v37, v[35:36], off
	global_load_b32 v38, v[33:34], off
	s_waitcnt vmcnt(0)
	v_cmpx_eq_u32_e64 v37, v38
	s_cbranch_execz .LBB1585_323
; %bb.317:
	v_add_co_u32 v33, vcc_lo, v33, 4
	v_add_co_ci_u32_e32 v34, vcc_lo, 0, v34, vcc_lo
	v_add_co_u32 v35, vcc_lo, v35, 4
	v_add_co_ci_u32_e32 v36, vcc_lo, 0, v36, vcc_lo
	s_add_u32 s4, s14, -1
	s_addc_u32 s5, s15, -1
	s_mov_b64 s[6:7], 0
	s_mov_b32 s35, 0
                                        ; implicit-def: $sgpr36
	s_set_inst_prefetch_distance 0x1
	s_branch .LBB1585_320
	.p2align	6
.LBB1585_318:                           ;   in Loop: Header=BB1585_320 Depth=1
	global_load_b32 v37, v[35:36], off
	global_load_b32 v38, v[33:34], off
	v_add_co_u32 v33, vcc_lo, v33, 4
	v_add_co_ci_u32_e32 v34, vcc_lo, 0, v34, vcc_lo
	v_add_co_u32 v35, s0, v35, 4
	s_delay_alu instid0(VALU_DEP_1)
	v_add_co_ci_u32_e64 v36, s0, 0, v36, s0
	s_add_u32 s6, s6, 1
	s_addc_u32 s7, s7, 0
	s_and_not1_b32 s0, s36, exec_lo
	s_waitcnt vmcnt(0)
	v_cmp_ne_u32_e32 vcc_lo, v37, v38
	s_and_b32 s36, vcc_lo, exec_lo
	s_delay_alu instid0(SALU_CYCLE_1)
	s_or_b32 s36, s0, s36
.LBB1585_319:                           ;   in Loop: Header=BB1585_320 Depth=1
	v_dual_mov_b32 v38, s7 :: v_dual_mov_b32 v37, s6
	s_and_b32 s0, exec_lo, s36
	s_delay_alu instid0(SALU_CYCLE_1) | instskip(NEXT) | instid1(SALU_CYCLE_1)
	s_or_b32 s35, s0, s35
	s_and_not1_b32 exec_lo, exec_lo, s35
	s_cbranch_execz .LBB1585_322
.LBB1585_320:                           ; =>This Inner Loop Header: Depth=1
	s_or_b32 s36, s36, exec_lo
	s_cmp_eq_u64 s[4:5], s[6:7]
	s_cbranch_scc0 .LBB1585_318
; %bb.321:                              ;   in Loop: Header=BB1585_320 Depth=1
	s_mov_b64 s[6:7], s[14:15]
                                        ; implicit-def: $vgpr33_vgpr34
                                        ; implicit-def: $vgpr35_vgpr36
	s_branch .LBB1585_319
.LBB1585_322:
	s_set_inst_prefetch_distance 0x2
	s_or_b32 exec_lo, exec_lo, s35
	v_cmp_gt_i64_e32 vcc_lo, s[14:15], v[37:38]
	s_or_not1_b32 s0, vcc_lo, exec_lo
.LBB1585_323:
	s_or_b32 exec_lo, exec_lo, s27
.LBB1585_324:
	s_delay_alu instid0(SALU_CYCLE_1)
	s_and_b32 s27, s0, exec_lo
.LBB1585_325:
	s_or_b32 exec_lo, exec_lo, s34
	v_or_b32_e32 v33, 4, v55
	s_mov_b32 s34, exec_lo
	s_delay_alu instid0(VALU_DEP_1)
	v_cmpx_gt_u32_e64 s31, v33
	s_cbranch_execz .LBB1585_336
; %bb.326:
	s_and_not1_b32 vcc_lo, exec_lo, s13
	s_mov_b32 s0, 0
	s_cbranch_vccnz .LBB1585_335
; %bb.327:
	v_mul_lo_u32 v37, v28, s14
	v_mul_lo_u32 v38, v27, s15
	v_mad_u64_u32 v[33:34], null, v27, s14, 0
	v_mul_lo_u32 v39, v22, s14
	v_mul_lo_u32 v40, v21, s15
	v_mad_u64_u32 v[35:36], null, v21, s14, 0
	s_mov_b32 s0, -1
	s_mov_b32 s26, exec_lo
	s_delay_alu instid0(VALU_DEP_4) | instskip(NEXT) | instid1(VALU_DEP_2)
	v_add3_u32 v34, v34, v38, v37
	v_add3_u32 v36, v36, v40, v39
	s_delay_alu instid0(VALU_DEP_2) | instskip(NEXT) | instid1(VALU_DEP_2)
	v_lshlrev_b64 v[33:34], 2, v[33:34]
	v_lshlrev_b64 v[37:38], 2, v[35:36]
	s_delay_alu instid0(VALU_DEP_2) | instskip(NEXT) | instid1(VALU_DEP_3)
	v_add_co_u32 v35, vcc_lo, s20, v33
	v_add_co_ci_u32_e32 v36, vcc_lo, s21, v34, vcc_lo
	s_delay_alu instid0(VALU_DEP_3) | instskip(NEXT) | instid1(VALU_DEP_4)
	v_add_co_u32 v33, vcc_lo, s20, v37
	v_add_co_ci_u32_e32 v34, vcc_lo, s21, v38, vcc_lo
	s_clause 0x1
	global_load_b32 v37, v[35:36], off
	global_load_b32 v38, v[33:34], off
	s_waitcnt vmcnt(0)
	v_cmpx_eq_u32_e64 v37, v38
	s_cbranch_execz .LBB1585_334
; %bb.328:
	v_add_co_u32 v33, vcc_lo, v33, 4
	v_add_co_ci_u32_e32 v34, vcc_lo, 0, v34, vcc_lo
	v_add_co_u32 v35, vcc_lo, v35, 4
	v_add_co_ci_u32_e32 v36, vcc_lo, 0, v36, vcc_lo
	s_add_u32 s4, s14, -1
	s_addc_u32 s5, s15, -1
	s_mov_b64 s[6:7], 0
	s_mov_b32 s35, 0
                                        ; implicit-def: $sgpr36
	s_set_inst_prefetch_distance 0x1
	s_branch .LBB1585_331
	.p2align	6
.LBB1585_329:                           ;   in Loop: Header=BB1585_331 Depth=1
	global_load_b32 v37, v[35:36], off
	global_load_b32 v38, v[33:34], off
	v_add_co_u32 v33, vcc_lo, v33, 4
	v_add_co_ci_u32_e32 v34, vcc_lo, 0, v34, vcc_lo
	v_add_co_u32 v35, s0, v35, 4
	s_delay_alu instid0(VALU_DEP_1)
	v_add_co_ci_u32_e64 v36, s0, 0, v36, s0
	s_add_u32 s6, s6, 1
	s_addc_u32 s7, s7, 0
	s_and_not1_b32 s0, s36, exec_lo
	s_waitcnt vmcnt(0)
	v_cmp_ne_u32_e32 vcc_lo, v37, v38
	s_and_b32 s36, vcc_lo, exec_lo
	s_delay_alu instid0(SALU_CYCLE_1)
	s_or_b32 s36, s0, s36
.LBB1585_330:                           ;   in Loop: Header=BB1585_331 Depth=1
	v_dual_mov_b32 v38, s7 :: v_dual_mov_b32 v37, s6
	s_and_b32 s0, exec_lo, s36
	s_delay_alu instid0(SALU_CYCLE_1) | instskip(NEXT) | instid1(SALU_CYCLE_1)
	s_or_b32 s35, s0, s35
	s_and_not1_b32 exec_lo, exec_lo, s35
	s_cbranch_execz .LBB1585_333
.LBB1585_331:                           ; =>This Inner Loop Header: Depth=1
	s_or_b32 s36, s36, exec_lo
	s_cmp_eq_u64 s[4:5], s[6:7]
	s_cbranch_scc0 .LBB1585_329
; %bb.332:                              ;   in Loop: Header=BB1585_331 Depth=1
	s_mov_b64 s[6:7], s[14:15]
                                        ; implicit-def: $vgpr33_vgpr34
                                        ; implicit-def: $vgpr35_vgpr36
	s_branch .LBB1585_330
.LBB1585_333:
	s_set_inst_prefetch_distance 0x2
	s_or_b32 exec_lo, exec_lo, s35
	v_cmp_gt_i64_e32 vcc_lo, s[14:15], v[37:38]
	s_or_not1_b32 s0, vcc_lo, exec_lo
.LBB1585_334:
	s_or_b32 exec_lo, exec_lo, s26
.LBB1585_335:
	s_delay_alu instid0(SALU_CYCLE_1)
	s_and_b32 s26, s0, exec_lo
.LBB1585_336:
	s_or_b32 exec_lo, exec_lo, s34
	v_or_b32_e32 v33, 3, v55
	s_mov_b32 s35, 0
	s_mov_b32 s34, 0
	s_mov_b32 s36, exec_lo
	s_delay_alu instid0(VALU_DEP_1)
	v_cmpx_gt_u32_e64 s31, v33
	s_cbranch_execz .LBB1585_347
; %bb.337:
	s_and_not1_b32 vcc_lo, exec_lo, s13
	s_mov_b32 s0, 0
	s_cbranch_vccnz .LBB1585_346
; %bb.338:
	v_mul_lo_u32 v37, v26, s14
	v_mul_lo_u32 v38, v25, s15
	v_mad_u64_u32 v[33:34], null, v25, s14, 0
	v_mul_lo_u32 v39, v28, s14
	v_mul_lo_u32 v40, v27, s15
	v_mad_u64_u32 v[35:36], null, v27, s14, 0
	s_mov_b32 s0, -1
	s_mov_b32 s34, exec_lo
	s_delay_alu instid0(VALU_DEP_4) | instskip(NEXT) | instid1(VALU_DEP_2)
	v_add3_u32 v34, v34, v38, v37
	v_add3_u32 v36, v36, v40, v39
	s_delay_alu instid0(VALU_DEP_2) | instskip(NEXT) | instid1(VALU_DEP_2)
	v_lshlrev_b64 v[33:34], 2, v[33:34]
	v_lshlrev_b64 v[37:38], 2, v[35:36]
	s_delay_alu instid0(VALU_DEP_2) | instskip(NEXT) | instid1(VALU_DEP_3)
	v_add_co_u32 v35, vcc_lo, s20, v33
	v_add_co_ci_u32_e32 v36, vcc_lo, s21, v34, vcc_lo
	s_delay_alu instid0(VALU_DEP_3) | instskip(NEXT) | instid1(VALU_DEP_4)
	v_add_co_u32 v33, vcc_lo, s20, v37
	v_add_co_ci_u32_e32 v34, vcc_lo, s21, v38, vcc_lo
	s_clause 0x1
	global_load_b32 v37, v[35:36], off
	global_load_b32 v38, v[33:34], off
	s_waitcnt vmcnt(0)
	v_cmpx_eq_u32_e64 v37, v38
	s_cbranch_execz .LBB1585_345
; %bb.339:
	v_add_co_u32 v33, vcc_lo, v33, 4
	v_add_co_ci_u32_e32 v34, vcc_lo, 0, v34, vcc_lo
	v_add_co_u32 v35, vcc_lo, v35, 4
	v_add_co_ci_u32_e32 v36, vcc_lo, 0, v36, vcc_lo
	s_add_u32 s4, s14, -1
	s_addc_u32 s5, s15, -1
	s_mov_b64 s[6:7], 0
	s_mov_b32 s37, 0
                                        ; implicit-def: $sgpr38
	s_set_inst_prefetch_distance 0x1
	s_branch .LBB1585_342
	.p2align	6
.LBB1585_340:                           ;   in Loop: Header=BB1585_342 Depth=1
	global_load_b32 v37, v[35:36], off
	global_load_b32 v38, v[33:34], off
	v_add_co_u32 v33, vcc_lo, v33, 4
	v_add_co_ci_u32_e32 v34, vcc_lo, 0, v34, vcc_lo
	v_add_co_u32 v35, s0, v35, 4
	s_delay_alu instid0(VALU_DEP_1)
	v_add_co_ci_u32_e64 v36, s0, 0, v36, s0
	s_add_u32 s6, s6, 1
	s_addc_u32 s7, s7, 0
	s_and_not1_b32 s0, s38, exec_lo
	s_waitcnt vmcnt(0)
	v_cmp_ne_u32_e32 vcc_lo, v37, v38
	s_and_b32 s38, vcc_lo, exec_lo
	s_delay_alu instid0(SALU_CYCLE_1)
	s_or_b32 s38, s0, s38
.LBB1585_341:                           ;   in Loop: Header=BB1585_342 Depth=1
	v_dual_mov_b32 v38, s7 :: v_dual_mov_b32 v37, s6
	s_and_b32 s0, exec_lo, s38
	s_delay_alu instid0(SALU_CYCLE_1) | instskip(NEXT) | instid1(SALU_CYCLE_1)
	s_or_b32 s37, s0, s37
	s_and_not1_b32 exec_lo, exec_lo, s37
	s_cbranch_execz .LBB1585_344
.LBB1585_342:                           ; =>This Inner Loop Header: Depth=1
	s_or_b32 s38, s38, exec_lo
	s_cmp_eq_u64 s[4:5], s[6:7]
	s_cbranch_scc0 .LBB1585_340
; %bb.343:                              ;   in Loop: Header=BB1585_342 Depth=1
	s_mov_b64 s[6:7], s[14:15]
                                        ; implicit-def: $vgpr33_vgpr34
                                        ; implicit-def: $vgpr35_vgpr36
	s_branch .LBB1585_341
.LBB1585_344:
	s_set_inst_prefetch_distance 0x2
	s_or_b32 exec_lo, exec_lo, s37
	v_cmp_gt_i64_e32 vcc_lo, s[14:15], v[37:38]
	s_or_not1_b32 s0, vcc_lo, exec_lo
.LBB1585_345:
	s_or_b32 exec_lo, exec_lo, s34
.LBB1585_346:
	s_delay_alu instid0(SALU_CYCLE_1)
	s_and_b32 s34, s0, exec_lo
.LBB1585_347:
	s_or_b32 exec_lo, exec_lo, s36
	v_or_b32_e32 v33, 2, v55
	s_mov_b32 s36, exec_lo
	s_delay_alu instid0(VALU_DEP_1)
	v_cmpx_gt_u32_e64 s31, v33
	s_cbranch_execz .LBB1585_358
; %bb.348:
	s_and_not1_b32 vcc_lo, exec_lo, s13
	s_mov_b32 s0, 0
	s_cbranch_vccnz .LBB1585_357
; %bb.349:
	v_mul_lo_u32 v37, v32, s14
	v_mul_lo_u32 v38, v31, s15
	v_mad_u64_u32 v[33:34], null, v31, s14, 0
	v_mul_lo_u32 v39, v26, s14
	v_mul_lo_u32 v40, v25, s15
	v_mad_u64_u32 v[35:36], null, v25, s14, 0
	s_mov_b32 s0, -1
	s_mov_b32 s35, exec_lo
	s_delay_alu instid0(VALU_DEP_4) | instskip(NEXT) | instid1(VALU_DEP_2)
	v_add3_u32 v34, v34, v38, v37
	v_add3_u32 v36, v36, v40, v39
	s_delay_alu instid0(VALU_DEP_2) | instskip(NEXT) | instid1(VALU_DEP_2)
	v_lshlrev_b64 v[33:34], 2, v[33:34]
	v_lshlrev_b64 v[37:38], 2, v[35:36]
	s_delay_alu instid0(VALU_DEP_2) | instskip(NEXT) | instid1(VALU_DEP_3)
	v_add_co_u32 v35, vcc_lo, s20, v33
	v_add_co_ci_u32_e32 v36, vcc_lo, s21, v34, vcc_lo
	s_delay_alu instid0(VALU_DEP_3) | instskip(NEXT) | instid1(VALU_DEP_4)
	v_add_co_u32 v33, vcc_lo, s20, v37
	v_add_co_ci_u32_e32 v34, vcc_lo, s21, v38, vcc_lo
	s_clause 0x1
	global_load_b32 v37, v[35:36], off
	global_load_b32 v38, v[33:34], off
	s_waitcnt vmcnt(0)
	v_cmpx_eq_u32_e64 v37, v38
	s_cbranch_execz .LBB1585_356
; %bb.350:
	v_add_co_u32 v33, vcc_lo, v33, 4
	v_add_co_ci_u32_e32 v34, vcc_lo, 0, v34, vcc_lo
	v_add_co_u32 v35, vcc_lo, v35, 4
	v_add_co_ci_u32_e32 v36, vcc_lo, 0, v36, vcc_lo
	s_add_u32 s4, s14, -1
	s_addc_u32 s5, s15, -1
	s_mov_b64 s[6:7], 0
	s_mov_b32 s37, 0
                                        ; implicit-def: $sgpr38
	s_set_inst_prefetch_distance 0x1
	s_branch .LBB1585_353
	.p2align	6
.LBB1585_351:                           ;   in Loop: Header=BB1585_353 Depth=1
	global_load_b32 v37, v[35:36], off
	global_load_b32 v38, v[33:34], off
	v_add_co_u32 v33, vcc_lo, v33, 4
	v_add_co_ci_u32_e32 v34, vcc_lo, 0, v34, vcc_lo
	v_add_co_u32 v35, s0, v35, 4
	s_delay_alu instid0(VALU_DEP_1)
	v_add_co_ci_u32_e64 v36, s0, 0, v36, s0
	s_add_u32 s6, s6, 1
	s_addc_u32 s7, s7, 0
	s_and_not1_b32 s0, s38, exec_lo
	s_waitcnt vmcnt(0)
	v_cmp_ne_u32_e32 vcc_lo, v37, v38
	s_and_b32 s38, vcc_lo, exec_lo
	s_delay_alu instid0(SALU_CYCLE_1)
	s_or_b32 s38, s0, s38
.LBB1585_352:                           ;   in Loop: Header=BB1585_353 Depth=1
	v_dual_mov_b32 v38, s7 :: v_dual_mov_b32 v37, s6
	s_and_b32 s0, exec_lo, s38
	s_delay_alu instid0(SALU_CYCLE_1) | instskip(NEXT) | instid1(SALU_CYCLE_1)
	s_or_b32 s37, s0, s37
	s_and_not1_b32 exec_lo, exec_lo, s37
	s_cbranch_execz .LBB1585_355
.LBB1585_353:                           ; =>This Inner Loop Header: Depth=1
	s_or_b32 s38, s38, exec_lo
	s_cmp_eq_u64 s[4:5], s[6:7]
	s_cbranch_scc0 .LBB1585_351
; %bb.354:                              ;   in Loop: Header=BB1585_353 Depth=1
	s_mov_b64 s[6:7], s[14:15]
                                        ; implicit-def: $vgpr33_vgpr34
                                        ; implicit-def: $vgpr35_vgpr36
	s_branch .LBB1585_352
.LBB1585_355:
	s_set_inst_prefetch_distance 0x2
	s_or_b32 exec_lo, exec_lo, s37
	v_cmp_gt_i64_e32 vcc_lo, s[14:15], v[37:38]
	s_or_not1_b32 s0, vcc_lo, exec_lo
.LBB1585_356:
	s_or_b32 exec_lo, exec_lo, s35
.LBB1585_357:
	s_delay_alu instid0(SALU_CYCLE_1)
	s_and_b32 s35, s0, exec_lo
.LBB1585_358:
	s_or_b32 exec_lo, exec_lo, s36
	v_or_b32_e32 v33, 1, v55
	s_mov_b32 s0, 0
	s_mov_b32 s36, exec_lo
	s_delay_alu instid0(VALU_DEP_1)
	v_cmpx_gt_u32_e64 s31, v33
	s_cbranch_execz .LBB1585_369
; %bb.359:
	s_and_not1_b32 vcc_lo, exec_lo, s13
	s_cbranch_vccnz .LBB1585_368
; %bb.360:
	v_mul_lo_u32 v37, v30, s14
	v_mul_lo_u32 v38, v29, s15
	v_mad_u64_u32 v[33:34], null, v29, s14, 0
	v_mul_lo_u32 v39, v32, s14
	v_mul_lo_u32 v40, v31, s15
	v_mad_u64_u32 v[35:36], null, v31, s14, 0
	s_mov_b32 s0, -1
	s_mov_b32 s37, exec_lo
	s_delay_alu instid0(VALU_DEP_4) | instskip(NEXT) | instid1(VALU_DEP_2)
	v_add3_u32 v34, v34, v38, v37
	v_add3_u32 v36, v36, v40, v39
	s_delay_alu instid0(VALU_DEP_2) | instskip(NEXT) | instid1(VALU_DEP_2)
	v_lshlrev_b64 v[33:34], 2, v[33:34]
	v_lshlrev_b64 v[37:38], 2, v[35:36]
	s_delay_alu instid0(VALU_DEP_2) | instskip(NEXT) | instid1(VALU_DEP_3)
	v_add_co_u32 v35, vcc_lo, s20, v33
	v_add_co_ci_u32_e32 v36, vcc_lo, s21, v34, vcc_lo
	s_delay_alu instid0(VALU_DEP_3) | instskip(NEXT) | instid1(VALU_DEP_4)
	v_add_co_u32 v33, vcc_lo, s20, v37
	v_add_co_ci_u32_e32 v34, vcc_lo, s21, v38, vcc_lo
	s_clause 0x1
	global_load_b32 v37, v[35:36], off
	global_load_b32 v38, v[33:34], off
	s_waitcnt vmcnt(0)
	v_cmpx_eq_u32_e64 v37, v38
	s_cbranch_execz .LBB1585_367
; %bb.361:
	v_add_co_u32 v33, vcc_lo, v33, 4
	v_add_co_ci_u32_e32 v34, vcc_lo, 0, v34, vcc_lo
	v_add_co_u32 v35, vcc_lo, v35, 4
	v_add_co_ci_u32_e32 v36, vcc_lo, 0, v36, vcc_lo
	s_add_u32 s4, s14, -1
	s_addc_u32 s5, s15, -1
	s_mov_b64 s[6:7], 0
	s_mov_b32 s38, 0
                                        ; implicit-def: $sgpr39
	s_set_inst_prefetch_distance 0x1
	s_branch .LBB1585_364
	.p2align	6
.LBB1585_362:                           ;   in Loop: Header=BB1585_364 Depth=1
	global_load_b32 v37, v[35:36], off
	global_load_b32 v38, v[33:34], off
	v_add_co_u32 v33, vcc_lo, v33, 4
	v_add_co_ci_u32_e32 v34, vcc_lo, 0, v34, vcc_lo
	v_add_co_u32 v35, s0, v35, 4
	s_delay_alu instid0(VALU_DEP_1)
	v_add_co_ci_u32_e64 v36, s0, 0, v36, s0
	s_add_u32 s6, s6, 1
	s_addc_u32 s7, s7, 0
	s_and_not1_b32 s0, s39, exec_lo
	s_waitcnt vmcnt(0)
	v_cmp_ne_u32_e32 vcc_lo, v37, v38
	s_and_b32 s39, vcc_lo, exec_lo
	s_delay_alu instid0(SALU_CYCLE_1)
	s_or_b32 s39, s0, s39
.LBB1585_363:                           ;   in Loop: Header=BB1585_364 Depth=1
	v_dual_mov_b32 v38, s7 :: v_dual_mov_b32 v37, s6
	s_and_b32 s0, exec_lo, s39
	s_delay_alu instid0(SALU_CYCLE_1) | instskip(NEXT) | instid1(SALU_CYCLE_1)
	s_or_b32 s38, s0, s38
	s_and_not1_b32 exec_lo, exec_lo, s38
	s_cbranch_execz .LBB1585_366
.LBB1585_364:                           ; =>This Inner Loop Header: Depth=1
	s_or_b32 s39, s39, exec_lo
	s_cmp_eq_u64 s[4:5], s[6:7]
	s_cbranch_scc0 .LBB1585_362
; %bb.365:                              ;   in Loop: Header=BB1585_364 Depth=1
	s_mov_b64 s[6:7], s[14:15]
                                        ; implicit-def: $vgpr33_vgpr34
                                        ; implicit-def: $vgpr35_vgpr36
	s_branch .LBB1585_363
.LBB1585_366:
	s_set_inst_prefetch_distance 0x2
	s_or_b32 exec_lo, exec_lo, s38
	v_cmp_gt_i64_e32 vcc_lo, s[14:15], v[37:38]
	s_or_not1_b32 s0, vcc_lo, exec_lo
.LBB1585_367:
	s_or_b32 exec_lo, exec_lo, s37
.LBB1585_368:
	s_delay_alu instid0(SALU_CYCLE_1)
	s_and_b32 s0, s0, exec_lo
.LBB1585_369:
	s_or_b32 exec_lo, exec_lo, s36
	v_cndmask_b32_e64 v34, 0, 1, s34
	v_cndmask_b32_e64 v35, 0, 1, s27
	v_cndmask_b32_e64 v36, 0, 1, s25
	v_cndmask_b32_e64 v37, 0, 1, s0
	v_cndmask_b32_e64 v33, 0, 1, s35
	v_cndmask_b32_e64 v38, 0, 1, s26
	v_cndmask_b32_e64 v39, 0, 1, s24
	v_lshlrev_b16 v35, 8, v35
	v_lshlrev_b16 v36, 8, v36
	;; [unrolled: 1-line block ×4, first 2 shown]
	s_waitcnt lgkmcnt(0)
	v_or_b32_e32 v35, v38, v35
	v_or_b32_e32 v36, v39, v36
	;; [unrolled: 1-line block ×4, first 2 shown]
	s_barrier
	v_and_b32_e32 v34, 0xffff, v35
	v_lshlrev_b32_e32 v35, 16, v36
	v_and_b32_e32 v37, 0xffff, v37
	v_lshlrev_b32_e32 v33, 16, v33
	buffer_gl0_inv
                                        ; implicit-def: $sgpr0
	v_or_b32_e32 v36, v34, v35
	v_or_b32_e32 v35, v37, v33
	s_and_saveexec_b32 s24, s3
	s_cbranch_execz .LBB1585_382
; %bb.370:
	s_mov_b32 s0, 0
	s_mov_b32 s3, exec_lo
	v_cmpx_gt_u32_e64 s31, v55
	s_cbranch_execz .LBB1585_381
; %bb.371:
	s_and_not1_b32 vcc_lo, exec_lo, s13
	s_cbranch_vccnz .LBB1585_380
; %bb.372:
	v_add_nc_u32_e32 v33, -8, v55
	v_mul_lo_u32 v41, v30, s14
	v_mul_lo_u32 v42, v29, s15
	s_mov_b32 s0, -1
	s_mov_b32 s13, exec_lo
	ds_load_b64 v[33:34], v33
	s_waitcnt lgkmcnt(0)
	v_mul_lo_u32 v39, v34, s14
	v_mul_lo_u32 v40, v33, s15
	v_mad_u64_u32 v[37:38], null, v33, s14, 0
	v_mad_u64_u32 v[33:34], null, v29, s14, 0
	s_delay_alu instid0(VALU_DEP_2) | instskip(NEXT) | instid1(VALU_DEP_2)
	v_add3_u32 v38, v38, v40, v39
	v_add3_u32 v34, v34, v42, v41
	s_delay_alu instid0(VALU_DEP_2) | instskip(NEXT) | instid1(VALU_DEP_2)
	v_lshlrev_b64 v[37:38], 2, v[37:38]
	v_lshlrev_b64 v[33:34], 2, v[33:34]
	s_delay_alu instid0(VALU_DEP_2) | instskip(NEXT) | instid1(VALU_DEP_3)
	v_add_co_u32 v37, vcc_lo, s20, v37
	v_add_co_ci_u32_e32 v38, vcc_lo, s21, v38, vcc_lo
	s_delay_alu instid0(VALU_DEP_3) | instskip(NEXT) | instid1(VALU_DEP_4)
	v_add_co_u32 v33, vcc_lo, s20, v33
	v_add_co_ci_u32_e32 v34, vcc_lo, s21, v34, vcc_lo
	s_clause 0x1
	global_load_b32 v39, v[37:38], off
	global_load_b32 v40, v[33:34], off
	s_waitcnt vmcnt(0)
	v_cmpx_eq_u32_e64 v39, v40
	s_cbranch_execz .LBB1585_379
; %bb.373:
	v_add_co_u32 v33, vcc_lo, v33, 4
	v_add_co_ci_u32_e32 v34, vcc_lo, 0, v34, vcc_lo
	v_add_co_u32 v37, vcc_lo, v37, 4
	v_add_co_ci_u32_e32 v38, vcc_lo, 0, v38, vcc_lo
	s_add_u32 s4, s14, -1
	s_addc_u32 s5, s15, -1
	s_mov_b64 s[6:7], 0
	s_mov_b32 s20, 0
                                        ; implicit-def: $sgpr21
	s_set_inst_prefetch_distance 0x1
	s_branch .LBB1585_376
	.p2align	6
.LBB1585_374:                           ;   in Loop: Header=BB1585_376 Depth=1
	global_load_b32 v39, v[37:38], off
	global_load_b32 v40, v[33:34], off
	v_add_co_u32 v33, vcc_lo, v33, 4
	v_add_co_ci_u32_e32 v34, vcc_lo, 0, v34, vcc_lo
	v_add_co_u32 v37, s0, v37, 4
	s_delay_alu instid0(VALU_DEP_1)
	v_add_co_ci_u32_e64 v38, s0, 0, v38, s0
	s_add_u32 s6, s6, 1
	s_addc_u32 s7, s7, 0
	s_and_not1_b32 s0, s21, exec_lo
	s_waitcnt vmcnt(0)
	v_cmp_ne_u32_e32 vcc_lo, v39, v40
	s_and_b32 s21, vcc_lo, exec_lo
	s_delay_alu instid0(SALU_CYCLE_1)
	s_or_b32 s21, s0, s21
.LBB1585_375:                           ;   in Loop: Header=BB1585_376 Depth=1
	v_dual_mov_b32 v40, s7 :: v_dual_mov_b32 v39, s6
	s_and_b32 s0, exec_lo, s21
	s_delay_alu instid0(SALU_CYCLE_1) | instskip(NEXT) | instid1(SALU_CYCLE_1)
	s_or_b32 s20, s0, s20
	s_and_not1_b32 exec_lo, exec_lo, s20
	s_cbranch_execz .LBB1585_378
.LBB1585_376:                           ; =>This Inner Loop Header: Depth=1
	s_or_b32 s21, s21, exec_lo
	s_cmp_eq_u64 s[4:5], s[6:7]
	s_cbranch_scc0 .LBB1585_374
; %bb.377:                              ;   in Loop: Header=BB1585_376 Depth=1
	s_mov_b64 s[6:7], s[14:15]
                                        ; implicit-def: $vgpr33_vgpr34
                                        ; implicit-def: $vgpr37_vgpr38
	s_branch .LBB1585_375
.LBB1585_378:
	s_set_inst_prefetch_distance 0x2
	s_or_b32 exec_lo, exec_lo, s20
	v_cmp_gt_i64_e32 vcc_lo, s[14:15], v[39:40]
	s_or_not1_b32 s0, vcc_lo, exec_lo
.LBB1585_379:
	s_or_b32 exec_lo, exec_lo, s13
.LBB1585_380:
	s_delay_alu instid0(SALU_CYCLE_1)
	s_and_b32 s0, s0, exec_lo
.LBB1585_381:
	s_or_b32 exec_lo, exec_lo, s3
	s_delay_alu instid0(SALU_CYCLE_1)
	s_and_b32 s0, s0, exec_lo
	s_or_b32 s1, s1, exec_lo
.LBB1585_382:
	s_or_b32 exec_lo, exec_lo, s24
.LBB1585_383:
	s_and_saveexec_b32 s3, s1
	s_cbranch_execz .LBB1585_385
; %bb.384:
	s_waitcnt vmcnt(0) lgkmcnt(0)
	v_and_b32_e32 v33, 0xffffff00, v35
	v_cndmask_b32_e64 v34, 0, 1, s0
	s_delay_alu instid0(VALU_DEP_1) | instskip(NEXT) | instid1(VALU_DEP_1)
	v_or_b32_e32 v33, v34, v33
	v_and_b32_e32 v33, 0xffff, v33
	s_delay_alu instid0(VALU_DEP_1)
	v_and_or_b32 v35, 0xffff0000, v35, v33
.LBB1585_385:
	s_or_b32 exec_lo, exec_lo, s3
	s_delay_alu instid0(SALU_CYCLE_1)
	s_and_not1_b32 vcc_lo, exec_lo, s33
	s_cbranch_vccnz .LBB1585_387
; %bb.386:
	v_cmp_gt_u32_e32 vcc_lo, s31, v55
	s_waitcnt vmcnt(0) lgkmcnt(0)
	v_or_b32_e32 v34, 1, v55
	v_and_b32_e32 v37, 0xffffff00, v36
	v_or_b32_e32 v38, 2, v55
	v_cndmask_b32_e32 v33, 0, v35, vcc_lo
	s_delay_alu instid0(VALU_DEP_4) | instskip(SKIP_1) | instid1(VALU_DEP_4)
	v_cmp_gt_u32_e32 vcc_lo, s31, v34
	v_or_b32_e32 v34, 4, v55
	v_cmp_gt_u32_e64 s0, s31, v38
	v_or_b32_e32 v38, 3, v55
	v_and_b32_e32 v33, 0xff, v33
	s_delay_alu instid0(VALU_DEP_2) | instskip(NEXT) | instid1(VALU_DEP_2)
	v_cmp_gt_u32_e64 s1, s31, v38
	v_cndmask_b32_e32 v33, v33, v35, vcc_lo
	v_cmp_gt_u32_e32 vcc_lo, s31, v34
	v_cndmask_b32_e32 v34, v37, v36, vcc_lo
	v_or_b32_e32 v37, 5, v55
	s_delay_alu instid0(VALU_DEP_2) | instskip(SKIP_1) | instid1(VALU_DEP_1)
	v_and_b32_e32 v34, 0xffff00ff, v34
	v_and_b32_e32 v33, 0xffff, v33
	v_cndmask_b32_e64 v33, v33, v35, s0
	s_delay_alu instid0(VALU_DEP_4) | instskip(SKIP_1) | instid1(VALU_DEP_3)
	v_cmp_gt_u32_e64 s0, s31, v37
	v_or_b32_e32 v37, 6, v55
	v_and_b32_e32 v33, 0xffffff, v33
	s_delay_alu instid0(VALU_DEP_3) | instskip(NEXT) | instid1(VALU_DEP_2)
	v_cndmask_b32_e64 v34, v34, v36, s0
	v_cndmask_b32_e64 v33, v33, v35, s1
	s_delay_alu instid0(VALU_DEP_1) | instskip(SKIP_2) | instid1(VALU_DEP_3)
	v_dual_cndmask_b32 v33, v33, v35 :: v_dual_and_b32 v34, 0xff00ffff, v34
	v_cmp_gt_u32_e32 vcc_lo, s31, v37
	v_or_b32_e32 v37, 7, v55
	v_cndmask_b32_e64 v33, v33, v35, s0
	s_delay_alu instid0(VALU_DEP_1) | instskip(NEXT) | instid1(VALU_DEP_1)
	v_dual_cndmask_b32 v34, v34, v36 :: v_dual_cndmask_b32 v33, v33, v35
	v_and_b32_e32 v34, 0xffffff, v34
	s_delay_alu instid0(VALU_DEP_4) | instskip(NEXT) | instid1(VALU_DEP_2)
	v_cmp_gt_u32_e32 vcc_lo, s31, v37
	v_dual_cndmask_b32 v36, v34, v36 :: v_dual_cndmask_b32 v35, v33, v35
.LBB1585_387:
	s_delay_alu instid0(VALU_DEP_1) | instskip(SKIP_1) | instid1(VALU_DEP_2)
	v_and_b32_e32 v44, 0xff, v35
	s_waitcnt vmcnt(0) lgkmcnt(0)
	v_alignbit_b32 v33, v36, v35, 24
	v_bfe_u32 v46, v35, 8, 8
	v_bfe_u32 v48, v35, 16, 8
	v_and_b32_e32 v52, 0xff, v36
	v_bfe_u32 v54, v36, 8, 8
	v_and_b32_e32 v50, 0xff, v33
	v_add_nc_u32_e32 v33, v46, v44
	v_mbcnt_lo_u32_b32 v58, -1, 0
	v_bfe_u32 v57, v36, 16, 8
	v_lshrrev_b32_e32 v56, 24, v36
	v_lshrrev_b32_e32 v59, 5, v0
	v_add3_u32 v33, v33, v48, v50
	v_and_b32_e32 v34, 15, v58
	v_and_b32_e32 v37, 16, v58
	s_and_b32 vcc_lo, exec_lo, s12
	s_mov_b32 s7, -1
	v_add3_u32 v33, v33, v52, v54
	v_cmp_eq_u32_e64 s3, 0, v34
	v_cmp_lt_u32_e64 s0, 1, v34
	v_cmp_lt_u32_e64 s4, 3, v34
	v_cmp_lt_u32_e64 s1, 7, v34
	v_add3_u32 v60, v33, v57, v56
	v_or_b32_e32 v33, 31, v0
	v_cmp_eq_u32_e64 s6, 0, v37
	s_barrier
	buffer_gl0_inv
	v_cmp_eq_u32_e64 s5, v33, v0
	s_cbranch_vccz .LBB1585_418
; %bb.388:
	v_mov_b32_dpp v33, v60 row_shr:1 row_mask:0xf bank_mask:0xf
	s_delay_alu instid0(VALU_DEP_1) | instskip(NEXT) | instid1(VALU_DEP_1)
	v_cndmask_b32_e64 v33, v33, 0, s3
	v_add_nc_u32_e32 v33, v33, v60
	s_delay_alu instid0(VALU_DEP_1) | instskip(NEXT) | instid1(VALU_DEP_1)
	v_mov_b32_dpp v34, v33 row_shr:2 row_mask:0xf bank_mask:0xf
	v_cndmask_b32_e64 v34, 0, v34, s0
	s_delay_alu instid0(VALU_DEP_1) | instskip(NEXT) | instid1(VALU_DEP_1)
	v_add_nc_u32_e32 v33, v33, v34
	v_mov_b32_dpp v34, v33 row_shr:4 row_mask:0xf bank_mask:0xf
	s_delay_alu instid0(VALU_DEP_1) | instskip(NEXT) | instid1(VALU_DEP_1)
	v_cndmask_b32_e64 v34, 0, v34, s4
	v_add_nc_u32_e32 v33, v33, v34
	s_delay_alu instid0(VALU_DEP_1) | instskip(NEXT) | instid1(VALU_DEP_1)
	v_mov_b32_dpp v34, v33 row_shr:8 row_mask:0xf bank_mask:0xf
	v_cndmask_b32_e64 v34, 0, v34, s1
	s_delay_alu instid0(VALU_DEP_1) | instskip(SKIP_3) | instid1(VALU_DEP_1)
	v_add_nc_u32_e32 v33, v33, v34
	ds_swizzle_b32 v34, v33 offset:swizzle(BROADCAST,32,15)
	s_waitcnt lgkmcnt(0)
	v_cndmask_b32_e64 v34, v34, 0, s6
	v_add_nc_u32_e32 v33, v33, v34
	s_and_saveexec_b32 s7, s5
	s_cbranch_execz .LBB1585_390
; %bb.389:
	v_lshlrev_b32_e32 v34, 2, v59
	ds_store_b32 v34, v33
.LBB1585_390:
	s_or_b32 exec_lo, exec_lo, s7
	s_delay_alu instid0(SALU_CYCLE_1)
	s_mov_b32 s7, exec_lo
	s_waitcnt lgkmcnt(0)
	s_barrier
	buffer_gl0_inv
	v_cmpx_gt_u32_e32 16, v0
	s_cbranch_execz .LBB1585_392
; %bb.391:
	v_lshlrev_b32_e32 v34, 2, v0
	ds_load_b32 v37, v34
	s_waitcnt lgkmcnt(0)
	v_mov_b32_dpp v38, v37 row_shr:1 row_mask:0xf bank_mask:0xf
	s_delay_alu instid0(VALU_DEP_1) | instskip(NEXT) | instid1(VALU_DEP_1)
	v_cndmask_b32_e64 v38, v38, 0, s3
	v_add_nc_u32_e32 v37, v38, v37
	s_delay_alu instid0(VALU_DEP_1) | instskip(NEXT) | instid1(VALU_DEP_1)
	v_mov_b32_dpp v38, v37 row_shr:2 row_mask:0xf bank_mask:0xf
	v_cndmask_b32_e64 v38, 0, v38, s0
	s_delay_alu instid0(VALU_DEP_1) | instskip(NEXT) | instid1(VALU_DEP_1)
	v_add_nc_u32_e32 v37, v37, v38
	v_mov_b32_dpp v38, v37 row_shr:4 row_mask:0xf bank_mask:0xf
	s_delay_alu instid0(VALU_DEP_1) | instskip(NEXT) | instid1(VALU_DEP_1)
	v_cndmask_b32_e64 v38, 0, v38, s4
	v_add_nc_u32_e32 v37, v37, v38
	s_delay_alu instid0(VALU_DEP_1) | instskip(NEXT) | instid1(VALU_DEP_1)
	v_mov_b32_dpp v38, v37 row_shr:8 row_mask:0xf bank_mask:0xf
	v_cndmask_b32_e64 v38, 0, v38, s1
	s_delay_alu instid0(VALU_DEP_1)
	v_add_nc_u32_e32 v37, v37, v38
	ds_store_b32 v34, v37
.LBB1585_392:
	s_or_b32 exec_lo, exec_lo, s7
	v_cmp_gt_u32_e32 vcc_lo, 32, v0
	s_mov_b32 s12, exec_lo
	s_waitcnt lgkmcnt(0)
	s_barrier
	buffer_gl0_inv
                                        ; implicit-def: $vgpr43
	v_cmpx_lt_u32_e32 31, v0
	s_cbranch_execz .LBB1585_394
; %bb.393:
	v_lshl_add_u32 v34, v59, 2, -4
	ds_load_b32 v43, v34
	s_waitcnt lgkmcnt(0)
	v_add_nc_u32_e32 v33, v43, v33
.LBB1585_394:
	s_or_b32 exec_lo, exec_lo, s12
	v_add_nc_u32_e32 v34, -1, v58
	s_delay_alu instid0(VALU_DEP_1) | instskip(NEXT) | instid1(VALU_DEP_1)
	v_cmp_gt_i32_e64 s7, 0, v34
	v_cndmask_b32_e64 v34, v34, v58, s7
	v_cmp_eq_u32_e64 s7, 0, v58
	s_delay_alu instid0(VALU_DEP_2)
	v_lshlrev_b32_e32 v34, 2, v34
	ds_bpermute_b32 v45, v34, v33
	s_and_saveexec_b32 s12, vcc_lo
	s_cbranch_execz .LBB1585_417
; %bb.395:
	v_mov_b32_e32 v39, 0
	ds_load_b32 v33, v39 offset:60
	s_and_saveexec_b32 s13, s7
	s_cbranch_execz .LBB1585_397
; %bb.396:
	s_add_i32 s14, s30, 32
	s_mov_b32 s15, 0
	v_mov_b32_e32 v34, 1
	s_lshl_b64 s[14:15], s[14:15], 3
	s_delay_alu instid0(SALU_CYCLE_1)
	s_add_u32 s14, s22, s14
	s_addc_u32 s15, s23, s15
	s_waitcnt lgkmcnt(0)
	global_store_b64 v39, v[33:34], s[14:15]
.LBB1585_397:
	s_or_b32 exec_lo, exec_lo, s13
	v_xad_u32 v37, v58, -1, s30
	s_mov_b32 s14, 0
	s_mov_b32 s13, exec_lo
	s_delay_alu instid0(VALU_DEP_1) | instskip(NEXT) | instid1(VALU_DEP_1)
	v_add_nc_u32_e32 v38, 32, v37
	v_lshlrev_b64 v[38:39], 3, v[38:39]
	s_delay_alu instid0(VALU_DEP_1) | instskip(NEXT) | instid1(VALU_DEP_2)
	v_add_co_u32 v41, vcc_lo, s22, v38
	v_add_co_ci_u32_e32 v42, vcc_lo, s23, v39, vcc_lo
	global_load_b64 v[39:40], v[41:42], off glc
	s_waitcnt vmcnt(0)
	v_and_b32_e32 v34, 0xff, v40
	s_delay_alu instid0(VALU_DEP_1)
	v_cmpx_eq_u16_e32 0, v34
	s_cbranch_execz .LBB1585_403
; %bb.398:
	s_mov_b32 s15, 1
	.p2align	6
.LBB1585_399:                           ; =>This Loop Header: Depth=1
                                        ;     Child Loop BB1585_400 Depth 2
	s_delay_alu instid0(SALU_CYCLE_1)
	s_max_u32 s20, s15, 1
.LBB1585_400:                           ;   Parent Loop BB1585_399 Depth=1
                                        ; =>  This Inner Loop Header: Depth=2
	s_delay_alu instid0(SALU_CYCLE_1)
	s_add_i32 s20, s20, -1
	s_sleep 1
	s_cmp_eq_u32 s20, 0
	s_cbranch_scc0 .LBB1585_400
; %bb.401:                              ;   in Loop: Header=BB1585_399 Depth=1
	global_load_b64 v[39:40], v[41:42], off glc
	s_cmp_lt_u32 s15, 32
	s_cselect_b32 s20, -1, 0
	s_delay_alu instid0(SALU_CYCLE_1) | instskip(SKIP_3) | instid1(VALU_DEP_1)
	s_cmp_lg_u32 s20, 0
	s_addc_u32 s15, s15, 0
	s_waitcnt vmcnt(0)
	v_and_b32_e32 v34, 0xff, v40
	v_cmp_ne_u16_e32 vcc_lo, 0, v34
	s_or_b32 s14, vcc_lo, s14
	s_delay_alu instid0(SALU_CYCLE_1)
	s_and_not1_b32 exec_lo, exec_lo, s14
	s_cbranch_execnz .LBB1585_399
; %bb.402:
	s_or_b32 exec_lo, exec_lo, s14
.LBB1585_403:
	s_delay_alu instid0(SALU_CYCLE_1)
	s_or_b32 exec_lo, exec_lo, s13
	v_cmp_ne_u32_e32 vcc_lo, 31, v58
	v_and_b32_e32 v38, 0xff, v40
	v_lshlrev_b32_e64 v47, v58, -1
	v_add_nc_u32_e32 v51, 2, v58
	v_add_nc_u32_e32 v61, 4, v58
	v_add_co_ci_u32_e32 v34, vcc_lo, 0, v58, vcc_lo
	v_cmp_eq_u16_e32 vcc_lo, 2, v38
	v_add_nc_u32_e32 v64, 8, v58
	v_add_nc_u32_e32 v66, 16, v58
	v_and_or_b32 v38, vcc_lo, v47, 0x80000000
	v_cmp_gt_u32_e32 vcc_lo, 30, v58
	s_delay_alu instid0(VALU_DEP_2) | instskip(SKIP_1) | instid1(VALU_DEP_2)
	v_ctz_i32_b32_e32 v38, v38
	v_cndmask_b32_e64 v42, 0, 1, vcc_lo
	v_cmp_lt_u32_e32 vcc_lo, v58, v38
	v_lshlrev_b32_e32 v34, 2, v34
	s_delay_alu instid0(VALU_DEP_3)
	v_lshlrev_b32_e32 v42, 1, v42
	ds_bpermute_b32 v41, v34, v39
	v_add_lshl_u32 v49, v42, v58, 2
	s_waitcnt lgkmcnt(0)
	v_cndmask_b32_e32 v41, 0, v41, vcc_lo
	v_cmp_gt_u32_e32 vcc_lo, 28, v58
	s_delay_alu instid0(VALU_DEP_2) | instskip(SKIP_4) | instid1(VALU_DEP_1)
	v_add_nc_u32_e32 v39, v41, v39
	v_cndmask_b32_e64 v42, 0, 1, vcc_lo
	v_cmp_le_u32_e32 vcc_lo, v51, v38
	ds_bpermute_b32 v41, v49, v39
	v_lshlrev_b32_e32 v42, 2, v42
	v_add_lshl_u32 v53, v42, v58, 2
	s_waitcnt lgkmcnt(0)
	v_cndmask_b32_e32 v41, 0, v41, vcc_lo
	v_cmp_gt_u32_e32 vcc_lo, 24, v58
	s_delay_alu instid0(VALU_DEP_2) | instskip(SKIP_4) | instid1(VALU_DEP_1)
	v_add_nc_u32_e32 v39, v39, v41
	v_cndmask_b32_e64 v42, 0, 1, vcc_lo
	v_cmp_le_u32_e32 vcc_lo, v61, v38
	ds_bpermute_b32 v41, v53, v39
	v_lshlrev_b32_e32 v42, 3, v42
	;; [unrolled: 10-line block ×3, first 2 shown]
	v_add_lshl_u32 v65, v42, v58, 2
	s_waitcnt lgkmcnt(0)
	v_cndmask_b32_e32 v41, 0, v41, vcc_lo
	v_cmp_le_u32_e32 vcc_lo, v66, v38
	s_delay_alu instid0(VALU_DEP_2) | instskip(SKIP_3) | instid1(VALU_DEP_1)
	v_add_nc_u32_e32 v39, v39, v41
	ds_bpermute_b32 v41, v65, v39
	s_waitcnt lgkmcnt(0)
	v_cndmask_b32_e32 v38, 0, v41, vcc_lo
	v_dual_mov_b32 v38, 0 :: v_dual_add_nc_u32 v39, v39, v38
	s_branch .LBB1585_405
.LBB1585_404:                           ;   in Loop: Header=BB1585_405 Depth=1
	s_or_b32 exec_lo, exec_lo, s13
	ds_bpermute_b32 v42, v34, v39
	v_and_b32_e32 v41, 0xff, v40
	v_subrev_nc_u32_e32 v37, 32, v37
	s_delay_alu instid0(VALU_DEP_2) | instskip(SKIP_1) | instid1(VALU_DEP_1)
	v_cmp_eq_u16_e32 vcc_lo, 2, v41
	v_and_or_b32 v41, vcc_lo, v47, 0x80000000
	v_ctz_i32_b32_e32 v41, v41
	s_delay_alu instid0(VALU_DEP_1) | instskip(SKIP_3) | instid1(VALU_DEP_2)
	v_cmp_lt_u32_e32 vcc_lo, v58, v41
	s_waitcnt lgkmcnt(0)
	v_cndmask_b32_e32 v42, 0, v42, vcc_lo
	v_cmp_le_u32_e32 vcc_lo, v51, v41
	v_add_nc_u32_e32 v39, v42, v39
	ds_bpermute_b32 v42, v49, v39
	s_waitcnt lgkmcnt(0)
	v_cndmask_b32_e32 v42, 0, v42, vcc_lo
	v_cmp_le_u32_e32 vcc_lo, v61, v41
	s_delay_alu instid0(VALU_DEP_2) | instskip(SKIP_4) | instid1(VALU_DEP_2)
	v_add_nc_u32_e32 v39, v39, v42
	ds_bpermute_b32 v42, v53, v39
	s_waitcnt lgkmcnt(0)
	v_cndmask_b32_e32 v42, 0, v42, vcc_lo
	v_cmp_le_u32_e32 vcc_lo, v64, v41
	v_add_nc_u32_e32 v39, v39, v42
	ds_bpermute_b32 v42, v63, v39
	s_waitcnt lgkmcnt(0)
	v_cndmask_b32_e32 v42, 0, v42, vcc_lo
	v_cmp_le_u32_e32 vcc_lo, v66, v41
	s_delay_alu instid0(VALU_DEP_2) | instskip(SKIP_3) | instid1(VALU_DEP_1)
	v_add_nc_u32_e32 v39, v39, v42
	ds_bpermute_b32 v42, v65, v39
	s_waitcnt lgkmcnt(0)
	v_cndmask_b32_e32 v41, 0, v42, vcc_lo
	v_add3_u32 v39, v41, v62, v39
.LBB1585_405:                           ; =>This Loop Header: Depth=1
                                        ;     Child Loop BB1585_408 Depth 2
                                        ;       Child Loop BB1585_409 Depth 3
	v_and_b32_e32 v40, 0xff, v40
	s_delay_alu instid0(VALU_DEP_2) | instskip(NEXT) | instid1(VALU_DEP_2)
	v_mov_b32_e32 v62, v39
	v_cmp_ne_u16_e32 vcc_lo, 2, v40
	v_cndmask_b32_e64 v40, 0, 1, vcc_lo
	;;#ASMSTART
	;;#ASMEND
	s_delay_alu instid0(VALU_DEP_1)
	v_cmp_ne_u32_e32 vcc_lo, 0, v40
	s_cmp_lg_u32 vcc_lo, exec_lo
	s_cbranch_scc1 .LBB1585_412
; %bb.406:                              ;   in Loop: Header=BB1585_405 Depth=1
	v_lshlrev_b64 v[39:40], 3, v[37:38]
	s_mov_b32 s13, exec_lo
	s_delay_alu instid0(VALU_DEP_1) | instskip(NEXT) | instid1(VALU_DEP_2)
	v_add_co_u32 v41, vcc_lo, s22, v39
	v_add_co_ci_u32_e32 v42, vcc_lo, s23, v40, vcc_lo
	global_load_b64 v[39:40], v[41:42], off glc
	s_waitcnt vmcnt(0)
	v_and_b32_e32 v67, 0xff, v40
	s_delay_alu instid0(VALU_DEP_1)
	v_cmpx_eq_u16_e32 0, v67
	s_cbranch_execz .LBB1585_404
; %bb.407:                              ;   in Loop: Header=BB1585_405 Depth=1
	s_mov_b32 s15, 1
	s_mov_b32 s14, 0
	.p2align	6
.LBB1585_408:                           ;   Parent Loop BB1585_405 Depth=1
                                        ; =>  This Loop Header: Depth=2
                                        ;       Child Loop BB1585_409 Depth 3
	s_max_u32 s20, s15, 1
.LBB1585_409:                           ;   Parent Loop BB1585_405 Depth=1
                                        ;     Parent Loop BB1585_408 Depth=2
                                        ; =>    This Inner Loop Header: Depth=3
	s_delay_alu instid0(SALU_CYCLE_1)
	s_add_i32 s20, s20, -1
	s_sleep 1
	s_cmp_eq_u32 s20, 0
	s_cbranch_scc0 .LBB1585_409
; %bb.410:                              ;   in Loop: Header=BB1585_408 Depth=2
	global_load_b64 v[39:40], v[41:42], off glc
	s_cmp_lt_u32 s15, 32
	s_cselect_b32 s20, -1, 0
	s_delay_alu instid0(SALU_CYCLE_1) | instskip(SKIP_3) | instid1(VALU_DEP_1)
	s_cmp_lg_u32 s20, 0
	s_addc_u32 s15, s15, 0
	s_waitcnt vmcnt(0)
	v_and_b32_e32 v67, 0xff, v40
	v_cmp_ne_u16_e32 vcc_lo, 0, v67
	s_or_b32 s14, vcc_lo, s14
	s_delay_alu instid0(SALU_CYCLE_1)
	s_and_not1_b32 exec_lo, exec_lo, s14
	s_cbranch_execnz .LBB1585_408
; %bb.411:                              ;   in Loop: Header=BB1585_405 Depth=1
	s_or_b32 exec_lo, exec_lo, s14
	s_branch .LBB1585_404
.LBB1585_412:                           ;   in Loop: Header=BB1585_405 Depth=1
                                        ; implicit-def: $vgpr39
                                        ; implicit-def: $vgpr40
	s_cbranch_execz .LBB1585_405
; %bb.413:
	s_and_saveexec_b32 s13, s7
	s_cbranch_execz .LBB1585_415
; %bb.414:
	s_add_i32 s14, s30, 32
	s_mov_b32 s15, 0
	v_dual_mov_b32 v38, 2 :: v_dual_add_nc_u32 v37, v62, v33
	s_lshl_b64 s[14:15], s[14:15], 3
	v_mov_b32_e32 v34, 0
	v_add_nc_u32_e64 v39, 0x8400, 0
	s_add_u32 s14, s22, s14
	s_addc_u32 s15, s23, s15
	global_store_b64 v34, v[37:38], s[14:15]
	ds_store_2addr_b32 v39, v33, v62 offset1:2
.LBB1585_415:
	s_or_b32 exec_lo, exec_lo, s13
	s_delay_alu instid0(SALU_CYCLE_1)
	s_and_b32 exec_lo, exec_lo, s2
	s_cbranch_execz .LBB1585_417
; %bb.416:
	v_mov_b32_e32 v33, 0
	ds_store_b32 v33, v62 offset:60
.LBB1585_417:
	s_or_b32 exec_lo, exec_lo, s12
	v_mov_b32_e32 v33, 0
	s_waitcnt lgkmcnt(0)
	s_waitcnt_vscnt null, 0x0
	s_barrier
	buffer_gl0_inv
	v_cndmask_b32_e64 v34, v45, v43, s7
	ds_load_b32 v33, v33 offset:60
	s_waitcnt lgkmcnt(0)
	s_barrier
	buffer_gl0_inv
	v_cndmask_b32_e64 v34, v34, 0, s2
	s_delay_alu instid0(VALU_DEP_1) | instskip(SKIP_1) | instid1(VALU_DEP_2)
	v_add_nc_u32_e32 v53, v33, v34
	v_add_nc_u32_e64 v33, 0x8400, 0
	v_add_nc_u32_e32 v51, v53, v44
	ds_load_2addr_b32 v[33:34], v33 offset1:2
	v_add_nc_u32_e32 v49, v51, v46
	s_delay_alu instid0(VALU_DEP_1) | instskip(NEXT) | instid1(VALU_DEP_1)
	v_add_nc_u32_e32 v47, v49, v48
	v_add_nc_u32_e32 v45, v47, v50
	s_delay_alu instid0(VALU_DEP_1) | instskip(SKIP_2) | instid1(VALU_DEP_2)
	v_add_nc_u32_e32 v43, v45, v52
	s_waitcnt lgkmcnt(0)
	v_readfirstlane_b32 s12, v34
	v_add_nc_u32_e32 v41, v43, v54
	s_delay_alu instid0(VALU_DEP_1)
	v_add_nc_u32_e32 v39, v41, v57
	v_lshrrev_b64 v[37:38], 24, v[35:36]
	s_branch .LBB1585_428
.LBB1585_418:
                                        ; implicit-def: $vgpr39
                                        ; implicit-def: $vgpr41
                                        ; implicit-def: $vgpr43
                                        ; implicit-def: $vgpr45
                                        ; implicit-def: $vgpr47
                                        ; implicit-def: $vgpr49
                                        ; implicit-def: $vgpr51
                                        ; implicit-def: $vgpr53
                                        ; implicit-def: $sgpr12
                                        ; implicit-def: $vgpr33
	v_lshrrev_b64 v[37:38], 24, v[35:36]
	s_and_b32 vcc_lo, exec_lo, s7
	s_cbranch_vccz .LBB1585_428
; %bb.419:
	v_mov_b32_dpp v33, v60 row_shr:1 row_mask:0xf bank_mask:0xf
	s_delay_alu instid0(VALU_DEP_1) | instskip(NEXT) | instid1(VALU_DEP_1)
	v_cndmask_b32_e64 v33, v33, 0, s3
	v_add_nc_u32_e32 v33, v33, v60
	s_delay_alu instid0(VALU_DEP_1) | instskip(NEXT) | instid1(VALU_DEP_1)
	v_mov_b32_dpp v34, v33 row_shr:2 row_mask:0xf bank_mask:0xf
	v_cndmask_b32_e64 v34, 0, v34, s0
	s_delay_alu instid0(VALU_DEP_1) | instskip(NEXT) | instid1(VALU_DEP_1)
	v_add_nc_u32_e32 v33, v33, v34
	v_mov_b32_dpp v34, v33 row_shr:4 row_mask:0xf bank_mask:0xf
	s_delay_alu instid0(VALU_DEP_1) | instskip(NEXT) | instid1(VALU_DEP_1)
	v_cndmask_b32_e64 v34, 0, v34, s4
	v_add_nc_u32_e32 v33, v33, v34
	s_delay_alu instid0(VALU_DEP_1) | instskip(NEXT) | instid1(VALU_DEP_1)
	v_mov_b32_dpp v34, v33 row_shr:8 row_mask:0xf bank_mask:0xf
	v_cndmask_b32_e64 v34, 0, v34, s1
	s_delay_alu instid0(VALU_DEP_1) | instskip(SKIP_3) | instid1(VALU_DEP_1)
	v_add_nc_u32_e32 v33, v33, v34
	ds_swizzle_b32 v34, v33 offset:swizzle(BROADCAST,32,15)
	s_waitcnt lgkmcnt(0)
	v_cndmask_b32_e64 v34, v34, 0, s6
	v_add_nc_u32_e32 v33, v33, v34
	s_and_saveexec_b32 s6, s5
	s_cbranch_execz .LBB1585_421
; %bb.420:
	v_lshlrev_b32_e32 v34, 2, v59
	ds_store_b32 v34, v33
.LBB1585_421:
	s_or_b32 exec_lo, exec_lo, s6
	s_delay_alu instid0(SALU_CYCLE_1)
	s_mov_b32 s5, exec_lo
	s_waitcnt lgkmcnt(0)
	s_barrier
	buffer_gl0_inv
	v_cmpx_gt_u32_e32 16, v0
	s_cbranch_execz .LBB1585_423
; %bb.422:
	v_lshlrev_b32_e32 v34, 2, v0
	ds_load_b32 v38, v34
	s_waitcnt lgkmcnt(0)
	v_mov_b32_dpp v39, v38 row_shr:1 row_mask:0xf bank_mask:0xf
	s_delay_alu instid0(VALU_DEP_1) | instskip(NEXT) | instid1(VALU_DEP_1)
	v_cndmask_b32_e64 v39, v39, 0, s3
	v_add_nc_u32_e32 v38, v39, v38
	s_delay_alu instid0(VALU_DEP_1) | instskip(NEXT) | instid1(VALU_DEP_1)
	v_mov_b32_dpp v39, v38 row_shr:2 row_mask:0xf bank_mask:0xf
	v_cndmask_b32_e64 v39, 0, v39, s0
	s_delay_alu instid0(VALU_DEP_1) | instskip(NEXT) | instid1(VALU_DEP_1)
	v_add_nc_u32_e32 v38, v38, v39
	v_mov_b32_dpp v39, v38 row_shr:4 row_mask:0xf bank_mask:0xf
	s_delay_alu instid0(VALU_DEP_1) | instskip(NEXT) | instid1(VALU_DEP_1)
	v_cndmask_b32_e64 v39, 0, v39, s4
	v_add_nc_u32_e32 v38, v38, v39
	s_delay_alu instid0(VALU_DEP_1) | instskip(NEXT) | instid1(VALU_DEP_1)
	v_mov_b32_dpp v39, v38 row_shr:8 row_mask:0xf bank_mask:0xf
	v_cndmask_b32_e64 v39, 0, v39, s1
	s_delay_alu instid0(VALU_DEP_1)
	v_add_nc_u32_e32 v38, v38, v39
	ds_store_b32 v34, v38
.LBB1585_423:
	s_or_b32 exec_lo, exec_lo, s5
	v_mov_b32_e32 v34, 0
	v_mov_b32_e32 v38, 0
	s_mov_b32 s0, exec_lo
	s_waitcnt lgkmcnt(0)
	s_barrier
	buffer_gl0_inv
	v_cmpx_lt_u32_e32 31, v0
	s_cbranch_execz .LBB1585_425
; %bb.424:
	v_lshl_add_u32 v38, v59, 2, -4
	ds_load_b32 v38, v38
.LBB1585_425:
	s_or_b32 exec_lo, exec_lo, s0
	v_add_nc_u32_e32 v39, -1, v58
	s_waitcnt lgkmcnt(0)
	v_add_nc_u32_e32 v33, v38, v33
	s_mov_b32 s12, 0
	s_delay_alu instid0(VALU_DEP_2) | instskip(SKIP_1) | instid1(VALU_DEP_1)
	v_cmp_gt_i32_e32 vcc_lo, 0, v39
	v_cndmask_b32_e32 v39, v39, v58, vcc_lo
	v_lshlrev_b32_e32 v39, 2, v39
	ds_bpermute_b32 v39, v39, v33
	ds_load_b32 v33, v34 offset:60
	s_and_saveexec_b32 s0, s2
	s_cbranch_execz .LBB1585_427
; %bb.426:
	v_mov_b32_e32 v40, 0
	v_mov_b32_e32 v34, 2
	s_waitcnt lgkmcnt(0)
	global_store_b64 v40, v[33:34], s[22:23] offset:256
.LBB1585_427:
	s_or_b32 exec_lo, exec_lo, s0
	v_cmp_eq_u32_e32 vcc_lo, 0, v58
	s_waitcnt lgkmcnt(0)
	s_waitcnt_vscnt null, 0x0
	s_barrier
	buffer_gl0_inv
	v_cndmask_b32_e32 v34, v39, v38, vcc_lo
	s_delay_alu instid0(VALU_DEP_1) | instskip(NEXT) | instid1(VALU_DEP_1)
	v_cndmask_b32_e64 v53, v34, 0, s2
	v_add_nc_u32_e32 v51, v53, v44
	s_delay_alu instid0(VALU_DEP_1) | instskip(NEXT) | instid1(VALU_DEP_1)
	v_add_nc_u32_e32 v49, v51, v46
	v_add_nc_u32_e32 v47, v49, v48
	s_delay_alu instid0(VALU_DEP_1) | instskip(NEXT) | instid1(VALU_DEP_1)
	v_add_nc_u32_e32 v45, v47, v50
	;; [unrolled: 3-line block ×3, first 2 shown]
	v_add_nc_u32_e32 v39, v41, v57
.LBB1585_428:
	v_add_nc_u32_e32 v59, s12, v33
	v_cmp_gt_u32_e64 s0, 0x201, v33
	v_lshrrev_b32_e32 v58, 8, v35
	v_lshrrev_b32_e32 v57, 16, v35
	;; [unrolled: 1-line block ×4, first 2 shown]
	v_cmp_lt_u32_e64 s1, v53, v59
	s_and_b32 vcc_lo, exec_lo, s0
	s_mov_b32 s3, -1
	s_cbranch_vccz .LBB1585_454
; %bb.429:
	s_delay_alu instid0(VALU_DEP_1) | instskip(NEXT) | instid1(SALU_CYCLE_1)
	s_or_b32 s3, s29, s1
	s_and_saveexec_b32 s1, s3
	s_cbranch_execz .LBB1585_432
; %bb.430:
	v_and_b32_e32 v40, 1, v35
	s_delay_alu instid0(VALU_DEP_1)
	v_cmp_eq_u32_e32 vcc_lo, 1, v40
	s_and_b32 exec_lo, exec_lo, vcc_lo
	s_cbranch_execz .LBB1585_432
; %bb.431:
	v_mov_b32_e32 v54, 0
	s_lshl_b64 s[4:5], s[10:11], 3
	s_delay_alu instid0(SALU_CYCLE_1) | instskip(SKIP_1) | instid1(VALU_DEP_1)
	s_add_u32 s3, s16, s4
	s_addc_u32 s4, s17, s5
	v_lshlrev_b64 v[60:61], 3, v[53:54]
	s_delay_alu instid0(VALU_DEP_1) | instskip(NEXT) | instid1(VALU_DEP_2)
	v_add_co_u32 v60, vcc_lo, s3, v60
	v_add_co_ci_u32_e32 v61, vcc_lo, s4, v61, vcc_lo
	global_store_b64 v[60:61], v[29:30], off
.LBB1585_432:
	s_or_b32 exec_lo, exec_lo, s1
	v_cmp_lt_u32_e32 vcc_lo, v51, v59
	s_or_b32 s3, s29, vcc_lo
	s_delay_alu instid0(SALU_CYCLE_1)
	s_and_saveexec_b32 s1, s3
	s_cbranch_execz .LBB1585_435
; %bb.433:
	v_and_b32_e32 v40, 1, v58
	s_delay_alu instid0(VALU_DEP_1)
	v_cmp_eq_u32_e32 vcc_lo, 1, v40
	s_and_b32 exec_lo, exec_lo, vcc_lo
	s_cbranch_execz .LBB1585_435
; %bb.434:
	v_mov_b32_e32 v52, 0
	s_lshl_b64 s[4:5], s[10:11], 3
	s_delay_alu instid0(SALU_CYCLE_1) | instskip(SKIP_1) | instid1(VALU_DEP_1)
	s_add_u32 s3, s16, s4
	s_addc_u32 s4, s17, s5
	v_lshlrev_b64 v[60:61], 3, v[51:52]
	s_delay_alu instid0(VALU_DEP_1) | instskip(NEXT) | instid1(VALU_DEP_2)
	v_add_co_u32 v60, vcc_lo, s3, v60
	v_add_co_ci_u32_e32 v61, vcc_lo, s4, v61, vcc_lo
	global_store_b64 v[60:61], v[31:32], off
.LBB1585_435:
	s_or_b32 exec_lo, exec_lo, s1
	v_cmp_lt_u32_e32 vcc_lo, v49, v59
	s_or_b32 s3, s29, vcc_lo
	s_delay_alu instid0(SALU_CYCLE_1)
	;; [unrolled: 24-line block ×7, first 2 shown]
	s_and_saveexec_b32 s1, s3
	s_cbranch_execz .LBB1585_453
; %bb.451:
	v_and_b32_e32 v40, 1, v56
	s_delay_alu instid0(VALU_DEP_1)
	v_cmp_eq_u32_e32 vcc_lo, 1, v40
	s_and_b32 exec_lo, exec_lo, vcc_lo
	s_cbranch_execz .LBB1585_453
; %bb.452:
	v_mov_b32_e32 v40, 0
	s_lshl_b64 s[4:5], s[10:11], 3
	s_delay_alu instid0(SALU_CYCLE_1) | instskip(SKIP_1) | instid1(VALU_DEP_1)
	s_add_u32 s3, s16, s4
	s_addc_u32 s4, s17, s5
	v_lshlrev_b64 v[60:61], 3, v[39:40]
	s_delay_alu instid0(VALU_DEP_1) | instskip(NEXT) | instid1(VALU_DEP_2)
	v_add_co_u32 v60, vcc_lo, s3, v60
	v_add_co_ci_u32_e32 v61, vcc_lo, s4, v61, vcc_lo
	global_store_b64 v[60:61], v[19:20], off
.LBB1585_453:
	s_or_b32 exec_lo, exec_lo, s1
	s_mov_b32 s3, 0
.LBB1585_454:
	v_and_b32_e32 v35, 1, v35
	s_and_b32 vcc_lo, exec_lo, s3
	s_delay_alu instid0(VALU_DEP_1)
	v_cmp_eq_u32_e64 s1, 1, v35
	s_cbranch_vccz .LBB1585_475
; %bb.455:
	s_delay_alu instid0(VALU_DEP_1)
	s_and_saveexec_b32 s3, s1
	s_cbranch_execz .LBB1585_457
; %bb.456:
	v_subrev_nc_u32_e32 v40, s12, v53
	s_delay_alu instid0(VALU_DEP_1)
	v_lshlrev_b32_e32 v40, 3, v40
	ds_store_b64 v40, v[29:30]
.LBB1585_457:
	s_or_b32 exec_lo, exec_lo, s3
	v_and_b32_e32 v29, 1, v58
	s_mov_b32 s1, exec_lo
	s_delay_alu instid0(VALU_DEP_1)
	v_cmpx_eq_u32_e32 1, v29
	s_cbranch_execz .LBB1585_459
; %bb.458:
	v_subrev_nc_u32_e32 v29, s12, v51
	s_delay_alu instid0(VALU_DEP_1)
	v_lshlrev_b32_e32 v29, 3, v29
	ds_store_b64 v29, v[31:32]
.LBB1585_459:
	s_or_b32 exec_lo, exec_lo, s1
	v_and_b32_e32 v29, 1, v57
	s_mov_b32 s1, exec_lo
	s_delay_alu instid0(VALU_DEP_1)
	v_cmpx_eq_u32_e32 1, v29
	;; [unrolled: 12-line block ×7, first 2 shown]
	s_cbranch_execz .LBB1585_471
; %bb.470:
	v_subrev_nc_u32_e32 v17, s12, v39
	s_delay_alu instid0(VALU_DEP_1)
	v_lshlrev_b32_e32 v17, 3, v17
	ds_store_b64 v17, v[19:20]
.LBB1585_471:
	s_or_b32 exec_lo, exec_lo, s1
	s_delay_alu instid0(SALU_CYCLE_1)
	s_mov_b32 s3, exec_lo
	s_waitcnt lgkmcnt(0)
	s_waitcnt_vscnt null, 0x0
	s_barrier
	buffer_gl0_inv
	v_cmpx_lt_u32_e64 v0, v33
	s_cbranch_execz .LBB1585_474
; %bb.472:
	s_mov_b32 s13, 0
	s_lshl_b64 s[4:5], s[10:11], 3
	s_lshl_b64 s[6:7], s[12:13], 3
	v_dual_mov_b32 v19, v55 :: v_dual_mov_b32 v20, v0
	s_add_u32 s1, s4, s6
	s_addc_u32 s4, s5, s7
	s_add_u32 s1, s16, s1
	s_addc_u32 s4, s17, s4
	v_add_co_u32 v17, s1, s1, v55
	s_delay_alu instid0(VALU_DEP_1)
	v_add_co_ci_u32_e64 v18, null, s4, 0, s1
	.p2align	6
.LBB1585_473:                           ; =>This Inner Loop Header: Depth=1
	ds_load_b64 v[21:22], v19
	v_add_nc_u32_e32 v20, 0x200, v20
	v_add_nc_u32_e32 v19, 0x1000, v19
	s_delay_alu instid0(VALU_DEP_2) | instskip(SKIP_4) | instid1(VALU_DEP_1)
	v_cmp_ge_u32_e32 vcc_lo, v20, v33
	s_or_b32 s13, vcc_lo, s13
	s_waitcnt lgkmcnt(0)
	global_store_b64 v[17:18], v[21:22], off
	v_add_co_u32 v17, s1, 0x1000, v17
	v_add_co_ci_u32_e64 v18, s1, 0, v18, s1
	s_and_not1_b32 exec_lo, exec_lo, s13
	s_cbranch_execnz .LBB1585_473
.LBB1585_474:
	s_or_b32 exec_lo, exec_lo, s3
.LBB1585_475:
	s_delay_alu instid0(SALU_CYCLE_1)
	s_and_b32 vcc_lo, exec_lo, s0
	s_mov_b32 s0, -1
	s_waitcnt_vscnt null, 0x0
	s_barrier
	buffer_gl0_inv
	s_cbranch_vccz .LBB1585_503
; %bb.476:
	v_cmp_lt_u32_e32 vcc_lo, v53, v59
	s_or_b32 s1, s29, vcc_lo
	s_delay_alu instid0(SALU_CYCLE_1)
	s_and_saveexec_b32 s0, s1
	s_cbranch_execz .LBB1585_479
; %bb.477:
	v_cmp_eq_u32_e32 vcc_lo, 1, v35
	s_and_b32 exec_lo, exec_lo, vcc_lo
	s_cbranch_execz .LBB1585_479
; %bb.478:
	v_mov_b32_e32 v54, 0
	s_lshl_b64 s[4:5], s[10:11], 3
	s_delay_alu instid0(SALU_CYCLE_1) | instskip(SKIP_1) | instid1(VALU_DEP_1)
	s_add_u32 s1, s18, s4
	s_addc_u32 s3, s19, s5
	v_lshlrev_b64 v[17:18], 3, v[53:54]
	s_delay_alu instid0(VALU_DEP_1) | instskip(NEXT) | instid1(VALU_DEP_2)
	v_add_co_u32 v17, vcc_lo, s1, v17
	v_add_co_ci_u32_e32 v18, vcc_lo, s3, v18, vcc_lo
	global_store_b64 v[17:18], v[13:14], off
.LBB1585_479:
	s_or_b32 exec_lo, exec_lo, s0
	v_cmp_lt_u32_e32 vcc_lo, v51, v59
	s_or_b32 s1, s29, vcc_lo
	s_delay_alu instid0(SALU_CYCLE_1)
	s_and_saveexec_b32 s0, s1
	s_cbranch_execz .LBB1585_482
; %bb.480:
	v_and_b32_e32 v17, 1, v58
	s_delay_alu instid0(VALU_DEP_1)
	v_cmp_eq_u32_e32 vcc_lo, 1, v17
	s_and_b32 exec_lo, exec_lo, vcc_lo
	s_cbranch_execz .LBB1585_482
; %bb.481:
	v_mov_b32_e32 v52, 0
	s_lshl_b64 s[4:5], s[10:11], 3
	s_delay_alu instid0(SALU_CYCLE_1) | instskip(SKIP_1) | instid1(VALU_DEP_1)
	s_add_u32 s1, s18, s4
	s_addc_u32 s3, s19, s5
	v_lshlrev_b64 v[17:18], 3, v[51:52]
	s_delay_alu instid0(VALU_DEP_1) | instskip(NEXT) | instid1(VALU_DEP_2)
	v_add_co_u32 v17, vcc_lo, s1, v17
	v_add_co_ci_u32_e32 v18, vcc_lo, s3, v18, vcc_lo
	global_store_b64 v[17:18], v[15:16], off
.LBB1585_482:
	s_or_b32 exec_lo, exec_lo, s0
	v_cmp_lt_u32_e32 vcc_lo, v49, v59
	s_or_b32 s1, s29, vcc_lo
	s_delay_alu instid0(SALU_CYCLE_1)
	s_and_saveexec_b32 s0, s1
	s_cbranch_execz .LBB1585_485
; %bb.483:
	v_and_b32_e32 v17, 1, v57
	s_delay_alu instid0(VALU_DEP_1)
	v_cmp_eq_u32_e32 vcc_lo, 1, v17
	s_and_b32 exec_lo, exec_lo, vcc_lo
	s_cbranch_execz .LBB1585_485
; %bb.484:
	v_mov_b32_e32 v50, 0
	s_lshl_b64 s[4:5], s[10:11], 3
	s_delay_alu instid0(SALU_CYCLE_1) | instskip(SKIP_1) | instid1(VALU_DEP_1)
	s_add_u32 s1, s18, s4
	s_addc_u32 s3, s19, s5
	v_lshlrev_b64 v[17:18], 3, v[49:50]
	s_delay_alu instid0(VALU_DEP_1) | instskip(NEXT) | instid1(VALU_DEP_2)
	v_add_co_u32 v17, vcc_lo, s1, v17
	v_add_co_ci_u32_e32 v18, vcc_lo, s3, v18, vcc_lo
	global_store_b64 v[17:18], v[9:10], off
.LBB1585_485:
	;; [unrolled: 24-line block ×7, first 2 shown]
	s_or_b32 exec_lo, exec_lo, s0
.LBB1585_501:
	s_and_b32 s0, s2, s28
	s_delay_alu instid0(SALU_CYCLE_1)
	s_and_saveexec_b32 s1, s0
	s_cbranch_execz .LBB1585_524
.LBB1585_502:
	v_add_co_u32 v0, s0, s10, v33
	s_delay_alu instid0(VALU_DEP_1) | instskip(SKIP_1) | instid1(VALU_DEP_3)
	v_add_co_ci_u32_e64 v1, null, s11, 0, s0
	v_mov_b32_e32 v2, 0
	v_add_co_u32 v0, vcc_lo, v0, s12
	s_delay_alu instid0(VALU_DEP_3)
	v_add_co_ci_u32_e32 v1, vcc_lo, 0, v1, vcc_lo
	global_store_b64 v2, v[0:1], s[8:9]
	s_nop 0
	s_sendmsg sendmsg(MSG_DEALLOC_VGPRS)
	s_endpgm
.LBB1585_503:
	s_and_b32 vcc_lo, exec_lo, s0
	s_cbranch_vccz .LBB1585_501
; %bb.504:
	s_mov_b32 s0, exec_lo
	v_cmpx_eq_u32_e32 1, v35
	s_cbranch_execz .LBB1585_506
; %bb.505:
	v_subrev_nc_u32_e32 v17, s12, v53
	s_delay_alu instid0(VALU_DEP_1)
	v_lshlrev_b32_e32 v17, 3, v17
	ds_store_b64 v17, v[13:14]
.LBB1585_506:
	s_or_b32 exec_lo, exec_lo, s0
	v_and_b32_e32 v13, 1, v58
	s_mov_b32 s0, exec_lo
	s_delay_alu instid0(VALU_DEP_1)
	v_cmpx_eq_u32_e32 1, v13
	s_cbranch_execz .LBB1585_508
; %bb.507:
	v_subrev_nc_u32_e32 v13, s12, v51
	s_delay_alu instid0(VALU_DEP_1)
	v_lshlrev_b32_e32 v13, 3, v13
	ds_store_b64 v13, v[15:16]
.LBB1585_508:
	s_or_b32 exec_lo, exec_lo, s0
	v_and_b32_e32 v13, 1, v57
	s_mov_b32 s0, exec_lo
	s_delay_alu instid0(VALU_DEP_1)
	;; [unrolled: 12-line block ×7, first 2 shown]
	v_cmpx_eq_u32_e32 1, v1
	s_cbranch_execz .LBB1585_520
; %bb.519:
	v_subrev_nc_u32_e32 v1, s12, v39
	s_delay_alu instid0(VALU_DEP_1)
	v_lshlrev_b32_e32 v1, 3, v1
	ds_store_b64 v1, v[3:4]
.LBB1585_520:
	s_or_b32 exec_lo, exec_lo, s0
	s_delay_alu instid0(SALU_CYCLE_1)
	s_mov_b32 s1, exec_lo
	s_waitcnt lgkmcnt(0)
	s_waitcnt_vscnt null, 0x0
	s_barrier
	buffer_gl0_inv
	v_cmpx_lt_u32_e64 v0, v33
	s_cbranch_execz .LBB1585_523
; %bb.521:
	s_mov_b32 s13, 0
	s_lshl_b64 s[4:5], s[10:11], 3
	s_lshl_b64 s[6:7], s[12:13], 3
	s_delay_alu instid0(SALU_CYCLE_1) | instskip(SKIP_4) | instid1(VALU_DEP_1)
	s_add_u32 s0, s4, s6
	s_addc_u32 s3, s5, s7
	s_add_u32 s0, s18, s0
	s_addc_u32 s3, s19, s3
	v_add_co_u32 v1, s0, s0, v55
	v_add_co_ci_u32_e64 v2, null, s3, 0, s0
	.p2align	6
.LBB1585_522:                           ; =>This Inner Loop Header: Depth=1
	ds_load_b64 v[3:4], v55
	v_add_nc_u32_e32 v0, 0x200, v0
	v_add_nc_u32_e32 v55, 0x1000, v55
	s_delay_alu instid0(VALU_DEP_2) | instskip(SKIP_4) | instid1(VALU_DEP_1)
	v_cmp_ge_u32_e32 vcc_lo, v0, v33
	s_or_b32 s13, vcc_lo, s13
	s_waitcnt lgkmcnt(0)
	global_store_b64 v[1:2], v[3:4], off
	v_add_co_u32 v1, s0, 0x1000, v1
	v_add_co_ci_u32_e64 v2, s0, 0, v2, s0
	s_and_not1_b32 exec_lo, exec_lo, s13
	s_cbranch_execnz .LBB1585_522
.LBB1585_523:
	s_or_b32 exec_lo, exec_lo, s1
	s_and_b32 s0, s2, s28
	s_delay_alu instid0(SALU_CYCLE_1)
	s_and_saveexec_b32 s1, s0
	s_cbranch_execnz .LBB1585_502
.LBB1585_524:
	s_nop 0
	s_sendmsg sendmsg(MSG_DEALLOC_VGPRS)
	s_endpgm
	.section	.rodata,"a",@progbits
	.p2align	6, 0x0
	.amdhsa_kernel _ZN7rocprim17ROCPRIM_400000_NS6detail17trampoline_kernelINS0_14default_configENS1_25partition_config_selectorILNS1_17partition_subalgoE9EllbEEZZNS1_14partition_implILS5_9ELb0ES3_jPlS8_PNS0_10empty_typeENS0_5tupleIJS8_S9_EEENSB_IJS8_SA_EEENS0_18inequality_wrapperIZN2at6native12_GLOBAL__N_124unique_dim_cuda_templateIjEESt5tupleIJNSF_6TensorESK_SK_EERKSK_lbbbEUlllE0_EEPmJS9_EEE10hipError_tPvRmT3_T4_T5_T6_T7_T9_mT8_P12ihipStream_tbDpT10_ENKUlT_T0_E_clISt17integral_constantIbLb1EES1A_EEDaS15_S16_EUlS15_E_NS1_11comp_targetILNS1_3genE9ELNS1_11target_archE1100ELNS1_3gpuE3ELNS1_3repE0EEENS1_30default_config_static_selectorELNS0_4arch9wavefront6targetE0EEEvT1_
		.amdhsa_group_segment_fixed_size 33804
		.amdhsa_private_segment_fixed_size 0
		.amdhsa_kernarg_size 136
		.amdhsa_user_sgpr_count 15
		.amdhsa_user_sgpr_dispatch_ptr 0
		.amdhsa_user_sgpr_queue_ptr 0
		.amdhsa_user_sgpr_kernarg_segment_ptr 1
		.amdhsa_user_sgpr_dispatch_id 0
		.amdhsa_user_sgpr_private_segment_size 0
		.amdhsa_wavefront_size32 1
		.amdhsa_uses_dynamic_stack 0
		.amdhsa_enable_private_segment 0
		.amdhsa_system_sgpr_workgroup_id_x 1
		.amdhsa_system_sgpr_workgroup_id_y 0
		.amdhsa_system_sgpr_workgroup_id_z 0
		.amdhsa_system_sgpr_workgroup_info 0
		.amdhsa_system_vgpr_workitem_id 0
		.amdhsa_next_free_vgpr 68
		.amdhsa_next_free_sgpr 40
		.amdhsa_reserve_vcc 1
		.amdhsa_float_round_mode_32 0
		.amdhsa_float_round_mode_16_64 0
		.amdhsa_float_denorm_mode_32 3
		.amdhsa_float_denorm_mode_16_64 3
		.amdhsa_dx10_clamp 1
		.amdhsa_ieee_mode 1
		.amdhsa_fp16_overflow 0
		.amdhsa_workgroup_processor_mode 1
		.amdhsa_memory_ordered 1
		.amdhsa_forward_progress 0
		.amdhsa_shared_vgpr_count 0
		.amdhsa_exception_fp_ieee_invalid_op 0
		.amdhsa_exception_fp_denorm_src 0
		.amdhsa_exception_fp_ieee_div_zero 0
		.amdhsa_exception_fp_ieee_overflow 0
		.amdhsa_exception_fp_ieee_underflow 0
		.amdhsa_exception_fp_ieee_inexact 0
		.amdhsa_exception_int_div_zero 0
	.end_amdhsa_kernel
	.section	.text._ZN7rocprim17ROCPRIM_400000_NS6detail17trampoline_kernelINS0_14default_configENS1_25partition_config_selectorILNS1_17partition_subalgoE9EllbEEZZNS1_14partition_implILS5_9ELb0ES3_jPlS8_PNS0_10empty_typeENS0_5tupleIJS8_S9_EEENSB_IJS8_SA_EEENS0_18inequality_wrapperIZN2at6native12_GLOBAL__N_124unique_dim_cuda_templateIjEESt5tupleIJNSF_6TensorESK_SK_EERKSK_lbbbEUlllE0_EEPmJS9_EEE10hipError_tPvRmT3_T4_T5_T6_T7_T9_mT8_P12ihipStream_tbDpT10_ENKUlT_T0_E_clISt17integral_constantIbLb1EES1A_EEDaS15_S16_EUlS15_E_NS1_11comp_targetILNS1_3genE9ELNS1_11target_archE1100ELNS1_3gpuE3ELNS1_3repE0EEENS1_30default_config_static_selectorELNS0_4arch9wavefront6targetE0EEEvT1_,"axG",@progbits,_ZN7rocprim17ROCPRIM_400000_NS6detail17trampoline_kernelINS0_14default_configENS1_25partition_config_selectorILNS1_17partition_subalgoE9EllbEEZZNS1_14partition_implILS5_9ELb0ES3_jPlS8_PNS0_10empty_typeENS0_5tupleIJS8_S9_EEENSB_IJS8_SA_EEENS0_18inequality_wrapperIZN2at6native12_GLOBAL__N_124unique_dim_cuda_templateIjEESt5tupleIJNSF_6TensorESK_SK_EERKSK_lbbbEUlllE0_EEPmJS9_EEE10hipError_tPvRmT3_T4_T5_T6_T7_T9_mT8_P12ihipStream_tbDpT10_ENKUlT_T0_E_clISt17integral_constantIbLb1EES1A_EEDaS15_S16_EUlS15_E_NS1_11comp_targetILNS1_3genE9ELNS1_11target_archE1100ELNS1_3gpuE3ELNS1_3repE0EEENS1_30default_config_static_selectorELNS0_4arch9wavefront6targetE0EEEvT1_,comdat
.Lfunc_end1585:
	.size	_ZN7rocprim17ROCPRIM_400000_NS6detail17trampoline_kernelINS0_14default_configENS1_25partition_config_selectorILNS1_17partition_subalgoE9EllbEEZZNS1_14partition_implILS5_9ELb0ES3_jPlS8_PNS0_10empty_typeENS0_5tupleIJS8_S9_EEENSB_IJS8_SA_EEENS0_18inequality_wrapperIZN2at6native12_GLOBAL__N_124unique_dim_cuda_templateIjEESt5tupleIJNSF_6TensorESK_SK_EERKSK_lbbbEUlllE0_EEPmJS9_EEE10hipError_tPvRmT3_T4_T5_T6_T7_T9_mT8_P12ihipStream_tbDpT10_ENKUlT_T0_E_clISt17integral_constantIbLb1EES1A_EEDaS15_S16_EUlS15_E_NS1_11comp_targetILNS1_3genE9ELNS1_11target_archE1100ELNS1_3gpuE3ELNS1_3repE0EEENS1_30default_config_static_selectorELNS0_4arch9wavefront6targetE0EEEvT1_, .Lfunc_end1585-_ZN7rocprim17ROCPRIM_400000_NS6detail17trampoline_kernelINS0_14default_configENS1_25partition_config_selectorILNS1_17partition_subalgoE9EllbEEZZNS1_14partition_implILS5_9ELb0ES3_jPlS8_PNS0_10empty_typeENS0_5tupleIJS8_S9_EEENSB_IJS8_SA_EEENS0_18inequality_wrapperIZN2at6native12_GLOBAL__N_124unique_dim_cuda_templateIjEESt5tupleIJNSF_6TensorESK_SK_EERKSK_lbbbEUlllE0_EEPmJS9_EEE10hipError_tPvRmT3_T4_T5_T6_T7_T9_mT8_P12ihipStream_tbDpT10_ENKUlT_T0_E_clISt17integral_constantIbLb1EES1A_EEDaS15_S16_EUlS15_E_NS1_11comp_targetILNS1_3genE9ELNS1_11target_archE1100ELNS1_3gpuE3ELNS1_3repE0EEENS1_30default_config_static_selectorELNS0_4arch9wavefront6targetE0EEEvT1_
                                        ; -- End function
	.section	.AMDGPU.csdata,"",@progbits
; Kernel info:
; codeLenInByte = 20732
; NumSgprs: 42
; NumVgprs: 68
; ScratchSize: 0
; MemoryBound: 0
; FloatMode: 240
; IeeeMode: 1
; LDSByteSize: 33804 bytes/workgroup (compile time only)
; SGPRBlocks: 5
; VGPRBlocks: 8
; NumSGPRsForWavesPerEU: 42
; NumVGPRsForWavesPerEU: 68
; Occupancy: 12
; WaveLimiterHint : 1
; COMPUTE_PGM_RSRC2:SCRATCH_EN: 0
; COMPUTE_PGM_RSRC2:USER_SGPR: 15
; COMPUTE_PGM_RSRC2:TRAP_HANDLER: 0
; COMPUTE_PGM_RSRC2:TGID_X_EN: 1
; COMPUTE_PGM_RSRC2:TGID_Y_EN: 0
; COMPUTE_PGM_RSRC2:TGID_Z_EN: 0
; COMPUTE_PGM_RSRC2:TIDIG_COMP_CNT: 0
	.section	.text._ZN7rocprim17ROCPRIM_400000_NS6detail17trampoline_kernelINS0_14default_configENS1_25partition_config_selectorILNS1_17partition_subalgoE9EllbEEZZNS1_14partition_implILS5_9ELb0ES3_jPlS8_PNS0_10empty_typeENS0_5tupleIJS8_S9_EEENSB_IJS8_SA_EEENS0_18inequality_wrapperIZN2at6native12_GLOBAL__N_124unique_dim_cuda_templateIjEESt5tupleIJNSF_6TensorESK_SK_EERKSK_lbbbEUlllE0_EEPmJS9_EEE10hipError_tPvRmT3_T4_T5_T6_T7_T9_mT8_P12ihipStream_tbDpT10_ENKUlT_T0_E_clISt17integral_constantIbLb1EES1A_EEDaS15_S16_EUlS15_E_NS1_11comp_targetILNS1_3genE8ELNS1_11target_archE1030ELNS1_3gpuE2ELNS1_3repE0EEENS1_30default_config_static_selectorELNS0_4arch9wavefront6targetE0EEEvT1_,"axG",@progbits,_ZN7rocprim17ROCPRIM_400000_NS6detail17trampoline_kernelINS0_14default_configENS1_25partition_config_selectorILNS1_17partition_subalgoE9EllbEEZZNS1_14partition_implILS5_9ELb0ES3_jPlS8_PNS0_10empty_typeENS0_5tupleIJS8_S9_EEENSB_IJS8_SA_EEENS0_18inequality_wrapperIZN2at6native12_GLOBAL__N_124unique_dim_cuda_templateIjEESt5tupleIJNSF_6TensorESK_SK_EERKSK_lbbbEUlllE0_EEPmJS9_EEE10hipError_tPvRmT3_T4_T5_T6_T7_T9_mT8_P12ihipStream_tbDpT10_ENKUlT_T0_E_clISt17integral_constantIbLb1EES1A_EEDaS15_S16_EUlS15_E_NS1_11comp_targetILNS1_3genE8ELNS1_11target_archE1030ELNS1_3gpuE2ELNS1_3repE0EEENS1_30default_config_static_selectorELNS0_4arch9wavefront6targetE0EEEvT1_,comdat
	.globl	_ZN7rocprim17ROCPRIM_400000_NS6detail17trampoline_kernelINS0_14default_configENS1_25partition_config_selectorILNS1_17partition_subalgoE9EllbEEZZNS1_14partition_implILS5_9ELb0ES3_jPlS8_PNS0_10empty_typeENS0_5tupleIJS8_S9_EEENSB_IJS8_SA_EEENS0_18inequality_wrapperIZN2at6native12_GLOBAL__N_124unique_dim_cuda_templateIjEESt5tupleIJNSF_6TensorESK_SK_EERKSK_lbbbEUlllE0_EEPmJS9_EEE10hipError_tPvRmT3_T4_T5_T6_T7_T9_mT8_P12ihipStream_tbDpT10_ENKUlT_T0_E_clISt17integral_constantIbLb1EES1A_EEDaS15_S16_EUlS15_E_NS1_11comp_targetILNS1_3genE8ELNS1_11target_archE1030ELNS1_3gpuE2ELNS1_3repE0EEENS1_30default_config_static_selectorELNS0_4arch9wavefront6targetE0EEEvT1_ ; -- Begin function _ZN7rocprim17ROCPRIM_400000_NS6detail17trampoline_kernelINS0_14default_configENS1_25partition_config_selectorILNS1_17partition_subalgoE9EllbEEZZNS1_14partition_implILS5_9ELb0ES3_jPlS8_PNS0_10empty_typeENS0_5tupleIJS8_S9_EEENSB_IJS8_SA_EEENS0_18inequality_wrapperIZN2at6native12_GLOBAL__N_124unique_dim_cuda_templateIjEESt5tupleIJNSF_6TensorESK_SK_EERKSK_lbbbEUlllE0_EEPmJS9_EEE10hipError_tPvRmT3_T4_T5_T6_T7_T9_mT8_P12ihipStream_tbDpT10_ENKUlT_T0_E_clISt17integral_constantIbLb1EES1A_EEDaS15_S16_EUlS15_E_NS1_11comp_targetILNS1_3genE8ELNS1_11target_archE1030ELNS1_3gpuE2ELNS1_3repE0EEENS1_30default_config_static_selectorELNS0_4arch9wavefront6targetE0EEEvT1_
	.p2align	8
	.type	_ZN7rocprim17ROCPRIM_400000_NS6detail17trampoline_kernelINS0_14default_configENS1_25partition_config_selectorILNS1_17partition_subalgoE9EllbEEZZNS1_14partition_implILS5_9ELb0ES3_jPlS8_PNS0_10empty_typeENS0_5tupleIJS8_S9_EEENSB_IJS8_SA_EEENS0_18inequality_wrapperIZN2at6native12_GLOBAL__N_124unique_dim_cuda_templateIjEESt5tupleIJNSF_6TensorESK_SK_EERKSK_lbbbEUlllE0_EEPmJS9_EEE10hipError_tPvRmT3_T4_T5_T6_T7_T9_mT8_P12ihipStream_tbDpT10_ENKUlT_T0_E_clISt17integral_constantIbLb1EES1A_EEDaS15_S16_EUlS15_E_NS1_11comp_targetILNS1_3genE8ELNS1_11target_archE1030ELNS1_3gpuE2ELNS1_3repE0EEENS1_30default_config_static_selectorELNS0_4arch9wavefront6targetE0EEEvT1_,@function
_ZN7rocprim17ROCPRIM_400000_NS6detail17trampoline_kernelINS0_14default_configENS1_25partition_config_selectorILNS1_17partition_subalgoE9EllbEEZZNS1_14partition_implILS5_9ELb0ES3_jPlS8_PNS0_10empty_typeENS0_5tupleIJS8_S9_EEENSB_IJS8_SA_EEENS0_18inequality_wrapperIZN2at6native12_GLOBAL__N_124unique_dim_cuda_templateIjEESt5tupleIJNSF_6TensorESK_SK_EERKSK_lbbbEUlllE0_EEPmJS9_EEE10hipError_tPvRmT3_T4_T5_T6_T7_T9_mT8_P12ihipStream_tbDpT10_ENKUlT_T0_E_clISt17integral_constantIbLb1EES1A_EEDaS15_S16_EUlS15_E_NS1_11comp_targetILNS1_3genE8ELNS1_11target_archE1030ELNS1_3gpuE2ELNS1_3repE0EEENS1_30default_config_static_selectorELNS0_4arch9wavefront6targetE0EEEvT1_: ; @_ZN7rocprim17ROCPRIM_400000_NS6detail17trampoline_kernelINS0_14default_configENS1_25partition_config_selectorILNS1_17partition_subalgoE9EllbEEZZNS1_14partition_implILS5_9ELb0ES3_jPlS8_PNS0_10empty_typeENS0_5tupleIJS8_S9_EEENSB_IJS8_SA_EEENS0_18inequality_wrapperIZN2at6native12_GLOBAL__N_124unique_dim_cuda_templateIjEESt5tupleIJNSF_6TensorESK_SK_EERKSK_lbbbEUlllE0_EEPmJS9_EEE10hipError_tPvRmT3_T4_T5_T6_T7_T9_mT8_P12ihipStream_tbDpT10_ENKUlT_T0_E_clISt17integral_constantIbLb1EES1A_EEDaS15_S16_EUlS15_E_NS1_11comp_targetILNS1_3genE8ELNS1_11target_archE1030ELNS1_3gpuE2ELNS1_3repE0EEENS1_30default_config_static_selectorELNS0_4arch9wavefront6targetE0EEEvT1_
; %bb.0:
	.section	.rodata,"a",@progbits
	.p2align	6, 0x0
	.amdhsa_kernel _ZN7rocprim17ROCPRIM_400000_NS6detail17trampoline_kernelINS0_14default_configENS1_25partition_config_selectorILNS1_17partition_subalgoE9EllbEEZZNS1_14partition_implILS5_9ELb0ES3_jPlS8_PNS0_10empty_typeENS0_5tupleIJS8_S9_EEENSB_IJS8_SA_EEENS0_18inequality_wrapperIZN2at6native12_GLOBAL__N_124unique_dim_cuda_templateIjEESt5tupleIJNSF_6TensorESK_SK_EERKSK_lbbbEUlllE0_EEPmJS9_EEE10hipError_tPvRmT3_T4_T5_T6_T7_T9_mT8_P12ihipStream_tbDpT10_ENKUlT_T0_E_clISt17integral_constantIbLb1EES1A_EEDaS15_S16_EUlS15_E_NS1_11comp_targetILNS1_3genE8ELNS1_11target_archE1030ELNS1_3gpuE2ELNS1_3repE0EEENS1_30default_config_static_selectorELNS0_4arch9wavefront6targetE0EEEvT1_
		.amdhsa_group_segment_fixed_size 0
		.amdhsa_private_segment_fixed_size 0
		.amdhsa_kernarg_size 136
		.amdhsa_user_sgpr_count 15
		.amdhsa_user_sgpr_dispatch_ptr 0
		.amdhsa_user_sgpr_queue_ptr 0
		.amdhsa_user_sgpr_kernarg_segment_ptr 1
		.amdhsa_user_sgpr_dispatch_id 0
		.amdhsa_user_sgpr_private_segment_size 0
		.amdhsa_wavefront_size32 1
		.amdhsa_uses_dynamic_stack 0
		.amdhsa_enable_private_segment 0
		.amdhsa_system_sgpr_workgroup_id_x 1
		.amdhsa_system_sgpr_workgroup_id_y 0
		.amdhsa_system_sgpr_workgroup_id_z 0
		.amdhsa_system_sgpr_workgroup_info 0
		.amdhsa_system_vgpr_workitem_id 0
		.amdhsa_next_free_vgpr 1
		.amdhsa_next_free_sgpr 1
		.amdhsa_reserve_vcc 0
		.amdhsa_float_round_mode_32 0
		.amdhsa_float_round_mode_16_64 0
		.amdhsa_float_denorm_mode_32 3
		.amdhsa_float_denorm_mode_16_64 3
		.amdhsa_dx10_clamp 1
		.amdhsa_ieee_mode 1
		.amdhsa_fp16_overflow 0
		.amdhsa_workgroup_processor_mode 1
		.amdhsa_memory_ordered 1
		.amdhsa_forward_progress 0
		.amdhsa_shared_vgpr_count 0
		.amdhsa_exception_fp_ieee_invalid_op 0
		.amdhsa_exception_fp_denorm_src 0
		.amdhsa_exception_fp_ieee_div_zero 0
		.amdhsa_exception_fp_ieee_overflow 0
		.amdhsa_exception_fp_ieee_underflow 0
		.amdhsa_exception_fp_ieee_inexact 0
		.amdhsa_exception_int_div_zero 0
	.end_amdhsa_kernel
	.section	.text._ZN7rocprim17ROCPRIM_400000_NS6detail17trampoline_kernelINS0_14default_configENS1_25partition_config_selectorILNS1_17partition_subalgoE9EllbEEZZNS1_14partition_implILS5_9ELb0ES3_jPlS8_PNS0_10empty_typeENS0_5tupleIJS8_S9_EEENSB_IJS8_SA_EEENS0_18inequality_wrapperIZN2at6native12_GLOBAL__N_124unique_dim_cuda_templateIjEESt5tupleIJNSF_6TensorESK_SK_EERKSK_lbbbEUlllE0_EEPmJS9_EEE10hipError_tPvRmT3_T4_T5_T6_T7_T9_mT8_P12ihipStream_tbDpT10_ENKUlT_T0_E_clISt17integral_constantIbLb1EES1A_EEDaS15_S16_EUlS15_E_NS1_11comp_targetILNS1_3genE8ELNS1_11target_archE1030ELNS1_3gpuE2ELNS1_3repE0EEENS1_30default_config_static_selectorELNS0_4arch9wavefront6targetE0EEEvT1_,"axG",@progbits,_ZN7rocprim17ROCPRIM_400000_NS6detail17trampoline_kernelINS0_14default_configENS1_25partition_config_selectorILNS1_17partition_subalgoE9EllbEEZZNS1_14partition_implILS5_9ELb0ES3_jPlS8_PNS0_10empty_typeENS0_5tupleIJS8_S9_EEENSB_IJS8_SA_EEENS0_18inequality_wrapperIZN2at6native12_GLOBAL__N_124unique_dim_cuda_templateIjEESt5tupleIJNSF_6TensorESK_SK_EERKSK_lbbbEUlllE0_EEPmJS9_EEE10hipError_tPvRmT3_T4_T5_T6_T7_T9_mT8_P12ihipStream_tbDpT10_ENKUlT_T0_E_clISt17integral_constantIbLb1EES1A_EEDaS15_S16_EUlS15_E_NS1_11comp_targetILNS1_3genE8ELNS1_11target_archE1030ELNS1_3gpuE2ELNS1_3repE0EEENS1_30default_config_static_selectorELNS0_4arch9wavefront6targetE0EEEvT1_,comdat
.Lfunc_end1586:
	.size	_ZN7rocprim17ROCPRIM_400000_NS6detail17trampoline_kernelINS0_14default_configENS1_25partition_config_selectorILNS1_17partition_subalgoE9EllbEEZZNS1_14partition_implILS5_9ELb0ES3_jPlS8_PNS0_10empty_typeENS0_5tupleIJS8_S9_EEENSB_IJS8_SA_EEENS0_18inequality_wrapperIZN2at6native12_GLOBAL__N_124unique_dim_cuda_templateIjEESt5tupleIJNSF_6TensorESK_SK_EERKSK_lbbbEUlllE0_EEPmJS9_EEE10hipError_tPvRmT3_T4_T5_T6_T7_T9_mT8_P12ihipStream_tbDpT10_ENKUlT_T0_E_clISt17integral_constantIbLb1EES1A_EEDaS15_S16_EUlS15_E_NS1_11comp_targetILNS1_3genE8ELNS1_11target_archE1030ELNS1_3gpuE2ELNS1_3repE0EEENS1_30default_config_static_selectorELNS0_4arch9wavefront6targetE0EEEvT1_, .Lfunc_end1586-_ZN7rocprim17ROCPRIM_400000_NS6detail17trampoline_kernelINS0_14default_configENS1_25partition_config_selectorILNS1_17partition_subalgoE9EllbEEZZNS1_14partition_implILS5_9ELb0ES3_jPlS8_PNS0_10empty_typeENS0_5tupleIJS8_S9_EEENSB_IJS8_SA_EEENS0_18inequality_wrapperIZN2at6native12_GLOBAL__N_124unique_dim_cuda_templateIjEESt5tupleIJNSF_6TensorESK_SK_EERKSK_lbbbEUlllE0_EEPmJS9_EEE10hipError_tPvRmT3_T4_T5_T6_T7_T9_mT8_P12ihipStream_tbDpT10_ENKUlT_T0_E_clISt17integral_constantIbLb1EES1A_EEDaS15_S16_EUlS15_E_NS1_11comp_targetILNS1_3genE8ELNS1_11target_archE1030ELNS1_3gpuE2ELNS1_3repE0EEENS1_30default_config_static_selectorELNS0_4arch9wavefront6targetE0EEEvT1_
                                        ; -- End function
	.section	.AMDGPU.csdata,"",@progbits
; Kernel info:
; codeLenInByte = 0
; NumSgprs: 0
; NumVgprs: 0
; ScratchSize: 0
; MemoryBound: 0
; FloatMode: 240
; IeeeMode: 1
; LDSByteSize: 0 bytes/workgroup (compile time only)
; SGPRBlocks: 0
; VGPRBlocks: 0
; NumSGPRsForWavesPerEU: 1
; NumVGPRsForWavesPerEU: 1
; Occupancy: 16
; WaveLimiterHint : 0
; COMPUTE_PGM_RSRC2:SCRATCH_EN: 0
; COMPUTE_PGM_RSRC2:USER_SGPR: 15
; COMPUTE_PGM_RSRC2:TRAP_HANDLER: 0
; COMPUTE_PGM_RSRC2:TGID_X_EN: 1
; COMPUTE_PGM_RSRC2:TGID_Y_EN: 0
; COMPUTE_PGM_RSRC2:TGID_Z_EN: 0
; COMPUTE_PGM_RSRC2:TIDIG_COMP_CNT: 0
	.section	.text._ZN7rocprim17ROCPRIM_400000_NS6detail17trampoline_kernelINS0_14default_configENS1_25partition_config_selectorILNS1_17partition_subalgoE9EllbEEZZNS1_14partition_implILS5_9ELb0ES3_jPlS8_PNS0_10empty_typeENS0_5tupleIJS8_S9_EEENSB_IJS8_SA_EEENS0_18inequality_wrapperIZN2at6native12_GLOBAL__N_124unique_dim_cuda_templateIjEESt5tupleIJNSF_6TensorESK_SK_EERKSK_lbbbEUlllE0_EEPmJS9_EEE10hipError_tPvRmT3_T4_T5_T6_T7_T9_mT8_P12ihipStream_tbDpT10_ENKUlT_T0_E_clISt17integral_constantIbLb1EES19_IbLb0EEEEDaS15_S16_EUlS15_E_NS1_11comp_targetILNS1_3genE0ELNS1_11target_archE4294967295ELNS1_3gpuE0ELNS1_3repE0EEENS1_30default_config_static_selectorELNS0_4arch9wavefront6targetE0EEEvT1_,"axG",@progbits,_ZN7rocprim17ROCPRIM_400000_NS6detail17trampoline_kernelINS0_14default_configENS1_25partition_config_selectorILNS1_17partition_subalgoE9EllbEEZZNS1_14partition_implILS5_9ELb0ES3_jPlS8_PNS0_10empty_typeENS0_5tupleIJS8_S9_EEENSB_IJS8_SA_EEENS0_18inequality_wrapperIZN2at6native12_GLOBAL__N_124unique_dim_cuda_templateIjEESt5tupleIJNSF_6TensorESK_SK_EERKSK_lbbbEUlllE0_EEPmJS9_EEE10hipError_tPvRmT3_T4_T5_T6_T7_T9_mT8_P12ihipStream_tbDpT10_ENKUlT_T0_E_clISt17integral_constantIbLb1EES19_IbLb0EEEEDaS15_S16_EUlS15_E_NS1_11comp_targetILNS1_3genE0ELNS1_11target_archE4294967295ELNS1_3gpuE0ELNS1_3repE0EEENS1_30default_config_static_selectorELNS0_4arch9wavefront6targetE0EEEvT1_,comdat
	.globl	_ZN7rocprim17ROCPRIM_400000_NS6detail17trampoline_kernelINS0_14default_configENS1_25partition_config_selectorILNS1_17partition_subalgoE9EllbEEZZNS1_14partition_implILS5_9ELb0ES3_jPlS8_PNS0_10empty_typeENS0_5tupleIJS8_S9_EEENSB_IJS8_SA_EEENS0_18inequality_wrapperIZN2at6native12_GLOBAL__N_124unique_dim_cuda_templateIjEESt5tupleIJNSF_6TensorESK_SK_EERKSK_lbbbEUlllE0_EEPmJS9_EEE10hipError_tPvRmT3_T4_T5_T6_T7_T9_mT8_P12ihipStream_tbDpT10_ENKUlT_T0_E_clISt17integral_constantIbLb1EES19_IbLb0EEEEDaS15_S16_EUlS15_E_NS1_11comp_targetILNS1_3genE0ELNS1_11target_archE4294967295ELNS1_3gpuE0ELNS1_3repE0EEENS1_30default_config_static_selectorELNS0_4arch9wavefront6targetE0EEEvT1_ ; -- Begin function _ZN7rocprim17ROCPRIM_400000_NS6detail17trampoline_kernelINS0_14default_configENS1_25partition_config_selectorILNS1_17partition_subalgoE9EllbEEZZNS1_14partition_implILS5_9ELb0ES3_jPlS8_PNS0_10empty_typeENS0_5tupleIJS8_S9_EEENSB_IJS8_SA_EEENS0_18inequality_wrapperIZN2at6native12_GLOBAL__N_124unique_dim_cuda_templateIjEESt5tupleIJNSF_6TensorESK_SK_EERKSK_lbbbEUlllE0_EEPmJS9_EEE10hipError_tPvRmT3_T4_T5_T6_T7_T9_mT8_P12ihipStream_tbDpT10_ENKUlT_T0_E_clISt17integral_constantIbLb1EES19_IbLb0EEEEDaS15_S16_EUlS15_E_NS1_11comp_targetILNS1_3genE0ELNS1_11target_archE4294967295ELNS1_3gpuE0ELNS1_3repE0EEENS1_30default_config_static_selectorELNS0_4arch9wavefront6targetE0EEEvT1_
	.p2align	8
	.type	_ZN7rocprim17ROCPRIM_400000_NS6detail17trampoline_kernelINS0_14default_configENS1_25partition_config_selectorILNS1_17partition_subalgoE9EllbEEZZNS1_14partition_implILS5_9ELb0ES3_jPlS8_PNS0_10empty_typeENS0_5tupleIJS8_S9_EEENSB_IJS8_SA_EEENS0_18inequality_wrapperIZN2at6native12_GLOBAL__N_124unique_dim_cuda_templateIjEESt5tupleIJNSF_6TensorESK_SK_EERKSK_lbbbEUlllE0_EEPmJS9_EEE10hipError_tPvRmT3_T4_T5_T6_T7_T9_mT8_P12ihipStream_tbDpT10_ENKUlT_T0_E_clISt17integral_constantIbLb1EES19_IbLb0EEEEDaS15_S16_EUlS15_E_NS1_11comp_targetILNS1_3genE0ELNS1_11target_archE4294967295ELNS1_3gpuE0ELNS1_3repE0EEENS1_30default_config_static_selectorELNS0_4arch9wavefront6targetE0EEEvT1_,@function
_ZN7rocprim17ROCPRIM_400000_NS6detail17trampoline_kernelINS0_14default_configENS1_25partition_config_selectorILNS1_17partition_subalgoE9EllbEEZZNS1_14partition_implILS5_9ELb0ES3_jPlS8_PNS0_10empty_typeENS0_5tupleIJS8_S9_EEENSB_IJS8_SA_EEENS0_18inequality_wrapperIZN2at6native12_GLOBAL__N_124unique_dim_cuda_templateIjEESt5tupleIJNSF_6TensorESK_SK_EERKSK_lbbbEUlllE0_EEPmJS9_EEE10hipError_tPvRmT3_T4_T5_T6_T7_T9_mT8_P12ihipStream_tbDpT10_ENKUlT_T0_E_clISt17integral_constantIbLb1EES19_IbLb0EEEEDaS15_S16_EUlS15_E_NS1_11comp_targetILNS1_3genE0ELNS1_11target_archE4294967295ELNS1_3gpuE0ELNS1_3repE0EEENS1_30default_config_static_selectorELNS0_4arch9wavefront6targetE0EEEvT1_: ; @_ZN7rocprim17ROCPRIM_400000_NS6detail17trampoline_kernelINS0_14default_configENS1_25partition_config_selectorILNS1_17partition_subalgoE9EllbEEZZNS1_14partition_implILS5_9ELb0ES3_jPlS8_PNS0_10empty_typeENS0_5tupleIJS8_S9_EEENSB_IJS8_SA_EEENS0_18inequality_wrapperIZN2at6native12_GLOBAL__N_124unique_dim_cuda_templateIjEESt5tupleIJNSF_6TensorESK_SK_EERKSK_lbbbEUlllE0_EEPmJS9_EEE10hipError_tPvRmT3_T4_T5_T6_T7_T9_mT8_P12ihipStream_tbDpT10_ENKUlT_T0_E_clISt17integral_constantIbLb1EES19_IbLb0EEEEDaS15_S16_EUlS15_E_NS1_11comp_targetILNS1_3genE0ELNS1_11target_archE4294967295ELNS1_3gpuE0ELNS1_3repE0EEENS1_30default_config_static_selectorELNS0_4arch9wavefront6targetE0EEEvT1_
; %bb.0:
	.section	.rodata,"a",@progbits
	.p2align	6, 0x0
	.amdhsa_kernel _ZN7rocprim17ROCPRIM_400000_NS6detail17trampoline_kernelINS0_14default_configENS1_25partition_config_selectorILNS1_17partition_subalgoE9EllbEEZZNS1_14partition_implILS5_9ELb0ES3_jPlS8_PNS0_10empty_typeENS0_5tupleIJS8_S9_EEENSB_IJS8_SA_EEENS0_18inequality_wrapperIZN2at6native12_GLOBAL__N_124unique_dim_cuda_templateIjEESt5tupleIJNSF_6TensorESK_SK_EERKSK_lbbbEUlllE0_EEPmJS9_EEE10hipError_tPvRmT3_T4_T5_T6_T7_T9_mT8_P12ihipStream_tbDpT10_ENKUlT_T0_E_clISt17integral_constantIbLb1EES19_IbLb0EEEEDaS15_S16_EUlS15_E_NS1_11comp_targetILNS1_3genE0ELNS1_11target_archE4294967295ELNS1_3gpuE0ELNS1_3repE0EEENS1_30default_config_static_selectorELNS0_4arch9wavefront6targetE0EEEvT1_
		.amdhsa_group_segment_fixed_size 0
		.amdhsa_private_segment_fixed_size 0
		.amdhsa_kernarg_size 120
		.amdhsa_user_sgpr_count 15
		.amdhsa_user_sgpr_dispatch_ptr 0
		.amdhsa_user_sgpr_queue_ptr 0
		.amdhsa_user_sgpr_kernarg_segment_ptr 1
		.amdhsa_user_sgpr_dispatch_id 0
		.amdhsa_user_sgpr_private_segment_size 0
		.amdhsa_wavefront_size32 1
		.amdhsa_uses_dynamic_stack 0
		.amdhsa_enable_private_segment 0
		.amdhsa_system_sgpr_workgroup_id_x 1
		.amdhsa_system_sgpr_workgroup_id_y 0
		.amdhsa_system_sgpr_workgroup_id_z 0
		.amdhsa_system_sgpr_workgroup_info 0
		.amdhsa_system_vgpr_workitem_id 0
		.amdhsa_next_free_vgpr 1
		.amdhsa_next_free_sgpr 1
		.amdhsa_reserve_vcc 0
		.amdhsa_float_round_mode_32 0
		.amdhsa_float_round_mode_16_64 0
		.amdhsa_float_denorm_mode_32 3
		.amdhsa_float_denorm_mode_16_64 3
		.amdhsa_dx10_clamp 1
		.amdhsa_ieee_mode 1
		.amdhsa_fp16_overflow 0
		.amdhsa_workgroup_processor_mode 1
		.amdhsa_memory_ordered 1
		.amdhsa_forward_progress 0
		.amdhsa_shared_vgpr_count 0
		.amdhsa_exception_fp_ieee_invalid_op 0
		.amdhsa_exception_fp_denorm_src 0
		.amdhsa_exception_fp_ieee_div_zero 0
		.amdhsa_exception_fp_ieee_overflow 0
		.amdhsa_exception_fp_ieee_underflow 0
		.amdhsa_exception_fp_ieee_inexact 0
		.amdhsa_exception_int_div_zero 0
	.end_amdhsa_kernel
	.section	.text._ZN7rocprim17ROCPRIM_400000_NS6detail17trampoline_kernelINS0_14default_configENS1_25partition_config_selectorILNS1_17partition_subalgoE9EllbEEZZNS1_14partition_implILS5_9ELb0ES3_jPlS8_PNS0_10empty_typeENS0_5tupleIJS8_S9_EEENSB_IJS8_SA_EEENS0_18inequality_wrapperIZN2at6native12_GLOBAL__N_124unique_dim_cuda_templateIjEESt5tupleIJNSF_6TensorESK_SK_EERKSK_lbbbEUlllE0_EEPmJS9_EEE10hipError_tPvRmT3_T4_T5_T6_T7_T9_mT8_P12ihipStream_tbDpT10_ENKUlT_T0_E_clISt17integral_constantIbLb1EES19_IbLb0EEEEDaS15_S16_EUlS15_E_NS1_11comp_targetILNS1_3genE0ELNS1_11target_archE4294967295ELNS1_3gpuE0ELNS1_3repE0EEENS1_30default_config_static_selectorELNS0_4arch9wavefront6targetE0EEEvT1_,"axG",@progbits,_ZN7rocprim17ROCPRIM_400000_NS6detail17trampoline_kernelINS0_14default_configENS1_25partition_config_selectorILNS1_17partition_subalgoE9EllbEEZZNS1_14partition_implILS5_9ELb0ES3_jPlS8_PNS0_10empty_typeENS0_5tupleIJS8_S9_EEENSB_IJS8_SA_EEENS0_18inequality_wrapperIZN2at6native12_GLOBAL__N_124unique_dim_cuda_templateIjEESt5tupleIJNSF_6TensorESK_SK_EERKSK_lbbbEUlllE0_EEPmJS9_EEE10hipError_tPvRmT3_T4_T5_T6_T7_T9_mT8_P12ihipStream_tbDpT10_ENKUlT_T0_E_clISt17integral_constantIbLb1EES19_IbLb0EEEEDaS15_S16_EUlS15_E_NS1_11comp_targetILNS1_3genE0ELNS1_11target_archE4294967295ELNS1_3gpuE0ELNS1_3repE0EEENS1_30default_config_static_selectorELNS0_4arch9wavefront6targetE0EEEvT1_,comdat
.Lfunc_end1587:
	.size	_ZN7rocprim17ROCPRIM_400000_NS6detail17trampoline_kernelINS0_14default_configENS1_25partition_config_selectorILNS1_17partition_subalgoE9EllbEEZZNS1_14partition_implILS5_9ELb0ES3_jPlS8_PNS0_10empty_typeENS0_5tupleIJS8_S9_EEENSB_IJS8_SA_EEENS0_18inequality_wrapperIZN2at6native12_GLOBAL__N_124unique_dim_cuda_templateIjEESt5tupleIJNSF_6TensorESK_SK_EERKSK_lbbbEUlllE0_EEPmJS9_EEE10hipError_tPvRmT3_T4_T5_T6_T7_T9_mT8_P12ihipStream_tbDpT10_ENKUlT_T0_E_clISt17integral_constantIbLb1EES19_IbLb0EEEEDaS15_S16_EUlS15_E_NS1_11comp_targetILNS1_3genE0ELNS1_11target_archE4294967295ELNS1_3gpuE0ELNS1_3repE0EEENS1_30default_config_static_selectorELNS0_4arch9wavefront6targetE0EEEvT1_, .Lfunc_end1587-_ZN7rocprim17ROCPRIM_400000_NS6detail17trampoline_kernelINS0_14default_configENS1_25partition_config_selectorILNS1_17partition_subalgoE9EllbEEZZNS1_14partition_implILS5_9ELb0ES3_jPlS8_PNS0_10empty_typeENS0_5tupleIJS8_S9_EEENSB_IJS8_SA_EEENS0_18inequality_wrapperIZN2at6native12_GLOBAL__N_124unique_dim_cuda_templateIjEESt5tupleIJNSF_6TensorESK_SK_EERKSK_lbbbEUlllE0_EEPmJS9_EEE10hipError_tPvRmT3_T4_T5_T6_T7_T9_mT8_P12ihipStream_tbDpT10_ENKUlT_T0_E_clISt17integral_constantIbLb1EES19_IbLb0EEEEDaS15_S16_EUlS15_E_NS1_11comp_targetILNS1_3genE0ELNS1_11target_archE4294967295ELNS1_3gpuE0ELNS1_3repE0EEENS1_30default_config_static_selectorELNS0_4arch9wavefront6targetE0EEEvT1_
                                        ; -- End function
	.section	.AMDGPU.csdata,"",@progbits
; Kernel info:
; codeLenInByte = 0
; NumSgprs: 0
; NumVgprs: 0
; ScratchSize: 0
; MemoryBound: 0
; FloatMode: 240
; IeeeMode: 1
; LDSByteSize: 0 bytes/workgroup (compile time only)
; SGPRBlocks: 0
; VGPRBlocks: 0
; NumSGPRsForWavesPerEU: 1
; NumVGPRsForWavesPerEU: 1
; Occupancy: 16
; WaveLimiterHint : 0
; COMPUTE_PGM_RSRC2:SCRATCH_EN: 0
; COMPUTE_PGM_RSRC2:USER_SGPR: 15
; COMPUTE_PGM_RSRC2:TRAP_HANDLER: 0
; COMPUTE_PGM_RSRC2:TGID_X_EN: 1
; COMPUTE_PGM_RSRC2:TGID_Y_EN: 0
; COMPUTE_PGM_RSRC2:TGID_Z_EN: 0
; COMPUTE_PGM_RSRC2:TIDIG_COMP_CNT: 0
	.section	.text._ZN7rocprim17ROCPRIM_400000_NS6detail17trampoline_kernelINS0_14default_configENS1_25partition_config_selectorILNS1_17partition_subalgoE9EllbEEZZNS1_14partition_implILS5_9ELb0ES3_jPlS8_PNS0_10empty_typeENS0_5tupleIJS8_S9_EEENSB_IJS8_SA_EEENS0_18inequality_wrapperIZN2at6native12_GLOBAL__N_124unique_dim_cuda_templateIjEESt5tupleIJNSF_6TensorESK_SK_EERKSK_lbbbEUlllE0_EEPmJS9_EEE10hipError_tPvRmT3_T4_T5_T6_T7_T9_mT8_P12ihipStream_tbDpT10_ENKUlT_T0_E_clISt17integral_constantIbLb1EES19_IbLb0EEEEDaS15_S16_EUlS15_E_NS1_11comp_targetILNS1_3genE5ELNS1_11target_archE942ELNS1_3gpuE9ELNS1_3repE0EEENS1_30default_config_static_selectorELNS0_4arch9wavefront6targetE0EEEvT1_,"axG",@progbits,_ZN7rocprim17ROCPRIM_400000_NS6detail17trampoline_kernelINS0_14default_configENS1_25partition_config_selectorILNS1_17partition_subalgoE9EllbEEZZNS1_14partition_implILS5_9ELb0ES3_jPlS8_PNS0_10empty_typeENS0_5tupleIJS8_S9_EEENSB_IJS8_SA_EEENS0_18inequality_wrapperIZN2at6native12_GLOBAL__N_124unique_dim_cuda_templateIjEESt5tupleIJNSF_6TensorESK_SK_EERKSK_lbbbEUlllE0_EEPmJS9_EEE10hipError_tPvRmT3_T4_T5_T6_T7_T9_mT8_P12ihipStream_tbDpT10_ENKUlT_T0_E_clISt17integral_constantIbLb1EES19_IbLb0EEEEDaS15_S16_EUlS15_E_NS1_11comp_targetILNS1_3genE5ELNS1_11target_archE942ELNS1_3gpuE9ELNS1_3repE0EEENS1_30default_config_static_selectorELNS0_4arch9wavefront6targetE0EEEvT1_,comdat
	.globl	_ZN7rocprim17ROCPRIM_400000_NS6detail17trampoline_kernelINS0_14default_configENS1_25partition_config_selectorILNS1_17partition_subalgoE9EllbEEZZNS1_14partition_implILS5_9ELb0ES3_jPlS8_PNS0_10empty_typeENS0_5tupleIJS8_S9_EEENSB_IJS8_SA_EEENS0_18inequality_wrapperIZN2at6native12_GLOBAL__N_124unique_dim_cuda_templateIjEESt5tupleIJNSF_6TensorESK_SK_EERKSK_lbbbEUlllE0_EEPmJS9_EEE10hipError_tPvRmT3_T4_T5_T6_T7_T9_mT8_P12ihipStream_tbDpT10_ENKUlT_T0_E_clISt17integral_constantIbLb1EES19_IbLb0EEEEDaS15_S16_EUlS15_E_NS1_11comp_targetILNS1_3genE5ELNS1_11target_archE942ELNS1_3gpuE9ELNS1_3repE0EEENS1_30default_config_static_selectorELNS0_4arch9wavefront6targetE0EEEvT1_ ; -- Begin function _ZN7rocprim17ROCPRIM_400000_NS6detail17trampoline_kernelINS0_14default_configENS1_25partition_config_selectorILNS1_17partition_subalgoE9EllbEEZZNS1_14partition_implILS5_9ELb0ES3_jPlS8_PNS0_10empty_typeENS0_5tupleIJS8_S9_EEENSB_IJS8_SA_EEENS0_18inequality_wrapperIZN2at6native12_GLOBAL__N_124unique_dim_cuda_templateIjEESt5tupleIJNSF_6TensorESK_SK_EERKSK_lbbbEUlllE0_EEPmJS9_EEE10hipError_tPvRmT3_T4_T5_T6_T7_T9_mT8_P12ihipStream_tbDpT10_ENKUlT_T0_E_clISt17integral_constantIbLb1EES19_IbLb0EEEEDaS15_S16_EUlS15_E_NS1_11comp_targetILNS1_3genE5ELNS1_11target_archE942ELNS1_3gpuE9ELNS1_3repE0EEENS1_30default_config_static_selectorELNS0_4arch9wavefront6targetE0EEEvT1_
	.p2align	8
	.type	_ZN7rocprim17ROCPRIM_400000_NS6detail17trampoline_kernelINS0_14default_configENS1_25partition_config_selectorILNS1_17partition_subalgoE9EllbEEZZNS1_14partition_implILS5_9ELb0ES3_jPlS8_PNS0_10empty_typeENS0_5tupleIJS8_S9_EEENSB_IJS8_SA_EEENS0_18inequality_wrapperIZN2at6native12_GLOBAL__N_124unique_dim_cuda_templateIjEESt5tupleIJNSF_6TensorESK_SK_EERKSK_lbbbEUlllE0_EEPmJS9_EEE10hipError_tPvRmT3_T4_T5_T6_T7_T9_mT8_P12ihipStream_tbDpT10_ENKUlT_T0_E_clISt17integral_constantIbLb1EES19_IbLb0EEEEDaS15_S16_EUlS15_E_NS1_11comp_targetILNS1_3genE5ELNS1_11target_archE942ELNS1_3gpuE9ELNS1_3repE0EEENS1_30default_config_static_selectorELNS0_4arch9wavefront6targetE0EEEvT1_,@function
_ZN7rocprim17ROCPRIM_400000_NS6detail17trampoline_kernelINS0_14default_configENS1_25partition_config_selectorILNS1_17partition_subalgoE9EllbEEZZNS1_14partition_implILS5_9ELb0ES3_jPlS8_PNS0_10empty_typeENS0_5tupleIJS8_S9_EEENSB_IJS8_SA_EEENS0_18inequality_wrapperIZN2at6native12_GLOBAL__N_124unique_dim_cuda_templateIjEESt5tupleIJNSF_6TensorESK_SK_EERKSK_lbbbEUlllE0_EEPmJS9_EEE10hipError_tPvRmT3_T4_T5_T6_T7_T9_mT8_P12ihipStream_tbDpT10_ENKUlT_T0_E_clISt17integral_constantIbLb1EES19_IbLb0EEEEDaS15_S16_EUlS15_E_NS1_11comp_targetILNS1_3genE5ELNS1_11target_archE942ELNS1_3gpuE9ELNS1_3repE0EEENS1_30default_config_static_selectorELNS0_4arch9wavefront6targetE0EEEvT1_: ; @_ZN7rocprim17ROCPRIM_400000_NS6detail17trampoline_kernelINS0_14default_configENS1_25partition_config_selectorILNS1_17partition_subalgoE9EllbEEZZNS1_14partition_implILS5_9ELb0ES3_jPlS8_PNS0_10empty_typeENS0_5tupleIJS8_S9_EEENSB_IJS8_SA_EEENS0_18inequality_wrapperIZN2at6native12_GLOBAL__N_124unique_dim_cuda_templateIjEESt5tupleIJNSF_6TensorESK_SK_EERKSK_lbbbEUlllE0_EEPmJS9_EEE10hipError_tPvRmT3_T4_T5_T6_T7_T9_mT8_P12ihipStream_tbDpT10_ENKUlT_T0_E_clISt17integral_constantIbLb1EES19_IbLb0EEEEDaS15_S16_EUlS15_E_NS1_11comp_targetILNS1_3genE5ELNS1_11target_archE942ELNS1_3gpuE9ELNS1_3repE0EEENS1_30default_config_static_selectorELNS0_4arch9wavefront6targetE0EEEvT1_
; %bb.0:
	.section	.rodata,"a",@progbits
	.p2align	6, 0x0
	.amdhsa_kernel _ZN7rocprim17ROCPRIM_400000_NS6detail17trampoline_kernelINS0_14default_configENS1_25partition_config_selectorILNS1_17partition_subalgoE9EllbEEZZNS1_14partition_implILS5_9ELb0ES3_jPlS8_PNS0_10empty_typeENS0_5tupleIJS8_S9_EEENSB_IJS8_SA_EEENS0_18inequality_wrapperIZN2at6native12_GLOBAL__N_124unique_dim_cuda_templateIjEESt5tupleIJNSF_6TensorESK_SK_EERKSK_lbbbEUlllE0_EEPmJS9_EEE10hipError_tPvRmT3_T4_T5_T6_T7_T9_mT8_P12ihipStream_tbDpT10_ENKUlT_T0_E_clISt17integral_constantIbLb1EES19_IbLb0EEEEDaS15_S16_EUlS15_E_NS1_11comp_targetILNS1_3genE5ELNS1_11target_archE942ELNS1_3gpuE9ELNS1_3repE0EEENS1_30default_config_static_selectorELNS0_4arch9wavefront6targetE0EEEvT1_
		.amdhsa_group_segment_fixed_size 0
		.amdhsa_private_segment_fixed_size 0
		.amdhsa_kernarg_size 120
		.amdhsa_user_sgpr_count 15
		.amdhsa_user_sgpr_dispatch_ptr 0
		.amdhsa_user_sgpr_queue_ptr 0
		.amdhsa_user_sgpr_kernarg_segment_ptr 1
		.amdhsa_user_sgpr_dispatch_id 0
		.amdhsa_user_sgpr_private_segment_size 0
		.amdhsa_wavefront_size32 1
		.amdhsa_uses_dynamic_stack 0
		.amdhsa_enable_private_segment 0
		.amdhsa_system_sgpr_workgroup_id_x 1
		.amdhsa_system_sgpr_workgroup_id_y 0
		.amdhsa_system_sgpr_workgroup_id_z 0
		.amdhsa_system_sgpr_workgroup_info 0
		.amdhsa_system_vgpr_workitem_id 0
		.amdhsa_next_free_vgpr 1
		.amdhsa_next_free_sgpr 1
		.amdhsa_reserve_vcc 0
		.amdhsa_float_round_mode_32 0
		.amdhsa_float_round_mode_16_64 0
		.amdhsa_float_denorm_mode_32 3
		.amdhsa_float_denorm_mode_16_64 3
		.amdhsa_dx10_clamp 1
		.amdhsa_ieee_mode 1
		.amdhsa_fp16_overflow 0
		.amdhsa_workgroup_processor_mode 1
		.amdhsa_memory_ordered 1
		.amdhsa_forward_progress 0
		.amdhsa_shared_vgpr_count 0
		.amdhsa_exception_fp_ieee_invalid_op 0
		.amdhsa_exception_fp_denorm_src 0
		.amdhsa_exception_fp_ieee_div_zero 0
		.amdhsa_exception_fp_ieee_overflow 0
		.amdhsa_exception_fp_ieee_underflow 0
		.amdhsa_exception_fp_ieee_inexact 0
		.amdhsa_exception_int_div_zero 0
	.end_amdhsa_kernel
	.section	.text._ZN7rocprim17ROCPRIM_400000_NS6detail17trampoline_kernelINS0_14default_configENS1_25partition_config_selectorILNS1_17partition_subalgoE9EllbEEZZNS1_14partition_implILS5_9ELb0ES3_jPlS8_PNS0_10empty_typeENS0_5tupleIJS8_S9_EEENSB_IJS8_SA_EEENS0_18inequality_wrapperIZN2at6native12_GLOBAL__N_124unique_dim_cuda_templateIjEESt5tupleIJNSF_6TensorESK_SK_EERKSK_lbbbEUlllE0_EEPmJS9_EEE10hipError_tPvRmT3_T4_T5_T6_T7_T9_mT8_P12ihipStream_tbDpT10_ENKUlT_T0_E_clISt17integral_constantIbLb1EES19_IbLb0EEEEDaS15_S16_EUlS15_E_NS1_11comp_targetILNS1_3genE5ELNS1_11target_archE942ELNS1_3gpuE9ELNS1_3repE0EEENS1_30default_config_static_selectorELNS0_4arch9wavefront6targetE0EEEvT1_,"axG",@progbits,_ZN7rocprim17ROCPRIM_400000_NS6detail17trampoline_kernelINS0_14default_configENS1_25partition_config_selectorILNS1_17partition_subalgoE9EllbEEZZNS1_14partition_implILS5_9ELb0ES3_jPlS8_PNS0_10empty_typeENS0_5tupleIJS8_S9_EEENSB_IJS8_SA_EEENS0_18inequality_wrapperIZN2at6native12_GLOBAL__N_124unique_dim_cuda_templateIjEESt5tupleIJNSF_6TensorESK_SK_EERKSK_lbbbEUlllE0_EEPmJS9_EEE10hipError_tPvRmT3_T4_T5_T6_T7_T9_mT8_P12ihipStream_tbDpT10_ENKUlT_T0_E_clISt17integral_constantIbLb1EES19_IbLb0EEEEDaS15_S16_EUlS15_E_NS1_11comp_targetILNS1_3genE5ELNS1_11target_archE942ELNS1_3gpuE9ELNS1_3repE0EEENS1_30default_config_static_selectorELNS0_4arch9wavefront6targetE0EEEvT1_,comdat
.Lfunc_end1588:
	.size	_ZN7rocprim17ROCPRIM_400000_NS6detail17trampoline_kernelINS0_14default_configENS1_25partition_config_selectorILNS1_17partition_subalgoE9EllbEEZZNS1_14partition_implILS5_9ELb0ES3_jPlS8_PNS0_10empty_typeENS0_5tupleIJS8_S9_EEENSB_IJS8_SA_EEENS0_18inequality_wrapperIZN2at6native12_GLOBAL__N_124unique_dim_cuda_templateIjEESt5tupleIJNSF_6TensorESK_SK_EERKSK_lbbbEUlllE0_EEPmJS9_EEE10hipError_tPvRmT3_T4_T5_T6_T7_T9_mT8_P12ihipStream_tbDpT10_ENKUlT_T0_E_clISt17integral_constantIbLb1EES19_IbLb0EEEEDaS15_S16_EUlS15_E_NS1_11comp_targetILNS1_3genE5ELNS1_11target_archE942ELNS1_3gpuE9ELNS1_3repE0EEENS1_30default_config_static_selectorELNS0_4arch9wavefront6targetE0EEEvT1_, .Lfunc_end1588-_ZN7rocprim17ROCPRIM_400000_NS6detail17trampoline_kernelINS0_14default_configENS1_25partition_config_selectorILNS1_17partition_subalgoE9EllbEEZZNS1_14partition_implILS5_9ELb0ES3_jPlS8_PNS0_10empty_typeENS0_5tupleIJS8_S9_EEENSB_IJS8_SA_EEENS0_18inequality_wrapperIZN2at6native12_GLOBAL__N_124unique_dim_cuda_templateIjEESt5tupleIJNSF_6TensorESK_SK_EERKSK_lbbbEUlllE0_EEPmJS9_EEE10hipError_tPvRmT3_T4_T5_T6_T7_T9_mT8_P12ihipStream_tbDpT10_ENKUlT_T0_E_clISt17integral_constantIbLb1EES19_IbLb0EEEEDaS15_S16_EUlS15_E_NS1_11comp_targetILNS1_3genE5ELNS1_11target_archE942ELNS1_3gpuE9ELNS1_3repE0EEENS1_30default_config_static_selectorELNS0_4arch9wavefront6targetE0EEEvT1_
                                        ; -- End function
	.section	.AMDGPU.csdata,"",@progbits
; Kernel info:
; codeLenInByte = 0
; NumSgprs: 0
; NumVgprs: 0
; ScratchSize: 0
; MemoryBound: 0
; FloatMode: 240
; IeeeMode: 1
; LDSByteSize: 0 bytes/workgroup (compile time only)
; SGPRBlocks: 0
; VGPRBlocks: 0
; NumSGPRsForWavesPerEU: 1
; NumVGPRsForWavesPerEU: 1
; Occupancy: 16
; WaveLimiterHint : 0
; COMPUTE_PGM_RSRC2:SCRATCH_EN: 0
; COMPUTE_PGM_RSRC2:USER_SGPR: 15
; COMPUTE_PGM_RSRC2:TRAP_HANDLER: 0
; COMPUTE_PGM_RSRC2:TGID_X_EN: 1
; COMPUTE_PGM_RSRC2:TGID_Y_EN: 0
; COMPUTE_PGM_RSRC2:TGID_Z_EN: 0
; COMPUTE_PGM_RSRC2:TIDIG_COMP_CNT: 0
	.section	.text._ZN7rocprim17ROCPRIM_400000_NS6detail17trampoline_kernelINS0_14default_configENS1_25partition_config_selectorILNS1_17partition_subalgoE9EllbEEZZNS1_14partition_implILS5_9ELb0ES3_jPlS8_PNS0_10empty_typeENS0_5tupleIJS8_S9_EEENSB_IJS8_SA_EEENS0_18inequality_wrapperIZN2at6native12_GLOBAL__N_124unique_dim_cuda_templateIjEESt5tupleIJNSF_6TensorESK_SK_EERKSK_lbbbEUlllE0_EEPmJS9_EEE10hipError_tPvRmT3_T4_T5_T6_T7_T9_mT8_P12ihipStream_tbDpT10_ENKUlT_T0_E_clISt17integral_constantIbLb1EES19_IbLb0EEEEDaS15_S16_EUlS15_E_NS1_11comp_targetILNS1_3genE4ELNS1_11target_archE910ELNS1_3gpuE8ELNS1_3repE0EEENS1_30default_config_static_selectorELNS0_4arch9wavefront6targetE0EEEvT1_,"axG",@progbits,_ZN7rocprim17ROCPRIM_400000_NS6detail17trampoline_kernelINS0_14default_configENS1_25partition_config_selectorILNS1_17partition_subalgoE9EllbEEZZNS1_14partition_implILS5_9ELb0ES3_jPlS8_PNS0_10empty_typeENS0_5tupleIJS8_S9_EEENSB_IJS8_SA_EEENS0_18inequality_wrapperIZN2at6native12_GLOBAL__N_124unique_dim_cuda_templateIjEESt5tupleIJNSF_6TensorESK_SK_EERKSK_lbbbEUlllE0_EEPmJS9_EEE10hipError_tPvRmT3_T4_T5_T6_T7_T9_mT8_P12ihipStream_tbDpT10_ENKUlT_T0_E_clISt17integral_constantIbLb1EES19_IbLb0EEEEDaS15_S16_EUlS15_E_NS1_11comp_targetILNS1_3genE4ELNS1_11target_archE910ELNS1_3gpuE8ELNS1_3repE0EEENS1_30default_config_static_selectorELNS0_4arch9wavefront6targetE0EEEvT1_,comdat
	.globl	_ZN7rocprim17ROCPRIM_400000_NS6detail17trampoline_kernelINS0_14default_configENS1_25partition_config_selectorILNS1_17partition_subalgoE9EllbEEZZNS1_14partition_implILS5_9ELb0ES3_jPlS8_PNS0_10empty_typeENS0_5tupleIJS8_S9_EEENSB_IJS8_SA_EEENS0_18inequality_wrapperIZN2at6native12_GLOBAL__N_124unique_dim_cuda_templateIjEESt5tupleIJNSF_6TensorESK_SK_EERKSK_lbbbEUlllE0_EEPmJS9_EEE10hipError_tPvRmT3_T4_T5_T6_T7_T9_mT8_P12ihipStream_tbDpT10_ENKUlT_T0_E_clISt17integral_constantIbLb1EES19_IbLb0EEEEDaS15_S16_EUlS15_E_NS1_11comp_targetILNS1_3genE4ELNS1_11target_archE910ELNS1_3gpuE8ELNS1_3repE0EEENS1_30default_config_static_selectorELNS0_4arch9wavefront6targetE0EEEvT1_ ; -- Begin function _ZN7rocprim17ROCPRIM_400000_NS6detail17trampoline_kernelINS0_14default_configENS1_25partition_config_selectorILNS1_17partition_subalgoE9EllbEEZZNS1_14partition_implILS5_9ELb0ES3_jPlS8_PNS0_10empty_typeENS0_5tupleIJS8_S9_EEENSB_IJS8_SA_EEENS0_18inequality_wrapperIZN2at6native12_GLOBAL__N_124unique_dim_cuda_templateIjEESt5tupleIJNSF_6TensorESK_SK_EERKSK_lbbbEUlllE0_EEPmJS9_EEE10hipError_tPvRmT3_T4_T5_T6_T7_T9_mT8_P12ihipStream_tbDpT10_ENKUlT_T0_E_clISt17integral_constantIbLb1EES19_IbLb0EEEEDaS15_S16_EUlS15_E_NS1_11comp_targetILNS1_3genE4ELNS1_11target_archE910ELNS1_3gpuE8ELNS1_3repE0EEENS1_30default_config_static_selectorELNS0_4arch9wavefront6targetE0EEEvT1_
	.p2align	8
	.type	_ZN7rocprim17ROCPRIM_400000_NS6detail17trampoline_kernelINS0_14default_configENS1_25partition_config_selectorILNS1_17partition_subalgoE9EllbEEZZNS1_14partition_implILS5_9ELb0ES3_jPlS8_PNS0_10empty_typeENS0_5tupleIJS8_S9_EEENSB_IJS8_SA_EEENS0_18inequality_wrapperIZN2at6native12_GLOBAL__N_124unique_dim_cuda_templateIjEESt5tupleIJNSF_6TensorESK_SK_EERKSK_lbbbEUlllE0_EEPmJS9_EEE10hipError_tPvRmT3_T4_T5_T6_T7_T9_mT8_P12ihipStream_tbDpT10_ENKUlT_T0_E_clISt17integral_constantIbLb1EES19_IbLb0EEEEDaS15_S16_EUlS15_E_NS1_11comp_targetILNS1_3genE4ELNS1_11target_archE910ELNS1_3gpuE8ELNS1_3repE0EEENS1_30default_config_static_selectorELNS0_4arch9wavefront6targetE0EEEvT1_,@function
_ZN7rocprim17ROCPRIM_400000_NS6detail17trampoline_kernelINS0_14default_configENS1_25partition_config_selectorILNS1_17partition_subalgoE9EllbEEZZNS1_14partition_implILS5_9ELb0ES3_jPlS8_PNS0_10empty_typeENS0_5tupleIJS8_S9_EEENSB_IJS8_SA_EEENS0_18inequality_wrapperIZN2at6native12_GLOBAL__N_124unique_dim_cuda_templateIjEESt5tupleIJNSF_6TensorESK_SK_EERKSK_lbbbEUlllE0_EEPmJS9_EEE10hipError_tPvRmT3_T4_T5_T6_T7_T9_mT8_P12ihipStream_tbDpT10_ENKUlT_T0_E_clISt17integral_constantIbLb1EES19_IbLb0EEEEDaS15_S16_EUlS15_E_NS1_11comp_targetILNS1_3genE4ELNS1_11target_archE910ELNS1_3gpuE8ELNS1_3repE0EEENS1_30default_config_static_selectorELNS0_4arch9wavefront6targetE0EEEvT1_: ; @_ZN7rocprim17ROCPRIM_400000_NS6detail17trampoline_kernelINS0_14default_configENS1_25partition_config_selectorILNS1_17partition_subalgoE9EllbEEZZNS1_14partition_implILS5_9ELb0ES3_jPlS8_PNS0_10empty_typeENS0_5tupleIJS8_S9_EEENSB_IJS8_SA_EEENS0_18inequality_wrapperIZN2at6native12_GLOBAL__N_124unique_dim_cuda_templateIjEESt5tupleIJNSF_6TensorESK_SK_EERKSK_lbbbEUlllE0_EEPmJS9_EEE10hipError_tPvRmT3_T4_T5_T6_T7_T9_mT8_P12ihipStream_tbDpT10_ENKUlT_T0_E_clISt17integral_constantIbLb1EES19_IbLb0EEEEDaS15_S16_EUlS15_E_NS1_11comp_targetILNS1_3genE4ELNS1_11target_archE910ELNS1_3gpuE8ELNS1_3repE0EEENS1_30default_config_static_selectorELNS0_4arch9wavefront6targetE0EEEvT1_
; %bb.0:
	.section	.rodata,"a",@progbits
	.p2align	6, 0x0
	.amdhsa_kernel _ZN7rocprim17ROCPRIM_400000_NS6detail17trampoline_kernelINS0_14default_configENS1_25partition_config_selectorILNS1_17partition_subalgoE9EllbEEZZNS1_14partition_implILS5_9ELb0ES3_jPlS8_PNS0_10empty_typeENS0_5tupleIJS8_S9_EEENSB_IJS8_SA_EEENS0_18inequality_wrapperIZN2at6native12_GLOBAL__N_124unique_dim_cuda_templateIjEESt5tupleIJNSF_6TensorESK_SK_EERKSK_lbbbEUlllE0_EEPmJS9_EEE10hipError_tPvRmT3_T4_T5_T6_T7_T9_mT8_P12ihipStream_tbDpT10_ENKUlT_T0_E_clISt17integral_constantIbLb1EES19_IbLb0EEEEDaS15_S16_EUlS15_E_NS1_11comp_targetILNS1_3genE4ELNS1_11target_archE910ELNS1_3gpuE8ELNS1_3repE0EEENS1_30default_config_static_selectorELNS0_4arch9wavefront6targetE0EEEvT1_
		.amdhsa_group_segment_fixed_size 0
		.amdhsa_private_segment_fixed_size 0
		.amdhsa_kernarg_size 120
		.amdhsa_user_sgpr_count 15
		.amdhsa_user_sgpr_dispatch_ptr 0
		.amdhsa_user_sgpr_queue_ptr 0
		.amdhsa_user_sgpr_kernarg_segment_ptr 1
		.amdhsa_user_sgpr_dispatch_id 0
		.amdhsa_user_sgpr_private_segment_size 0
		.amdhsa_wavefront_size32 1
		.amdhsa_uses_dynamic_stack 0
		.amdhsa_enable_private_segment 0
		.amdhsa_system_sgpr_workgroup_id_x 1
		.amdhsa_system_sgpr_workgroup_id_y 0
		.amdhsa_system_sgpr_workgroup_id_z 0
		.amdhsa_system_sgpr_workgroup_info 0
		.amdhsa_system_vgpr_workitem_id 0
		.amdhsa_next_free_vgpr 1
		.amdhsa_next_free_sgpr 1
		.amdhsa_reserve_vcc 0
		.amdhsa_float_round_mode_32 0
		.amdhsa_float_round_mode_16_64 0
		.amdhsa_float_denorm_mode_32 3
		.amdhsa_float_denorm_mode_16_64 3
		.amdhsa_dx10_clamp 1
		.amdhsa_ieee_mode 1
		.amdhsa_fp16_overflow 0
		.amdhsa_workgroup_processor_mode 1
		.amdhsa_memory_ordered 1
		.amdhsa_forward_progress 0
		.amdhsa_shared_vgpr_count 0
		.amdhsa_exception_fp_ieee_invalid_op 0
		.amdhsa_exception_fp_denorm_src 0
		.amdhsa_exception_fp_ieee_div_zero 0
		.amdhsa_exception_fp_ieee_overflow 0
		.amdhsa_exception_fp_ieee_underflow 0
		.amdhsa_exception_fp_ieee_inexact 0
		.amdhsa_exception_int_div_zero 0
	.end_amdhsa_kernel
	.section	.text._ZN7rocprim17ROCPRIM_400000_NS6detail17trampoline_kernelINS0_14default_configENS1_25partition_config_selectorILNS1_17partition_subalgoE9EllbEEZZNS1_14partition_implILS5_9ELb0ES3_jPlS8_PNS0_10empty_typeENS0_5tupleIJS8_S9_EEENSB_IJS8_SA_EEENS0_18inequality_wrapperIZN2at6native12_GLOBAL__N_124unique_dim_cuda_templateIjEESt5tupleIJNSF_6TensorESK_SK_EERKSK_lbbbEUlllE0_EEPmJS9_EEE10hipError_tPvRmT3_T4_T5_T6_T7_T9_mT8_P12ihipStream_tbDpT10_ENKUlT_T0_E_clISt17integral_constantIbLb1EES19_IbLb0EEEEDaS15_S16_EUlS15_E_NS1_11comp_targetILNS1_3genE4ELNS1_11target_archE910ELNS1_3gpuE8ELNS1_3repE0EEENS1_30default_config_static_selectorELNS0_4arch9wavefront6targetE0EEEvT1_,"axG",@progbits,_ZN7rocprim17ROCPRIM_400000_NS6detail17trampoline_kernelINS0_14default_configENS1_25partition_config_selectorILNS1_17partition_subalgoE9EllbEEZZNS1_14partition_implILS5_9ELb0ES3_jPlS8_PNS0_10empty_typeENS0_5tupleIJS8_S9_EEENSB_IJS8_SA_EEENS0_18inequality_wrapperIZN2at6native12_GLOBAL__N_124unique_dim_cuda_templateIjEESt5tupleIJNSF_6TensorESK_SK_EERKSK_lbbbEUlllE0_EEPmJS9_EEE10hipError_tPvRmT3_T4_T5_T6_T7_T9_mT8_P12ihipStream_tbDpT10_ENKUlT_T0_E_clISt17integral_constantIbLb1EES19_IbLb0EEEEDaS15_S16_EUlS15_E_NS1_11comp_targetILNS1_3genE4ELNS1_11target_archE910ELNS1_3gpuE8ELNS1_3repE0EEENS1_30default_config_static_selectorELNS0_4arch9wavefront6targetE0EEEvT1_,comdat
.Lfunc_end1589:
	.size	_ZN7rocprim17ROCPRIM_400000_NS6detail17trampoline_kernelINS0_14default_configENS1_25partition_config_selectorILNS1_17partition_subalgoE9EllbEEZZNS1_14partition_implILS5_9ELb0ES3_jPlS8_PNS0_10empty_typeENS0_5tupleIJS8_S9_EEENSB_IJS8_SA_EEENS0_18inequality_wrapperIZN2at6native12_GLOBAL__N_124unique_dim_cuda_templateIjEESt5tupleIJNSF_6TensorESK_SK_EERKSK_lbbbEUlllE0_EEPmJS9_EEE10hipError_tPvRmT3_T4_T5_T6_T7_T9_mT8_P12ihipStream_tbDpT10_ENKUlT_T0_E_clISt17integral_constantIbLb1EES19_IbLb0EEEEDaS15_S16_EUlS15_E_NS1_11comp_targetILNS1_3genE4ELNS1_11target_archE910ELNS1_3gpuE8ELNS1_3repE0EEENS1_30default_config_static_selectorELNS0_4arch9wavefront6targetE0EEEvT1_, .Lfunc_end1589-_ZN7rocprim17ROCPRIM_400000_NS6detail17trampoline_kernelINS0_14default_configENS1_25partition_config_selectorILNS1_17partition_subalgoE9EllbEEZZNS1_14partition_implILS5_9ELb0ES3_jPlS8_PNS0_10empty_typeENS0_5tupleIJS8_S9_EEENSB_IJS8_SA_EEENS0_18inequality_wrapperIZN2at6native12_GLOBAL__N_124unique_dim_cuda_templateIjEESt5tupleIJNSF_6TensorESK_SK_EERKSK_lbbbEUlllE0_EEPmJS9_EEE10hipError_tPvRmT3_T4_T5_T6_T7_T9_mT8_P12ihipStream_tbDpT10_ENKUlT_T0_E_clISt17integral_constantIbLb1EES19_IbLb0EEEEDaS15_S16_EUlS15_E_NS1_11comp_targetILNS1_3genE4ELNS1_11target_archE910ELNS1_3gpuE8ELNS1_3repE0EEENS1_30default_config_static_selectorELNS0_4arch9wavefront6targetE0EEEvT1_
                                        ; -- End function
	.section	.AMDGPU.csdata,"",@progbits
; Kernel info:
; codeLenInByte = 0
; NumSgprs: 0
; NumVgprs: 0
; ScratchSize: 0
; MemoryBound: 0
; FloatMode: 240
; IeeeMode: 1
; LDSByteSize: 0 bytes/workgroup (compile time only)
; SGPRBlocks: 0
; VGPRBlocks: 0
; NumSGPRsForWavesPerEU: 1
; NumVGPRsForWavesPerEU: 1
; Occupancy: 16
; WaveLimiterHint : 0
; COMPUTE_PGM_RSRC2:SCRATCH_EN: 0
; COMPUTE_PGM_RSRC2:USER_SGPR: 15
; COMPUTE_PGM_RSRC2:TRAP_HANDLER: 0
; COMPUTE_PGM_RSRC2:TGID_X_EN: 1
; COMPUTE_PGM_RSRC2:TGID_Y_EN: 0
; COMPUTE_PGM_RSRC2:TGID_Z_EN: 0
; COMPUTE_PGM_RSRC2:TIDIG_COMP_CNT: 0
	.section	.text._ZN7rocprim17ROCPRIM_400000_NS6detail17trampoline_kernelINS0_14default_configENS1_25partition_config_selectorILNS1_17partition_subalgoE9EllbEEZZNS1_14partition_implILS5_9ELb0ES3_jPlS8_PNS0_10empty_typeENS0_5tupleIJS8_S9_EEENSB_IJS8_SA_EEENS0_18inequality_wrapperIZN2at6native12_GLOBAL__N_124unique_dim_cuda_templateIjEESt5tupleIJNSF_6TensorESK_SK_EERKSK_lbbbEUlllE0_EEPmJS9_EEE10hipError_tPvRmT3_T4_T5_T6_T7_T9_mT8_P12ihipStream_tbDpT10_ENKUlT_T0_E_clISt17integral_constantIbLb1EES19_IbLb0EEEEDaS15_S16_EUlS15_E_NS1_11comp_targetILNS1_3genE3ELNS1_11target_archE908ELNS1_3gpuE7ELNS1_3repE0EEENS1_30default_config_static_selectorELNS0_4arch9wavefront6targetE0EEEvT1_,"axG",@progbits,_ZN7rocprim17ROCPRIM_400000_NS6detail17trampoline_kernelINS0_14default_configENS1_25partition_config_selectorILNS1_17partition_subalgoE9EllbEEZZNS1_14partition_implILS5_9ELb0ES3_jPlS8_PNS0_10empty_typeENS0_5tupleIJS8_S9_EEENSB_IJS8_SA_EEENS0_18inequality_wrapperIZN2at6native12_GLOBAL__N_124unique_dim_cuda_templateIjEESt5tupleIJNSF_6TensorESK_SK_EERKSK_lbbbEUlllE0_EEPmJS9_EEE10hipError_tPvRmT3_T4_T5_T6_T7_T9_mT8_P12ihipStream_tbDpT10_ENKUlT_T0_E_clISt17integral_constantIbLb1EES19_IbLb0EEEEDaS15_S16_EUlS15_E_NS1_11comp_targetILNS1_3genE3ELNS1_11target_archE908ELNS1_3gpuE7ELNS1_3repE0EEENS1_30default_config_static_selectorELNS0_4arch9wavefront6targetE0EEEvT1_,comdat
	.globl	_ZN7rocprim17ROCPRIM_400000_NS6detail17trampoline_kernelINS0_14default_configENS1_25partition_config_selectorILNS1_17partition_subalgoE9EllbEEZZNS1_14partition_implILS5_9ELb0ES3_jPlS8_PNS0_10empty_typeENS0_5tupleIJS8_S9_EEENSB_IJS8_SA_EEENS0_18inequality_wrapperIZN2at6native12_GLOBAL__N_124unique_dim_cuda_templateIjEESt5tupleIJNSF_6TensorESK_SK_EERKSK_lbbbEUlllE0_EEPmJS9_EEE10hipError_tPvRmT3_T4_T5_T6_T7_T9_mT8_P12ihipStream_tbDpT10_ENKUlT_T0_E_clISt17integral_constantIbLb1EES19_IbLb0EEEEDaS15_S16_EUlS15_E_NS1_11comp_targetILNS1_3genE3ELNS1_11target_archE908ELNS1_3gpuE7ELNS1_3repE0EEENS1_30default_config_static_selectorELNS0_4arch9wavefront6targetE0EEEvT1_ ; -- Begin function _ZN7rocprim17ROCPRIM_400000_NS6detail17trampoline_kernelINS0_14default_configENS1_25partition_config_selectorILNS1_17partition_subalgoE9EllbEEZZNS1_14partition_implILS5_9ELb0ES3_jPlS8_PNS0_10empty_typeENS0_5tupleIJS8_S9_EEENSB_IJS8_SA_EEENS0_18inequality_wrapperIZN2at6native12_GLOBAL__N_124unique_dim_cuda_templateIjEESt5tupleIJNSF_6TensorESK_SK_EERKSK_lbbbEUlllE0_EEPmJS9_EEE10hipError_tPvRmT3_T4_T5_T6_T7_T9_mT8_P12ihipStream_tbDpT10_ENKUlT_T0_E_clISt17integral_constantIbLb1EES19_IbLb0EEEEDaS15_S16_EUlS15_E_NS1_11comp_targetILNS1_3genE3ELNS1_11target_archE908ELNS1_3gpuE7ELNS1_3repE0EEENS1_30default_config_static_selectorELNS0_4arch9wavefront6targetE0EEEvT1_
	.p2align	8
	.type	_ZN7rocprim17ROCPRIM_400000_NS6detail17trampoline_kernelINS0_14default_configENS1_25partition_config_selectorILNS1_17partition_subalgoE9EllbEEZZNS1_14partition_implILS5_9ELb0ES3_jPlS8_PNS0_10empty_typeENS0_5tupleIJS8_S9_EEENSB_IJS8_SA_EEENS0_18inequality_wrapperIZN2at6native12_GLOBAL__N_124unique_dim_cuda_templateIjEESt5tupleIJNSF_6TensorESK_SK_EERKSK_lbbbEUlllE0_EEPmJS9_EEE10hipError_tPvRmT3_T4_T5_T6_T7_T9_mT8_P12ihipStream_tbDpT10_ENKUlT_T0_E_clISt17integral_constantIbLb1EES19_IbLb0EEEEDaS15_S16_EUlS15_E_NS1_11comp_targetILNS1_3genE3ELNS1_11target_archE908ELNS1_3gpuE7ELNS1_3repE0EEENS1_30default_config_static_selectorELNS0_4arch9wavefront6targetE0EEEvT1_,@function
_ZN7rocprim17ROCPRIM_400000_NS6detail17trampoline_kernelINS0_14default_configENS1_25partition_config_selectorILNS1_17partition_subalgoE9EllbEEZZNS1_14partition_implILS5_9ELb0ES3_jPlS8_PNS0_10empty_typeENS0_5tupleIJS8_S9_EEENSB_IJS8_SA_EEENS0_18inequality_wrapperIZN2at6native12_GLOBAL__N_124unique_dim_cuda_templateIjEESt5tupleIJNSF_6TensorESK_SK_EERKSK_lbbbEUlllE0_EEPmJS9_EEE10hipError_tPvRmT3_T4_T5_T6_T7_T9_mT8_P12ihipStream_tbDpT10_ENKUlT_T0_E_clISt17integral_constantIbLb1EES19_IbLb0EEEEDaS15_S16_EUlS15_E_NS1_11comp_targetILNS1_3genE3ELNS1_11target_archE908ELNS1_3gpuE7ELNS1_3repE0EEENS1_30default_config_static_selectorELNS0_4arch9wavefront6targetE0EEEvT1_: ; @_ZN7rocprim17ROCPRIM_400000_NS6detail17trampoline_kernelINS0_14default_configENS1_25partition_config_selectorILNS1_17partition_subalgoE9EllbEEZZNS1_14partition_implILS5_9ELb0ES3_jPlS8_PNS0_10empty_typeENS0_5tupleIJS8_S9_EEENSB_IJS8_SA_EEENS0_18inequality_wrapperIZN2at6native12_GLOBAL__N_124unique_dim_cuda_templateIjEESt5tupleIJNSF_6TensorESK_SK_EERKSK_lbbbEUlllE0_EEPmJS9_EEE10hipError_tPvRmT3_T4_T5_T6_T7_T9_mT8_P12ihipStream_tbDpT10_ENKUlT_T0_E_clISt17integral_constantIbLb1EES19_IbLb0EEEEDaS15_S16_EUlS15_E_NS1_11comp_targetILNS1_3genE3ELNS1_11target_archE908ELNS1_3gpuE7ELNS1_3repE0EEENS1_30default_config_static_selectorELNS0_4arch9wavefront6targetE0EEEvT1_
; %bb.0:
	.section	.rodata,"a",@progbits
	.p2align	6, 0x0
	.amdhsa_kernel _ZN7rocprim17ROCPRIM_400000_NS6detail17trampoline_kernelINS0_14default_configENS1_25partition_config_selectorILNS1_17partition_subalgoE9EllbEEZZNS1_14partition_implILS5_9ELb0ES3_jPlS8_PNS0_10empty_typeENS0_5tupleIJS8_S9_EEENSB_IJS8_SA_EEENS0_18inequality_wrapperIZN2at6native12_GLOBAL__N_124unique_dim_cuda_templateIjEESt5tupleIJNSF_6TensorESK_SK_EERKSK_lbbbEUlllE0_EEPmJS9_EEE10hipError_tPvRmT3_T4_T5_T6_T7_T9_mT8_P12ihipStream_tbDpT10_ENKUlT_T0_E_clISt17integral_constantIbLb1EES19_IbLb0EEEEDaS15_S16_EUlS15_E_NS1_11comp_targetILNS1_3genE3ELNS1_11target_archE908ELNS1_3gpuE7ELNS1_3repE0EEENS1_30default_config_static_selectorELNS0_4arch9wavefront6targetE0EEEvT1_
		.amdhsa_group_segment_fixed_size 0
		.amdhsa_private_segment_fixed_size 0
		.amdhsa_kernarg_size 120
		.amdhsa_user_sgpr_count 15
		.amdhsa_user_sgpr_dispatch_ptr 0
		.amdhsa_user_sgpr_queue_ptr 0
		.amdhsa_user_sgpr_kernarg_segment_ptr 1
		.amdhsa_user_sgpr_dispatch_id 0
		.amdhsa_user_sgpr_private_segment_size 0
		.amdhsa_wavefront_size32 1
		.amdhsa_uses_dynamic_stack 0
		.amdhsa_enable_private_segment 0
		.amdhsa_system_sgpr_workgroup_id_x 1
		.amdhsa_system_sgpr_workgroup_id_y 0
		.amdhsa_system_sgpr_workgroup_id_z 0
		.amdhsa_system_sgpr_workgroup_info 0
		.amdhsa_system_vgpr_workitem_id 0
		.amdhsa_next_free_vgpr 1
		.amdhsa_next_free_sgpr 1
		.amdhsa_reserve_vcc 0
		.amdhsa_float_round_mode_32 0
		.amdhsa_float_round_mode_16_64 0
		.amdhsa_float_denorm_mode_32 3
		.amdhsa_float_denorm_mode_16_64 3
		.amdhsa_dx10_clamp 1
		.amdhsa_ieee_mode 1
		.amdhsa_fp16_overflow 0
		.amdhsa_workgroup_processor_mode 1
		.amdhsa_memory_ordered 1
		.amdhsa_forward_progress 0
		.amdhsa_shared_vgpr_count 0
		.amdhsa_exception_fp_ieee_invalid_op 0
		.amdhsa_exception_fp_denorm_src 0
		.amdhsa_exception_fp_ieee_div_zero 0
		.amdhsa_exception_fp_ieee_overflow 0
		.amdhsa_exception_fp_ieee_underflow 0
		.amdhsa_exception_fp_ieee_inexact 0
		.amdhsa_exception_int_div_zero 0
	.end_amdhsa_kernel
	.section	.text._ZN7rocprim17ROCPRIM_400000_NS6detail17trampoline_kernelINS0_14default_configENS1_25partition_config_selectorILNS1_17partition_subalgoE9EllbEEZZNS1_14partition_implILS5_9ELb0ES3_jPlS8_PNS0_10empty_typeENS0_5tupleIJS8_S9_EEENSB_IJS8_SA_EEENS0_18inequality_wrapperIZN2at6native12_GLOBAL__N_124unique_dim_cuda_templateIjEESt5tupleIJNSF_6TensorESK_SK_EERKSK_lbbbEUlllE0_EEPmJS9_EEE10hipError_tPvRmT3_T4_T5_T6_T7_T9_mT8_P12ihipStream_tbDpT10_ENKUlT_T0_E_clISt17integral_constantIbLb1EES19_IbLb0EEEEDaS15_S16_EUlS15_E_NS1_11comp_targetILNS1_3genE3ELNS1_11target_archE908ELNS1_3gpuE7ELNS1_3repE0EEENS1_30default_config_static_selectorELNS0_4arch9wavefront6targetE0EEEvT1_,"axG",@progbits,_ZN7rocprim17ROCPRIM_400000_NS6detail17trampoline_kernelINS0_14default_configENS1_25partition_config_selectorILNS1_17partition_subalgoE9EllbEEZZNS1_14partition_implILS5_9ELb0ES3_jPlS8_PNS0_10empty_typeENS0_5tupleIJS8_S9_EEENSB_IJS8_SA_EEENS0_18inequality_wrapperIZN2at6native12_GLOBAL__N_124unique_dim_cuda_templateIjEESt5tupleIJNSF_6TensorESK_SK_EERKSK_lbbbEUlllE0_EEPmJS9_EEE10hipError_tPvRmT3_T4_T5_T6_T7_T9_mT8_P12ihipStream_tbDpT10_ENKUlT_T0_E_clISt17integral_constantIbLb1EES19_IbLb0EEEEDaS15_S16_EUlS15_E_NS1_11comp_targetILNS1_3genE3ELNS1_11target_archE908ELNS1_3gpuE7ELNS1_3repE0EEENS1_30default_config_static_selectorELNS0_4arch9wavefront6targetE0EEEvT1_,comdat
.Lfunc_end1590:
	.size	_ZN7rocprim17ROCPRIM_400000_NS6detail17trampoline_kernelINS0_14default_configENS1_25partition_config_selectorILNS1_17partition_subalgoE9EllbEEZZNS1_14partition_implILS5_9ELb0ES3_jPlS8_PNS0_10empty_typeENS0_5tupleIJS8_S9_EEENSB_IJS8_SA_EEENS0_18inequality_wrapperIZN2at6native12_GLOBAL__N_124unique_dim_cuda_templateIjEESt5tupleIJNSF_6TensorESK_SK_EERKSK_lbbbEUlllE0_EEPmJS9_EEE10hipError_tPvRmT3_T4_T5_T6_T7_T9_mT8_P12ihipStream_tbDpT10_ENKUlT_T0_E_clISt17integral_constantIbLb1EES19_IbLb0EEEEDaS15_S16_EUlS15_E_NS1_11comp_targetILNS1_3genE3ELNS1_11target_archE908ELNS1_3gpuE7ELNS1_3repE0EEENS1_30default_config_static_selectorELNS0_4arch9wavefront6targetE0EEEvT1_, .Lfunc_end1590-_ZN7rocprim17ROCPRIM_400000_NS6detail17trampoline_kernelINS0_14default_configENS1_25partition_config_selectorILNS1_17partition_subalgoE9EllbEEZZNS1_14partition_implILS5_9ELb0ES3_jPlS8_PNS0_10empty_typeENS0_5tupleIJS8_S9_EEENSB_IJS8_SA_EEENS0_18inequality_wrapperIZN2at6native12_GLOBAL__N_124unique_dim_cuda_templateIjEESt5tupleIJNSF_6TensorESK_SK_EERKSK_lbbbEUlllE0_EEPmJS9_EEE10hipError_tPvRmT3_T4_T5_T6_T7_T9_mT8_P12ihipStream_tbDpT10_ENKUlT_T0_E_clISt17integral_constantIbLb1EES19_IbLb0EEEEDaS15_S16_EUlS15_E_NS1_11comp_targetILNS1_3genE3ELNS1_11target_archE908ELNS1_3gpuE7ELNS1_3repE0EEENS1_30default_config_static_selectorELNS0_4arch9wavefront6targetE0EEEvT1_
                                        ; -- End function
	.section	.AMDGPU.csdata,"",@progbits
; Kernel info:
; codeLenInByte = 0
; NumSgprs: 0
; NumVgprs: 0
; ScratchSize: 0
; MemoryBound: 0
; FloatMode: 240
; IeeeMode: 1
; LDSByteSize: 0 bytes/workgroup (compile time only)
; SGPRBlocks: 0
; VGPRBlocks: 0
; NumSGPRsForWavesPerEU: 1
; NumVGPRsForWavesPerEU: 1
; Occupancy: 16
; WaveLimiterHint : 0
; COMPUTE_PGM_RSRC2:SCRATCH_EN: 0
; COMPUTE_PGM_RSRC2:USER_SGPR: 15
; COMPUTE_PGM_RSRC2:TRAP_HANDLER: 0
; COMPUTE_PGM_RSRC2:TGID_X_EN: 1
; COMPUTE_PGM_RSRC2:TGID_Y_EN: 0
; COMPUTE_PGM_RSRC2:TGID_Z_EN: 0
; COMPUTE_PGM_RSRC2:TIDIG_COMP_CNT: 0
	.section	.text._ZN7rocprim17ROCPRIM_400000_NS6detail17trampoline_kernelINS0_14default_configENS1_25partition_config_selectorILNS1_17partition_subalgoE9EllbEEZZNS1_14partition_implILS5_9ELb0ES3_jPlS8_PNS0_10empty_typeENS0_5tupleIJS8_S9_EEENSB_IJS8_SA_EEENS0_18inequality_wrapperIZN2at6native12_GLOBAL__N_124unique_dim_cuda_templateIjEESt5tupleIJNSF_6TensorESK_SK_EERKSK_lbbbEUlllE0_EEPmJS9_EEE10hipError_tPvRmT3_T4_T5_T6_T7_T9_mT8_P12ihipStream_tbDpT10_ENKUlT_T0_E_clISt17integral_constantIbLb1EES19_IbLb0EEEEDaS15_S16_EUlS15_E_NS1_11comp_targetILNS1_3genE2ELNS1_11target_archE906ELNS1_3gpuE6ELNS1_3repE0EEENS1_30default_config_static_selectorELNS0_4arch9wavefront6targetE0EEEvT1_,"axG",@progbits,_ZN7rocprim17ROCPRIM_400000_NS6detail17trampoline_kernelINS0_14default_configENS1_25partition_config_selectorILNS1_17partition_subalgoE9EllbEEZZNS1_14partition_implILS5_9ELb0ES3_jPlS8_PNS0_10empty_typeENS0_5tupleIJS8_S9_EEENSB_IJS8_SA_EEENS0_18inequality_wrapperIZN2at6native12_GLOBAL__N_124unique_dim_cuda_templateIjEESt5tupleIJNSF_6TensorESK_SK_EERKSK_lbbbEUlllE0_EEPmJS9_EEE10hipError_tPvRmT3_T4_T5_T6_T7_T9_mT8_P12ihipStream_tbDpT10_ENKUlT_T0_E_clISt17integral_constantIbLb1EES19_IbLb0EEEEDaS15_S16_EUlS15_E_NS1_11comp_targetILNS1_3genE2ELNS1_11target_archE906ELNS1_3gpuE6ELNS1_3repE0EEENS1_30default_config_static_selectorELNS0_4arch9wavefront6targetE0EEEvT1_,comdat
	.globl	_ZN7rocprim17ROCPRIM_400000_NS6detail17trampoline_kernelINS0_14default_configENS1_25partition_config_selectorILNS1_17partition_subalgoE9EllbEEZZNS1_14partition_implILS5_9ELb0ES3_jPlS8_PNS0_10empty_typeENS0_5tupleIJS8_S9_EEENSB_IJS8_SA_EEENS0_18inequality_wrapperIZN2at6native12_GLOBAL__N_124unique_dim_cuda_templateIjEESt5tupleIJNSF_6TensorESK_SK_EERKSK_lbbbEUlllE0_EEPmJS9_EEE10hipError_tPvRmT3_T4_T5_T6_T7_T9_mT8_P12ihipStream_tbDpT10_ENKUlT_T0_E_clISt17integral_constantIbLb1EES19_IbLb0EEEEDaS15_S16_EUlS15_E_NS1_11comp_targetILNS1_3genE2ELNS1_11target_archE906ELNS1_3gpuE6ELNS1_3repE0EEENS1_30default_config_static_selectorELNS0_4arch9wavefront6targetE0EEEvT1_ ; -- Begin function _ZN7rocprim17ROCPRIM_400000_NS6detail17trampoline_kernelINS0_14default_configENS1_25partition_config_selectorILNS1_17partition_subalgoE9EllbEEZZNS1_14partition_implILS5_9ELb0ES3_jPlS8_PNS0_10empty_typeENS0_5tupleIJS8_S9_EEENSB_IJS8_SA_EEENS0_18inequality_wrapperIZN2at6native12_GLOBAL__N_124unique_dim_cuda_templateIjEESt5tupleIJNSF_6TensorESK_SK_EERKSK_lbbbEUlllE0_EEPmJS9_EEE10hipError_tPvRmT3_T4_T5_T6_T7_T9_mT8_P12ihipStream_tbDpT10_ENKUlT_T0_E_clISt17integral_constantIbLb1EES19_IbLb0EEEEDaS15_S16_EUlS15_E_NS1_11comp_targetILNS1_3genE2ELNS1_11target_archE906ELNS1_3gpuE6ELNS1_3repE0EEENS1_30default_config_static_selectorELNS0_4arch9wavefront6targetE0EEEvT1_
	.p2align	8
	.type	_ZN7rocprim17ROCPRIM_400000_NS6detail17trampoline_kernelINS0_14default_configENS1_25partition_config_selectorILNS1_17partition_subalgoE9EllbEEZZNS1_14partition_implILS5_9ELb0ES3_jPlS8_PNS0_10empty_typeENS0_5tupleIJS8_S9_EEENSB_IJS8_SA_EEENS0_18inequality_wrapperIZN2at6native12_GLOBAL__N_124unique_dim_cuda_templateIjEESt5tupleIJNSF_6TensorESK_SK_EERKSK_lbbbEUlllE0_EEPmJS9_EEE10hipError_tPvRmT3_T4_T5_T6_T7_T9_mT8_P12ihipStream_tbDpT10_ENKUlT_T0_E_clISt17integral_constantIbLb1EES19_IbLb0EEEEDaS15_S16_EUlS15_E_NS1_11comp_targetILNS1_3genE2ELNS1_11target_archE906ELNS1_3gpuE6ELNS1_3repE0EEENS1_30default_config_static_selectorELNS0_4arch9wavefront6targetE0EEEvT1_,@function
_ZN7rocprim17ROCPRIM_400000_NS6detail17trampoline_kernelINS0_14default_configENS1_25partition_config_selectorILNS1_17partition_subalgoE9EllbEEZZNS1_14partition_implILS5_9ELb0ES3_jPlS8_PNS0_10empty_typeENS0_5tupleIJS8_S9_EEENSB_IJS8_SA_EEENS0_18inequality_wrapperIZN2at6native12_GLOBAL__N_124unique_dim_cuda_templateIjEESt5tupleIJNSF_6TensorESK_SK_EERKSK_lbbbEUlllE0_EEPmJS9_EEE10hipError_tPvRmT3_T4_T5_T6_T7_T9_mT8_P12ihipStream_tbDpT10_ENKUlT_T0_E_clISt17integral_constantIbLb1EES19_IbLb0EEEEDaS15_S16_EUlS15_E_NS1_11comp_targetILNS1_3genE2ELNS1_11target_archE906ELNS1_3gpuE6ELNS1_3repE0EEENS1_30default_config_static_selectorELNS0_4arch9wavefront6targetE0EEEvT1_: ; @_ZN7rocprim17ROCPRIM_400000_NS6detail17trampoline_kernelINS0_14default_configENS1_25partition_config_selectorILNS1_17partition_subalgoE9EllbEEZZNS1_14partition_implILS5_9ELb0ES3_jPlS8_PNS0_10empty_typeENS0_5tupleIJS8_S9_EEENSB_IJS8_SA_EEENS0_18inequality_wrapperIZN2at6native12_GLOBAL__N_124unique_dim_cuda_templateIjEESt5tupleIJNSF_6TensorESK_SK_EERKSK_lbbbEUlllE0_EEPmJS9_EEE10hipError_tPvRmT3_T4_T5_T6_T7_T9_mT8_P12ihipStream_tbDpT10_ENKUlT_T0_E_clISt17integral_constantIbLb1EES19_IbLb0EEEEDaS15_S16_EUlS15_E_NS1_11comp_targetILNS1_3genE2ELNS1_11target_archE906ELNS1_3gpuE6ELNS1_3repE0EEENS1_30default_config_static_selectorELNS0_4arch9wavefront6targetE0EEEvT1_
; %bb.0:
	.section	.rodata,"a",@progbits
	.p2align	6, 0x0
	.amdhsa_kernel _ZN7rocprim17ROCPRIM_400000_NS6detail17trampoline_kernelINS0_14default_configENS1_25partition_config_selectorILNS1_17partition_subalgoE9EllbEEZZNS1_14partition_implILS5_9ELb0ES3_jPlS8_PNS0_10empty_typeENS0_5tupleIJS8_S9_EEENSB_IJS8_SA_EEENS0_18inequality_wrapperIZN2at6native12_GLOBAL__N_124unique_dim_cuda_templateIjEESt5tupleIJNSF_6TensorESK_SK_EERKSK_lbbbEUlllE0_EEPmJS9_EEE10hipError_tPvRmT3_T4_T5_T6_T7_T9_mT8_P12ihipStream_tbDpT10_ENKUlT_T0_E_clISt17integral_constantIbLb1EES19_IbLb0EEEEDaS15_S16_EUlS15_E_NS1_11comp_targetILNS1_3genE2ELNS1_11target_archE906ELNS1_3gpuE6ELNS1_3repE0EEENS1_30default_config_static_selectorELNS0_4arch9wavefront6targetE0EEEvT1_
		.amdhsa_group_segment_fixed_size 0
		.amdhsa_private_segment_fixed_size 0
		.amdhsa_kernarg_size 120
		.amdhsa_user_sgpr_count 15
		.amdhsa_user_sgpr_dispatch_ptr 0
		.amdhsa_user_sgpr_queue_ptr 0
		.amdhsa_user_sgpr_kernarg_segment_ptr 1
		.amdhsa_user_sgpr_dispatch_id 0
		.amdhsa_user_sgpr_private_segment_size 0
		.amdhsa_wavefront_size32 1
		.amdhsa_uses_dynamic_stack 0
		.amdhsa_enable_private_segment 0
		.amdhsa_system_sgpr_workgroup_id_x 1
		.amdhsa_system_sgpr_workgroup_id_y 0
		.amdhsa_system_sgpr_workgroup_id_z 0
		.amdhsa_system_sgpr_workgroup_info 0
		.amdhsa_system_vgpr_workitem_id 0
		.amdhsa_next_free_vgpr 1
		.amdhsa_next_free_sgpr 1
		.amdhsa_reserve_vcc 0
		.amdhsa_float_round_mode_32 0
		.amdhsa_float_round_mode_16_64 0
		.amdhsa_float_denorm_mode_32 3
		.amdhsa_float_denorm_mode_16_64 3
		.amdhsa_dx10_clamp 1
		.amdhsa_ieee_mode 1
		.amdhsa_fp16_overflow 0
		.amdhsa_workgroup_processor_mode 1
		.amdhsa_memory_ordered 1
		.amdhsa_forward_progress 0
		.amdhsa_shared_vgpr_count 0
		.amdhsa_exception_fp_ieee_invalid_op 0
		.amdhsa_exception_fp_denorm_src 0
		.amdhsa_exception_fp_ieee_div_zero 0
		.amdhsa_exception_fp_ieee_overflow 0
		.amdhsa_exception_fp_ieee_underflow 0
		.amdhsa_exception_fp_ieee_inexact 0
		.amdhsa_exception_int_div_zero 0
	.end_amdhsa_kernel
	.section	.text._ZN7rocprim17ROCPRIM_400000_NS6detail17trampoline_kernelINS0_14default_configENS1_25partition_config_selectorILNS1_17partition_subalgoE9EllbEEZZNS1_14partition_implILS5_9ELb0ES3_jPlS8_PNS0_10empty_typeENS0_5tupleIJS8_S9_EEENSB_IJS8_SA_EEENS0_18inequality_wrapperIZN2at6native12_GLOBAL__N_124unique_dim_cuda_templateIjEESt5tupleIJNSF_6TensorESK_SK_EERKSK_lbbbEUlllE0_EEPmJS9_EEE10hipError_tPvRmT3_T4_T5_T6_T7_T9_mT8_P12ihipStream_tbDpT10_ENKUlT_T0_E_clISt17integral_constantIbLb1EES19_IbLb0EEEEDaS15_S16_EUlS15_E_NS1_11comp_targetILNS1_3genE2ELNS1_11target_archE906ELNS1_3gpuE6ELNS1_3repE0EEENS1_30default_config_static_selectorELNS0_4arch9wavefront6targetE0EEEvT1_,"axG",@progbits,_ZN7rocprim17ROCPRIM_400000_NS6detail17trampoline_kernelINS0_14default_configENS1_25partition_config_selectorILNS1_17partition_subalgoE9EllbEEZZNS1_14partition_implILS5_9ELb0ES3_jPlS8_PNS0_10empty_typeENS0_5tupleIJS8_S9_EEENSB_IJS8_SA_EEENS0_18inequality_wrapperIZN2at6native12_GLOBAL__N_124unique_dim_cuda_templateIjEESt5tupleIJNSF_6TensorESK_SK_EERKSK_lbbbEUlllE0_EEPmJS9_EEE10hipError_tPvRmT3_T4_T5_T6_T7_T9_mT8_P12ihipStream_tbDpT10_ENKUlT_T0_E_clISt17integral_constantIbLb1EES19_IbLb0EEEEDaS15_S16_EUlS15_E_NS1_11comp_targetILNS1_3genE2ELNS1_11target_archE906ELNS1_3gpuE6ELNS1_3repE0EEENS1_30default_config_static_selectorELNS0_4arch9wavefront6targetE0EEEvT1_,comdat
.Lfunc_end1591:
	.size	_ZN7rocprim17ROCPRIM_400000_NS6detail17trampoline_kernelINS0_14default_configENS1_25partition_config_selectorILNS1_17partition_subalgoE9EllbEEZZNS1_14partition_implILS5_9ELb0ES3_jPlS8_PNS0_10empty_typeENS0_5tupleIJS8_S9_EEENSB_IJS8_SA_EEENS0_18inequality_wrapperIZN2at6native12_GLOBAL__N_124unique_dim_cuda_templateIjEESt5tupleIJNSF_6TensorESK_SK_EERKSK_lbbbEUlllE0_EEPmJS9_EEE10hipError_tPvRmT3_T4_T5_T6_T7_T9_mT8_P12ihipStream_tbDpT10_ENKUlT_T0_E_clISt17integral_constantIbLb1EES19_IbLb0EEEEDaS15_S16_EUlS15_E_NS1_11comp_targetILNS1_3genE2ELNS1_11target_archE906ELNS1_3gpuE6ELNS1_3repE0EEENS1_30default_config_static_selectorELNS0_4arch9wavefront6targetE0EEEvT1_, .Lfunc_end1591-_ZN7rocprim17ROCPRIM_400000_NS6detail17trampoline_kernelINS0_14default_configENS1_25partition_config_selectorILNS1_17partition_subalgoE9EllbEEZZNS1_14partition_implILS5_9ELb0ES3_jPlS8_PNS0_10empty_typeENS0_5tupleIJS8_S9_EEENSB_IJS8_SA_EEENS0_18inequality_wrapperIZN2at6native12_GLOBAL__N_124unique_dim_cuda_templateIjEESt5tupleIJNSF_6TensorESK_SK_EERKSK_lbbbEUlllE0_EEPmJS9_EEE10hipError_tPvRmT3_T4_T5_T6_T7_T9_mT8_P12ihipStream_tbDpT10_ENKUlT_T0_E_clISt17integral_constantIbLb1EES19_IbLb0EEEEDaS15_S16_EUlS15_E_NS1_11comp_targetILNS1_3genE2ELNS1_11target_archE906ELNS1_3gpuE6ELNS1_3repE0EEENS1_30default_config_static_selectorELNS0_4arch9wavefront6targetE0EEEvT1_
                                        ; -- End function
	.section	.AMDGPU.csdata,"",@progbits
; Kernel info:
; codeLenInByte = 0
; NumSgprs: 0
; NumVgprs: 0
; ScratchSize: 0
; MemoryBound: 0
; FloatMode: 240
; IeeeMode: 1
; LDSByteSize: 0 bytes/workgroup (compile time only)
; SGPRBlocks: 0
; VGPRBlocks: 0
; NumSGPRsForWavesPerEU: 1
; NumVGPRsForWavesPerEU: 1
; Occupancy: 15
; WaveLimiterHint : 0
; COMPUTE_PGM_RSRC2:SCRATCH_EN: 0
; COMPUTE_PGM_RSRC2:USER_SGPR: 15
; COMPUTE_PGM_RSRC2:TRAP_HANDLER: 0
; COMPUTE_PGM_RSRC2:TGID_X_EN: 1
; COMPUTE_PGM_RSRC2:TGID_Y_EN: 0
; COMPUTE_PGM_RSRC2:TGID_Z_EN: 0
; COMPUTE_PGM_RSRC2:TIDIG_COMP_CNT: 0
	.section	.text._ZN7rocprim17ROCPRIM_400000_NS6detail17trampoline_kernelINS0_14default_configENS1_25partition_config_selectorILNS1_17partition_subalgoE9EllbEEZZNS1_14partition_implILS5_9ELb0ES3_jPlS8_PNS0_10empty_typeENS0_5tupleIJS8_S9_EEENSB_IJS8_SA_EEENS0_18inequality_wrapperIZN2at6native12_GLOBAL__N_124unique_dim_cuda_templateIjEESt5tupleIJNSF_6TensorESK_SK_EERKSK_lbbbEUlllE0_EEPmJS9_EEE10hipError_tPvRmT3_T4_T5_T6_T7_T9_mT8_P12ihipStream_tbDpT10_ENKUlT_T0_E_clISt17integral_constantIbLb1EES19_IbLb0EEEEDaS15_S16_EUlS15_E_NS1_11comp_targetILNS1_3genE10ELNS1_11target_archE1200ELNS1_3gpuE4ELNS1_3repE0EEENS1_30default_config_static_selectorELNS0_4arch9wavefront6targetE0EEEvT1_,"axG",@progbits,_ZN7rocprim17ROCPRIM_400000_NS6detail17trampoline_kernelINS0_14default_configENS1_25partition_config_selectorILNS1_17partition_subalgoE9EllbEEZZNS1_14partition_implILS5_9ELb0ES3_jPlS8_PNS0_10empty_typeENS0_5tupleIJS8_S9_EEENSB_IJS8_SA_EEENS0_18inequality_wrapperIZN2at6native12_GLOBAL__N_124unique_dim_cuda_templateIjEESt5tupleIJNSF_6TensorESK_SK_EERKSK_lbbbEUlllE0_EEPmJS9_EEE10hipError_tPvRmT3_T4_T5_T6_T7_T9_mT8_P12ihipStream_tbDpT10_ENKUlT_T0_E_clISt17integral_constantIbLb1EES19_IbLb0EEEEDaS15_S16_EUlS15_E_NS1_11comp_targetILNS1_3genE10ELNS1_11target_archE1200ELNS1_3gpuE4ELNS1_3repE0EEENS1_30default_config_static_selectorELNS0_4arch9wavefront6targetE0EEEvT1_,comdat
	.globl	_ZN7rocprim17ROCPRIM_400000_NS6detail17trampoline_kernelINS0_14default_configENS1_25partition_config_selectorILNS1_17partition_subalgoE9EllbEEZZNS1_14partition_implILS5_9ELb0ES3_jPlS8_PNS0_10empty_typeENS0_5tupleIJS8_S9_EEENSB_IJS8_SA_EEENS0_18inequality_wrapperIZN2at6native12_GLOBAL__N_124unique_dim_cuda_templateIjEESt5tupleIJNSF_6TensorESK_SK_EERKSK_lbbbEUlllE0_EEPmJS9_EEE10hipError_tPvRmT3_T4_T5_T6_T7_T9_mT8_P12ihipStream_tbDpT10_ENKUlT_T0_E_clISt17integral_constantIbLb1EES19_IbLb0EEEEDaS15_S16_EUlS15_E_NS1_11comp_targetILNS1_3genE10ELNS1_11target_archE1200ELNS1_3gpuE4ELNS1_3repE0EEENS1_30default_config_static_selectorELNS0_4arch9wavefront6targetE0EEEvT1_ ; -- Begin function _ZN7rocprim17ROCPRIM_400000_NS6detail17trampoline_kernelINS0_14default_configENS1_25partition_config_selectorILNS1_17partition_subalgoE9EllbEEZZNS1_14partition_implILS5_9ELb0ES3_jPlS8_PNS0_10empty_typeENS0_5tupleIJS8_S9_EEENSB_IJS8_SA_EEENS0_18inequality_wrapperIZN2at6native12_GLOBAL__N_124unique_dim_cuda_templateIjEESt5tupleIJNSF_6TensorESK_SK_EERKSK_lbbbEUlllE0_EEPmJS9_EEE10hipError_tPvRmT3_T4_T5_T6_T7_T9_mT8_P12ihipStream_tbDpT10_ENKUlT_T0_E_clISt17integral_constantIbLb1EES19_IbLb0EEEEDaS15_S16_EUlS15_E_NS1_11comp_targetILNS1_3genE10ELNS1_11target_archE1200ELNS1_3gpuE4ELNS1_3repE0EEENS1_30default_config_static_selectorELNS0_4arch9wavefront6targetE0EEEvT1_
	.p2align	8
	.type	_ZN7rocprim17ROCPRIM_400000_NS6detail17trampoline_kernelINS0_14default_configENS1_25partition_config_selectorILNS1_17partition_subalgoE9EllbEEZZNS1_14partition_implILS5_9ELb0ES3_jPlS8_PNS0_10empty_typeENS0_5tupleIJS8_S9_EEENSB_IJS8_SA_EEENS0_18inequality_wrapperIZN2at6native12_GLOBAL__N_124unique_dim_cuda_templateIjEESt5tupleIJNSF_6TensorESK_SK_EERKSK_lbbbEUlllE0_EEPmJS9_EEE10hipError_tPvRmT3_T4_T5_T6_T7_T9_mT8_P12ihipStream_tbDpT10_ENKUlT_T0_E_clISt17integral_constantIbLb1EES19_IbLb0EEEEDaS15_S16_EUlS15_E_NS1_11comp_targetILNS1_3genE10ELNS1_11target_archE1200ELNS1_3gpuE4ELNS1_3repE0EEENS1_30default_config_static_selectorELNS0_4arch9wavefront6targetE0EEEvT1_,@function
_ZN7rocprim17ROCPRIM_400000_NS6detail17trampoline_kernelINS0_14default_configENS1_25partition_config_selectorILNS1_17partition_subalgoE9EllbEEZZNS1_14partition_implILS5_9ELb0ES3_jPlS8_PNS0_10empty_typeENS0_5tupleIJS8_S9_EEENSB_IJS8_SA_EEENS0_18inequality_wrapperIZN2at6native12_GLOBAL__N_124unique_dim_cuda_templateIjEESt5tupleIJNSF_6TensorESK_SK_EERKSK_lbbbEUlllE0_EEPmJS9_EEE10hipError_tPvRmT3_T4_T5_T6_T7_T9_mT8_P12ihipStream_tbDpT10_ENKUlT_T0_E_clISt17integral_constantIbLb1EES19_IbLb0EEEEDaS15_S16_EUlS15_E_NS1_11comp_targetILNS1_3genE10ELNS1_11target_archE1200ELNS1_3gpuE4ELNS1_3repE0EEENS1_30default_config_static_selectorELNS0_4arch9wavefront6targetE0EEEvT1_: ; @_ZN7rocprim17ROCPRIM_400000_NS6detail17trampoline_kernelINS0_14default_configENS1_25partition_config_selectorILNS1_17partition_subalgoE9EllbEEZZNS1_14partition_implILS5_9ELb0ES3_jPlS8_PNS0_10empty_typeENS0_5tupleIJS8_S9_EEENSB_IJS8_SA_EEENS0_18inequality_wrapperIZN2at6native12_GLOBAL__N_124unique_dim_cuda_templateIjEESt5tupleIJNSF_6TensorESK_SK_EERKSK_lbbbEUlllE0_EEPmJS9_EEE10hipError_tPvRmT3_T4_T5_T6_T7_T9_mT8_P12ihipStream_tbDpT10_ENKUlT_T0_E_clISt17integral_constantIbLb1EES19_IbLb0EEEEDaS15_S16_EUlS15_E_NS1_11comp_targetILNS1_3genE10ELNS1_11target_archE1200ELNS1_3gpuE4ELNS1_3repE0EEENS1_30default_config_static_selectorELNS0_4arch9wavefront6targetE0EEEvT1_
; %bb.0:
	.section	.rodata,"a",@progbits
	.p2align	6, 0x0
	.amdhsa_kernel _ZN7rocprim17ROCPRIM_400000_NS6detail17trampoline_kernelINS0_14default_configENS1_25partition_config_selectorILNS1_17partition_subalgoE9EllbEEZZNS1_14partition_implILS5_9ELb0ES3_jPlS8_PNS0_10empty_typeENS0_5tupleIJS8_S9_EEENSB_IJS8_SA_EEENS0_18inequality_wrapperIZN2at6native12_GLOBAL__N_124unique_dim_cuda_templateIjEESt5tupleIJNSF_6TensorESK_SK_EERKSK_lbbbEUlllE0_EEPmJS9_EEE10hipError_tPvRmT3_T4_T5_T6_T7_T9_mT8_P12ihipStream_tbDpT10_ENKUlT_T0_E_clISt17integral_constantIbLb1EES19_IbLb0EEEEDaS15_S16_EUlS15_E_NS1_11comp_targetILNS1_3genE10ELNS1_11target_archE1200ELNS1_3gpuE4ELNS1_3repE0EEENS1_30default_config_static_selectorELNS0_4arch9wavefront6targetE0EEEvT1_
		.amdhsa_group_segment_fixed_size 0
		.amdhsa_private_segment_fixed_size 0
		.amdhsa_kernarg_size 120
		.amdhsa_user_sgpr_count 15
		.amdhsa_user_sgpr_dispatch_ptr 0
		.amdhsa_user_sgpr_queue_ptr 0
		.amdhsa_user_sgpr_kernarg_segment_ptr 1
		.amdhsa_user_sgpr_dispatch_id 0
		.amdhsa_user_sgpr_private_segment_size 0
		.amdhsa_wavefront_size32 1
		.amdhsa_uses_dynamic_stack 0
		.amdhsa_enable_private_segment 0
		.amdhsa_system_sgpr_workgroup_id_x 1
		.amdhsa_system_sgpr_workgroup_id_y 0
		.amdhsa_system_sgpr_workgroup_id_z 0
		.amdhsa_system_sgpr_workgroup_info 0
		.amdhsa_system_vgpr_workitem_id 0
		.amdhsa_next_free_vgpr 1
		.amdhsa_next_free_sgpr 1
		.amdhsa_reserve_vcc 0
		.amdhsa_float_round_mode_32 0
		.amdhsa_float_round_mode_16_64 0
		.amdhsa_float_denorm_mode_32 3
		.amdhsa_float_denorm_mode_16_64 3
		.amdhsa_dx10_clamp 1
		.amdhsa_ieee_mode 1
		.amdhsa_fp16_overflow 0
		.amdhsa_workgroup_processor_mode 1
		.amdhsa_memory_ordered 1
		.amdhsa_forward_progress 0
		.amdhsa_shared_vgpr_count 0
		.amdhsa_exception_fp_ieee_invalid_op 0
		.amdhsa_exception_fp_denorm_src 0
		.amdhsa_exception_fp_ieee_div_zero 0
		.amdhsa_exception_fp_ieee_overflow 0
		.amdhsa_exception_fp_ieee_underflow 0
		.amdhsa_exception_fp_ieee_inexact 0
		.amdhsa_exception_int_div_zero 0
	.end_amdhsa_kernel
	.section	.text._ZN7rocprim17ROCPRIM_400000_NS6detail17trampoline_kernelINS0_14default_configENS1_25partition_config_selectorILNS1_17partition_subalgoE9EllbEEZZNS1_14partition_implILS5_9ELb0ES3_jPlS8_PNS0_10empty_typeENS0_5tupleIJS8_S9_EEENSB_IJS8_SA_EEENS0_18inequality_wrapperIZN2at6native12_GLOBAL__N_124unique_dim_cuda_templateIjEESt5tupleIJNSF_6TensorESK_SK_EERKSK_lbbbEUlllE0_EEPmJS9_EEE10hipError_tPvRmT3_T4_T5_T6_T7_T9_mT8_P12ihipStream_tbDpT10_ENKUlT_T0_E_clISt17integral_constantIbLb1EES19_IbLb0EEEEDaS15_S16_EUlS15_E_NS1_11comp_targetILNS1_3genE10ELNS1_11target_archE1200ELNS1_3gpuE4ELNS1_3repE0EEENS1_30default_config_static_selectorELNS0_4arch9wavefront6targetE0EEEvT1_,"axG",@progbits,_ZN7rocprim17ROCPRIM_400000_NS6detail17trampoline_kernelINS0_14default_configENS1_25partition_config_selectorILNS1_17partition_subalgoE9EllbEEZZNS1_14partition_implILS5_9ELb0ES3_jPlS8_PNS0_10empty_typeENS0_5tupleIJS8_S9_EEENSB_IJS8_SA_EEENS0_18inequality_wrapperIZN2at6native12_GLOBAL__N_124unique_dim_cuda_templateIjEESt5tupleIJNSF_6TensorESK_SK_EERKSK_lbbbEUlllE0_EEPmJS9_EEE10hipError_tPvRmT3_T4_T5_T6_T7_T9_mT8_P12ihipStream_tbDpT10_ENKUlT_T0_E_clISt17integral_constantIbLb1EES19_IbLb0EEEEDaS15_S16_EUlS15_E_NS1_11comp_targetILNS1_3genE10ELNS1_11target_archE1200ELNS1_3gpuE4ELNS1_3repE0EEENS1_30default_config_static_selectorELNS0_4arch9wavefront6targetE0EEEvT1_,comdat
.Lfunc_end1592:
	.size	_ZN7rocprim17ROCPRIM_400000_NS6detail17trampoline_kernelINS0_14default_configENS1_25partition_config_selectorILNS1_17partition_subalgoE9EllbEEZZNS1_14partition_implILS5_9ELb0ES3_jPlS8_PNS0_10empty_typeENS0_5tupleIJS8_S9_EEENSB_IJS8_SA_EEENS0_18inequality_wrapperIZN2at6native12_GLOBAL__N_124unique_dim_cuda_templateIjEESt5tupleIJNSF_6TensorESK_SK_EERKSK_lbbbEUlllE0_EEPmJS9_EEE10hipError_tPvRmT3_T4_T5_T6_T7_T9_mT8_P12ihipStream_tbDpT10_ENKUlT_T0_E_clISt17integral_constantIbLb1EES19_IbLb0EEEEDaS15_S16_EUlS15_E_NS1_11comp_targetILNS1_3genE10ELNS1_11target_archE1200ELNS1_3gpuE4ELNS1_3repE0EEENS1_30default_config_static_selectorELNS0_4arch9wavefront6targetE0EEEvT1_, .Lfunc_end1592-_ZN7rocprim17ROCPRIM_400000_NS6detail17trampoline_kernelINS0_14default_configENS1_25partition_config_selectorILNS1_17partition_subalgoE9EllbEEZZNS1_14partition_implILS5_9ELb0ES3_jPlS8_PNS0_10empty_typeENS0_5tupleIJS8_S9_EEENSB_IJS8_SA_EEENS0_18inequality_wrapperIZN2at6native12_GLOBAL__N_124unique_dim_cuda_templateIjEESt5tupleIJNSF_6TensorESK_SK_EERKSK_lbbbEUlllE0_EEPmJS9_EEE10hipError_tPvRmT3_T4_T5_T6_T7_T9_mT8_P12ihipStream_tbDpT10_ENKUlT_T0_E_clISt17integral_constantIbLb1EES19_IbLb0EEEEDaS15_S16_EUlS15_E_NS1_11comp_targetILNS1_3genE10ELNS1_11target_archE1200ELNS1_3gpuE4ELNS1_3repE0EEENS1_30default_config_static_selectorELNS0_4arch9wavefront6targetE0EEEvT1_
                                        ; -- End function
	.section	.AMDGPU.csdata,"",@progbits
; Kernel info:
; codeLenInByte = 0
; NumSgprs: 0
; NumVgprs: 0
; ScratchSize: 0
; MemoryBound: 0
; FloatMode: 240
; IeeeMode: 1
; LDSByteSize: 0 bytes/workgroup (compile time only)
; SGPRBlocks: 0
; VGPRBlocks: 0
; NumSGPRsForWavesPerEU: 1
; NumVGPRsForWavesPerEU: 1
; Occupancy: 15
; WaveLimiterHint : 0
; COMPUTE_PGM_RSRC2:SCRATCH_EN: 0
; COMPUTE_PGM_RSRC2:USER_SGPR: 15
; COMPUTE_PGM_RSRC2:TRAP_HANDLER: 0
; COMPUTE_PGM_RSRC2:TGID_X_EN: 1
; COMPUTE_PGM_RSRC2:TGID_Y_EN: 0
; COMPUTE_PGM_RSRC2:TGID_Z_EN: 0
; COMPUTE_PGM_RSRC2:TIDIG_COMP_CNT: 0
	.section	.text._ZN7rocprim17ROCPRIM_400000_NS6detail17trampoline_kernelINS0_14default_configENS1_25partition_config_selectorILNS1_17partition_subalgoE9EllbEEZZNS1_14partition_implILS5_9ELb0ES3_jPlS8_PNS0_10empty_typeENS0_5tupleIJS8_S9_EEENSB_IJS8_SA_EEENS0_18inequality_wrapperIZN2at6native12_GLOBAL__N_124unique_dim_cuda_templateIjEESt5tupleIJNSF_6TensorESK_SK_EERKSK_lbbbEUlllE0_EEPmJS9_EEE10hipError_tPvRmT3_T4_T5_T6_T7_T9_mT8_P12ihipStream_tbDpT10_ENKUlT_T0_E_clISt17integral_constantIbLb1EES19_IbLb0EEEEDaS15_S16_EUlS15_E_NS1_11comp_targetILNS1_3genE9ELNS1_11target_archE1100ELNS1_3gpuE3ELNS1_3repE0EEENS1_30default_config_static_selectorELNS0_4arch9wavefront6targetE0EEEvT1_,"axG",@progbits,_ZN7rocprim17ROCPRIM_400000_NS6detail17trampoline_kernelINS0_14default_configENS1_25partition_config_selectorILNS1_17partition_subalgoE9EllbEEZZNS1_14partition_implILS5_9ELb0ES3_jPlS8_PNS0_10empty_typeENS0_5tupleIJS8_S9_EEENSB_IJS8_SA_EEENS0_18inequality_wrapperIZN2at6native12_GLOBAL__N_124unique_dim_cuda_templateIjEESt5tupleIJNSF_6TensorESK_SK_EERKSK_lbbbEUlllE0_EEPmJS9_EEE10hipError_tPvRmT3_T4_T5_T6_T7_T9_mT8_P12ihipStream_tbDpT10_ENKUlT_T0_E_clISt17integral_constantIbLb1EES19_IbLb0EEEEDaS15_S16_EUlS15_E_NS1_11comp_targetILNS1_3genE9ELNS1_11target_archE1100ELNS1_3gpuE3ELNS1_3repE0EEENS1_30default_config_static_selectorELNS0_4arch9wavefront6targetE0EEEvT1_,comdat
	.globl	_ZN7rocprim17ROCPRIM_400000_NS6detail17trampoline_kernelINS0_14default_configENS1_25partition_config_selectorILNS1_17partition_subalgoE9EllbEEZZNS1_14partition_implILS5_9ELb0ES3_jPlS8_PNS0_10empty_typeENS0_5tupleIJS8_S9_EEENSB_IJS8_SA_EEENS0_18inequality_wrapperIZN2at6native12_GLOBAL__N_124unique_dim_cuda_templateIjEESt5tupleIJNSF_6TensorESK_SK_EERKSK_lbbbEUlllE0_EEPmJS9_EEE10hipError_tPvRmT3_T4_T5_T6_T7_T9_mT8_P12ihipStream_tbDpT10_ENKUlT_T0_E_clISt17integral_constantIbLb1EES19_IbLb0EEEEDaS15_S16_EUlS15_E_NS1_11comp_targetILNS1_3genE9ELNS1_11target_archE1100ELNS1_3gpuE3ELNS1_3repE0EEENS1_30default_config_static_selectorELNS0_4arch9wavefront6targetE0EEEvT1_ ; -- Begin function _ZN7rocprim17ROCPRIM_400000_NS6detail17trampoline_kernelINS0_14default_configENS1_25partition_config_selectorILNS1_17partition_subalgoE9EllbEEZZNS1_14partition_implILS5_9ELb0ES3_jPlS8_PNS0_10empty_typeENS0_5tupleIJS8_S9_EEENSB_IJS8_SA_EEENS0_18inequality_wrapperIZN2at6native12_GLOBAL__N_124unique_dim_cuda_templateIjEESt5tupleIJNSF_6TensorESK_SK_EERKSK_lbbbEUlllE0_EEPmJS9_EEE10hipError_tPvRmT3_T4_T5_T6_T7_T9_mT8_P12ihipStream_tbDpT10_ENKUlT_T0_E_clISt17integral_constantIbLb1EES19_IbLb0EEEEDaS15_S16_EUlS15_E_NS1_11comp_targetILNS1_3genE9ELNS1_11target_archE1100ELNS1_3gpuE3ELNS1_3repE0EEENS1_30default_config_static_selectorELNS0_4arch9wavefront6targetE0EEEvT1_
	.p2align	8
	.type	_ZN7rocprim17ROCPRIM_400000_NS6detail17trampoline_kernelINS0_14default_configENS1_25partition_config_selectorILNS1_17partition_subalgoE9EllbEEZZNS1_14partition_implILS5_9ELb0ES3_jPlS8_PNS0_10empty_typeENS0_5tupleIJS8_S9_EEENSB_IJS8_SA_EEENS0_18inequality_wrapperIZN2at6native12_GLOBAL__N_124unique_dim_cuda_templateIjEESt5tupleIJNSF_6TensorESK_SK_EERKSK_lbbbEUlllE0_EEPmJS9_EEE10hipError_tPvRmT3_T4_T5_T6_T7_T9_mT8_P12ihipStream_tbDpT10_ENKUlT_T0_E_clISt17integral_constantIbLb1EES19_IbLb0EEEEDaS15_S16_EUlS15_E_NS1_11comp_targetILNS1_3genE9ELNS1_11target_archE1100ELNS1_3gpuE3ELNS1_3repE0EEENS1_30default_config_static_selectorELNS0_4arch9wavefront6targetE0EEEvT1_,@function
_ZN7rocprim17ROCPRIM_400000_NS6detail17trampoline_kernelINS0_14default_configENS1_25partition_config_selectorILNS1_17partition_subalgoE9EllbEEZZNS1_14partition_implILS5_9ELb0ES3_jPlS8_PNS0_10empty_typeENS0_5tupleIJS8_S9_EEENSB_IJS8_SA_EEENS0_18inequality_wrapperIZN2at6native12_GLOBAL__N_124unique_dim_cuda_templateIjEESt5tupleIJNSF_6TensorESK_SK_EERKSK_lbbbEUlllE0_EEPmJS9_EEE10hipError_tPvRmT3_T4_T5_T6_T7_T9_mT8_P12ihipStream_tbDpT10_ENKUlT_T0_E_clISt17integral_constantIbLb1EES19_IbLb0EEEEDaS15_S16_EUlS15_E_NS1_11comp_targetILNS1_3genE9ELNS1_11target_archE1100ELNS1_3gpuE3ELNS1_3repE0EEENS1_30default_config_static_selectorELNS0_4arch9wavefront6targetE0EEEvT1_: ; @_ZN7rocprim17ROCPRIM_400000_NS6detail17trampoline_kernelINS0_14default_configENS1_25partition_config_selectorILNS1_17partition_subalgoE9EllbEEZZNS1_14partition_implILS5_9ELb0ES3_jPlS8_PNS0_10empty_typeENS0_5tupleIJS8_S9_EEENSB_IJS8_SA_EEENS0_18inequality_wrapperIZN2at6native12_GLOBAL__N_124unique_dim_cuda_templateIjEESt5tupleIJNSF_6TensorESK_SK_EERKSK_lbbbEUlllE0_EEPmJS9_EEE10hipError_tPvRmT3_T4_T5_T6_T7_T9_mT8_P12ihipStream_tbDpT10_ENKUlT_T0_E_clISt17integral_constantIbLb1EES19_IbLb0EEEEDaS15_S16_EUlS15_E_NS1_11comp_targetILNS1_3genE9ELNS1_11target_archE1100ELNS1_3gpuE3ELNS1_3repE0EEENS1_30default_config_static_selectorELNS0_4arch9wavefront6targetE0EEEvT1_
; %bb.0:
	s_clause 0x3
	s_load_b128 s[4:7], s[0:1], 0x8
	s_load_b32 s8, s[0:1], 0x70
	s_load_b256 s[16:23], s[0:1], 0x40
	s_load_b64 s[24:25], s[0:1], 0x18
	s_mov_b32 s3, 0
	v_lshlrev_b32_e32 v55, 3, v0
	v_lshrrev_b32_e32 v33, 2, v0
	v_or_b32_e32 v38, 0x200, v0
	v_or_b32_e32 v36, 0x400, v0
	v_or_b32_e32 v40, 0x600, v0
	v_or_b32_e32 v39, 0x800, v0
	v_or_b32_e32 v37, 0xa00, v0
	v_or_b32_e32 v34, 0xc00, v0
	v_or_b32_e32 v35, 0xe00, v0
	s_waitcnt lgkmcnt(0)
	s_lshl_b64 s[26:27], s[6:7], 3
	s_delay_alu instid0(SALU_CYCLE_1)
	s_add_u32 s9, s4, s26
	s_addc_u32 s10, s5, s27
	s_add_i32 s11, s8, -1
	s_load_b64 s[12:13], s[18:19], 0x0
	s_lshl_b32 s4, s11, 12
	s_lshl_b32 s5, s8, 12
	s_add_i32 s4, s6, s4
	s_lshl_b32 s2, s15, 12
	s_sub_i32 s28, s20, s4
	s_add_u32 s4, s6, s5
	s_addc_u32 s5, s7, 0
	s_cmp_eq_u32 s15, s11
	v_cmp_ge_u64_e64 s4, s[4:5], s[20:21]
	s_cselect_b32 s14, -1, 0
	s_lshl_b64 s[18:19], s[2:3], 3
	s_mov_b32 s3, -1
	s_delay_alu instid0(VALU_DEP_1) | instskip(NEXT) | instid1(SALU_CYCLE_1)
	s_and_b32 s21, s14, s4
	s_xor_b32 s20, s21, -1
	s_add_u32 s4, s9, s18
	s_addc_u32 s5, s10, s19
	s_and_b32 vcc_lo, exec_lo, s20
	s_cbranch_vccz .LBB1593_2
; %bb.1:
	v_add_co_u32 v9, s2, s4, v55
	s_delay_alu instid0(VALU_DEP_1)
	v_add_co_ci_u32_e64 v10, null, s5, 0, s2
	global_load_b64 v[1:2], v55, s[4:5]
	v_add_co_u32 v3, vcc_lo, v9, 0x2000
	v_add_co_ci_u32_e32 v4, vcc_lo, 0, v10, vcc_lo
	v_add_co_u32 v5, vcc_lo, v9, 0x4000
	v_add_co_ci_u32_e32 v6, vcc_lo, 0, v10, vcc_lo
	;; [unrolled: 2-line block ×4, first 2 shown]
	s_clause 0x6
	global_load_b64 v[11:12], v[3:4], off offset:-4096
	global_load_b64 v[3:4], v[3:4], off
	global_load_b64 v[13:14], v[5:6], off offset:-4096
	global_load_b64 v[5:6], v[5:6], off
	global_load_b64 v[15:16], v[7:8], off offset:-4096
	global_load_b64 v[7:8], v[7:8], off
	global_load_b64 v[9:10], v[9:10], off
	v_lshrrev_b32_e32 v18, 2, v38
	v_lshrrev_b32_e32 v19, 2, v36
	;; [unrolled: 1-line block ×4, first 2 shown]
	v_and_b32_e32 v17, 0x78, v33
	v_lshrrev_b32_e32 v22, 2, v37
	v_lshrrev_b32_e32 v23, 2, v34
	;; [unrolled: 1-line block ×3, first 2 shown]
	v_and_b32_e32 v18, 0xf8, v18
	v_and_b32_e32 v19, 0x178, v19
	;; [unrolled: 1-line block ×4, first 2 shown]
	v_add_nc_u32_e32 v17, v17, v55
	v_and_b32_e32 v22, 0x2f8, v22
	v_and_b32_e32 v23, 0x378, v23
	;; [unrolled: 1-line block ×3, first 2 shown]
	v_add_nc_u32_e32 v18, v18, v55
	v_add_nc_u32_e32 v19, v19, v55
	;; [unrolled: 1-line block ×4, first 2 shown]
	s_mov_b32 s3, 0
	v_add_nc_u32_e32 v22, v22, v55
	v_add_nc_u32_e32 v23, v23, v55
	;; [unrolled: 1-line block ×3, first 2 shown]
	s_waitcnt vmcnt(7)
	ds_store_b64 v17, v[1:2]
	s_waitcnt vmcnt(6)
	ds_store_b64 v18, v[11:12] offset:4096
	s_waitcnt vmcnt(5)
	ds_store_b64 v19, v[3:4] offset:8192
	;; [unrolled: 2-line block ×7, first 2 shown]
	s_waitcnt lgkmcnt(0)
	s_barrier
.LBB1593_2:
	s_load_b128 s[8:11], s[0:1], 0x60
	v_cmp_gt_u32_e64 s2, s28, v0
	s_and_not1_b32 vcc_lo, exec_lo, s3
	s_cbranch_vccnz .LBB1593_20
; %bb.3:
                                        ; implicit-def: $vgpr1_vgpr2_vgpr3_vgpr4_vgpr5_vgpr6_vgpr7_vgpr8_vgpr9_vgpr10_vgpr11_vgpr12_vgpr13_vgpr14_vgpr15_vgpr16
	s_delay_alu instid0(VALU_DEP_1)
	s_and_saveexec_b32 s3, s2
	s_cbranch_execz .LBB1593_11
; %bb.4:
	global_load_b64 v[1:2], v55, s[4:5]
	s_or_b32 exec_lo, exec_lo, s3
	s_delay_alu instid0(SALU_CYCLE_1)
	s_mov_b32 s2, exec_lo
	v_cmpx_gt_u32_e64 s28, v38
	s_cbranch_execnz .LBB1593_12
.LBB1593_5:
	s_or_b32 exec_lo, exec_lo, s2
	s_delay_alu instid0(SALU_CYCLE_1)
	s_mov_b32 s2, exec_lo
	v_cmpx_gt_u32_e64 s28, v36
	s_cbranch_execz .LBB1593_13
.LBB1593_6:
	v_lshlrev_b32_e32 v5, 3, v36
	global_load_b64 v[5:6], v5, s[4:5]
	s_or_b32 exec_lo, exec_lo, s2
	s_delay_alu instid0(SALU_CYCLE_1)
	s_mov_b32 s2, exec_lo
	v_cmpx_gt_u32_e64 s28, v40
	s_cbranch_execnz .LBB1593_14
.LBB1593_7:
	s_or_b32 exec_lo, exec_lo, s2
	s_delay_alu instid0(SALU_CYCLE_1)
	s_mov_b32 s2, exec_lo
	v_cmpx_gt_u32_e64 s28, v39
	s_cbranch_execz .LBB1593_15
.LBB1593_8:
	v_lshlrev_b32_e32 v9, 3, v39
	global_load_b64 v[9:10], v9, s[4:5]
	s_or_b32 exec_lo, exec_lo, s2
	s_delay_alu instid0(SALU_CYCLE_1)
	s_mov_b32 s2, exec_lo
	v_cmpx_gt_u32_e64 s28, v37
	s_cbranch_execnz .LBB1593_16
.LBB1593_9:
	s_or_b32 exec_lo, exec_lo, s2
	s_delay_alu instid0(SALU_CYCLE_1)
	s_mov_b32 s2, exec_lo
	v_cmpx_gt_u32_e64 s28, v34
	s_cbranch_execz .LBB1593_17
.LBB1593_10:
	v_lshlrev_b32_e32 v13, 3, v34
	global_load_b64 v[13:14], v13, s[4:5]
	s_or_b32 exec_lo, exec_lo, s2
	s_delay_alu instid0(SALU_CYCLE_1)
	s_mov_b32 s2, exec_lo
	v_cmpx_gt_u32_e64 s28, v35
	s_cbranch_execnz .LBB1593_18
	s_branch .LBB1593_19
.LBB1593_11:
	s_or_b32 exec_lo, exec_lo, s3
	s_delay_alu instid0(SALU_CYCLE_1)
	s_mov_b32 s2, exec_lo
	v_cmpx_gt_u32_e64 s28, v38
	s_cbranch_execz .LBB1593_5
.LBB1593_12:
	v_lshlrev_b32_e32 v3, 3, v38
	global_load_b64 v[3:4], v3, s[4:5]
	s_or_b32 exec_lo, exec_lo, s2
	s_delay_alu instid0(SALU_CYCLE_1)
	s_mov_b32 s2, exec_lo
	v_cmpx_gt_u32_e64 s28, v36
	s_cbranch_execnz .LBB1593_6
.LBB1593_13:
	s_or_b32 exec_lo, exec_lo, s2
	s_delay_alu instid0(SALU_CYCLE_1)
	s_mov_b32 s2, exec_lo
	v_cmpx_gt_u32_e64 s28, v40
	s_cbranch_execz .LBB1593_7
.LBB1593_14:
	v_lshlrev_b32_e32 v7, 3, v40
	global_load_b64 v[7:8], v7, s[4:5]
	s_or_b32 exec_lo, exec_lo, s2
	s_delay_alu instid0(SALU_CYCLE_1)
	s_mov_b32 s2, exec_lo
	v_cmpx_gt_u32_e64 s28, v39
	s_cbranch_execnz .LBB1593_8
.LBB1593_15:
	s_or_b32 exec_lo, exec_lo, s2
	s_delay_alu instid0(SALU_CYCLE_1)
	s_mov_b32 s2, exec_lo
	v_cmpx_gt_u32_e64 s28, v37
	s_cbranch_execz .LBB1593_9
.LBB1593_16:
	v_lshlrev_b32_e32 v11, 3, v37
	global_load_b64 v[11:12], v11, s[4:5]
	s_or_b32 exec_lo, exec_lo, s2
	s_delay_alu instid0(SALU_CYCLE_1)
	s_mov_b32 s2, exec_lo
	v_cmpx_gt_u32_e64 s28, v34
	s_cbranch_execnz .LBB1593_10
.LBB1593_17:
	s_or_b32 exec_lo, exec_lo, s2
	s_delay_alu instid0(SALU_CYCLE_1)
	s_mov_b32 s2, exec_lo
	v_cmpx_gt_u32_e64 s28, v35
	s_cbranch_execz .LBB1593_19
.LBB1593_18:
	v_lshlrev_b32_e32 v15, 3, v35
	global_load_b64 v[15:16], v15, s[4:5]
.LBB1593_19:
	s_or_b32 exec_lo, exec_lo, s2
	v_lshrrev_b32_e32 v17, 2, v38
	v_lshrrev_b32_e32 v18, 2, v36
	;; [unrolled: 1-line block ×4, first 2 shown]
	v_and_b32_e32 v19, 0x78, v33
	v_lshrrev_b32_e32 v22, 2, v37
	v_lshrrev_b32_e32 v23, 2, v34
	;; [unrolled: 1-line block ×3, first 2 shown]
	v_and_b32_e32 v17, 0xf8, v17
	v_and_b32_e32 v18, 0x1f8, v18
	;; [unrolled: 1-line block ×4, first 2 shown]
	v_add_nc_u32_e32 v19, v19, v55
	v_and_b32_e32 v22, 0x3f8, v22
	v_and_b32_e32 v23, 0x3f8, v23
	;; [unrolled: 1-line block ×3, first 2 shown]
	v_add_nc_u32_e32 v17, v17, v55
	v_add_nc_u32_e32 v18, v18, v55
	;; [unrolled: 1-line block ×7, first 2 shown]
	s_waitcnt vmcnt(0)
	ds_store_b64 v19, v[1:2]
	ds_store_b64 v17, v[3:4] offset:4096
	ds_store_b64 v18, v[5:6] offset:8192
	;; [unrolled: 1-line block ×7, first 2 shown]
	s_waitcnt lgkmcnt(0)
	s_barrier
.LBB1593_20:
	v_add_lshl_u32 v41, v33, v55, 3
	s_waitcnt lgkmcnt(0)
	buffer_gl0_inv
	s_add_u32 s2, s24, s26
	s_addc_u32 s3, s25, s27
	s_add_u32 s2, s2, s18
	ds_load_2addr_b64 v[29:32], v41 offset1:1
	ds_load_2addr_b64 v[25:28], v41 offset0:2 offset1:3
	ds_load_2addr_b64 v[21:24], v41 offset0:4 offset1:5
	ds_load_2addr_b64 v[17:20], v41 offset0:6 offset1:7
	s_addc_u32 s3, s3, s19
	s_and_b32 vcc_lo, exec_lo, s20
	s_mov_b32 s18, -1
	s_waitcnt lgkmcnt(0)
	s_barrier
	buffer_gl0_inv
	s_cbranch_vccz .LBB1593_22
; %bb.21:
	v_add_co_u32 v9, s18, s2, v55
	s_delay_alu instid0(VALU_DEP_1)
	v_add_co_ci_u32_e64 v10, null, s3, 0, s18
	global_load_b64 v[1:2], v55, s[2:3]
	v_add_co_u32 v3, vcc_lo, v9, 0x2000
	v_add_co_ci_u32_e32 v4, vcc_lo, 0, v10, vcc_lo
	v_add_co_u32 v5, vcc_lo, v9, 0x4000
	v_add_co_ci_u32_e32 v6, vcc_lo, 0, v10, vcc_lo
	;; [unrolled: 2-line block ×4, first 2 shown]
	s_clause 0x6
	global_load_b64 v[11:12], v[3:4], off offset:-4096
	global_load_b64 v[3:4], v[3:4], off
	global_load_b64 v[13:14], v[5:6], off offset:-4096
	global_load_b64 v[5:6], v[5:6], off
	global_load_b64 v[15:16], v[7:8], off offset:-4096
	global_load_b64 v[7:8], v[7:8], off
	global_load_b64 v[9:10], v[9:10], off
	v_lshrrev_b32_e32 v43, 2, v38
	v_lshrrev_b32_e32 v44, 2, v36
	;; [unrolled: 1-line block ×4, first 2 shown]
	v_and_b32_e32 v42, 0x78, v33
	v_lshrrev_b32_e32 v47, 2, v37
	v_lshrrev_b32_e32 v48, 2, v34
	;; [unrolled: 1-line block ×3, first 2 shown]
	v_and_b32_e32 v43, 0xf8, v43
	v_and_b32_e32 v44, 0x178, v44
	;; [unrolled: 1-line block ×4, first 2 shown]
	v_add_nc_u32_e32 v42, v42, v55
	v_and_b32_e32 v47, 0x2f8, v47
	v_and_b32_e32 v48, 0x378, v48
	;; [unrolled: 1-line block ×3, first 2 shown]
	v_add_nc_u32_e32 v43, v43, v55
	v_add_nc_u32_e32 v44, v44, v55
	;; [unrolled: 1-line block ×4, first 2 shown]
	s_mov_b32 s18, 0
	v_add_nc_u32_e32 v47, v47, v55
	v_add_nc_u32_e32 v48, v48, v55
	;; [unrolled: 1-line block ×3, first 2 shown]
	s_waitcnt vmcnt(7)
	ds_store_b64 v42, v[1:2]
	s_waitcnt vmcnt(6)
	ds_store_b64 v43, v[11:12] offset:4096
	s_waitcnt vmcnt(5)
	ds_store_b64 v44, v[3:4] offset:8192
	;; [unrolled: 2-line block ×7, first 2 shown]
	s_waitcnt lgkmcnt(0)
	s_barrier
.LBB1593_22:
	s_and_not1_b32 vcc_lo, exec_lo, s18
	s_cbranch_vccnz .LBB1593_40
; %bb.23:
	s_mov_b32 s18, exec_lo
                                        ; implicit-def: $vgpr1_vgpr2
	v_cmpx_gt_u32_e64 s28, v0
	s_cbranch_execz .LBB1593_25
; %bb.24:
	global_load_b64 v[1:2], v55, s[2:3]
.LBB1593_25:
	s_or_b32 exec_lo, exec_lo, s18
	s_delay_alu instid0(SALU_CYCLE_1)
	s_mov_b32 s18, exec_lo
                                        ; implicit-def: $vgpr3_vgpr4
	v_cmpx_gt_u32_e64 s28, v38
	s_cbranch_execz .LBB1593_27
; %bb.26:
	v_lshlrev_b32_e32 v3, 3, v38
	global_load_b64 v[3:4], v3, s[2:3]
.LBB1593_27:
	s_or_b32 exec_lo, exec_lo, s18
	s_delay_alu instid0(SALU_CYCLE_1)
	s_mov_b32 s18, exec_lo
                                        ; implicit-def: $vgpr5_vgpr6
	v_cmpx_gt_u32_e64 s28, v36
	s_cbranch_execz .LBB1593_29
; %bb.28:
	v_lshlrev_b32_e32 v5, 3, v36
	global_load_b64 v[5:6], v5, s[2:3]
.LBB1593_29:
	s_or_b32 exec_lo, exec_lo, s18
	s_delay_alu instid0(SALU_CYCLE_1)
	s_mov_b32 s18, exec_lo
                                        ; implicit-def: $vgpr7_vgpr8
	v_cmpx_gt_u32_e64 s28, v40
	s_cbranch_execz .LBB1593_31
; %bb.30:
	v_lshlrev_b32_e32 v7, 3, v40
	global_load_b64 v[7:8], v7, s[2:3]
.LBB1593_31:
	s_or_b32 exec_lo, exec_lo, s18
	s_delay_alu instid0(SALU_CYCLE_1)
	s_mov_b32 s18, exec_lo
                                        ; implicit-def: $vgpr9_vgpr10
	v_cmpx_gt_u32_e64 s28, v39
	s_cbranch_execz .LBB1593_33
; %bb.32:
	v_lshlrev_b32_e32 v9, 3, v39
	global_load_b64 v[9:10], v9, s[2:3]
.LBB1593_33:
	s_or_b32 exec_lo, exec_lo, s18
	s_delay_alu instid0(SALU_CYCLE_1)
	s_mov_b32 s18, exec_lo
                                        ; implicit-def: $vgpr11_vgpr12
	v_cmpx_gt_u32_e64 s28, v37
	s_cbranch_execz .LBB1593_35
; %bb.34:
	v_lshlrev_b32_e32 v11, 3, v37
	global_load_b64 v[11:12], v11, s[2:3]
.LBB1593_35:
	s_or_b32 exec_lo, exec_lo, s18
	s_delay_alu instid0(SALU_CYCLE_1)
	s_mov_b32 s18, exec_lo
                                        ; implicit-def: $vgpr13_vgpr14
	v_cmpx_gt_u32_e64 s28, v34
	s_cbranch_execz .LBB1593_37
; %bb.36:
	v_lshlrev_b32_e32 v13, 3, v34
	global_load_b64 v[13:14], v13, s[2:3]
.LBB1593_37:
	s_or_b32 exec_lo, exec_lo, s18
	s_delay_alu instid0(SALU_CYCLE_1)
	s_mov_b32 s18, exec_lo
                                        ; implicit-def: $vgpr15_vgpr16
	v_cmpx_gt_u32_e64 s28, v35
	s_cbranch_execz .LBB1593_39
; %bb.38:
	v_lshlrev_b32_e32 v15, 3, v35
	global_load_b64 v[15:16], v15, s[2:3]
.LBB1593_39:
	s_or_b32 exec_lo, exec_lo, s18
	v_lshrrev_b32_e32 v38, 2, v38
	v_lshrrev_b32_e32 v36, 2, v36
	;; [unrolled: 1-line block ×4, first 2 shown]
	v_and_b32_e32 v33, 0x78, v33
	v_lshrrev_b32_e32 v37, 2, v37
	v_lshrrev_b32_e32 v34, 2, v34
	;; [unrolled: 1-line block ×3, first 2 shown]
	v_and_b32_e32 v38, 0xf8, v38
	v_and_b32_e32 v36, 0x1f8, v36
	;; [unrolled: 1-line block ×4, first 2 shown]
	v_add_nc_u32_e32 v33, v33, v55
	v_and_b32_e32 v37, 0x3f8, v37
	v_and_b32_e32 v34, 0x3f8, v34
	;; [unrolled: 1-line block ×3, first 2 shown]
	v_add_nc_u32_e32 v38, v38, v55
	v_add_nc_u32_e32 v36, v36, v55
	;; [unrolled: 1-line block ×7, first 2 shown]
	s_waitcnt vmcnt(0)
	ds_store_b64 v33, v[1:2]
	ds_store_b64 v38, v[3:4] offset:4096
	ds_store_b64 v36, v[5:6] offset:8192
	;; [unrolled: 1-line block ×7, first 2 shown]
	s_waitcnt lgkmcnt(0)
	s_barrier
.LBB1593_40:
	buffer_gl0_inv
	ds_load_2addr_b64 v[13:16], v41 offset1:1
	ds_load_2addr_b64 v[9:12], v41 offset0:2 offset1:3
	ds_load_2addr_b64 v[5:8], v41 offset0:4 offset1:5
	;; [unrolled: 1-line block ×3, first 2 shown]
	s_cmp_lg_u32 s15, 0
	v_cmp_gt_i64_e64 s25, s[22:23], 0
	s_cselect_b32 s24, -1, 0
	s_cmp_lg_u64 s[6:7], 0
	s_mov_b32 s3, 0
	s_cselect_b32 s2, -1, 0
	s_waitcnt lgkmcnt(0)
	s_or_b32 s2, s24, s2
	s_barrier
	s_and_b32 vcc_lo, exec_lo, s2
	buffer_gl0_inv
	s_cbranch_vccz .LBB1593_49
; %bb.41:
	s_add_u32 s2, s4, -8
	s_addc_u32 s3, s5, -1
	v_cndmask_b32_e64 v41, 0, 1, s25
	s_load_b64 s[4:5], s[2:3], 0x0
	s_and_b32 vcc_lo, exec_lo, s20
	ds_store_b64 v55, v[19:20]
	v_cmp_ne_u32_e64 s2, 1, v41
	s_cbranch_vccz .LBB1593_50
; %bb.42:
	v_mul_lo_u32 v35, v18, s22
	v_mul_lo_u32 v36, v17, s23
	v_mad_u64_u32 v[33:34], null, v17, s22, 0
	s_mov_b32 s3, 0
	s_and_b32 vcc_lo, exec_lo, s2
	s_mov_b32 s26, 0
	s_delay_alu instid0(VALU_DEP_1) | instskip(NEXT) | instid1(VALU_DEP_1)
	v_add3_u32 v34, v34, v36, v35
	v_lshlrev_b64 v[33:34], 2, v[33:34]
	s_cbranch_vccnz .LBB1593_53
; %bb.43:
	v_mul_lo_u32 v37, v20, s22
	v_mul_lo_u32 v38, v19, s23
	v_mad_u64_u32 v[35:36], null, v19, s22, 0
	s_mov_b32 s26, -1
	s_mov_b32 s27, exec_lo
	s_delay_alu instid0(VALU_DEP_1) | instskip(SKIP_2) | instid1(VALU_DEP_3)
	v_add3_u32 v36, v36, v38, v37
	v_add_co_u32 v37, vcc_lo, s8, v33
	v_add_co_ci_u32_e32 v38, vcc_lo, s9, v34, vcc_lo
	v_lshlrev_b64 v[35:36], 2, v[35:36]
	s_delay_alu instid0(VALU_DEP_1) | instskip(NEXT) | instid1(VALU_DEP_2)
	v_add_co_u32 v35, vcc_lo, s8, v35
	v_add_co_ci_u32_e32 v36, vcc_lo, s9, v36, vcc_lo
	s_clause 0x1
	global_load_b32 v39, v[37:38], off
	global_load_b32 v40, v[35:36], off
	s_waitcnt vmcnt(0)
	v_cmpx_eq_u32_e64 v39, v40
	s_cbranch_execz .LBB1593_52
; %bb.44:
	v_add_co_u32 v35, vcc_lo, v35, 4
	v_add_co_ci_u32_e32 v36, vcc_lo, 0, v36, vcc_lo
	v_add_co_u32 v37, vcc_lo, v37, 4
	v_add_co_ci_u32_e32 v38, vcc_lo, 0, v38, vcc_lo
	s_add_u32 s6, s22, -1
	s_addc_u32 s7, s23, -1
	s_mov_b64 s[18:19], 0
	s_mov_b32 s26, 0
                                        ; implicit-def: $sgpr29
	s_set_inst_prefetch_distance 0x1
	s_branch .LBB1593_47
	.p2align	6
.LBB1593_45:                            ;   in Loop: Header=BB1593_47 Depth=1
	global_load_b32 v39, v[37:38], off
	global_load_b32 v40, v[35:36], off
	v_add_co_u32 v35, vcc_lo, v35, 4
	v_add_co_ci_u32_e32 v36, vcc_lo, 0, v36, vcc_lo
	v_add_co_u32 v37, s2, v37, 4
	s_delay_alu instid0(VALU_DEP_1)
	v_add_co_ci_u32_e64 v38, s2, 0, v38, s2
	s_add_u32 s18, s18, 1
	s_addc_u32 s19, s19, 0
	s_and_not1_b32 s2, s29, exec_lo
	s_waitcnt vmcnt(0)
	v_cmp_ne_u32_e32 vcc_lo, v39, v40
	s_and_b32 s29, vcc_lo, exec_lo
	s_delay_alu instid0(SALU_CYCLE_1)
	s_or_b32 s29, s2, s29
.LBB1593_46:                            ;   in Loop: Header=BB1593_47 Depth=1
	v_dual_mov_b32 v40, s19 :: v_dual_mov_b32 v39, s18
	s_and_b32 s2, exec_lo, s29
	s_delay_alu instid0(SALU_CYCLE_1) | instskip(NEXT) | instid1(SALU_CYCLE_1)
	s_or_b32 s26, s2, s26
	s_and_not1_b32 exec_lo, exec_lo, s26
	s_cbranch_execz .LBB1593_51
.LBB1593_47:                            ; =>This Inner Loop Header: Depth=1
	s_or_b32 s29, s29, exec_lo
	s_cmp_eq_u64 s[6:7], s[18:19]
	s_cbranch_scc0 .LBB1593_45
; %bb.48:                               ;   in Loop: Header=BB1593_47 Depth=1
	s_mov_b64 s[18:19], s[22:23]
                                        ; implicit-def: $vgpr35_vgpr36
                                        ; implicit-def: $vgpr37_vgpr38
	s_branch .LBB1593_46
.LBB1593_49:
                                        ; implicit-def: $sgpr2
                                        ; implicit-def: $vgpr34
	s_branch .LBB1593_211
.LBB1593_50:
                                        ; implicit-def: $sgpr2
                                        ; implicit-def: $vgpr34
	s_cbranch_execnz .LBB1593_119
	s_branch .LBB1593_210
.LBB1593_51:
	s_set_inst_prefetch_distance 0x2
	s_or_b32 exec_lo, exec_lo, s26
	v_cmp_gt_i64_e32 vcc_lo, s[22:23], v[39:40]
	s_or_not1_b32 s26, vcc_lo, exec_lo
.LBB1593_52:
	s_or_b32 exec_lo, exec_lo, s27
.LBB1593_53:
	v_mul_lo_u32 v37, v24, s22
	v_mul_lo_u32 v38, v23, s23
	v_mad_u64_u32 v[35:36], null, v23, s22, 0
	s_and_not1_b32 vcc_lo, exec_lo, s25
	s_delay_alu instid0(VALU_DEP_1) | instskip(NEXT) | instid1(VALU_DEP_1)
	v_add3_u32 v36, v36, v38, v37
	v_lshlrev_b64 v[35:36], 2, v[35:36]
	s_cbranch_vccnz .LBB1593_62
; %bb.54:
	s_delay_alu instid0(VALU_DEP_1) | instskip(NEXT) | instid1(VALU_DEP_2)
	v_add_co_u32 v37, vcc_lo, s8, v35
	v_add_co_ci_u32_e32 v38, vcc_lo, s9, v36, vcc_lo
	v_add_co_u32 v33, vcc_lo, s8, v33
	v_add_co_ci_u32_e32 v34, vcc_lo, s9, v34, vcc_lo
	s_mov_b32 s3, -1
	s_clause 0x1
	global_load_b32 v39, v[37:38], off
	global_load_b32 v40, v[33:34], off
	s_mov_b32 s27, exec_lo
	s_waitcnt vmcnt(0)
	v_cmpx_eq_u32_e64 v39, v40
	s_cbranch_execz .LBB1593_61
; %bb.55:
	v_add_co_u32 v33, vcc_lo, v33, 4
	v_add_co_ci_u32_e32 v34, vcc_lo, 0, v34, vcc_lo
	v_add_co_u32 v37, vcc_lo, v37, 4
	v_add_co_ci_u32_e32 v38, vcc_lo, 0, v38, vcc_lo
	s_add_u32 s6, s22, -1
	s_addc_u32 s7, s23, -1
	s_mov_b64 s[18:19], 0
	s_mov_b32 s3, 0
                                        ; implicit-def: $sgpr29
	s_set_inst_prefetch_distance 0x1
	s_branch .LBB1593_58
	.p2align	6
.LBB1593_56:                            ;   in Loop: Header=BB1593_58 Depth=1
	global_load_b32 v39, v[37:38], off
	global_load_b32 v40, v[33:34], off
	v_add_co_u32 v33, vcc_lo, v33, 4
	v_add_co_ci_u32_e32 v34, vcc_lo, 0, v34, vcc_lo
	v_add_co_u32 v37, s2, v37, 4
	s_delay_alu instid0(VALU_DEP_1)
	v_add_co_ci_u32_e64 v38, s2, 0, v38, s2
	s_add_u32 s18, s18, 1
	s_addc_u32 s19, s19, 0
	s_and_not1_b32 s2, s29, exec_lo
	s_waitcnt vmcnt(0)
	v_cmp_ne_u32_e32 vcc_lo, v39, v40
	s_and_b32 s29, vcc_lo, exec_lo
	s_delay_alu instid0(SALU_CYCLE_1)
	s_or_b32 s29, s2, s29
.LBB1593_57:                            ;   in Loop: Header=BB1593_58 Depth=1
	v_dual_mov_b32 v40, s19 :: v_dual_mov_b32 v39, s18
	s_and_b32 s2, exec_lo, s29
	s_delay_alu instid0(SALU_CYCLE_1) | instskip(NEXT) | instid1(SALU_CYCLE_1)
	s_or_b32 s3, s2, s3
	s_and_not1_b32 exec_lo, exec_lo, s3
	s_cbranch_execz .LBB1593_60
.LBB1593_58:                            ; =>This Inner Loop Header: Depth=1
	s_or_b32 s29, s29, exec_lo
	s_cmp_eq_u64 s[6:7], s[18:19]
	s_cbranch_scc0 .LBB1593_56
; %bb.59:                               ;   in Loop: Header=BB1593_58 Depth=1
	s_mov_b64 s[18:19], s[22:23]
                                        ; implicit-def: $vgpr33_vgpr34
                                        ; implicit-def: $vgpr37_vgpr38
	s_branch .LBB1593_57
.LBB1593_60:
	s_set_inst_prefetch_distance 0x2
	s_or_b32 exec_lo, exec_lo, s3
	v_cmp_gt_i64_e32 vcc_lo, s[22:23], v[39:40]
	s_or_not1_b32 s3, vcc_lo, exec_lo
.LBB1593_61:
	s_or_b32 exec_lo, exec_lo, s27
.LBB1593_62:
	v_mul_lo_u32 v37, v22, s22
	v_mul_lo_u32 v38, v21, s23
	v_mad_u64_u32 v[33:34], null, v21, s22, 0
	s_mov_b32 s27, 0
	s_and_not1_b32 vcc_lo, exec_lo, s25
	s_mov_b32 s29, 0
	s_delay_alu instid0(VALU_DEP_1) | instskip(NEXT) | instid1(VALU_DEP_1)
	v_add3_u32 v34, v34, v38, v37
	v_lshlrev_b64 v[37:38], 2, v[33:34]
	s_cbranch_vccnz .LBB1593_71
; %bb.63:
	s_delay_alu instid0(VALU_DEP_1) | instskip(NEXT) | instid1(VALU_DEP_2)
	v_add_co_u32 v39, vcc_lo, s8, v37
	v_add_co_ci_u32_e32 v40, vcc_lo, s9, v38, vcc_lo
	v_add_co_u32 v33, vcc_lo, s8, v35
	v_add_co_ci_u32_e32 v34, vcc_lo, s9, v36, vcc_lo
	s_mov_b32 s29, -1
	s_clause 0x1
	global_load_b32 v35, v[39:40], off
	global_load_b32 v36, v[33:34], off
	s_mov_b32 s30, exec_lo
	s_waitcnt vmcnt(0)
	v_cmpx_eq_u32_e64 v35, v36
	s_cbranch_execz .LBB1593_70
; %bb.64:
	v_add_co_u32 v33, vcc_lo, v33, 4
	v_add_co_ci_u32_e32 v34, vcc_lo, 0, v34, vcc_lo
	v_add_co_u32 v35, vcc_lo, v39, 4
	v_add_co_ci_u32_e32 v36, vcc_lo, 0, v40, vcc_lo
	s_add_u32 s6, s22, -1
	s_addc_u32 s7, s23, -1
	s_mov_b64 s[18:19], 0
	s_mov_b32 s29, 0
                                        ; implicit-def: $sgpr31
	s_set_inst_prefetch_distance 0x1
	s_branch .LBB1593_67
	.p2align	6
.LBB1593_65:                            ;   in Loop: Header=BB1593_67 Depth=1
	global_load_b32 v39, v[35:36], off
	global_load_b32 v40, v[33:34], off
	v_add_co_u32 v33, vcc_lo, v33, 4
	v_add_co_ci_u32_e32 v34, vcc_lo, 0, v34, vcc_lo
	v_add_co_u32 v35, s2, v35, 4
	s_delay_alu instid0(VALU_DEP_1)
	v_add_co_ci_u32_e64 v36, s2, 0, v36, s2
	s_add_u32 s18, s18, 1
	s_addc_u32 s19, s19, 0
	s_and_not1_b32 s2, s31, exec_lo
	s_waitcnt vmcnt(0)
	v_cmp_ne_u32_e32 vcc_lo, v39, v40
	s_and_b32 s31, vcc_lo, exec_lo
	s_delay_alu instid0(SALU_CYCLE_1)
	s_or_b32 s31, s2, s31
.LBB1593_66:                            ;   in Loop: Header=BB1593_67 Depth=1
	v_dual_mov_b32 v40, s19 :: v_dual_mov_b32 v39, s18
	s_and_b32 s2, exec_lo, s31
	s_delay_alu instid0(SALU_CYCLE_1) | instskip(NEXT) | instid1(SALU_CYCLE_1)
	s_or_b32 s29, s2, s29
	s_and_not1_b32 exec_lo, exec_lo, s29
	s_cbranch_execz .LBB1593_69
.LBB1593_67:                            ; =>This Inner Loop Header: Depth=1
	s_or_b32 s31, s31, exec_lo
	s_cmp_eq_u64 s[6:7], s[18:19]
	s_cbranch_scc0 .LBB1593_65
; %bb.68:                               ;   in Loop: Header=BB1593_67 Depth=1
	s_mov_b64 s[18:19], s[22:23]
                                        ; implicit-def: $vgpr33_vgpr34
                                        ; implicit-def: $vgpr35_vgpr36
	s_branch .LBB1593_66
.LBB1593_69:
	s_set_inst_prefetch_distance 0x2
	s_or_b32 exec_lo, exec_lo, s29
	v_cmp_gt_i64_e32 vcc_lo, s[22:23], v[39:40]
	s_or_not1_b32 s29, vcc_lo, exec_lo
.LBB1593_70:
	s_or_b32 exec_lo, exec_lo, s30
.LBB1593_71:
	v_mul_lo_u32 v35, v28, s22
	v_mul_lo_u32 v36, v27, s23
	v_mad_u64_u32 v[33:34], null, v27, s22, 0
	s_and_not1_b32 vcc_lo, exec_lo, s25
	s_delay_alu instid0(VALU_DEP_1) | instskip(NEXT) | instid1(VALU_DEP_1)
	v_add3_u32 v34, v34, v36, v35
	v_lshlrev_b64 v[33:34], 2, v[33:34]
	s_cbranch_vccnz .LBB1593_80
; %bb.72:
	s_delay_alu instid0(VALU_DEP_1) | instskip(NEXT) | instid1(VALU_DEP_2)
	v_add_co_u32 v39, vcc_lo, s8, v33
	v_add_co_ci_u32_e32 v40, vcc_lo, s9, v34, vcc_lo
	v_add_co_u32 v35, vcc_lo, s8, v37
	v_add_co_ci_u32_e32 v36, vcc_lo, s9, v38, vcc_lo
	s_mov_b32 s27, -1
	s_clause 0x1
	global_load_b32 v37, v[39:40], off
	global_load_b32 v38, v[35:36], off
	s_mov_b32 s30, exec_lo
	s_waitcnt vmcnt(0)
	v_cmpx_eq_u32_e64 v37, v38
	s_cbranch_execz .LBB1593_79
; %bb.73:
	v_add_co_u32 v35, vcc_lo, v35, 4
	v_add_co_ci_u32_e32 v36, vcc_lo, 0, v36, vcc_lo
	v_add_co_u32 v37, vcc_lo, v39, 4
	v_add_co_ci_u32_e32 v38, vcc_lo, 0, v40, vcc_lo
	s_add_u32 s6, s22, -1
	s_addc_u32 s7, s23, -1
	s_mov_b64 s[18:19], 0
	s_mov_b32 s27, 0
                                        ; implicit-def: $sgpr31
	s_set_inst_prefetch_distance 0x1
	s_branch .LBB1593_76
	.p2align	6
.LBB1593_74:                            ;   in Loop: Header=BB1593_76 Depth=1
	global_load_b32 v39, v[37:38], off
	global_load_b32 v40, v[35:36], off
	v_add_co_u32 v35, vcc_lo, v35, 4
	v_add_co_ci_u32_e32 v36, vcc_lo, 0, v36, vcc_lo
	v_add_co_u32 v37, s2, v37, 4
	s_delay_alu instid0(VALU_DEP_1)
	v_add_co_ci_u32_e64 v38, s2, 0, v38, s2
	s_add_u32 s18, s18, 1
	s_addc_u32 s19, s19, 0
	s_and_not1_b32 s2, s31, exec_lo
	s_waitcnt vmcnt(0)
	v_cmp_ne_u32_e32 vcc_lo, v39, v40
	s_and_b32 s31, vcc_lo, exec_lo
	s_delay_alu instid0(SALU_CYCLE_1)
	s_or_b32 s31, s2, s31
.LBB1593_75:                            ;   in Loop: Header=BB1593_76 Depth=1
	v_dual_mov_b32 v40, s19 :: v_dual_mov_b32 v39, s18
	s_and_b32 s2, exec_lo, s31
	s_delay_alu instid0(SALU_CYCLE_1) | instskip(NEXT) | instid1(SALU_CYCLE_1)
	s_or_b32 s27, s2, s27
	s_and_not1_b32 exec_lo, exec_lo, s27
	s_cbranch_execz .LBB1593_78
.LBB1593_76:                            ; =>This Inner Loop Header: Depth=1
	s_or_b32 s31, s31, exec_lo
	s_cmp_eq_u64 s[6:7], s[18:19]
	s_cbranch_scc0 .LBB1593_74
; %bb.77:                               ;   in Loop: Header=BB1593_76 Depth=1
	s_mov_b64 s[18:19], s[22:23]
                                        ; implicit-def: $vgpr35_vgpr36
                                        ; implicit-def: $vgpr37_vgpr38
	s_branch .LBB1593_75
.LBB1593_78:
	s_set_inst_prefetch_distance 0x2
	s_or_b32 exec_lo, exec_lo, s27
	v_cmp_gt_i64_e32 vcc_lo, s[22:23], v[39:40]
	s_or_not1_b32 s27, vcc_lo, exec_lo
.LBB1593_79:
	s_or_b32 exec_lo, exec_lo, s30
.LBB1593_80:
	v_mul_lo_u32 v37, v26, s22
	v_mul_lo_u32 v38, v25, s23
	v_mad_u64_u32 v[35:36], null, v25, s22, 0
	s_mov_b32 s30, 0
	s_and_not1_b32 vcc_lo, exec_lo, s25
	s_mov_b32 s31, 0
	s_delay_alu instid0(VALU_DEP_1) | instskip(NEXT) | instid1(VALU_DEP_1)
	v_add3_u32 v36, v36, v38, v37
	v_lshlrev_b64 v[37:38], 2, v[35:36]
	s_cbranch_vccnz .LBB1593_89
; %bb.81:
	s_delay_alu instid0(VALU_DEP_1) | instskip(NEXT) | instid1(VALU_DEP_2)
	v_add_co_u32 v35, vcc_lo, s8, v37
	v_add_co_ci_u32_e32 v36, vcc_lo, s9, v38, vcc_lo
	v_add_co_u32 v33, vcc_lo, s8, v33
	v_add_co_ci_u32_e32 v34, vcc_lo, s9, v34, vcc_lo
	s_mov_b32 s31, -1
	s_clause 0x1
	global_load_b32 v39, v[35:36], off
	global_load_b32 v40, v[33:34], off
	s_mov_b32 s33, exec_lo
	s_waitcnt vmcnt(0)
	v_cmpx_eq_u32_e64 v39, v40
	s_cbranch_execz .LBB1593_88
; %bb.82:
	v_add_co_u32 v33, vcc_lo, v33, 4
	v_add_co_ci_u32_e32 v34, vcc_lo, 0, v34, vcc_lo
	v_add_co_u32 v35, vcc_lo, v35, 4
	v_add_co_ci_u32_e32 v36, vcc_lo, 0, v36, vcc_lo
	s_add_u32 s6, s22, -1
	s_addc_u32 s7, s23, -1
	s_mov_b64 s[18:19], 0
	s_mov_b32 s31, 0
                                        ; implicit-def: $sgpr34
	s_set_inst_prefetch_distance 0x1
	s_branch .LBB1593_85
	.p2align	6
.LBB1593_83:                            ;   in Loop: Header=BB1593_85 Depth=1
	global_load_b32 v39, v[35:36], off
	global_load_b32 v40, v[33:34], off
	v_add_co_u32 v33, vcc_lo, v33, 4
	v_add_co_ci_u32_e32 v34, vcc_lo, 0, v34, vcc_lo
	v_add_co_u32 v35, s2, v35, 4
	s_delay_alu instid0(VALU_DEP_1)
	v_add_co_ci_u32_e64 v36, s2, 0, v36, s2
	s_add_u32 s18, s18, 1
	s_addc_u32 s19, s19, 0
	s_and_not1_b32 s2, s34, exec_lo
	s_waitcnt vmcnt(0)
	v_cmp_ne_u32_e32 vcc_lo, v39, v40
	s_and_b32 s34, vcc_lo, exec_lo
	s_delay_alu instid0(SALU_CYCLE_1)
	s_or_b32 s34, s2, s34
.LBB1593_84:                            ;   in Loop: Header=BB1593_85 Depth=1
	v_dual_mov_b32 v40, s19 :: v_dual_mov_b32 v39, s18
	s_and_b32 s2, exec_lo, s34
	s_delay_alu instid0(SALU_CYCLE_1) | instskip(NEXT) | instid1(SALU_CYCLE_1)
	s_or_b32 s31, s2, s31
	s_and_not1_b32 exec_lo, exec_lo, s31
	s_cbranch_execz .LBB1593_87
.LBB1593_85:                            ; =>This Inner Loop Header: Depth=1
	s_or_b32 s34, s34, exec_lo
	s_cmp_eq_u64 s[6:7], s[18:19]
	s_cbranch_scc0 .LBB1593_83
; %bb.86:                               ;   in Loop: Header=BB1593_85 Depth=1
	s_mov_b64 s[18:19], s[22:23]
                                        ; implicit-def: $vgpr33_vgpr34
                                        ; implicit-def: $vgpr35_vgpr36
	s_branch .LBB1593_84
.LBB1593_87:
	s_set_inst_prefetch_distance 0x2
	s_or_b32 exec_lo, exec_lo, s31
	v_cmp_gt_i64_e32 vcc_lo, s[22:23], v[39:40]
	s_or_not1_b32 s31, vcc_lo, exec_lo
.LBB1593_88:
	s_or_b32 exec_lo, exec_lo, s33
.LBB1593_89:
	v_mul_lo_u32 v35, v32, s22
	v_mul_lo_u32 v36, v31, s23
	v_mad_u64_u32 v[33:34], null, v31, s22, 0
	s_and_not1_b32 vcc_lo, exec_lo, s25
	s_delay_alu instid0(VALU_DEP_1) | instskip(NEXT) | instid1(VALU_DEP_1)
	v_add3_u32 v34, v34, v36, v35
	v_lshlrev_b64 v[35:36], 2, v[33:34]
	s_cbranch_vccnz .LBB1593_98
; %bb.90:
	s_delay_alu instid0(VALU_DEP_1) | instskip(NEXT) | instid1(VALU_DEP_2)
	v_add_co_u32 v39, vcc_lo, s8, v35
	v_add_co_ci_u32_e32 v40, vcc_lo, s9, v36, vcc_lo
	v_add_co_u32 v33, vcc_lo, s8, v37
	v_add_co_ci_u32_e32 v34, vcc_lo, s9, v38, vcc_lo
	s_mov_b32 s30, -1
	s_clause 0x1
	global_load_b32 v37, v[39:40], off
	global_load_b32 v38, v[33:34], off
	s_mov_b32 s33, exec_lo
	s_waitcnt vmcnt(0)
	v_cmpx_eq_u32_e64 v37, v38
	s_cbranch_execz .LBB1593_97
; %bb.91:
	v_add_co_u32 v33, vcc_lo, v33, 4
	v_add_co_ci_u32_e32 v34, vcc_lo, 0, v34, vcc_lo
	v_add_co_u32 v37, vcc_lo, v39, 4
	v_add_co_ci_u32_e32 v38, vcc_lo, 0, v40, vcc_lo
	s_add_u32 s6, s22, -1
	s_addc_u32 s7, s23, -1
	s_mov_b64 s[18:19], 0
	s_mov_b32 s30, 0
                                        ; implicit-def: $sgpr34
	s_set_inst_prefetch_distance 0x1
	s_branch .LBB1593_94
	.p2align	6
.LBB1593_92:                            ;   in Loop: Header=BB1593_94 Depth=1
	global_load_b32 v39, v[37:38], off
	global_load_b32 v40, v[33:34], off
	v_add_co_u32 v33, vcc_lo, v33, 4
	v_add_co_ci_u32_e32 v34, vcc_lo, 0, v34, vcc_lo
	v_add_co_u32 v37, s2, v37, 4
	s_delay_alu instid0(VALU_DEP_1)
	v_add_co_ci_u32_e64 v38, s2, 0, v38, s2
	s_add_u32 s18, s18, 1
	s_addc_u32 s19, s19, 0
	s_and_not1_b32 s2, s34, exec_lo
	s_waitcnt vmcnt(0)
	v_cmp_ne_u32_e32 vcc_lo, v39, v40
	s_and_b32 s34, vcc_lo, exec_lo
	s_delay_alu instid0(SALU_CYCLE_1)
	s_or_b32 s34, s2, s34
.LBB1593_93:                            ;   in Loop: Header=BB1593_94 Depth=1
	v_dual_mov_b32 v40, s19 :: v_dual_mov_b32 v39, s18
	s_and_b32 s2, exec_lo, s34
	s_delay_alu instid0(SALU_CYCLE_1) | instskip(NEXT) | instid1(SALU_CYCLE_1)
	s_or_b32 s30, s2, s30
	s_and_not1_b32 exec_lo, exec_lo, s30
	s_cbranch_execz .LBB1593_96
.LBB1593_94:                            ; =>This Inner Loop Header: Depth=1
	s_or_b32 s34, s34, exec_lo
	s_cmp_eq_u64 s[6:7], s[18:19]
	s_cbranch_scc0 .LBB1593_92
; %bb.95:                               ;   in Loop: Header=BB1593_94 Depth=1
	s_mov_b64 s[18:19], s[22:23]
                                        ; implicit-def: $vgpr33_vgpr34
                                        ; implicit-def: $vgpr37_vgpr38
	s_branch .LBB1593_93
.LBB1593_96:
	s_set_inst_prefetch_distance 0x2
	s_or_b32 exec_lo, exec_lo, s30
	v_cmp_gt_i64_e32 vcc_lo, s[22:23], v[39:40]
	s_or_not1_b32 s30, vcc_lo, exec_lo
.LBB1593_97:
	s_or_b32 exec_lo, exec_lo, s33
.LBB1593_98:
	v_mul_lo_u32 v37, v30, s22
	v_mul_lo_u32 v38, v29, s23
	v_mad_u64_u32 v[33:34], null, v29, s22, 0
	s_and_not1_b32 vcc_lo, exec_lo, s25
	s_mov_b32 s2, 0
	s_delay_alu instid0(VALU_DEP_1) | instskip(NEXT) | instid1(VALU_DEP_1)
	v_add3_u32 v34, v34, v38, v37
	v_lshlrev_b64 v[33:34], 2, v[33:34]
	s_cbranch_vccnz .LBB1593_107
; %bb.99:
	s_delay_alu instid0(VALU_DEP_1) | instskip(NEXT) | instid1(VALU_DEP_2)
	v_add_co_u32 v37, vcc_lo, s8, v33
	v_add_co_ci_u32_e32 v38, vcc_lo, s9, v34, vcc_lo
	v_add_co_u32 v35, vcc_lo, s8, v35
	v_add_co_ci_u32_e32 v36, vcc_lo, s9, v36, vcc_lo
	s_mov_b32 s2, -1
	s_clause 0x1
	global_load_b32 v39, v[37:38], off
	global_load_b32 v40, v[35:36], off
	s_mov_b32 s33, exec_lo
	s_waitcnt vmcnt(0)
	v_cmpx_eq_u32_e64 v39, v40
	s_cbranch_execz .LBB1593_106
; %bb.100:
	v_add_co_u32 v35, vcc_lo, v35, 4
	v_add_co_ci_u32_e32 v36, vcc_lo, 0, v36, vcc_lo
	v_add_co_u32 v37, vcc_lo, v37, 4
	v_add_co_ci_u32_e32 v38, vcc_lo, 0, v38, vcc_lo
	s_add_u32 s6, s22, -1
	s_addc_u32 s7, s23, -1
	s_mov_b64 s[18:19], 0
	s_mov_b32 s34, 0
                                        ; implicit-def: $sgpr35
	s_set_inst_prefetch_distance 0x1
	s_branch .LBB1593_103
	.p2align	6
.LBB1593_101:                           ;   in Loop: Header=BB1593_103 Depth=1
	global_load_b32 v39, v[37:38], off
	global_load_b32 v40, v[35:36], off
	v_add_co_u32 v35, vcc_lo, v35, 4
	v_add_co_ci_u32_e32 v36, vcc_lo, 0, v36, vcc_lo
	v_add_co_u32 v37, s2, v37, 4
	s_delay_alu instid0(VALU_DEP_1)
	v_add_co_ci_u32_e64 v38, s2, 0, v38, s2
	s_add_u32 s18, s18, 1
	s_addc_u32 s19, s19, 0
	s_and_not1_b32 s2, s35, exec_lo
	s_waitcnt vmcnt(0)
	v_cmp_ne_u32_e32 vcc_lo, v39, v40
	s_and_b32 s35, vcc_lo, exec_lo
	s_delay_alu instid0(SALU_CYCLE_1)
	s_or_b32 s35, s2, s35
.LBB1593_102:                           ;   in Loop: Header=BB1593_103 Depth=1
	v_dual_mov_b32 v40, s19 :: v_dual_mov_b32 v39, s18
	s_and_b32 s2, exec_lo, s35
	s_delay_alu instid0(SALU_CYCLE_1) | instskip(NEXT) | instid1(SALU_CYCLE_1)
	s_or_b32 s34, s2, s34
	s_and_not1_b32 exec_lo, exec_lo, s34
	s_cbranch_execz .LBB1593_105
.LBB1593_103:                           ; =>This Inner Loop Header: Depth=1
	s_or_b32 s35, s35, exec_lo
	s_cmp_eq_u64 s[6:7], s[18:19]
	s_cbranch_scc0 .LBB1593_101
; %bb.104:                              ;   in Loop: Header=BB1593_103 Depth=1
	s_mov_b64 s[18:19], s[22:23]
                                        ; implicit-def: $vgpr35_vgpr36
                                        ; implicit-def: $vgpr37_vgpr38
	s_branch .LBB1593_102
.LBB1593_105:
	s_set_inst_prefetch_distance 0x2
	s_or_b32 exec_lo, exec_lo, s34
	v_cmp_gt_i64_e32 vcc_lo, s[22:23], v[39:40]
	s_or_not1_b32 s2, vcc_lo, exec_lo
.LBB1593_106:
	s_or_b32 exec_lo, exec_lo, s33
.LBB1593_107:
	s_waitcnt lgkmcnt(0)
	v_dual_mov_b32 v36, s5 :: v_dual_mov_b32 v35, s4
	s_mov_b32 s6, exec_lo
	s_barrier
	buffer_gl0_inv
	v_cmpx_ne_u32_e32 0, v0
	s_cbranch_execz .LBB1593_109
; %bb.108:
	v_add_nc_u32_e32 v35, -8, v55
	ds_load_b64 v[35:36], v35
.LBB1593_109:
	s_or_b32 exec_lo, exec_lo, s6
	v_cndmask_b32_e64 v38, 0, 1, s31
	v_cndmask_b32_e64 v40, 0, 1, s29
	;; [unrolled: 1-line block ×7, first 2 shown]
	v_lshlrev_b16 v38, 8, v38
	v_lshlrev_b16 v40, 8, v40
	;; [unrolled: 1-line block ×4, first 2 shown]
	s_mov_b32 s3, 0
	v_or_b32_e32 v37, v37, v38
	v_or_b32_e32 v38, v39, v40
	;; [unrolled: 1-line block ×3, first 2 shown]
	v_and_b32_e32 v39, 0xffff, v43
	s_and_not1_b32 vcc_lo, exec_lo, s25
	v_lshlrev_b32_e32 v40, 16, v37
	v_and_b32_e32 v42, 0xffff, v38
	v_lshlrev_b32_e32 v43, 16, v44
	s_mov_b32 s2, 0
	s_cbranch_vccnz .LBB1593_118
; %bb.110:
	s_waitcnt lgkmcnt(0)
	v_mul_lo_u32 v38, v36, s22
	v_mul_lo_u32 v44, v35, s23
	v_mad_u64_u32 v[36:37], null, v35, s22, 0
	s_mov_b32 s2, -1
	s_mov_b32 s26, exec_lo
	s_delay_alu instid0(VALU_DEP_1) | instskip(NEXT) | instid1(VALU_DEP_1)
	v_add3_u32 v37, v37, v44, v38
	v_lshlrev_b64 v[35:36], 2, v[36:37]
	s_delay_alu instid0(VALU_DEP_1) | instskip(NEXT) | instid1(VALU_DEP_2)
	v_add_co_u32 v35, vcc_lo, s8, v35
	v_add_co_ci_u32_e32 v36, vcc_lo, s9, v36, vcc_lo
	v_add_co_u32 v33, vcc_lo, s8, v33
	v_add_co_ci_u32_e32 v34, vcc_lo, s9, v34, vcc_lo
	s_clause 0x1
	global_load_b32 v37, v[35:36], off
	global_load_b32 v38, v[33:34], off
	s_waitcnt vmcnt(0)
	v_cmpx_eq_u32_e64 v37, v38
	s_cbranch_execz .LBB1593_117
; %bb.111:
	v_add_co_u32 v33, vcc_lo, v33, 4
	v_add_co_ci_u32_e32 v34, vcc_lo, 0, v34, vcc_lo
	v_add_co_u32 v35, vcc_lo, v35, 4
	v_add_co_ci_u32_e32 v36, vcc_lo, 0, v36, vcc_lo
	s_add_u32 s6, s22, -1
	s_addc_u32 s7, s23, -1
	s_mov_b64 s[18:19], 0
	s_mov_b32 s27, 0
                                        ; implicit-def: $sgpr29
	s_set_inst_prefetch_distance 0x1
	s_branch .LBB1593_114
	.p2align	6
.LBB1593_112:                           ;   in Loop: Header=BB1593_114 Depth=1
	global_load_b32 v37, v[35:36], off
	global_load_b32 v38, v[33:34], off
	v_add_co_u32 v33, vcc_lo, v33, 4
	v_add_co_ci_u32_e32 v34, vcc_lo, 0, v34, vcc_lo
	v_add_co_u32 v35, s2, v35, 4
	s_delay_alu instid0(VALU_DEP_1)
	v_add_co_ci_u32_e64 v36, s2, 0, v36, s2
	s_add_u32 s18, s18, 1
	s_addc_u32 s19, s19, 0
	s_and_not1_b32 s2, s29, exec_lo
	s_waitcnt vmcnt(0)
	v_cmp_ne_u32_e32 vcc_lo, v37, v38
	s_and_b32 s29, vcc_lo, exec_lo
	s_delay_alu instid0(SALU_CYCLE_1)
	s_or_b32 s29, s2, s29
.LBB1593_113:                           ;   in Loop: Header=BB1593_114 Depth=1
	v_dual_mov_b32 v38, s19 :: v_dual_mov_b32 v37, s18
	s_and_b32 s2, exec_lo, s29
	s_delay_alu instid0(SALU_CYCLE_1) | instskip(NEXT) | instid1(SALU_CYCLE_1)
	s_or_b32 s27, s2, s27
	s_and_not1_b32 exec_lo, exec_lo, s27
	s_cbranch_execz .LBB1593_116
.LBB1593_114:                           ; =>This Inner Loop Header: Depth=1
	s_or_b32 s29, s29, exec_lo
	s_cmp_eq_u64 s[6:7], s[18:19]
	s_cbranch_scc0 .LBB1593_112
; %bb.115:                              ;   in Loop: Header=BB1593_114 Depth=1
	s_mov_b64 s[18:19], s[22:23]
                                        ; implicit-def: $vgpr33_vgpr34
                                        ; implicit-def: $vgpr35_vgpr36
	s_branch .LBB1593_113
.LBB1593_116:
	s_set_inst_prefetch_distance 0x2
	s_or_b32 exec_lo, exec_lo, s27
	v_cmp_gt_i64_e32 vcc_lo, s[22:23], v[37:38]
	s_or_not1_b32 s2, vcc_lo, exec_lo
.LBB1593_117:
	s_or_b32 exec_lo, exec_lo, s26
.LBB1593_118:
	v_or_b32_e32 v33, v39, v40
	s_delay_alu instid0(VALU_DEP_2)
	v_or_b32_e32 v34, v42, v43
	s_and_b32 vcc_lo, exec_lo, s3
	s_cbranch_vccz .LBB1593_210
.LBB1593_119:
	v_or_b32_e32 v33, 7, v55
	s_mov_b32 s3, 0
	s_mov_b32 s26, 0
	s_mov_b32 s27, exec_lo
	s_delay_alu instid0(VALU_DEP_1)
	v_cmpx_gt_u32_e64 s28, v33
	s_cbranch_execz .LBB1593_130
; %bb.120:
	s_and_not1_b32 vcc_lo, exec_lo, s25
	s_mov_b32 s2, 0
	s_cbranch_vccnz .LBB1593_129
; %bb.121:
	v_mul_lo_u32 v37, v18, s22
	v_mul_lo_u32 v38, v17, s23
	v_mad_u64_u32 v[33:34], null, v17, s22, 0
	v_mul_lo_u32 v39, v20, s22
	v_mul_lo_u32 v40, v19, s23
	s_waitcnt lgkmcnt(0)
	v_mad_u64_u32 v[35:36], null, v19, s22, 0
	s_mov_b32 s2, -1
	s_mov_b32 s25, exec_lo
	s_delay_alu instid0(VALU_DEP_4) | instskip(NEXT) | instid1(VALU_DEP_2)
	v_add3_u32 v34, v34, v38, v37
	v_add3_u32 v36, v36, v40, v39
	s_delay_alu instid0(VALU_DEP_2) | instskip(NEXT) | instid1(VALU_DEP_2)
	v_lshlrev_b64 v[33:34], 2, v[33:34]
	v_lshlrev_b64 v[37:38], 2, v[35:36]
	s_delay_alu instid0(VALU_DEP_2) | instskip(NEXT) | instid1(VALU_DEP_3)
	v_add_co_u32 v35, vcc_lo, s8, v33
	v_add_co_ci_u32_e32 v36, vcc_lo, s9, v34, vcc_lo
	s_delay_alu instid0(VALU_DEP_3) | instskip(NEXT) | instid1(VALU_DEP_4)
	v_add_co_u32 v33, vcc_lo, s8, v37
	v_add_co_ci_u32_e32 v34, vcc_lo, s9, v38, vcc_lo
	s_clause 0x1
	global_load_b32 v37, v[35:36], off
	global_load_b32 v38, v[33:34], off
	s_waitcnt vmcnt(0)
	v_cmpx_eq_u32_e64 v37, v38
	s_cbranch_execz .LBB1593_128
; %bb.122:
	v_add_co_u32 v33, vcc_lo, v33, 4
	v_add_co_ci_u32_e32 v34, vcc_lo, 0, v34, vcc_lo
	v_add_co_u32 v35, vcc_lo, v35, 4
	v_add_co_ci_u32_e32 v36, vcc_lo, 0, v36, vcc_lo
	s_add_u32 s6, s22, -1
	s_addc_u32 s7, s23, -1
	s_mov_b64 s[18:19], 0
                                        ; implicit-def: $sgpr29
	s_set_inst_prefetch_distance 0x1
	s_branch .LBB1593_125
	.p2align	6
.LBB1593_123:                           ;   in Loop: Header=BB1593_125 Depth=1
	global_load_b32 v37, v[35:36], off
	global_load_b32 v38, v[33:34], off
	v_add_co_u32 v33, vcc_lo, v33, 4
	v_add_co_ci_u32_e32 v34, vcc_lo, 0, v34, vcc_lo
	v_add_co_u32 v35, s2, v35, 4
	s_delay_alu instid0(VALU_DEP_1)
	v_add_co_ci_u32_e64 v36, s2, 0, v36, s2
	s_add_u32 s18, s18, 1
	s_addc_u32 s19, s19, 0
	s_and_not1_b32 s2, s29, exec_lo
	s_waitcnt vmcnt(0)
	v_cmp_ne_u32_e32 vcc_lo, v37, v38
	s_and_b32 s29, vcc_lo, exec_lo
	s_delay_alu instid0(SALU_CYCLE_1)
	s_or_b32 s29, s2, s29
.LBB1593_124:                           ;   in Loop: Header=BB1593_125 Depth=1
	v_dual_mov_b32 v38, s19 :: v_dual_mov_b32 v37, s18
	s_and_b32 s2, exec_lo, s29
	s_delay_alu instid0(SALU_CYCLE_1) | instskip(NEXT) | instid1(SALU_CYCLE_1)
	s_or_b32 s26, s2, s26
	s_and_not1_b32 exec_lo, exec_lo, s26
	s_cbranch_execz .LBB1593_127
.LBB1593_125:                           ; =>This Inner Loop Header: Depth=1
	s_or_b32 s29, s29, exec_lo
	s_cmp_eq_u64 s[6:7], s[18:19]
	s_cbranch_scc0 .LBB1593_123
; %bb.126:                              ;   in Loop: Header=BB1593_125 Depth=1
	s_mov_b64 s[18:19], s[22:23]
                                        ; implicit-def: $vgpr33_vgpr34
                                        ; implicit-def: $vgpr35_vgpr36
	s_branch .LBB1593_124
.LBB1593_127:
	s_set_inst_prefetch_distance 0x2
	s_or_b32 exec_lo, exec_lo, s26
	v_cmp_gt_i64_e32 vcc_lo, s[22:23], v[37:38]
	s_or_not1_b32 s2, vcc_lo, exec_lo
.LBB1593_128:
	s_or_b32 exec_lo, exec_lo, s25
.LBB1593_129:
	s_delay_alu instid0(SALU_CYCLE_1)
	s_and_b32 s26, s2, exec_lo
.LBB1593_130:
	s_or_b32 exec_lo, exec_lo, s27
	v_or_b32_e32 v33, 6, v55
	s_mov_b32 s25, exec_lo
	s_delay_alu instid0(VALU_DEP_1)
	v_cmpx_gt_u32_e64 s28, v33
	s_cbranch_execz .LBB1593_141
; %bb.131:
	v_cmp_ne_u32_e32 vcc_lo, 1, v41
	s_mov_b32 s2, 0
	s_cbranch_vccnz .LBB1593_140
; %bb.132:
	v_mul_lo_u32 v37, v24, s22
	v_mul_lo_u32 v38, v23, s23
	v_mad_u64_u32 v[33:34], null, v23, s22, 0
	v_mul_lo_u32 v39, v18, s22
	v_mul_lo_u32 v40, v17, s23
	s_waitcnt lgkmcnt(0)
	v_mad_u64_u32 v[35:36], null, v17, s22, 0
	s_mov_b32 s2, -1
	s_mov_b32 s3, exec_lo
	s_delay_alu instid0(VALU_DEP_4) | instskip(NEXT) | instid1(VALU_DEP_2)
	v_add3_u32 v34, v34, v38, v37
	v_add3_u32 v36, v36, v40, v39
	s_delay_alu instid0(VALU_DEP_2) | instskip(NEXT) | instid1(VALU_DEP_2)
	v_lshlrev_b64 v[33:34], 2, v[33:34]
	v_lshlrev_b64 v[37:38], 2, v[35:36]
	s_delay_alu instid0(VALU_DEP_2) | instskip(NEXT) | instid1(VALU_DEP_3)
	v_add_co_u32 v35, vcc_lo, s8, v33
	v_add_co_ci_u32_e32 v36, vcc_lo, s9, v34, vcc_lo
	s_delay_alu instid0(VALU_DEP_3) | instskip(NEXT) | instid1(VALU_DEP_4)
	v_add_co_u32 v33, vcc_lo, s8, v37
	v_add_co_ci_u32_e32 v34, vcc_lo, s9, v38, vcc_lo
	s_clause 0x1
	global_load_b32 v37, v[35:36], off
	global_load_b32 v38, v[33:34], off
	s_waitcnt vmcnt(0)
	v_cmpx_eq_u32_e64 v37, v38
	s_cbranch_execz .LBB1593_139
; %bb.133:
	v_add_co_u32 v33, vcc_lo, v33, 4
	v_add_co_ci_u32_e32 v34, vcc_lo, 0, v34, vcc_lo
	v_add_co_u32 v35, vcc_lo, v35, 4
	v_add_co_ci_u32_e32 v36, vcc_lo, 0, v36, vcc_lo
	s_add_u32 s6, s22, -1
	s_addc_u32 s7, s23, -1
	s_mov_b64 s[18:19], 0
	s_mov_b32 s27, 0
                                        ; implicit-def: $sgpr29
	s_set_inst_prefetch_distance 0x1
	s_branch .LBB1593_136
	.p2align	6
.LBB1593_134:                           ;   in Loop: Header=BB1593_136 Depth=1
	global_load_b32 v37, v[35:36], off
	global_load_b32 v38, v[33:34], off
	v_add_co_u32 v33, vcc_lo, v33, 4
	v_add_co_ci_u32_e32 v34, vcc_lo, 0, v34, vcc_lo
	v_add_co_u32 v35, s2, v35, 4
	s_delay_alu instid0(VALU_DEP_1)
	v_add_co_ci_u32_e64 v36, s2, 0, v36, s2
	s_add_u32 s18, s18, 1
	s_addc_u32 s19, s19, 0
	s_and_not1_b32 s2, s29, exec_lo
	s_waitcnt vmcnt(0)
	v_cmp_ne_u32_e32 vcc_lo, v37, v38
	s_and_b32 s29, vcc_lo, exec_lo
	s_delay_alu instid0(SALU_CYCLE_1)
	s_or_b32 s29, s2, s29
.LBB1593_135:                           ;   in Loop: Header=BB1593_136 Depth=1
	v_dual_mov_b32 v38, s19 :: v_dual_mov_b32 v37, s18
	s_and_b32 s2, exec_lo, s29
	s_delay_alu instid0(SALU_CYCLE_1) | instskip(NEXT) | instid1(SALU_CYCLE_1)
	s_or_b32 s27, s2, s27
	s_and_not1_b32 exec_lo, exec_lo, s27
	s_cbranch_execz .LBB1593_138
.LBB1593_136:                           ; =>This Inner Loop Header: Depth=1
	s_or_b32 s29, s29, exec_lo
	s_cmp_eq_u64 s[6:7], s[18:19]
	s_cbranch_scc0 .LBB1593_134
; %bb.137:                              ;   in Loop: Header=BB1593_136 Depth=1
	s_mov_b64 s[18:19], s[22:23]
                                        ; implicit-def: $vgpr33_vgpr34
                                        ; implicit-def: $vgpr35_vgpr36
	s_branch .LBB1593_135
.LBB1593_138:
	s_set_inst_prefetch_distance 0x2
	s_or_b32 exec_lo, exec_lo, s27
	v_cmp_gt_i64_e32 vcc_lo, s[22:23], v[37:38]
	s_or_not1_b32 s2, vcc_lo, exec_lo
.LBB1593_139:
	s_or_b32 exec_lo, exec_lo, s3
.LBB1593_140:
	s_delay_alu instid0(SALU_CYCLE_1)
	s_and_b32 s3, s2, exec_lo
.LBB1593_141:
	s_or_b32 exec_lo, exec_lo, s25
	v_or_b32_e32 v33, 5, v55
	s_mov_b32 s27, 0
	s_mov_b32 s25, 0
	s_mov_b32 s29, exec_lo
	s_delay_alu instid0(VALU_DEP_1)
	v_cmpx_gt_u32_e64 s28, v33
	s_cbranch_execz .LBB1593_152
; %bb.142:
	v_cmp_ne_u32_e32 vcc_lo, 1, v41
	s_mov_b32 s2, 0
	s_cbranch_vccnz .LBB1593_151
; %bb.143:
	v_mul_lo_u32 v37, v22, s22
	v_mul_lo_u32 v38, v21, s23
	v_mad_u64_u32 v[33:34], null, v21, s22, 0
	v_mul_lo_u32 v39, v24, s22
	v_mul_lo_u32 v40, v23, s23
	s_waitcnt lgkmcnt(0)
	v_mad_u64_u32 v[35:36], null, v23, s22, 0
	s_mov_b32 s2, -1
	s_mov_b32 s25, exec_lo
	s_delay_alu instid0(VALU_DEP_4) | instskip(NEXT) | instid1(VALU_DEP_2)
	v_add3_u32 v34, v34, v38, v37
	v_add3_u32 v36, v36, v40, v39
	s_delay_alu instid0(VALU_DEP_2) | instskip(NEXT) | instid1(VALU_DEP_2)
	v_lshlrev_b64 v[33:34], 2, v[33:34]
	v_lshlrev_b64 v[37:38], 2, v[35:36]
	s_delay_alu instid0(VALU_DEP_2) | instskip(NEXT) | instid1(VALU_DEP_3)
	v_add_co_u32 v35, vcc_lo, s8, v33
	v_add_co_ci_u32_e32 v36, vcc_lo, s9, v34, vcc_lo
	s_delay_alu instid0(VALU_DEP_3) | instskip(NEXT) | instid1(VALU_DEP_4)
	v_add_co_u32 v33, vcc_lo, s8, v37
	v_add_co_ci_u32_e32 v34, vcc_lo, s9, v38, vcc_lo
	s_clause 0x1
	global_load_b32 v37, v[35:36], off
	global_load_b32 v38, v[33:34], off
	s_waitcnt vmcnt(0)
	v_cmpx_eq_u32_e64 v37, v38
	s_cbranch_execz .LBB1593_150
; %bb.144:
	v_add_co_u32 v33, vcc_lo, v33, 4
	v_add_co_ci_u32_e32 v34, vcc_lo, 0, v34, vcc_lo
	v_add_co_u32 v35, vcc_lo, v35, 4
	v_add_co_ci_u32_e32 v36, vcc_lo, 0, v36, vcc_lo
	s_add_u32 s6, s22, -1
	s_addc_u32 s7, s23, -1
	s_mov_b64 s[18:19], 0
	s_mov_b32 s30, 0
                                        ; implicit-def: $sgpr31
	s_set_inst_prefetch_distance 0x1
	s_branch .LBB1593_147
	.p2align	6
.LBB1593_145:                           ;   in Loop: Header=BB1593_147 Depth=1
	global_load_b32 v37, v[35:36], off
	global_load_b32 v38, v[33:34], off
	v_add_co_u32 v33, vcc_lo, v33, 4
	v_add_co_ci_u32_e32 v34, vcc_lo, 0, v34, vcc_lo
	v_add_co_u32 v35, s2, v35, 4
	s_delay_alu instid0(VALU_DEP_1)
	v_add_co_ci_u32_e64 v36, s2, 0, v36, s2
	s_add_u32 s18, s18, 1
	s_addc_u32 s19, s19, 0
	s_and_not1_b32 s2, s31, exec_lo
	s_waitcnt vmcnt(0)
	v_cmp_ne_u32_e32 vcc_lo, v37, v38
	s_and_b32 s31, vcc_lo, exec_lo
	s_delay_alu instid0(SALU_CYCLE_1)
	s_or_b32 s31, s2, s31
.LBB1593_146:                           ;   in Loop: Header=BB1593_147 Depth=1
	v_dual_mov_b32 v38, s19 :: v_dual_mov_b32 v37, s18
	s_and_b32 s2, exec_lo, s31
	s_delay_alu instid0(SALU_CYCLE_1) | instskip(NEXT) | instid1(SALU_CYCLE_1)
	s_or_b32 s30, s2, s30
	s_and_not1_b32 exec_lo, exec_lo, s30
	s_cbranch_execz .LBB1593_149
.LBB1593_147:                           ; =>This Inner Loop Header: Depth=1
	s_or_b32 s31, s31, exec_lo
	s_cmp_eq_u64 s[6:7], s[18:19]
	s_cbranch_scc0 .LBB1593_145
; %bb.148:                              ;   in Loop: Header=BB1593_147 Depth=1
	s_mov_b64 s[18:19], s[22:23]
                                        ; implicit-def: $vgpr33_vgpr34
                                        ; implicit-def: $vgpr35_vgpr36
	s_branch .LBB1593_146
.LBB1593_149:
	s_set_inst_prefetch_distance 0x2
	s_or_b32 exec_lo, exec_lo, s30
	v_cmp_gt_i64_e32 vcc_lo, s[22:23], v[37:38]
	s_or_not1_b32 s2, vcc_lo, exec_lo
.LBB1593_150:
	s_or_b32 exec_lo, exec_lo, s25
.LBB1593_151:
	s_delay_alu instid0(SALU_CYCLE_1)
	s_and_b32 s25, s2, exec_lo
.LBB1593_152:
	s_or_b32 exec_lo, exec_lo, s29
	v_or_b32_e32 v33, 4, v55
	s_mov_b32 s29, exec_lo
	s_delay_alu instid0(VALU_DEP_1)
	v_cmpx_gt_u32_e64 s28, v33
	s_cbranch_execz .LBB1593_163
; %bb.153:
	v_cmp_ne_u32_e32 vcc_lo, 1, v41
	s_mov_b32 s2, 0
	s_cbranch_vccnz .LBB1593_162
; %bb.154:
	v_mul_lo_u32 v37, v28, s22
	v_mul_lo_u32 v38, v27, s23
	v_mad_u64_u32 v[33:34], null, v27, s22, 0
	v_mul_lo_u32 v39, v22, s22
	v_mul_lo_u32 v40, v21, s23
	s_waitcnt lgkmcnt(0)
	v_mad_u64_u32 v[35:36], null, v21, s22, 0
	s_mov_b32 s2, -1
	s_mov_b32 s27, exec_lo
	s_delay_alu instid0(VALU_DEP_4) | instskip(NEXT) | instid1(VALU_DEP_2)
	v_add3_u32 v34, v34, v38, v37
	v_add3_u32 v36, v36, v40, v39
	s_delay_alu instid0(VALU_DEP_2) | instskip(NEXT) | instid1(VALU_DEP_2)
	v_lshlrev_b64 v[33:34], 2, v[33:34]
	v_lshlrev_b64 v[37:38], 2, v[35:36]
	s_delay_alu instid0(VALU_DEP_2) | instskip(NEXT) | instid1(VALU_DEP_3)
	v_add_co_u32 v35, vcc_lo, s8, v33
	v_add_co_ci_u32_e32 v36, vcc_lo, s9, v34, vcc_lo
	s_delay_alu instid0(VALU_DEP_3) | instskip(NEXT) | instid1(VALU_DEP_4)
	v_add_co_u32 v33, vcc_lo, s8, v37
	v_add_co_ci_u32_e32 v34, vcc_lo, s9, v38, vcc_lo
	s_clause 0x1
	global_load_b32 v37, v[35:36], off
	global_load_b32 v38, v[33:34], off
	s_waitcnt vmcnt(0)
	v_cmpx_eq_u32_e64 v37, v38
	s_cbranch_execz .LBB1593_161
; %bb.155:
	v_add_co_u32 v33, vcc_lo, v33, 4
	v_add_co_ci_u32_e32 v34, vcc_lo, 0, v34, vcc_lo
	v_add_co_u32 v35, vcc_lo, v35, 4
	v_add_co_ci_u32_e32 v36, vcc_lo, 0, v36, vcc_lo
	s_add_u32 s6, s22, -1
	s_addc_u32 s7, s23, -1
	s_mov_b64 s[18:19], 0
	s_mov_b32 s30, 0
                                        ; implicit-def: $sgpr31
	s_set_inst_prefetch_distance 0x1
	s_branch .LBB1593_158
	.p2align	6
.LBB1593_156:                           ;   in Loop: Header=BB1593_158 Depth=1
	global_load_b32 v37, v[35:36], off
	global_load_b32 v38, v[33:34], off
	v_add_co_u32 v33, vcc_lo, v33, 4
	v_add_co_ci_u32_e32 v34, vcc_lo, 0, v34, vcc_lo
	v_add_co_u32 v35, s2, v35, 4
	s_delay_alu instid0(VALU_DEP_1)
	v_add_co_ci_u32_e64 v36, s2, 0, v36, s2
	s_add_u32 s18, s18, 1
	s_addc_u32 s19, s19, 0
	s_and_not1_b32 s2, s31, exec_lo
	s_waitcnt vmcnt(0)
	v_cmp_ne_u32_e32 vcc_lo, v37, v38
	s_and_b32 s31, vcc_lo, exec_lo
	s_delay_alu instid0(SALU_CYCLE_1)
	s_or_b32 s31, s2, s31
.LBB1593_157:                           ;   in Loop: Header=BB1593_158 Depth=1
	v_dual_mov_b32 v38, s19 :: v_dual_mov_b32 v37, s18
	s_and_b32 s2, exec_lo, s31
	s_delay_alu instid0(SALU_CYCLE_1) | instskip(NEXT) | instid1(SALU_CYCLE_1)
	s_or_b32 s30, s2, s30
	s_and_not1_b32 exec_lo, exec_lo, s30
	s_cbranch_execz .LBB1593_160
.LBB1593_158:                           ; =>This Inner Loop Header: Depth=1
	s_or_b32 s31, s31, exec_lo
	s_cmp_eq_u64 s[6:7], s[18:19]
	s_cbranch_scc0 .LBB1593_156
; %bb.159:                              ;   in Loop: Header=BB1593_158 Depth=1
	s_mov_b64 s[18:19], s[22:23]
                                        ; implicit-def: $vgpr33_vgpr34
                                        ; implicit-def: $vgpr35_vgpr36
	s_branch .LBB1593_157
.LBB1593_160:
	s_set_inst_prefetch_distance 0x2
	s_or_b32 exec_lo, exec_lo, s30
	v_cmp_gt_i64_e32 vcc_lo, s[22:23], v[37:38]
	s_or_not1_b32 s2, vcc_lo, exec_lo
.LBB1593_161:
	s_or_b32 exec_lo, exec_lo, s27
.LBB1593_162:
	s_delay_alu instid0(SALU_CYCLE_1)
	s_and_b32 s27, s2, exec_lo
.LBB1593_163:
	s_or_b32 exec_lo, exec_lo, s29
	v_or_b32_e32 v33, 3, v55
	s_mov_b32 s30, 0
	s_mov_b32 s29, 0
	s_mov_b32 s31, exec_lo
	s_delay_alu instid0(VALU_DEP_1)
	v_cmpx_gt_u32_e64 s28, v33
	s_cbranch_execz .LBB1593_174
; %bb.164:
	v_cmp_ne_u32_e32 vcc_lo, 1, v41
	s_mov_b32 s2, 0
	s_cbranch_vccnz .LBB1593_173
; %bb.165:
	v_mul_lo_u32 v37, v26, s22
	v_mul_lo_u32 v38, v25, s23
	v_mad_u64_u32 v[33:34], null, v25, s22, 0
	v_mul_lo_u32 v39, v28, s22
	v_mul_lo_u32 v40, v27, s23
	s_waitcnt lgkmcnt(0)
	v_mad_u64_u32 v[35:36], null, v27, s22, 0
	s_mov_b32 s2, -1
	s_mov_b32 s29, exec_lo
	s_delay_alu instid0(VALU_DEP_4) | instskip(NEXT) | instid1(VALU_DEP_2)
	v_add3_u32 v34, v34, v38, v37
	v_add3_u32 v36, v36, v40, v39
	s_delay_alu instid0(VALU_DEP_2) | instskip(NEXT) | instid1(VALU_DEP_2)
	v_lshlrev_b64 v[33:34], 2, v[33:34]
	v_lshlrev_b64 v[37:38], 2, v[35:36]
	s_delay_alu instid0(VALU_DEP_2) | instskip(NEXT) | instid1(VALU_DEP_3)
	v_add_co_u32 v35, vcc_lo, s8, v33
	v_add_co_ci_u32_e32 v36, vcc_lo, s9, v34, vcc_lo
	s_delay_alu instid0(VALU_DEP_3) | instskip(NEXT) | instid1(VALU_DEP_4)
	v_add_co_u32 v33, vcc_lo, s8, v37
	v_add_co_ci_u32_e32 v34, vcc_lo, s9, v38, vcc_lo
	s_clause 0x1
	global_load_b32 v37, v[35:36], off
	global_load_b32 v38, v[33:34], off
	s_waitcnt vmcnt(0)
	v_cmpx_eq_u32_e64 v37, v38
	s_cbranch_execz .LBB1593_172
; %bb.166:
	v_add_co_u32 v33, vcc_lo, v33, 4
	v_add_co_ci_u32_e32 v34, vcc_lo, 0, v34, vcc_lo
	v_add_co_u32 v35, vcc_lo, v35, 4
	v_add_co_ci_u32_e32 v36, vcc_lo, 0, v36, vcc_lo
	s_add_u32 s6, s22, -1
	s_addc_u32 s7, s23, -1
	s_mov_b64 s[18:19], 0
	s_mov_b32 s33, 0
                                        ; implicit-def: $sgpr34
	s_set_inst_prefetch_distance 0x1
	s_branch .LBB1593_169
	.p2align	6
.LBB1593_167:                           ;   in Loop: Header=BB1593_169 Depth=1
	global_load_b32 v37, v[35:36], off
	global_load_b32 v38, v[33:34], off
	v_add_co_u32 v33, vcc_lo, v33, 4
	v_add_co_ci_u32_e32 v34, vcc_lo, 0, v34, vcc_lo
	v_add_co_u32 v35, s2, v35, 4
	s_delay_alu instid0(VALU_DEP_1)
	v_add_co_ci_u32_e64 v36, s2, 0, v36, s2
	s_add_u32 s18, s18, 1
	s_addc_u32 s19, s19, 0
	s_and_not1_b32 s2, s34, exec_lo
	s_waitcnt vmcnt(0)
	v_cmp_ne_u32_e32 vcc_lo, v37, v38
	s_and_b32 s34, vcc_lo, exec_lo
	s_delay_alu instid0(SALU_CYCLE_1)
	s_or_b32 s34, s2, s34
.LBB1593_168:                           ;   in Loop: Header=BB1593_169 Depth=1
	v_dual_mov_b32 v38, s19 :: v_dual_mov_b32 v37, s18
	s_and_b32 s2, exec_lo, s34
	s_delay_alu instid0(SALU_CYCLE_1) | instskip(NEXT) | instid1(SALU_CYCLE_1)
	s_or_b32 s33, s2, s33
	s_and_not1_b32 exec_lo, exec_lo, s33
	s_cbranch_execz .LBB1593_171
.LBB1593_169:                           ; =>This Inner Loop Header: Depth=1
	s_or_b32 s34, s34, exec_lo
	s_cmp_eq_u64 s[6:7], s[18:19]
	s_cbranch_scc0 .LBB1593_167
; %bb.170:                              ;   in Loop: Header=BB1593_169 Depth=1
	s_mov_b64 s[18:19], s[22:23]
                                        ; implicit-def: $vgpr33_vgpr34
                                        ; implicit-def: $vgpr35_vgpr36
	s_branch .LBB1593_168
.LBB1593_171:
	s_set_inst_prefetch_distance 0x2
	s_or_b32 exec_lo, exec_lo, s33
	v_cmp_gt_i64_e32 vcc_lo, s[22:23], v[37:38]
	s_or_not1_b32 s2, vcc_lo, exec_lo
.LBB1593_172:
	s_or_b32 exec_lo, exec_lo, s29
.LBB1593_173:
	s_delay_alu instid0(SALU_CYCLE_1)
	s_and_b32 s29, s2, exec_lo
.LBB1593_174:
	s_or_b32 exec_lo, exec_lo, s31
	v_or_b32_e32 v33, 2, v55
	s_mov_b32 s31, exec_lo
	s_delay_alu instid0(VALU_DEP_1)
	v_cmpx_gt_u32_e64 s28, v33
	s_cbranch_execz .LBB1593_185
; %bb.175:
	v_cmp_ne_u32_e32 vcc_lo, 1, v41
	s_mov_b32 s2, 0
	s_cbranch_vccnz .LBB1593_184
; %bb.176:
	v_mul_lo_u32 v37, v32, s22
	v_mul_lo_u32 v38, v31, s23
	v_mad_u64_u32 v[33:34], null, v31, s22, 0
	v_mul_lo_u32 v39, v26, s22
	v_mul_lo_u32 v40, v25, s23
	s_waitcnt lgkmcnt(0)
	v_mad_u64_u32 v[35:36], null, v25, s22, 0
	s_mov_b32 s2, -1
	s_mov_b32 s30, exec_lo
	s_delay_alu instid0(VALU_DEP_4) | instskip(NEXT) | instid1(VALU_DEP_2)
	v_add3_u32 v34, v34, v38, v37
	v_add3_u32 v36, v36, v40, v39
	s_delay_alu instid0(VALU_DEP_2) | instskip(NEXT) | instid1(VALU_DEP_2)
	v_lshlrev_b64 v[33:34], 2, v[33:34]
	v_lshlrev_b64 v[37:38], 2, v[35:36]
	s_delay_alu instid0(VALU_DEP_2) | instskip(NEXT) | instid1(VALU_DEP_3)
	v_add_co_u32 v35, vcc_lo, s8, v33
	v_add_co_ci_u32_e32 v36, vcc_lo, s9, v34, vcc_lo
	s_delay_alu instid0(VALU_DEP_3) | instskip(NEXT) | instid1(VALU_DEP_4)
	v_add_co_u32 v33, vcc_lo, s8, v37
	v_add_co_ci_u32_e32 v34, vcc_lo, s9, v38, vcc_lo
	s_clause 0x1
	global_load_b32 v37, v[35:36], off
	global_load_b32 v38, v[33:34], off
	s_waitcnt vmcnt(0)
	v_cmpx_eq_u32_e64 v37, v38
	s_cbranch_execz .LBB1593_183
; %bb.177:
	v_add_co_u32 v33, vcc_lo, v33, 4
	v_add_co_ci_u32_e32 v34, vcc_lo, 0, v34, vcc_lo
	v_add_co_u32 v35, vcc_lo, v35, 4
	v_add_co_ci_u32_e32 v36, vcc_lo, 0, v36, vcc_lo
	s_add_u32 s6, s22, -1
	s_addc_u32 s7, s23, -1
	s_mov_b64 s[18:19], 0
	s_mov_b32 s33, 0
                                        ; implicit-def: $sgpr34
	s_set_inst_prefetch_distance 0x1
	s_branch .LBB1593_180
	.p2align	6
.LBB1593_178:                           ;   in Loop: Header=BB1593_180 Depth=1
	global_load_b32 v37, v[35:36], off
	global_load_b32 v38, v[33:34], off
	v_add_co_u32 v33, vcc_lo, v33, 4
	v_add_co_ci_u32_e32 v34, vcc_lo, 0, v34, vcc_lo
	v_add_co_u32 v35, s2, v35, 4
	s_delay_alu instid0(VALU_DEP_1)
	v_add_co_ci_u32_e64 v36, s2, 0, v36, s2
	s_add_u32 s18, s18, 1
	s_addc_u32 s19, s19, 0
	s_and_not1_b32 s2, s34, exec_lo
	s_waitcnt vmcnt(0)
	v_cmp_ne_u32_e32 vcc_lo, v37, v38
	s_and_b32 s34, vcc_lo, exec_lo
	s_delay_alu instid0(SALU_CYCLE_1)
	s_or_b32 s34, s2, s34
.LBB1593_179:                           ;   in Loop: Header=BB1593_180 Depth=1
	v_dual_mov_b32 v38, s19 :: v_dual_mov_b32 v37, s18
	s_and_b32 s2, exec_lo, s34
	s_delay_alu instid0(SALU_CYCLE_1) | instskip(NEXT) | instid1(SALU_CYCLE_1)
	s_or_b32 s33, s2, s33
	s_and_not1_b32 exec_lo, exec_lo, s33
	s_cbranch_execz .LBB1593_182
.LBB1593_180:                           ; =>This Inner Loop Header: Depth=1
	s_or_b32 s34, s34, exec_lo
	s_cmp_eq_u64 s[6:7], s[18:19]
	s_cbranch_scc0 .LBB1593_178
; %bb.181:                              ;   in Loop: Header=BB1593_180 Depth=1
	s_mov_b64 s[18:19], s[22:23]
                                        ; implicit-def: $vgpr33_vgpr34
                                        ; implicit-def: $vgpr35_vgpr36
	s_branch .LBB1593_179
.LBB1593_182:
	s_set_inst_prefetch_distance 0x2
	s_or_b32 exec_lo, exec_lo, s33
	v_cmp_gt_i64_e32 vcc_lo, s[22:23], v[37:38]
	s_or_not1_b32 s2, vcc_lo, exec_lo
.LBB1593_183:
	s_or_b32 exec_lo, exec_lo, s30
.LBB1593_184:
	s_delay_alu instid0(SALU_CYCLE_1)
	s_and_b32 s30, s2, exec_lo
.LBB1593_185:
	s_or_b32 exec_lo, exec_lo, s31
	v_or_b32_e32 v33, 1, v55
	s_mov_b32 s2, 0
	s_mov_b32 s31, exec_lo
	s_delay_alu instid0(VALU_DEP_1)
	v_cmpx_gt_u32_e64 s28, v33
	s_cbranch_execz .LBB1593_196
; %bb.186:
	v_cmp_ne_u32_e32 vcc_lo, 1, v41
	s_cbranch_vccnz .LBB1593_195
; %bb.187:
	v_mul_lo_u32 v37, v30, s22
	v_mul_lo_u32 v38, v29, s23
	v_mad_u64_u32 v[33:34], null, v29, s22, 0
	v_mul_lo_u32 v39, v32, s22
	v_mul_lo_u32 v40, v31, s23
	s_waitcnt lgkmcnt(0)
	v_mad_u64_u32 v[35:36], null, v31, s22, 0
	s_mov_b32 s2, -1
	s_mov_b32 s33, exec_lo
	s_delay_alu instid0(VALU_DEP_4) | instskip(NEXT) | instid1(VALU_DEP_2)
	v_add3_u32 v34, v34, v38, v37
	v_add3_u32 v36, v36, v40, v39
	s_delay_alu instid0(VALU_DEP_2) | instskip(NEXT) | instid1(VALU_DEP_2)
	v_lshlrev_b64 v[33:34], 2, v[33:34]
	v_lshlrev_b64 v[37:38], 2, v[35:36]
	s_delay_alu instid0(VALU_DEP_2) | instskip(NEXT) | instid1(VALU_DEP_3)
	v_add_co_u32 v35, vcc_lo, s8, v33
	v_add_co_ci_u32_e32 v36, vcc_lo, s9, v34, vcc_lo
	s_delay_alu instid0(VALU_DEP_3) | instskip(NEXT) | instid1(VALU_DEP_4)
	v_add_co_u32 v33, vcc_lo, s8, v37
	v_add_co_ci_u32_e32 v34, vcc_lo, s9, v38, vcc_lo
	s_clause 0x1
	global_load_b32 v37, v[35:36], off
	global_load_b32 v38, v[33:34], off
	s_waitcnt vmcnt(0)
	v_cmpx_eq_u32_e64 v37, v38
	s_cbranch_execz .LBB1593_194
; %bb.188:
	v_add_co_u32 v33, vcc_lo, v33, 4
	v_add_co_ci_u32_e32 v34, vcc_lo, 0, v34, vcc_lo
	v_add_co_u32 v35, vcc_lo, v35, 4
	v_add_co_ci_u32_e32 v36, vcc_lo, 0, v36, vcc_lo
	s_add_u32 s6, s22, -1
	s_addc_u32 s7, s23, -1
	s_mov_b64 s[18:19], 0
	s_mov_b32 s34, 0
                                        ; implicit-def: $sgpr35
	s_set_inst_prefetch_distance 0x1
	s_branch .LBB1593_191
	.p2align	6
.LBB1593_189:                           ;   in Loop: Header=BB1593_191 Depth=1
	global_load_b32 v37, v[35:36], off
	global_load_b32 v38, v[33:34], off
	v_add_co_u32 v33, vcc_lo, v33, 4
	v_add_co_ci_u32_e32 v34, vcc_lo, 0, v34, vcc_lo
	v_add_co_u32 v35, s2, v35, 4
	s_delay_alu instid0(VALU_DEP_1)
	v_add_co_ci_u32_e64 v36, s2, 0, v36, s2
	s_add_u32 s18, s18, 1
	s_addc_u32 s19, s19, 0
	s_and_not1_b32 s2, s35, exec_lo
	s_waitcnt vmcnt(0)
	v_cmp_ne_u32_e32 vcc_lo, v37, v38
	s_and_b32 s35, vcc_lo, exec_lo
	s_delay_alu instid0(SALU_CYCLE_1)
	s_or_b32 s35, s2, s35
.LBB1593_190:                           ;   in Loop: Header=BB1593_191 Depth=1
	v_dual_mov_b32 v38, s19 :: v_dual_mov_b32 v37, s18
	s_and_b32 s2, exec_lo, s35
	s_delay_alu instid0(SALU_CYCLE_1) | instskip(NEXT) | instid1(SALU_CYCLE_1)
	s_or_b32 s34, s2, s34
	s_and_not1_b32 exec_lo, exec_lo, s34
	s_cbranch_execz .LBB1593_193
.LBB1593_191:                           ; =>This Inner Loop Header: Depth=1
	s_or_b32 s35, s35, exec_lo
	s_cmp_eq_u64 s[6:7], s[18:19]
	s_cbranch_scc0 .LBB1593_189
; %bb.192:                              ;   in Loop: Header=BB1593_191 Depth=1
	s_mov_b64 s[18:19], s[22:23]
                                        ; implicit-def: $vgpr33_vgpr34
                                        ; implicit-def: $vgpr35_vgpr36
	s_branch .LBB1593_190
.LBB1593_193:
	s_set_inst_prefetch_distance 0x2
	s_or_b32 exec_lo, exec_lo, s34
	v_cmp_gt_i64_e32 vcc_lo, s[22:23], v[37:38]
	s_or_not1_b32 s2, vcc_lo, exec_lo
.LBB1593_194:
	s_or_b32 exec_lo, exec_lo, s33
.LBB1593_195:
	s_delay_alu instid0(SALU_CYCLE_1)
	s_and_b32 s2, s2, exec_lo
.LBB1593_196:
	s_or_b32 exec_lo, exec_lo, s31
	s_waitcnt lgkmcnt(0)
	v_dual_mov_b32 v34, s5 :: v_dual_mov_b32 v33, s4
	s_mov_b32 s4, exec_lo
	s_barrier
	buffer_gl0_inv
	v_cmpx_ne_u32_e32 0, v0
	s_cbranch_execz .LBB1593_198
; %bb.197:
	v_add_nc_u32_e32 v33, -8, v55
	ds_load_b64 v[33:34], v33
.LBB1593_198:
	s_or_b32 exec_lo, exec_lo, s4
	v_cndmask_b32_e64 v36, 0, 1, s29
	v_cndmask_b32_e64 v38, 0, 1, s25
	;; [unrolled: 1-line block ×7, first 2 shown]
	v_lshlrev_b16 v36, 8, v36
	v_lshlrev_b16 v38, 8, v38
	;; [unrolled: 1-line block ×3, first 2 shown]
	s_mov_b32 s2, 0
	v_lshlrev_b16 v42, 8, v42
	v_or_b32_e32 v35, v35, v36
	v_or_b32_e32 v36, v37, v38
	;; [unrolled: 1-line block ×3, first 2 shown]
	s_mov_b32 s3, exec_lo
	v_and_b32_e32 v39, 0xffff, v42
	v_lshlrev_b32_e32 v40, 16, v35
	v_and_b32_e32 v42, 0xffff, v36
	v_lshlrev_b32_e32 v43, 16, v37
	v_cmpx_gt_u32_e64 s28, v55
	s_cbranch_execz .LBB1593_209
; %bb.199:
	v_cmp_ne_u32_e32 vcc_lo, 1, v41
	s_cbranch_vccnz .LBB1593_208
; %bb.200:
	s_waitcnt lgkmcnt(0)
	v_mul_lo_u32 v38, v34, s22
	v_mul_lo_u32 v41, v33, s23
	v_mad_u64_u32 v[34:35], null, v33, s22, 0
	v_mul_lo_u32 v33, v30, s22
	v_mul_lo_u32 v44, v29, s23
	v_mad_u64_u32 v[36:37], null, v29, s22, 0
	s_mov_b32 s2, -1
	s_mov_b32 s18, exec_lo
	s_delay_alu instid0(VALU_DEP_4) | instskip(NEXT) | instid1(VALU_DEP_2)
	v_add3_u32 v35, v35, v41, v38
	v_add3_u32 v37, v37, v44, v33
	s_delay_alu instid0(VALU_DEP_2) | instskip(NEXT) | instid1(VALU_DEP_2)
	v_lshlrev_b64 v[33:34], 2, v[34:35]
	v_lshlrev_b64 v[37:38], 2, v[36:37]
	s_delay_alu instid0(VALU_DEP_2) | instskip(NEXT) | instid1(VALU_DEP_3)
	v_add_co_u32 v35, vcc_lo, s8, v33
	v_add_co_ci_u32_e32 v36, vcc_lo, s9, v34, vcc_lo
	s_delay_alu instid0(VALU_DEP_3) | instskip(NEXT) | instid1(VALU_DEP_4)
	v_add_co_u32 v33, vcc_lo, s8, v37
	v_add_co_ci_u32_e32 v34, vcc_lo, s9, v38, vcc_lo
	s_clause 0x1
	global_load_b32 v37, v[35:36], off
	global_load_b32 v38, v[33:34], off
	s_waitcnt vmcnt(0)
	v_cmpx_eq_u32_e64 v37, v38
	s_cbranch_execz .LBB1593_207
; %bb.201:
	v_add_co_u32 v33, vcc_lo, v33, 4
	v_add_co_ci_u32_e32 v34, vcc_lo, 0, v34, vcc_lo
	v_add_co_u32 v35, vcc_lo, v35, 4
	v_add_co_ci_u32_e32 v36, vcc_lo, 0, v36, vcc_lo
	s_add_u32 s4, s22, -1
	s_addc_u32 s5, s23, -1
	s_mov_b64 s[6:7], 0
	s_mov_b32 s19, 0
                                        ; implicit-def: $sgpr25
	s_set_inst_prefetch_distance 0x1
	s_branch .LBB1593_204
	.p2align	6
.LBB1593_202:                           ;   in Loop: Header=BB1593_204 Depth=1
	global_load_b32 v37, v[35:36], off
	global_load_b32 v38, v[33:34], off
	v_add_co_u32 v33, vcc_lo, v33, 4
	v_add_co_ci_u32_e32 v34, vcc_lo, 0, v34, vcc_lo
	v_add_co_u32 v35, s2, v35, 4
	s_delay_alu instid0(VALU_DEP_1)
	v_add_co_ci_u32_e64 v36, s2, 0, v36, s2
	s_add_u32 s6, s6, 1
	s_addc_u32 s7, s7, 0
	s_and_not1_b32 s2, s25, exec_lo
	s_waitcnt vmcnt(0)
	v_cmp_ne_u32_e32 vcc_lo, v37, v38
	s_and_b32 s25, vcc_lo, exec_lo
	s_delay_alu instid0(SALU_CYCLE_1)
	s_or_b32 s25, s2, s25
.LBB1593_203:                           ;   in Loop: Header=BB1593_204 Depth=1
	v_dual_mov_b32 v38, s7 :: v_dual_mov_b32 v37, s6
	s_and_b32 s2, exec_lo, s25
	s_delay_alu instid0(SALU_CYCLE_1) | instskip(NEXT) | instid1(SALU_CYCLE_1)
	s_or_b32 s19, s2, s19
	s_and_not1_b32 exec_lo, exec_lo, s19
	s_cbranch_execz .LBB1593_206
.LBB1593_204:                           ; =>This Inner Loop Header: Depth=1
	s_or_b32 s25, s25, exec_lo
	s_cmp_eq_u64 s[4:5], s[6:7]
	s_cbranch_scc0 .LBB1593_202
; %bb.205:                              ;   in Loop: Header=BB1593_204 Depth=1
	s_mov_b64 s[6:7], s[22:23]
                                        ; implicit-def: $vgpr33_vgpr34
                                        ; implicit-def: $vgpr35_vgpr36
	s_branch .LBB1593_203
.LBB1593_206:
	s_set_inst_prefetch_distance 0x2
	s_or_b32 exec_lo, exec_lo, s19
	v_cmp_gt_i64_e32 vcc_lo, s[22:23], v[37:38]
	s_or_not1_b32 s2, vcc_lo, exec_lo
.LBB1593_207:
	s_or_b32 exec_lo, exec_lo, s18
.LBB1593_208:
	s_delay_alu instid0(SALU_CYCLE_1)
	s_and_b32 s2, s2, exec_lo
.LBB1593_209:
	s_or_b32 exec_lo, exec_lo, s3
	s_waitcnt lgkmcnt(0)
	v_or_b32_e32 v33, v39, v40
	v_or_b32_e32 v34, v42, v43
.LBB1593_210:
	s_waitcnt lgkmcnt(0)
	s_mov_b32 s3, -1
	s_cbranch_execnz .LBB1593_379
.LBB1593_211:
	v_cmp_gt_i64_e64 s18, s[22:23], 0
	s_and_b32 vcc_lo, exec_lo, s20
	ds_store_b64 v55, v[19:20]
	s_cbranch_vccz .LBB1593_219
; %bb.212:
	v_mul_lo_u32 v35, v18, s22
	v_mul_lo_u32 v36, v17, s23
	v_mad_u64_u32 v[33:34], null, v17, s22, 0
	s_mov_b32 s19, 0
	s_and_not1_b32 vcc_lo, exec_lo, s18
	s_mov_b32 s25, 0
	s_delay_alu instid0(VALU_DEP_1) | instskip(NEXT) | instid1(VALU_DEP_1)
	v_add3_u32 v34, v34, v36, v35
	v_lshlrev_b64 v[33:34], 2, v[33:34]
	s_cbranch_vccnz .LBB1593_222
; %bb.213:
	v_mul_lo_u32 v37, v20, s22
	v_mul_lo_u32 v38, v19, s23
	v_mad_u64_u32 v[35:36], null, v19, s22, 0
	s_mov_b32 s25, -1
	s_mov_b32 s26, exec_lo
	s_delay_alu instid0(VALU_DEP_1) | instskip(SKIP_2) | instid1(VALU_DEP_3)
	v_add3_u32 v36, v36, v38, v37
	v_add_co_u32 v37, vcc_lo, s8, v33
	v_add_co_ci_u32_e32 v38, vcc_lo, s9, v34, vcc_lo
	v_lshlrev_b64 v[35:36], 2, v[35:36]
	s_delay_alu instid0(VALU_DEP_1) | instskip(NEXT) | instid1(VALU_DEP_2)
	v_add_co_u32 v35, vcc_lo, s8, v35
	v_add_co_ci_u32_e32 v36, vcc_lo, s9, v36, vcc_lo
	s_clause 0x1
	global_load_b32 v39, v[37:38], off
	global_load_b32 v40, v[35:36], off
	s_waitcnt vmcnt(0)
	v_cmpx_eq_u32_e64 v39, v40
	s_cbranch_execz .LBB1593_221
; %bb.214:
	v_add_co_u32 v35, vcc_lo, v35, 4
	v_add_co_ci_u32_e32 v36, vcc_lo, 0, v36, vcc_lo
	v_add_co_u32 v37, vcc_lo, v37, 4
	v_add_co_ci_u32_e32 v38, vcc_lo, 0, v38, vcc_lo
	s_add_u32 s4, s22, -1
	s_addc_u32 s5, s23, -1
	s_mov_b64 s[6:7], 0
	s_mov_b32 s25, 0
                                        ; implicit-def: $sgpr27
	s_set_inst_prefetch_distance 0x1
	s_branch .LBB1593_217
	.p2align	6
.LBB1593_215:                           ;   in Loop: Header=BB1593_217 Depth=1
	global_load_b32 v39, v[37:38], off
	global_load_b32 v40, v[35:36], off
	v_add_co_u32 v35, vcc_lo, v35, 4
	v_add_co_ci_u32_e32 v36, vcc_lo, 0, v36, vcc_lo
	v_add_co_u32 v37, s2, v37, 4
	s_delay_alu instid0(VALU_DEP_1)
	v_add_co_ci_u32_e64 v38, s2, 0, v38, s2
	s_add_u32 s6, s6, 1
	s_addc_u32 s7, s7, 0
	s_and_not1_b32 s2, s27, exec_lo
	s_waitcnt vmcnt(0)
	v_cmp_ne_u32_e32 vcc_lo, v39, v40
	s_and_b32 s27, vcc_lo, exec_lo
	s_delay_alu instid0(SALU_CYCLE_1)
	s_or_b32 s27, s2, s27
.LBB1593_216:                           ;   in Loop: Header=BB1593_217 Depth=1
	v_dual_mov_b32 v40, s7 :: v_dual_mov_b32 v39, s6
	s_and_b32 s2, exec_lo, s27
	s_delay_alu instid0(SALU_CYCLE_1) | instskip(NEXT) | instid1(SALU_CYCLE_1)
	s_or_b32 s25, s2, s25
	s_and_not1_b32 exec_lo, exec_lo, s25
	s_cbranch_execz .LBB1593_220
.LBB1593_217:                           ; =>This Inner Loop Header: Depth=1
	s_or_b32 s27, s27, exec_lo
	s_cmp_eq_u64 s[4:5], s[6:7]
	s_cbranch_scc0 .LBB1593_215
; %bb.218:                              ;   in Loop: Header=BB1593_217 Depth=1
	s_mov_b64 s[6:7], s[22:23]
                                        ; implicit-def: $vgpr35_vgpr36
                                        ; implicit-def: $vgpr37_vgpr38
	s_branch .LBB1593_216
.LBB1593_219:
                                        ; implicit-def: $sgpr2
                                        ; implicit-def: $vgpr34
	s_cbranch_execnz .LBB1593_288
	s_branch .LBB1593_379
.LBB1593_220:
	s_set_inst_prefetch_distance 0x2
	s_or_b32 exec_lo, exec_lo, s25
	v_cmp_gt_i64_e32 vcc_lo, s[22:23], v[39:40]
	s_or_not1_b32 s25, vcc_lo, exec_lo
.LBB1593_221:
	s_or_b32 exec_lo, exec_lo, s26
.LBB1593_222:
	v_mul_lo_u32 v37, v24, s22
	v_mul_lo_u32 v38, v23, s23
	v_mad_u64_u32 v[35:36], null, v23, s22, 0
	s_and_not1_b32 vcc_lo, exec_lo, s18
	s_delay_alu instid0(VALU_DEP_1) | instskip(NEXT) | instid1(VALU_DEP_1)
	v_add3_u32 v36, v36, v38, v37
	v_lshlrev_b64 v[35:36], 2, v[35:36]
	s_cbranch_vccnz .LBB1593_231
; %bb.223:
	s_delay_alu instid0(VALU_DEP_1) | instskip(NEXT) | instid1(VALU_DEP_2)
	v_add_co_u32 v37, vcc_lo, s8, v35
	v_add_co_ci_u32_e32 v38, vcc_lo, s9, v36, vcc_lo
	v_add_co_u32 v33, vcc_lo, s8, v33
	v_add_co_ci_u32_e32 v34, vcc_lo, s9, v34, vcc_lo
	s_mov_b32 s19, -1
	s_clause 0x1
	global_load_b32 v39, v[37:38], off
	global_load_b32 v40, v[33:34], off
	s_mov_b32 s26, exec_lo
	s_waitcnt vmcnt(0)
	v_cmpx_eq_u32_e64 v39, v40
	s_cbranch_execz .LBB1593_230
; %bb.224:
	v_add_co_u32 v33, vcc_lo, v33, 4
	v_add_co_ci_u32_e32 v34, vcc_lo, 0, v34, vcc_lo
	v_add_co_u32 v37, vcc_lo, v37, 4
	v_add_co_ci_u32_e32 v38, vcc_lo, 0, v38, vcc_lo
	s_add_u32 s4, s22, -1
	s_addc_u32 s5, s23, -1
	s_mov_b64 s[6:7], 0
	s_mov_b32 s19, 0
                                        ; implicit-def: $sgpr27
	s_set_inst_prefetch_distance 0x1
	s_branch .LBB1593_227
	.p2align	6
.LBB1593_225:                           ;   in Loop: Header=BB1593_227 Depth=1
	global_load_b32 v39, v[37:38], off
	global_load_b32 v40, v[33:34], off
	v_add_co_u32 v33, vcc_lo, v33, 4
	v_add_co_ci_u32_e32 v34, vcc_lo, 0, v34, vcc_lo
	v_add_co_u32 v37, s2, v37, 4
	s_delay_alu instid0(VALU_DEP_1)
	v_add_co_ci_u32_e64 v38, s2, 0, v38, s2
	s_add_u32 s6, s6, 1
	s_addc_u32 s7, s7, 0
	s_and_not1_b32 s2, s27, exec_lo
	s_waitcnt vmcnt(0)
	v_cmp_ne_u32_e32 vcc_lo, v39, v40
	s_and_b32 s27, vcc_lo, exec_lo
	s_delay_alu instid0(SALU_CYCLE_1)
	s_or_b32 s27, s2, s27
.LBB1593_226:                           ;   in Loop: Header=BB1593_227 Depth=1
	v_dual_mov_b32 v40, s7 :: v_dual_mov_b32 v39, s6
	s_and_b32 s2, exec_lo, s27
	s_delay_alu instid0(SALU_CYCLE_1) | instskip(NEXT) | instid1(SALU_CYCLE_1)
	s_or_b32 s19, s2, s19
	s_and_not1_b32 exec_lo, exec_lo, s19
	s_cbranch_execz .LBB1593_229
.LBB1593_227:                           ; =>This Inner Loop Header: Depth=1
	s_or_b32 s27, s27, exec_lo
	s_cmp_eq_u64 s[4:5], s[6:7]
	s_cbranch_scc0 .LBB1593_225
; %bb.228:                              ;   in Loop: Header=BB1593_227 Depth=1
	s_mov_b64 s[6:7], s[22:23]
                                        ; implicit-def: $vgpr33_vgpr34
                                        ; implicit-def: $vgpr37_vgpr38
	s_branch .LBB1593_226
.LBB1593_229:
	s_set_inst_prefetch_distance 0x2
	s_or_b32 exec_lo, exec_lo, s19
	v_cmp_gt_i64_e32 vcc_lo, s[22:23], v[39:40]
	s_or_not1_b32 s19, vcc_lo, exec_lo
.LBB1593_230:
	s_or_b32 exec_lo, exec_lo, s26
.LBB1593_231:
	v_mul_lo_u32 v37, v22, s22
	v_mul_lo_u32 v38, v21, s23
	v_mad_u64_u32 v[33:34], null, v21, s22, 0
	s_mov_b32 s26, 0
	s_and_not1_b32 vcc_lo, exec_lo, s18
	s_mov_b32 s27, 0
	s_delay_alu instid0(VALU_DEP_1) | instskip(NEXT) | instid1(VALU_DEP_1)
	v_add3_u32 v34, v34, v38, v37
	v_lshlrev_b64 v[37:38], 2, v[33:34]
	s_cbranch_vccnz .LBB1593_240
; %bb.232:
	s_delay_alu instid0(VALU_DEP_1) | instskip(NEXT) | instid1(VALU_DEP_2)
	v_add_co_u32 v39, vcc_lo, s8, v37
	v_add_co_ci_u32_e32 v40, vcc_lo, s9, v38, vcc_lo
	v_add_co_u32 v33, vcc_lo, s8, v35
	v_add_co_ci_u32_e32 v34, vcc_lo, s9, v36, vcc_lo
	s_mov_b32 s27, -1
	s_clause 0x1
	global_load_b32 v35, v[39:40], off
	global_load_b32 v36, v[33:34], off
	s_mov_b32 s29, exec_lo
	s_waitcnt vmcnt(0)
	v_cmpx_eq_u32_e64 v35, v36
	s_cbranch_execz .LBB1593_239
; %bb.233:
	v_add_co_u32 v33, vcc_lo, v33, 4
	v_add_co_ci_u32_e32 v34, vcc_lo, 0, v34, vcc_lo
	v_add_co_u32 v35, vcc_lo, v39, 4
	v_add_co_ci_u32_e32 v36, vcc_lo, 0, v40, vcc_lo
	s_add_u32 s4, s22, -1
	s_addc_u32 s5, s23, -1
	s_mov_b64 s[6:7], 0
	s_mov_b32 s27, 0
                                        ; implicit-def: $sgpr30
	s_set_inst_prefetch_distance 0x1
	s_branch .LBB1593_236
	.p2align	6
.LBB1593_234:                           ;   in Loop: Header=BB1593_236 Depth=1
	global_load_b32 v39, v[35:36], off
	global_load_b32 v40, v[33:34], off
	v_add_co_u32 v33, vcc_lo, v33, 4
	v_add_co_ci_u32_e32 v34, vcc_lo, 0, v34, vcc_lo
	v_add_co_u32 v35, s2, v35, 4
	s_delay_alu instid0(VALU_DEP_1)
	v_add_co_ci_u32_e64 v36, s2, 0, v36, s2
	s_add_u32 s6, s6, 1
	s_addc_u32 s7, s7, 0
	s_and_not1_b32 s2, s30, exec_lo
	s_waitcnt vmcnt(0)
	v_cmp_ne_u32_e32 vcc_lo, v39, v40
	s_and_b32 s30, vcc_lo, exec_lo
	s_delay_alu instid0(SALU_CYCLE_1)
	s_or_b32 s30, s2, s30
.LBB1593_235:                           ;   in Loop: Header=BB1593_236 Depth=1
	v_dual_mov_b32 v40, s7 :: v_dual_mov_b32 v39, s6
	s_and_b32 s2, exec_lo, s30
	s_delay_alu instid0(SALU_CYCLE_1) | instskip(NEXT) | instid1(SALU_CYCLE_1)
	s_or_b32 s27, s2, s27
	s_and_not1_b32 exec_lo, exec_lo, s27
	s_cbranch_execz .LBB1593_238
.LBB1593_236:                           ; =>This Inner Loop Header: Depth=1
	s_or_b32 s30, s30, exec_lo
	s_cmp_eq_u64 s[4:5], s[6:7]
	s_cbranch_scc0 .LBB1593_234
; %bb.237:                              ;   in Loop: Header=BB1593_236 Depth=1
	s_mov_b64 s[6:7], s[22:23]
                                        ; implicit-def: $vgpr33_vgpr34
                                        ; implicit-def: $vgpr35_vgpr36
	s_branch .LBB1593_235
.LBB1593_238:
	s_set_inst_prefetch_distance 0x2
	s_or_b32 exec_lo, exec_lo, s27
	v_cmp_gt_i64_e32 vcc_lo, s[22:23], v[39:40]
	s_or_not1_b32 s27, vcc_lo, exec_lo
.LBB1593_239:
	s_or_b32 exec_lo, exec_lo, s29
.LBB1593_240:
	v_mul_lo_u32 v35, v28, s22
	v_mul_lo_u32 v36, v27, s23
	v_mad_u64_u32 v[33:34], null, v27, s22, 0
	s_and_not1_b32 vcc_lo, exec_lo, s18
	s_delay_alu instid0(VALU_DEP_1) | instskip(NEXT) | instid1(VALU_DEP_1)
	v_add3_u32 v34, v34, v36, v35
	v_lshlrev_b64 v[33:34], 2, v[33:34]
	s_cbranch_vccnz .LBB1593_249
; %bb.241:
	s_delay_alu instid0(VALU_DEP_1) | instskip(NEXT) | instid1(VALU_DEP_2)
	v_add_co_u32 v39, vcc_lo, s8, v33
	v_add_co_ci_u32_e32 v40, vcc_lo, s9, v34, vcc_lo
	v_add_co_u32 v35, vcc_lo, s8, v37
	v_add_co_ci_u32_e32 v36, vcc_lo, s9, v38, vcc_lo
	s_mov_b32 s26, -1
	s_clause 0x1
	global_load_b32 v37, v[39:40], off
	global_load_b32 v38, v[35:36], off
	s_mov_b32 s29, exec_lo
	s_waitcnt vmcnt(0)
	v_cmpx_eq_u32_e64 v37, v38
	s_cbranch_execz .LBB1593_248
; %bb.242:
	v_add_co_u32 v35, vcc_lo, v35, 4
	v_add_co_ci_u32_e32 v36, vcc_lo, 0, v36, vcc_lo
	v_add_co_u32 v37, vcc_lo, v39, 4
	v_add_co_ci_u32_e32 v38, vcc_lo, 0, v40, vcc_lo
	s_add_u32 s4, s22, -1
	s_addc_u32 s5, s23, -1
	s_mov_b64 s[6:7], 0
	s_mov_b32 s26, 0
                                        ; implicit-def: $sgpr30
	s_set_inst_prefetch_distance 0x1
	s_branch .LBB1593_245
	.p2align	6
.LBB1593_243:                           ;   in Loop: Header=BB1593_245 Depth=1
	global_load_b32 v39, v[37:38], off
	global_load_b32 v40, v[35:36], off
	v_add_co_u32 v35, vcc_lo, v35, 4
	v_add_co_ci_u32_e32 v36, vcc_lo, 0, v36, vcc_lo
	v_add_co_u32 v37, s2, v37, 4
	s_delay_alu instid0(VALU_DEP_1)
	v_add_co_ci_u32_e64 v38, s2, 0, v38, s2
	s_add_u32 s6, s6, 1
	s_addc_u32 s7, s7, 0
	s_and_not1_b32 s2, s30, exec_lo
	s_waitcnt vmcnt(0)
	v_cmp_ne_u32_e32 vcc_lo, v39, v40
	s_and_b32 s30, vcc_lo, exec_lo
	s_delay_alu instid0(SALU_CYCLE_1)
	s_or_b32 s30, s2, s30
.LBB1593_244:                           ;   in Loop: Header=BB1593_245 Depth=1
	v_dual_mov_b32 v40, s7 :: v_dual_mov_b32 v39, s6
	s_and_b32 s2, exec_lo, s30
	s_delay_alu instid0(SALU_CYCLE_1) | instskip(NEXT) | instid1(SALU_CYCLE_1)
	s_or_b32 s26, s2, s26
	s_and_not1_b32 exec_lo, exec_lo, s26
	s_cbranch_execz .LBB1593_247
.LBB1593_245:                           ; =>This Inner Loop Header: Depth=1
	s_or_b32 s30, s30, exec_lo
	s_cmp_eq_u64 s[4:5], s[6:7]
	s_cbranch_scc0 .LBB1593_243
; %bb.246:                              ;   in Loop: Header=BB1593_245 Depth=1
	s_mov_b64 s[6:7], s[22:23]
                                        ; implicit-def: $vgpr35_vgpr36
                                        ; implicit-def: $vgpr37_vgpr38
	s_branch .LBB1593_244
.LBB1593_247:
	s_set_inst_prefetch_distance 0x2
	s_or_b32 exec_lo, exec_lo, s26
	v_cmp_gt_i64_e32 vcc_lo, s[22:23], v[39:40]
	s_or_not1_b32 s26, vcc_lo, exec_lo
.LBB1593_248:
	s_or_b32 exec_lo, exec_lo, s29
.LBB1593_249:
	v_mul_lo_u32 v37, v26, s22
	v_mul_lo_u32 v38, v25, s23
	v_mad_u64_u32 v[35:36], null, v25, s22, 0
	s_mov_b32 s29, 0
	s_and_not1_b32 vcc_lo, exec_lo, s18
	s_mov_b32 s30, 0
	s_delay_alu instid0(VALU_DEP_1) | instskip(NEXT) | instid1(VALU_DEP_1)
	v_add3_u32 v36, v36, v38, v37
	v_lshlrev_b64 v[35:36], 2, v[35:36]
	s_cbranch_vccnz .LBB1593_258
; %bb.250:
	s_delay_alu instid0(VALU_DEP_1) | instskip(NEXT) | instid1(VALU_DEP_2)
	v_add_co_u32 v37, vcc_lo, s8, v35
	v_add_co_ci_u32_e32 v38, vcc_lo, s9, v36, vcc_lo
	v_add_co_u32 v33, vcc_lo, s8, v33
	v_add_co_ci_u32_e32 v34, vcc_lo, s9, v34, vcc_lo
	s_mov_b32 s30, -1
	s_clause 0x1
	global_load_b32 v39, v[37:38], off
	global_load_b32 v40, v[33:34], off
	s_mov_b32 s31, exec_lo
	s_waitcnt vmcnt(0)
	v_cmpx_eq_u32_e64 v39, v40
	s_cbranch_execz .LBB1593_257
; %bb.251:
	v_add_co_u32 v33, vcc_lo, v33, 4
	v_add_co_ci_u32_e32 v34, vcc_lo, 0, v34, vcc_lo
	v_add_co_u32 v37, vcc_lo, v37, 4
	v_add_co_ci_u32_e32 v38, vcc_lo, 0, v38, vcc_lo
	s_add_u32 s4, s22, -1
	s_addc_u32 s5, s23, -1
	s_mov_b64 s[6:7], 0
	s_mov_b32 s30, 0
                                        ; implicit-def: $sgpr33
	s_set_inst_prefetch_distance 0x1
	s_branch .LBB1593_254
	.p2align	6
.LBB1593_252:                           ;   in Loop: Header=BB1593_254 Depth=1
	global_load_b32 v39, v[37:38], off
	global_load_b32 v40, v[33:34], off
	v_add_co_u32 v33, vcc_lo, v33, 4
	v_add_co_ci_u32_e32 v34, vcc_lo, 0, v34, vcc_lo
	v_add_co_u32 v37, s2, v37, 4
	s_delay_alu instid0(VALU_DEP_1)
	v_add_co_ci_u32_e64 v38, s2, 0, v38, s2
	s_add_u32 s6, s6, 1
	s_addc_u32 s7, s7, 0
	s_and_not1_b32 s2, s33, exec_lo
	s_waitcnt vmcnt(0)
	v_cmp_ne_u32_e32 vcc_lo, v39, v40
	s_and_b32 s33, vcc_lo, exec_lo
	s_delay_alu instid0(SALU_CYCLE_1)
	s_or_b32 s33, s2, s33
.LBB1593_253:                           ;   in Loop: Header=BB1593_254 Depth=1
	v_dual_mov_b32 v40, s7 :: v_dual_mov_b32 v39, s6
	s_and_b32 s2, exec_lo, s33
	s_delay_alu instid0(SALU_CYCLE_1) | instskip(NEXT) | instid1(SALU_CYCLE_1)
	s_or_b32 s30, s2, s30
	s_and_not1_b32 exec_lo, exec_lo, s30
	s_cbranch_execz .LBB1593_256
.LBB1593_254:                           ; =>This Inner Loop Header: Depth=1
	s_or_b32 s33, s33, exec_lo
	s_cmp_eq_u64 s[4:5], s[6:7]
	s_cbranch_scc0 .LBB1593_252
; %bb.255:                              ;   in Loop: Header=BB1593_254 Depth=1
	s_mov_b64 s[6:7], s[22:23]
                                        ; implicit-def: $vgpr33_vgpr34
                                        ; implicit-def: $vgpr37_vgpr38
	s_branch .LBB1593_253
.LBB1593_256:
	s_set_inst_prefetch_distance 0x2
	s_or_b32 exec_lo, exec_lo, s30
	v_cmp_gt_i64_e32 vcc_lo, s[22:23], v[39:40]
	s_or_not1_b32 s30, vcc_lo, exec_lo
.LBB1593_257:
	s_or_b32 exec_lo, exec_lo, s31
.LBB1593_258:
	v_mul_lo_u32 v37, v32, s22
	v_mul_lo_u32 v38, v31, s23
	v_mad_u64_u32 v[33:34], null, v31, s22, 0
	s_and_not1_b32 vcc_lo, exec_lo, s18
	s_delay_alu instid0(VALU_DEP_1) | instskip(NEXT) | instid1(VALU_DEP_1)
	v_add3_u32 v34, v34, v38, v37
	v_lshlrev_b64 v[33:34], 2, v[33:34]
	s_cbranch_vccnz .LBB1593_267
; %bb.259:
	s_delay_alu instid0(VALU_DEP_1) | instskip(NEXT) | instid1(VALU_DEP_2)
	v_add_co_u32 v37, vcc_lo, s8, v33
	v_add_co_ci_u32_e32 v38, vcc_lo, s9, v34, vcc_lo
	v_add_co_u32 v35, vcc_lo, s8, v35
	v_add_co_ci_u32_e32 v36, vcc_lo, s9, v36, vcc_lo
	s_mov_b32 s29, -1
	s_clause 0x1
	global_load_b32 v39, v[37:38], off
	global_load_b32 v40, v[35:36], off
	s_mov_b32 s31, exec_lo
	s_waitcnt vmcnt(0)
	v_cmpx_eq_u32_e64 v39, v40
	s_cbranch_execz .LBB1593_266
; %bb.260:
	v_add_co_u32 v35, vcc_lo, v35, 4
	v_add_co_ci_u32_e32 v36, vcc_lo, 0, v36, vcc_lo
	v_add_co_u32 v37, vcc_lo, v37, 4
	v_add_co_ci_u32_e32 v38, vcc_lo, 0, v38, vcc_lo
	s_add_u32 s4, s22, -1
	s_addc_u32 s5, s23, -1
	s_mov_b64 s[6:7], 0
	s_mov_b32 s29, 0
                                        ; implicit-def: $sgpr33
	s_set_inst_prefetch_distance 0x1
	s_branch .LBB1593_263
	.p2align	6
.LBB1593_261:                           ;   in Loop: Header=BB1593_263 Depth=1
	global_load_b32 v39, v[37:38], off
	global_load_b32 v40, v[35:36], off
	v_add_co_u32 v35, vcc_lo, v35, 4
	v_add_co_ci_u32_e32 v36, vcc_lo, 0, v36, vcc_lo
	v_add_co_u32 v37, s2, v37, 4
	s_delay_alu instid0(VALU_DEP_1)
	v_add_co_ci_u32_e64 v38, s2, 0, v38, s2
	s_add_u32 s6, s6, 1
	s_addc_u32 s7, s7, 0
	s_and_not1_b32 s2, s33, exec_lo
	s_waitcnt vmcnt(0)
	v_cmp_ne_u32_e32 vcc_lo, v39, v40
	s_and_b32 s33, vcc_lo, exec_lo
	s_delay_alu instid0(SALU_CYCLE_1)
	s_or_b32 s33, s2, s33
.LBB1593_262:                           ;   in Loop: Header=BB1593_263 Depth=1
	v_dual_mov_b32 v40, s7 :: v_dual_mov_b32 v39, s6
	s_and_b32 s2, exec_lo, s33
	s_delay_alu instid0(SALU_CYCLE_1) | instskip(NEXT) | instid1(SALU_CYCLE_1)
	s_or_b32 s29, s2, s29
	s_and_not1_b32 exec_lo, exec_lo, s29
	s_cbranch_execz .LBB1593_265
.LBB1593_263:                           ; =>This Inner Loop Header: Depth=1
	s_or_b32 s33, s33, exec_lo
	s_cmp_eq_u64 s[4:5], s[6:7]
	s_cbranch_scc0 .LBB1593_261
; %bb.264:                              ;   in Loop: Header=BB1593_263 Depth=1
	s_mov_b64 s[6:7], s[22:23]
                                        ; implicit-def: $vgpr35_vgpr36
                                        ; implicit-def: $vgpr37_vgpr38
	s_branch .LBB1593_262
.LBB1593_265:
	s_set_inst_prefetch_distance 0x2
	s_or_b32 exec_lo, exec_lo, s29
	v_cmp_gt_i64_e32 vcc_lo, s[22:23], v[39:40]
	s_or_not1_b32 s29, vcc_lo, exec_lo
.LBB1593_266:
	s_or_b32 exec_lo, exec_lo, s31
.LBB1593_267:
	v_mul_lo_u32 v37, v30, s22
	v_mul_lo_u32 v38, v29, s23
	v_mad_u64_u32 v[35:36], null, v29, s22, 0
	s_and_not1_b32 vcc_lo, exec_lo, s18
	s_mov_b32 s2, 0
	s_delay_alu instid0(VALU_DEP_1)
	v_add3_u32 v36, v36, v38, v37
	s_cbranch_vccnz .LBB1593_276
; %bb.268:
	s_delay_alu instid0(VALU_DEP_1) | instskip(SKIP_2) | instid1(VALU_DEP_1)
	v_lshlrev_b64 v[37:38], 2, v[35:36]
	s_mov_b32 s2, -1
	s_mov_b32 s31, exec_lo
	v_add_co_u32 v37, vcc_lo, s8, v37
	s_delay_alu instid0(VALU_DEP_2)
	v_add_co_ci_u32_e32 v38, vcc_lo, s9, v38, vcc_lo
	v_add_co_u32 v33, vcc_lo, s8, v33
	v_add_co_ci_u32_e32 v34, vcc_lo, s9, v34, vcc_lo
	s_clause 0x1
	global_load_b32 v39, v[37:38], off
	global_load_b32 v40, v[33:34], off
	s_waitcnt vmcnt(0)
	v_cmpx_eq_u32_e64 v39, v40
	s_cbranch_execz .LBB1593_275
; %bb.269:
	v_add_co_u32 v33, vcc_lo, v33, 4
	v_add_co_ci_u32_e32 v34, vcc_lo, 0, v34, vcc_lo
	v_add_co_u32 v37, vcc_lo, v37, 4
	v_add_co_ci_u32_e32 v38, vcc_lo, 0, v38, vcc_lo
	s_add_u32 s4, s22, -1
	s_addc_u32 s5, s23, -1
	s_mov_b64 s[6:7], 0
	s_mov_b32 s33, 0
                                        ; implicit-def: $sgpr34
	s_set_inst_prefetch_distance 0x1
	s_branch .LBB1593_272
	.p2align	6
.LBB1593_270:                           ;   in Loop: Header=BB1593_272 Depth=1
	global_load_b32 v39, v[37:38], off
	global_load_b32 v40, v[33:34], off
	v_add_co_u32 v33, vcc_lo, v33, 4
	v_add_co_ci_u32_e32 v34, vcc_lo, 0, v34, vcc_lo
	v_add_co_u32 v37, s2, v37, 4
	s_delay_alu instid0(VALU_DEP_1)
	v_add_co_ci_u32_e64 v38, s2, 0, v38, s2
	s_add_u32 s6, s6, 1
	s_addc_u32 s7, s7, 0
	s_and_not1_b32 s2, s34, exec_lo
	s_waitcnt vmcnt(0)
	v_cmp_ne_u32_e32 vcc_lo, v39, v40
	s_and_b32 s34, vcc_lo, exec_lo
	s_delay_alu instid0(SALU_CYCLE_1)
	s_or_b32 s34, s2, s34
.LBB1593_271:                           ;   in Loop: Header=BB1593_272 Depth=1
	v_dual_mov_b32 v40, s7 :: v_dual_mov_b32 v39, s6
	s_and_b32 s2, exec_lo, s34
	s_delay_alu instid0(SALU_CYCLE_1) | instskip(NEXT) | instid1(SALU_CYCLE_1)
	s_or_b32 s33, s2, s33
	s_and_not1_b32 exec_lo, exec_lo, s33
	s_cbranch_execz .LBB1593_274
.LBB1593_272:                           ; =>This Inner Loop Header: Depth=1
	s_or_b32 s34, s34, exec_lo
	s_cmp_eq_u64 s[4:5], s[6:7]
	s_cbranch_scc0 .LBB1593_270
; %bb.273:                              ;   in Loop: Header=BB1593_272 Depth=1
	s_mov_b64 s[6:7], s[22:23]
                                        ; implicit-def: $vgpr33_vgpr34
                                        ; implicit-def: $vgpr37_vgpr38
	s_branch .LBB1593_271
.LBB1593_274:
	s_set_inst_prefetch_distance 0x2
	s_or_b32 exec_lo, exec_lo, s33
	v_cmp_gt_i64_e32 vcc_lo, s[22:23], v[39:40]
	s_or_not1_b32 s2, vcc_lo, exec_lo
.LBB1593_275:
	s_or_b32 exec_lo, exec_lo, s31
.LBB1593_276:
	v_cndmask_b32_e64 v34, 0, 1, s30
	v_cndmask_b32_e64 v37, 0, 1, s27
	;; [unrolled: 1-line block ×7, first 2 shown]
	v_lshlrev_b16 v37, 8, v37
	v_lshlrev_b16 v38, 8, v38
	;; [unrolled: 1-line block ×4, first 2 shown]
	s_waitcnt lgkmcnt(0)
	v_or_b32_e32 v37, v40, v37
	v_or_b32_e32 v38, v41, v38
	;; [unrolled: 1-line block ×4, first 2 shown]
	s_barrier
	v_and_b32_e32 v34, 0xffff, v37
	v_lshlrev_b32_e32 v37, 16, v38
	v_and_b32_e32 v38, 0xffff, v39
	v_lshlrev_b32_e32 v33, 16, v33
	buffer_gl0_inv
                                        ; implicit-def: $sgpr2
	s_mov_b32 s4, exec_lo
	v_or_b32_e32 v34, v34, v37
	v_or_b32_e32 v33, v38, v33
	v_cmpx_ne_u32_e32 0, v0
	s_xor_b32 s19, exec_lo, s4
	s_cbranch_execz .LBB1593_287
; %bb.277:
	s_and_not1_b32 vcc_lo, exec_lo, s18
	s_mov_b32 s2, 0
	s_cbranch_vccnz .LBB1593_286
; %bb.278:
	v_add_nc_u32_e32 v37, -8, v55
	v_lshlrev_b64 v[35:36], 2, v[35:36]
	s_mov_b32 s2, -1
	s_mov_b32 s25, exec_lo
	ds_load_b64 v[37:38], v37
	s_waitcnt lgkmcnt(0)
	v_mul_lo_u32 v40, v38, s22
	v_mul_lo_u32 v41, v37, s23
	v_mad_u64_u32 v[38:39], null, v37, s22, 0
	s_delay_alu instid0(VALU_DEP_1) | instskip(NEXT) | instid1(VALU_DEP_1)
	v_add3_u32 v39, v39, v41, v40
	v_lshlrev_b64 v[37:38], 2, v[38:39]
	s_delay_alu instid0(VALU_DEP_1) | instskip(NEXT) | instid1(VALU_DEP_2)
	v_add_co_u32 v37, vcc_lo, s8, v37
	v_add_co_ci_u32_e32 v38, vcc_lo, s9, v38, vcc_lo
	v_add_co_u32 v35, vcc_lo, s8, v35
	v_add_co_ci_u32_e32 v36, vcc_lo, s9, v36, vcc_lo
	s_clause 0x1
	global_load_b32 v39, v[37:38], off
	global_load_b32 v40, v[35:36], off
	s_waitcnt vmcnt(0)
	v_cmpx_eq_u32_e64 v39, v40
	s_cbranch_execz .LBB1593_285
; %bb.279:
	v_add_co_u32 v35, vcc_lo, v35, 4
	v_add_co_ci_u32_e32 v36, vcc_lo, 0, v36, vcc_lo
	v_add_co_u32 v37, vcc_lo, v37, 4
	v_add_co_ci_u32_e32 v38, vcc_lo, 0, v38, vcc_lo
	s_add_u32 s4, s22, -1
	s_addc_u32 s5, s23, -1
	s_mov_b64 s[6:7], 0
	s_mov_b32 s26, 0
                                        ; implicit-def: $sgpr27
	s_set_inst_prefetch_distance 0x1
	s_branch .LBB1593_282
	.p2align	6
.LBB1593_280:                           ;   in Loop: Header=BB1593_282 Depth=1
	global_load_b32 v39, v[37:38], off
	global_load_b32 v40, v[35:36], off
	v_add_co_u32 v35, vcc_lo, v35, 4
	v_add_co_ci_u32_e32 v36, vcc_lo, 0, v36, vcc_lo
	v_add_co_u32 v37, s2, v37, 4
	s_delay_alu instid0(VALU_DEP_1)
	v_add_co_ci_u32_e64 v38, s2, 0, v38, s2
	s_add_u32 s6, s6, 1
	s_addc_u32 s7, s7, 0
	s_and_not1_b32 s2, s27, exec_lo
	s_waitcnt vmcnt(0)
	v_cmp_ne_u32_e32 vcc_lo, v39, v40
	s_and_b32 s27, vcc_lo, exec_lo
	s_delay_alu instid0(SALU_CYCLE_1)
	s_or_b32 s27, s2, s27
.LBB1593_281:                           ;   in Loop: Header=BB1593_282 Depth=1
	v_dual_mov_b32 v40, s7 :: v_dual_mov_b32 v39, s6
	s_and_b32 s2, exec_lo, s27
	s_delay_alu instid0(SALU_CYCLE_1) | instskip(NEXT) | instid1(SALU_CYCLE_1)
	s_or_b32 s26, s2, s26
	s_and_not1_b32 exec_lo, exec_lo, s26
	s_cbranch_execz .LBB1593_284
.LBB1593_282:                           ; =>This Inner Loop Header: Depth=1
	s_or_b32 s27, s27, exec_lo
	s_cmp_eq_u64 s[4:5], s[6:7]
	s_cbranch_scc0 .LBB1593_280
; %bb.283:                              ;   in Loop: Header=BB1593_282 Depth=1
	s_mov_b64 s[6:7], s[22:23]
                                        ; implicit-def: $vgpr35_vgpr36
                                        ; implicit-def: $vgpr37_vgpr38
	s_branch .LBB1593_281
.LBB1593_284:
	s_set_inst_prefetch_distance 0x2
	s_or_b32 exec_lo, exec_lo, s26
	v_cmp_gt_i64_e32 vcc_lo, s[22:23], v[39:40]
	s_or_not1_b32 s2, vcc_lo, exec_lo
.LBB1593_285:
	s_or_b32 exec_lo, exec_lo, s25
.LBB1593_286:
	s_delay_alu instid0(SALU_CYCLE_1)
	s_and_b32 s2, s2, exec_lo
	s_or_b32 s3, s3, exec_lo
.LBB1593_287:
	s_or_b32 exec_lo, exec_lo, s19
	s_branch .LBB1593_379
.LBB1593_288:
	v_or_b32_e32 v33, 7, v55
	s_mov_b32 s19, 0
	s_mov_b32 s25, 0
	s_mov_b32 s26, exec_lo
	s_delay_alu instid0(VALU_DEP_1)
	v_cmpx_gt_u32_e64 s28, v33
	s_cbranch_execz .LBB1593_299
; %bb.289:
	s_and_not1_b32 vcc_lo, exec_lo, s18
	s_mov_b32 s2, 0
	s_cbranch_vccnz .LBB1593_298
; %bb.290:
	v_mul_lo_u32 v37, v18, s22
	v_mul_lo_u32 v38, v17, s23
	v_mad_u64_u32 v[33:34], null, v17, s22, 0
	v_mul_lo_u32 v39, v20, s22
	v_mul_lo_u32 v40, v19, s23
	v_mad_u64_u32 v[35:36], null, v19, s22, 0
	s_mov_b32 s2, -1
	s_mov_b32 s25, exec_lo
	s_delay_alu instid0(VALU_DEP_4) | instskip(NEXT) | instid1(VALU_DEP_2)
	v_add3_u32 v34, v34, v38, v37
	v_add3_u32 v36, v36, v40, v39
	s_delay_alu instid0(VALU_DEP_2) | instskip(NEXT) | instid1(VALU_DEP_2)
	v_lshlrev_b64 v[33:34], 2, v[33:34]
	v_lshlrev_b64 v[37:38], 2, v[35:36]
	s_delay_alu instid0(VALU_DEP_2) | instskip(NEXT) | instid1(VALU_DEP_3)
	v_add_co_u32 v35, vcc_lo, s8, v33
	v_add_co_ci_u32_e32 v36, vcc_lo, s9, v34, vcc_lo
	s_delay_alu instid0(VALU_DEP_3) | instskip(NEXT) | instid1(VALU_DEP_4)
	v_add_co_u32 v33, vcc_lo, s8, v37
	v_add_co_ci_u32_e32 v34, vcc_lo, s9, v38, vcc_lo
	s_clause 0x1
	global_load_b32 v37, v[35:36], off
	global_load_b32 v38, v[33:34], off
	s_waitcnt vmcnt(0)
	v_cmpx_eq_u32_e64 v37, v38
	s_cbranch_execz .LBB1593_297
; %bb.291:
	v_add_co_u32 v33, vcc_lo, v33, 4
	v_add_co_ci_u32_e32 v34, vcc_lo, 0, v34, vcc_lo
	v_add_co_u32 v35, vcc_lo, v35, 4
	v_add_co_ci_u32_e32 v36, vcc_lo, 0, v36, vcc_lo
	s_add_u32 s4, s22, -1
	s_addc_u32 s5, s23, -1
	s_mov_b64 s[6:7], 0
	s_mov_b32 s27, 0
                                        ; implicit-def: $sgpr29
	s_set_inst_prefetch_distance 0x1
	s_branch .LBB1593_294
	.p2align	6
.LBB1593_292:                           ;   in Loop: Header=BB1593_294 Depth=1
	global_load_b32 v37, v[35:36], off
	global_load_b32 v38, v[33:34], off
	v_add_co_u32 v33, vcc_lo, v33, 4
	v_add_co_ci_u32_e32 v34, vcc_lo, 0, v34, vcc_lo
	v_add_co_u32 v35, s2, v35, 4
	s_delay_alu instid0(VALU_DEP_1)
	v_add_co_ci_u32_e64 v36, s2, 0, v36, s2
	s_add_u32 s6, s6, 1
	s_addc_u32 s7, s7, 0
	s_and_not1_b32 s2, s29, exec_lo
	s_waitcnt vmcnt(0)
	v_cmp_ne_u32_e32 vcc_lo, v37, v38
	s_and_b32 s29, vcc_lo, exec_lo
	s_delay_alu instid0(SALU_CYCLE_1)
	s_or_b32 s29, s2, s29
.LBB1593_293:                           ;   in Loop: Header=BB1593_294 Depth=1
	v_dual_mov_b32 v38, s7 :: v_dual_mov_b32 v37, s6
	s_and_b32 s2, exec_lo, s29
	s_delay_alu instid0(SALU_CYCLE_1) | instskip(NEXT) | instid1(SALU_CYCLE_1)
	s_or_b32 s27, s2, s27
	s_and_not1_b32 exec_lo, exec_lo, s27
	s_cbranch_execz .LBB1593_296
.LBB1593_294:                           ; =>This Inner Loop Header: Depth=1
	s_or_b32 s29, s29, exec_lo
	s_cmp_eq_u64 s[4:5], s[6:7]
	s_cbranch_scc0 .LBB1593_292
; %bb.295:                              ;   in Loop: Header=BB1593_294 Depth=1
	s_mov_b64 s[6:7], s[22:23]
                                        ; implicit-def: $vgpr33_vgpr34
                                        ; implicit-def: $vgpr35_vgpr36
	s_branch .LBB1593_293
.LBB1593_296:
	s_set_inst_prefetch_distance 0x2
	s_or_b32 exec_lo, exec_lo, s27
	v_cmp_gt_i64_e32 vcc_lo, s[22:23], v[37:38]
	s_or_not1_b32 s2, vcc_lo, exec_lo
.LBB1593_297:
	s_or_b32 exec_lo, exec_lo, s25
.LBB1593_298:
	s_delay_alu instid0(SALU_CYCLE_1)
	s_and_b32 s25, s2, exec_lo
.LBB1593_299:
	s_or_b32 exec_lo, exec_lo, s26
	v_or_b32_e32 v33, 6, v55
	s_mov_b32 s26, exec_lo
	s_delay_alu instid0(VALU_DEP_1)
	v_cmpx_gt_u32_e64 s28, v33
	s_cbranch_execz .LBB1593_310
; %bb.300:
	s_and_not1_b32 vcc_lo, exec_lo, s18
	s_mov_b32 s2, 0
	s_cbranch_vccnz .LBB1593_309
; %bb.301:
	v_mul_lo_u32 v37, v24, s22
	v_mul_lo_u32 v38, v23, s23
	v_mad_u64_u32 v[33:34], null, v23, s22, 0
	v_mul_lo_u32 v39, v18, s22
	v_mul_lo_u32 v40, v17, s23
	v_mad_u64_u32 v[35:36], null, v17, s22, 0
	s_mov_b32 s2, -1
	s_mov_b32 s19, exec_lo
	s_delay_alu instid0(VALU_DEP_4) | instskip(NEXT) | instid1(VALU_DEP_2)
	v_add3_u32 v34, v34, v38, v37
	v_add3_u32 v36, v36, v40, v39
	s_delay_alu instid0(VALU_DEP_2) | instskip(NEXT) | instid1(VALU_DEP_2)
	v_lshlrev_b64 v[33:34], 2, v[33:34]
	v_lshlrev_b64 v[37:38], 2, v[35:36]
	s_delay_alu instid0(VALU_DEP_2) | instskip(NEXT) | instid1(VALU_DEP_3)
	v_add_co_u32 v35, vcc_lo, s8, v33
	v_add_co_ci_u32_e32 v36, vcc_lo, s9, v34, vcc_lo
	s_delay_alu instid0(VALU_DEP_3) | instskip(NEXT) | instid1(VALU_DEP_4)
	v_add_co_u32 v33, vcc_lo, s8, v37
	v_add_co_ci_u32_e32 v34, vcc_lo, s9, v38, vcc_lo
	s_clause 0x1
	global_load_b32 v37, v[35:36], off
	global_load_b32 v38, v[33:34], off
	s_waitcnt vmcnt(0)
	v_cmpx_eq_u32_e64 v37, v38
	s_cbranch_execz .LBB1593_308
; %bb.302:
	v_add_co_u32 v33, vcc_lo, v33, 4
	v_add_co_ci_u32_e32 v34, vcc_lo, 0, v34, vcc_lo
	v_add_co_u32 v35, vcc_lo, v35, 4
	v_add_co_ci_u32_e32 v36, vcc_lo, 0, v36, vcc_lo
	s_add_u32 s4, s22, -1
	s_addc_u32 s5, s23, -1
	s_mov_b64 s[6:7], 0
	s_mov_b32 s27, 0
                                        ; implicit-def: $sgpr29
	s_set_inst_prefetch_distance 0x1
	s_branch .LBB1593_305
	.p2align	6
.LBB1593_303:                           ;   in Loop: Header=BB1593_305 Depth=1
	global_load_b32 v37, v[35:36], off
	global_load_b32 v38, v[33:34], off
	v_add_co_u32 v33, vcc_lo, v33, 4
	v_add_co_ci_u32_e32 v34, vcc_lo, 0, v34, vcc_lo
	v_add_co_u32 v35, s2, v35, 4
	s_delay_alu instid0(VALU_DEP_1)
	v_add_co_ci_u32_e64 v36, s2, 0, v36, s2
	s_add_u32 s6, s6, 1
	s_addc_u32 s7, s7, 0
	s_and_not1_b32 s2, s29, exec_lo
	s_waitcnt vmcnt(0)
	v_cmp_ne_u32_e32 vcc_lo, v37, v38
	s_and_b32 s29, vcc_lo, exec_lo
	s_delay_alu instid0(SALU_CYCLE_1)
	s_or_b32 s29, s2, s29
.LBB1593_304:                           ;   in Loop: Header=BB1593_305 Depth=1
	v_dual_mov_b32 v38, s7 :: v_dual_mov_b32 v37, s6
	s_and_b32 s2, exec_lo, s29
	s_delay_alu instid0(SALU_CYCLE_1) | instskip(NEXT) | instid1(SALU_CYCLE_1)
	s_or_b32 s27, s2, s27
	s_and_not1_b32 exec_lo, exec_lo, s27
	s_cbranch_execz .LBB1593_307
.LBB1593_305:                           ; =>This Inner Loop Header: Depth=1
	s_or_b32 s29, s29, exec_lo
	s_cmp_eq_u64 s[4:5], s[6:7]
	s_cbranch_scc0 .LBB1593_303
; %bb.306:                              ;   in Loop: Header=BB1593_305 Depth=1
	s_mov_b64 s[6:7], s[22:23]
                                        ; implicit-def: $vgpr33_vgpr34
                                        ; implicit-def: $vgpr35_vgpr36
	s_branch .LBB1593_304
.LBB1593_307:
	s_set_inst_prefetch_distance 0x2
	s_or_b32 exec_lo, exec_lo, s27
	v_cmp_gt_i64_e32 vcc_lo, s[22:23], v[37:38]
	s_or_not1_b32 s2, vcc_lo, exec_lo
.LBB1593_308:
	s_or_b32 exec_lo, exec_lo, s19
.LBB1593_309:
	s_delay_alu instid0(SALU_CYCLE_1)
	s_and_b32 s19, s2, exec_lo
.LBB1593_310:
	s_or_b32 exec_lo, exec_lo, s26
	v_or_b32_e32 v33, 5, v55
	s_mov_b32 s26, 0
	s_mov_b32 s27, 0
	s_mov_b32 s29, exec_lo
	s_delay_alu instid0(VALU_DEP_1)
	v_cmpx_gt_u32_e64 s28, v33
	s_cbranch_execz .LBB1593_321
; %bb.311:
	s_and_not1_b32 vcc_lo, exec_lo, s18
	s_mov_b32 s2, 0
	s_cbranch_vccnz .LBB1593_320
; %bb.312:
	v_mul_lo_u32 v37, v22, s22
	v_mul_lo_u32 v38, v21, s23
	v_mad_u64_u32 v[33:34], null, v21, s22, 0
	v_mul_lo_u32 v39, v24, s22
	v_mul_lo_u32 v40, v23, s23
	v_mad_u64_u32 v[35:36], null, v23, s22, 0
	s_mov_b32 s2, -1
	s_mov_b32 s27, exec_lo
	s_delay_alu instid0(VALU_DEP_4) | instskip(NEXT) | instid1(VALU_DEP_2)
	v_add3_u32 v34, v34, v38, v37
	v_add3_u32 v36, v36, v40, v39
	s_delay_alu instid0(VALU_DEP_2) | instskip(NEXT) | instid1(VALU_DEP_2)
	v_lshlrev_b64 v[33:34], 2, v[33:34]
	v_lshlrev_b64 v[37:38], 2, v[35:36]
	s_delay_alu instid0(VALU_DEP_2) | instskip(NEXT) | instid1(VALU_DEP_3)
	v_add_co_u32 v35, vcc_lo, s8, v33
	v_add_co_ci_u32_e32 v36, vcc_lo, s9, v34, vcc_lo
	s_delay_alu instid0(VALU_DEP_3) | instskip(NEXT) | instid1(VALU_DEP_4)
	v_add_co_u32 v33, vcc_lo, s8, v37
	v_add_co_ci_u32_e32 v34, vcc_lo, s9, v38, vcc_lo
	s_clause 0x1
	global_load_b32 v37, v[35:36], off
	global_load_b32 v38, v[33:34], off
	s_waitcnt vmcnt(0)
	v_cmpx_eq_u32_e64 v37, v38
	s_cbranch_execz .LBB1593_319
; %bb.313:
	v_add_co_u32 v33, vcc_lo, v33, 4
	v_add_co_ci_u32_e32 v34, vcc_lo, 0, v34, vcc_lo
	v_add_co_u32 v35, vcc_lo, v35, 4
	v_add_co_ci_u32_e32 v36, vcc_lo, 0, v36, vcc_lo
	s_add_u32 s4, s22, -1
	s_addc_u32 s5, s23, -1
	s_mov_b64 s[6:7], 0
	s_mov_b32 s30, 0
                                        ; implicit-def: $sgpr31
	s_set_inst_prefetch_distance 0x1
	s_branch .LBB1593_316
	.p2align	6
.LBB1593_314:                           ;   in Loop: Header=BB1593_316 Depth=1
	global_load_b32 v37, v[35:36], off
	global_load_b32 v38, v[33:34], off
	v_add_co_u32 v33, vcc_lo, v33, 4
	v_add_co_ci_u32_e32 v34, vcc_lo, 0, v34, vcc_lo
	v_add_co_u32 v35, s2, v35, 4
	s_delay_alu instid0(VALU_DEP_1)
	v_add_co_ci_u32_e64 v36, s2, 0, v36, s2
	s_add_u32 s6, s6, 1
	s_addc_u32 s7, s7, 0
	s_and_not1_b32 s2, s31, exec_lo
	s_waitcnt vmcnt(0)
	v_cmp_ne_u32_e32 vcc_lo, v37, v38
	s_and_b32 s31, vcc_lo, exec_lo
	s_delay_alu instid0(SALU_CYCLE_1)
	s_or_b32 s31, s2, s31
.LBB1593_315:                           ;   in Loop: Header=BB1593_316 Depth=1
	v_dual_mov_b32 v38, s7 :: v_dual_mov_b32 v37, s6
	s_and_b32 s2, exec_lo, s31
	s_delay_alu instid0(SALU_CYCLE_1) | instskip(NEXT) | instid1(SALU_CYCLE_1)
	s_or_b32 s30, s2, s30
	s_and_not1_b32 exec_lo, exec_lo, s30
	s_cbranch_execz .LBB1593_318
.LBB1593_316:                           ; =>This Inner Loop Header: Depth=1
	s_or_b32 s31, s31, exec_lo
	s_cmp_eq_u64 s[4:5], s[6:7]
	s_cbranch_scc0 .LBB1593_314
; %bb.317:                              ;   in Loop: Header=BB1593_316 Depth=1
	s_mov_b64 s[6:7], s[22:23]
                                        ; implicit-def: $vgpr33_vgpr34
                                        ; implicit-def: $vgpr35_vgpr36
	s_branch .LBB1593_315
.LBB1593_318:
	s_set_inst_prefetch_distance 0x2
	s_or_b32 exec_lo, exec_lo, s30
	v_cmp_gt_i64_e32 vcc_lo, s[22:23], v[37:38]
	s_or_not1_b32 s2, vcc_lo, exec_lo
.LBB1593_319:
	s_or_b32 exec_lo, exec_lo, s27
.LBB1593_320:
	s_delay_alu instid0(SALU_CYCLE_1)
	s_and_b32 s27, s2, exec_lo
.LBB1593_321:
	s_or_b32 exec_lo, exec_lo, s29
	v_or_b32_e32 v33, 4, v55
	s_mov_b32 s29, exec_lo
	s_delay_alu instid0(VALU_DEP_1)
	v_cmpx_gt_u32_e64 s28, v33
	s_cbranch_execz .LBB1593_332
; %bb.322:
	s_and_not1_b32 vcc_lo, exec_lo, s18
	s_mov_b32 s2, 0
	s_cbranch_vccnz .LBB1593_331
; %bb.323:
	v_mul_lo_u32 v37, v28, s22
	v_mul_lo_u32 v38, v27, s23
	v_mad_u64_u32 v[33:34], null, v27, s22, 0
	v_mul_lo_u32 v39, v22, s22
	v_mul_lo_u32 v40, v21, s23
	v_mad_u64_u32 v[35:36], null, v21, s22, 0
	s_mov_b32 s2, -1
	s_mov_b32 s26, exec_lo
	s_delay_alu instid0(VALU_DEP_4) | instskip(NEXT) | instid1(VALU_DEP_2)
	v_add3_u32 v34, v34, v38, v37
	v_add3_u32 v36, v36, v40, v39
	s_delay_alu instid0(VALU_DEP_2) | instskip(NEXT) | instid1(VALU_DEP_2)
	v_lshlrev_b64 v[33:34], 2, v[33:34]
	v_lshlrev_b64 v[37:38], 2, v[35:36]
	s_delay_alu instid0(VALU_DEP_2) | instskip(NEXT) | instid1(VALU_DEP_3)
	v_add_co_u32 v35, vcc_lo, s8, v33
	v_add_co_ci_u32_e32 v36, vcc_lo, s9, v34, vcc_lo
	s_delay_alu instid0(VALU_DEP_3) | instskip(NEXT) | instid1(VALU_DEP_4)
	v_add_co_u32 v33, vcc_lo, s8, v37
	v_add_co_ci_u32_e32 v34, vcc_lo, s9, v38, vcc_lo
	s_clause 0x1
	global_load_b32 v37, v[35:36], off
	global_load_b32 v38, v[33:34], off
	s_waitcnt vmcnt(0)
	v_cmpx_eq_u32_e64 v37, v38
	s_cbranch_execz .LBB1593_330
; %bb.324:
	v_add_co_u32 v33, vcc_lo, v33, 4
	v_add_co_ci_u32_e32 v34, vcc_lo, 0, v34, vcc_lo
	v_add_co_u32 v35, vcc_lo, v35, 4
	v_add_co_ci_u32_e32 v36, vcc_lo, 0, v36, vcc_lo
	s_add_u32 s4, s22, -1
	s_addc_u32 s5, s23, -1
	s_mov_b64 s[6:7], 0
	s_mov_b32 s30, 0
                                        ; implicit-def: $sgpr31
	s_set_inst_prefetch_distance 0x1
	s_branch .LBB1593_327
	.p2align	6
.LBB1593_325:                           ;   in Loop: Header=BB1593_327 Depth=1
	global_load_b32 v37, v[35:36], off
	global_load_b32 v38, v[33:34], off
	v_add_co_u32 v33, vcc_lo, v33, 4
	v_add_co_ci_u32_e32 v34, vcc_lo, 0, v34, vcc_lo
	v_add_co_u32 v35, s2, v35, 4
	s_delay_alu instid0(VALU_DEP_1)
	v_add_co_ci_u32_e64 v36, s2, 0, v36, s2
	s_add_u32 s6, s6, 1
	s_addc_u32 s7, s7, 0
	s_and_not1_b32 s2, s31, exec_lo
	s_waitcnt vmcnt(0)
	v_cmp_ne_u32_e32 vcc_lo, v37, v38
	s_and_b32 s31, vcc_lo, exec_lo
	s_delay_alu instid0(SALU_CYCLE_1)
	s_or_b32 s31, s2, s31
.LBB1593_326:                           ;   in Loop: Header=BB1593_327 Depth=1
	v_dual_mov_b32 v38, s7 :: v_dual_mov_b32 v37, s6
	s_and_b32 s2, exec_lo, s31
	s_delay_alu instid0(SALU_CYCLE_1) | instskip(NEXT) | instid1(SALU_CYCLE_1)
	s_or_b32 s30, s2, s30
	s_and_not1_b32 exec_lo, exec_lo, s30
	s_cbranch_execz .LBB1593_329
.LBB1593_327:                           ; =>This Inner Loop Header: Depth=1
	s_or_b32 s31, s31, exec_lo
	s_cmp_eq_u64 s[4:5], s[6:7]
	s_cbranch_scc0 .LBB1593_325
; %bb.328:                              ;   in Loop: Header=BB1593_327 Depth=1
	s_mov_b64 s[6:7], s[22:23]
                                        ; implicit-def: $vgpr33_vgpr34
                                        ; implicit-def: $vgpr35_vgpr36
	s_branch .LBB1593_326
.LBB1593_329:
	s_set_inst_prefetch_distance 0x2
	s_or_b32 exec_lo, exec_lo, s30
	v_cmp_gt_i64_e32 vcc_lo, s[22:23], v[37:38]
	s_or_not1_b32 s2, vcc_lo, exec_lo
.LBB1593_330:
	s_or_b32 exec_lo, exec_lo, s26
.LBB1593_331:
	s_delay_alu instid0(SALU_CYCLE_1)
	s_and_b32 s26, s2, exec_lo
.LBB1593_332:
	s_or_b32 exec_lo, exec_lo, s29
	v_or_b32_e32 v33, 3, v55
	s_mov_b32 s30, 0
	s_mov_b32 s29, 0
	s_mov_b32 s31, exec_lo
	s_delay_alu instid0(VALU_DEP_1)
	v_cmpx_gt_u32_e64 s28, v33
	s_cbranch_execz .LBB1593_343
; %bb.333:
	s_and_not1_b32 vcc_lo, exec_lo, s18
	s_mov_b32 s2, 0
	s_cbranch_vccnz .LBB1593_342
; %bb.334:
	v_mul_lo_u32 v37, v26, s22
	v_mul_lo_u32 v38, v25, s23
	v_mad_u64_u32 v[33:34], null, v25, s22, 0
	v_mul_lo_u32 v39, v28, s22
	v_mul_lo_u32 v40, v27, s23
	v_mad_u64_u32 v[35:36], null, v27, s22, 0
	s_mov_b32 s2, -1
	s_mov_b32 s29, exec_lo
	s_delay_alu instid0(VALU_DEP_4) | instskip(NEXT) | instid1(VALU_DEP_2)
	v_add3_u32 v34, v34, v38, v37
	v_add3_u32 v36, v36, v40, v39
	s_delay_alu instid0(VALU_DEP_2) | instskip(NEXT) | instid1(VALU_DEP_2)
	v_lshlrev_b64 v[33:34], 2, v[33:34]
	v_lshlrev_b64 v[37:38], 2, v[35:36]
	s_delay_alu instid0(VALU_DEP_2) | instskip(NEXT) | instid1(VALU_DEP_3)
	v_add_co_u32 v35, vcc_lo, s8, v33
	v_add_co_ci_u32_e32 v36, vcc_lo, s9, v34, vcc_lo
	s_delay_alu instid0(VALU_DEP_3) | instskip(NEXT) | instid1(VALU_DEP_4)
	v_add_co_u32 v33, vcc_lo, s8, v37
	v_add_co_ci_u32_e32 v34, vcc_lo, s9, v38, vcc_lo
	s_clause 0x1
	global_load_b32 v37, v[35:36], off
	global_load_b32 v38, v[33:34], off
	s_waitcnt vmcnt(0)
	v_cmpx_eq_u32_e64 v37, v38
	s_cbranch_execz .LBB1593_341
; %bb.335:
	v_add_co_u32 v33, vcc_lo, v33, 4
	v_add_co_ci_u32_e32 v34, vcc_lo, 0, v34, vcc_lo
	v_add_co_u32 v35, vcc_lo, v35, 4
	v_add_co_ci_u32_e32 v36, vcc_lo, 0, v36, vcc_lo
	s_add_u32 s4, s22, -1
	s_addc_u32 s5, s23, -1
	s_mov_b64 s[6:7], 0
	s_mov_b32 s33, 0
                                        ; implicit-def: $sgpr34
	s_set_inst_prefetch_distance 0x1
	s_branch .LBB1593_338
	.p2align	6
.LBB1593_336:                           ;   in Loop: Header=BB1593_338 Depth=1
	global_load_b32 v37, v[35:36], off
	global_load_b32 v38, v[33:34], off
	v_add_co_u32 v33, vcc_lo, v33, 4
	v_add_co_ci_u32_e32 v34, vcc_lo, 0, v34, vcc_lo
	v_add_co_u32 v35, s2, v35, 4
	s_delay_alu instid0(VALU_DEP_1)
	v_add_co_ci_u32_e64 v36, s2, 0, v36, s2
	s_add_u32 s6, s6, 1
	s_addc_u32 s7, s7, 0
	s_and_not1_b32 s2, s34, exec_lo
	s_waitcnt vmcnt(0)
	v_cmp_ne_u32_e32 vcc_lo, v37, v38
	s_and_b32 s34, vcc_lo, exec_lo
	s_delay_alu instid0(SALU_CYCLE_1)
	s_or_b32 s34, s2, s34
.LBB1593_337:                           ;   in Loop: Header=BB1593_338 Depth=1
	v_dual_mov_b32 v38, s7 :: v_dual_mov_b32 v37, s6
	s_and_b32 s2, exec_lo, s34
	s_delay_alu instid0(SALU_CYCLE_1) | instskip(NEXT) | instid1(SALU_CYCLE_1)
	s_or_b32 s33, s2, s33
	s_and_not1_b32 exec_lo, exec_lo, s33
	s_cbranch_execz .LBB1593_340
.LBB1593_338:                           ; =>This Inner Loop Header: Depth=1
	s_or_b32 s34, s34, exec_lo
	s_cmp_eq_u64 s[4:5], s[6:7]
	s_cbranch_scc0 .LBB1593_336
; %bb.339:                              ;   in Loop: Header=BB1593_338 Depth=1
	s_mov_b64 s[6:7], s[22:23]
                                        ; implicit-def: $vgpr33_vgpr34
                                        ; implicit-def: $vgpr35_vgpr36
	s_branch .LBB1593_337
.LBB1593_340:
	s_set_inst_prefetch_distance 0x2
	s_or_b32 exec_lo, exec_lo, s33
	v_cmp_gt_i64_e32 vcc_lo, s[22:23], v[37:38]
	s_or_not1_b32 s2, vcc_lo, exec_lo
.LBB1593_341:
	s_or_b32 exec_lo, exec_lo, s29
.LBB1593_342:
	s_delay_alu instid0(SALU_CYCLE_1)
	s_and_b32 s29, s2, exec_lo
.LBB1593_343:
	s_or_b32 exec_lo, exec_lo, s31
	v_or_b32_e32 v33, 2, v55
	s_mov_b32 s31, exec_lo
	s_delay_alu instid0(VALU_DEP_1)
	v_cmpx_gt_u32_e64 s28, v33
	s_cbranch_execz .LBB1593_354
; %bb.344:
	s_and_not1_b32 vcc_lo, exec_lo, s18
	s_mov_b32 s2, 0
	s_cbranch_vccnz .LBB1593_353
; %bb.345:
	v_mul_lo_u32 v37, v32, s22
	v_mul_lo_u32 v38, v31, s23
	v_mad_u64_u32 v[33:34], null, v31, s22, 0
	v_mul_lo_u32 v39, v26, s22
	v_mul_lo_u32 v40, v25, s23
	v_mad_u64_u32 v[35:36], null, v25, s22, 0
	s_mov_b32 s2, -1
	s_mov_b32 s30, exec_lo
	s_delay_alu instid0(VALU_DEP_4) | instskip(NEXT) | instid1(VALU_DEP_2)
	v_add3_u32 v34, v34, v38, v37
	v_add3_u32 v36, v36, v40, v39
	s_delay_alu instid0(VALU_DEP_2) | instskip(NEXT) | instid1(VALU_DEP_2)
	v_lshlrev_b64 v[33:34], 2, v[33:34]
	v_lshlrev_b64 v[37:38], 2, v[35:36]
	s_delay_alu instid0(VALU_DEP_2) | instskip(NEXT) | instid1(VALU_DEP_3)
	v_add_co_u32 v35, vcc_lo, s8, v33
	v_add_co_ci_u32_e32 v36, vcc_lo, s9, v34, vcc_lo
	s_delay_alu instid0(VALU_DEP_3) | instskip(NEXT) | instid1(VALU_DEP_4)
	v_add_co_u32 v33, vcc_lo, s8, v37
	v_add_co_ci_u32_e32 v34, vcc_lo, s9, v38, vcc_lo
	s_clause 0x1
	global_load_b32 v37, v[35:36], off
	global_load_b32 v38, v[33:34], off
	s_waitcnt vmcnt(0)
	v_cmpx_eq_u32_e64 v37, v38
	s_cbranch_execz .LBB1593_352
; %bb.346:
	v_add_co_u32 v33, vcc_lo, v33, 4
	v_add_co_ci_u32_e32 v34, vcc_lo, 0, v34, vcc_lo
	v_add_co_u32 v35, vcc_lo, v35, 4
	v_add_co_ci_u32_e32 v36, vcc_lo, 0, v36, vcc_lo
	s_add_u32 s4, s22, -1
	s_addc_u32 s5, s23, -1
	s_mov_b64 s[6:7], 0
	s_mov_b32 s33, 0
                                        ; implicit-def: $sgpr34
	s_set_inst_prefetch_distance 0x1
	s_branch .LBB1593_349
	.p2align	6
.LBB1593_347:                           ;   in Loop: Header=BB1593_349 Depth=1
	global_load_b32 v37, v[35:36], off
	global_load_b32 v38, v[33:34], off
	v_add_co_u32 v33, vcc_lo, v33, 4
	v_add_co_ci_u32_e32 v34, vcc_lo, 0, v34, vcc_lo
	v_add_co_u32 v35, s2, v35, 4
	s_delay_alu instid0(VALU_DEP_1)
	v_add_co_ci_u32_e64 v36, s2, 0, v36, s2
	s_add_u32 s6, s6, 1
	s_addc_u32 s7, s7, 0
	s_and_not1_b32 s2, s34, exec_lo
	s_waitcnt vmcnt(0)
	v_cmp_ne_u32_e32 vcc_lo, v37, v38
	s_and_b32 s34, vcc_lo, exec_lo
	s_delay_alu instid0(SALU_CYCLE_1)
	s_or_b32 s34, s2, s34
.LBB1593_348:                           ;   in Loop: Header=BB1593_349 Depth=1
	v_dual_mov_b32 v38, s7 :: v_dual_mov_b32 v37, s6
	s_and_b32 s2, exec_lo, s34
	s_delay_alu instid0(SALU_CYCLE_1) | instskip(NEXT) | instid1(SALU_CYCLE_1)
	s_or_b32 s33, s2, s33
	s_and_not1_b32 exec_lo, exec_lo, s33
	s_cbranch_execz .LBB1593_351
.LBB1593_349:                           ; =>This Inner Loop Header: Depth=1
	s_or_b32 s34, s34, exec_lo
	s_cmp_eq_u64 s[4:5], s[6:7]
	s_cbranch_scc0 .LBB1593_347
; %bb.350:                              ;   in Loop: Header=BB1593_349 Depth=1
	s_mov_b64 s[6:7], s[22:23]
                                        ; implicit-def: $vgpr33_vgpr34
                                        ; implicit-def: $vgpr35_vgpr36
	s_branch .LBB1593_348
.LBB1593_351:
	s_set_inst_prefetch_distance 0x2
	s_or_b32 exec_lo, exec_lo, s33
	v_cmp_gt_i64_e32 vcc_lo, s[22:23], v[37:38]
	s_or_not1_b32 s2, vcc_lo, exec_lo
.LBB1593_352:
	s_or_b32 exec_lo, exec_lo, s30
.LBB1593_353:
	s_delay_alu instid0(SALU_CYCLE_1)
	s_and_b32 s30, s2, exec_lo
.LBB1593_354:
	s_or_b32 exec_lo, exec_lo, s31
	v_or_b32_e32 v33, 1, v55
	s_mov_b32 s2, 0
	s_mov_b32 s31, exec_lo
	s_delay_alu instid0(VALU_DEP_1)
	v_cmpx_gt_u32_e64 s28, v33
	s_cbranch_execz .LBB1593_365
; %bb.355:
	s_and_not1_b32 vcc_lo, exec_lo, s18
	s_cbranch_vccnz .LBB1593_364
; %bb.356:
	v_mul_lo_u32 v37, v30, s22
	v_mul_lo_u32 v38, v29, s23
	v_mad_u64_u32 v[33:34], null, v29, s22, 0
	v_mul_lo_u32 v39, v32, s22
	v_mul_lo_u32 v40, v31, s23
	v_mad_u64_u32 v[35:36], null, v31, s22, 0
	s_mov_b32 s2, -1
	s_mov_b32 s33, exec_lo
	s_delay_alu instid0(VALU_DEP_4) | instskip(NEXT) | instid1(VALU_DEP_2)
	v_add3_u32 v34, v34, v38, v37
	v_add3_u32 v36, v36, v40, v39
	s_delay_alu instid0(VALU_DEP_2) | instskip(NEXT) | instid1(VALU_DEP_2)
	v_lshlrev_b64 v[33:34], 2, v[33:34]
	v_lshlrev_b64 v[37:38], 2, v[35:36]
	s_delay_alu instid0(VALU_DEP_2) | instskip(NEXT) | instid1(VALU_DEP_3)
	v_add_co_u32 v35, vcc_lo, s8, v33
	v_add_co_ci_u32_e32 v36, vcc_lo, s9, v34, vcc_lo
	s_delay_alu instid0(VALU_DEP_3) | instskip(NEXT) | instid1(VALU_DEP_4)
	v_add_co_u32 v33, vcc_lo, s8, v37
	v_add_co_ci_u32_e32 v34, vcc_lo, s9, v38, vcc_lo
	s_clause 0x1
	global_load_b32 v37, v[35:36], off
	global_load_b32 v38, v[33:34], off
	s_waitcnt vmcnt(0)
	v_cmpx_eq_u32_e64 v37, v38
	s_cbranch_execz .LBB1593_363
; %bb.357:
	v_add_co_u32 v33, vcc_lo, v33, 4
	v_add_co_ci_u32_e32 v34, vcc_lo, 0, v34, vcc_lo
	v_add_co_u32 v35, vcc_lo, v35, 4
	v_add_co_ci_u32_e32 v36, vcc_lo, 0, v36, vcc_lo
	s_add_u32 s4, s22, -1
	s_addc_u32 s5, s23, -1
	s_mov_b64 s[6:7], 0
	s_mov_b32 s34, 0
                                        ; implicit-def: $sgpr35
	s_set_inst_prefetch_distance 0x1
	s_branch .LBB1593_360
	.p2align	6
.LBB1593_358:                           ;   in Loop: Header=BB1593_360 Depth=1
	global_load_b32 v37, v[35:36], off
	global_load_b32 v38, v[33:34], off
	v_add_co_u32 v33, vcc_lo, v33, 4
	v_add_co_ci_u32_e32 v34, vcc_lo, 0, v34, vcc_lo
	v_add_co_u32 v35, s2, v35, 4
	s_delay_alu instid0(VALU_DEP_1)
	v_add_co_ci_u32_e64 v36, s2, 0, v36, s2
	s_add_u32 s6, s6, 1
	s_addc_u32 s7, s7, 0
	s_and_not1_b32 s2, s35, exec_lo
	s_waitcnt vmcnt(0)
	v_cmp_ne_u32_e32 vcc_lo, v37, v38
	s_and_b32 s35, vcc_lo, exec_lo
	s_delay_alu instid0(SALU_CYCLE_1)
	s_or_b32 s35, s2, s35
.LBB1593_359:                           ;   in Loop: Header=BB1593_360 Depth=1
	v_dual_mov_b32 v38, s7 :: v_dual_mov_b32 v37, s6
	s_and_b32 s2, exec_lo, s35
	s_delay_alu instid0(SALU_CYCLE_1) | instskip(NEXT) | instid1(SALU_CYCLE_1)
	s_or_b32 s34, s2, s34
	s_and_not1_b32 exec_lo, exec_lo, s34
	s_cbranch_execz .LBB1593_362
.LBB1593_360:                           ; =>This Inner Loop Header: Depth=1
	s_or_b32 s35, s35, exec_lo
	s_cmp_eq_u64 s[4:5], s[6:7]
	s_cbranch_scc0 .LBB1593_358
; %bb.361:                              ;   in Loop: Header=BB1593_360 Depth=1
	s_mov_b64 s[6:7], s[22:23]
                                        ; implicit-def: $vgpr33_vgpr34
                                        ; implicit-def: $vgpr35_vgpr36
	s_branch .LBB1593_359
.LBB1593_362:
	s_set_inst_prefetch_distance 0x2
	s_or_b32 exec_lo, exec_lo, s34
	v_cmp_gt_i64_e32 vcc_lo, s[22:23], v[37:38]
	s_or_not1_b32 s2, vcc_lo, exec_lo
.LBB1593_363:
	s_or_b32 exec_lo, exec_lo, s33
.LBB1593_364:
	s_delay_alu instid0(SALU_CYCLE_1)
	s_and_b32 s2, s2, exec_lo
.LBB1593_365:
	s_or_b32 exec_lo, exec_lo, s31
	v_cndmask_b32_e64 v34, 0, 1, s29
	v_cndmask_b32_e64 v35, 0, 1, s27
	;; [unrolled: 1-line block ×7, first 2 shown]
	v_lshlrev_b16 v35, 8, v35
	v_lshlrev_b16 v36, 8, v36
	;; [unrolled: 1-line block ×4, first 2 shown]
	s_mov_b32 s19, exec_lo
	v_or_b32_e32 v35, v38, v35
	v_or_b32_e32 v36, v39, v36
	;; [unrolled: 1-line block ×4, first 2 shown]
	s_waitcnt lgkmcnt(0)
	v_and_b32_e32 v34, 0xffff, v35
	v_lshlrev_b32_e32 v35, 16, v36
	v_and_b32_e32 v36, 0xffff, v37
	v_lshlrev_b32_e32 v33, 16, v33
	s_barrier
	buffer_gl0_inv
	v_or_b32_e32 v34, v34, v35
                                        ; implicit-def: $sgpr2
	v_or_b32_e32 v33, v36, v33
	v_cmpx_ne_u32_e32 0, v0
	s_cbranch_execz .LBB1593_378
; %bb.366:
	s_mov_b32 s2, 0
	s_mov_b32 s25, exec_lo
	v_cmpx_gt_u32_e64 s28, v55
	s_cbranch_execz .LBB1593_377
; %bb.367:
	s_and_not1_b32 vcc_lo, exec_lo, s18
	s_cbranch_vccnz .LBB1593_376
; %bb.368:
	v_add_nc_u32_e32 v35, -8, v55
	v_mul_lo_u32 v42, v29, s23
	v_mad_u64_u32 v[38:39], null, v29, s22, 0
	s_mov_b32 s2, -1
	ds_load_b64 v[35:36], v35
	s_waitcnt lgkmcnt(0)
	v_mul_lo_u32 v40, v36, s22
	v_mul_lo_u32 v41, v35, s23
	v_mad_u64_u32 v[36:37], null, v35, s22, 0
	v_mul_lo_u32 v35, v30, s22
	s_delay_alu instid0(VALU_DEP_2) | instskip(NEXT) | instid1(VALU_DEP_2)
	v_add3_u32 v37, v37, v41, v40
	v_add3_u32 v39, v39, v42, v35
	s_delay_alu instid0(VALU_DEP_2) | instskip(NEXT) | instid1(VALU_DEP_2)
	v_lshlrev_b64 v[35:36], 2, v[36:37]
	v_lshlrev_b64 v[39:40], 2, v[38:39]
	s_delay_alu instid0(VALU_DEP_2) | instskip(NEXT) | instid1(VALU_DEP_3)
	v_add_co_u32 v37, vcc_lo, s8, v35
	v_add_co_ci_u32_e32 v38, vcc_lo, s9, v36, vcc_lo
	s_delay_alu instid0(VALU_DEP_3) | instskip(NEXT) | instid1(VALU_DEP_4)
	v_add_co_u32 v35, vcc_lo, s8, v39
	v_add_co_ci_u32_e32 v36, vcc_lo, s9, v40, vcc_lo
	s_clause 0x1
	global_load_b32 v39, v[37:38], off
	global_load_b32 v40, v[35:36], off
	s_mov_b32 s8, exec_lo
	s_waitcnt vmcnt(0)
	v_cmpx_eq_u32_e64 v39, v40
	s_cbranch_execz .LBB1593_375
; %bb.369:
	v_add_co_u32 v35, vcc_lo, v35, 4
	v_add_co_ci_u32_e32 v36, vcc_lo, 0, v36, vcc_lo
	v_add_co_u32 v37, vcc_lo, v37, 4
	v_add_co_ci_u32_e32 v38, vcc_lo, 0, v38, vcc_lo
	s_add_u32 s4, s22, -1
	s_addc_u32 s5, s23, -1
	s_mov_b64 s[6:7], 0
	s_mov_b32 s9, 0
                                        ; implicit-def: $sgpr18
	s_set_inst_prefetch_distance 0x1
	s_branch .LBB1593_372
	.p2align	6
.LBB1593_370:                           ;   in Loop: Header=BB1593_372 Depth=1
	global_load_b32 v39, v[37:38], off
	global_load_b32 v40, v[35:36], off
	v_add_co_u32 v35, vcc_lo, v35, 4
	v_add_co_ci_u32_e32 v36, vcc_lo, 0, v36, vcc_lo
	v_add_co_u32 v37, s2, v37, 4
	s_delay_alu instid0(VALU_DEP_1)
	v_add_co_ci_u32_e64 v38, s2, 0, v38, s2
	s_add_u32 s6, s6, 1
	s_addc_u32 s7, s7, 0
	s_and_not1_b32 s2, s18, exec_lo
	s_waitcnt vmcnt(0)
	v_cmp_ne_u32_e32 vcc_lo, v39, v40
	s_and_b32 s18, vcc_lo, exec_lo
	s_delay_alu instid0(SALU_CYCLE_1)
	s_or_b32 s18, s2, s18
.LBB1593_371:                           ;   in Loop: Header=BB1593_372 Depth=1
	v_dual_mov_b32 v40, s7 :: v_dual_mov_b32 v39, s6
	s_and_b32 s2, exec_lo, s18
	s_delay_alu instid0(SALU_CYCLE_1) | instskip(NEXT) | instid1(SALU_CYCLE_1)
	s_or_b32 s9, s2, s9
	s_and_not1_b32 exec_lo, exec_lo, s9
	s_cbranch_execz .LBB1593_374
.LBB1593_372:                           ; =>This Inner Loop Header: Depth=1
	s_or_b32 s18, s18, exec_lo
	s_cmp_eq_u64 s[4:5], s[6:7]
	s_cbranch_scc0 .LBB1593_370
; %bb.373:                              ;   in Loop: Header=BB1593_372 Depth=1
	s_mov_b64 s[6:7], s[22:23]
                                        ; implicit-def: $vgpr35_vgpr36
                                        ; implicit-def: $vgpr37_vgpr38
	s_branch .LBB1593_371
.LBB1593_374:
	s_set_inst_prefetch_distance 0x2
	s_or_b32 exec_lo, exec_lo, s9
	v_cmp_gt_i64_e32 vcc_lo, s[22:23], v[39:40]
	s_or_not1_b32 s2, vcc_lo, exec_lo
.LBB1593_375:
	s_or_b32 exec_lo, exec_lo, s8
.LBB1593_376:
	s_delay_alu instid0(SALU_CYCLE_1)
	s_and_b32 s2, s2, exec_lo
.LBB1593_377:
	s_or_b32 exec_lo, exec_lo, s25
	s_delay_alu instid0(SALU_CYCLE_1)
	s_and_b32 s2, s2, exec_lo
	s_or_b32 s3, s3, exec_lo
.LBB1593_378:
	s_or_b32 exec_lo, exec_lo, s19
.LBB1593_379:
	s_and_saveexec_b32 s4, s3
; %bb.380:
	v_and_b32_e32 v35, 0xffffff00, v33
	v_cndmask_b32_e64 v36, 0, 1, s2
	s_delay_alu instid0(VALU_DEP_1) | instskip(NEXT) | instid1(VALU_DEP_1)
	v_or_b32_e32 v35, v36, v35
	v_and_b32_e32 v35, 0xffff, v35
	s_delay_alu instid0(VALU_DEP_1)
	v_and_or_b32 v33, 0xffff0000, v33, v35
; %bb.381:
	s_or_b32 exec_lo, exec_lo, s4
	s_delay_alu instid0(SALU_CYCLE_1)
	s_and_not1_b32 vcc_lo, exec_lo, s21
	s_cbranch_vccnz .LBB1593_383
; %bb.382:
	v_cmp_gt_u32_e32 vcc_lo, s28, v55
	v_or_b32_e32 v36, 1, v55
	v_and_b32_e32 v37, 0xffffff00, v34
	v_or_b32_e32 v38, 2, v55
	v_cndmask_b32_e32 v35, 0, v33, vcc_lo
	s_delay_alu instid0(VALU_DEP_4) | instskip(SKIP_1) | instid1(VALU_DEP_4)
	v_cmp_gt_u32_e32 vcc_lo, s28, v36
	v_or_b32_e32 v36, 4, v55
	v_cmp_gt_u32_e64 s2, s28, v38
	v_or_b32_e32 v38, 3, v55
	v_and_b32_e32 v35, 0xff, v35
	s_delay_alu instid0(VALU_DEP_2) | instskip(NEXT) | instid1(VALU_DEP_2)
	v_cmp_gt_u32_e64 s3, s28, v38
	v_cndmask_b32_e32 v35, v35, v33, vcc_lo
	v_cmp_gt_u32_e32 vcc_lo, s28, v36
	v_cndmask_b32_e32 v36, v37, v34, vcc_lo
	v_or_b32_e32 v37, 5, v55
	s_delay_alu instid0(VALU_DEP_2) | instskip(SKIP_1) | instid1(VALU_DEP_1)
	v_and_b32_e32 v36, 0xffff00ff, v36
	v_and_b32_e32 v35, 0xffff, v35
	v_cndmask_b32_e64 v35, v35, v33, s2
	s_delay_alu instid0(VALU_DEP_4) | instskip(SKIP_1) | instid1(VALU_DEP_3)
	v_cmp_gt_u32_e64 s2, s28, v37
	v_or_b32_e32 v37, 6, v55
	v_and_b32_e32 v35, 0xffffff, v35
	s_delay_alu instid0(VALU_DEP_3) | instskip(NEXT) | instid1(VALU_DEP_2)
	v_cndmask_b32_e64 v36, v36, v34, s2
	v_cndmask_b32_e64 v35, v35, v33, s3
	s_delay_alu instid0(VALU_DEP_1) | instskip(SKIP_2) | instid1(VALU_DEP_3)
	v_dual_cndmask_b32 v35, v35, v33 :: v_dual_and_b32 v36, 0xff00ffff, v36
	v_cmp_gt_u32_e32 vcc_lo, s28, v37
	v_or_b32_e32 v37, 7, v55
	v_cndmask_b32_e64 v35, v35, v33, s2
	s_delay_alu instid0(VALU_DEP_1) | instskip(NEXT) | instid1(VALU_DEP_1)
	v_dual_cndmask_b32 v36, v36, v34 :: v_dual_cndmask_b32 v35, v35, v33
	v_and_b32_e32 v36, 0xffffff, v36
	s_delay_alu instid0(VALU_DEP_4) | instskip(NEXT) | instid1(VALU_DEP_2)
	v_cmp_gt_u32_e32 vcc_lo, s28, v37
	v_dual_cndmask_b32 v34, v36, v34 :: v_dual_cndmask_b32 v33, v35, v33
.LBB1593_383:
	s_delay_alu instid0(VALU_DEP_1) | instskip(NEXT) | instid1(VALU_DEP_2)
	v_and_b32_e32 v42, 0xff, v33
	v_alignbit_b32 v35, v34, v33, 24
	v_bfe_u32 v44, v33, 8, 8
	v_bfe_u32 v46, v33, 16, 8
	v_and_b32_e32 v50, 0xff, v34
	v_bfe_u32 v52, v34, 8, 8
	v_and_b32_e32 v48, 0xff, v35
	v_add_nc_u32_e32 v35, v44, v42
	v_mbcnt_lo_u32_b32 v57, -1, 0
	v_bfe_u32 v54, v34, 16, 8
	v_lshrrev_b32_e32 v56, 24, v34
	v_lshrrev_b32_e32 v58, 5, v0
	v_add3_u32 v35, v35, v46, v48
	v_and_b32_e32 v36, 15, v57
	v_and_b32_e32 v37, 16, v57
	s_and_b32 vcc_lo, exec_lo, s24
	s_mov_b32 s9, -1
	v_add3_u32 v35, v35, v50, v52
	v_cmp_eq_u32_e64 s4, 0, v36
	v_cmp_lt_u32_e64 s2, 1, v36
	v_cmp_lt_u32_e64 s5, 3, v36
	;; [unrolled: 1-line block ×3, first 2 shown]
	v_add3_u32 v59, v35, v54, v56
	v_or_b32_e32 v35, 31, v0
	v_cmp_eq_u32_e64 s7, 0, v37
	s_waitcnt lgkmcnt(0)
	s_barrier
	buffer_gl0_inv
	v_cmp_eq_u32_e64 s6, v35, v0
	s_cbranch_vccz .LBB1593_414
; %bb.384:
	v_mov_b32_dpp v35, v59 row_shr:1 row_mask:0xf bank_mask:0xf
	s_delay_alu instid0(VALU_DEP_1) | instskip(NEXT) | instid1(VALU_DEP_1)
	v_cndmask_b32_e64 v35, v35, 0, s4
	v_add_nc_u32_e32 v35, v35, v59
	s_delay_alu instid0(VALU_DEP_1) | instskip(NEXT) | instid1(VALU_DEP_1)
	v_mov_b32_dpp v36, v35 row_shr:2 row_mask:0xf bank_mask:0xf
	v_cndmask_b32_e64 v36, 0, v36, s2
	s_delay_alu instid0(VALU_DEP_1) | instskip(NEXT) | instid1(VALU_DEP_1)
	v_add_nc_u32_e32 v35, v35, v36
	v_mov_b32_dpp v36, v35 row_shr:4 row_mask:0xf bank_mask:0xf
	s_delay_alu instid0(VALU_DEP_1) | instskip(NEXT) | instid1(VALU_DEP_1)
	v_cndmask_b32_e64 v36, 0, v36, s5
	v_add_nc_u32_e32 v35, v35, v36
	s_delay_alu instid0(VALU_DEP_1) | instskip(NEXT) | instid1(VALU_DEP_1)
	v_mov_b32_dpp v36, v35 row_shr:8 row_mask:0xf bank_mask:0xf
	v_cndmask_b32_e64 v36, 0, v36, s3
	s_delay_alu instid0(VALU_DEP_1) | instskip(SKIP_3) | instid1(VALU_DEP_1)
	v_add_nc_u32_e32 v35, v35, v36
	ds_swizzle_b32 v36, v35 offset:swizzle(BROADCAST,32,15)
	s_waitcnt lgkmcnt(0)
	v_cndmask_b32_e64 v36, v36, 0, s7
	v_add_nc_u32_e32 v35, v35, v36
	s_and_saveexec_b32 s8, s6
	s_cbranch_execz .LBB1593_386
; %bb.385:
	v_lshlrev_b32_e32 v36, 2, v58
	ds_store_b32 v36, v35
.LBB1593_386:
	s_or_b32 exec_lo, exec_lo, s8
	s_delay_alu instid0(SALU_CYCLE_1)
	s_mov_b32 s8, exec_lo
	s_waitcnt lgkmcnt(0)
	s_barrier
	buffer_gl0_inv
	v_cmpx_gt_u32_e32 16, v0
	s_cbranch_execz .LBB1593_388
; %bb.387:
	v_lshlrev_b32_e32 v36, 2, v0
	ds_load_b32 v37, v36
	s_waitcnt lgkmcnt(0)
	v_mov_b32_dpp v38, v37 row_shr:1 row_mask:0xf bank_mask:0xf
	s_delay_alu instid0(VALU_DEP_1) | instskip(NEXT) | instid1(VALU_DEP_1)
	v_cndmask_b32_e64 v38, v38, 0, s4
	v_add_nc_u32_e32 v37, v38, v37
	s_delay_alu instid0(VALU_DEP_1) | instskip(NEXT) | instid1(VALU_DEP_1)
	v_mov_b32_dpp v38, v37 row_shr:2 row_mask:0xf bank_mask:0xf
	v_cndmask_b32_e64 v38, 0, v38, s2
	s_delay_alu instid0(VALU_DEP_1) | instskip(NEXT) | instid1(VALU_DEP_1)
	v_add_nc_u32_e32 v37, v37, v38
	v_mov_b32_dpp v38, v37 row_shr:4 row_mask:0xf bank_mask:0xf
	s_delay_alu instid0(VALU_DEP_1) | instskip(NEXT) | instid1(VALU_DEP_1)
	v_cndmask_b32_e64 v38, 0, v38, s5
	v_add_nc_u32_e32 v37, v37, v38
	s_delay_alu instid0(VALU_DEP_1) | instskip(NEXT) | instid1(VALU_DEP_1)
	v_mov_b32_dpp v38, v37 row_shr:8 row_mask:0xf bank_mask:0xf
	v_cndmask_b32_e64 v38, 0, v38, s3
	s_delay_alu instid0(VALU_DEP_1)
	v_add_nc_u32_e32 v37, v37, v38
	ds_store_b32 v36, v37
.LBB1593_388:
	s_or_b32 exec_lo, exec_lo, s8
	v_cmp_gt_u32_e32 vcc_lo, 32, v0
	s_mov_b32 s9, exec_lo
	s_waitcnt lgkmcnt(0)
	s_barrier
	buffer_gl0_inv
                                        ; implicit-def: $vgpr43
	v_cmpx_lt_u32_e32 31, v0
	s_cbranch_execz .LBB1593_390
; %bb.389:
	v_lshl_add_u32 v36, v58, 2, -4
	ds_load_b32 v43, v36
	s_waitcnt lgkmcnt(0)
	v_add_nc_u32_e32 v35, v43, v35
.LBB1593_390:
	s_or_b32 exec_lo, exec_lo, s9
	v_add_nc_u32_e32 v36, -1, v57
	s_delay_alu instid0(VALU_DEP_1) | instskip(NEXT) | instid1(VALU_DEP_1)
	v_cmp_gt_i32_e64 s8, 0, v36
	v_cndmask_b32_e64 v36, v36, v57, s8
	v_cmp_eq_u32_e64 s8, 0, v57
	s_delay_alu instid0(VALU_DEP_2)
	v_lshlrev_b32_e32 v36, 2, v36
	ds_bpermute_b32 v45, v36, v35
	s_and_saveexec_b32 s9, vcc_lo
	s_cbranch_execz .LBB1593_413
; %bb.391:
	v_mov_b32_e32 v38, 0
	ds_load_b32 v35, v38 offset:60
	s_and_saveexec_b32 s18, s8
	s_cbranch_execz .LBB1593_393
; %bb.392:
	s_add_i32 s22, s15, 32
	s_mov_b32 s23, 0
	v_mov_b32_e32 v36, 1
	s_lshl_b64 s[22:23], s[22:23], 3
	s_delay_alu instid0(SALU_CYCLE_1)
	s_add_u32 s22, s10, s22
	s_addc_u32 s23, s11, s23
	s_waitcnt lgkmcnt(0)
	global_store_b64 v38, v[35:36], s[22:23]
.LBB1593_393:
	s_or_b32 exec_lo, exec_lo, s18
	v_xad_u32 v36, v57, -1, s15
	s_mov_b32 s19, 0
	s_mov_b32 s18, exec_lo
	s_delay_alu instid0(VALU_DEP_1) | instskip(NEXT) | instid1(VALU_DEP_1)
	v_add_nc_u32_e32 v37, 32, v36
	v_lshlrev_b64 v[37:38], 3, v[37:38]
	s_delay_alu instid0(VALU_DEP_1) | instskip(NEXT) | instid1(VALU_DEP_2)
	v_add_co_u32 v40, vcc_lo, s10, v37
	v_add_co_ci_u32_e32 v41, vcc_lo, s11, v38, vcc_lo
	global_load_b64 v[38:39], v[40:41], off glc
	s_waitcnt vmcnt(0)
	v_and_b32_e32 v37, 0xff, v39
	s_delay_alu instid0(VALU_DEP_1)
	v_cmpx_eq_u16_e32 0, v37
	s_cbranch_execz .LBB1593_399
; %bb.394:
	s_mov_b32 s21, 1
	.p2align	6
.LBB1593_395:                           ; =>This Loop Header: Depth=1
                                        ;     Child Loop BB1593_396 Depth 2
	s_delay_alu instid0(SALU_CYCLE_1)
	s_max_u32 s22, s21, 1
.LBB1593_396:                           ;   Parent Loop BB1593_395 Depth=1
                                        ; =>  This Inner Loop Header: Depth=2
	s_delay_alu instid0(SALU_CYCLE_1)
	s_add_i32 s22, s22, -1
	s_sleep 1
	s_cmp_eq_u32 s22, 0
	s_cbranch_scc0 .LBB1593_396
; %bb.397:                              ;   in Loop: Header=BB1593_395 Depth=1
	global_load_b64 v[38:39], v[40:41], off glc
	s_cmp_lt_u32 s21, 32
	s_cselect_b32 s22, -1, 0
	s_delay_alu instid0(SALU_CYCLE_1) | instskip(SKIP_3) | instid1(VALU_DEP_1)
	s_cmp_lg_u32 s22, 0
	s_addc_u32 s21, s21, 0
	s_waitcnt vmcnt(0)
	v_and_b32_e32 v37, 0xff, v39
	v_cmp_ne_u16_e32 vcc_lo, 0, v37
	s_or_b32 s19, vcc_lo, s19
	s_delay_alu instid0(SALU_CYCLE_1)
	s_and_not1_b32 exec_lo, exec_lo, s19
	s_cbranch_execnz .LBB1593_395
; %bb.398:
	s_or_b32 exec_lo, exec_lo, s19
.LBB1593_399:
	s_delay_alu instid0(SALU_CYCLE_1)
	s_or_b32 exec_lo, exec_lo, s18
	v_cmp_ne_u32_e32 vcc_lo, 31, v57
	v_lshlrev_b32_e64 v49, v57, -1
	v_add_nc_u32_e32 v53, 2, v57
	v_add_nc_u32_e32 v62, 4, v57
	;; [unrolled: 1-line block ×3, first 2 shown]
	v_add_co_ci_u32_e32 v37, vcc_lo, 0, v57, vcc_lo
	v_add_nc_u32_e32 v66, 16, v57
	s_delay_alu instid0(VALU_DEP_2)
	v_lshlrev_b32_e32 v47, 2, v37
	v_and_b32_e32 v37, 0xff, v39
	ds_bpermute_b32 v40, v47, v38
	v_cmp_eq_u16_e32 vcc_lo, 2, v37
	v_and_or_b32 v37, vcc_lo, v49, 0x80000000
	v_cmp_gt_u32_e32 vcc_lo, 30, v57
	s_delay_alu instid0(VALU_DEP_2) | instskip(SKIP_1) | instid1(VALU_DEP_2)
	v_ctz_i32_b32_e32 v37, v37
	v_cndmask_b32_e64 v41, 0, 1, vcc_lo
	v_cmp_lt_u32_e32 vcc_lo, v57, v37
	s_waitcnt lgkmcnt(0)
	s_delay_alu instid0(VALU_DEP_2) | instskip(NEXT) | instid1(VALU_DEP_1)
	v_dual_cndmask_b32 v40, 0, v40 :: v_dual_lshlrev_b32 v41, 1, v41
	v_add_lshl_u32 v51, v41, v57, 2
	v_cmp_gt_u32_e32 vcc_lo, 28, v57
	s_delay_alu instid0(VALU_DEP_3) | instskip(SKIP_4) | instid1(VALU_DEP_1)
	v_add_nc_u32_e32 v38, v40, v38
	v_cndmask_b32_e64 v41, 0, 1, vcc_lo
	v_cmp_le_u32_e32 vcc_lo, v53, v37
	ds_bpermute_b32 v40, v51, v38
	v_lshlrev_b32_e32 v41, 2, v41
	v_add_lshl_u32 v60, v41, v57, 2
	s_waitcnt lgkmcnt(0)
	v_cndmask_b32_e32 v40, 0, v40, vcc_lo
	v_cmp_gt_u32_e32 vcc_lo, 24, v57
	s_delay_alu instid0(VALU_DEP_2) | instskip(SKIP_4) | instid1(VALU_DEP_1)
	v_add_nc_u32_e32 v38, v38, v40
	v_cndmask_b32_e64 v41, 0, 1, vcc_lo
	v_cmp_le_u32_e32 vcc_lo, v62, v37
	ds_bpermute_b32 v40, v60, v38
	v_lshlrev_b32_e32 v41, 3, v41
	v_add_lshl_u32 v63, v41, v57, 2
	s_waitcnt lgkmcnt(0)
	v_cndmask_b32_e32 v40, 0, v40, vcc_lo
	v_cmp_gt_u32_e32 vcc_lo, 16, v57
	s_delay_alu instid0(VALU_DEP_2) | instskip(SKIP_4) | instid1(VALU_DEP_1)
	v_add_nc_u32_e32 v38, v38, v40
	v_cndmask_b32_e64 v41, 0, 1, vcc_lo
	v_cmp_le_u32_e32 vcc_lo, v64, v37
	ds_bpermute_b32 v40, v63, v38
	v_lshlrev_b32_e32 v41, 4, v41
	v_add_lshl_u32 v65, v41, v57, 2
	s_waitcnt lgkmcnt(0)
	v_cndmask_b32_e32 v40, 0, v40, vcc_lo
	v_cmp_le_u32_e32 vcc_lo, v66, v37
	s_delay_alu instid0(VALU_DEP_2) | instskip(SKIP_3) | instid1(VALU_DEP_1)
	v_add_nc_u32_e32 v38, v38, v40
	ds_bpermute_b32 v40, v65, v38
	s_waitcnt lgkmcnt(0)
	v_cndmask_b32_e32 v37, 0, v40, vcc_lo
	v_dual_mov_b32 v37, 0 :: v_dual_add_nc_u32 v38, v38, v37
	s_branch .LBB1593_401
.LBB1593_400:                           ;   in Loop: Header=BB1593_401 Depth=1
	s_or_b32 exec_lo, exec_lo, s18
	ds_bpermute_b32 v41, v47, v38
	v_and_b32_e32 v40, 0xff, v39
	v_subrev_nc_u32_e32 v36, 32, v36
	s_delay_alu instid0(VALU_DEP_2) | instskip(SKIP_1) | instid1(VALU_DEP_1)
	v_cmp_eq_u16_e32 vcc_lo, 2, v40
	v_and_or_b32 v40, vcc_lo, v49, 0x80000000
	v_ctz_i32_b32_e32 v40, v40
	s_delay_alu instid0(VALU_DEP_1) | instskip(SKIP_3) | instid1(VALU_DEP_2)
	v_cmp_lt_u32_e32 vcc_lo, v57, v40
	s_waitcnt lgkmcnt(0)
	v_cndmask_b32_e32 v41, 0, v41, vcc_lo
	v_cmp_le_u32_e32 vcc_lo, v53, v40
	v_add_nc_u32_e32 v38, v41, v38
	ds_bpermute_b32 v41, v51, v38
	s_waitcnt lgkmcnt(0)
	v_cndmask_b32_e32 v41, 0, v41, vcc_lo
	v_cmp_le_u32_e32 vcc_lo, v62, v40
	s_delay_alu instid0(VALU_DEP_2) | instskip(SKIP_4) | instid1(VALU_DEP_2)
	v_add_nc_u32_e32 v38, v38, v41
	ds_bpermute_b32 v41, v60, v38
	s_waitcnt lgkmcnt(0)
	v_cndmask_b32_e32 v41, 0, v41, vcc_lo
	v_cmp_le_u32_e32 vcc_lo, v64, v40
	v_add_nc_u32_e32 v38, v38, v41
	ds_bpermute_b32 v41, v63, v38
	s_waitcnt lgkmcnt(0)
	v_cndmask_b32_e32 v41, 0, v41, vcc_lo
	v_cmp_le_u32_e32 vcc_lo, v66, v40
	s_delay_alu instid0(VALU_DEP_2) | instskip(SKIP_3) | instid1(VALU_DEP_1)
	v_add_nc_u32_e32 v38, v38, v41
	ds_bpermute_b32 v41, v65, v38
	s_waitcnt lgkmcnt(0)
	v_cndmask_b32_e32 v40, 0, v41, vcc_lo
	v_add3_u32 v38, v40, v61, v38
.LBB1593_401:                           ; =>This Loop Header: Depth=1
                                        ;     Child Loop BB1593_404 Depth 2
                                        ;       Child Loop BB1593_405 Depth 3
	v_and_b32_e32 v39, 0xff, v39
	s_delay_alu instid0(VALU_DEP_2) | instskip(NEXT) | instid1(VALU_DEP_2)
	v_mov_b32_e32 v61, v38
	v_cmp_ne_u16_e32 vcc_lo, 2, v39
	v_cndmask_b32_e64 v39, 0, 1, vcc_lo
	;;#ASMSTART
	;;#ASMEND
	s_delay_alu instid0(VALU_DEP_1)
	v_cmp_ne_u32_e32 vcc_lo, 0, v39
	s_cmp_lg_u32 vcc_lo, exec_lo
	s_cbranch_scc1 .LBB1593_408
; %bb.402:                              ;   in Loop: Header=BB1593_401 Depth=1
	v_lshlrev_b64 v[38:39], 3, v[36:37]
	s_mov_b32 s18, exec_lo
	s_delay_alu instid0(VALU_DEP_1) | instskip(NEXT) | instid1(VALU_DEP_2)
	v_add_co_u32 v40, vcc_lo, s10, v38
	v_add_co_ci_u32_e32 v41, vcc_lo, s11, v39, vcc_lo
	global_load_b64 v[38:39], v[40:41], off glc
	s_waitcnt vmcnt(0)
	v_and_b32_e32 v67, 0xff, v39
	s_delay_alu instid0(VALU_DEP_1)
	v_cmpx_eq_u16_e32 0, v67
	s_cbranch_execz .LBB1593_400
; %bb.403:                              ;   in Loop: Header=BB1593_401 Depth=1
	s_mov_b32 s21, 1
	s_mov_b32 s19, 0
	.p2align	6
.LBB1593_404:                           ;   Parent Loop BB1593_401 Depth=1
                                        ; =>  This Loop Header: Depth=2
                                        ;       Child Loop BB1593_405 Depth 3
	s_max_u32 s22, s21, 1
.LBB1593_405:                           ;   Parent Loop BB1593_401 Depth=1
                                        ;     Parent Loop BB1593_404 Depth=2
                                        ; =>    This Inner Loop Header: Depth=3
	s_delay_alu instid0(SALU_CYCLE_1)
	s_add_i32 s22, s22, -1
	s_sleep 1
	s_cmp_eq_u32 s22, 0
	s_cbranch_scc0 .LBB1593_405
; %bb.406:                              ;   in Loop: Header=BB1593_404 Depth=2
	global_load_b64 v[38:39], v[40:41], off glc
	s_cmp_lt_u32 s21, 32
	s_cselect_b32 s22, -1, 0
	s_delay_alu instid0(SALU_CYCLE_1) | instskip(SKIP_3) | instid1(VALU_DEP_1)
	s_cmp_lg_u32 s22, 0
	s_addc_u32 s21, s21, 0
	s_waitcnt vmcnt(0)
	v_and_b32_e32 v67, 0xff, v39
	v_cmp_ne_u16_e32 vcc_lo, 0, v67
	s_or_b32 s19, vcc_lo, s19
	s_delay_alu instid0(SALU_CYCLE_1)
	s_and_not1_b32 exec_lo, exec_lo, s19
	s_cbranch_execnz .LBB1593_404
; %bb.407:                              ;   in Loop: Header=BB1593_401 Depth=1
	s_or_b32 exec_lo, exec_lo, s19
	s_branch .LBB1593_400
.LBB1593_408:                           ;   in Loop: Header=BB1593_401 Depth=1
                                        ; implicit-def: $vgpr38
                                        ; implicit-def: $vgpr39
	s_cbranch_execz .LBB1593_401
; %bb.409:
	s_and_saveexec_b32 s18, s8
	s_cbranch_execz .LBB1593_411
; %bb.410:
	s_add_i32 s22, s15, 32
	s_mov_b32 s23, 0
	v_dual_mov_b32 v37, 2 :: v_dual_add_nc_u32 v36, v61, v35
	s_lshl_b64 s[22:23], s[22:23], 3
	v_mov_b32_e32 v38, 0
	v_add_nc_u32_e64 v39, 0x8400, 0
	s_add_u32 s22, s10, s22
	s_addc_u32 s23, s11, s23
	global_store_b64 v38, v[36:37], s[22:23]
	ds_store_2addr_b32 v39, v35, v61 offset1:2
.LBB1593_411:
	s_or_b32 exec_lo, exec_lo, s18
	v_cmp_eq_u32_e32 vcc_lo, 0, v0
	s_and_b32 exec_lo, exec_lo, vcc_lo
	s_cbranch_execz .LBB1593_413
; %bb.412:
	v_mov_b32_e32 v35, 0
	ds_store_b32 v35, v61 offset:60
.LBB1593_413:
	s_or_b32 exec_lo, exec_lo, s9
	s_waitcnt lgkmcnt(0)
	v_cndmask_b32_e64 v36, v45, v43, s8
	v_cmp_ne_u32_e32 vcc_lo, 0, v0
	v_mov_b32_e32 v35, 0
	s_waitcnt_vscnt null, 0x0
	s_barrier
	buffer_gl0_inv
	v_cndmask_b32_e32 v36, 0, v36, vcc_lo
	ds_load_b32 v35, v35 offset:60
	s_waitcnt lgkmcnt(0)
	s_barrier
	buffer_gl0_inv
	v_add_nc_u32_e32 v53, v35, v36
	v_add_nc_u32_e64 v35, 0x8400, 0
	s_delay_alu instid0(VALU_DEP_2) | instskip(SKIP_2) | instid1(VALU_DEP_1)
	v_add_nc_u32_e32 v51, v53, v42
	ds_load_2addr_b32 v[35:36], v35 offset1:2
	v_add_nc_u32_e32 v49, v51, v44
	v_add_nc_u32_e32 v47, v49, v46
	s_delay_alu instid0(VALU_DEP_1) | instskip(NEXT) | instid1(VALU_DEP_1)
	v_add_nc_u32_e32 v45, v47, v48
	v_add_nc_u32_e32 v43, v45, v50
	s_waitcnt lgkmcnt(0)
	v_readfirstlane_b32 s8, v36
	s_delay_alu instid0(VALU_DEP_2) | instskip(NEXT) | instid1(VALU_DEP_1)
	v_add_nc_u32_e32 v41, v43, v52
	v_add_nc_u32_e32 v39, v41, v54
	v_lshrrev_b64 v[37:38], 24, v[33:34]
	s_branch .LBB1593_424
.LBB1593_414:
                                        ; implicit-def: $vgpr39
                                        ; implicit-def: $vgpr41
                                        ; implicit-def: $vgpr43
                                        ; implicit-def: $vgpr45
                                        ; implicit-def: $vgpr47
                                        ; implicit-def: $vgpr49
                                        ; implicit-def: $vgpr51
                                        ; implicit-def: $vgpr53
                                        ; implicit-def: $sgpr8
                                        ; implicit-def: $vgpr35
	v_lshrrev_b64 v[37:38], 24, v[33:34]
	s_and_b32 vcc_lo, exec_lo, s9
	s_cbranch_vccz .LBB1593_424
; %bb.415:
	v_mov_b32_dpp v35, v59 row_shr:1 row_mask:0xf bank_mask:0xf
	s_delay_alu instid0(VALU_DEP_1) | instskip(NEXT) | instid1(VALU_DEP_1)
	v_cndmask_b32_e64 v35, v35, 0, s4
	v_add_nc_u32_e32 v35, v35, v59
	s_delay_alu instid0(VALU_DEP_1) | instskip(NEXT) | instid1(VALU_DEP_1)
	v_mov_b32_dpp v36, v35 row_shr:2 row_mask:0xf bank_mask:0xf
	v_cndmask_b32_e64 v36, 0, v36, s2
	s_delay_alu instid0(VALU_DEP_1) | instskip(NEXT) | instid1(VALU_DEP_1)
	v_add_nc_u32_e32 v35, v35, v36
	v_mov_b32_dpp v36, v35 row_shr:4 row_mask:0xf bank_mask:0xf
	s_delay_alu instid0(VALU_DEP_1) | instskip(NEXT) | instid1(VALU_DEP_1)
	v_cndmask_b32_e64 v36, 0, v36, s5
	v_add_nc_u32_e32 v35, v35, v36
	s_delay_alu instid0(VALU_DEP_1) | instskip(NEXT) | instid1(VALU_DEP_1)
	v_mov_b32_dpp v36, v35 row_shr:8 row_mask:0xf bank_mask:0xf
	v_cndmask_b32_e64 v36, 0, v36, s3
	s_delay_alu instid0(VALU_DEP_1) | instskip(SKIP_3) | instid1(VALU_DEP_1)
	v_add_nc_u32_e32 v35, v35, v36
	ds_swizzle_b32 v36, v35 offset:swizzle(BROADCAST,32,15)
	s_waitcnt lgkmcnt(0)
	v_cndmask_b32_e64 v36, v36, 0, s7
	v_add_nc_u32_e32 v35, v35, v36
	s_and_saveexec_b32 s7, s6
	s_cbranch_execz .LBB1593_417
; %bb.416:
	v_lshlrev_b32_e32 v36, 2, v58
	ds_store_b32 v36, v35
.LBB1593_417:
	s_or_b32 exec_lo, exec_lo, s7
	s_delay_alu instid0(SALU_CYCLE_1)
	s_mov_b32 s6, exec_lo
	s_waitcnt lgkmcnt(0)
	s_barrier
	buffer_gl0_inv
	v_cmpx_gt_u32_e32 16, v0
	s_cbranch_execz .LBB1593_419
; %bb.418:
	v_lshlrev_b32_e32 v36, 2, v0
	ds_load_b32 v38, v36
	s_waitcnt lgkmcnt(0)
	v_mov_b32_dpp v39, v38 row_shr:1 row_mask:0xf bank_mask:0xf
	s_delay_alu instid0(VALU_DEP_1) | instskip(NEXT) | instid1(VALU_DEP_1)
	v_cndmask_b32_e64 v39, v39, 0, s4
	v_add_nc_u32_e32 v38, v39, v38
	s_delay_alu instid0(VALU_DEP_1) | instskip(NEXT) | instid1(VALU_DEP_1)
	v_mov_b32_dpp v39, v38 row_shr:2 row_mask:0xf bank_mask:0xf
	v_cndmask_b32_e64 v39, 0, v39, s2
	s_delay_alu instid0(VALU_DEP_1) | instskip(NEXT) | instid1(VALU_DEP_1)
	v_add_nc_u32_e32 v38, v38, v39
	v_mov_b32_dpp v39, v38 row_shr:4 row_mask:0xf bank_mask:0xf
	s_delay_alu instid0(VALU_DEP_1) | instskip(NEXT) | instid1(VALU_DEP_1)
	v_cndmask_b32_e64 v39, 0, v39, s5
	v_add_nc_u32_e32 v38, v38, v39
	s_delay_alu instid0(VALU_DEP_1) | instskip(NEXT) | instid1(VALU_DEP_1)
	v_mov_b32_dpp v39, v38 row_shr:8 row_mask:0xf bank_mask:0xf
	v_cndmask_b32_e64 v39, 0, v39, s3
	s_delay_alu instid0(VALU_DEP_1)
	v_add_nc_u32_e32 v38, v38, v39
	ds_store_b32 v36, v38
.LBB1593_419:
	s_or_b32 exec_lo, exec_lo, s6
	v_mov_b32_e32 v36, 0
	v_mov_b32_e32 v38, 0
	s_mov_b32 s2, exec_lo
	s_waitcnt lgkmcnt(0)
	s_barrier
	buffer_gl0_inv
	v_cmpx_lt_u32_e32 31, v0
	s_cbranch_execz .LBB1593_421
; %bb.420:
	v_lshl_add_u32 v38, v58, 2, -4
	ds_load_b32 v38, v38
.LBB1593_421:
	s_or_b32 exec_lo, exec_lo, s2
	v_add_nc_u32_e32 v39, -1, v57
	s_waitcnt lgkmcnt(0)
	v_add_nc_u32_e32 v35, v38, v35
	s_mov_b32 s8, 0
	s_delay_alu instid0(VALU_DEP_2) | instskip(SKIP_2) | instid1(VALU_DEP_2)
	v_cmp_gt_i32_e32 vcc_lo, 0, v39
	v_cndmask_b32_e32 v39, v39, v57, vcc_lo
	v_cmp_eq_u32_e32 vcc_lo, 0, v0
	v_lshlrev_b32_e32 v39, 2, v39
	ds_bpermute_b32 v39, v39, v35
	ds_load_b32 v35, v36 offset:60
	s_and_saveexec_b32 s2, vcc_lo
	s_cbranch_execz .LBB1593_423
; %bb.422:
	v_mov_b32_e32 v40, 0
	v_mov_b32_e32 v36, 2
	s_waitcnt lgkmcnt(0)
	global_store_b64 v40, v[35:36], s[10:11] offset:256
.LBB1593_423:
	s_or_b32 exec_lo, exec_lo, s2
	v_cmp_eq_u32_e64 s2, 0, v57
	s_waitcnt lgkmcnt(0)
	s_waitcnt_vscnt null, 0x0
	s_barrier
	buffer_gl0_inv
	v_cndmask_b32_e64 v36, v39, v38, s2
	s_delay_alu instid0(VALU_DEP_1) | instskip(NEXT) | instid1(VALU_DEP_1)
	v_cndmask_b32_e64 v53, v36, 0, vcc_lo
	v_add_nc_u32_e32 v51, v53, v42
	s_delay_alu instid0(VALU_DEP_1) | instskip(NEXT) | instid1(VALU_DEP_1)
	v_add_nc_u32_e32 v49, v51, v44
	v_add_nc_u32_e32 v47, v49, v46
	s_delay_alu instid0(VALU_DEP_1) | instskip(NEXT) | instid1(VALU_DEP_1)
	v_add_nc_u32_e32 v45, v47, v48
	;; [unrolled: 3-line block ×3, first 2 shown]
	v_add_nc_u32_e32 v39, v41, v54
.LBB1593_424:
	s_load_b128 s[4:7], s[0:1], 0x28
	v_add_nc_u32_e32 v59, s8, v35
	v_cmp_gt_u32_e64 s0, 0x201, v35
	v_lshrrev_b32_e32 v58, 8, v33
	v_lshrrev_b32_e32 v57, 16, v33
	;; [unrolled: 1-line block ×4, first 2 shown]
	v_cmp_lt_u32_e64 s1, v53, v59
	s_and_b32 vcc_lo, exec_lo, s0
	s_mov_b32 s2, -1
	s_cbranch_vccz .LBB1593_450
; %bb.425:
	s_delay_alu instid0(VALU_DEP_1) | instskip(NEXT) | instid1(SALU_CYCLE_1)
	s_or_b32 s2, s20, s1
	s_and_saveexec_b32 s1, s2
	s_cbranch_execz .LBB1593_428
; %bb.426:
	v_and_b32_e32 v40, 1, v33
	s_delay_alu instid0(VALU_DEP_1)
	v_cmp_eq_u32_e32 vcc_lo, 1, v40
	s_and_b32 exec_lo, exec_lo, vcc_lo
	s_cbranch_execz .LBB1593_428
; %bb.427:
	v_mov_b32_e32 v54, 0
	s_lshl_b64 s[2:3], s[12:13], 3
	s_waitcnt lgkmcnt(0)
	s_add_u32 s2, s4, s2
	s_addc_u32 s3, s5, s3
	v_lshlrev_b64 v[60:61], 3, v[53:54]
	s_delay_alu instid0(VALU_DEP_1) | instskip(NEXT) | instid1(VALU_DEP_2)
	v_add_co_u32 v60, vcc_lo, s2, v60
	v_add_co_ci_u32_e32 v61, vcc_lo, s3, v61, vcc_lo
	global_store_b64 v[60:61], v[29:30], off
.LBB1593_428:
	s_or_b32 exec_lo, exec_lo, s1
	v_cmp_lt_u32_e32 vcc_lo, v51, v59
	s_or_b32 s2, s20, vcc_lo
	s_delay_alu instid0(SALU_CYCLE_1)
	s_and_saveexec_b32 s1, s2
	s_cbranch_execz .LBB1593_431
; %bb.429:
	v_and_b32_e32 v40, 1, v58
	s_delay_alu instid0(VALU_DEP_1)
	v_cmp_eq_u32_e32 vcc_lo, 1, v40
	s_and_b32 exec_lo, exec_lo, vcc_lo
	s_cbranch_execz .LBB1593_431
; %bb.430:
	v_mov_b32_e32 v52, 0
	s_lshl_b64 s[2:3], s[12:13], 3
	s_waitcnt lgkmcnt(0)
	s_add_u32 s2, s4, s2
	s_addc_u32 s3, s5, s3
	v_lshlrev_b64 v[60:61], 3, v[51:52]
	s_delay_alu instid0(VALU_DEP_1) | instskip(NEXT) | instid1(VALU_DEP_2)
	v_add_co_u32 v60, vcc_lo, s2, v60
	v_add_co_ci_u32_e32 v61, vcc_lo, s3, v61, vcc_lo
	global_store_b64 v[60:61], v[31:32], off
.LBB1593_431:
	s_or_b32 exec_lo, exec_lo, s1
	v_cmp_lt_u32_e32 vcc_lo, v49, v59
	s_or_b32 s2, s20, vcc_lo
	s_delay_alu instid0(SALU_CYCLE_1)
	s_and_saveexec_b32 s1, s2
	s_cbranch_execz .LBB1593_434
; %bb.432:
	v_and_b32_e32 v40, 1, v57
	s_delay_alu instid0(VALU_DEP_1)
	v_cmp_eq_u32_e32 vcc_lo, 1, v40
	s_and_b32 exec_lo, exec_lo, vcc_lo
	s_cbranch_execz .LBB1593_434
; %bb.433:
	v_mov_b32_e32 v50, 0
	s_lshl_b64 s[2:3], s[12:13], 3
	s_waitcnt lgkmcnt(0)
	s_add_u32 s2, s4, s2
	s_addc_u32 s3, s5, s3
	v_lshlrev_b64 v[60:61], 3, v[49:50]
	s_delay_alu instid0(VALU_DEP_1) | instskip(NEXT) | instid1(VALU_DEP_2)
	v_add_co_u32 v60, vcc_lo, s2, v60
	v_add_co_ci_u32_e32 v61, vcc_lo, s3, v61, vcc_lo
	global_store_b64 v[60:61], v[25:26], off
.LBB1593_434:
	s_or_b32 exec_lo, exec_lo, s1
	v_cmp_lt_u32_e32 vcc_lo, v47, v59
	s_or_b32 s2, s20, vcc_lo
	s_delay_alu instid0(SALU_CYCLE_1)
	s_and_saveexec_b32 s1, s2
	s_cbranch_execz .LBB1593_437
; %bb.435:
	v_and_b32_e32 v40, 1, v37
	s_delay_alu instid0(VALU_DEP_1)
	v_cmp_eq_u32_e32 vcc_lo, 1, v40
	s_and_b32 exec_lo, exec_lo, vcc_lo
	s_cbranch_execz .LBB1593_437
; %bb.436:
	v_mov_b32_e32 v48, 0
	s_lshl_b64 s[2:3], s[12:13], 3
	s_waitcnt lgkmcnt(0)
	s_add_u32 s2, s4, s2
	s_addc_u32 s3, s5, s3
	v_lshlrev_b64 v[60:61], 3, v[47:48]
	s_delay_alu instid0(VALU_DEP_1) | instskip(NEXT) | instid1(VALU_DEP_2)
	v_add_co_u32 v60, vcc_lo, s2, v60
	v_add_co_ci_u32_e32 v61, vcc_lo, s3, v61, vcc_lo
	global_store_b64 v[60:61], v[27:28], off
.LBB1593_437:
	s_or_b32 exec_lo, exec_lo, s1
	v_cmp_lt_u32_e32 vcc_lo, v45, v59
	s_or_b32 s2, s20, vcc_lo
	s_delay_alu instid0(SALU_CYCLE_1)
	s_and_saveexec_b32 s1, s2
	s_cbranch_execz .LBB1593_440
; %bb.438:
	v_and_b32_e32 v40, 1, v34
	s_delay_alu instid0(VALU_DEP_1)
	v_cmp_eq_u32_e32 vcc_lo, 1, v40
	s_and_b32 exec_lo, exec_lo, vcc_lo
	s_cbranch_execz .LBB1593_440
; %bb.439:
	v_mov_b32_e32 v46, 0
	s_lshl_b64 s[2:3], s[12:13], 3
	s_waitcnt lgkmcnt(0)
	s_add_u32 s2, s4, s2
	s_addc_u32 s3, s5, s3
	v_lshlrev_b64 v[60:61], 3, v[45:46]
	s_delay_alu instid0(VALU_DEP_1) | instskip(NEXT) | instid1(VALU_DEP_2)
	v_add_co_u32 v60, vcc_lo, s2, v60
	v_add_co_ci_u32_e32 v61, vcc_lo, s3, v61, vcc_lo
	global_store_b64 v[60:61], v[21:22], off
.LBB1593_440:
	s_or_b32 exec_lo, exec_lo, s1
	v_cmp_lt_u32_e32 vcc_lo, v43, v59
	s_or_b32 s2, s20, vcc_lo
	s_delay_alu instid0(SALU_CYCLE_1)
	s_and_saveexec_b32 s1, s2
	s_cbranch_execz .LBB1593_443
; %bb.441:
	v_and_b32_e32 v40, 1, v38
	s_delay_alu instid0(VALU_DEP_1)
	v_cmp_eq_u32_e32 vcc_lo, 1, v40
	s_and_b32 exec_lo, exec_lo, vcc_lo
	s_cbranch_execz .LBB1593_443
; %bb.442:
	v_mov_b32_e32 v44, 0
	s_lshl_b64 s[2:3], s[12:13], 3
	s_waitcnt lgkmcnt(0)
	s_add_u32 s2, s4, s2
	s_addc_u32 s3, s5, s3
	v_lshlrev_b64 v[60:61], 3, v[43:44]
	s_delay_alu instid0(VALU_DEP_1) | instskip(NEXT) | instid1(VALU_DEP_2)
	v_add_co_u32 v60, vcc_lo, s2, v60
	v_add_co_ci_u32_e32 v61, vcc_lo, s3, v61, vcc_lo
	global_store_b64 v[60:61], v[23:24], off
.LBB1593_443:
	s_or_b32 exec_lo, exec_lo, s1
	v_cmp_lt_u32_e32 vcc_lo, v41, v59
	s_or_b32 s2, s20, vcc_lo
	s_delay_alu instid0(SALU_CYCLE_1)
	s_and_saveexec_b32 s1, s2
	s_cbranch_execz .LBB1593_446
; %bb.444:
	v_and_b32_e32 v40, 1, v36
	s_delay_alu instid0(VALU_DEP_1)
	v_cmp_eq_u32_e32 vcc_lo, 1, v40
	s_and_b32 exec_lo, exec_lo, vcc_lo
	s_cbranch_execz .LBB1593_446
; %bb.445:
	v_mov_b32_e32 v42, 0
	s_lshl_b64 s[2:3], s[12:13], 3
	s_waitcnt lgkmcnt(0)
	s_add_u32 s2, s4, s2
	s_addc_u32 s3, s5, s3
	v_lshlrev_b64 v[60:61], 3, v[41:42]
	s_delay_alu instid0(VALU_DEP_1) | instskip(NEXT) | instid1(VALU_DEP_2)
	v_add_co_u32 v60, vcc_lo, s2, v60
	v_add_co_ci_u32_e32 v61, vcc_lo, s3, v61, vcc_lo
	global_store_b64 v[60:61], v[17:18], off
.LBB1593_446:
	s_or_b32 exec_lo, exec_lo, s1
	v_cmp_lt_u32_e32 vcc_lo, v39, v59
	s_or_b32 s2, s20, vcc_lo
	s_delay_alu instid0(SALU_CYCLE_1)
	s_and_saveexec_b32 s1, s2
	s_cbranch_execz .LBB1593_449
; %bb.447:
	v_and_b32_e32 v40, 1, v56
	s_delay_alu instid0(VALU_DEP_1)
	v_cmp_eq_u32_e32 vcc_lo, 1, v40
	s_and_b32 exec_lo, exec_lo, vcc_lo
	s_cbranch_execz .LBB1593_449
; %bb.448:
	v_mov_b32_e32 v40, 0
	s_lshl_b64 s[2:3], s[12:13], 3
	s_waitcnt lgkmcnt(0)
	s_add_u32 s2, s4, s2
	s_addc_u32 s3, s5, s3
	v_lshlrev_b64 v[60:61], 3, v[39:40]
	s_delay_alu instid0(VALU_DEP_1) | instskip(NEXT) | instid1(VALU_DEP_2)
	v_add_co_u32 v60, vcc_lo, s2, v60
	v_add_co_ci_u32_e32 v61, vcc_lo, s3, v61, vcc_lo
	global_store_b64 v[60:61], v[19:20], off
.LBB1593_449:
	s_or_b32 exec_lo, exec_lo, s1
	s_mov_b32 s2, 0
.LBB1593_450:
	v_and_b32_e32 v33, 1, v33
	s_and_b32 vcc_lo, exec_lo, s2
	s_delay_alu instid0(VALU_DEP_1)
	v_cmp_eq_u32_e64 s1, 1, v33
	s_cbranch_vccz .LBB1593_471
; %bb.451:
	s_delay_alu instid0(VALU_DEP_1)
	s_and_saveexec_b32 s2, s1
	s_cbranch_execz .LBB1593_453
; %bb.452:
	v_subrev_nc_u32_e32 v40, s8, v53
	s_delay_alu instid0(VALU_DEP_1)
	v_lshlrev_b32_e32 v40, 3, v40
	ds_store_b64 v40, v[29:30]
.LBB1593_453:
	s_or_b32 exec_lo, exec_lo, s2
	v_and_b32_e32 v29, 1, v58
	s_mov_b32 s1, exec_lo
	s_delay_alu instid0(VALU_DEP_1)
	v_cmpx_eq_u32_e32 1, v29
	s_cbranch_execz .LBB1593_455
; %bb.454:
	v_subrev_nc_u32_e32 v29, s8, v51
	s_delay_alu instid0(VALU_DEP_1)
	v_lshlrev_b32_e32 v29, 3, v29
	ds_store_b64 v29, v[31:32]
.LBB1593_455:
	s_or_b32 exec_lo, exec_lo, s1
	v_and_b32_e32 v29, 1, v57
	s_mov_b32 s1, exec_lo
	s_delay_alu instid0(VALU_DEP_1)
	v_cmpx_eq_u32_e32 1, v29
	;; [unrolled: 12-line block ×7, first 2 shown]
	s_cbranch_execz .LBB1593_467
; %bb.466:
	v_subrev_nc_u32_e32 v17, s8, v39
	s_delay_alu instid0(VALU_DEP_1)
	v_lshlrev_b32_e32 v17, 3, v17
	ds_store_b64 v17, v[19:20]
.LBB1593_467:
	s_or_b32 exec_lo, exec_lo, s1
	s_delay_alu instid0(SALU_CYCLE_1)
	s_mov_b32 s2, exec_lo
	s_waitcnt lgkmcnt(0)
	s_waitcnt_vscnt null, 0x0
	s_barrier
	buffer_gl0_inv
	v_cmpx_lt_u32_e64 v0, v35
	s_cbranch_execz .LBB1593_470
; %bb.468:
	s_mov_b32 s9, 0
	s_lshl_b64 s[10:11], s[12:13], 3
	s_lshl_b64 s[18:19], s[8:9], 3
	v_dual_mov_b32 v19, v55 :: v_dual_mov_b32 v20, v0
	s_add_u32 s1, s10, s18
	s_addc_u32 s3, s11, s19
	s_add_u32 s1, s4, s1
	s_addc_u32 s3, s5, s3
	v_add_co_u32 v17, s1, s1, v55
	s_delay_alu instid0(VALU_DEP_1)
	v_add_co_ci_u32_e64 v18, null, s3, 0, s1
	.p2align	6
.LBB1593_469:                           ; =>This Inner Loop Header: Depth=1
	ds_load_b64 v[21:22], v19
	v_add_nc_u32_e32 v20, 0x200, v20
	v_add_nc_u32_e32 v19, 0x1000, v19
	s_delay_alu instid0(VALU_DEP_2) | instskip(SKIP_4) | instid1(VALU_DEP_1)
	v_cmp_ge_u32_e32 vcc_lo, v20, v35
	s_or_b32 s9, vcc_lo, s9
	s_waitcnt lgkmcnt(0)
	global_store_b64 v[17:18], v[21:22], off
	v_add_co_u32 v17, s1, 0x1000, v17
	v_add_co_ci_u32_e64 v18, s1, 0, v18, s1
	s_and_not1_b32 exec_lo, exec_lo, s9
	s_cbranch_execnz .LBB1593_469
.LBB1593_470:
	s_or_b32 exec_lo, exec_lo, s2
.LBB1593_471:
	s_delay_alu instid0(SALU_CYCLE_1)
	s_and_b32 vcc_lo, exec_lo, s0
	s_mov_b32 s0, -1
	s_waitcnt lgkmcnt(0)
	s_waitcnt_vscnt null, 0x0
	s_barrier
	buffer_gl0_inv
	s_cbranch_vccz .LBB1593_499
; %bb.472:
	v_cmp_lt_u32_e32 vcc_lo, v53, v59
	s_or_b32 s1, s20, vcc_lo
	s_delay_alu instid0(SALU_CYCLE_1)
	s_and_saveexec_b32 s0, s1
	s_cbranch_execz .LBB1593_475
; %bb.473:
	v_cmp_eq_u32_e32 vcc_lo, 1, v33
	s_and_b32 exec_lo, exec_lo, vcc_lo
	s_cbranch_execz .LBB1593_475
; %bb.474:
	v_mov_b32_e32 v54, 0
	s_lshl_b64 s[2:3], s[12:13], 3
	s_delay_alu instid0(SALU_CYCLE_1) | instskip(SKIP_1) | instid1(VALU_DEP_1)
	s_add_u32 s1, s6, s2
	s_addc_u32 s2, s7, s3
	v_lshlrev_b64 v[17:18], 3, v[53:54]
	s_delay_alu instid0(VALU_DEP_1) | instskip(NEXT) | instid1(VALU_DEP_2)
	v_add_co_u32 v17, vcc_lo, s1, v17
	v_add_co_ci_u32_e32 v18, vcc_lo, s2, v18, vcc_lo
	global_store_b64 v[17:18], v[13:14], off
.LBB1593_475:
	s_or_b32 exec_lo, exec_lo, s0
	v_cmp_lt_u32_e32 vcc_lo, v51, v59
	s_or_b32 s1, s20, vcc_lo
	s_delay_alu instid0(SALU_CYCLE_1)
	s_and_saveexec_b32 s0, s1
	s_cbranch_execz .LBB1593_478
; %bb.476:
	v_and_b32_e32 v17, 1, v58
	s_delay_alu instid0(VALU_DEP_1)
	v_cmp_eq_u32_e32 vcc_lo, 1, v17
	s_and_b32 exec_lo, exec_lo, vcc_lo
	s_cbranch_execz .LBB1593_478
; %bb.477:
	v_mov_b32_e32 v52, 0
	s_lshl_b64 s[2:3], s[12:13], 3
	s_delay_alu instid0(SALU_CYCLE_1) | instskip(SKIP_1) | instid1(VALU_DEP_1)
	s_add_u32 s1, s6, s2
	s_addc_u32 s2, s7, s3
	v_lshlrev_b64 v[17:18], 3, v[51:52]
	s_delay_alu instid0(VALU_DEP_1) | instskip(NEXT) | instid1(VALU_DEP_2)
	v_add_co_u32 v17, vcc_lo, s1, v17
	v_add_co_ci_u32_e32 v18, vcc_lo, s2, v18, vcc_lo
	global_store_b64 v[17:18], v[15:16], off
.LBB1593_478:
	s_or_b32 exec_lo, exec_lo, s0
	v_cmp_lt_u32_e32 vcc_lo, v49, v59
	s_or_b32 s1, s20, vcc_lo
	s_delay_alu instid0(SALU_CYCLE_1)
	s_and_saveexec_b32 s0, s1
	s_cbranch_execz .LBB1593_481
; %bb.479:
	v_and_b32_e32 v17, 1, v57
	s_delay_alu instid0(VALU_DEP_1)
	v_cmp_eq_u32_e32 vcc_lo, 1, v17
	s_and_b32 exec_lo, exec_lo, vcc_lo
	s_cbranch_execz .LBB1593_481
; %bb.480:
	v_mov_b32_e32 v50, 0
	s_lshl_b64 s[2:3], s[12:13], 3
	s_delay_alu instid0(SALU_CYCLE_1) | instskip(SKIP_1) | instid1(VALU_DEP_1)
	s_add_u32 s1, s6, s2
	s_addc_u32 s2, s7, s3
	v_lshlrev_b64 v[17:18], 3, v[49:50]
	s_delay_alu instid0(VALU_DEP_1) | instskip(NEXT) | instid1(VALU_DEP_2)
	v_add_co_u32 v17, vcc_lo, s1, v17
	v_add_co_ci_u32_e32 v18, vcc_lo, s2, v18, vcc_lo
	global_store_b64 v[17:18], v[9:10], off
.LBB1593_481:
	;; [unrolled: 24-line block ×7, first 2 shown]
	s_or_b32 exec_lo, exec_lo, s0
.LBB1593_497:
	v_cmp_eq_u32_e32 vcc_lo, 0, v0
	s_and_b32 s0, vcc_lo, s14
	s_delay_alu instid0(SALU_CYCLE_1)
	s_and_saveexec_b32 s1, s0
	s_cbranch_execz .LBB1593_520
.LBB1593_498:
	v_add_co_u32 v0, s0, s12, v35
	s_delay_alu instid0(VALU_DEP_1) | instskip(SKIP_1) | instid1(VALU_DEP_3)
	v_add_co_ci_u32_e64 v1, null, s13, 0, s0
	v_mov_b32_e32 v2, 0
	v_add_co_u32 v0, vcc_lo, v0, s8
	s_delay_alu instid0(VALU_DEP_3)
	v_add_co_ci_u32_e32 v1, vcc_lo, 0, v1, vcc_lo
	global_store_b64 v2, v[0:1], s[16:17]
	s_nop 0
	s_sendmsg sendmsg(MSG_DEALLOC_VGPRS)
	s_endpgm
.LBB1593_499:
	s_and_b32 vcc_lo, exec_lo, s0
	s_cbranch_vccz .LBB1593_497
; %bb.500:
	s_mov_b32 s0, exec_lo
	v_cmpx_eq_u32_e32 1, v33
	s_cbranch_execz .LBB1593_502
; %bb.501:
	v_subrev_nc_u32_e32 v17, s8, v53
	s_delay_alu instid0(VALU_DEP_1)
	v_lshlrev_b32_e32 v17, 3, v17
	ds_store_b64 v17, v[13:14]
.LBB1593_502:
	s_or_b32 exec_lo, exec_lo, s0
	v_and_b32_e32 v13, 1, v58
	s_mov_b32 s0, exec_lo
	s_delay_alu instid0(VALU_DEP_1)
	v_cmpx_eq_u32_e32 1, v13
	s_cbranch_execz .LBB1593_504
; %bb.503:
	v_subrev_nc_u32_e32 v13, s8, v51
	s_delay_alu instid0(VALU_DEP_1)
	v_lshlrev_b32_e32 v13, 3, v13
	ds_store_b64 v13, v[15:16]
.LBB1593_504:
	s_or_b32 exec_lo, exec_lo, s0
	v_and_b32_e32 v13, 1, v57
	s_mov_b32 s0, exec_lo
	s_delay_alu instid0(VALU_DEP_1)
	;; [unrolled: 12-line block ×7, first 2 shown]
	v_cmpx_eq_u32_e32 1, v1
	s_cbranch_execz .LBB1593_516
; %bb.515:
	v_subrev_nc_u32_e32 v1, s8, v39
	s_delay_alu instid0(VALU_DEP_1)
	v_lshlrev_b32_e32 v1, 3, v1
	ds_store_b64 v1, v[3:4]
.LBB1593_516:
	s_or_b32 exec_lo, exec_lo, s0
	s_delay_alu instid0(SALU_CYCLE_1)
	s_mov_b32 s1, exec_lo
	s_waitcnt lgkmcnt(0)
	s_waitcnt_vscnt null, 0x0
	s_barrier
	buffer_gl0_inv
	v_cmpx_lt_u32_e64 v0, v35
	s_cbranch_execz .LBB1593_519
; %bb.517:
	s_mov_b32 s9, 0
	s_lshl_b64 s[2:3], s[12:13], 3
	s_lshl_b64 s[4:5], s[8:9], 3
	v_mov_b32_e32 v3, v0
	s_add_u32 s0, s2, s4
	s_addc_u32 s2, s3, s5
	s_add_u32 s0, s6, s0
	s_addc_u32 s2, s7, s2
	v_add_co_u32 v1, s0, s0, v55
	s_delay_alu instid0(VALU_DEP_1)
	v_add_co_ci_u32_e64 v2, null, s2, 0, s0
	.p2align	6
.LBB1593_518:                           ; =>This Inner Loop Header: Depth=1
	ds_load_b64 v[4:5], v55
	v_add_nc_u32_e32 v3, 0x200, v3
	v_add_nc_u32_e32 v55, 0x1000, v55
	s_delay_alu instid0(VALU_DEP_2) | instskip(SKIP_4) | instid1(VALU_DEP_1)
	v_cmp_ge_u32_e32 vcc_lo, v3, v35
	s_or_b32 s9, vcc_lo, s9
	s_waitcnt lgkmcnt(0)
	global_store_b64 v[1:2], v[4:5], off
	v_add_co_u32 v1, s0, 0x1000, v1
	v_add_co_ci_u32_e64 v2, s0, 0, v2, s0
	s_and_not1_b32 exec_lo, exec_lo, s9
	s_cbranch_execnz .LBB1593_518
.LBB1593_519:
	s_or_b32 exec_lo, exec_lo, s1
	v_cmp_eq_u32_e32 vcc_lo, 0, v0
	s_and_b32 s0, vcc_lo, s14
	s_delay_alu instid0(SALU_CYCLE_1)
	s_and_saveexec_b32 s1, s0
	s_cbranch_execnz .LBB1593_498
.LBB1593_520:
	s_nop 0
	s_sendmsg sendmsg(MSG_DEALLOC_VGPRS)
	s_endpgm
	.section	.rodata,"a",@progbits
	.p2align	6, 0x0
	.amdhsa_kernel _ZN7rocprim17ROCPRIM_400000_NS6detail17trampoline_kernelINS0_14default_configENS1_25partition_config_selectorILNS1_17partition_subalgoE9EllbEEZZNS1_14partition_implILS5_9ELb0ES3_jPlS8_PNS0_10empty_typeENS0_5tupleIJS8_S9_EEENSB_IJS8_SA_EEENS0_18inequality_wrapperIZN2at6native12_GLOBAL__N_124unique_dim_cuda_templateIjEESt5tupleIJNSF_6TensorESK_SK_EERKSK_lbbbEUlllE0_EEPmJS9_EEE10hipError_tPvRmT3_T4_T5_T6_T7_T9_mT8_P12ihipStream_tbDpT10_ENKUlT_T0_E_clISt17integral_constantIbLb1EES19_IbLb0EEEEDaS15_S16_EUlS15_E_NS1_11comp_targetILNS1_3genE9ELNS1_11target_archE1100ELNS1_3gpuE3ELNS1_3repE0EEENS1_30default_config_static_selectorELNS0_4arch9wavefront6targetE0EEEvT1_
		.amdhsa_group_segment_fixed_size 33804
		.amdhsa_private_segment_fixed_size 0
		.amdhsa_kernarg_size 120
		.amdhsa_user_sgpr_count 15
		.amdhsa_user_sgpr_dispatch_ptr 0
		.amdhsa_user_sgpr_queue_ptr 0
		.amdhsa_user_sgpr_kernarg_segment_ptr 1
		.amdhsa_user_sgpr_dispatch_id 0
		.amdhsa_user_sgpr_private_segment_size 0
		.amdhsa_wavefront_size32 1
		.amdhsa_uses_dynamic_stack 0
		.amdhsa_enable_private_segment 0
		.amdhsa_system_sgpr_workgroup_id_x 1
		.amdhsa_system_sgpr_workgroup_id_y 0
		.amdhsa_system_sgpr_workgroup_id_z 0
		.amdhsa_system_sgpr_workgroup_info 0
		.amdhsa_system_vgpr_workitem_id 0
		.amdhsa_next_free_vgpr 68
		.amdhsa_next_free_sgpr 36
		.amdhsa_reserve_vcc 1
		.amdhsa_float_round_mode_32 0
		.amdhsa_float_round_mode_16_64 0
		.amdhsa_float_denorm_mode_32 3
		.amdhsa_float_denorm_mode_16_64 3
		.amdhsa_dx10_clamp 1
		.amdhsa_ieee_mode 1
		.amdhsa_fp16_overflow 0
		.amdhsa_workgroup_processor_mode 1
		.amdhsa_memory_ordered 1
		.amdhsa_forward_progress 0
		.amdhsa_shared_vgpr_count 0
		.amdhsa_exception_fp_ieee_invalid_op 0
		.amdhsa_exception_fp_denorm_src 0
		.amdhsa_exception_fp_ieee_div_zero 0
		.amdhsa_exception_fp_ieee_overflow 0
		.amdhsa_exception_fp_ieee_underflow 0
		.amdhsa_exception_fp_ieee_inexact 0
		.amdhsa_exception_int_div_zero 0
	.end_amdhsa_kernel
	.section	.text._ZN7rocprim17ROCPRIM_400000_NS6detail17trampoline_kernelINS0_14default_configENS1_25partition_config_selectorILNS1_17partition_subalgoE9EllbEEZZNS1_14partition_implILS5_9ELb0ES3_jPlS8_PNS0_10empty_typeENS0_5tupleIJS8_S9_EEENSB_IJS8_SA_EEENS0_18inequality_wrapperIZN2at6native12_GLOBAL__N_124unique_dim_cuda_templateIjEESt5tupleIJNSF_6TensorESK_SK_EERKSK_lbbbEUlllE0_EEPmJS9_EEE10hipError_tPvRmT3_T4_T5_T6_T7_T9_mT8_P12ihipStream_tbDpT10_ENKUlT_T0_E_clISt17integral_constantIbLb1EES19_IbLb0EEEEDaS15_S16_EUlS15_E_NS1_11comp_targetILNS1_3genE9ELNS1_11target_archE1100ELNS1_3gpuE3ELNS1_3repE0EEENS1_30default_config_static_selectorELNS0_4arch9wavefront6targetE0EEEvT1_,"axG",@progbits,_ZN7rocprim17ROCPRIM_400000_NS6detail17trampoline_kernelINS0_14default_configENS1_25partition_config_selectorILNS1_17partition_subalgoE9EllbEEZZNS1_14partition_implILS5_9ELb0ES3_jPlS8_PNS0_10empty_typeENS0_5tupleIJS8_S9_EEENSB_IJS8_SA_EEENS0_18inequality_wrapperIZN2at6native12_GLOBAL__N_124unique_dim_cuda_templateIjEESt5tupleIJNSF_6TensorESK_SK_EERKSK_lbbbEUlllE0_EEPmJS9_EEE10hipError_tPvRmT3_T4_T5_T6_T7_T9_mT8_P12ihipStream_tbDpT10_ENKUlT_T0_E_clISt17integral_constantIbLb1EES19_IbLb0EEEEDaS15_S16_EUlS15_E_NS1_11comp_targetILNS1_3genE9ELNS1_11target_archE1100ELNS1_3gpuE3ELNS1_3repE0EEENS1_30default_config_static_selectorELNS0_4arch9wavefront6targetE0EEEvT1_,comdat
.Lfunc_end1593:
	.size	_ZN7rocprim17ROCPRIM_400000_NS6detail17trampoline_kernelINS0_14default_configENS1_25partition_config_selectorILNS1_17partition_subalgoE9EllbEEZZNS1_14partition_implILS5_9ELb0ES3_jPlS8_PNS0_10empty_typeENS0_5tupleIJS8_S9_EEENSB_IJS8_SA_EEENS0_18inequality_wrapperIZN2at6native12_GLOBAL__N_124unique_dim_cuda_templateIjEESt5tupleIJNSF_6TensorESK_SK_EERKSK_lbbbEUlllE0_EEPmJS9_EEE10hipError_tPvRmT3_T4_T5_T6_T7_T9_mT8_P12ihipStream_tbDpT10_ENKUlT_T0_E_clISt17integral_constantIbLb1EES19_IbLb0EEEEDaS15_S16_EUlS15_E_NS1_11comp_targetILNS1_3genE9ELNS1_11target_archE1100ELNS1_3gpuE3ELNS1_3repE0EEENS1_30default_config_static_selectorELNS0_4arch9wavefront6targetE0EEEvT1_, .Lfunc_end1593-_ZN7rocprim17ROCPRIM_400000_NS6detail17trampoline_kernelINS0_14default_configENS1_25partition_config_selectorILNS1_17partition_subalgoE9EllbEEZZNS1_14partition_implILS5_9ELb0ES3_jPlS8_PNS0_10empty_typeENS0_5tupleIJS8_S9_EEENSB_IJS8_SA_EEENS0_18inequality_wrapperIZN2at6native12_GLOBAL__N_124unique_dim_cuda_templateIjEESt5tupleIJNSF_6TensorESK_SK_EERKSK_lbbbEUlllE0_EEPmJS9_EEE10hipError_tPvRmT3_T4_T5_T6_T7_T9_mT8_P12ihipStream_tbDpT10_ENKUlT_T0_E_clISt17integral_constantIbLb1EES19_IbLb0EEEEDaS15_S16_EUlS15_E_NS1_11comp_targetILNS1_3genE9ELNS1_11target_archE1100ELNS1_3gpuE3ELNS1_3repE0EEENS1_30default_config_static_selectorELNS0_4arch9wavefront6targetE0EEEvT1_
                                        ; -- End function
	.section	.AMDGPU.csdata,"",@progbits
; Kernel info:
; codeLenInByte = 20588
; NumSgprs: 38
; NumVgprs: 68
; ScratchSize: 0
; MemoryBound: 0
; FloatMode: 240
; IeeeMode: 1
; LDSByteSize: 33804 bytes/workgroup (compile time only)
; SGPRBlocks: 4
; VGPRBlocks: 8
; NumSGPRsForWavesPerEU: 38
; NumVGPRsForWavesPerEU: 68
; Occupancy: 12
; WaveLimiterHint : 1
; COMPUTE_PGM_RSRC2:SCRATCH_EN: 0
; COMPUTE_PGM_RSRC2:USER_SGPR: 15
; COMPUTE_PGM_RSRC2:TRAP_HANDLER: 0
; COMPUTE_PGM_RSRC2:TGID_X_EN: 1
; COMPUTE_PGM_RSRC2:TGID_Y_EN: 0
; COMPUTE_PGM_RSRC2:TGID_Z_EN: 0
; COMPUTE_PGM_RSRC2:TIDIG_COMP_CNT: 0
	.section	.text._ZN7rocprim17ROCPRIM_400000_NS6detail17trampoline_kernelINS0_14default_configENS1_25partition_config_selectorILNS1_17partition_subalgoE9EllbEEZZNS1_14partition_implILS5_9ELb0ES3_jPlS8_PNS0_10empty_typeENS0_5tupleIJS8_S9_EEENSB_IJS8_SA_EEENS0_18inequality_wrapperIZN2at6native12_GLOBAL__N_124unique_dim_cuda_templateIjEESt5tupleIJNSF_6TensorESK_SK_EERKSK_lbbbEUlllE0_EEPmJS9_EEE10hipError_tPvRmT3_T4_T5_T6_T7_T9_mT8_P12ihipStream_tbDpT10_ENKUlT_T0_E_clISt17integral_constantIbLb1EES19_IbLb0EEEEDaS15_S16_EUlS15_E_NS1_11comp_targetILNS1_3genE8ELNS1_11target_archE1030ELNS1_3gpuE2ELNS1_3repE0EEENS1_30default_config_static_selectorELNS0_4arch9wavefront6targetE0EEEvT1_,"axG",@progbits,_ZN7rocprim17ROCPRIM_400000_NS6detail17trampoline_kernelINS0_14default_configENS1_25partition_config_selectorILNS1_17partition_subalgoE9EllbEEZZNS1_14partition_implILS5_9ELb0ES3_jPlS8_PNS0_10empty_typeENS0_5tupleIJS8_S9_EEENSB_IJS8_SA_EEENS0_18inequality_wrapperIZN2at6native12_GLOBAL__N_124unique_dim_cuda_templateIjEESt5tupleIJNSF_6TensorESK_SK_EERKSK_lbbbEUlllE0_EEPmJS9_EEE10hipError_tPvRmT3_T4_T5_T6_T7_T9_mT8_P12ihipStream_tbDpT10_ENKUlT_T0_E_clISt17integral_constantIbLb1EES19_IbLb0EEEEDaS15_S16_EUlS15_E_NS1_11comp_targetILNS1_3genE8ELNS1_11target_archE1030ELNS1_3gpuE2ELNS1_3repE0EEENS1_30default_config_static_selectorELNS0_4arch9wavefront6targetE0EEEvT1_,comdat
	.globl	_ZN7rocprim17ROCPRIM_400000_NS6detail17trampoline_kernelINS0_14default_configENS1_25partition_config_selectorILNS1_17partition_subalgoE9EllbEEZZNS1_14partition_implILS5_9ELb0ES3_jPlS8_PNS0_10empty_typeENS0_5tupleIJS8_S9_EEENSB_IJS8_SA_EEENS0_18inequality_wrapperIZN2at6native12_GLOBAL__N_124unique_dim_cuda_templateIjEESt5tupleIJNSF_6TensorESK_SK_EERKSK_lbbbEUlllE0_EEPmJS9_EEE10hipError_tPvRmT3_T4_T5_T6_T7_T9_mT8_P12ihipStream_tbDpT10_ENKUlT_T0_E_clISt17integral_constantIbLb1EES19_IbLb0EEEEDaS15_S16_EUlS15_E_NS1_11comp_targetILNS1_3genE8ELNS1_11target_archE1030ELNS1_3gpuE2ELNS1_3repE0EEENS1_30default_config_static_selectorELNS0_4arch9wavefront6targetE0EEEvT1_ ; -- Begin function _ZN7rocprim17ROCPRIM_400000_NS6detail17trampoline_kernelINS0_14default_configENS1_25partition_config_selectorILNS1_17partition_subalgoE9EllbEEZZNS1_14partition_implILS5_9ELb0ES3_jPlS8_PNS0_10empty_typeENS0_5tupleIJS8_S9_EEENSB_IJS8_SA_EEENS0_18inequality_wrapperIZN2at6native12_GLOBAL__N_124unique_dim_cuda_templateIjEESt5tupleIJNSF_6TensorESK_SK_EERKSK_lbbbEUlllE0_EEPmJS9_EEE10hipError_tPvRmT3_T4_T5_T6_T7_T9_mT8_P12ihipStream_tbDpT10_ENKUlT_T0_E_clISt17integral_constantIbLb1EES19_IbLb0EEEEDaS15_S16_EUlS15_E_NS1_11comp_targetILNS1_3genE8ELNS1_11target_archE1030ELNS1_3gpuE2ELNS1_3repE0EEENS1_30default_config_static_selectorELNS0_4arch9wavefront6targetE0EEEvT1_
	.p2align	8
	.type	_ZN7rocprim17ROCPRIM_400000_NS6detail17trampoline_kernelINS0_14default_configENS1_25partition_config_selectorILNS1_17partition_subalgoE9EllbEEZZNS1_14partition_implILS5_9ELb0ES3_jPlS8_PNS0_10empty_typeENS0_5tupleIJS8_S9_EEENSB_IJS8_SA_EEENS0_18inequality_wrapperIZN2at6native12_GLOBAL__N_124unique_dim_cuda_templateIjEESt5tupleIJNSF_6TensorESK_SK_EERKSK_lbbbEUlllE0_EEPmJS9_EEE10hipError_tPvRmT3_T4_T5_T6_T7_T9_mT8_P12ihipStream_tbDpT10_ENKUlT_T0_E_clISt17integral_constantIbLb1EES19_IbLb0EEEEDaS15_S16_EUlS15_E_NS1_11comp_targetILNS1_3genE8ELNS1_11target_archE1030ELNS1_3gpuE2ELNS1_3repE0EEENS1_30default_config_static_selectorELNS0_4arch9wavefront6targetE0EEEvT1_,@function
_ZN7rocprim17ROCPRIM_400000_NS6detail17trampoline_kernelINS0_14default_configENS1_25partition_config_selectorILNS1_17partition_subalgoE9EllbEEZZNS1_14partition_implILS5_9ELb0ES3_jPlS8_PNS0_10empty_typeENS0_5tupleIJS8_S9_EEENSB_IJS8_SA_EEENS0_18inequality_wrapperIZN2at6native12_GLOBAL__N_124unique_dim_cuda_templateIjEESt5tupleIJNSF_6TensorESK_SK_EERKSK_lbbbEUlllE0_EEPmJS9_EEE10hipError_tPvRmT3_T4_T5_T6_T7_T9_mT8_P12ihipStream_tbDpT10_ENKUlT_T0_E_clISt17integral_constantIbLb1EES19_IbLb0EEEEDaS15_S16_EUlS15_E_NS1_11comp_targetILNS1_3genE8ELNS1_11target_archE1030ELNS1_3gpuE2ELNS1_3repE0EEENS1_30default_config_static_selectorELNS0_4arch9wavefront6targetE0EEEvT1_: ; @_ZN7rocprim17ROCPRIM_400000_NS6detail17trampoline_kernelINS0_14default_configENS1_25partition_config_selectorILNS1_17partition_subalgoE9EllbEEZZNS1_14partition_implILS5_9ELb0ES3_jPlS8_PNS0_10empty_typeENS0_5tupleIJS8_S9_EEENSB_IJS8_SA_EEENS0_18inequality_wrapperIZN2at6native12_GLOBAL__N_124unique_dim_cuda_templateIjEESt5tupleIJNSF_6TensorESK_SK_EERKSK_lbbbEUlllE0_EEPmJS9_EEE10hipError_tPvRmT3_T4_T5_T6_T7_T9_mT8_P12ihipStream_tbDpT10_ENKUlT_T0_E_clISt17integral_constantIbLb1EES19_IbLb0EEEEDaS15_S16_EUlS15_E_NS1_11comp_targetILNS1_3genE8ELNS1_11target_archE1030ELNS1_3gpuE2ELNS1_3repE0EEENS1_30default_config_static_selectorELNS0_4arch9wavefront6targetE0EEEvT1_
; %bb.0:
	.section	.rodata,"a",@progbits
	.p2align	6, 0x0
	.amdhsa_kernel _ZN7rocprim17ROCPRIM_400000_NS6detail17trampoline_kernelINS0_14default_configENS1_25partition_config_selectorILNS1_17partition_subalgoE9EllbEEZZNS1_14partition_implILS5_9ELb0ES3_jPlS8_PNS0_10empty_typeENS0_5tupleIJS8_S9_EEENSB_IJS8_SA_EEENS0_18inequality_wrapperIZN2at6native12_GLOBAL__N_124unique_dim_cuda_templateIjEESt5tupleIJNSF_6TensorESK_SK_EERKSK_lbbbEUlllE0_EEPmJS9_EEE10hipError_tPvRmT3_T4_T5_T6_T7_T9_mT8_P12ihipStream_tbDpT10_ENKUlT_T0_E_clISt17integral_constantIbLb1EES19_IbLb0EEEEDaS15_S16_EUlS15_E_NS1_11comp_targetILNS1_3genE8ELNS1_11target_archE1030ELNS1_3gpuE2ELNS1_3repE0EEENS1_30default_config_static_selectorELNS0_4arch9wavefront6targetE0EEEvT1_
		.amdhsa_group_segment_fixed_size 0
		.amdhsa_private_segment_fixed_size 0
		.amdhsa_kernarg_size 120
		.amdhsa_user_sgpr_count 15
		.amdhsa_user_sgpr_dispatch_ptr 0
		.amdhsa_user_sgpr_queue_ptr 0
		.amdhsa_user_sgpr_kernarg_segment_ptr 1
		.amdhsa_user_sgpr_dispatch_id 0
		.amdhsa_user_sgpr_private_segment_size 0
		.amdhsa_wavefront_size32 1
		.amdhsa_uses_dynamic_stack 0
		.amdhsa_enable_private_segment 0
		.amdhsa_system_sgpr_workgroup_id_x 1
		.amdhsa_system_sgpr_workgroup_id_y 0
		.amdhsa_system_sgpr_workgroup_id_z 0
		.amdhsa_system_sgpr_workgroup_info 0
		.amdhsa_system_vgpr_workitem_id 0
		.amdhsa_next_free_vgpr 1
		.amdhsa_next_free_sgpr 1
		.amdhsa_reserve_vcc 0
		.amdhsa_float_round_mode_32 0
		.amdhsa_float_round_mode_16_64 0
		.amdhsa_float_denorm_mode_32 3
		.amdhsa_float_denorm_mode_16_64 3
		.amdhsa_dx10_clamp 1
		.amdhsa_ieee_mode 1
		.amdhsa_fp16_overflow 0
		.amdhsa_workgroup_processor_mode 1
		.amdhsa_memory_ordered 1
		.amdhsa_forward_progress 0
		.amdhsa_shared_vgpr_count 0
		.amdhsa_exception_fp_ieee_invalid_op 0
		.amdhsa_exception_fp_denorm_src 0
		.amdhsa_exception_fp_ieee_div_zero 0
		.amdhsa_exception_fp_ieee_overflow 0
		.amdhsa_exception_fp_ieee_underflow 0
		.amdhsa_exception_fp_ieee_inexact 0
		.amdhsa_exception_int_div_zero 0
	.end_amdhsa_kernel
	.section	.text._ZN7rocprim17ROCPRIM_400000_NS6detail17trampoline_kernelINS0_14default_configENS1_25partition_config_selectorILNS1_17partition_subalgoE9EllbEEZZNS1_14partition_implILS5_9ELb0ES3_jPlS8_PNS0_10empty_typeENS0_5tupleIJS8_S9_EEENSB_IJS8_SA_EEENS0_18inequality_wrapperIZN2at6native12_GLOBAL__N_124unique_dim_cuda_templateIjEESt5tupleIJNSF_6TensorESK_SK_EERKSK_lbbbEUlllE0_EEPmJS9_EEE10hipError_tPvRmT3_T4_T5_T6_T7_T9_mT8_P12ihipStream_tbDpT10_ENKUlT_T0_E_clISt17integral_constantIbLb1EES19_IbLb0EEEEDaS15_S16_EUlS15_E_NS1_11comp_targetILNS1_3genE8ELNS1_11target_archE1030ELNS1_3gpuE2ELNS1_3repE0EEENS1_30default_config_static_selectorELNS0_4arch9wavefront6targetE0EEEvT1_,"axG",@progbits,_ZN7rocprim17ROCPRIM_400000_NS6detail17trampoline_kernelINS0_14default_configENS1_25partition_config_selectorILNS1_17partition_subalgoE9EllbEEZZNS1_14partition_implILS5_9ELb0ES3_jPlS8_PNS0_10empty_typeENS0_5tupleIJS8_S9_EEENSB_IJS8_SA_EEENS0_18inequality_wrapperIZN2at6native12_GLOBAL__N_124unique_dim_cuda_templateIjEESt5tupleIJNSF_6TensorESK_SK_EERKSK_lbbbEUlllE0_EEPmJS9_EEE10hipError_tPvRmT3_T4_T5_T6_T7_T9_mT8_P12ihipStream_tbDpT10_ENKUlT_T0_E_clISt17integral_constantIbLb1EES19_IbLb0EEEEDaS15_S16_EUlS15_E_NS1_11comp_targetILNS1_3genE8ELNS1_11target_archE1030ELNS1_3gpuE2ELNS1_3repE0EEENS1_30default_config_static_selectorELNS0_4arch9wavefront6targetE0EEEvT1_,comdat
.Lfunc_end1594:
	.size	_ZN7rocprim17ROCPRIM_400000_NS6detail17trampoline_kernelINS0_14default_configENS1_25partition_config_selectorILNS1_17partition_subalgoE9EllbEEZZNS1_14partition_implILS5_9ELb0ES3_jPlS8_PNS0_10empty_typeENS0_5tupleIJS8_S9_EEENSB_IJS8_SA_EEENS0_18inequality_wrapperIZN2at6native12_GLOBAL__N_124unique_dim_cuda_templateIjEESt5tupleIJNSF_6TensorESK_SK_EERKSK_lbbbEUlllE0_EEPmJS9_EEE10hipError_tPvRmT3_T4_T5_T6_T7_T9_mT8_P12ihipStream_tbDpT10_ENKUlT_T0_E_clISt17integral_constantIbLb1EES19_IbLb0EEEEDaS15_S16_EUlS15_E_NS1_11comp_targetILNS1_3genE8ELNS1_11target_archE1030ELNS1_3gpuE2ELNS1_3repE0EEENS1_30default_config_static_selectorELNS0_4arch9wavefront6targetE0EEEvT1_, .Lfunc_end1594-_ZN7rocprim17ROCPRIM_400000_NS6detail17trampoline_kernelINS0_14default_configENS1_25partition_config_selectorILNS1_17partition_subalgoE9EllbEEZZNS1_14partition_implILS5_9ELb0ES3_jPlS8_PNS0_10empty_typeENS0_5tupleIJS8_S9_EEENSB_IJS8_SA_EEENS0_18inequality_wrapperIZN2at6native12_GLOBAL__N_124unique_dim_cuda_templateIjEESt5tupleIJNSF_6TensorESK_SK_EERKSK_lbbbEUlllE0_EEPmJS9_EEE10hipError_tPvRmT3_T4_T5_T6_T7_T9_mT8_P12ihipStream_tbDpT10_ENKUlT_T0_E_clISt17integral_constantIbLb1EES19_IbLb0EEEEDaS15_S16_EUlS15_E_NS1_11comp_targetILNS1_3genE8ELNS1_11target_archE1030ELNS1_3gpuE2ELNS1_3repE0EEENS1_30default_config_static_selectorELNS0_4arch9wavefront6targetE0EEEvT1_
                                        ; -- End function
	.section	.AMDGPU.csdata,"",@progbits
; Kernel info:
; codeLenInByte = 0
; NumSgprs: 0
; NumVgprs: 0
; ScratchSize: 0
; MemoryBound: 0
; FloatMode: 240
; IeeeMode: 1
; LDSByteSize: 0 bytes/workgroup (compile time only)
; SGPRBlocks: 0
; VGPRBlocks: 0
; NumSGPRsForWavesPerEU: 1
; NumVGPRsForWavesPerEU: 1
; Occupancy: 16
; WaveLimiterHint : 0
; COMPUTE_PGM_RSRC2:SCRATCH_EN: 0
; COMPUTE_PGM_RSRC2:USER_SGPR: 15
; COMPUTE_PGM_RSRC2:TRAP_HANDLER: 0
; COMPUTE_PGM_RSRC2:TGID_X_EN: 1
; COMPUTE_PGM_RSRC2:TGID_Y_EN: 0
; COMPUTE_PGM_RSRC2:TGID_Z_EN: 0
; COMPUTE_PGM_RSRC2:TIDIG_COMP_CNT: 0
	.section	.text._ZN7rocprim17ROCPRIM_400000_NS6detail17trampoline_kernelINS0_14default_configENS1_25partition_config_selectorILNS1_17partition_subalgoE9EllbEEZZNS1_14partition_implILS5_9ELb0ES3_jPlS8_PNS0_10empty_typeENS0_5tupleIJS8_S9_EEENSB_IJS8_SA_EEENS0_18inequality_wrapperIZN2at6native12_GLOBAL__N_124unique_dim_cuda_templateIjEESt5tupleIJNSF_6TensorESK_SK_EERKSK_lbbbEUlllE0_EEPmJS9_EEE10hipError_tPvRmT3_T4_T5_T6_T7_T9_mT8_P12ihipStream_tbDpT10_ENKUlT_T0_E_clISt17integral_constantIbLb0EES19_IbLb1EEEEDaS15_S16_EUlS15_E_NS1_11comp_targetILNS1_3genE0ELNS1_11target_archE4294967295ELNS1_3gpuE0ELNS1_3repE0EEENS1_30default_config_static_selectorELNS0_4arch9wavefront6targetE0EEEvT1_,"axG",@progbits,_ZN7rocprim17ROCPRIM_400000_NS6detail17trampoline_kernelINS0_14default_configENS1_25partition_config_selectorILNS1_17partition_subalgoE9EllbEEZZNS1_14partition_implILS5_9ELb0ES3_jPlS8_PNS0_10empty_typeENS0_5tupleIJS8_S9_EEENSB_IJS8_SA_EEENS0_18inequality_wrapperIZN2at6native12_GLOBAL__N_124unique_dim_cuda_templateIjEESt5tupleIJNSF_6TensorESK_SK_EERKSK_lbbbEUlllE0_EEPmJS9_EEE10hipError_tPvRmT3_T4_T5_T6_T7_T9_mT8_P12ihipStream_tbDpT10_ENKUlT_T0_E_clISt17integral_constantIbLb0EES19_IbLb1EEEEDaS15_S16_EUlS15_E_NS1_11comp_targetILNS1_3genE0ELNS1_11target_archE4294967295ELNS1_3gpuE0ELNS1_3repE0EEENS1_30default_config_static_selectorELNS0_4arch9wavefront6targetE0EEEvT1_,comdat
	.globl	_ZN7rocprim17ROCPRIM_400000_NS6detail17trampoline_kernelINS0_14default_configENS1_25partition_config_selectorILNS1_17partition_subalgoE9EllbEEZZNS1_14partition_implILS5_9ELb0ES3_jPlS8_PNS0_10empty_typeENS0_5tupleIJS8_S9_EEENSB_IJS8_SA_EEENS0_18inequality_wrapperIZN2at6native12_GLOBAL__N_124unique_dim_cuda_templateIjEESt5tupleIJNSF_6TensorESK_SK_EERKSK_lbbbEUlllE0_EEPmJS9_EEE10hipError_tPvRmT3_T4_T5_T6_T7_T9_mT8_P12ihipStream_tbDpT10_ENKUlT_T0_E_clISt17integral_constantIbLb0EES19_IbLb1EEEEDaS15_S16_EUlS15_E_NS1_11comp_targetILNS1_3genE0ELNS1_11target_archE4294967295ELNS1_3gpuE0ELNS1_3repE0EEENS1_30default_config_static_selectorELNS0_4arch9wavefront6targetE0EEEvT1_ ; -- Begin function _ZN7rocprim17ROCPRIM_400000_NS6detail17trampoline_kernelINS0_14default_configENS1_25partition_config_selectorILNS1_17partition_subalgoE9EllbEEZZNS1_14partition_implILS5_9ELb0ES3_jPlS8_PNS0_10empty_typeENS0_5tupleIJS8_S9_EEENSB_IJS8_SA_EEENS0_18inequality_wrapperIZN2at6native12_GLOBAL__N_124unique_dim_cuda_templateIjEESt5tupleIJNSF_6TensorESK_SK_EERKSK_lbbbEUlllE0_EEPmJS9_EEE10hipError_tPvRmT3_T4_T5_T6_T7_T9_mT8_P12ihipStream_tbDpT10_ENKUlT_T0_E_clISt17integral_constantIbLb0EES19_IbLb1EEEEDaS15_S16_EUlS15_E_NS1_11comp_targetILNS1_3genE0ELNS1_11target_archE4294967295ELNS1_3gpuE0ELNS1_3repE0EEENS1_30default_config_static_selectorELNS0_4arch9wavefront6targetE0EEEvT1_
	.p2align	8
	.type	_ZN7rocprim17ROCPRIM_400000_NS6detail17trampoline_kernelINS0_14default_configENS1_25partition_config_selectorILNS1_17partition_subalgoE9EllbEEZZNS1_14partition_implILS5_9ELb0ES3_jPlS8_PNS0_10empty_typeENS0_5tupleIJS8_S9_EEENSB_IJS8_SA_EEENS0_18inequality_wrapperIZN2at6native12_GLOBAL__N_124unique_dim_cuda_templateIjEESt5tupleIJNSF_6TensorESK_SK_EERKSK_lbbbEUlllE0_EEPmJS9_EEE10hipError_tPvRmT3_T4_T5_T6_T7_T9_mT8_P12ihipStream_tbDpT10_ENKUlT_T0_E_clISt17integral_constantIbLb0EES19_IbLb1EEEEDaS15_S16_EUlS15_E_NS1_11comp_targetILNS1_3genE0ELNS1_11target_archE4294967295ELNS1_3gpuE0ELNS1_3repE0EEENS1_30default_config_static_selectorELNS0_4arch9wavefront6targetE0EEEvT1_,@function
_ZN7rocprim17ROCPRIM_400000_NS6detail17trampoline_kernelINS0_14default_configENS1_25partition_config_selectorILNS1_17partition_subalgoE9EllbEEZZNS1_14partition_implILS5_9ELb0ES3_jPlS8_PNS0_10empty_typeENS0_5tupleIJS8_S9_EEENSB_IJS8_SA_EEENS0_18inequality_wrapperIZN2at6native12_GLOBAL__N_124unique_dim_cuda_templateIjEESt5tupleIJNSF_6TensorESK_SK_EERKSK_lbbbEUlllE0_EEPmJS9_EEE10hipError_tPvRmT3_T4_T5_T6_T7_T9_mT8_P12ihipStream_tbDpT10_ENKUlT_T0_E_clISt17integral_constantIbLb0EES19_IbLb1EEEEDaS15_S16_EUlS15_E_NS1_11comp_targetILNS1_3genE0ELNS1_11target_archE4294967295ELNS1_3gpuE0ELNS1_3repE0EEENS1_30default_config_static_selectorELNS0_4arch9wavefront6targetE0EEEvT1_: ; @_ZN7rocprim17ROCPRIM_400000_NS6detail17trampoline_kernelINS0_14default_configENS1_25partition_config_selectorILNS1_17partition_subalgoE9EllbEEZZNS1_14partition_implILS5_9ELb0ES3_jPlS8_PNS0_10empty_typeENS0_5tupleIJS8_S9_EEENSB_IJS8_SA_EEENS0_18inequality_wrapperIZN2at6native12_GLOBAL__N_124unique_dim_cuda_templateIjEESt5tupleIJNSF_6TensorESK_SK_EERKSK_lbbbEUlllE0_EEPmJS9_EEE10hipError_tPvRmT3_T4_T5_T6_T7_T9_mT8_P12ihipStream_tbDpT10_ENKUlT_T0_E_clISt17integral_constantIbLb0EES19_IbLb1EEEEDaS15_S16_EUlS15_E_NS1_11comp_targetILNS1_3genE0ELNS1_11target_archE4294967295ELNS1_3gpuE0ELNS1_3repE0EEENS1_30default_config_static_selectorELNS0_4arch9wavefront6targetE0EEEvT1_
; %bb.0:
	.section	.rodata,"a",@progbits
	.p2align	6, 0x0
	.amdhsa_kernel _ZN7rocprim17ROCPRIM_400000_NS6detail17trampoline_kernelINS0_14default_configENS1_25partition_config_selectorILNS1_17partition_subalgoE9EllbEEZZNS1_14partition_implILS5_9ELb0ES3_jPlS8_PNS0_10empty_typeENS0_5tupleIJS8_S9_EEENSB_IJS8_SA_EEENS0_18inequality_wrapperIZN2at6native12_GLOBAL__N_124unique_dim_cuda_templateIjEESt5tupleIJNSF_6TensorESK_SK_EERKSK_lbbbEUlllE0_EEPmJS9_EEE10hipError_tPvRmT3_T4_T5_T6_T7_T9_mT8_P12ihipStream_tbDpT10_ENKUlT_T0_E_clISt17integral_constantIbLb0EES19_IbLb1EEEEDaS15_S16_EUlS15_E_NS1_11comp_targetILNS1_3genE0ELNS1_11target_archE4294967295ELNS1_3gpuE0ELNS1_3repE0EEENS1_30default_config_static_selectorELNS0_4arch9wavefront6targetE0EEEvT1_
		.amdhsa_group_segment_fixed_size 0
		.amdhsa_private_segment_fixed_size 0
		.amdhsa_kernarg_size 136
		.amdhsa_user_sgpr_count 15
		.amdhsa_user_sgpr_dispatch_ptr 0
		.amdhsa_user_sgpr_queue_ptr 0
		.amdhsa_user_sgpr_kernarg_segment_ptr 1
		.amdhsa_user_sgpr_dispatch_id 0
		.amdhsa_user_sgpr_private_segment_size 0
		.amdhsa_wavefront_size32 1
		.amdhsa_uses_dynamic_stack 0
		.amdhsa_enable_private_segment 0
		.amdhsa_system_sgpr_workgroup_id_x 1
		.amdhsa_system_sgpr_workgroup_id_y 0
		.amdhsa_system_sgpr_workgroup_id_z 0
		.amdhsa_system_sgpr_workgroup_info 0
		.amdhsa_system_vgpr_workitem_id 0
		.amdhsa_next_free_vgpr 1
		.amdhsa_next_free_sgpr 1
		.amdhsa_reserve_vcc 0
		.amdhsa_float_round_mode_32 0
		.amdhsa_float_round_mode_16_64 0
		.amdhsa_float_denorm_mode_32 3
		.amdhsa_float_denorm_mode_16_64 3
		.amdhsa_dx10_clamp 1
		.amdhsa_ieee_mode 1
		.amdhsa_fp16_overflow 0
		.amdhsa_workgroup_processor_mode 1
		.amdhsa_memory_ordered 1
		.amdhsa_forward_progress 0
		.amdhsa_shared_vgpr_count 0
		.amdhsa_exception_fp_ieee_invalid_op 0
		.amdhsa_exception_fp_denorm_src 0
		.amdhsa_exception_fp_ieee_div_zero 0
		.amdhsa_exception_fp_ieee_overflow 0
		.amdhsa_exception_fp_ieee_underflow 0
		.amdhsa_exception_fp_ieee_inexact 0
		.amdhsa_exception_int_div_zero 0
	.end_amdhsa_kernel
	.section	.text._ZN7rocprim17ROCPRIM_400000_NS6detail17trampoline_kernelINS0_14default_configENS1_25partition_config_selectorILNS1_17partition_subalgoE9EllbEEZZNS1_14partition_implILS5_9ELb0ES3_jPlS8_PNS0_10empty_typeENS0_5tupleIJS8_S9_EEENSB_IJS8_SA_EEENS0_18inequality_wrapperIZN2at6native12_GLOBAL__N_124unique_dim_cuda_templateIjEESt5tupleIJNSF_6TensorESK_SK_EERKSK_lbbbEUlllE0_EEPmJS9_EEE10hipError_tPvRmT3_T4_T5_T6_T7_T9_mT8_P12ihipStream_tbDpT10_ENKUlT_T0_E_clISt17integral_constantIbLb0EES19_IbLb1EEEEDaS15_S16_EUlS15_E_NS1_11comp_targetILNS1_3genE0ELNS1_11target_archE4294967295ELNS1_3gpuE0ELNS1_3repE0EEENS1_30default_config_static_selectorELNS0_4arch9wavefront6targetE0EEEvT1_,"axG",@progbits,_ZN7rocprim17ROCPRIM_400000_NS6detail17trampoline_kernelINS0_14default_configENS1_25partition_config_selectorILNS1_17partition_subalgoE9EllbEEZZNS1_14partition_implILS5_9ELb0ES3_jPlS8_PNS0_10empty_typeENS0_5tupleIJS8_S9_EEENSB_IJS8_SA_EEENS0_18inequality_wrapperIZN2at6native12_GLOBAL__N_124unique_dim_cuda_templateIjEESt5tupleIJNSF_6TensorESK_SK_EERKSK_lbbbEUlllE0_EEPmJS9_EEE10hipError_tPvRmT3_T4_T5_T6_T7_T9_mT8_P12ihipStream_tbDpT10_ENKUlT_T0_E_clISt17integral_constantIbLb0EES19_IbLb1EEEEDaS15_S16_EUlS15_E_NS1_11comp_targetILNS1_3genE0ELNS1_11target_archE4294967295ELNS1_3gpuE0ELNS1_3repE0EEENS1_30default_config_static_selectorELNS0_4arch9wavefront6targetE0EEEvT1_,comdat
.Lfunc_end1595:
	.size	_ZN7rocprim17ROCPRIM_400000_NS6detail17trampoline_kernelINS0_14default_configENS1_25partition_config_selectorILNS1_17partition_subalgoE9EllbEEZZNS1_14partition_implILS5_9ELb0ES3_jPlS8_PNS0_10empty_typeENS0_5tupleIJS8_S9_EEENSB_IJS8_SA_EEENS0_18inequality_wrapperIZN2at6native12_GLOBAL__N_124unique_dim_cuda_templateIjEESt5tupleIJNSF_6TensorESK_SK_EERKSK_lbbbEUlllE0_EEPmJS9_EEE10hipError_tPvRmT3_T4_T5_T6_T7_T9_mT8_P12ihipStream_tbDpT10_ENKUlT_T0_E_clISt17integral_constantIbLb0EES19_IbLb1EEEEDaS15_S16_EUlS15_E_NS1_11comp_targetILNS1_3genE0ELNS1_11target_archE4294967295ELNS1_3gpuE0ELNS1_3repE0EEENS1_30default_config_static_selectorELNS0_4arch9wavefront6targetE0EEEvT1_, .Lfunc_end1595-_ZN7rocprim17ROCPRIM_400000_NS6detail17trampoline_kernelINS0_14default_configENS1_25partition_config_selectorILNS1_17partition_subalgoE9EllbEEZZNS1_14partition_implILS5_9ELb0ES3_jPlS8_PNS0_10empty_typeENS0_5tupleIJS8_S9_EEENSB_IJS8_SA_EEENS0_18inequality_wrapperIZN2at6native12_GLOBAL__N_124unique_dim_cuda_templateIjEESt5tupleIJNSF_6TensorESK_SK_EERKSK_lbbbEUlllE0_EEPmJS9_EEE10hipError_tPvRmT3_T4_T5_T6_T7_T9_mT8_P12ihipStream_tbDpT10_ENKUlT_T0_E_clISt17integral_constantIbLb0EES19_IbLb1EEEEDaS15_S16_EUlS15_E_NS1_11comp_targetILNS1_3genE0ELNS1_11target_archE4294967295ELNS1_3gpuE0ELNS1_3repE0EEENS1_30default_config_static_selectorELNS0_4arch9wavefront6targetE0EEEvT1_
                                        ; -- End function
	.section	.AMDGPU.csdata,"",@progbits
; Kernel info:
; codeLenInByte = 0
; NumSgprs: 0
; NumVgprs: 0
; ScratchSize: 0
; MemoryBound: 0
; FloatMode: 240
; IeeeMode: 1
; LDSByteSize: 0 bytes/workgroup (compile time only)
; SGPRBlocks: 0
; VGPRBlocks: 0
; NumSGPRsForWavesPerEU: 1
; NumVGPRsForWavesPerEU: 1
; Occupancy: 16
; WaveLimiterHint : 0
; COMPUTE_PGM_RSRC2:SCRATCH_EN: 0
; COMPUTE_PGM_RSRC2:USER_SGPR: 15
; COMPUTE_PGM_RSRC2:TRAP_HANDLER: 0
; COMPUTE_PGM_RSRC2:TGID_X_EN: 1
; COMPUTE_PGM_RSRC2:TGID_Y_EN: 0
; COMPUTE_PGM_RSRC2:TGID_Z_EN: 0
; COMPUTE_PGM_RSRC2:TIDIG_COMP_CNT: 0
	.section	.text._ZN7rocprim17ROCPRIM_400000_NS6detail17trampoline_kernelINS0_14default_configENS1_25partition_config_selectorILNS1_17partition_subalgoE9EllbEEZZNS1_14partition_implILS5_9ELb0ES3_jPlS8_PNS0_10empty_typeENS0_5tupleIJS8_S9_EEENSB_IJS8_SA_EEENS0_18inequality_wrapperIZN2at6native12_GLOBAL__N_124unique_dim_cuda_templateIjEESt5tupleIJNSF_6TensorESK_SK_EERKSK_lbbbEUlllE0_EEPmJS9_EEE10hipError_tPvRmT3_T4_T5_T6_T7_T9_mT8_P12ihipStream_tbDpT10_ENKUlT_T0_E_clISt17integral_constantIbLb0EES19_IbLb1EEEEDaS15_S16_EUlS15_E_NS1_11comp_targetILNS1_3genE5ELNS1_11target_archE942ELNS1_3gpuE9ELNS1_3repE0EEENS1_30default_config_static_selectorELNS0_4arch9wavefront6targetE0EEEvT1_,"axG",@progbits,_ZN7rocprim17ROCPRIM_400000_NS6detail17trampoline_kernelINS0_14default_configENS1_25partition_config_selectorILNS1_17partition_subalgoE9EllbEEZZNS1_14partition_implILS5_9ELb0ES3_jPlS8_PNS0_10empty_typeENS0_5tupleIJS8_S9_EEENSB_IJS8_SA_EEENS0_18inequality_wrapperIZN2at6native12_GLOBAL__N_124unique_dim_cuda_templateIjEESt5tupleIJNSF_6TensorESK_SK_EERKSK_lbbbEUlllE0_EEPmJS9_EEE10hipError_tPvRmT3_T4_T5_T6_T7_T9_mT8_P12ihipStream_tbDpT10_ENKUlT_T0_E_clISt17integral_constantIbLb0EES19_IbLb1EEEEDaS15_S16_EUlS15_E_NS1_11comp_targetILNS1_3genE5ELNS1_11target_archE942ELNS1_3gpuE9ELNS1_3repE0EEENS1_30default_config_static_selectorELNS0_4arch9wavefront6targetE0EEEvT1_,comdat
	.globl	_ZN7rocprim17ROCPRIM_400000_NS6detail17trampoline_kernelINS0_14default_configENS1_25partition_config_selectorILNS1_17partition_subalgoE9EllbEEZZNS1_14partition_implILS5_9ELb0ES3_jPlS8_PNS0_10empty_typeENS0_5tupleIJS8_S9_EEENSB_IJS8_SA_EEENS0_18inequality_wrapperIZN2at6native12_GLOBAL__N_124unique_dim_cuda_templateIjEESt5tupleIJNSF_6TensorESK_SK_EERKSK_lbbbEUlllE0_EEPmJS9_EEE10hipError_tPvRmT3_T4_T5_T6_T7_T9_mT8_P12ihipStream_tbDpT10_ENKUlT_T0_E_clISt17integral_constantIbLb0EES19_IbLb1EEEEDaS15_S16_EUlS15_E_NS1_11comp_targetILNS1_3genE5ELNS1_11target_archE942ELNS1_3gpuE9ELNS1_3repE0EEENS1_30default_config_static_selectorELNS0_4arch9wavefront6targetE0EEEvT1_ ; -- Begin function _ZN7rocprim17ROCPRIM_400000_NS6detail17trampoline_kernelINS0_14default_configENS1_25partition_config_selectorILNS1_17partition_subalgoE9EllbEEZZNS1_14partition_implILS5_9ELb0ES3_jPlS8_PNS0_10empty_typeENS0_5tupleIJS8_S9_EEENSB_IJS8_SA_EEENS0_18inequality_wrapperIZN2at6native12_GLOBAL__N_124unique_dim_cuda_templateIjEESt5tupleIJNSF_6TensorESK_SK_EERKSK_lbbbEUlllE0_EEPmJS9_EEE10hipError_tPvRmT3_T4_T5_T6_T7_T9_mT8_P12ihipStream_tbDpT10_ENKUlT_T0_E_clISt17integral_constantIbLb0EES19_IbLb1EEEEDaS15_S16_EUlS15_E_NS1_11comp_targetILNS1_3genE5ELNS1_11target_archE942ELNS1_3gpuE9ELNS1_3repE0EEENS1_30default_config_static_selectorELNS0_4arch9wavefront6targetE0EEEvT1_
	.p2align	8
	.type	_ZN7rocprim17ROCPRIM_400000_NS6detail17trampoline_kernelINS0_14default_configENS1_25partition_config_selectorILNS1_17partition_subalgoE9EllbEEZZNS1_14partition_implILS5_9ELb0ES3_jPlS8_PNS0_10empty_typeENS0_5tupleIJS8_S9_EEENSB_IJS8_SA_EEENS0_18inequality_wrapperIZN2at6native12_GLOBAL__N_124unique_dim_cuda_templateIjEESt5tupleIJNSF_6TensorESK_SK_EERKSK_lbbbEUlllE0_EEPmJS9_EEE10hipError_tPvRmT3_T4_T5_T6_T7_T9_mT8_P12ihipStream_tbDpT10_ENKUlT_T0_E_clISt17integral_constantIbLb0EES19_IbLb1EEEEDaS15_S16_EUlS15_E_NS1_11comp_targetILNS1_3genE5ELNS1_11target_archE942ELNS1_3gpuE9ELNS1_3repE0EEENS1_30default_config_static_selectorELNS0_4arch9wavefront6targetE0EEEvT1_,@function
_ZN7rocprim17ROCPRIM_400000_NS6detail17trampoline_kernelINS0_14default_configENS1_25partition_config_selectorILNS1_17partition_subalgoE9EllbEEZZNS1_14partition_implILS5_9ELb0ES3_jPlS8_PNS0_10empty_typeENS0_5tupleIJS8_S9_EEENSB_IJS8_SA_EEENS0_18inequality_wrapperIZN2at6native12_GLOBAL__N_124unique_dim_cuda_templateIjEESt5tupleIJNSF_6TensorESK_SK_EERKSK_lbbbEUlllE0_EEPmJS9_EEE10hipError_tPvRmT3_T4_T5_T6_T7_T9_mT8_P12ihipStream_tbDpT10_ENKUlT_T0_E_clISt17integral_constantIbLb0EES19_IbLb1EEEEDaS15_S16_EUlS15_E_NS1_11comp_targetILNS1_3genE5ELNS1_11target_archE942ELNS1_3gpuE9ELNS1_3repE0EEENS1_30default_config_static_selectorELNS0_4arch9wavefront6targetE0EEEvT1_: ; @_ZN7rocprim17ROCPRIM_400000_NS6detail17trampoline_kernelINS0_14default_configENS1_25partition_config_selectorILNS1_17partition_subalgoE9EllbEEZZNS1_14partition_implILS5_9ELb0ES3_jPlS8_PNS0_10empty_typeENS0_5tupleIJS8_S9_EEENSB_IJS8_SA_EEENS0_18inequality_wrapperIZN2at6native12_GLOBAL__N_124unique_dim_cuda_templateIjEESt5tupleIJNSF_6TensorESK_SK_EERKSK_lbbbEUlllE0_EEPmJS9_EEE10hipError_tPvRmT3_T4_T5_T6_T7_T9_mT8_P12ihipStream_tbDpT10_ENKUlT_T0_E_clISt17integral_constantIbLb0EES19_IbLb1EEEEDaS15_S16_EUlS15_E_NS1_11comp_targetILNS1_3genE5ELNS1_11target_archE942ELNS1_3gpuE9ELNS1_3repE0EEENS1_30default_config_static_selectorELNS0_4arch9wavefront6targetE0EEEvT1_
; %bb.0:
	.section	.rodata,"a",@progbits
	.p2align	6, 0x0
	.amdhsa_kernel _ZN7rocprim17ROCPRIM_400000_NS6detail17trampoline_kernelINS0_14default_configENS1_25partition_config_selectorILNS1_17partition_subalgoE9EllbEEZZNS1_14partition_implILS5_9ELb0ES3_jPlS8_PNS0_10empty_typeENS0_5tupleIJS8_S9_EEENSB_IJS8_SA_EEENS0_18inequality_wrapperIZN2at6native12_GLOBAL__N_124unique_dim_cuda_templateIjEESt5tupleIJNSF_6TensorESK_SK_EERKSK_lbbbEUlllE0_EEPmJS9_EEE10hipError_tPvRmT3_T4_T5_T6_T7_T9_mT8_P12ihipStream_tbDpT10_ENKUlT_T0_E_clISt17integral_constantIbLb0EES19_IbLb1EEEEDaS15_S16_EUlS15_E_NS1_11comp_targetILNS1_3genE5ELNS1_11target_archE942ELNS1_3gpuE9ELNS1_3repE0EEENS1_30default_config_static_selectorELNS0_4arch9wavefront6targetE0EEEvT1_
		.amdhsa_group_segment_fixed_size 0
		.amdhsa_private_segment_fixed_size 0
		.amdhsa_kernarg_size 136
		.amdhsa_user_sgpr_count 15
		.amdhsa_user_sgpr_dispatch_ptr 0
		.amdhsa_user_sgpr_queue_ptr 0
		.amdhsa_user_sgpr_kernarg_segment_ptr 1
		.amdhsa_user_sgpr_dispatch_id 0
		.amdhsa_user_sgpr_private_segment_size 0
		.amdhsa_wavefront_size32 1
		.amdhsa_uses_dynamic_stack 0
		.amdhsa_enable_private_segment 0
		.amdhsa_system_sgpr_workgroup_id_x 1
		.amdhsa_system_sgpr_workgroup_id_y 0
		.amdhsa_system_sgpr_workgroup_id_z 0
		.amdhsa_system_sgpr_workgroup_info 0
		.amdhsa_system_vgpr_workitem_id 0
		.amdhsa_next_free_vgpr 1
		.amdhsa_next_free_sgpr 1
		.amdhsa_reserve_vcc 0
		.amdhsa_float_round_mode_32 0
		.amdhsa_float_round_mode_16_64 0
		.amdhsa_float_denorm_mode_32 3
		.amdhsa_float_denorm_mode_16_64 3
		.amdhsa_dx10_clamp 1
		.amdhsa_ieee_mode 1
		.amdhsa_fp16_overflow 0
		.amdhsa_workgroup_processor_mode 1
		.amdhsa_memory_ordered 1
		.amdhsa_forward_progress 0
		.amdhsa_shared_vgpr_count 0
		.amdhsa_exception_fp_ieee_invalid_op 0
		.amdhsa_exception_fp_denorm_src 0
		.amdhsa_exception_fp_ieee_div_zero 0
		.amdhsa_exception_fp_ieee_overflow 0
		.amdhsa_exception_fp_ieee_underflow 0
		.amdhsa_exception_fp_ieee_inexact 0
		.amdhsa_exception_int_div_zero 0
	.end_amdhsa_kernel
	.section	.text._ZN7rocprim17ROCPRIM_400000_NS6detail17trampoline_kernelINS0_14default_configENS1_25partition_config_selectorILNS1_17partition_subalgoE9EllbEEZZNS1_14partition_implILS5_9ELb0ES3_jPlS8_PNS0_10empty_typeENS0_5tupleIJS8_S9_EEENSB_IJS8_SA_EEENS0_18inequality_wrapperIZN2at6native12_GLOBAL__N_124unique_dim_cuda_templateIjEESt5tupleIJNSF_6TensorESK_SK_EERKSK_lbbbEUlllE0_EEPmJS9_EEE10hipError_tPvRmT3_T4_T5_T6_T7_T9_mT8_P12ihipStream_tbDpT10_ENKUlT_T0_E_clISt17integral_constantIbLb0EES19_IbLb1EEEEDaS15_S16_EUlS15_E_NS1_11comp_targetILNS1_3genE5ELNS1_11target_archE942ELNS1_3gpuE9ELNS1_3repE0EEENS1_30default_config_static_selectorELNS0_4arch9wavefront6targetE0EEEvT1_,"axG",@progbits,_ZN7rocprim17ROCPRIM_400000_NS6detail17trampoline_kernelINS0_14default_configENS1_25partition_config_selectorILNS1_17partition_subalgoE9EllbEEZZNS1_14partition_implILS5_9ELb0ES3_jPlS8_PNS0_10empty_typeENS0_5tupleIJS8_S9_EEENSB_IJS8_SA_EEENS0_18inequality_wrapperIZN2at6native12_GLOBAL__N_124unique_dim_cuda_templateIjEESt5tupleIJNSF_6TensorESK_SK_EERKSK_lbbbEUlllE0_EEPmJS9_EEE10hipError_tPvRmT3_T4_T5_T6_T7_T9_mT8_P12ihipStream_tbDpT10_ENKUlT_T0_E_clISt17integral_constantIbLb0EES19_IbLb1EEEEDaS15_S16_EUlS15_E_NS1_11comp_targetILNS1_3genE5ELNS1_11target_archE942ELNS1_3gpuE9ELNS1_3repE0EEENS1_30default_config_static_selectorELNS0_4arch9wavefront6targetE0EEEvT1_,comdat
.Lfunc_end1596:
	.size	_ZN7rocprim17ROCPRIM_400000_NS6detail17trampoline_kernelINS0_14default_configENS1_25partition_config_selectorILNS1_17partition_subalgoE9EllbEEZZNS1_14partition_implILS5_9ELb0ES3_jPlS8_PNS0_10empty_typeENS0_5tupleIJS8_S9_EEENSB_IJS8_SA_EEENS0_18inequality_wrapperIZN2at6native12_GLOBAL__N_124unique_dim_cuda_templateIjEESt5tupleIJNSF_6TensorESK_SK_EERKSK_lbbbEUlllE0_EEPmJS9_EEE10hipError_tPvRmT3_T4_T5_T6_T7_T9_mT8_P12ihipStream_tbDpT10_ENKUlT_T0_E_clISt17integral_constantIbLb0EES19_IbLb1EEEEDaS15_S16_EUlS15_E_NS1_11comp_targetILNS1_3genE5ELNS1_11target_archE942ELNS1_3gpuE9ELNS1_3repE0EEENS1_30default_config_static_selectorELNS0_4arch9wavefront6targetE0EEEvT1_, .Lfunc_end1596-_ZN7rocprim17ROCPRIM_400000_NS6detail17trampoline_kernelINS0_14default_configENS1_25partition_config_selectorILNS1_17partition_subalgoE9EllbEEZZNS1_14partition_implILS5_9ELb0ES3_jPlS8_PNS0_10empty_typeENS0_5tupleIJS8_S9_EEENSB_IJS8_SA_EEENS0_18inequality_wrapperIZN2at6native12_GLOBAL__N_124unique_dim_cuda_templateIjEESt5tupleIJNSF_6TensorESK_SK_EERKSK_lbbbEUlllE0_EEPmJS9_EEE10hipError_tPvRmT3_T4_T5_T6_T7_T9_mT8_P12ihipStream_tbDpT10_ENKUlT_T0_E_clISt17integral_constantIbLb0EES19_IbLb1EEEEDaS15_S16_EUlS15_E_NS1_11comp_targetILNS1_3genE5ELNS1_11target_archE942ELNS1_3gpuE9ELNS1_3repE0EEENS1_30default_config_static_selectorELNS0_4arch9wavefront6targetE0EEEvT1_
                                        ; -- End function
	.section	.AMDGPU.csdata,"",@progbits
; Kernel info:
; codeLenInByte = 0
; NumSgprs: 0
; NumVgprs: 0
; ScratchSize: 0
; MemoryBound: 0
; FloatMode: 240
; IeeeMode: 1
; LDSByteSize: 0 bytes/workgroup (compile time only)
; SGPRBlocks: 0
; VGPRBlocks: 0
; NumSGPRsForWavesPerEU: 1
; NumVGPRsForWavesPerEU: 1
; Occupancy: 16
; WaveLimiterHint : 0
; COMPUTE_PGM_RSRC2:SCRATCH_EN: 0
; COMPUTE_PGM_RSRC2:USER_SGPR: 15
; COMPUTE_PGM_RSRC2:TRAP_HANDLER: 0
; COMPUTE_PGM_RSRC2:TGID_X_EN: 1
; COMPUTE_PGM_RSRC2:TGID_Y_EN: 0
; COMPUTE_PGM_RSRC2:TGID_Z_EN: 0
; COMPUTE_PGM_RSRC2:TIDIG_COMP_CNT: 0
	.section	.text._ZN7rocprim17ROCPRIM_400000_NS6detail17trampoline_kernelINS0_14default_configENS1_25partition_config_selectorILNS1_17partition_subalgoE9EllbEEZZNS1_14partition_implILS5_9ELb0ES3_jPlS8_PNS0_10empty_typeENS0_5tupleIJS8_S9_EEENSB_IJS8_SA_EEENS0_18inequality_wrapperIZN2at6native12_GLOBAL__N_124unique_dim_cuda_templateIjEESt5tupleIJNSF_6TensorESK_SK_EERKSK_lbbbEUlllE0_EEPmJS9_EEE10hipError_tPvRmT3_T4_T5_T6_T7_T9_mT8_P12ihipStream_tbDpT10_ENKUlT_T0_E_clISt17integral_constantIbLb0EES19_IbLb1EEEEDaS15_S16_EUlS15_E_NS1_11comp_targetILNS1_3genE4ELNS1_11target_archE910ELNS1_3gpuE8ELNS1_3repE0EEENS1_30default_config_static_selectorELNS0_4arch9wavefront6targetE0EEEvT1_,"axG",@progbits,_ZN7rocprim17ROCPRIM_400000_NS6detail17trampoline_kernelINS0_14default_configENS1_25partition_config_selectorILNS1_17partition_subalgoE9EllbEEZZNS1_14partition_implILS5_9ELb0ES3_jPlS8_PNS0_10empty_typeENS0_5tupleIJS8_S9_EEENSB_IJS8_SA_EEENS0_18inequality_wrapperIZN2at6native12_GLOBAL__N_124unique_dim_cuda_templateIjEESt5tupleIJNSF_6TensorESK_SK_EERKSK_lbbbEUlllE0_EEPmJS9_EEE10hipError_tPvRmT3_T4_T5_T6_T7_T9_mT8_P12ihipStream_tbDpT10_ENKUlT_T0_E_clISt17integral_constantIbLb0EES19_IbLb1EEEEDaS15_S16_EUlS15_E_NS1_11comp_targetILNS1_3genE4ELNS1_11target_archE910ELNS1_3gpuE8ELNS1_3repE0EEENS1_30default_config_static_selectorELNS0_4arch9wavefront6targetE0EEEvT1_,comdat
	.globl	_ZN7rocprim17ROCPRIM_400000_NS6detail17trampoline_kernelINS0_14default_configENS1_25partition_config_selectorILNS1_17partition_subalgoE9EllbEEZZNS1_14partition_implILS5_9ELb0ES3_jPlS8_PNS0_10empty_typeENS0_5tupleIJS8_S9_EEENSB_IJS8_SA_EEENS0_18inequality_wrapperIZN2at6native12_GLOBAL__N_124unique_dim_cuda_templateIjEESt5tupleIJNSF_6TensorESK_SK_EERKSK_lbbbEUlllE0_EEPmJS9_EEE10hipError_tPvRmT3_T4_T5_T6_T7_T9_mT8_P12ihipStream_tbDpT10_ENKUlT_T0_E_clISt17integral_constantIbLb0EES19_IbLb1EEEEDaS15_S16_EUlS15_E_NS1_11comp_targetILNS1_3genE4ELNS1_11target_archE910ELNS1_3gpuE8ELNS1_3repE0EEENS1_30default_config_static_selectorELNS0_4arch9wavefront6targetE0EEEvT1_ ; -- Begin function _ZN7rocprim17ROCPRIM_400000_NS6detail17trampoline_kernelINS0_14default_configENS1_25partition_config_selectorILNS1_17partition_subalgoE9EllbEEZZNS1_14partition_implILS5_9ELb0ES3_jPlS8_PNS0_10empty_typeENS0_5tupleIJS8_S9_EEENSB_IJS8_SA_EEENS0_18inequality_wrapperIZN2at6native12_GLOBAL__N_124unique_dim_cuda_templateIjEESt5tupleIJNSF_6TensorESK_SK_EERKSK_lbbbEUlllE0_EEPmJS9_EEE10hipError_tPvRmT3_T4_T5_T6_T7_T9_mT8_P12ihipStream_tbDpT10_ENKUlT_T0_E_clISt17integral_constantIbLb0EES19_IbLb1EEEEDaS15_S16_EUlS15_E_NS1_11comp_targetILNS1_3genE4ELNS1_11target_archE910ELNS1_3gpuE8ELNS1_3repE0EEENS1_30default_config_static_selectorELNS0_4arch9wavefront6targetE0EEEvT1_
	.p2align	8
	.type	_ZN7rocprim17ROCPRIM_400000_NS6detail17trampoline_kernelINS0_14default_configENS1_25partition_config_selectorILNS1_17partition_subalgoE9EllbEEZZNS1_14partition_implILS5_9ELb0ES3_jPlS8_PNS0_10empty_typeENS0_5tupleIJS8_S9_EEENSB_IJS8_SA_EEENS0_18inequality_wrapperIZN2at6native12_GLOBAL__N_124unique_dim_cuda_templateIjEESt5tupleIJNSF_6TensorESK_SK_EERKSK_lbbbEUlllE0_EEPmJS9_EEE10hipError_tPvRmT3_T4_T5_T6_T7_T9_mT8_P12ihipStream_tbDpT10_ENKUlT_T0_E_clISt17integral_constantIbLb0EES19_IbLb1EEEEDaS15_S16_EUlS15_E_NS1_11comp_targetILNS1_3genE4ELNS1_11target_archE910ELNS1_3gpuE8ELNS1_3repE0EEENS1_30default_config_static_selectorELNS0_4arch9wavefront6targetE0EEEvT1_,@function
_ZN7rocprim17ROCPRIM_400000_NS6detail17trampoline_kernelINS0_14default_configENS1_25partition_config_selectorILNS1_17partition_subalgoE9EllbEEZZNS1_14partition_implILS5_9ELb0ES3_jPlS8_PNS0_10empty_typeENS0_5tupleIJS8_S9_EEENSB_IJS8_SA_EEENS0_18inequality_wrapperIZN2at6native12_GLOBAL__N_124unique_dim_cuda_templateIjEESt5tupleIJNSF_6TensorESK_SK_EERKSK_lbbbEUlllE0_EEPmJS9_EEE10hipError_tPvRmT3_T4_T5_T6_T7_T9_mT8_P12ihipStream_tbDpT10_ENKUlT_T0_E_clISt17integral_constantIbLb0EES19_IbLb1EEEEDaS15_S16_EUlS15_E_NS1_11comp_targetILNS1_3genE4ELNS1_11target_archE910ELNS1_3gpuE8ELNS1_3repE0EEENS1_30default_config_static_selectorELNS0_4arch9wavefront6targetE0EEEvT1_: ; @_ZN7rocprim17ROCPRIM_400000_NS6detail17trampoline_kernelINS0_14default_configENS1_25partition_config_selectorILNS1_17partition_subalgoE9EllbEEZZNS1_14partition_implILS5_9ELb0ES3_jPlS8_PNS0_10empty_typeENS0_5tupleIJS8_S9_EEENSB_IJS8_SA_EEENS0_18inequality_wrapperIZN2at6native12_GLOBAL__N_124unique_dim_cuda_templateIjEESt5tupleIJNSF_6TensorESK_SK_EERKSK_lbbbEUlllE0_EEPmJS9_EEE10hipError_tPvRmT3_T4_T5_T6_T7_T9_mT8_P12ihipStream_tbDpT10_ENKUlT_T0_E_clISt17integral_constantIbLb0EES19_IbLb1EEEEDaS15_S16_EUlS15_E_NS1_11comp_targetILNS1_3genE4ELNS1_11target_archE910ELNS1_3gpuE8ELNS1_3repE0EEENS1_30default_config_static_selectorELNS0_4arch9wavefront6targetE0EEEvT1_
; %bb.0:
	.section	.rodata,"a",@progbits
	.p2align	6, 0x0
	.amdhsa_kernel _ZN7rocprim17ROCPRIM_400000_NS6detail17trampoline_kernelINS0_14default_configENS1_25partition_config_selectorILNS1_17partition_subalgoE9EllbEEZZNS1_14partition_implILS5_9ELb0ES3_jPlS8_PNS0_10empty_typeENS0_5tupleIJS8_S9_EEENSB_IJS8_SA_EEENS0_18inequality_wrapperIZN2at6native12_GLOBAL__N_124unique_dim_cuda_templateIjEESt5tupleIJNSF_6TensorESK_SK_EERKSK_lbbbEUlllE0_EEPmJS9_EEE10hipError_tPvRmT3_T4_T5_T6_T7_T9_mT8_P12ihipStream_tbDpT10_ENKUlT_T0_E_clISt17integral_constantIbLb0EES19_IbLb1EEEEDaS15_S16_EUlS15_E_NS1_11comp_targetILNS1_3genE4ELNS1_11target_archE910ELNS1_3gpuE8ELNS1_3repE0EEENS1_30default_config_static_selectorELNS0_4arch9wavefront6targetE0EEEvT1_
		.amdhsa_group_segment_fixed_size 0
		.amdhsa_private_segment_fixed_size 0
		.amdhsa_kernarg_size 136
		.amdhsa_user_sgpr_count 15
		.amdhsa_user_sgpr_dispatch_ptr 0
		.amdhsa_user_sgpr_queue_ptr 0
		.amdhsa_user_sgpr_kernarg_segment_ptr 1
		.amdhsa_user_sgpr_dispatch_id 0
		.amdhsa_user_sgpr_private_segment_size 0
		.amdhsa_wavefront_size32 1
		.amdhsa_uses_dynamic_stack 0
		.amdhsa_enable_private_segment 0
		.amdhsa_system_sgpr_workgroup_id_x 1
		.amdhsa_system_sgpr_workgroup_id_y 0
		.amdhsa_system_sgpr_workgroup_id_z 0
		.amdhsa_system_sgpr_workgroup_info 0
		.amdhsa_system_vgpr_workitem_id 0
		.amdhsa_next_free_vgpr 1
		.amdhsa_next_free_sgpr 1
		.amdhsa_reserve_vcc 0
		.amdhsa_float_round_mode_32 0
		.amdhsa_float_round_mode_16_64 0
		.amdhsa_float_denorm_mode_32 3
		.amdhsa_float_denorm_mode_16_64 3
		.amdhsa_dx10_clamp 1
		.amdhsa_ieee_mode 1
		.amdhsa_fp16_overflow 0
		.amdhsa_workgroup_processor_mode 1
		.amdhsa_memory_ordered 1
		.amdhsa_forward_progress 0
		.amdhsa_shared_vgpr_count 0
		.amdhsa_exception_fp_ieee_invalid_op 0
		.amdhsa_exception_fp_denorm_src 0
		.amdhsa_exception_fp_ieee_div_zero 0
		.amdhsa_exception_fp_ieee_overflow 0
		.amdhsa_exception_fp_ieee_underflow 0
		.amdhsa_exception_fp_ieee_inexact 0
		.amdhsa_exception_int_div_zero 0
	.end_amdhsa_kernel
	.section	.text._ZN7rocprim17ROCPRIM_400000_NS6detail17trampoline_kernelINS0_14default_configENS1_25partition_config_selectorILNS1_17partition_subalgoE9EllbEEZZNS1_14partition_implILS5_9ELb0ES3_jPlS8_PNS0_10empty_typeENS0_5tupleIJS8_S9_EEENSB_IJS8_SA_EEENS0_18inequality_wrapperIZN2at6native12_GLOBAL__N_124unique_dim_cuda_templateIjEESt5tupleIJNSF_6TensorESK_SK_EERKSK_lbbbEUlllE0_EEPmJS9_EEE10hipError_tPvRmT3_T4_T5_T6_T7_T9_mT8_P12ihipStream_tbDpT10_ENKUlT_T0_E_clISt17integral_constantIbLb0EES19_IbLb1EEEEDaS15_S16_EUlS15_E_NS1_11comp_targetILNS1_3genE4ELNS1_11target_archE910ELNS1_3gpuE8ELNS1_3repE0EEENS1_30default_config_static_selectorELNS0_4arch9wavefront6targetE0EEEvT1_,"axG",@progbits,_ZN7rocprim17ROCPRIM_400000_NS6detail17trampoline_kernelINS0_14default_configENS1_25partition_config_selectorILNS1_17partition_subalgoE9EllbEEZZNS1_14partition_implILS5_9ELb0ES3_jPlS8_PNS0_10empty_typeENS0_5tupleIJS8_S9_EEENSB_IJS8_SA_EEENS0_18inequality_wrapperIZN2at6native12_GLOBAL__N_124unique_dim_cuda_templateIjEESt5tupleIJNSF_6TensorESK_SK_EERKSK_lbbbEUlllE0_EEPmJS9_EEE10hipError_tPvRmT3_T4_T5_T6_T7_T9_mT8_P12ihipStream_tbDpT10_ENKUlT_T0_E_clISt17integral_constantIbLb0EES19_IbLb1EEEEDaS15_S16_EUlS15_E_NS1_11comp_targetILNS1_3genE4ELNS1_11target_archE910ELNS1_3gpuE8ELNS1_3repE0EEENS1_30default_config_static_selectorELNS0_4arch9wavefront6targetE0EEEvT1_,comdat
.Lfunc_end1597:
	.size	_ZN7rocprim17ROCPRIM_400000_NS6detail17trampoline_kernelINS0_14default_configENS1_25partition_config_selectorILNS1_17partition_subalgoE9EllbEEZZNS1_14partition_implILS5_9ELb0ES3_jPlS8_PNS0_10empty_typeENS0_5tupleIJS8_S9_EEENSB_IJS8_SA_EEENS0_18inequality_wrapperIZN2at6native12_GLOBAL__N_124unique_dim_cuda_templateIjEESt5tupleIJNSF_6TensorESK_SK_EERKSK_lbbbEUlllE0_EEPmJS9_EEE10hipError_tPvRmT3_T4_T5_T6_T7_T9_mT8_P12ihipStream_tbDpT10_ENKUlT_T0_E_clISt17integral_constantIbLb0EES19_IbLb1EEEEDaS15_S16_EUlS15_E_NS1_11comp_targetILNS1_3genE4ELNS1_11target_archE910ELNS1_3gpuE8ELNS1_3repE0EEENS1_30default_config_static_selectorELNS0_4arch9wavefront6targetE0EEEvT1_, .Lfunc_end1597-_ZN7rocprim17ROCPRIM_400000_NS6detail17trampoline_kernelINS0_14default_configENS1_25partition_config_selectorILNS1_17partition_subalgoE9EllbEEZZNS1_14partition_implILS5_9ELb0ES3_jPlS8_PNS0_10empty_typeENS0_5tupleIJS8_S9_EEENSB_IJS8_SA_EEENS0_18inequality_wrapperIZN2at6native12_GLOBAL__N_124unique_dim_cuda_templateIjEESt5tupleIJNSF_6TensorESK_SK_EERKSK_lbbbEUlllE0_EEPmJS9_EEE10hipError_tPvRmT3_T4_T5_T6_T7_T9_mT8_P12ihipStream_tbDpT10_ENKUlT_T0_E_clISt17integral_constantIbLb0EES19_IbLb1EEEEDaS15_S16_EUlS15_E_NS1_11comp_targetILNS1_3genE4ELNS1_11target_archE910ELNS1_3gpuE8ELNS1_3repE0EEENS1_30default_config_static_selectorELNS0_4arch9wavefront6targetE0EEEvT1_
                                        ; -- End function
	.section	.AMDGPU.csdata,"",@progbits
; Kernel info:
; codeLenInByte = 0
; NumSgprs: 0
; NumVgprs: 0
; ScratchSize: 0
; MemoryBound: 0
; FloatMode: 240
; IeeeMode: 1
; LDSByteSize: 0 bytes/workgroup (compile time only)
; SGPRBlocks: 0
; VGPRBlocks: 0
; NumSGPRsForWavesPerEU: 1
; NumVGPRsForWavesPerEU: 1
; Occupancy: 16
; WaveLimiterHint : 0
; COMPUTE_PGM_RSRC2:SCRATCH_EN: 0
; COMPUTE_PGM_RSRC2:USER_SGPR: 15
; COMPUTE_PGM_RSRC2:TRAP_HANDLER: 0
; COMPUTE_PGM_RSRC2:TGID_X_EN: 1
; COMPUTE_PGM_RSRC2:TGID_Y_EN: 0
; COMPUTE_PGM_RSRC2:TGID_Z_EN: 0
; COMPUTE_PGM_RSRC2:TIDIG_COMP_CNT: 0
	.section	.text._ZN7rocprim17ROCPRIM_400000_NS6detail17trampoline_kernelINS0_14default_configENS1_25partition_config_selectorILNS1_17partition_subalgoE9EllbEEZZNS1_14partition_implILS5_9ELb0ES3_jPlS8_PNS0_10empty_typeENS0_5tupleIJS8_S9_EEENSB_IJS8_SA_EEENS0_18inequality_wrapperIZN2at6native12_GLOBAL__N_124unique_dim_cuda_templateIjEESt5tupleIJNSF_6TensorESK_SK_EERKSK_lbbbEUlllE0_EEPmJS9_EEE10hipError_tPvRmT3_T4_T5_T6_T7_T9_mT8_P12ihipStream_tbDpT10_ENKUlT_T0_E_clISt17integral_constantIbLb0EES19_IbLb1EEEEDaS15_S16_EUlS15_E_NS1_11comp_targetILNS1_3genE3ELNS1_11target_archE908ELNS1_3gpuE7ELNS1_3repE0EEENS1_30default_config_static_selectorELNS0_4arch9wavefront6targetE0EEEvT1_,"axG",@progbits,_ZN7rocprim17ROCPRIM_400000_NS6detail17trampoline_kernelINS0_14default_configENS1_25partition_config_selectorILNS1_17partition_subalgoE9EllbEEZZNS1_14partition_implILS5_9ELb0ES3_jPlS8_PNS0_10empty_typeENS0_5tupleIJS8_S9_EEENSB_IJS8_SA_EEENS0_18inequality_wrapperIZN2at6native12_GLOBAL__N_124unique_dim_cuda_templateIjEESt5tupleIJNSF_6TensorESK_SK_EERKSK_lbbbEUlllE0_EEPmJS9_EEE10hipError_tPvRmT3_T4_T5_T6_T7_T9_mT8_P12ihipStream_tbDpT10_ENKUlT_T0_E_clISt17integral_constantIbLb0EES19_IbLb1EEEEDaS15_S16_EUlS15_E_NS1_11comp_targetILNS1_3genE3ELNS1_11target_archE908ELNS1_3gpuE7ELNS1_3repE0EEENS1_30default_config_static_selectorELNS0_4arch9wavefront6targetE0EEEvT1_,comdat
	.globl	_ZN7rocprim17ROCPRIM_400000_NS6detail17trampoline_kernelINS0_14default_configENS1_25partition_config_selectorILNS1_17partition_subalgoE9EllbEEZZNS1_14partition_implILS5_9ELb0ES3_jPlS8_PNS0_10empty_typeENS0_5tupleIJS8_S9_EEENSB_IJS8_SA_EEENS0_18inequality_wrapperIZN2at6native12_GLOBAL__N_124unique_dim_cuda_templateIjEESt5tupleIJNSF_6TensorESK_SK_EERKSK_lbbbEUlllE0_EEPmJS9_EEE10hipError_tPvRmT3_T4_T5_T6_T7_T9_mT8_P12ihipStream_tbDpT10_ENKUlT_T0_E_clISt17integral_constantIbLb0EES19_IbLb1EEEEDaS15_S16_EUlS15_E_NS1_11comp_targetILNS1_3genE3ELNS1_11target_archE908ELNS1_3gpuE7ELNS1_3repE0EEENS1_30default_config_static_selectorELNS0_4arch9wavefront6targetE0EEEvT1_ ; -- Begin function _ZN7rocprim17ROCPRIM_400000_NS6detail17trampoline_kernelINS0_14default_configENS1_25partition_config_selectorILNS1_17partition_subalgoE9EllbEEZZNS1_14partition_implILS5_9ELb0ES3_jPlS8_PNS0_10empty_typeENS0_5tupleIJS8_S9_EEENSB_IJS8_SA_EEENS0_18inequality_wrapperIZN2at6native12_GLOBAL__N_124unique_dim_cuda_templateIjEESt5tupleIJNSF_6TensorESK_SK_EERKSK_lbbbEUlllE0_EEPmJS9_EEE10hipError_tPvRmT3_T4_T5_T6_T7_T9_mT8_P12ihipStream_tbDpT10_ENKUlT_T0_E_clISt17integral_constantIbLb0EES19_IbLb1EEEEDaS15_S16_EUlS15_E_NS1_11comp_targetILNS1_3genE3ELNS1_11target_archE908ELNS1_3gpuE7ELNS1_3repE0EEENS1_30default_config_static_selectorELNS0_4arch9wavefront6targetE0EEEvT1_
	.p2align	8
	.type	_ZN7rocprim17ROCPRIM_400000_NS6detail17trampoline_kernelINS0_14default_configENS1_25partition_config_selectorILNS1_17partition_subalgoE9EllbEEZZNS1_14partition_implILS5_9ELb0ES3_jPlS8_PNS0_10empty_typeENS0_5tupleIJS8_S9_EEENSB_IJS8_SA_EEENS0_18inequality_wrapperIZN2at6native12_GLOBAL__N_124unique_dim_cuda_templateIjEESt5tupleIJNSF_6TensorESK_SK_EERKSK_lbbbEUlllE0_EEPmJS9_EEE10hipError_tPvRmT3_T4_T5_T6_T7_T9_mT8_P12ihipStream_tbDpT10_ENKUlT_T0_E_clISt17integral_constantIbLb0EES19_IbLb1EEEEDaS15_S16_EUlS15_E_NS1_11comp_targetILNS1_3genE3ELNS1_11target_archE908ELNS1_3gpuE7ELNS1_3repE0EEENS1_30default_config_static_selectorELNS0_4arch9wavefront6targetE0EEEvT1_,@function
_ZN7rocprim17ROCPRIM_400000_NS6detail17trampoline_kernelINS0_14default_configENS1_25partition_config_selectorILNS1_17partition_subalgoE9EllbEEZZNS1_14partition_implILS5_9ELb0ES3_jPlS8_PNS0_10empty_typeENS0_5tupleIJS8_S9_EEENSB_IJS8_SA_EEENS0_18inequality_wrapperIZN2at6native12_GLOBAL__N_124unique_dim_cuda_templateIjEESt5tupleIJNSF_6TensorESK_SK_EERKSK_lbbbEUlllE0_EEPmJS9_EEE10hipError_tPvRmT3_T4_T5_T6_T7_T9_mT8_P12ihipStream_tbDpT10_ENKUlT_T0_E_clISt17integral_constantIbLb0EES19_IbLb1EEEEDaS15_S16_EUlS15_E_NS1_11comp_targetILNS1_3genE3ELNS1_11target_archE908ELNS1_3gpuE7ELNS1_3repE0EEENS1_30default_config_static_selectorELNS0_4arch9wavefront6targetE0EEEvT1_: ; @_ZN7rocprim17ROCPRIM_400000_NS6detail17trampoline_kernelINS0_14default_configENS1_25partition_config_selectorILNS1_17partition_subalgoE9EllbEEZZNS1_14partition_implILS5_9ELb0ES3_jPlS8_PNS0_10empty_typeENS0_5tupleIJS8_S9_EEENSB_IJS8_SA_EEENS0_18inequality_wrapperIZN2at6native12_GLOBAL__N_124unique_dim_cuda_templateIjEESt5tupleIJNSF_6TensorESK_SK_EERKSK_lbbbEUlllE0_EEPmJS9_EEE10hipError_tPvRmT3_T4_T5_T6_T7_T9_mT8_P12ihipStream_tbDpT10_ENKUlT_T0_E_clISt17integral_constantIbLb0EES19_IbLb1EEEEDaS15_S16_EUlS15_E_NS1_11comp_targetILNS1_3genE3ELNS1_11target_archE908ELNS1_3gpuE7ELNS1_3repE0EEENS1_30default_config_static_selectorELNS0_4arch9wavefront6targetE0EEEvT1_
; %bb.0:
	.section	.rodata,"a",@progbits
	.p2align	6, 0x0
	.amdhsa_kernel _ZN7rocprim17ROCPRIM_400000_NS6detail17trampoline_kernelINS0_14default_configENS1_25partition_config_selectorILNS1_17partition_subalgoE9EllbEEZZNS1_14partition_implILS5_9ELb0ES3_jPlS8_PNS0_10empty_typeENS0_5tupleIJS8_S9_EEENSB_IJS8_SA_EEENS0_18inequality_wrapperIZN2at6native12_GLOBAL__N_124unique_dim_cuda_templateIjEESt5tupleIJNSF_6TensorESK_SK_EERKSK_lbbbEUlllE0_EEPmJS9_EEE10hipError_tPvRmT3_T4_T5_T6_T7_T9_mT8_P12ihipStream_tbDpT10_ENKUlT_T0_E_clISt17integral_constantIbLb0EES19_IbLb1EEEEDaS15_S16_EUlS15_E_NS1_11comp_targetILNS1_3genE3ELNS1_11target_archE908ELNS1_3gpuE7ELNS1_3repE0EEENS1_30default_config_static_selectorELNS0_4arch9wavefront6targetE0EEEvT1_
		.amdhsa_group_segment_fixed_size 0
		.amdhsa_private_segment_fixed_size 0
		.amdhsa_kernarg_size 136
		.amdhsa_user_sgpr_count 15
		.amdhsa_user_sgpr_dispatch_ptr 0
		.amdhsa_user_sgpr_queue_ptr 0
		.amdhsa_user_sgpr_kernarg_segment_ptr 1
		.amdhsa_user_sgpr_dispatch_id 0
		.amdhsa_user_sgpr_private_segment_size 0
		.amdhsa_wavefront_size32 1
		.amdhsa_uses_dynamic_stack 0
		.amdhsa_enable_private_segment 0
		.amdhsa_system_sgpr_workgroup_id_x 1
		.amdhsa_system_sgpr_workgroup_id_y 0
		.amdhsa_system_sgpr_workgroup_id_z 0
		.amdhsa_system_sgpr_workgroup_info 0
		.amdhsa_system_vgpr_workitem_id 0
		.amdhsa_next_free_vgpr 1
		.amdhsa_next_free_sgpr 1
		.amdhsa_reserve_vcc 0
		.amdhsa_float_round_mode_32 0
		.amdhsa_float_round_mode_16_64 0
		.amdhsa_float_denorm_mode_32 3
		.amdhsa_float_denorm_mode_16_64 3
		.amdhsa_dx10_clamp 1
		.amdhsa_ieee_mode 1
		.amdhsa_fp16_overflow 0
		.amdhsa_workgroup_processor_mode 1
		.amdhsa_memory_ordered 1
		.amdhsa_forward_progress 0
		.amdhsa_shared_vgpr_count 0
		.amdhsa_exception_fp_ieee_invalid_op 0
		.amdhsa_exception_fp_denorm_src 0
		.amdhsa_exception_fp_ieee_div_zero 0
		.amdhsa_exception_fp_ieee_overflow 0
		.amdhsa_exception_fp_ieee_underflow 0
		.amdhsa_exception_fp_ieee_inexact 0
		.amdhsa_exception_int_div_zero 0
	.end_amdhsa_kernel
	.section	.text._ZN7rocprim17ROCPRIM_400000_NS6detail17trampoline_kernelINS0_14default_configENS1_25partition_config_selectorILNS1_17partition_subalgoE9EllbEEZZNS1_14partition_implILS5_9ELb0ES3_jPlS8_PNS0_10empty_typeENS0_5tupleIJS8_S9_EEENSB_IJS8_SA_EEENS0_18inequality_wrapperIZN2at6native12_GLOBAL__N_124unique_dim_cuda_templateIjEESt5tupleIJNSF_6TensorESK_SK_EERKSK_lbbbEUlllE0_EEPmJS9_EEE10hipError_tPvRmT3_T4_T5_T6_T7_T9_mT8_P12ihipStream_tbDpT10_ENKUlT_T0_E_clISt17integral_constantIbLb0EES19_IbLb1EEEEDaS15_S16_EUlS15_E_NS1_11comp_targetILNS1_3genE3ELNS1_11target_archE908ELNS1_3gpuE7ELNS1_3repE0EEENS1_30default_config_static_selectorELNS0_4arch9wavefront6targetE0EEEvT1_,"axG",@progbits,_ZN7rocprim17ROCPRIM_400000_NS6detail17trampoline_kernelINS0_14default_configENS1_25partition_config_selectorILNS1_17partition_subalgoE9EllbEEZZNS1_14partition_implILS5_9ELb0ES3_jPlS8_PNS0_10empty_typeENS0_5tupleIJS8_S9_EEENSB_IJS8_SA_EEENS0_18inequality_wrapperIZN2at6native12_GLOBAL__N_124unique_dim_cuda_templateIjEESt5tupleIJNSF_6TensorESK_SK_EERKSK_lbbbEUlllE0_EEPmJS9_EEE10hipError_tPvRmT3_T4_T5_T6_T7_T9_mT8_P12ihipStream_tbDpT10_ENKUlT_T0_E_clISt17integral_constantIbLb0EES19_IbLb1EEEEDaS15_S16_EUlS15_E_NS1_11comp_targetILNS1_3genE3ELNS1_11target_archE908ELNS1_3gpuE7ELNS1_3repE0EEENS1_30default_config_static_selectorELNS0_4arch9wavefront6targetE0EEEvT1_,comdat
.Lfunc_end1598:
	.size	_ZN7rocprim17ROCPRIM_400000_NS6detail17trampoline_kernelINS0_14default_configENS1_25partition_config_selectorILNS1_17partition_subalgoE9EllbEEZZNS1_14partition_implILS5_9ELb0ES3_jPlS8_PNS0_10empty_typeENS0_5tupleIJS8_S9_EEENSB_IJS8_SA_EEENS0_18inequality_wrapperIZN2at6native12_GLOBAL__N_124unique_dim_cuda_templateIjEESt5tupleIJNSF_6TensorESK_SK_EERKSK_lbbbEUlllE0_EEPmJS9_EEE10hipError_tPvRmT3_T4_T5_T6_T7_T9_mT8_P12ihipStream_tbDpT10_ENKUlT_T0_E_clISt17integral_constantIbLb0EES19_IbLb1EEEEDaS15_S16_EUlS15_E_NS1_11comp_targetILNS1_3genE3ELNS1_11target_archE908ELNS1_3gpuE7ELNS1_3repE0EEENS1_30default_config_static_selectorELNS0_4arch9wavefront6targetE0EEEvT1_, .Lfunc_end1598-_ZN7rocprim17ROCPRIM_400000_NS6detail17trampoline_kernelINS0_14default_configENS1_25partition_config_selectorILNS1_17partition_subalgoE9EllbEEZZNS1_14partition_implILS5_9ELb0ES3_jPlS8_PNS0_10empty_typeENS0_5tupleIJS8_S9_EEENSB_IJS8_SA_EEENS0_18inequality_wrapperIZN2at6native12_GLOBAL__N_124unique_dim_cuda_templateIjEESt5tupleIJNSF_6TensorESK_SK_EERKSK_lbbbEUlllE0_EEPmJS9_EEE10hipError_tPvRmT3_T4_T5_T6_T7_T9_mT8_P12ihipStream_tbDpT10_ENKUlT_T0_E_clISt17integral_constantIbLb0EES19_IbLb1EEEEDaS15_S16_EUlS15_E_NS1_11comp_targetILNS1_3genE3ELNS1_11target_archE908ELNS1_3gpuE7ELNS1_3repE0EEENS1_30default_config_static_selectorELNS0_4arch9wavefront6targetE0EEEvT1_
                                        ; -- End function
	.section	.AMDGPU.csdata,"",@progbits
; Kernel info:
; codeLenInByte = 0
; NumSgprs: 0
; NumVgprs: 0
; ScratchSize: 0
; MemoryBound: 0
; FloatMode: 240
; IeeeMode: 1
; LDSByteSize: 0 bytes/workgroup (compile time only)
; SGPRBlocks: 0
; VGPRBlocks: 0
; NumSGPRsForWavesPerEU: 1
; NumVGPRsForWavesPerEU: 1
; Occupancy: 16
; WaveLimiterHint : 0
; COMPUTE_PGM_RSRC2:SCRATCH_EN: 0
; COMPUTE_PGM_RSRC2:USER_SGPR: 15
; COMPUTE_PGM_RSRC2:TRAP_HANDLER: 0
; COMPUTE_PGM_RSRC2:TGID_X_EN: 1
; COMPUTE_PGM_RSRC2:TGID_Y_EN: 0
; COMPUTE_PGM_RSRC2:TGID_Z_EN: 0
; COMPUTE_PGM_RSRC2:TIDIG_COMP_CNT: 0
	.section	.text._ZN7rocprim17ROCPRIM_400000_NS6detail17trampoline_kernelINS0_14default_configENS1_25partition_config_selectorILNS1_17partition_subalgoE9EllbEEZZNS1_14partition_implILS5_9ELb0ES3_jPlS8_PNS0_10empty_typeENS0_5tupleIJS8_S9_EEENSB_IJS8_SA_EEENS0_18inequality_wrapperIZN2at6native12_GLOBAL__N_124unique_dim_cuda_templateIjEESt5tupleIJNSF_6TensorESK_SK_EERKSK_lbbbEUlllE0_EEPmJS9_EEE10hipError_tPvRmT3_T4_T5_T6_T7_T9_mT8_P12ihipStream_tbDpT10_ENKUlT_T0_E_clISt17integral_constantIbLb0EES19_IbLb1EEEEDaS15_S16_EUlS15_E_NS1_11comp_targetILNS1_3genE2ELNS1_11target_archE906ELNS1_3gpuE6ELNS1_3repE0EEENS1_30default_config_static_selectorELNS0_4arch9wavefront6targetE0EEEvT1_,"axG",@progbits,_ZN7rocprim17ROCPRIM_400000_NS6detail17trampoline_kernelINS0_14default_configENS1_25partition_config_selectorILNS1_17partition_subalgoE9EllbEEZZNS1_14partition_implILS5_9ELb0ES3_jPlS8_PNS0_10empty_typeENS0_5tupleIJS8_S9_EEENSB_IJS8_SA_EEENS0_18inequality_wrapperIZN2at6native12_GLOBAL__N_124unique_dim_cuda_templateIjEESt5tupleIJNSF_6TensorESK_SK_EERKSK_lbbbEUlllE0_EEPmJS9_EEE10hipError_tPvRmT3_T4_T5_T6_T7_T9_mT8_P12ihipStream_tbDpT10_ENKUlT_T0_E_clISt17integral_constantIbLb0EES19_IbLb1EEEEDaS15_S16_EUlS15_E_NS1_11comp_targetILNS1_3genE2ELNS1_11target_archE906ELNS1_3gpuE6ELNS1_3repE0EEENS1_30default_config_static_selectorELNS0_4arch9wavefront6targetE0EEEvT1_,comdat
	.globl	_ZN7rocprim17ROCPRIM_400000_NS6detail17trampoline_kernelINS0_14default_configENS1_25partition_config_selectorILNS1_17partition_subalgoE9EllbEEZZNS1_14partition_implILS5_9ELb0ES3_jPlS8_PNS0_10empty_typeENS0_5tupleIJS8_S9_EEENSB_IJS8_SA_EEENS0_18inequality_wrapperIZN2at6native12_GLOBAL__N_124unique_dim_cuda_templateIjEESt5tupleIJNSF_6TensorESK_SK_EERKSK_lbbbEUlllE0_EEPmJS9_EEE10hipError_tPvRmT3_T4_T5_T6_T7_T9_mT8_P12ihipStream_tbDpT10_ENKUlT_T0_E_clISt17integral_constantIbLb0EES19_IbLb1EEEEDaS15_S16_EUlS15_E_NS1_11comp_targetILNS1_3genE2ELNS1_11target_archE906ELNS1_3gpuE6ELNS1_3repE0EEENS1_30default_config_static_selectorELNS0_4arch9wavefront6targetE0EEEvT1_ ; -- Begin function _ZN7rocprim17ROCPRIM_400000_NS6detail17trampoline_kernelINS0_14default_configENS1_25partition_config_selectorILNS1_17partition_subalgoE9EllbEEZZNS1_14partition_implILS5_9ELb0ES3_jPlS8_PNS0_10empty_typeENS0_5tupleIJS8_S9_EEENSB_IJS8_SA_EEENS0_18inequality_wrapperIZN2at6native12_GLOBAL__N_124unique_dim_cuda_templateIjEESt5tupleIJNSF_6TensorESK_SK_EERKSK_lbbbEUlllE0_EEPmJS9_EEE10hipError_tPvRmT3_T4_T5_T6_T7_T9_mT8_P12ihipStream_tbDpT10_ENKUlT_T0_E_clISt17integral_constantIbLb0EES19_IbLb1EEEEDaS15_S16_EUlS15_E_NS1_11comp_targetILNS1_3genE2ELNS1_11target_archE906ELNS1_3gpuE6ELNS1_3repE0EEENS1_30default_config_static_selectorELNS0_4arch9wavefront6targetE0EEEvT1_
	.p2align	8
	.type	_ZN7rocprim17ROCPRIM_400000_NS6detail17trampoline_kernelINS0_14default_configENS1_25partition_config_selectorILNS1_17partition_subalgoE9EllbEEZZNS1_14partition_implILS5_9ELb0ES3_jPlS8_PNS0_10empty_typeENS0_5tupleIJS8_S9_EEENSB_IJS8_SA_EEENS0_18inequality_wrapperIZN2at6native12_GLOBAL__N_124unique_dim_cuda_templateIjEESt5tupleIJNSF_6TensorESK_SK_EERKSK_lbbbEUlllE0_EEPmJS9_EEE10hipError_tPvRmT3_T4_T5_T6_T7_T9_mT8_P12ihipStream_tbDpT10_ENKUlT_T0_E_clISt17integral_constantIbLb0EES19_IbLb1EEEEDaS15_S16_EUlS15_E_NS1_11comp_targetILNS1_3genE2ELNS1_11target_archE906ELNS1_3gpuE6ELNS1_3repE0EEENS1_30default_config_static_selectorELNS0_4arch9wavefront6targetE0EEEvT1_,@function
_ZN7rocprim17ROCPRIM_400000_NS6detail17trampoline_kernelINS0_14default_configENS1_25partition_config_selectorILNS1_17partition_subalgoE9EllbEEZZNS1_14partition_implILS5_9ELb0ES3_jPlS8_PNS0_10empty_typeENS0_5tupleIJS8_S9_EEENSB_IJS8_SA_EEENS0_18inequality_wrapperIZN2at6native12_GLOBAL__N_124unique_dim_cuda_templateIjEESt5tupleIJNSF_6TensorESK_SK_EERKSK_lbbbEUlllE0_EEPmJS9_EEE10hipError_tPvRmT3_T4_T5_T6_T7_T9_mT8_P12ihipStream_tbDpT10_ENKUlT_T0_E_clISt17integral_constantIbLb0EES19_IbLb1EEEEDaS15_S16_EUlS15_E_NS1_11comp_targetILNS1_3genE2ELNS1_11target_archE906ELNS1_3gpuE6ELNS1_3repE0EEENS1_30default_config_static_selectorELNS0_4arch9wavefront6targetE0EEEvT1_: ; @_ZN7rocprim17ROCPRIM_400000_NS6detail17trampoline_kernelINS0_14default_configENS1_25partition_config_selectorILNS1_17partition_subalgoE9EllbEEZZNS1_14partition_implILS5_9ELb0ES3_jPlS8_PNS0_10empty_typeENS0_5tupleIJS8_S9_EEENSB_IJS8_SA_EEENS0_18inequality_wrapperIZN2at6native12_GLOBAL__N_124unique_dim_cuda_templateIjEESt5tupleIJNSF_6TensorESK_SK_EERKSK_lbbbEUlllE0_EEPmJS9_EEE10hipError_tPvRmT3_T4_T5_T6_T7_T9_mT8_P12ihipStream_tbDpT10_ENKUlT_T0_E_clISt17integral_constantIbLb0EES19_IbLb1EEEEDaS15_S16_EUlS15_E_NS1_11comp_targetILNS1_3genE2ELNS1_11target_archE906ELNS1_3gpuE6ELNS1_3repE0EEENS1_30default_config_static_selectorELNS0_4arch9wavefront6targetE0EEEvT1_
; %bb.0:
	.section	.rodata,"a",@progbits
	.p2align	6, 0x0
	.amdhsa_kernel _ZN7rocprim17ROCPRIM_400000_NS6detail17trampoline_kernelINS0_14default_configENS1_25partition_config_selectorILNS1_17partition_subalgoE9EllbEEZZNS1_14partition_implILS5_9ELb0ES3_jPlS8_PNS0_10empty_typeENS0_5tupleIJS8_S9_EEENSB_IJS8_SA_EEENS0_18inequality_wrapperIZN2at6native12_GLOBAL__N_124unique_dim_cuda_templateIjEESt5tupleIJNSF_6TensorESK_SK_EERKSK_lbbbEUlllE0_EEPmJS9_EEE10hipError_tPvRmT3_T4_T5_T6_T7_T9_mT8_P12ihipStream_tbDpT10_ENKUlT_T0_E_clISt17integral_constantIbLb0EES19_IbLb1EEEEDaS15_S16_EUlS15_E_NS1_11comp_targetILNS1_3genE2ELNS1_11target_archE906ELNS1_3gpuE6ELNS1_3repE0EEENS1_30default_config_static_selectorELNS0_4arch9wavefront6targetE0EEEvT1_
		.amdhsa_group_segment_fixed_size 0
		.amdhsa_private_segment_fixed_size 0
		.amdhsa_kernarg_size 136
		.amdhsa_user_sgpr_count 15
		.amdhsa_user_sgpr_dispatch_ptr 0
		.amdhsa_user_sgpr_queue_ptr 0
		.amdhsa_user_sgpr_kernarg_segment_ptr 1
		.amdhsa_user_sgpr_dispatch_id 0
		.amdhsa_user_sgpr_private_segment_size 0
		.amdhsa_wavefront_size32 1
		.amdhsa_uses_dynamic_stack 0
		.amdhsa_enable_private_segment 0
		.amdhsa_system_sgpr_workgroup_id_x 1
		.amdhsa_system_sgpr_workgroup_id_y 0
		.amdhsa_system_sgpr_workgroup_id_z 0
		.amdhsa_system_sgpr_workgroup_info 0
		.amdhsa_system_vgpr_workitem_id 0
		.amdhsa_next_free_vgpr 1
		.amdhsa_next_free_sgpr 1
		.amdhsa_reserve_vcc 0
		.amdhsa_float_round_mode_32 0
		.amdhsa_float_round_mode_16_64 0
		.amdhsa_float_denorm_mode_32 3
		.amdhsa_float_denorm_mode_16_64 3
		.amdhsa_dx10_clamp 1
		.amdhsa_ieee_mode 1
		.amdhsa_fp16_overflow 0
		.amdhsa_workgroup_processor_mode 1
		.amdhsa_memory_ordered 1
		.amdhsa_forward_progress 0
		.amdhsa_shared_vgpr_count 0
		.amdhsa_exception_fp_ieee_invalid_op 0
		.amdhsa_exception_fp_denorm_src 0
		.amdhsa_exception_fp_ieee_div_zero 0
		.amdhsa_exception_fp_ieee_overflow 0
		.amdhsa_exception_fp_ieee_underflow 0
		.amdhsa_exception_fp_ieee_inexact 0
		.amdhsa_exception_int_div_zero 0
	.end_amdhsa_kernel
	.section	.text._ZN7rocprim17ROCPRIM_400000_NS6detail17trampoline_kernelINS0_14default_configENS1_25partition_config_selectorILNS1_17partition_subalgoE9EllbEEZZNS1_14partition_implILS5_9ELb0ES3_jPlS8_PNS0_10empty_typeENS0_5tupleIJS8_S9_EEENSB_IJS8_SA_EEENS0_18inequality_wrapperIZN2at6native12_GLOBAL__N_124unique_dim_cuda_templateIjEESt5tupleIJNSF_6TensorESK_SK_EERKSK_lbbbEUlllE0_EEPmJS9_EEE10hipError_tPvRmT3_T4_T5_T6_T7_T9_mT8_P12ihipStream_tbDpT10_ENKUlT_T0_E_clISt17integral_constantIbLb0EES19_IbLb1EEEEDaS15_S16_EUlS15_E_NS1_11comp_targetILNS1_3genE2ELNS1_11target_archE906ELNS1_3gpuE6ELNS1_3repE0EEENS1_30default_config_static_selectorELNS0_4arch9wavefront6targetE0EEEvT1_,"axG",@progbits,_ZN7rocprim17ROCPRIM_400000_NS6detail17trampoline_kernelINS0_14default_configENS1_25partition_config_selectorILNS1_17partition_subalgoE9EllbEEZZNS1_14partition_implILS5_9ELb0ES3_jPlS8_PNS0_10empty_typeENS0_5tupleIJS8_S9_EEENSB_IJS8_SA_EEENS0_18inequality_wrapperIZN2at6native12_GLOBAL__N_124unique_dim_cuda_templateIjEESt5tupleIJNSF_6TensorESK_SK_EERKSK_lbbbEUlllE0_EEPmJS9_EEE10hipError_tPvRmT3_T4_T5_T6_T7_T9_mT8_P12ihipStream_tbDpT10_ENKUlT_T0_E_clISt17integral_constantIbLb0EES19_IbLb1EEEEDaS15_S16_EUlS15_E_NS1_11comp_targetILNS1_3genE2ELNS1_11target_archE906ELNS1_3gpuE6ELNS1_3repE0EEENS1_30default_config_static_selectorELNS0_4arch9wavefront6targetE0EEEvT1_,comdat
.Lfunc_end1599:
	.size	_ZN7rocprim17ROCPRIM_400000_NS6detail17trampoline_kernelINS0_14default_configENS1_25partition_config_selectorILNS1_17partition_subalgoE9EllbEEZZNS1_14partition_implILS5_9ELb0ES3_jPlS8_PNS0_10empty_typeENS0_5tupleIJS8_S9_EEENSB_IJS8_SA_EEENS0_18inequality_wrapperIZN2at6native12_GLOBAL__N_124unique_dim_cuda_templateIjEESt5tupleIJNSF_6TensorESK_SK_EERKSK_lbbbEUlllE0_EEPmJS9_EEE10hipError_tPvRmT3_T4_T5_T6_T7_T9_mT8_P12ihipStream_tbDpT10_ENKUlT_T0_E_clISt17integral_constantIbLb0EES19_IbLb1EEEEDaS15_S16_EUlS15_E_NS1_11comp_targetILNS1_3genE2ELNS1_11target_archE906ELNS1_3gpuE6ELNS1_3repE0EEENS1_30default_config_static_selectorELNS0_4arch9wavefront6targetE0EEEvT1_, .Lfunc_end1599-_ZN7rocprim17ROCPRIM_400000_NS6detail17trampoline_kernelINS0_14default_configENS1_25partition_config_selectorILNS1_17partition_subalgoE9EllbEEZZNS1_14partition_implILS5_9ELb0ES3_jPlS8_PNS0_10empty_typeENS0_5tupleIJS8_S9_EEENSB_IJS8_SA_EEENS0_18inequality_wrapperIZN2at6native12_GLOBAL__N_124unique_dim_cuda_templateIjEESt5tupleIJNSF_6TensorESK_SK_EERKSK_lbbbEUlllE0_EEPmJS9_EEE10hipError_tPvRmT3_T4_T5_T6_T7_T9_mT8_P12ihipStream_tbDpT10_ENKUlT_T0_E_clISt17integral_constantIbLb0EES19_IbLb1EEEEDaS15_S16_EUlS15_E_NS1_11comp_targetILNS1_3genE2ELNS1_11target_archE906ELNS1_3gpuE6ELNS1_3repE0EEENS1_30default_config_static_selectorELNS0_4arch9wavefront6targetE0EEEvT1_
                                        ; -- End function
	.section	.AMDGPU.csdata,"",@progbits
; Kernel info:
; codeLenInByte = 0
; NumSgprs: 0
; NumVgprs: 0
; ScratchSize: 0
; MemoryBound: 0
; FloatMode: 240
; IeeeMode: 1
; LDSByteSize: 0 bytes/workgroup (compile time only)
; SGPRBlocks: 0
; VGPRBlocks: 0
; NumSGPRsForWavesPerEU: 1
; NumVGPRsForWavesPerEU: 1
; Occupancy: 15
; WaveLimiterHint : 0
; COMPUTE_PGM_RSRC2:SCRATCH_EN: 0
; COMPUTE_PGM_RSRC2:USER_SGPR: 15
; COMPUTE_PGM_RSRC2:TRAP_HANDLER: 0
; COMPUTE_PGM_RSRC2:TGID_X_EN: 1
; COMPUTE_PGM_RSRC2:TGID_Y_EN: 0
; COMPUTE_PGM_RSRC2:TGID_Z_EN: 0
; COMPUTE_PGM_RSRC2:TIDIG_COMP_CNT: 0
	.section	.text._ZN7rocprim17ROCPRIM_400000_NS6detail17trampoline_kernelINS0_14default_configENS1_25partition_config_selectorILNS1_17partition_subalgoE9EllbEEZZNS1_14partition_implILS5_9ELb0ES3_jPlS8_PNS0_10empty_typeENS0_5tupleIJS8_S9_EEENSB_IJS8_SA_EEENS0_18inequality_wrapperIZN2at6native12_GLOBAL__N_124unique_dim_cuda_templateIjEESt5tupleIJNSF_6TensorESK_SK_EERKSK_lbbbEUlllE0_EEPmJS9_EEE10hipError_tPvRmT3_T4_T5_T6_T7_T9_mT8_P12ihipStream_tbDpT10_ENKUlT_T0_E_clISt17integral_constantIbLb0EES19_IbLb1EEEEDaS15_S16_EUlS15_E_NS1_11comp_targetILNS1_3genE10ELNS1_11target_archE1200ELNS1_3gpuE4ELNS1_3repE0EEENS1_30default_config_static_selectorELNS0_4arch9wavefront6targetE0EEEvT1_,"axG",@progbits,_ZN7rocprim17ROCPRIM_400000_NS6detail17trampoline_kernelINS0_14default_configENS1_25partition_config_selectorILNS1_17partition_subalgoE9EllbEEZZNS1_14partition_implILS5_9ELb0ES3_jPlS8_PNS0_10empty_typeENS0_5tupleIJS8_S9_EEENSB_IJS8_SA_EEENS0_18inequality_wrapperIZN2at6native12_GLOBAL__N_124unique_dim_cuda_templateIjEESt5tupleIJNSF_6TensorESK_SK_EERKSK_lbbbEUlllE0_EEPmJS9_EEE10hipError_tPvRmT3_T4_T5_T6_T7_T9_mT8_P12ihipStream_tbDpT10_ENKUlT_T0_E_clISt17integral_constantIbLb0EES19_IbLb1EEEEDaS15_S16_EUlS15_E_NS1_11comp_targetILNS1_3genE10ELNS1_11target_archE1200ELNS1_3gpuE4ELNS1_3repE0EEENS1_30default_config_static_selectorELNS0_4arch9wavefront6targetE0EEEvT1_,comdat
	.globl	_ZN7rocprim17ROCPRIM_400000_NS6detail17trampoline_kernelINS0_14default_configENS1_25partition_config_selectorILNS1_17partition_subalgoE9EllbEEZZNS1_14partition_implILS5_9ELb0ES3_jPlS8_PNS0_10empty_typeENS0_5tupleIJS8_S9_EEENSB_IJS8_SA_EEENS0_18inequality_wrapperIZN2at6native12_GLOBAL__N_124unique_dim_cuda_templateIjEESt5tupleIJNSF_6TensorESK_SK_EERKSK_lbbbEUlllE0_EEPmJS9_EEE10hipError_tPvRmT3_T4_T5_T6_T7_T9_mT8_P12ihipStream_tbDpT10_ENKUlT_T0_E_clISt17integral_constantIbLb0EES19_IbLb1EEEEDaS15_S16_EUlS15_E_NS1_11comp_targetILNS1_3genE10ELNS1_11target_archE1200ELNS1_3gpuE4ELNS1_3repE0EEENS1_30default_config_static_selectorELNS0_4arch9wavefront6targetE0EEEvT1_ ; -- Begin function _ZN7rocprim17ROCPRIM_400000_NS6detail17trampoline_kernelINS0_14default_configENS1_25partition_config_selectorILNS1_17partition_subalgoE9EllbEEZZNS1_14partition_implILS5_9ELb0ES3_jPlS8_PNS0_10empty_typeENS0_5tupleIJS8_S9_EEENSB_IJS8_SA_EEENS0_18inequality_wrapperIZN2at6native12_GLOBAL__N_124unique_dim_cuda_templateIjEESt5tupleIJNSF_6TensorESK_SK_EERKSK_lbbbEUlllE0_EEPmJS9_EEE10hipError_tPvRmT3_T4_T5_T6_T7_T9_mT8_P12ihipStream_tbDpT10_ENKUlT_T0_E_clISt17integral_constantIbLb0EES19_IbLb1EEEEDaS15_S16_EUlS15_E_NS1_11comp_targetILNS1_3genE10ELNS1_11target_archE1200ELNS1_3gpuE4ELNS1_3repE0EEENS1_30default_config_static_selectorELNS0_4arch9wavefront6targetE0EEEvT1_
	.p2align	8
	.type	_ZN7rocprim17ROCPRIM_400000_NS6detail17trampoline_kernelINS0_14default_configENS1_25partition_config_selectorILNS1_17partition_subalgoE9EllbEEZZNS1_14partition_implILS5_9ELb0ES3_jPlS8_PNS0_10empty_typeENS0_5tupleIJS8_S9_EEENSB_IJS8_SA_EEENS0_18inequality_wrapperIZN2at6native12_GLOBAL__N_124unique_dim_cuda_templateIjEESt5tupleIJNSF_6TensorESK_SK_EERKSK_lbbbEUlllE0_EEPmJS9_EEE10hipError_tPvRmT3_T4_T5_T6_T7_T9_mT8_P12ihipStream_tbDpT10_ENKUlT_T0_E_clISt17integral_constantIbLb0EES19_IbLb1EEEEDaS15_S16_EUlS15_E_NS1_11comp_targetILNS1_3genE10ELNS1_11target_archE1200ELNS1_3gpuE4ELNS1_3repE0EEENS1_30default_config_static_selectorELNS0_4arch9wavefront6targetE0EEEvT1_,@function
_ZN7rocprim17ROCPRIM_400000_NS6detail17trampoline_kernelINS0_14default_configENS1_25partition_config_selectorILNS1_17partition_subalgoE9EllbEEZZNS1_14partition_implILS5_9ELb0ES3_jPlS8_PNS0_10empty_typeENS0_5tupleIJS8_S9_EEENSB_IJS8_SA_EEENS0_18inequality_wrapperIZN2at6native12_GLOBAL__N_124unique_dim_cuda_templateIjEESt5tupleIJNSF_6TensorESK_SK_EERKSK_lbbbEUlllE0_EEPmJS9_EEE10hipError_tPvRmT3_T4_T5_T6_T7_T9_mT8_P12ihipStream_tbDpT10_ENKUlT_T0_E_clISt17integral_constantIbLb0EES19_IbLb1EEEEDaS15_S16_EUlS15_E_NS1_11comp_targetILNS1_3genE10ELNS1_11target_archE1200ELNS1_3gpuE4ELNS1_3repE0EEENS1_30default_config_static_selectorELNS0_4arch9wavefront6targetE0EEEvT1_: ; @_ZN7rocprim17ROCPRIM_400000_NS6detail17trampoline_kernelINS0_14default_configENS1_25partition_config_selectorILNS1_17partition_subalgoE9EllbEEZZNS1_14partition_implILS5_9ELb0ES3_jPlS8_PNS0_10empty_typeENS0_5tupleIJS8_S9_EEENSB_IJS8_SA_EEENS0_18inequality_wrapperIZN2at6native12_GLOBAL__N_124unique_dim_cuda_templateIjEESt5tupleIJNSF_6TensorESK_SK_EERKSK_lbbbEUlllE0_EEPmJS9_EEE10hipError_tPvRmT3_T4_T5_T6_T7_T9_mT8_P12ihipStream_tbDpT10_ENKUlT_T0_E_clISt17integral_constantIbLb0EES19_IbLb1EEEEDaS15_S16_EUlS15_E_NS1_11comp_targetILNS1_3genE10ELNS1_11target_archE1200ELNS1_3gpuE4ELNS1_3repE0EEENS1_30default_config_static_selectorELNS0_4arch9wavefront6targetE0EEEvT1_
; %bb.0:
	.section	.rodata,"a",@progbits
	.p2align	6, 0x0
	.amdhsa_kernel _ZN7rocprim17ROCPRIM_400000_NS6detail17trampoline_kernelINS0_14default_configENS1_25partition_config_selectorILNS1_17partition_subalgoE9EllbEEZZNS1_14partition_implILS5_9ELb0ES3_jPlS8_PNS0_10empty_typeENS0_5tupleIJS8_S9_EEENSB_IJS8_SA_EEENS0_18inequality_wrapperIZN2at6native12_GLOBAL__N_124unique_dim_cuda_templateIjEESt5tupleIJNSF_6TensorESK_SK_EERKSK_lbbbEUlllE0_EEPmJS9_EEE10hipError_tPvRmT3_T4_T5_T6_T7_T9_mT8_P12ihipStream_tbDpT10_ENKUlT_T0_E_clISt17integral_constantIbLb0EES19_IbLb1EEEEDaS15_S16_EUlS15_E_NS1_11comp_targetILNS1_3genE10ELNS1_11target_archE1200ELNS1_3gpuE4ELNS1_3repE0EEENS1_30default_config_static_selectorELNS0_4arch9wavefront6targetE0EEEvT1_
		.amdhsa_group_segment_fixed_size 0
		.amdhsa_private_segment_fixed_size 0
		.amdhsa_kernarg_size 136
		.amdhsa_user_sgpr_count 15
		.amdhsa_user_sgpr_dispatch_ptr 0
		.amdhsa_user_sgpr_queue_ptr 0
		.amdhsa_user_sgpr_kernarg_segment_ptr 1
		.amdhsa_user_sgpr_dispatch_id 0
		.amdhsa_user_sgpr_private_segment_size 0
		.amdhsa_wavefront_size32 1
		.amdhsa_uses_dynamic_stack 0
		.amdhsa_enable_private_segment 0
		.amdhsa_system_sgpr_workgroup_id_x 1
		.amdhsa_system_sgpr_workgroup_id_y 0
		.amdhsa_system_sgpr_workgroup_id_z 0
		.amdhsa_system_sgpr_workgroup_info 0
		.amdhsa_system_vgpr_workitem_id 0
		.amdhsa_next_free_vgpr 1
		.amdhsa_next_free_sgpr 1
		.amdhsa_reserve_vcc 0
		.amdhsa_float_round_mode_32 0
		.amdhsa_float_round_mode_16_64 0
		.amdhsa_float_denorm_mode_32 3
		.amdhsa_float_denorm_mode_16_64 3
		.amdhsa_dx10_clamp 1
		.amdhsa_ieee_mode 1
		.amdhsa_fp16_overflow 0
		.amdhsa_workgroup_processor_mode 1
		.amdhsa_memory_ordered 1
		.amdhsa_forward_progress 0
		.amdhsa_shared_vgpr_count 0
		.amdhsa_exception_fp_ieee_invalid_op 0
		.amdhsa_exception_fp_denorm_src 0
		.amdhsa_exception_fp_ieee_div_zero 0
		.amdhsa_exception_fp_ieee_overflow 0
		.amdhsa_exception_fp_ieee_underflow 0
		.amdhsa_exception_fp_ieee_inexact 0
		.amdhsa_exception_int_div_zero 0
	.end_amdhsa_kernel
	.section	.text._ZN7rocprim17ROCPRIM_400000_NS6detail17trampoline_kernelINS0_14default_configENS1_25partition_config_selectorILNS1_17partition_subalgoE9EllbEEZZNS1_14partition_implILS5_9ELb0ES3_jPlS8_PNS0_10empty_typeENS0_5tupleIJS8_S9_EEENSB_IJS8_SA_EEENS0_18inequality_wrapperIZN2at6native12_GLOBAL__N_124unique_dim_cuda_templateIjEESt5tupleIJNSF_6TensorESK_SK_EERKSK_lbbbEUlllE0_EEPmJS9_EEE10hipError_tPvRmT3_T4_T5_T6_T7_T9_mT8_P12ihipStream_tbDpT10_ENKUlT_T0_E_clISt17integral_constantIbLb0EES19_IbLb1EEEEDaS15_S16_EUlS15_E_NS1_11comp_targetILNS1_3genE10ELNS1_11target_archE1200ELNS1_3gpuE4ELNS1_3repE0EEENS1_30default_config_static_selectorELNS0_4arch9wavefront6targetE0EEEvT1_,"axG",@progbits,_ZN7rocprim17ROCPRIM_400000_NS6detail17trampoline_kernelINS0_14default_configENS1_25partition_config_selectorILNS1_17partition_subalgoE9EllbEEZZNS1_14partition_implILS5_9ELb0ES3_jPlS8_PNS0_10empty_typeENS0_5tupleIJS8_S9_EEENSB_IJS8_SA_EEENS0_18inequality_wrapperIZN2at6native12_GLOBAL__N_124unique_dim_cuda_templateIjEESt5tupleIJNSF_6TensorESK_SK_EERKSK_lbbbEUlllE0_EEPmJS9_EEE10hipError_tPvRmT3_T4_T5_T6_T7_T9_mT8_P12ihipStream_tbDpT10_ENKUlT_T0_E_clISt17integral_constantIbLb0EES19_IbLb1EEEEDaS15_S16_EUlS15_E_NS1_11comp_targetILNS1_3genE10ELNS1_11target_archE1200ELNS1_3gpuE4ELNS1_3repE0EEENS1_30default_config_static_selectorELNS0_4arch9wavefront6targetE0EEEvT1_,comdat
.Lfunc_end1600:
	.size	_ZN7rocprim17ROCPRIM_400000_NS6detail17trampoline_kernelINS0_14default_configENS1_25partition_config_selectorILNS1_17partition_subalgoE9EllbEEZZNS1_14partition_implILS5_9ELb0ES3_jPlS8_PNS0_10empty_typeENS0_5tupleIJS8_S9_EEENSB_IJS8_SA_EEENS0_18inequality_wrapperIZN2at6native12_GLOBAL__N_124unique_dim_cuda_templateIjEESt5tupleIJNSF_6TensorESK_SK_EERKSK_lbbbEUlllE0_EEPmJS9_EEE10hipError_tPvRmT3_T4_T5_T6_T7_T9_mT8_P12ihipStream_tbDpT10_ENKUlT_T0_E_clISt17integral_constantIbLb0EES19_IbLb1EEEEDaS15_S16_EUlS15_E_NS1_11comp_targetILNS1_3genE10ELNS1_11target_archE1200ELNS1_3gpuE4ELNS1_3repE0EEENS1_30default_config_static_selectorELNS0_4arch9wavefront6targetE0EEEvT1_, .Lfunc_end1600-_ZN7rocprim17ROCPRIM_400000_NS6detail17trampoline_kernelINS0_14default_configENS1_25partition_config_selectorILNS1_17partition_subalgoE9EllbEEZZNS1_14partition_implILS5_9ELb0ES3_jPlS8_PNS0_10empty_typeENS0_5tupleIJS8_S9_EEENSB_IJS8_SA_EEENS0_18inequality_wrapperIZN2at6native12_GLOBAL__N_124unique_dim_cuda_templateIjEESt5tupleIJNSF_6TensorESK_SK_EERKSK_lbbbEUlllE0_EEPmJS9_EEE10hipError_tPvRmT3_T4_T5_T6_T7_T9_mT8_P12ihipStream_tbDpT10_ENKUlT_T0_E_clISt17integral_constantIbLb0EES19_IbLb1EEEEDaS15_S16_EUlS15_E_NS1_11comp_targetILNS1_3genE10ELNS1_11target_archE1200ELNS1_3gpuE4ELNS1_3repE0EEENS1_30default_config_static_selectorELNS0_4arch9wavefront6targetE0EEEvT1_
                                        ; -- End function
	.section	.AMDGPU.csdata,"",@progbits
; Kernel info:
; codeLenInByte = 0
; NumSgprs: 0
; NumVgprs: 0
; ScratchSize: 0
; MemoryBound: 0
; FloatMode: 240
; IeeeMode: 1
; LDSByteSize: 0 bytes/workgroup (compile time only)
; SGPRBlocks: 0
; VGPRBlocks: 0
; NumSGPRsForWavesPerEU: 1
; NumVGPRsForWavesPerEU: 1
; Occupancy: 15
; WaveLimiterHint : 0
; COMPUTE_PGM_RSRC2:SCRATCH_EN: 0
; COMPUTE_PGM_RSRC2:USER_SGPR: 15
; COMPUTE_PGM_RSRC2:TRAP_HANDLER: 0
; COMPUTE_PGM_RSRC2:TGID_X_EN: 1
; COMPUTE_PGM_RSRC2:TGID_Y_EN: 0
; COMPUTE_PGM_RSRC2:TGID_Z_EN: 0
; COMPUTE_PGM_RSRC2:TIDIG_COMP_CNT: 0
	.section	.text._ZN7rocprim17ROCPRIM_400000_NS6detail17trampoline_kernelINS0_14default_configENS1_25partition_config_selectorILNS1_17partition_subalgoE9EllbEEZZNS1_14partition_implILS5_9ELb0ES3_jPlS8_PNS0_10empty_typeENS0_5tupleIJS8_S9_EEENSB_IJS8_SA_EEENS0_18inequality_wrapperIZN2at6native12_GLOBAL__N_124unique_dim_cuda_templateIjEESt5tupleIJNSF_6TensorESK_SK_EERKSK_lbbbEUlllE0_EEPmJS9_EEE10hipError_tPvRmT3_T4_T5_T6_T7_T9_mT8_P12ihipStream_tbDpT10_ENKUlT_T0_E_clISt17integral_constantIbLb0EES19_IbLb1EEEEDaS15_S16_EUlS15_E_NS1_11comp_targetILNS1_3genE9ELNS1_11target_archE1100ELNS1_3gpuE3ELNS1_3repE0EEENS1_30default_config_static_selectorELNS0_4arch9wavefront6targetE0EEEvT1_,"axG",@progbits,_ZN7rocprim17ROCPRIM_400000_NS6detail17trampoline_kernelINS0_14default_configENS1_25partition_config_selectorILNS1_17partition_subalgoE9EllbEEZZNS1_14partition_implILS5_9ELb0ES3_jPlS8_PNS0_10empty_typeENS0_5tupleIJS8_S9_EEENSB_IJS8_SA_EEENS0_18inequality_wrapperIZN2at6native12_GLOBAL__N_124unique_dim_cuda_templateIjEESt5tupleIJNSF_6TensorESK_SK_EERKSK_lbbbEUlllE0_EEPmJS9_EEE10hipError_tPvRmT3_T4_T5_T6_T7_T9_mT8_P12ihipStream_tbDpT10_ENKUlT_T0_E_clISt17integral_constantIbLb0EES19_IbLb1EEEEDaS15_S16_EUlS15_E_NS1_11comp_targetILNS1_3genE9ELNS1_11target_archE1100ELNS1_3gpuE3ELNS1_3repE0EEENS1_30default_config_static_selectorELNS0_4arch9wavefront6targetE0EEEvT1_,comdat
	.globl	_ZN7rocprim17ROCPRIM_400000_NS6detail17trampoline_kernelINS0_14default_configENS1_25partition_config_selectorILNS1_17partition_subalgoE9EllbEEZZNS1_14partition_implILS5_9ELb0ES3_jPlS8_PNS0_10empty_typeENS0_5tupleIJS8_S9_EEENSB_IJS8_SA_EEENS0_18inequality_wrapperIZN2at6native12_GLOBAL__N_124unique_dim_cuda_templateIjEESt5tupleIJNSF_6TensorESK_SK_EERKSK_lbbbEUlllE0_EEPmJS9_EEE10hipError_tPvRmT3_T4_T5_T6_T7_T9_mT8_P12ihipStream_tbDpT10_ENKUlT_T0_E_clISt17integral_constantIbLb0EES19_IbLb1EEEEDaS15_S16_EUlS15_E_NS1_11comp_targetILNS1_3genE9ELNS1_11target_archE1100ELNS1_3gpuE3ELNS1_3repE0EEENS1_30default_config_static_selectorELNS0_4arch9wavefront6targetE0EEEvT1_ ; -- Begin function _ZN7rocprim17ROCPRIM_400000_NS6detail17trampoline_kernelINS0_14default_configENS1_25partition_config_selectorILNS1_17partition_subalgoE9EllbEEZZNS1_14partition_implILS5_9ELb0ES3_jPlS8_PNS0_10empty_typeENS0_5tupleIJS8_S9_EEENSB_IJS8_SA_EEENS0_18inequality_wrapperIZN2at6native12_GLOBAL__N_124unique_dim_cuda_templateIjEESt5tupleIJNSF_6TensorESK_SK_EERKSK_lbbbEUlllE0_EEPmJS9_EEE10hipError_tPvRmT3_T4_T5_T6_T7_T9_mT8_P12ihipStream_tbDpT10_ENKUlT_T0_E_clISt17integral_constantIbLb0EES19_IbLb1EEEEDaS15_S16_EUlS15_E_NS1_11comp_targetILNS1_3genE9ELNS1_11target_archE1100ELNS1_3gpuE3ELNS1_3repE0EEENS1_30default_config_static_selectorELNS0_4arch9wavefront6targetE0EEEvT1_
	.p2align	8
	.type	_ZN7rocprim17ROCPRIM_400000_NS6detail17trampoline_kernelINS0_14default_configENS1_25partition_config_selectorILNS1_17partition_subalgoE9EllbEEZZNS1_14partition_implILS5_9ELb0ES3_jPlS8_PNS0_10empty_typeENS0_5tupleIJS8_S9_EEENSB_IJS8_SA_EEENS0_18inequality_wrapperIZN2at6native12_GLOBAL__N_124unique_dim_cuda_templateIjEESt5tupleIJNSF_6TensorESK_SK_EERKSK_lbbbEUlllE0_EEPmJS9_EEE10hipError_tPvRmT3_T4_T5_T6_T7_T9_mT8_P12ihipStream_tbDpT10_ENKUlT_T0_E_clISt17integral_constantIbLb0EES19_IbLb1EEEEDaS15_S16_EUlS15_E_NS1_11comp_targetILNS1_3genE9ELNS1_11target_archE1100ELNS1_3gpuE3ELNS1_3repE0EEENS1_30default_config_static_selectorELNS0_4arch9wavefront6targetE0EEEvT1_,@function
_ZN7rocprim17ROCPRIM_400000_NS6detail17trampoline_kernelINS0_14default_configENS1_25partition_config_selectorILNS1_17partition_subalgoE9EllbEEZZNS1_14partition_implILS5_9ELb0ES3_jPlS8_PNS0_10empty_typeENS0_5tupleIJS8_S9_EEENSB_IJS8_SA_EEENS0_18inequality_wrapperIZN2at6native12_GLOBAL__N_124unique_dim_cuda_templateIjEESt5tupleIJNSF_6TensorESK_SK_EERKSK_lbbbEUlllE0_EEPmJS9_EEE10hipError_tPvRmT3_T4_T5_T6_T7_T9_mT8_P12ihipStream_tbDpT10_ENKUlT_T0_E_clISt17integral_constantIbLb0EES19_IbLb1EEEEDaS15_S16_EUlS15_E_NS1_11comp_targetILNS1_3genE9ELNS1_11target_archE1100ELNS1_3gpuE3ELNS1_3repE0EEENS1_30default_config_static_selectorELNS0_4arch9wavefront6targetE0EEEvT1_: ; @_ZN7rocprim17ROCPRIM_400000_NS6detail17trampoline_kernelINS0_14default_configENS1_25partition_config_selectorILNS1_17partition_subalgoE9EllbEEZZNS1_14partition_implILS5_9ELb0ES3_jPlS8_PNS0_10empty_typeENS0_5tupleIJS8_S9_EEENSB_IJS8_SA_EEENS0_18inequality_wrapperIZN2at6native12_GLOBAL__N_124unique_dim_cuda_templateIjEESt5tupleIJNSF_6TensorESK_SK_EERKSK_lbbbEUlllE0_EEPmJS9_EEE10hipError_tPvRmT3_T4_T5_T6_T7_T9_mT8_P12ihipStream_tbDpT10_ENKUlT_T0_E_clISt17integral_constantIbLb0EES19_IbLb1EEEEDaS15_S16_EUlS15_E_NS1_11comp_targetILNS1_3genE9ELNS1_11target_archE1100ELNS1_3gpuE3ELNS1_3repE0EEENS1_30default_config_static_selectorELNS0_4arch9wavefront6targetE0EEEvT1_
; %bb.0:
	s_clause 0x3
	s_load_b128 s[4:7], s[0:1], 0x8
	s_load_b64 s[24:25], s[0:1], 0x18
	s_load_b256 s[8:15], s[0:1], 0x40
	s_load_b128 s[20:23], s[0:1], 0x60
	v_cmp_ne_u32_e64 s3, 0, v0
	v_cmp_eq_u32_e64 s2, 0, v0
	s_delay_alu instid0(VALU_DEP_1)
	s_and_saveexec_b32 s16, s2
	s_cbranch_execz .LBB1601_4
; %bb.1:
	s_mov_b32 s18, exec_lo
	s_mov_b32 s17, exec_lo
	v_mbcnt_lo_u32_b32 v1, s18, 0
                                        ; implicit-def: $vgpr2
	s_delay_alu instid0(VALU_DEP_1)
	v_cmpx_eq_u32_e32 0, v1
	s_cbranch_execz .LBB1601_3
; %bb.2:
	s_load_b64 s[26:27], s[0:1], 0x78
	s_bcnt1_i32_b32 s18, s18
	s_delay_alu instid0(SALU_CYCLE_1)
	v_dual_mov_b32 v2, 0 :: v_dual_mov_b32 v3, s18
	s_waitcnt lgkmcnt(0)
	global_atomic_add_u32 v2, v2, v3, s[26:27] glc
.LBB1601_3:
	s_or_b32 exec_lo, exec_lo, s17
	s_waitcnt vmcnt(0)
	v_readfirstlane_b32 s17, v2
	s_delay_alu instid0(VALU_DEP_1)
	v_dual_mov_b32 v2, 0 :: v_dual_add_nc_u32 v1, s17, v1
	ds_store_b32 v2, v1
.LBB1601_4:
	s_or_b32 exec_lo, exec_lo, s16
	v_mov_b32_e32 v1, 0
	s_clause 0x1
	s_load_b128 s[16:19], s[0:1], 0x28
	s_load_b32 s0, s[0:1], 0x70
	s_waitcnt lgkmcnt(0)
	s_barrier
	buffer_gl0_inv
	ds_load_b32 v3, v1
	s_waitcnt lgkmcnt(0)
	s_barrier
	buffer_gl0_inv
	global_load_b64 v[1:2], v1, s[10:11]
	s_lshl_b64 s[26:27], s[6:7], 3
	s_mov_b32 s1, 0
	s_add_u32 s10, s4, s26
	s_addc_u32 s11, s5, s27
	v_lshlrev_b32_e32 v55, 3, v0
	v_lshrrev_b32_e32 v34, 2, v0
	v_or_b32_e32 v39, 0x200, v0
	v_or_b32_e32 v38, 0x400, v0
	;; [unrolled: 1-line block ×5, first 2 shown]
	s_add_i32 s28, s0, -1
	s_lshl_b32 s5, s0, 12
	s_lshl_b32 s4, s28, 12
	v_or_b32_e32 v33, 0xc00, v0
	v_readfirstlane_b32 s30, v3
	s_add_i32 s4, s6, s4
	v_or_b32_e32 v36, 0xe00, v0
	s_sub_i32 s31, s12, s4
	s_delay_alu instid0(VALU_DEP_2)
	s_lshl_b32 s0, s30, 12
	s_add_u32 s4, s6, s5
	s_addc_u32 s5, s7, 0
	s_cmp_eq_u32 s30, s28
	v_cmp_ge_u64_e64 s4, s[4:5], s[12:13]
	s_cselect_b32 s28, -1, 0
	s_lshl_b64 s[12:13], s[0:1], 3
	s_mov_b32 s1, -1
	s_delay_alu instid0(VALU_DEP_1) | instskip(NEXT) | instid1(SALU_CYCLE_1)
	s_and_b32 s33, s4, s28
	s_xor_b32 s29, s33, -1
	s_add_u32 s4, s10, s12
	s_addc_u32 s5, s11, s13
	s_and_b32 vcc_lo, exec_lo, s29
	s_waitcnt vmcnt(0)
	v_readfirstlane_b32 s10, v1
	v_readfirstlane_b32 s11, v2
	s_cbranch_vccz .LBB1601_6
; %bb.5:
	v_add_co_u32 v9, s0, s4, v55
	s_delay_alu instid0(VALU_DEP_1)
	v_add_co_ci_u32_e64 v10, null, s5, 0, s0
	global_load_b64 v[1:2], v55, s[4:5]
	v_add_co_u32 v3, vcc_lo, v9, 0x2000
	v_add_co_ci_u32_e32 v4, vcc_lo, 0, v10, vcc_lo
	v_add_co_u32 v5, vcc_lo, v9, 0x4000
	v_add_co_ci_u32_e32 v6, vcc_lo, 0, v10, vcc_lo
	;; [unrolled: 2-line block ×4, first 2 shown]
	s_clause 0x6
	global_load_b64 v[11:12], v[3:4], off offset:-4096
	global_load_b64 v[3:4], v[3:4], off
	global_load_b64 v[13:14], v[5:6], off offset:-4096
	global_load_b64 v[5:6], v[5:6], off
	;; [unrolled: 2-line block ×3, first 2 shown]
	global_load_b64 v[9:10], v[9:10], off
	v_lshrrev_b32_e32 v18, 2, v39
	v_lshrrev_b32_e32 v19, 2, v38
	;; [unrolled: 1-line block ×4, first 2 shown]
	v_and_b32_e32 v17, 0x78, v34
	v_lshrrev_b32_e32 v22, 2, v35
	v_lshrrev_b32_e32 v23, 2, v33
	;; [unrolled: 1-line block ×3, first 2 shown]
	v_and_b32_e32 v18, 0xf8, v18
	v_and_b32_e32 v19, 0x178, v19
	;; [unrolled: 1-line block ×4, first 2 shown]
	v_add_nc_u32_e32 v17, v17, v55
	v_and_b32_e32 v22, 0x2f8, v22
	v_and_b32_e32 v23, 0x378, v23
	;; [unrolled: 1-line block ×3, first 2 shown]
	v_add_nc_u32_e32 v18, v18, v55
	v_add_nc_u32_e32 v19, v19, v55
	;; [unrolled: 1-line block ×4, first 2 shown]
	s_mov_b32 s1, 0
	v_add_nc_u32_e32 v22, v22, v55
	v_add_nc_u32_e32 v23, v23, v55
	;; [unrolled: 1-line block ×3, first 2 shown]
	s_waitcnt vmcnt(7)
	ds_store_b64 v17, v[1:2]
	s_waitcnt vmcnt(6)
	ds_store_b64 v18, v[11:12] offset:4096
	s_waitcnt vmcnt(5)
	ds_store_b64 v19, v[3:4] offset:8192
	;; [unrolled: 2-line block ×7, first 2 shown]
	s_waitcnt lgkmcnt(0)
	s_barrier
.LBB1601_6:
	v_cmp_gt_u32_e64 s0, s31, v0
	s_and_not1_b32 vcc_lo, exec_lo, s1
	s_cbranch_vccnz .LBB1601_24
; %bb.7:
                                        ; implicit-def: $vgpr1_vgpr2_vgpr3_vgpr4_vgpr5_vgpr6_vgpr7_vgpr8_vgpr9_vgpr10_vgpr11_vgpr12_vgpr13_vgpr14_vgpr15_vgpr16
	s_delay_alu instid0(VALU_DEP_1)
	s_and_saveexec_b32 s1, s0
	s_cbranch_execz .LBB1601_15
; %bb.8:
	global_load_b64 v[1:2], v55, s[4:5]
	s_or_b32 exec_lo, exec_lo, s1
	s_delay_alu instid0(SALU_CYCLE_1)
	s_mov_b32 s0, exec_lo
	v_cmpx_gt_u32_e64 s31, v39
	s_cbranch_execnz .LBB1601_16
.LBB1601_9:
	s_or_b32 exec_lo, exec_lo, s0
	s_delay_alu instid0(SALU_CYCLE_1)
	s_mov_b32 s0, exec_lo
	v_cmpx_gt_u32_e64 s31, v38
	s_cbranch_execz .LBB1601_17
.LBB1601_10:
	v_lshlrev_b32_e32 v5, 3, v38
	global_load_b64 v[5:6], v5, s[4:5]
	s_or_b32 exec_lo, exec_lo, s0
	s_delay_alu instid0(SALU_CYCLE_1)
	s_mov_b32 s0, exec_lo
	v_cmpx_gt_u32_e64 s31, v40
	s_cbranch_execnz .LBB1601_18
.LBB1601_11:
	s_or_b32 exec_lo, exec_lo, s0
	s_delay_alu instid0(SALU_CYCLE_1)
	s_mov_b32 s0, exec_lo
	v_cmpx_gt_u32_e64 s31, v37
	s_cbranch_execz .LBB1601_19
.LBB1601_12:
	v_lshlrev_b32_e32 v9, 3, v37
	global_load_b64 v[9:10], v9, s[4:5]
	s_or_b32 exec_lo, exec_lo, s0
	s_delay_alu instid0(SALU_CYCLE_1)
	s_mov_b32 s0, exec_lo
	v_cmpx_gt_u32_e64 s31, v35
	s_cbranch_execnz .LBB1601_20
.LBB1601_13:
	s_or_b32 exec_lo, exec_lo, s0
	s_delay_alu instid0(SALU_CYCLE_1)
	s_mov_b32 s0, exec_lo
	v_cmpx_gt_u32_e64 s31, v33
	s_cbranch_execz .LBB1601_21
.LBB1601_14:
	v_lshlrev_b32_e32 v13, 3, v33
	global_load_b64 v[13:14], v13, s[4:5]
	s_or_b32 exec_lo, exec_lo, s0
	s_delay_alu instid0(SALU_CYCLE_1)
	s_mov_b32 s0, exec_lo
	v_cmpx_gt_u32_e64 s31, v36
	s_cbranch_execnz .LBB1601_22
	s_branch .LBB1601_23
.LBB1601_15:
	s_or_b32 exec_lo, exec_lo, s1
	s_delay_alu instid0(SALU_CYCLE_1)
	s_mov_b32 s0, exec_lo
	v_cmpx_gt_u32_e64 s31, v39
	s_cbranch_execz .LBB1601_9
.LBB1601_16:
	v_lshlrev_b32_e32 v3, 3, v39
	global_load_b64 v[3:4], v3, s[4:5]
	s_or_b32 exec_lo, exec_lo, s0
	s_delay_alu instid0(SALU_CYCLE_1)
	s_mov_b32 s0, exec_lo
	v_cmpx_gt_u32_e64 s31, v38
	s_cbranch_execnz .LBB1601_10
.LBB1601_17:
	s_or_b32 exec_lo, exec_lo, s0
	s_delay_alu instid0(SALU_CYCLE_1)
	s_mov_b32 s0, exec_lo
	v_cmpx_gt_u32_e64 s31, v40
	s_cbranch_execz .LBB1601_11
.LBB1601_18:
	v_lshlrev_b32_e32 v7, 3, v40
	global_load_b64 v[7:8], v7, s[4:5]
	s_or_b32 exec_lo, exec_lo, s0
	s_delay_alu instid0(SALU_CYCLE_1)
	s_mov_b32 s0, exec_lo
	v_cmpx_gt_u32_e64 s31, v37
	s_cbranch_execnz .LBB1601_12
.LBB1601_19:
	s_or_b32 exec_lo, exec_lo, s0
	s_delay_alu instid0(SALU_CYCLE_1)
	s_mov_b32 s0, exec_lo
	v_cmpx_gt_u32_e64 s31, v35
	s_cbranch_execz .LBB1601_13
.LBB1601_20:
	v_lshlrev_b32_e32 v11, 3, v35
	global_load_b64 v[11:12], v11, s[4:5]
	s_or_b32 exec_lo, exec_lo, s0
	s_delay_alu instid0(SALU_CYCLE_1)
	s_mov_b32 s0, exec_lo
	v_cmpx_gt_u32_e64 s31, v33
	s_cbranch_execnz .LBB1601_14
.LBB1601_21:
	s_or_b32 exec_lo, exec_lo, s0
	s_delay_alu instid0(SALU_CYCLE_1)
	s_mov_b32 s0, exec_lo
	v_cmpx_gt_u32_e64 s31, v36
	s_cbranch_execz .LBB1601_23
.LBB1601_22:
	v_lshlrev_b32_e32 v15, 3, v36
	global_load_b64 v[15:16], v15, s[4:5]
.LBB1601_23:
	s_or_b32 exec_lo, exec_lo, s0
	v_lshrrev_b32_e32 v17, 2, v39
	v_lshrrev_b32_e32 v18, 2, v38
	;; [unrolled: 1-line block ×4, first 2 shown]
	v_and_b32_e32 v19, 0x78, v34
	v_lshrrev_b32_e32 v22, 2, v35
	v_lshrrev_b32_e32 v23, 2, v33
	;; [unrolled: 1-line block ×3, first 2 shown]
	v_and_b32_e32 v17, 0xf8, v17
	v_and_b32_e32 v18, 0x1f8, v18
	;; [unrolled: 1-line block ×4, first 2 shown]
	v_add_nc_u32_e32 v19, v19, v55
	v_and_b32_e32 v22, 0x3f8, v22
	v_and_b32_e32 v23, 0x3f8, v23
	;; [unrolled: 1-line block ×3, first 2 shown]
	v_add_nc_u32_e32 v17, v17, v55
	v_add_nc_u32_e32 v18, v18, v55
	v_add_nc_u32_e32 v20, v20, v55
	v_add_nc_u32_e32 v21, v21, v55
	v_add_nc_u32_e32 v22, v22, v55
	v_add_nc_u32_e32 v23, v23, v55
	v_add_nc_u32_e32 v24, v24, v55
	s_waitcnt vmcnt(0)
	ds_store_b64 v19, v[1:2]
	ds_store_b64 v17, v[3:4] offset:4096
	ds_store_b64 v18, v[5:6] offset:8192
	;; [unrolled: 1-line block ×7, first 2 shown]
	s_waitcnt lgkmcnt(0)
	s_barrier
.LBB1601_24:
	v_add_lshl_u32 v41, v34, v55, 3
	buffer_gl0_inv
	s_add_u32 s0, s24, s26
	s_addc_u32 s1, s25, s27
	s_add_u32 s0, s0, s12
	ds_load_2addr_b64 v[29:32], v41 offset1:1
	ds_load_2addr_b64 v[25:28], v41 offset0:2 offset1:3
	ds_load_2addr_b64 v[21:24], v41 offset0:4 offset1:5
	;; [unrolled: 1-line block ×3, first 2 shown]
	s_addc_u32 s1, s1, s13
	s_and_b32 vcc_lo, exec_lo, s29
	s_mov_b32 s12, -1
	s_waitcnt lgkmcnt(0)
	s_barrier
	buffer_gl0_inv
	s_cbranch_vccz .LBB1601_26
; %bb.25:
	v_add_co_u32 v9, s12, s0, v55
	s_delay_alu instid0(VALU_DEP_1)
	v_add_co_ci_u32_e64 v10, null, s1, 0, s12
	global_load_b64 v[1:2], v55, s[0:1]
	v_add_co_u32 v3, vcc_lo, v9, 0x2000
	v_add_co_ci_u32_e32 v4, vcc_lo, 0, v10, vcc_lo
	v_add_co_u32 v5, vcc_lo, v9, 0x4000
	v_add_co_ci_u32_e32 v6, vcc_lo, 0, v10, vcc_lo
	;; [unrolled: 2-line block ×4, first 2 shown]
	s_clause 0x6
	global_load_b64 v[11:12], v[3:4], off offset:-4096
	global_load_b64 v[3:4], v[3:4], off
	global_load_b64 v[13:14], v[5:6], off offset:-4096
	global_load_b64 v[5:6], v[5:6], off
	;; [unrolled: 2-line block ×3, first 2 shown]
	global_load_b64 v[9:10], v[9:10], off
	v_lshrrev_b32_e32 v43, 2, v39
	v_lshrrev_b32_e32 v44, 2, v38
	;; [unrolled: 1-line block ×4, first 2 shown]
	v_and_b32_e32 v42, 0x78, v34
	v_lshrrev_b32_e32 v47, 2, v35
	v_lshrrev_b32_e32 v48, 2, v33
	;; [unrolled: 1-line block ×3, first 2 shown]
	v_and_b32_e32 v43, 0xf8, v43
	v_and_b32_e32 v44, 0x178, v44
	;; [unrolled: 1-line block ×4, first 2 shown]
	v_add_nc_u32_e32 v42, v42, v55
	v_and_b32_e32 v47, 0x2f8, v47
	v_and_b32_e32 v48, 0x378, v48
	;; [unrolled: 1-line block ×3, first 2 shown]
	v_add_nc_u32_e32 v43, v43, v55
	v_add_nc_u32_e32 v44, v44, v55
	;; [unrolled: 1-line block ×4, first 2 shown]
	s_mov_b32 s12, 0
	v_add_nc_u32_e32 v47, v47, v55
	v_add_nc_u32_e32 v48, v48, v55
	;; [unrolled: 1-line block ×3, first 2 shown]
	s_waitcnt vmcnt(7)
	ds_store_b64 v42, v[1:2]
	s_waitcnt vmcnt(6)
	ds_store_b64 v43, v[11:12] offset:4096
	s_waitcnt vmcnt(5)
	ds_store_b64 v44, v[3:4] offset:8192
	;; [unrolled: 2-line block ×7, first 2 shown]
	s_waitcnt lgkmcnt(0)
	s_barrier
.LBB1601_26:
	s_and_not1_b32 vcc_lo, exec_lo, s12
	s_cbranch_vccnz .LBB1601_44
; %bb.27:
	s_mov_b32 s12, exec_lo
                                        ; implicit-def: $vgpr1_vgpr2
	v_cmpx_gt_u32_e64 s31, v0
	s_cbranch_execz .LBB1601_29
; %bb.28:
	global_load_b64 v[1:2], v55, s[0:1]
.LBB1601_29:
	s_or_b32 exec_lo, exec_lo, s12
	s_delay_alu instid0(SALU_CYCLE_1)
	s_mov_b32 s12, exec_lo
                                        ; implicit-def: $vgpr3_vgpr4
	v_cmpx_gt_u32_e64 s31, v39
	s_cbranch_execz .LBB1601_31
; %bb.30:
	v_lshlrev_b32_e32 v3, 3, v39
	global_load_b64 v[3:4], v3, s[0:1]
.LBB1601_31:
	s_or_b32 exec_lo, exec_lo, s12
	s_delay_alu instid0(SALU_CYCLE_1)
	s_mov_b32 s12, exec_lo
                                        ; implicit-def: $vgpr5_vgpr6
	v_cmpx_gt_u32_e64 s31, v38
	s_cbranch_execz .LBB1601_33
; %bb.32:
	v_lshlrev_b32_e32 v5, 3, v38
	global_load_b64 v[5:6], v5, s[0:1]
.LBB1601_33:
	s_or_b32 exec_lo, exec_lo, s12
	s_delay_alu instid0(SALU_CYCLE_1)
	s_mov_b32 s12, exec_lo
                                        ; implicit-def: $vgpr7_vgpr8
	v_cmpx_gt_u32_e64 s31, v40
	s_cbranch_execz .LBB1601_35
; %bb.34:
	v_lshlrev_b32_e32 v7, 3, v40
	global_load_b64 v[7:8], v7, s[0:1]
.LBB1601_35:
	s_or_b32 exec_lo, exec_lo, s12
	s_delay_alu instid0(SALU_CYCLE_1)
	s_mov_b32 s12, exec_lo
                                        ; implicit-def: $vgpr9_vgpr10
	v_cmpx_gt_u32_e64 s31, v37
	s_cbranch_execz .LBB1601_37
; %bb.36:
	v_lshlrev_b32_e32 v9, 3, v37
	global_load_b64 v[9:10], v9, s[0:1]
.LBB1601_37:
	s_or_b32 exec_lo, exec_lo, s12
	s_delay_alu instid0(SALU_CYCLE_1)
	s_mov_b32 s12, exec_lo
                                        ; implicit-def: $vgpr11_vgpr12
	v_cmpx_gt_u32_e64 s31, v35
	s_cbranch_execz .LBB1601_39
; %bb.38:
	v_lshlrev_b32_e32 v11, 3, v35
	global_load_b64 v[11:12], v11, s[0:1]
.LBB1601_39:
	s_or_b32 exec_lo, exec_lo, s12
	s_delay_alu instid0(SALU_CYCLE_1)
	s_mov_b32 s12, exec_lo
                                        ; implicit-def: $vgpr13_vgpr14
	v_cmpx_gt_u32_e64 s31, v33
	s_cbranch_execz .LBB1601_41
; %bb.40:
	v_lshlrev_b32_e32 v13, 3, v33
	global_load_b64 v[13:14], v13, s[0:1]
.LBB1601_41:
	s_or_b32 exec_lo, exec_lo, s12
	s_delay_alu instid0(SALU_CYCLE_1)
	s_mov_b32 s12, exec_lo
                                        ; implicit-def: $vgpr15_vgpr16
	v_cmpx_gt_u32_e64 s31, v36
	s_cbranch_execz .LBB1601_43
; %bb.42:
	v_lshlrev_b32_e32 v15, 3, v36
	global_load_b64 v[15:16], v15, s[0:1]
.LBB1601_43:
	s_or_b32 exec_lo, exec_lo, s12
	v_lshrrev_b32_e32 v39, 2, v39
	v_lshrrev_b32_e32 v38, 2, v38
	;; [unrolled: 1-line block ×4, first 2 shown]
	v_and_b32_e32 v34, 0x78, v34
	v_lshrrev_b32_e32 v35, 2, v35
	v_lshrrev_b32_e32 v33, 2, v33
	;; [unrolled: 1-line block ×3, first 2 shown]
	v_and_b32_e32 v39, 0xf8, v39
	v_and_b32_e32 v38, 0x1f8, v38
	;; [unrolled: 1-line block ×4, first 2 shown]
	v_add_nc_u32_e32 v34, v34, v55
	v_and_b32_e32 v35, 0x3f8, v35
	v_and_b32_e32 v33, 0x3f8, v33
	;; [unrolled: 1-line block ×3, first 2 shown]
	v_add_nc_u32_e32 v39, v39, v55
	v_add_nc_u32_e32 v38, v38, v55
	;; [unrolled: 1-line block ×7, first 2 shown]
	s_waitcnt vmcnt(0)
	ds_store_b64 v34, v[1:2]
	ds_store_b64 v39, v[3:4] offset:4096
	ds_store_b64 v38, v[5:6] offset:8192
	;; [unrolled: 1-line block ×7, first 2 shown]
	s_waitcnt lgkmcnt(0)
	s_barrier
.LBB1601_44:
	buffer_gl0_inv
	ds_load_2addr_b64 v[13:16], v41 offset1:1
	ds_load_2addr_b64 v[9:12], v41 offset0:2 offset1:3
	ds_load_2addr_b64 v[5:8], v41 offset0:4 offset1:5
	;; [unrolled: 1-line block ×3, first 2 shown]
	s_cmp_lg_u32 s30, 0
	v_cmp_gt_i64_e64 s13, s[14:15], 0
	s_cselect_b32 s12, -1, 0
	s_cmp_lg_u64 s[6:7], 0
	s_mov_b32 s1, 0
	s_cselect_b32 s0, -1, 0
	s_waitcnt lgkmcnt(0)
	s_or_b32 s0, s0, s12
	s_barrier
	s_and_b32 vcc_lo, exec_lo, s0
	buffer_gl0_inv
	s_cbranch_vccz .LBB1601_53
; %bb.45:
	v_mov_b32_e32 v33, 0
	v_cndmask_b32_e64 v43, 0, 1, s13
	s_and_b32 vcc_lo, exec_lo, s29
	ds_store_b64 v55, v[19:20]
	global_load_b64 v[33:34], v33, s[4:5] offset:-8
	v_cmp_ne_u32_e64 s0, 1, v43
	s_cbranch_vccz .LBB1601_54
; %bb.46:
	v_mul_lo_u32 v37, v18, s14
	v_mul_lo_u32 v38, v17, s15
	v_mad_u64_u32 v[35:36], null, v17, s14, 0
	s_and_b32 vcc_lo, exec_lo, s0
	s_mov_b32 s24, 0
	s_delay_alu instid0(VALU_DEP_1) | instskip(NEXT) | instid1(VALU_DEP_1)
	v_add3_u32 v36, v36, v38, v37
	v_lshlrev_b64 v[35:36], 2, v[35:36]
	s_cbranch_vccnz .LBB1601_57
; %bb.47:
	v_mul_lo_u32 v39, v20, s14
	v_mul_lo_u32 v40, v19, s15
	v_mad_u64_u32 v[37:38], null, v19, s14, 0
	s_mov_b32 s24, -1
	s_mov_b32 s25, exec_lo
	s_delay_alu instid0(VALU_DEP_1) | instskip(SKIP_2) | instid1(VALU_DEP_3)
	v_add3_u32 v38, v38, v40, v39
	v_add_co_u32 v39, vcc_lo, s20, v35
	v_add_co_ci_u32_e32 v40, vcc_lo, s21, v36, vcc_lo
	v_lshlrev_b64 v[37:38], 2, v[37:38]
	s_delay_alu instid0(VALU_DEP_1) | instskip(NEXT) | instid1(VALU_DEP_2)
	v_add_co_u32 v37, vcc_lo, s20, v37
	v_add_co_ci_u32_e32 v38, vcc_lo, s21, v38, vcc_lo
	s_clause 0x1
	global_load_b32 v41, v[39:40], off
	global_load_b32 v42, v[37:38], off
	s_waitcnt vmcnt(0)
	v_cmpx_eq_u32_e64 v41, v42
	s_cbranch_execz .LBB1601_56
; %bb.48:
	v_add_co_u32 v37, vcc_lo, v37, 4
	v_add_co_ci_u32_e32 v38, vcc_lo, 0, v38, vcc_lo
	v_add_co_u32 v39, vcc_lo, v39, 4
	v_add_co_ci_u32_e32 v40, vcc_lo, 0, v40, vcc_lo
	s_add_u32 s4, s14, -1
	s_addc_u32 s5, s15, -1
	s_mov_b64 s[6:7], 0
	s_mov_b32 s24, 0
                                        ; implicit-def: $sgpr26
	s_set_inst_prefetch_distance 0x1
	s_branch .LBB1601_51
	.p2align	6
.LBB1601_49:                            ;   in Loop: Header=BB1601_51 Depth=1
	global_load_b32 v41, v[39:40], off
	global_load_b32 v42, v[37:38], off
	v_add_co_u32 v37, vcc_lo, v37, 4
	v_add_co_ci_u32_e32 v38, vcc_lo, 0, v38, vcc_lo
	v_add_co_u32 v39, s0, v39, 4
	s_delay_alu instid0(VALU_DEP_1)
	v_add_co_ci_u32_e64 v40, s0, 0, v40, s0
	s_add_u32 s6, s6, 1
	s_addc_u32 s7, s7, 0
	s_and_not1_b32 s0, s26, exec_lo
	s_waitcnt vmcnt(0)
	v_cmp_ne_u32_e32 vcc_lo, v41, v42
	s_and_b32 s26, vcc_lo, exec_lo
	s_delay_alu instid0(SALU_CYCLE_1)
	s_or_b32 s26, s0, s26
.LBB1601_50:                            ;   in Loop: Header=BB1601_51 Depth=1
	v_dual_mov_b32 v42, s7 :: v_dual_mov_b32 v41, s6
	s_and_b32 s0, exec_lo, s26
	s_delay_alu instid0(SALU_CYCLE_1) | instskip(NEXT) | instid1(SALU_CYCLE_1)
	s_or_b32 s24, s0, s24
	s_and_not1_b32 exec_lo, exec_lo, s24
	s_cbranch_execz .LBB1601_55
.LBB1601_51:                            ; =>This Inner Loop Header: Depth=1
	s_or_b32 s26, s26, exec_lo
	s_cmp_eq_u64 s[4:5], s[6:7]
	s_cbranch_scc0 .LBB1601_49
; %bb.52:                               ;   in Loop: Header=BB1601_51 Depth=1
	s_mov_b64 s[6:7], s[14:15]
                                        ; implicit-def: $vgpr37_vgpr38
                                        ; implicit-def: $vgpr39_vgpr40
	s_branch .LBB1601_50
.LBB1601_53:
                                        ; implicit-def: $sgpr0
                                        ; implicit-def: $vgpr36
	s_branch .LBB1601_215
.LBB1601_54:
                                        ; implicit-def: $sgpr0
                                        ; implicit-def: $vgpr36
	s_cbranch_execnz .LBB1601_123
	s_branch .LBB1601_214
.LBB1601_55:
	s_set_inst_prefetch_distance 0x2
	s_or_b32 exec_lo, exec_lo, s24
	v_cmp_gt_i64_e32 vcc_lo, s[14:15], v[41:42]
	s_or_not1_b32 s24, vcc_lo, exec_lo
.LBB1601_56:
	s_or_b32 exec_lo, exec_lo, s25
.LBB1601_57:
	v_mul_lo_u32 v39, v24, s14
	v_mul_lo_u32 v40, v23, s15
	v_mad_u64_u32 v[37:38], null, v23, s14, 0
	s_and_not1_b32 vcc_lo, exec_lo, s13
	s_delay_alu instid0(VALU_DEP_1) | instskip(NEXT) | instid1(VALU_DEP_1)
	v_add3_u32 v38, v38, v40, v39
	v_lshlrev_b64 v[37:38], 2, v[37:38]
	s_cbranch_vccnz .LBB1601_66
; %bb.58:
	s_delay_alu instid0(VALU_DEP_1) | instskip(NEXT) | instid1(VALU_DEP_2)
	v_add_co_u32 v39, vcc_lo, s20, v37
	v_add_co_ci_u32_e32 v40, vcc_lo, s21, v38, vcc_lo
	v_add_co_u32 v35, vcc_lo, s20, v35
	v_add_co_ci_u32_e32 v36, vcc_lo, s21, v36, vcc_lo
	s_mov_b32 s1, -1
	s_clause 0x1
	global_load_b32 v41, v[39:40], off
	global_load_b32 v42, v[35:36], off
	s_mov_b32 s25, exec_lo
	s_waitcnt vmcnt(0)
	v_cmpx_eq_u32_e64 v41, v42
	s_cbranch_execz .LBB1601_65
; %bb.59:
	v_add_co_u32 v35, vcc_lo, v35, 4
	v_add_co_ci_u32_e32 v36, vcc_lo, 0, v36, vcc_lo
	v_add_co_u32 v39, vcc_lo, v39, 4
	v_add_co_ci_u32_e32 v40, vcc_lo, 0, v40, vcc_lo
	s_add_u32 s4, s14, -1
	s_addc_u32 s5, s15, -1
	s_mov_b64 s[6:7], 0
	s_mov_b32 s1, 0
                                        ; implicit-def: $sgpr26
	s_set_inst_prefetch_distance 0x1
	s_branch .LBB1601_62
	.p2align	6
.LBB1601_60:                            ;   in Loop: Header=BB1601_62 Depth=1
	global_load_b32 v41, v[39:40], off
	global_load_b32 v42, v[35:36], off
	v_add_co_u32 v35, vcc_lo, v35, 4
	v_add_co_ci_u32_e32 v36, vcc_lo, 0, v36, vcc_lo
	v_add_co_u32 v39, s0, v39, 4
	s_delay_alu instid0(VALU_DEP_1)
	v_add_co_ci_u32_e64 v40, s0, 0, v40, s0
	s_add_u32 s6, s6, 1
	s_addc_u32 s7, s7, 0
	s_and_not1_b32 s0, s26, exec_lo
	s_waitcnt vmcnt(0)
	v_cmp_ne_u32_e32 vcc_lo, v41, v42
	s_and_b32 s26, vcc_lo, exec_lo
	s_delay_alu instid0(SALU_CYCLE_1)
	s_or_b32 s26, s0, s26
.LBB1601_61:                            ;   in Loop: Header=BB1601_62 Depth=1
	v_dual_mov_b32 v42, s7 :: v_dual_mov_b32 v41, s6
	s_and_b32 s0, exec_lo, s26
	s_delay_alu instid0(SALU_CYCLE_1) | instskip(NEXT) | instid1(SALU_CYCLE_1)
	s_or_b32 s1, s0, s1
	s_and_not1_b32 exec_lo, exec_lo, s1
	s_cbranch_execz .LBB1601_64
.LBB1601_62:                            ; =>This Inner Loop Header: Depth=1
	s_or_b32 s26, s26, exec_lo
	s_cmp_eq_u64 s[4:5], s[6:7]
	s_cbranch_scc0 .LBB1601_60
; %bb.63:                               ;   in Loop: Header=BB1601_62 Depth=1
	s_mov_b64 s[6:7], s[14:15]
                                        ; implicit-def: $vgpr35_vgpr36
                                        ; implicit-def: $vgpr39_vgpr40
	s_branch .LBB1601_61
.LBB1601_64:
	s_set_inst_prefetch_distance 0x2
	s_or_b32 exec_lo, exec_lo, s1
	v_cmp_gt_i64_e32 vcc_lo, s[14:15], v[41:42]
	s_or_not1_b32 s1, vcc_lo, exec_lo
.LBB1601_65:
	s_or_b32 exec_lo, exec_lo, s25
.LBB1601_66:
	v_mul_lo_u32 v39, v22, s14
	v_mul_lo_u32 v40, v21, s15
	v_mad_u64_u32 v[35:36], null, v21, s14, 0
	s_mov_b32 s25, 0
	s_and_not1_b32 vcc_lo, exec_lo, s13
	s_mov_b32 s26, 0
	s_delay_alu instid0(VALU_DEP_1) | instskip(NEXT) | instid1(VALU_DEP_1)
	v_add3_u32 v36, v36, v40, v39
	v_lshlrev_b64 v[39:40], 2, v[35:36]
	s_cbranch_vccnz .LBB1601_75
; %bb.67:
	s_delay_alu instid0(VALU_DEP_1) | instskip(NEXT) | instid1(VALU_DEP_2)
	v_add_co_u32 v41, vcc_lo, s20, v39
	v_add_co_ci_u32_e32 v42, vcc_lo, s21, v40, vcc_lo
	v_add_co_u32 v35, vcc_lo, s20, v37
	v_add_co_ci_u32_e32 v36, vcc_lo, s21, v38, vcc_lo
	s_mov_b32 s26, -1
	s_clause 0x1
	global_load_b32 v37, v[41:42], off
	global_load_b32 v38, v[35:36], off
	s_mov_b32 s27, exec_lo
	s_waitcnt vmcnt(0)
	v_cmpx_eq_u32_e64 v37, v38
	s_cbranch_execz .LBB1601_74
; %bb.68:
	v_add_co_u32 v35, vcc_lo, v35, 4
	v_add_co_ci_u32_e32 v36, vcc_lo, 0, v36, vcc_lo
	v_add_co_u32 v37, vcc_lo, v41, 4
	v_add_co_ci_u32_e32 v38, vcc_lo, 0, v42, vcc_lo
	s_add_u32 s4, s14, -1
	s_addc_u32 s5, s15, -1
	s_mov_b64 s[6:7], 0
	s_mov_b32 s26, 0
                                        ; implicit-def: $sgpr34
	s_set_inst_prefetch_distance 0x1
	s_branch .LBB1601_71
	.p2align	6
.LBB1601_69:                            ;   in Loop: Header=BB1601_71 Depth=1
	global_load_b32 v41, v[37:38], off
	global_load_b32 v42, v[35:36], off
	v_add_co_u32 v35, vcc_lo, v35, 4
	v_add_co_ci_u32_e32 v36, vcc_lo, 0, v36, vcc_lo
	v_add_co_u32 v37, s0, v37, 4
	s_delay_alu instid0(VALU_DEP_1)
	v_add_co_ci_u32_e64 v38, s0, 0, v38, s0
	s_add_u32 s6, s6, 1
	s_addc_u32 s7, s7, 0
	s_and_not1_b32 s0, s34, exec_lo
	s_waitcnt vmcnt(0)
	v_cmp_ne_u32_e32 vcc_lo, v41, v42
	s_and_b32 s34, vcc_lo, exec_lo
	s_delay_alu instid0(SALU_CYCLE_1)
	s_or_b32 s34, s0, s34
.LBB1601_70:                            ;   in Loop: Header=BB1601_71 Depth=1
	v_dual_mov_b32 v42, s7 :: v_dual_mov_b32 v41, s6
	s_and_b32 s0, exec_lo, s34
	s_delay_alu instid0(SALU_CYCLE_1) | instskip(NEXT) | instid1(SALU_CYCLE_1)
	s_or_b32 s26, s0, s26
	s_and_not1_b32 exec_lo, exec_lo, s26
	s_cbranch_execz .LBB1601_73
.LBB1601_71:                            ; =>This Inner Loop Header: Depth=1
	s_or_b32 s34, s34, exec_lo
	s_cmp_eq_u64 s[4:5], s[6:7]
	s_cbranch_scc0 .LBB1601_69
; %bb.72:                               ;   in Loop: Header=BB1601_71 Depth=1
	s_mov_b64 s[6:7], s[14:15]
                                        ; implicit-def: $vgpr35_vgpr36
                                        ; implicit-def: $vgpr37_vgpr38
	s_branch .LBB1601_70
.LBB1601_73:
	s_set_inst_prefetch_distance 0x2
	s_or_b32 exec_lo, exec_lo, s26
	v_cmp_gt_i64_e32 vcc_lo, s[14:15], v[41:42]
	s_or_not1_b32 s26, vcc_lo, exec_lo
.LBB1601_74:
	s_or_b32 exec_lo, exec_lo, s27
.LBB1601_75:
	v_mul_lo_u32 v37, v28, s14
	v_mul_lo_u32 v38, v27, s15
	v_mad_u64_u32 v[35:36], null, v27, s14, 0
	s_and_not1_b32 vcc_lo, exec_lo, s13
	s_delay_alu instid0(VALU_DEP_1) | instskip(NEXT) | instid1(VALU_DEP_1)
	v_add3_u32 v36, v36, v38, v37
	v_lshlrev_b64 v[35:36], 2, v[35:36]
	s_cbranch_vccnz .LBB1601_84
; %bb.76:
	s_delay_alu instid0(VALU_DEP_1) | instskip(NEXT) | instid1(VALU_DEP_2)
	v_add_co_u32 v41, vcc_lo, s20, v35
	v_add_co_ci_u32_e32 v42, vcc_lo, s21, v36, vcc_lo
	v_add_co_u32 v37, vcc_lo, s20, v39
	v_add_co_ci_u32_e32 v38, vcc_lo, s21, v40, vcc_lo
	s_mov_b32 s25, -1
	s_clause 0x1
	global_load_b32 v39, v[41:42], off
	global_load_b32 v40, v[37:38], off
	s_mov_b32 s27, exec_lo
	s_waitcnt vmcnt(0)
	v_cmpx_eq_u32_e64 v39, v40
	s_cbranch_execz .LBB1601_83
; %bb.77:
	v_add_co_u32 v37, vcc_lo, v37, 4
	v_add_co_ci_u32_e32 v38, vcc_lo, 0, v38, vcc_lo
	v_add_co_u32 v39, vcc_lo, v41, 4
	v_add_co_ci_u32_e32 v40, vcc_lo, 0, v42, vcc_lo
	s_add_u32 s4, s14, -1
	s_addc_u32 s5, s15, -1
	s_mov_b64 s[6:7], 0
	s_mov_b32 s25, 0
                                        ; implicit-def: $sgpr34
	s_set_inst_prefetch_distance 0x1
	s_branch .LBB1601_80
	.p2align	6
.LBB1601_78:                            ;   in Loop: Header=BB1601_80 Depth=1
	global_load_b32 v41, v[39:40], off
	global_load_b32 v42, v[37:38], off
	v_add_co_u32 v37, vcc_lo, v37, 4
	v_add_co_ci_u32_e32 v38, vcc_lo, 0, v38, vcc_lo
	v_add_co_u32 v39, s0, v39, 4
	s_delay_alu instid0(VALU_DEP_1)
	v_add_co_ci_u32_e64 v40, s0, 0, v40, s0
	s_add_u32 s6, s6, 1
	s_addc_u32 s7, s7, 0
	s_and_not1_b32 s0, s34, exec_lo
	s_waitcnt vmcnt(0)
	v_cmp_ne_u32_e32 vcc_lo, v41, v42
	s_and_b32 s34, vcc_lo, exec_lo
	s_delay_alu instid0(SALU_CYCLE_1)
	s_or_b32 s34, s0, s34
.LBB1601_79:                            ;   in Loop: Header=BB1601_80 Depth=1
	v_dual_mov_b32 v42, s7 :: v_dual_mov_b32 v41, s6
	s_and_b32 s0, exec_lo, s34
	s_delay_alu instid0(SALU_CYCLE_1) | instskip(NEXT) | instid1(SALU_CYCLE_1)
	s_or_b32 s25, s0, s25
	s_and_not1_b32 exec_lo, exec_lo, s25
	s_cbranch_execz .LBB1601_82
.LBB1601_80:                            ; =>This Inner Loop Header: Depth=1
	s_or_b32 s34, s34, exec_lo
	s_cmp_eq_u64 s[4:5], s[6:7]
	s_cbranch_scc0 .LBB1601_78
; %bb.81:                               ;   in Loop: Header=BB1601_80 Depth=1
	s_mov_b64 s[6:7], s[14:15]
                                        ; implicit-def: $vgpr37_vgpr38
                                        ; implicit-def: $vgpr39_vgpr40
	s_branch .LBB1601_79
.LBB1601_82:
	s_set_inst_prefetch_distance 0x2
	s_or_b32 exec_lo, exec_lo, s25
	v_cmp_gt_i64_e32 vcc_lo, s[14:15], v[41:42]
	s_or_not1_b32 s25, vcc_lo, exec_lo
.LBB1601_83:
	s_or_b32 exec_lo, exec_lo, s27
.LBB1601_84:
	v_mul_lo_u32 v39, v26, s14
	v_mul_lo_u32 v40, v25, s15
	v_mad_u64_u32 v[37:38], null, v25, s14, 0
	s_mov_b32 s27, 0
	s_and_not1_b32 vcc_lo, exec_lo, s13
	s_mov_b32 s34, 0
	s_delay_alu instid0(VALU_DEP_1) | instskip(NEXT) | instid1(VALU_DEP_1)
	v_add3_u32 v38, v38, v40, v39
	v_lshlrev_b64 v[39:40], 2, v[37:38]
	s_cbranch_vccnz .LBB1601_93
; %bb.85:
	s_delay_alu instid0(VALU_DEP_1) | instskip(NEXT) | instid1(VALU_DEP_2)
	v_add_co_u32 v37, vcc_lo, s20, v39
	v_add_co_ci_u32_e32 v38, vcc_lo, s21, v40, vcc_lo
	v_add_co_u32 v35, vcc_lo, s20, v35
	v_add_co_ci_u32_e32 v36, vcc_lo, s21, v36, vcc_lo
	s_mov_b32 s34, -1
	s_clause 0x1
	global_load_b32 v41, v[37:38], off
	global_load_b32 v42, v[35:36], off
	s_mov_b32 s35, exec_lo
	s_waitcnt vmcnt(0)
	v_cmpx_eq_u32_e64 v41, v42
	s_cbranch_execz .LBB1601_92
; %bb.86:
	v_add_co_u32 v35, vcc_lo, v35, 4
	v_add_co_ci_u32_e32 v36, vcc_lo, 0, v36, vcc_lo
	v_add_co_u32 v37, vcc_lo, v37, 4
	v_add_co_ci_u32_e32 v38, vcc_lo, 0, v38, vcc_lo
	s_add_u32 s4, s14, -1
	s_addc_u32 s5, s15, -1
	s_mov_b64 s[6:7], 0
	s_mov_b32 s34, 0
                                        ; implicit-def: $sgpr36
	s_set_inst_prefetch_distance 0x1
	s_branch .LBB1601_89
	.p2align	6
.LBB1601_87:                            ;   in Loop: Header=BB1601_89 Depth=1
	global_load_b32 v41, v[37:38], off
	global_load_b32 v42, v[35:36], off
	v_add_co_u32 v35, vcc_lo, v35, 4
	v_add_co_ci_u32_e32 v36, vcc_lo, 0, v36, vcc_lo
	v_add_co_u32 v37, s0, v37, 4
	s_delay_alu instid0(VALU_DEP_1)
	v_add_co_ci_u32_e64 v38, s0, 0, v38, s0
	s_add_u32 s6, s6, 1
	s_addc_u32 s7, s7, 0
	s_and_not1_b32 s0, s36, exec_lo
	s_waitcnt vmcnt(0)
	v_cmp_ne_u32_e32 vcc_lo, v41, v42
	s_and_b32 s36, vcc_lo, exec_lo
	s_delay_alu instid0(SALU_CYCLE_1)
	s_or_b32 s36, s0, s36
.LBB1601_88:                            ;   in Loop: Header=BB1601_89 Depth=1
	v_dual_mov_b32 v42, s7 :: v_dual_mov_b32 v41, s6
	s_and_b32 s0, exec_lo, s36
	s_delay_alu instid0(SALU_CYCLE_1) | instskip(NEXT) | instid1(SALU_CYCLE_1)
	s_or_b32 s34, s0, s34
	s_and_not1_b32 exec_lo, exec_lo, s34
	s_cbranch_execz .LBB1601_91
.LBB1601_89:                            ; =>This Inner Loop Header: Depth=1
	s_or_b32 s36, s36, exec_lo
	s_cmp_eq_u64 s[4:5], s[6:7]
	s_cbranch_scc0 .LBB1601_87
; %bb.90:                               ;   in Loop: Header=BB1601_89 Depth=1
	s_mov_b64 s[6:7], s[14:15]
                                        ; implicit-def: $vgpr35_vgpr36
                                        ; implicit-def: $vgpr37_vgpr38
	s_branch .LBB1601_88
.LBB1601_91:
	s_set_inst_prefetch_distance 0x2
	s_or_b32 exec_lo, exec_lo, s34
	v_cmp_gt_i64_e32 vcc_lo, s[14:15], v[41:42]
	s_or_not1_b32 s34, vcc_lo, exec_lo
.LBB1601_92:
	s_or_b32 exec_lo, exec_lo, s35
.LBB1601_93:
	v_mul_lo_u32 v37, v32, s14
	v_mul_lo_u32 v38, v31, s15
	v_mad_u64_u32 v[35:36], null, v31, s14, 0
	s_and_not1_b32 vcc_lo, exec_lo, s13
	s_delay_alu instid0(VALU_DEP_1) | instskip(NEXT) | instid1(VALU_DEP_1)
	v_add3_u32 v36, v36, v38, v37
	v_lshlrev_b64 v[37:38], 2, v[35:36]
	s_cbranch_vccnz .LBB1601_102
; %bb.94:
	s_delay_alu instid0(VALU_DEP_1) | instskip(NEXT) | instid1(VALU_DEP_2)
	v_add_co_u32 v41, vcc_lo, s20, v37
	v_add_co_ci_u32_e32 v42, vcc_lo, s21, v38, vcc_lo
	v_add_co_u32 v35, vcc_lo, s20, v39
	v_add_co_ci_u32_e32 v36, vcc_lo, s21, v40, vcc_lo
	s_mov_b32 s27, -1
	s_clause 0x1
	global_load_b32 v39, v[41:42], off
	global_load_b32 v40, v[35:36], off
	s_mov_b32 s35, exec_lo
	s_waitcnt vmcnt(0)
	v_cmpx_eq_u32_e64 v39, v40
	s_cbranch_execz .LBB1601_101
; %bb.95:
	v_add_co_u32 v35, vcc_lo, v35, 4
	v_add_co_ci_u32_e32 v36, vcc_lo, 0, v36, vcc_lo
	v_add_co_u32 v39, vcc_lo, v41, 4
	v_add_co_ci_u32_e32 v40, vcc_lo, 0, v42, vcc_lo
	s_add_u32 s4, s14, -1
	s_addc_u32 s5, s15, -1
	s_mov_b64 s[6:7], 0
	s_mov_b32 s27, 0
                                        ; implicit-def: $sgpr36
	s_set_inst_prefetch_distance 0x1
	s_branch .LBB1601_98
	.p2align	6
.LBB1601_96:                            ;   in Loop: Header=BB1601_98 Depth=1
	global_load_b32 v41, v[39:40], off
	global_load_b32 v42, v[35:36], off
	v_add_co_u32 v35, vcc_lo, v35, 4
	v_add_co_ci_u32_e32 v36, vcc_lo, 0, v36, vcc_lo
	v_add_co_u32 v39, s0, v39, 4
	s_delay_alu instid0(VALU_DEP_1)
	v_add_co_ci_u32_e64 v40, s0, 0, v40, s0
	s_add_u32 s6, s6, 1
	s_addc_u32 s7, s7, 0
	s_and_not1_b32 s0, s36, exec_lo
	s_waitcnt vmcnt(0)
	v_cmp_ne_u32_e32 vcc_lo, v41, v42
	s_and_b32 s36, vcc_lo, exec_lo
	s_delay_alu instid0(SALU_CYCLE_1)
	s_or_b32 s36, s0, s36
.LBB1601_97:                            ;   in Loop: Header=BB1601_98 Depth=1
	v_dual_mov_b32 v42, s7 :: v_dual_mov_b32 v41, s6
	s_and_b32 s0, exec_lo, s36
	s_delay_alu instid0(SALU_CYCLE_1) | instskip(NEXT) | instid1(SALU_CYCLE_1)
	s_or_b32 s27, s0, s27
	s_and_not1_b32 exec_lo, exec_lo, s27
	s_cbranch_execz .LBB1601_100
.LBB1601_98:                            ; =>This Inner Loop Header: Depth=1
	s_or_b32 s36, s36, exec_lo
	s_cmp_eq_u64 s[4:5], s[6:7]
	s_cbranch_scc0 .LBB1601_96
; %bb.99:                               ;   in Loop: Header=BB1601_98 Depth=1
	s_mov_b64 s[6:7], s[14:15]
                                        ; implicit-def: $vgpr35_vgpr36
                                        ; implicit-def: $vgpr39_vgpr40
	s_branch .LBB1601_97
.LBB1601_100:
	s_set_inst_prefetch_distance 0x2
	s_or_b32 exec_lo, exec_lo, s27
	v_cmp_gt_i64_e32 vcc_lo, s[14:15], v[41:42]
	s_or_not1_b32 s27, vcc_lo, exec_lo
.LBB1601_101:
	s_or_b32 exec_lo, exec_lo, s35
.LBB1601_102:
	v_mul_lo_u32 v39, v30, s14
	v_mul_lo_u32 v40, v29, s15
	v_mad_u64_u32 v[35:36], null, v29, s14, 0
	s_and_not1_b32 vcc_lo, exec_lo, s13
	s_mov_b32 s0, 0
	s_delay_alu instid0(VALU_DEP_1) | instskip(NEXT) | instid1(VALU_DEP_1)
	v_add3_u32 v36, v36, v40, v39
	v_lshlrev_b64 v[35:36], 2, v[35:36]
	s_cbranch_vccnz .LBB1601_111
; %bb.103:
	s_delay_alu instid0(VALU_DEP_1) | instskip(NEXT) | instid1(VALU_DEP_2)
	v_add_co_u32 v39, vcc_lo, s20, v35
	v_add_co_ci_u32_e32 v40, vcc_lo, s21, v36, vcc_lo
	v_add_co_u32 v37, vcc_lo, s20, v37
	v_add_co_ci_u32_e32 v38, vcc_lo, s21, v38, vcc_lo
	s_mov_b32 s0, -1
	s_clause 0x1
	global_load_b32 v41, v[39:40], off
	global_load_b32 v42, v[37:38], off
	s_mov_b32 s35, exec_lo
	s_waitcnt vmcnt(0)
	v_cmpx_eq_u32_e64 v41, v42
	s_cbranch_execz .LBB1601_110
; %bb.104:
	v_add_co_u32 v37, vcc_lo, v37, 4
	v_add_co_ci_u32_e32 v38, vcc_lo, 0, v38, vcc_lo
	v_add_co_u32 v39, vcc_lo, v39, 4
	v_add_co_ci_u32_e32 v40, vcc_lo, 0, v40, vcc_lo
	s_add_u32 s4, s14, -1
	s_addc_u32 s5, s15, -1
	s_mov_b64 s[6:7], 0
	s_mov_b32 s36, 0
                                        ; implicit-def: $sgpr37
	s_set_inst_prefetch_distance 0x1
	s_branch .LBB1601_107
	.p2align	6
.LBB1601_105:                           ;   in Loop: Header=BB1601_107 Depth=1
	global_load_b32 v41, v[39:40], off
	global_load_b32 v42, v[37:38], off
	v_add_co_u32 v37, vcc_lo, v37, 4
	v_add_co_ci_u32_e32 v38, vcc_lo, 0, v38, vcc_lo
	v_add_co_u32 v39, s0, v39, 4
	s_delay_alu instid0(VALU_DEP_1)
	v_add_co_ci_u32_e64 v40, s0, 0, v40, s0
	s_add_u32 s6, s6, 1
	s_addc_u32 s7, s7, 0
	s_and_not1_b32 s0, s37, exec_lo
	s_waitcnt vmcnt(0)
	v_cmp_ne_u32_e32 vcc_lo, v41, v42
	s_and_b32 s37, vcc_lo, exec_lo
	s_delay_alu instid0(SALU_CYCLE_1)
	s_or_b32 s37, s0, s37
.LBB1601_106:                           ;   in Loop: Header=BB1601_107 Depth=1
	v_dual_mov_b32 v42, s7 :: v_dual_mov_b32 v41, s6
	s_and_b32 s0, exec_lo, s37
	s_delay_alu instid0(SALU_CYCLE_1) | instskip(NEXT) | instid1(SALU_CYCLE_1)
	s_or_b32 s36, s0, s36
	s_and_not1_b32 exec_lo, exec_lo, s36
	s_cbranch_execz .LBB1601_109
.LBB1601_107:                           ; =>This Inner Loop Header: Depth=1
	s_or_b32 s37, s37, exec_lo
	s_cmp_eq_u64 s[4:5], s[6:7]
	s_cbranch_scc0 .LBB1601_105
; %bb.108:                              ;   in Loop: Header=BB1601_107 Depth=1
	s_mov_b64 s[6:7], s[14:15]
                                        ; implicit-def: $vgpr37_vgpr38
                                        ; implicit-def: $vgpr39_vgpr40
	s_branch .LBB1601_106
.LBB1601_109:
	s_set_inst_prefetch_distance 0x2
	s_or_b32 exec_lo, exec_lo, s36
	v_cmp_gt_i64_e32 vcc_lo, s[14:15], v[41:42]
	s_or_not1_b32 s0, vcc_lo, exec_lo
.LBB1601_110:
	s_or_b32 exec_lo, exec_lo, s35
.LBB1601_111:
	s_waitcnt vmcnt(0)
	v_dual_mov_b32 v38, v34 :: v_dual_mov_b32 v37, v33
	s_waitcnt lgkmcnt(0)
	s_barrier
	buffer_gl0_inv
	s_and_saveexec_b32 s4, s3
	s_cbranch_execz .LBB1601_113
; %bb.112:
	v_add_nc_u32_e32 v37, -8, v55
	ds_load_b64 v[37:38], v37
.LBB1601_113:
	s_or_b32 exec_lo, exec_lo, s4
	v_cndmask_b32_e64 v40, 0, 1, s34
	v_cndmask_b32_e64 v42, 0, 1, s26
	;; [unrolled: 1-line block ×7, first 2 shown]
	v_lshlrev_b16 v40, 8, v40
	v_lshlrev_b16 v42, 8, v42
	;; [unrolled: 1-line block ×4, first 2 shown]
	s_mov_b32 s1, 0
	v_or_b32_e32 v39, v39, v40
	v_or_b32_e32 v40, v41, v42
	;; [unrolled: 1-line block ×3, first 2 shown]
	v_and_b32_e32 v41, 0xffff, v45
	s_and_not1_b32 vcc_lo, exec_lo, s13
	v_lshlrev_b32_e32 v42, 16, v39
	v_and_b32_e32 v44, 0xffff, v40
	v_lshlrev_b32_e32 v45, 16, v46
	s_mov_b32 s0, 0
	s_cbranch_vccnz .LBB1601_122
; %bb.114:
	s_waitcnt lgkmcnt(0)
	v_mul_lo_u32 v40, v38, s14
	v_mul_lo_u32 v46, v37, s15
	v_mad_u64_u32 v[38:39], null, v37, s14, 0
	s_mov_b32 s0, -1
	s_mov_b32 s24, exec_lo
	s_delay_alu instid0(VALU_DEP_1) | instskip(NEXT) | instid1(VALU_DEP_1)
	v_add3_u32 v39, v39, v46, v40
	v_lshlrev_b64 v[37:38], 2, v[38:39]
	s_delay_alu instid0(VALU_DEP_1) | instskip(NEXT) | instid1(VALU_DEP_2)
	v_add_co_u32 v37, vcc_lo, s20, v37
	v_add_co_ci_u32_e32 v38, vcc_lo, s21, v38, vcc_lo
	v_add_co_u32 v35, vcc_lo, s20, v35
	v_add_co_ci_u32_e32 v36, vcc_lo, s21, v36, vcc_lo
	s_clause 0x1
	global_load_b32 v39, v[37:38], off
	global_load_b32 v40, v[35:36], off
	s_waitcnt vmcnt(0)
	v_cmpx_eq_u32_e64 v39, v40
	s_cbranch_execz .LBB1601_121
; %bb.115:
	v_add_co_u32 v35, vcc_lo, v35, 4
	v_add_co_ci_u32_e32 v36, vcc_lo, 0, v36, vcc_lo
	v_add_co_u32 v37, vcc_lo, v37, 4
	v_add_co_ci_u32_e32 v38, vcc_lo, 0, v38, vcc_lo
	s_add_u32 s4, s14, -1
	s_addc_u32 s5, s15, -1
	s_mov_b64 s[6:7], 0
	s_mov_b32 s25, 0
                                        ; implicit-def: $sgpr26
	s_set_inst_prefetch_distance 0x1
	s_branch .LBB1601_118
	.p2align	6
.LBB1601_116:                           ;   in Loop: Header=BB1601_118 Depth=1
	global_load_b32 v39, v[37:38], off
	global_load_b32 v40, v[35:36], off
	v_add_co_u32 v35, vcc_lo, v35, 4
	v_add_co_ci_u32_e32 v36, vcc_lo, 0, v36, vcc_lo
	v_add_co_u32 v37, s0, v37, 4
	s_delay_alu instid0(VALU_DEP_1)
	v_add_co_ci_u32_e64 v38, s0, 0, v38, s0
	s_add_u32 s6, s6, 1
	s_addc_u32 s7, s7, 0
	s_and_not1_b32 s0, s26, exec_lo
	s_waitcnt vmcnt(0)
	v_cmp_ne_u32_e32 vcc_lo, v39, v40
	s_and_b32 s26, vcc_lo, exec_lo
	s_delay_alu instid0(SALU_CYCLE_1)
	s_or_b32 s26, s0, s26
.LBB1601_117:                           ;   in Loop: Header=BB1601_118 Depth=1
	v_dual_mov_b32 v40, s7 :: v_dual_mov_b32 v39, s6
	s_and_b32 s0, exec_lo, s26
	s_delay_alu instid0(SALU_CYCLE_1) | instskip(NEXT) | instid1(SALU_CYCLE_1)
	s_or_b32 s25, s0, s25
	s_and_not1_b32 exec_lo, exec_lo, s25
	s_cbranch_execz .LBB1601_120
.LBB1601_118:                           ; =>This Inner Loop Header: Depth=1
	s_or_b32 s26, s26, exec_lo
	s_cmp_eq_u64 s[4:5], s[6:7]
	s_cbranch_scc0 .LBB1601_116
; %bb.119:                              ;   in Loop: Header=BB1601_118 Depth=1
	s_mov_b64 s[6:7], s[14:15]
                                        ; implicit-def: $vgpr35_vgpr36
                                        ; implicit-def: $vgpr37_vgpr38
	s_branch .LBB1601_117
.LBB1601_120:
	s_set_inst_prefetch_distance 0x2
	s_or_b32 exec_lo, exec_lo, s25
	v_cmp_gt_i64_e32 vcc_lo, s[14:15], v[39:40]
	s_or_not1_b32 s0, vcc_lo, exec_lo
.LBB1601_121:
	s_or_b32 exec_lo, exec_lo, s24
.LBB1601_122:
	v_or_b32_e32 v35, v41, v42
	s_delay_alu instid0(VALU_DEP_2)
	v_or_b32_e32 v36, v44, v45
	s_and_b32 vcc_lo, exec_lo, s1
	s_cbranch_vccz .LBB1601_214
.LBB1601_123:
	v_or_b32_e32 v35, 7, v55
	s_mov_b32 s1, 0
	s_mov_b32 s24, 0
	s_mov_b32 s25, exec_lo
	s_delay_alu instid0(VALU_DEP_1)
	v_cmpx_gt_u32_e64 s31, v35
	s_cbranch_execz .LBB1601_134
; %bb.124:
	s_and_not1_b32 vcc_lo, exec_lo, s13
	s_mov_b32 s0, 0
	s_cbranch_vccnz .LBB1601_133
; %bb.125:
	v_mul_lo_u32 v39, v18, s14
	v_mul_lo_u32 v40, v17, s15
	v_mad_u64_u32 v[35:36], null, v17, s14, 0
	v_mul_lo_u32 v41, v20, s14
	v_mul_lo_u32 v42, v19, s15
	s_waitcnt lgkmcnt(0)
	v_mad_u64_u32 v[37:38], null, v19, s14, 0
	s_mov_b32 s0, -1
	s_mov_b32 s13, exec_lo
	s_delay_alu instid0(VALU_DEP_4) | instskip(NEXT) | instid1(VALU_DEP_2)
	v_add3_u32 v36, v36, v40, v39
	v_add3_u32 v38, v38, v42, v41
	s_delay_alu instid0(VALU_DEP_2) | instskip(NEXT) | instid1(VALU_DEP_2)
	v_lshlrev_b64 v[35:36], 2, v[35:36]
	v_lshlrev_b64 v[39:40], 2, v[37:38]
	s_delay_alu instid0(VALU_DEP_2) | instskip(NEXT) | instid1(VALU_DEP_3)
	v_add_co_u32 v37, vcc_lo, s20, v35
	v_add_co_ci_u32_e32 v38, vcc_lo, s21, v36, vcc_lo
	s_delay_alu instid0(VALU_DEP_3) | instskip(NEXT) | instid1(VALU_DEP_4)
	v_add_co_u32 v35, vcc_lo, s20, v39
	v_add_co_ci_u32_e32 v36, vcc_lo, s21, v40, vcc_lo
	s_clause 0x1
	global_load_b32 v39, v[37:38], off
	global_load_b32 v40, v[35:36], off
	s_waitcnt vmcnt(0)
	v_cmpx_eq_u32_e64 v39, v40
	s_cbranch_execz .LBB1601_132
; %bb.126:
	v_add_co_u32 v35, vcc_lo, v35, 4
	v_add_co_ci_u32_e32 v36, vcc_lo, 0, v36, vcc_lo
	v_add_co_u32 v37, vcc_lo, v37, 4
	v_add_co_ci_u32_e32 v38, vcc_lo, 0, v38, vcc_lo
	s_add_u32 s4, s14, -1
	s_addc_u32 s5, s15, -1
	s_mov_b64 s[6:7], 0
                                        ; implicit-def: $sgpr26
	s_set_inst_prefetch_distance 0x1
	s_branch .LBB1601_129
	.p2align	6
.LBB1601_127:                           ;   in Loop: Header=BB1601_129 Depth=1
	global_load_b32 v39, v[37:38], off
	global_load_b32 v40, v[35:36], off
	v_add_co_u32 v35, vcc_lo, v35, 4
	v_add_co_ci_u32_e32 v36, vcc_lo, 0, v36, vcc_lo
	v_add_co_u32 v37, s0, v37, 4
	s_delay_alu instid0(VALU_DEP_1)
	v_add_co_ci_u32_e64 v38, s0, 0, v38, s0
	s_add_u32 s6, s6, 1
	s_addc_u32 s7, s7, 0
	s_and_not1_b32 s0, s26, exec_lo
	s_waitcnt vmcnt(0)
	v_cmp_ne_u32_e32 vcc_lo, v39, v40
	s_and_b32 s26, vcc_lo, exec_lo
	s_delay_alu instid0(SALU_CYCLE_1)
	s_or_b32 s26, s0, s26
.LBB1601_128:                           ;   in Loop: Header=BB1601_129 Depth=1
	v_dual_mov_b32 v40, s7 :: v_dual_mov_b32 v39, s6
	s_and_b32 s0, exec_lo, s26
	s_delay_alu instid0(SALU_CYCLE_1) | instskip(NEXT) | instid1(SALU_CYCLE_1)
	s_or_b32 s24, s0, s24
	s_and_not1_b32 exec_lo, exec_lo, s24
	s_cbranch_execz .LBB1601_131
.LBB1601_129:                           ; =>This Inner Loop Header: Depth=1
	s_or_b32 s26, s26, exec_lo
	s_cmp_eq_u64 s[4:5], s[6:7]
	s_cbranch_scc0 .LBB1601_127
; %bb.130:                              ;   in Loop: Header=BB1601_129 Depth=1
	s_mov_b64 s[6:7], s[14:15]
                                        ; implicit-def: $vgpr35_vgpr36
                                        ; implicit-def: $vgpr37_vgpr38
	s_branch .LBB1601_128
.LBB1601_131:
	s_set_inst_prefetch_distance 0x2
	s_or_b32 exec_lo, exec_lo, s24
	v_cmp_gt_i64_e32 vcc_lo, s[14:15], v[39:40]
	s_or_not1_b32 s0, vcc_lo, exec_lo
.LBB1601_132:
	s_or_b32 exec_lo, exec_lo, s13
.LBB1601_133:
	s_delay_alu instid0(SALU_CYCLE_1)
	s_and_b32 s24, s0, exec_lo
.LBB1601_134:
	s_or_b32 exec_lo, exec_lo, s25
	v_or_b32_e32 v35, 6, v55
	s_mov_b32 s13, exec_lo
	s_delay_alu instid0(VALU_DEP_1)
	v_cmpx_gt_u32_e64 s31, v35
	s_cbranch_execz .LBB1601_145
; %bb.135:
	v_cmp_ne_u32_e32 vcc_lo, 1, v43
	s_mov_b32 s0, 0
	s_cbranch_vccnz .LBB1601_144
; %bb.136:
	v_mul_lo_u32 v39, v24, s14
	v_mul_lo_u32 v40, v23, s15
	v_mad_u64_u32 v[35:36], null, v23, s14, 0
	v_mul_lo_u32 v41, v18, s14
	v_mul_lo_u32 v42, v17, s15
	s_waitcnt lgkmcnt(0)
	v_mad_u64_u32 v[37:38], null, v17, s14, 0
	s_mov_b32 s0, -1
	s_mov_b32 s1, exec_lo
	s_delay_alu instid0(VALU_DEP_4) | instskip(NEXT) | instid1(VALU_DEP_2)
	v_add3_u32 v36, v36, v40, v39
	v_add3_u32 v38, v38, v42, v41
	s_delay_alu instid0(VALU_DEP_2) | instskip(NEXT) | instid1(VALU_DEP_2)
	v_lshlrev_b64 v[35:36], 2, v[35:36]
	v_lshlrev_b64 v[39:40], 2, v[37:38]
	s_delay_alu instid0(VALU_DEP_2) | instskip(NEXT) | instid1(VALU_DEP_3)
	v_add_co_u32 v37, vcc_lo, s20, v35
	v_add_co_ci_u32_e32 v38, vcc_lo, s21, v36, vcc_lo
	s_delay_alu instid0(VALU_DEP_3) | instskip(NEXT) | instid1(VALU_DEP_4)
	v_add_co_u32 v35, vcc_lo, s20, v39
	v_add_co_ci_u32_e32 v36, vcc_lo, s21, v40, vcc_lo
	s_clause 0x1
	global_load_b32 v39, v[37:38], off
	global_load_b32 v40, v[35:36], off
	s_waitcnt vmcnt(0)
	v_cmpx_eq_u32_e64 v39, v40
	s_cbranch_execz .LBB1601_143
; %bb.137:
	v_add_co_u32 v35, vcc_lo, v35, 4
	v_add_co_ci_u32_e32 v36, vcc_lo, 0, v36, vcc_lo
	v_add_co_u32 v37, vcc_lo, v37, 4
	v_add_co_ci_u32_e32 v38, vcc_lo, 0, v38, vcc_lo
	s_add_u32 s4, s14, -1
	s_addc_u32 s5, s15, -1
	s_mov_b64 s[6:7], 0
	s_mov_b32 s25, 0
                                        ; implicit-def: $sgpr26
	s_set_inst_prefetch_distance 0x1
	s_branch .LBB1601_140
	.p2align	6
.LBB1601_138:                           ;   in Loop: Header=BB1601_140 Depth=1
	global_load_b32 v39, v[37:38], off
	global_load_b32 v40, v[35:36], off
	v_add_co_u32 v35, vcc_lo, v35, 4
	v_add_co_ci_u32_e32 v36, vcc_lo, 0, v36, vcc_lo
	v_add_co_u32 v37, s0, v37, 4
	s_delay_alu instid0(VALU_DEP_1)
	v_add_co_ci_u32_e64 v38, s0, 0, v38, s0
	s_add_u32 s6, s6, 1
	s_addc_u32 s7, s7, 0
	s_and_not1_b32 s0, s26, exec_lo
	s_waitcnt vmcnt(0)
	v_cmp_ne_u32_e32 vcc_lo, v39, v40
	s_and_b32 s26, vcc_lo, exec_lo
	s_delay_alu instid0(SALU_CYCLE_1)
	s_or_b32 s26, s0, s26
.LBB1601_139:                           ;   in Loop: Header=BB1601_140 Depth=1
	v_dual_mov_b32 v40, s7 :: v_dual_mov_b32 v39, s6
	s_and_b32 s0, exec_lo, s26
	s_delay_alu instid0(SALU_CYCLE_1) | instskip(NEXT) | instid1(SALU_CYCLE_1)
	s_or_b32 s25, s0, s25
	s_and_not1_b32 exec_lo, exec_lo, s25
	s_cbranch_execz .LBB1601_142
.LBB1601_140:                           ; =>This Inner Loop Header: Depth=1
	s_or_b32 s26, s26, exec_lo
	s_cmp_eq_u64 s[4:5], s[6:7]
	s_cbranch_scc0 .LBB1601_138
; %bb.141:                              ;   in Loop: Header=BB1601_140 Depth=1
	s_mov_b64 s[6:7], s[14:15]
                                        ; implicit-def: $vgpr35_vgpr36
                                        ; implicit-def: $vgpr37_vgpr38
	s_branch .LBB1601_139
.LBB1601_142:
	s_set_inst_prefetch_distance 0x2
	s_or_b32 exec_lo, exec_lo, s25
	v_cmp_gt_i64_e32 vcc_lo, s[14:15], v[39:40]
	s_or_not1_b32 s0, vcc_lo, exec_lo
.LBB1601_143:
	s_or_b32 exec_lo, exec_lo, s1
.LBB1601_144:
	s_delay_alu instid0(SALU_CYCLE_1)
	s_and_b32 s1, s0, exec_lo
.LBB1601_145:
	s_or_b32 exec_lo, exec_lo, s13
	v_or_b32_e32 v35, 5, v55
	s_mov_b32 s25, 0
	s_mov_b32 s13, 0
	s_mov_b32 s26, exec_lo
	s_delay_alu instid0(VALU_DEP_1)
	v_cmpx_gt_u32_e64 s31, v35
	s_cbranch_execz .LBB1601_156
; %bb.146:
	v_cmp_ne_u32_e32 vcc_lo, 1, v43
	s_mov_b32 s0, 0
	s_cbranch_vccnz .LBB1601_155
; %bb.147:
	v_mul_lo_u32 v39, v22, s14
	v_mul_lo_u32 v40, v21, s15
	v_mad_u64_u32 v[35:36], null, v21, s14, 0
	v_mul_lo_u32 v41, v24, s14
	v_mul_lo_u32 v42, v23, s15
	s_waitcnt lgkmcnt(0)
	v_mad_u64_u32 v[37:38], null, v23, s14, 0
	s_mov_b32 s0, -1
	s_mov_b32 s13, exec_lo
	s_delay_alu instid0(VALU_DEP_4) | instskip(NEXT) | instid1(VALU_DEP_2)
	v_add3_u32 v36, v36, v40, v39
	v_add3_u32 v38, v38, v42, v41
	s_delay_alu instid0(VALU_DEP_2) | instskip(NEXT) | instid1(VALU_DEP_2)
	v_lshlrev_b64 v[35:36], 2, v[35:36]
	v_lshlrev_b64 v[39:40], 2, v[37:38]
	s_delay_alu instid0(VALU_DEP_2) | instskip(NEXT) | instid1(VALU_DEP_3)
	v_add_co_u32 v37, vcc_lo, s20, v35
	v_add_co_ci_u32_e32 v38, vcc_lo, s21, v36, vcc_lo
	s_delay_alu instid0(VALU_DEP_3) | instskip(NEXT) | instid1(VALU_DEP_4)
	v_add_co_u32 v35, vcc_lo, s20, v39
	v_add_co_ci_u32_e32 v36, vcc_lo, s21, v40, vcc_lo
	s_clause 0x1
	global_load_b32 v39, v[37:38], off
	global_load_b32 v40, v[35:36], off
	s_waitcnt vmcnt(0)
	v_cmpx_eq_u32_e64 v39, v40
	s_cbranch_execz .LBB1601_154
; %bb.148:
	v_add_co_u32 v35, vcc_lo, v35, 4
	v_add_co_ci_u32_e32 v36, vcc_lo, 0, v36, vcc_lo
	v_add_co_u32 v37, vcc_lo, v37, 4
	v_add_co_ci_u32_e32 v38, vcc_lo, 0, v38, vcc_lo
	s_add_u32 s4, s14, -1
	s_addc_u32 s5, s15, -1
	s_mov_b64 s[6:7], 0
	s_mov_b32 s27, 0
                                        ; implicit-def: $sgpr34
	s_set_inst_prefetch_distance 0x1
	s_branch .LBB1601_151
	.p2align	6
.LBB1601_149:                           ;   in Loop: Header=BB1601_151 Depth=1
	global_load_b32 v39, v[37:38], off
	global_load_b32 v40, v[35:36], off
	v_add_co_u32 v35, vcc_lo, v35, 4
	v_add_co_ci_u32_e32 v36, vcc_lo, 0, v36, vcc_lo
	v_add_co_u32 v37, s0, v37, 4
	s_delay_alu instid0(VALU_DEP_1)
	v_add_co_ci_u32_e64 v38, s0, 0, v38, s0
	s_add_u32 s6, s6, 1
	s_addc_u32 s7, s7, 0
	s_and_not1_b32 s0, s34, exec_lo
	s_waitcnt vmcnt(0)
	v_cmp_ne_u32_e32 vcc_lo, v39, v40
	s_and_b32 s34, vcc_lo, exec_lo
	s_delay_alu instid0(SALU_CYCLE_1)
	s_or_b32 s34, s0, s34
.LBB1601_150:                           ;   in Loop: Header=BB1601_151 Depth=1
	v_dual_mov_b32 v40, s7 :: v_dual_mov_b32 v39, s6
	s_and_b32 s0, exec_lo, s34
	s_delay_alu instid0(SALU_CYCLE_1) | instskip(NEXT) | instid1(SALU_CYCLE_1)
	s_or_b32 s27, s0, s27
	s_and_not1_b32 exec_lo, exec_lo, s27
	s_cbranch_execz .LBB1601_153
.LBB1601_151:                           ; =>This Inner Loop Header: Depth=1
	s_or_b32 s34, s34, exec_lo
	s_cmp_eq_u64 s[4:5], s[6:7]
	s_cbranch_scc0 .LBB1601_149
; %bb.152:                              ;   in Loop: Header=BB1601_151 Depth=1
	s_mov_b64 s[6:7], s[14:15]
                                        ; implicit-def: $vgpr35_vgpr36
                                        ; implicit-def: $vgpr37_vgpr38
	s_branch .LBB1601_150
.LBB1601_153:
	s_set_inst_prefetch_distance 0x2
	s_or_b32 exec_lo, exec_lo, s27
	v_cmp_gt_i64_e32 vcc_lo, s[14:15], v[39:40]
	s_or_not1_b32 s0, vcc_lo, exec_lo
.LBB1601_154:
	s_or_b32 exec_lo, exec_lo, s13
.LBB1601_155:
	s_delay_alu instid0(SALU_CYCLE_1)
	s_and_b32 s13, s0, exec_lo
.LBB1601_156:
	s_or_b32 exec_lo, exec_lo, s26
	v_or_b32_e32 v35, 4, v55
	s_mov_b32 s26, exec_lo
	s_delay_alu instid0(VALU_DEP_1)
	v_cmpx_gt_u32_e64 s31, v35
	s_cbranch_execz .LBB1601_167
; %bb.157:
	v_cmp_ne_u32_e32 vcc_lo, 1, v43
	s_mov_b32 s0, 0
	s_cbranch_vccnz .LBB1601_166
; %bb.158:
	v_mul_lo_u32 v39, v28, s14
	v_mul_lo_u32 v40, v27, s15
	v_mad_u64_u32 v[35:36], null, v27, s14, 0
	v_mul_lo_u32 v41, v22, s14
	v_mul_lo_u32 v42, v21, s15
	s_waitcnt lgkmcnt(0)
	v_mad_u64_u32 v[37:38], null, v21, s14, 0
	s_mov_b32 s0, -1
	s_mov_b32 s25, exec_lo
	s_delay_alu instid0(VALU_DEP_4) | instskip(NEXT) | instid1(VALU_DEP_2)
	v_add3_u32 v36, v36, v40, v39
	v_add3_u32 v38, v38, v42, v41
	s_delay_alu instid0(VALU_DEP_2) | instskip(NEXT) | instid1(VALU_DEP_2)
	v_lshlrev_b64 v[35:36], 2, v[35:36]
	v_lshlrev_b64 v[39:40], 2, v[37:38]
	s_delay_alu instid0(VALU_DEP_2) | instskip(NEXT) | instid1(VALU_DEP_3)
	v_add_co_u32 v37, vcc_lo, s20, v35
	v_add_co_ci_u32_e32 v38, vcc_lo, s21, v36, vcc_lo
	s_delay_alu instid0(VALU_DEP_3) | instskip(NEXT) | instid1(VALU_DEP_4)
	v_add_co_u32 v35, vcc_lo, s20, v39
	v_add_co_ci_u32_e32 v36, vcc_lo, s21, v40, vcc_lo
	s_clause 0x1
	global_load_b32 v39, v[37:38], off
	global_load_b32 v40, v[35:36], off
	s_waitcnt vmcnt(0)
	v_cmpx_eq_u32_e64 v39, v40
	s_cbranch_execz .LBB1601_165
; %bb.159:
	v_add_co_u32 v35, vcc_lo, v35, 4
	v_add_co_ci_u32_e32 v36, vcc_lo, 0, v36, vcc_lo
	v_add_co_u32 v37, vcc_lo, v37, 4
	v_add_co_ci_u32_e32 v38, vcc_lo, 0, v38, vcc_lo
	s_add_u32 s4, s14, -1
	s_addc_u32 s5, s15, -1
	s_mov_b64 s[6:7], 0
	s_mov_b32 s27, 0
                                        ; implicit-def: $sgpr34
	s_set_inst_prefetch_distance 0x1
	s_branch .LBB1601_162
	.p2align	6
.LBB1601_160:                           ;   in Loop: Header=BB1601_162 Depth=1
	global_load_b32 v39, v[37:38], off
	global_load_b32 v40, v[35:36], off
	v_add_co_u32 v35, vcc_lo, v35, 4
	v_add_co_ci_u32_e32 v36, vcc_lo, 0, v36, vcc_lo
	v_add_co_u32 v37, s0, v37, 4
	s_delay_alu instid0(VALU_DEP_1)
	v_add_co_ci_u32_e64 v38, s0, 0, v38, s0
	s_add_u32 s6, s6, 1
	s_addc_u32 s7, s7, 0
	s_and_not1_b32 s0, s34, exec_lo
	s_waitcnt vmcnt(0)
	v_cmp_ne_u32_e32 vcc_lo, v39, v40
	s_and_b32 s34, vcc_lo, exec_lo
	s_delay_alu instid0(SALU_CYCLE_1)
	s_or_b32 s34, s0, s34
.LBB1601_161:                           ;   in Loop: Header=BB1601_162 Depth=1
	v_dual_mov_b32 v40, s7 :: v_dual_mov_b32 v39, s6
	s_and_b32 s0, exec_lo, s34
	s_delay_alu instid0(SALU_CYCLE_1) | instskip(NEXT) | instid1(SALU_CYCLE_1)
	s_or_b32 s27, s0, s27
	s_and_not1_b32 exec_lo, exec_lo, s27
	s_cbranch_execz .LBB1601_164
.LBB1601_162:                           ; =>This Inner Loop Header: Depth=1
	s_or_b32 s34, s34, exec_lo
	s_cmp_eq_u64 s[4:5], s[6:7]
	s_cbranch_scc0 .LBB1601_160
; %bb.163:                              ;   in Loop: Header=BB1601_162 Depth=1
	s_mov_b64 s[6:7], s[14:15]
                                        ; implicit-def: $vgpr35_vgpr36
                                        ; implicit-def: $vgpr37_vgpr38
	s_branch .LBB1601_161
.LBB1601_164:
	s_set_inst_prefetch_distance 0x2
	s_or_b32 exec_lo, exec_lo, s27
	v_cmp_gt_i64_e32 vcc_lo, s[14:15], v[39:40]
	s_or_not1_b32 s0, vcc_lo, exec_lo
.LBB1601_165:
	s_or_b32 exec_lo, exec_lo, s25
.LBB1601_166:
	s_delay_alu instid0(SALU_CYCLE_1)
	s_and_b32 s25, s0, exec_lo
.LBB1601_167:
	s_or_b32 exec_lo, exec_lo, s26
	v_or_b32_e32 v35, 3, v55
	s_mov_b32 s27, 0
	s_mov_b32 s26, 0
	s_mov_b32 s34, exec_lo
	s_delay_alu instid0(VALU_DEP_1)
	v_cmpx_gt_u32_e64 s31, v35
	s_cbranch_execz .LBB1601_178
; %bb.168:
	v_cmp_ne_u32_e32 vcc_lo, 1, v43
	s_mov_b32 s0, 0
	s_cbranch_vccnz .LBB1601_177
; %bb.169:
	v_mul_lo_u32 v39, v26, s14
	v_mul_lo_u32 v40, v25, s15
	v_mad_u64_u32 v[35:36], null, v25, s14, 0
	v_mul_lo_u32 v41, v28, s14
	v_mul_lo_u32 v42, v27, s15
	s_waitcnt lgkmcnt(0)
	v_mad_u64_u32 v[37:38], null, v27, s14, 0
	s_mov_b32 s0, -1
	s_mov_b32 s26, exec_lo
	s_delay_alu instid0(VALU_DEP_4) | instskip(NEXT) | instid1(VALU_DEP_2)
	v_add3_u32 v36, v36, v40, v39
	v_add3_u32 v38, v38, v42, v41
	s_delay_alu instid0(VALU_DEP_2) | instskip(NEXT) | instid1(VALU_DEP_2)
	v_lshlrev_b64 v[35:36], 2, v[35:36]
	v_lshlrev_b64 v[39:40], 2, v[37:38]
	s_delay_alu instid0(VALU_DEP_2) | instskip(NEXT) | instid1(VALU_DEP_3)
	v_add_co_u32 v37, vcc_lo, s20, v35
	v_add_co_ci_u32_e32 v38, vcc_lo, s21, v36, vcc_lo
	s_delay_alu instid0(VALU_DEP_3) | instskip(NEXT) | instid1(VALU_DEP_4)
	v_add_co_u32 v35, vcc_lo, s20, v39
	v_add_co_ci_u32_e32 v36, vcc_lo, s21, v40, vcc_lo
	s_clause 0x1
	global_load_b32 v39, v[37:38], off
	global_load_b32 v40, v[35:36], off
	s_waitcnt vmcnt(0)
	v_cmpx_eq_u32_e64 v39, v40
	s_cbranch_execz .LBB1601_176
; %bb.170:
	v_add_co_u32 v35, vcc_lo, v35, 4
	v_add_co_ci_u32_e32 v36, vcc_lo, 0, v36, vcc_lo
	v_add_co_u32 v37, vcc_lo, v37, 4
	v_add_co_ci_u32_e32 v38, vcc_lo, 0, v38, vcc_lo
	s_add_u32 s4, s14, -1
	s_addc_u32 s5, s15, -1
	s_mov_b64 s[6:7], 0
	s_mov_b32 s35, 0
                                        ; implicit-def: $sgpr36
	s_set_inst_prefetch_distance 0x1
	s_branch .LBB1601_173
	.p2align	6
.LBB1601_171:                           ;   in Loop: Header=BB1601_173 Depth=1
	global_load_b32 v39, v[37:38], off
	global_load_b32 v40, v[35:36], off
	v_add_co_u32 v35, vcc_lo, v35, 4
	v_add_co_ci_u32_e32 v36, vcc_lo, 0, v36, vcc_lo
	v_add_co_u32 v37, s0, v37, 4
	s_delay_alu instid0(VALU_DEP_1)
	v_add_co_ci_u32_e64 v38, s0, 0, v38, s0
	s_add_u32 s6, s6, 1
	s_addc_u32 s7, s7, 0
	s_and_not1_b32 s0, s36, exec_lo
	s_waitcnt vmcnt(0)
	v_cmp_ne_u32_e32 vcc_lo, v39, v40
	s_and_b32 s36, vcc_lo, exec_lo
	s_delay_alu instid0(SALU_CYCLE_1)
	s_or_b32 s36, s0, s36
.LBB1601_172:                           ;   in Loop: Header=BB1601_173 Depth=1
	v_dual_mov_b32 v40, s7 :: v_dual_mov_b32 v39, s6
	s_and_b32 s0, exec_lo, s36
	s_delay_alu instid0(SALU_CYCLE_1) | instskip(NEXT) | instid1(SALU_CYCLE_1)
	s_or_b32 s35, s0, s35
	s_and_not1_b32 exec_lo, exec_lo, s35
	s_cbranch_execz .LBB1601_175
.LBB1601_173:                           ; =>This Inner Loop Header: Depth=1
	s_or_b32 s36, s36, exec_lo
	s_cmp_eq_u64 s[4:5], s[6:7]
	s_cbranch_scc0 .LBB1601_171
; %bb.174:                              ;   in Loop: Header=BB1601_173 Depth=1
	s_mov_b64 s[6:7], s[14:15]
                                        ; implicit-def: $vgpr35_vgpr36
                                        ; implicit-def: $vgpr37_vgpr38
	s_branch .LBB1601_172
.LBB1601_175:
	s_set_inst_prefetch_distance 0x2
	s_or_b32 exec_lo, exec_lo, s35
	v_cmp_gt_i64_e32 vcc_lo, s[14:15], v[39:40]
	s_or_not1_b32 s0, vcc_lo, exec_lo
.LBB1601_176:
	s_or_b32 exec_lo, exec_lo, s26
.LBB1601_177:
	s_delay_alu instid0(SALU_CYCLE_1)
	s_and_b32 s26, s0, exec_lo
.LBB1601_178:
	s_or_b32 exec_lo, exec_lo, s34
	v_or_b32_e32 v35, 2, v55
	s_mov_b32 s34, exec_lo
	s_delay_alu instid0(VALU_DEP_1)
	v_cmpx_gt_u32_e64 s31, v35
	s_cbranch_execz .LBB1601_189
; %bb.179:
	v_cmp_ne_u32_e32 vcc_lo, 1, v43
	s_mov_b32 s0, 0
	s_cbranch_vccnz .LBB1601_188
; %bb.180:
	v_mul_lo_u32 v39, v32, s14
	v_mul_lo_u32 v40, v31, s15
	v_mad_u64_u32 v[35:36], null, v31, s14, 0
	v_mul_lo_u32 v41, v26, s14
	v_mul_lo_u32 v42, v25, s15
	s_waitcnt lgkmcnt(0)
	v_mad_u64_u32 v[37:38], null, v25, s14, 0
	s_mov_b32 s0, -1
	s_mov_b32 s27, exec_lo
	s_delay_alu instid0(VALU_DEP_4) | instskip(NEXT) | instid1(VALU_DEP_2)
	v_add3_u32 v36, v36, v40, v39
	v_add3_u32 v38, v38, v42, v41
	s_delay_alu instid0(VALU_DEP_2) | instskip(NEXT) | instid1(VALU_DEP_2)
	v_lshlrev_b64 v[35:36], 2, v[35:36]
	v_lshlrev_b64 v[39:40], 2, v[37:38]
	s_delay_alu instid0(VALU_DEP_2) | instskip(NEXT) | instid1(VALU_DEP_3)
	v_add_co_u32 v37, vcc_lo, s20, v35
	v_add_co_ci_u32_e32 v38, vcc_lo, s21, v36, vcc_lo
	s_delay_alu instid0(VALU_DEP_3) | instskip(NEXT) | instid1(VALU_DEP_4)
	v_add_co_u32 v35, vcc_lo, s20, v39
	v_add_co_ci_u32_e32 v36, vcc_lo, s21, v40, vcc_lo
	s_clause 0x1
	global_load_b32 v39, v[37:38], off
	global_load_b32 v40, v[35:36], off
	s_waitcnt vmcnt(0)
	v_cmpx_eq_u32_e64 v39, v40
	s_cbranch_execz .LBB1601_187
; %bb.181:
	v_add_co_u32 v35, vcc_lo, v35, 4
	v_add_co_ci_u32_e32 v36, vcc_lo, 0, v36, vcc_lo
	v_add_co_u32 v37, vcc_lo, v37, 4
	v_add_co_ci_u32_e32 v38, vcc_lo, 0, v38, vcc_lo
	s_add_u32 s4, s14, -1
	s_addc_u32 s5, s15, -1
	s_mov_b64 s[6:7], 0
	s_mov_b32 s35, 0
                                        ; implicit-def: $sgpr36
	s_set_inst_prefetch_distance 0x1
	s_branch .LBB1601_184
	.p2align	6
.LBB1601_182:                           ;   in Loop: Header=BB1601_184 Depth=1
	global_load_b32 v39, v[37:38], off
	global_load_b32 v40, v[35:36], off
	v_add_co_u32 v35, vcc_lo, v35, 4
	v_add_co_ci_u32_e32 v36, vcc_lo, 0, v36, vcc_lo
	v_add_co_u32 v37, s0, v37, 4
	s_delay_alu instid0(VALU_DEP_1)
	v_add_co_ci_u32_e64 v38, s0, 0, v38, s0
	s_add_u32 s6, s6, 1
	s_addc_u32 s7, s7, 0
	s_and_not1_b32 s0, s36, exec_lo
	s_waitcnt vmcnt(0)
	v_cmp_ne_u32_e32 vcc_lo, v39, v40
	s_and_b32 s36, vcc_lo, exec_lo
	s_delay_alu instid0(SALU_CYCLE_1)
	s_or_b32 s36, s0, s36
.LBB1601_183:                           ;   in Loop: Header=BB1601_184 Depth=1
	v_dual_mov_b32 v40, s7 :: v_dual_mov_b32 v39, s6
	s_and_b32 s0, exec_lo, s36
	s_delay_alu instid0(SALU_CYCLE_1) | instskip(NEXT) | instid1(SALU_CYCLE_1)
	s_or_b32 s35, s0, s35
	s_and_not1_b32 exec_lo, exec_lo, s35
	s_cbranch_execz .LBB1601_186
.LBB1601_184:                           ; =>This Inner Loop Header: Depth=1
	s_or_b32 s36, s36, exec_lo
	s_cmp_eq_u64 s[4:5], s[6:7]
	s_cbranch_scc0 .LBB1601_182
; %bb.185:                              ;   in Loop: Header=BB1601_184 Depth=1
	s_mov_b64 s[6:7], s[14:15]
                                        ; implicit-def: $vgpr35_vgpr36
                                        ; implicit-def: $vgpr37_vgpr38
	s_branch .LBB1601_183
.LBB1601_186:
	s_set_inst_prefetch_distance 0x2
	s_or_b32 exec_lo, exec_lo, s35
	v_cmp_gt_i64_e32 vcc_lo, s[14:15], v[39:40]
	s_or_not1_b32 s0, vcc_lo, exec_lo
.LBB1601_187:
	s_or_b32 exec_lo, exec_lo, s27
.LBB1601_188:
	s_delay_alu instid0(SALU_CYCLE_1)
	s_and_b32 s27, s0, exec_lo
.LBB1601_189:
	s_or_b32 exec_lo, exec_lo, s34
	v_or_b32_e32 v35, 1, v55
	s_mov_b32 s0, 0
	s_mov_b32 s34, exec_lo
	s_delay_alu instid0(VALU_DEP_1)
	v_cmpx_gt_u32_e64 s31, v35
	s_cbranch_execz .LBB1601_200
; %bb.190:
	v_cmp_ne_u32_e32 vcc_lo, 1, v43
	s_cbranch_vccnz .LBB1601_199
; %bb.191:
	v_mul_lo_u32 v39, v30, s14
	v_mul_lo_u32 v40, v29, s15
	v_mad_u64_u32 v[35:36], null, v29, s14, 0
	v_mul_lo_u32 v41, v32, s14
	v_mul_lo_u32 v42, v31, s15
	s_waitcnt lgkmcnt(0)
	v_mad_u64_u32 v[37:38], null, v31, s14, 0
	s_mov_b32 s0, -1
	s_mov_b32 s35, exec_lo
	s_delay_alu instid0(VALU_DEP_4) | instskip(NEXT) | instid1(VALU_DEP_2)
	v_add3_u32 v36, v36, v40, v39
	v_add3_u32 v38, v38, v42, v41
	s_delay_alu instid0(VALU_DEP_2) | instskip(NEXT) | instid1(VALU_DEP_2)
	v_lshlrev_b64 v[35:36], 2, v[35:36]
	v_lshlrev_b64 v[39:40], 2, v[37:38]
	s_delay_alu instid0(VALU_DEP_2) | instskip(NEXT) | instid1(VALU_DEP_3)
	v_add_co_u32 v37, vcc_lo, s20, v35
	v_add_co_ci_u32_e32 v38, vcc_lo, s21, v36, vcc_lo
	s_delay_alu instid0(VALU_DEP_3) | instskip(NEXT) | instid1(VALU_DEP_4)
	v_add_co_u32 v35, vcc_lo, s20, v39
	v_add_co_ci_u32_e32 v36, vcc_lo, s21, v40, vcc_lo
	s_clause 0x1
	global_load_b32 v39, v[37:38], off
	global_load_b32 v40, v[35:36], off
	s_waitcnt vmcnt(0)
	v_cmpx_eq_u32_e64 v39, v40
	s_cbranch_execz .LBB1601_198
; %bb.192:
	v_add_co_u32 v35, vcc_lo, v35, 4
	v_add_co_ci_u32_e32 v36, vcc_lo, 0, v36, vcc_lo
	v_add_co_u32 v37, vcc_lo, v37, 4
	v_add_co_ci_u32_e32 v38, vcc_lo, 0, v38, vcc_lo
	s_add_u32 s4, s14, -1
	s_addc_u32 s5, s15, -1
	s_mov_b64 s[6:7], 0
	s_mov_b32 s36, 0
                                        ; implicit-def: $sgpr37
	s_set_inst_prefetch_distance 0x1
	s_branch .LBB1601_195
	.p2align	6
.LBB1601_193:                           ;   in Loop: Header=BB1601_195 Depth=1
	global_load_b32 v39, v[37:38], off
	global_load_b32 v40, v[35:36], off
	v_add_co_u32 v35, vcc_lo, v35, 4
	v_add_co_ci_u32_e32 v36, vcc_lo, 0, v36, vcc_lo
	v_add_co_u32 v37, s0, v37, 4
	s_delay_alu instid0(VALU_DEP_1)
	v_add_co_ci_u32_e64 v38, s0, 0, v38, s0
	s_add_u32 s6, s6, 1
	s_addc_u32 s7, s7, 0
	s_and_not1_b32 s0, s37, exec_lo
	s_waitcnt vmcnt(0)
	v_cmp_ne_u32_e32 vcc_lo, v39, v40
	s_and_b32 s37, vcc_lo, exec_lo
	s_delay_alu instid0(SALU_CYCLE_1)
	s_or_b32 s37, s0, s37
.LBB1601_194:                           ;   in Loop: Header=BB1601_195 Depth=1
	v_dual_mov_b32 v40, s7 :: v_dual_mov_b32 v39, s6
	s_and_b32 s0, exec_lo, s37
	s_delay_alu instid0(SALU_CYCLE_1) | instskip(NEXT) | instid1(SALU_CYCLE_1)
	s_or_b32 s36, s0, s36
	s_and_not1_b32 exec_lo, exec_lo, s36
	s_cbranch_execz .LBB1601_197
.LBB1601_195:                           ; =>This Inner Loop Header: Depth=1
	s_or_b32 s37, s37, exec_lo
	s_cmp_eq_u64 s[4:5], s[6:7]
	s_cbranch_scc0 .LBB1601_193
; %bb.196:                              ;   in Loop: Header=BB1601_195 Depth=1
	s_mov_b64 s[6:7], s[14:15]
                                        ; implicit-def: $vgpr35_vgpr36
                                        ; implicit-def: $vgpr37_vgpr38
	s_branch .LBB1601_194
.LBB1601_197:
	s_set_inst_prefetch_distance 0x2
	s_or_b32 exec_lo, exec_lo, s36
	v_cmp_gt_i64_e32 vcc_lo, s[14:15], v[39:40]
	s_or_not1_b32 s0, vcc_lo, exec_lo
.LBB1601_198:
	s_or_b32 exec_lo, exec_lo, s35
.LBB1601_199:
	s_delay_alu instid0(SALU_CYCLE_1)
	s_and_b32 s0, s0, exec_lo
.LBB1601_200:
	s_or_b32 exec_lo, exec_lo, s34
	s_waitcnt vmcnt(0) lgkmcnt(0)
	s_barrier
	buffer_gl0_inv
	s_and_saveexec_b32 s4, s3
	s_cbranch_execz .LBB1601_202
; %bb.201:
	v_add_nc_u32_e32 v33, -8, v55
	ds_load_b64 v[33:34], v33
.LBB1601_202:
	s_or_b32 exec_lo, exec_lo, s4
	v_cndmask_b32_e64 v36, 0, 1, s26
	v_cndmask_b32_e64 v38, 0, 1, s13
	;; [unrolled: 1-line block ×7, first 2 shown]
	v_lshlrev_b16 v36, 8, v36
	v_lshlrev_b16 v38, 8, v38
	;; [unrolled: 1-line block ×3, first 2 shown]
	s_mov_b32 s0, 0
	v_lshlrev_b16 v41, 8, v41
	v_or_b32_e32 v35, v35, v36
	v_or_b32_e32 v36, v37, v38
	;; [unrolled: 1-line block ×3, first 2 shown]
	s_mov_b32 s1, exec_lo
	v_and_b32_e32 v39, 0xffff, v41
	v_lshlrev_b32_e32 v40, 16, v35
	v_and_b32_e32 v41, 0xffff, v36
	v_lshlrev_b32_e32 v42, 16, v37
	v_cmpx_gt_u32_e64 s31, v55
	s_cbranch_execz .LBB1601_213
; %bb.203:
	v_cmp_ne_u32_e32 vcc_lo, 1, v43
	s_cbranch_vccnz .LBB1601_212
; %bb.204:
	s_waitcnt lgkmcnt(0)
	v_mul_lo_u32 v38, v34, s14
	v_mul_lo_u32 v43, v33, s15
	v_mad_u64_u32 v[34:35], null, v33, s14, 0
	v_mul_lo_u32 v33, v30, s14
	v_mul_lo_u32 v44, v29, s15
	v_mad_u64_u32 v[36:37], null, v29, s14, 0
	s_mov_b32 s0, -1
	s_mov_b32 s13, exec_lo
	s_delay_alu instid0(VALU_DEP_4) | instskip(NEXT) | instid1(VALU_DEP_2)
	v_add3_u32 v35, v35, v43, v38
	v_add3_u32 v37, v37, v44, v33
	s_delay_alu instid0(VALU_DEP_2) | instskip(NEXT) | instid1(VALU_DEP_2)
	v_lshlrev_b64 v[33:34], 2, v[34:35]
	v_lshlrev_b64 v[37:38], 2, v[36:37]
	s_delay_alu instid0(VALU_DEP_2) | instskip(NEXT) | instid1(VALU_DEP_3)
	v_add_co_u32 v35, vcc_lo, s20, v33
	v_add_co_ci_u32_e32 v36, vcc_lo, s21, v34, vcc_lo
	s_delay_alu instid0(VALU_DEP_3) | instskip(NEXT) | instid1(VALU_DEP_4)
	v_add_co_u32 v33, vcc_lo, s20, v37
	v_add_co_ci_u32_e32 v34, vcc_lo, s21, v38, vcc_lo
	s_clause 0x1
	global_load_b32 v37, v[35:36], off
	global_load_b32 v38, v[33:34], off
	s_waitcnt vmcnt(0)
	v_cmpx_eq_u32_e64 v37, v38
	s_cbranch_execz .LBB1601_211
; %bb.205:
	v_add_co_u32 v33, vcc_lo, v33, 4
	v_add_co_ci_u32_e32 v34, vcc_lo, 0, v34, vcc_lo
	v_add_co_u32 v35, vcc_lo, v35, 4
	v_add_co_ci_u32_e32 v36, vcc_lo, 0, v36, vcc_lo
	s_add_u32 s4, s14, -1
	s_addc_u32 s5, s15, -1
	s_mov_b64 s[6:7], 0
	s_mov_b32 s24, 0
                                        ; implicit-def: $sgpr25
	s_set_inst_prefetch_distance 0x1
	s_branch .LBB1601_208
	.p2align	6
.LBB1601_206:                           ;   in Loop: Header=BB1601_208 Depth=1
	global_load_b32 v37, v[35:36], off
	global_load_b32 v38, v[33:34], off
	v_add_co_u32 v33, vcc_lo, v33, 4
	v_add_co_ci_u32_e32 v34, vcc_lo, 0, v34, vcc_lo
	v_add_co_u32 v35, s0, v35, 4
	s_delay_alu instid0(VALU_DEP_1)
	v_add_co_ci_u32_e64 v36, s0, 0, v36, s0
	s_add_u32 s6, s6, 1
	s_addc_u32 s7, s7, 0
	s_and_not1_b32 s0, s25, exec_lo
	s_waitcnt vmcnt(0)
	v_cmp_ne_u32_e32 vcc_lo, v37, v38
	s_and_b32 s25, vcc_lo, exec_lo
	s_delay_alu instid0(SALU_CYCLE_1)
	s_or_b32 s25, s0, s25
.LBB1601_207:                           ;   in Loop: Header=BB1601_208 Depth=1
	v_dual_mov_b32 v38, s7 :: v_dual_mov_b32 v37, s6
	s_and_b32 s0, exec_lo, s25
	s_delay_alu instid0(SALU_CYCLE_1) | instskip(NEXT) | instid1(SALU_CYCLE_1)
	s_or_b32 s24, s0, s24
	s_and_not1_b32 exec_lo, exec_lo, s24
	s_cbranch_execz .LBB1601_210
.LBB1601_208:                           ; =>This Inner Loop Header: Depth=1
	s_or_b32 s25, s25, exec_lo
	s_cmp_eq_u64 s[4:5], s[6:7]
	s_cbranch_scc0 .LBB1601_206
; %bb.209:                              ;   in Loop: Header=BB1601_208 Depth=1
	s_mov_b64 s[6:7], s[14:15]
                                        ; implicit-def: $vgpr33_vgpr34
                                        ; implicit-def: $vgpr35_vgpr36
	s_branch .LBB1601_207
.LBB1601_210:
	s_set_inst_prefetch_distance 0x2
	s_or_b32 exec_lo, exec_lo, s24
	v_cmp_gt_i64_e32 vcc_lo, s[14:15], v[37:38]
	s_or_not1_b32 s0, vcc_lo, exec_lo
.LBB1601_211:
	s_or_b32 exec_lo, exec_lo, s13
.LBB1601_212:
	s_delay_alu instid0(SALU_CYCLE_1)
	s_and_b32 s0, s0, exec_lo
.LBB1601_213:
	s_or_b32 exec_lo, exec_lo, s1
	v_or_b32_e32 v35, v39, v40
	v_or_b32_e32 v36, v41, v42
.LBB1601_214:
	s_mov_b32 s1, -1
	s_cbranch_execnz .LBB1601_383
.LBB1601_215:
	v_cmp_gt_i64_e64 s13, s[14:15], 0
	s_and_b32 vcc_lo, exec_lo, s29
	ds_store_b64 v55, v[19:20]
	s_cbranch_vccz .LBB1601_223
; %bb.216:
	v_mul_lo_u32 v35, v18, s14
	v_mul_lo_u32 v36, v17, s15
	s_waitcnt vmcnt(0) lgkmcnt(1)
	v_mad_u64_u32 v[33:34], null, v17, s14, 0
	s_mov_b32 s24, 0
	s_and_not1_b32 vcc_lo, exec_lo, s13
	s_mov_b32 s25, 0
	s_delay_alu instid0(VALU_DEP_1) | instskip(NEXT) | instid1(VALU_DEP_1)
	v_add3_u32 v34, v34, v36, v35
	v_lshlrev_b64 v[33:34], 2, v[33:34]
	s_cbranch_vccnz .LBB1601_226
; %bb.217:
	v_mul_lo_u32 v37, v20, s14
	v_mul_lo_u32 v38, v19, s15
	v_mad_u64_u32 v[35:36], null, v19, s14, 0
	s_mov_b32 s25, -1
	s_mov_b32 s26, exec_lo
	s_delay_alu instid0(VALU_DEP_1) | instskip(SKIP_2) | instid1(VALU_DEP_3)
	v_add3_u32 v36, v36, v38, v37
	v_add_co_u32 v37, vcc_lo, s20, v33
	v_add_co_ci_u32_e32 v38, vcc_lo, s21, v34, vcc_lo
	v_lshlrev_b64 v[35:36], 2, v[35:36]
	s_delay_alu instid0(VALU_DEP_1) | instskip(NEXT) | instid1(VALU_DEP_2)
	v_add_co_u32 v35, vcc_lo, s20, v35
	v_add_co_ci_u32_e32 v36, vcc_lo, s21, v36, vcc_lo
	s_clause 0x1
	global_load_b32 v39, v[37:38], off
	global_load_b32 v40, v[35:36], off
	s_waitcnt vmcnt(0)
	v_cmpx_eq_u32_e64 v39, v40
	s_cbranch_execz .LBB1601_225
; %bb.218:
	v_add_co_u32 v35, vcc_lo, v35, 4
	v_add_co_ci_u32_e32 v36, vcc_lo, 0, v36, vcc_lo
	v_add_co_u32 v37, vcc_lo, v37, 4
	v_add_co_ci_u32_e32 v38, vcc_lo, 0, v38, vcc_lo
	s_add_u32 s4, s14, -1
	s_addc_u32 s5, s15, -1
	s_mov_b64 s[6:7], 0
	s_mov_b32 s25, 0
                                        ; implicit-def: $sgpr27
	s_set_inst_prefetch_distance 0x1
	s_branch .LBB1601_221
	.p2align	6
.LBB1601_219:                           ;   in Loop: Header=BB1601_221 Depth=1
	global_load_b32 v39, v[37:38], off
	global_load_b32 v40, v[35:36], off
	v_add_co_u32 v35, vcc_lo, v35, 4
	v_add_co_ci_u32_e32 v36, vcc_lo, 0, v36, vcc_lo
	v_add_co_u32 v37, s0, v37, 4
	s_delay_alu instid0(VALU_DEP_1)
	v_add_co_ci_u32_e64 v38, s0, 0, v38, s0
	s_add_u32 s6, s6, 1
	s_addc_u32 s7, s7, 0
	s_and_not1_b32 s0, s27, exec_lo
	s_waitcnt vmcnt(0)
	v_cmp_ne_u32_e32 vcc_lo, v39, v40
	s_and_b32 s27, vcc_lo, exec_lo
	s_delay_alu instid0(SALU_CYCLE_1)
	s_or_b32 s27, s0, s27
.LBB1601_220:                           ;   in Loop: Header=BB1601_221 Depth=1
	v_dual_mov_b32 v40, s7 :: v_dual_mov_b32 v39, s6
	s_and_b32 s0, exec_lo, s27
	s_delay_alu instid0(SALU_CYCLE_1) | instskip(NEXT) | instid1(SALU_CYCLE_1)
	s_or_b32 s25, s0, s25
	s_and_not1_b32 exec_lo, exec_lo, s25
	s_cbranch_execz .LBB1601_224
.LBB1601_221:                           ; =>This Inner Loop Header: Depth=1
	s_or_b32 s27, s27, exec_lo
	s_cmp_eq_u64 s[4:5], s[6:7]
	s_cbranch_scc0 .LBB1601_219
; %bb.222:                              ;   in Loop: Header=BB1601_221 Depth=1
	s_mov_b64 s[6:7], s[14:15]
                                        ; implicit-def: $vgpr35_vgpr36
                                        ; implicit-def: $vgpr37_vgpr38
	s_branch .LBB1601_220
.LBB1601_223:
                                        ; implicit-def: $sgpr0
                                        ; implicit-def: $vgpr36
	s_cbranch_execnz .LBB1601_292
	s_branch .LBB1601_383
.LBB1601_224:
	s_set_inst_prefetch_distance 0x2
	s_or_b32 exec_lo, exec_lo, s25
	v_cmp_gt_i64_e32 vcc_lo, s[14:15], v[39:40]
	s_or_not1_b32 s25, vcc_lo, exec_lo
.LBB1601_225:
	s_or_b32 exec_lo, exec_lo, s26
.LBB1601_226:
	v_mul_lo_u32 v37, v24, s14
	v_mul_lo_u32 v38, v23, s15
	v_mad_u64_u32 v[35:36], null, v23, s14, 0
	s_and_not1_b32 vcc_lo, exec_lo, s13
	s_delay_alu instid0(VALU_DEP_1) | instskip(NEXT) | instid1(VALU_DEP_1)
	v_add3_u32 v36, v36, v38, v37
	v_lshlrev_b64 v[35:36], 2, v[35:36]
	s_cbranch_vccnz .LBB1601_235
; %bb.227:
	s_delay_alu instid0(VALU_DEP_1) | instskip(NEXT) | instid1(VALU_DEP_2)
	v_add_co_u32 v37, vcc_lo, s20, v35
	v_add_co_ci_u32_e32 v38, vcc_lo, s21, v36, vcc_lo
	v_add_co_u32 v33, vcc_lo, s20, v33
	v_add_co_ci_u32_e32 v34, vcc_lo, s21, v34, vcc_lo
	s_mov_b32 s24, -1
	s_clause 0x1
	global_load_b32 v39, v[37:38], off
	global_load_b32 v40, v[33:34], off
	s_mov_b32 s26, exec_lo
	s_waitcnt vmcnt(0)
	v_cmpx_eq_u32_e64 v39, v40
	s_cbranch_execz .LBB1601_234
; %bb.228:
	v_add_co_u32 v33, vcc_lo, v33, 4
	v_add_co_ci_u32_e32 v34, vcc_lo, 0, v34, vcc_lo
	v_add_co_u32 v37, vcc_lo, v37, 4
	v_add_co_ci_u32_e32 v38, vcc_lo, 0, v38, vcc_lo
	s_add_u32 s4, s14, -1
	s_addc_u32 s5, s15, -1
	s_mov_b64 s[6:7], 0
	s_mov_b32 s24, 0
                                        ; implicit-def: $sgpr27
	s_set_inst_prefetch_distance 0x1
	s_branch .LBB1601_231
	.p2align	6
.LBB1601_229:                           ;   in Loop: Header=BB1601_231 Depth=1
	global_load_b32 v39, v[37:38], off
	global_load_b32 v40, v[33:34], off
	v_add_co_u32 v33, vcc_lo, v33, 4
	v_add_co_ci_u32_e32 v34, vcc_lo, 0, v34, vcc_lo
	v_add_co_u32 v37, s0, v37, 4
	s_delay_alu instid0(VALU_DEP_1)
	v_add_co_ci_u32_e64 v38, s0, 0, v38, s0
	s_add_u32 s6, s6, 1
	s_addc_u32 s7, s7, 0
	s_and_not1_b32 s0, s27, exec_lo
	s_waitcnt vmcnt(0)
	v_cmp_ne_u32_e32 vcc_lo, v39, v40
	s_and_b32 s27, vcc_lo, exec_lo
	s_delay_alu instid0(SALU_CYCLE_1)
	s_or_b32 s27, s0, s27
.LBB1601_230:                           ;   in Loop: Header=BB1601_231 Depth=1
	v_dual_mov_b32 v40, s7 :: v_dual_mov_b32 v39, s6
	s_and_b32 s0, exec_lo, s27
	s_delay_alu instid0(SALU_CYCLE_1) | instskip(NEXT) | instid1(SALU_CYCLE_1)
	s_or_b32 s24, s0, s24
	s_and_not1_b32 exec_lo, exec_lo, s24
	s_cbranch_execz .LBB1601_233
.LBB1601_231:                           ; =>This Inner Loop Header: Depth=1
	s_or_b32 s27, s27, exec_lo
	s_cmp_eq_u64 s[4:5], s[6:7]
	s_cbranch_scc0 .LBB1601_229
; %bb.232:                              ;   in Loop: Header=BB1601_231 Depth=1
	s_mov_b64 s[6:7], s[14:15]
                                        ; implicit-def: $vgpr33_vgpr34
                                        ; implicit-def: $vgpr37_vgpr38
	s_branch .LBB1601_230
.LBB1601_233:
	s_set_inst_prefetch_distance 0x2
	s_or_b32 exec_lo, exec_lo, s24
	v_cmp_gt_i64_e32 vcc_lo, s[14:15], v[39:40]
	s_or_not1_b32 s24, vcc_lo, exec_lo
.LBB1601_234:
	s_or_b32 exec_lo, exec_lo, s26
.LBB1601_235:
	v_mul_lo_u32 v37, v22, s14
	v_mul_lo_u32 v38, v21, s15
	v_mad_u64_u32 v[33:34], null, v21, s14, 0
	s_mov_b32 s26, 0
	s_and_not1_b32 vcc_lo, exec_lo, s13
	s_mov_b32 s27, 0
	s_delay_alu instid0(VALU_DEP_1) | instskip(NEXT) | instid1(VALU_DEP_1)
	v_add3_u32 v34, v34, v38, v37
	v_lshlrev_b64 v[37:38], 2, v[33:34]
	s_cbranch_vccnz .LBB1601_244
; %bb.236:
	s_delay_alu instid0(VALU_DEP_1) | instskip(NEXT) | instid1(VALU_DEP_2)
	v_add_co_u32 v39, vcc_lo, s20, v37
	v_add_co_ci_u32_e32 v40, vcc_lo, s21, v38, vcc_lo
	v_add_co_u32 v33, vcc_lo, s20, v35
	v_add_co_ci_u32_e32 v34, vcc_lo, s21, v36, vcc_lo
	s_mov_b32 s27, -1
	s_clause 0x1
	global_load_b32 v35, v[39:40], off
	global_load_b32 v36, v[33:34], off
	s_mov_b32 s34, exec_lo
	s_waitcnt vmcnt(0)
	v_cmpx_eq_u32_e64 v35, v36
	s_cbranch_execz .LBB1601_243
; %bb.237:
	v_add_co_u32 v33, vcc_lo, v33, 4
	v_add_co_ci_u32_e32 v34, vcc_lo, 0, v34, vcc_lo
	v_add_co_u32 v35, vcc_lo, v39, 4
	v_add_co_ci_u32_e32 v36, vcc_lo, 0, v40, vcc_lo
	s_add_u32 s4, s14, -1
	s_addc_u32 s5, s15, -1
	s_mov_b64 s[6:7], 0
	s_mov_b32 s27, 0
                                        ; implicit-def: $sgpr35
	s_set_inst_prefetch_distance 0x1
	s_branch .LBB1601_240
	.p2align	6
.LBB1601_238:                           ;   in Loop: Header=BB1601_240 Depth=1
	global_load_b32 v39, v[35:36], off
	global_load_b32 v40, v[33:34], off
	v_add_co_u32 v33, vcc_lo, v33, 4
	v_add_co_ci_u32_e32 v34, vcc_lo, 0, v34, vcc_lo
	v_add_co_u32 v35, s0, v35, 4
	s_delay_alu instid0(VALU_DEP_1)
	v_add_co_ci_u32_e64 v36, s0, 0, v36, s0
	s_add_u32 s6, s6, 1
	s_addc_u32 s7, s7, 0
	s_and_not1_b32 s0, s35, exec_lo
	s_waitcnt vmcnt(0)
	v_cmp_ne_u32_e32 vcc_lo, v39, v40
	s_and_b32 s35, vcc_lo, exec_lo
	s_delay_alu instid0(SALU_CYCLE_1)
	s_or_b32 s35, s0, s35
.LBB1601_239:                           ;   in Loop: Header=BB1601_240 Depth=1
	v_dual_mov_b32 v40, s7 :: v_dual_mov_b32 v39, s6
	s_and_b32 s0, exec_lo, s35
	s_delay_alu instid0(SALU_CYCLE_1) | instskip(NEXT) | instid1(SALU_CYCLE_1)
	s_or_b32 s27, s0, s27
	s_and_not1_b32 exec_lo, exec_lo, s27
	s_cbranch_execz .LBB1601_242
.LBB1601_240:                           ; =>This Inner Loop Header: Depth=1
	s_or_b32 s35, s35, exec_lo
	s_cmp_eq_u64 s[4:5], s[6:7]
	s_cbranch_scc0 .LBB1601_238
; %bb.241:                              ;   in Loop: Header=BB1601_240 Depth=1
	s_mov_b64 s[6:7], s[14:15]
                                        ; implicit-def: $vgpr33_vgpr34
                                        ; implicit-def: $vgpr35_vgpr36
	s_branch .LBB1601_239
.LBB1601_242:
	s_set_inst_prefetch_distance 0x2
	s_or_b32 exec_lo, exec_lo, s27
	v_cmp_gt_i64_e32 vcc_lo, s[14:15], v[39:40]
	s_or_not1_b32 s27, vcc_lo, exec_lo
.LBB1601_243:
	s_or_b32 exec_lo, exec_lo, s34
.LBB1601_244:
	v_mul_lo_u32 v35, v28, s14
	v_mul_lo_u32 v36, v27, s15
	v_mad_u64_u32 v[33:34], null, v27, s14, 0
	s_and_not1_b32 vcc_lo, exec_lo, s13
	s_delay_alu instid0(VALU_DEP_1) | instskip(NEXT) | instid1(VALU_DEP_1)
	v_add3_u32 v34, v34, v36, v35
	v_lshlrev_b64 v[33:34], 2, v[33:34]
	s_cbranch_vccnz .LBB1601_253
; %bb.245:
	s_delay_alu instid0(VALU_DEP_1) | instskip(NEXT) | instid1(VALU_DEP_2)
	v_add_co_u32 v39, vcc_lo, s20, v33
	v_add_co_ci_u32_e32 v40, vcc_lo, s21, v34, vcc_lo
	v_add_co_u32 v35, vcc_lo, s20, v37
	v_add_co_ci_u32_e32 v36, vcc_lo, s21, v38, vcc_lo
	s_mov_b32 s26, -1
	s_clause 0x1
	global_load_b32 v37, v[39:40], off
	global_load_b32 v38, v[35:36], off
	s_mov_b32 s34, exec_lo
	s_waitcnt vmcnt(0)
	v_cmpx_eq_u32_e64 v37, v38
	s_cbranch_execz .LBB1601_252
; %bb.246:
	v_add_co_u32 v35, vcc_lo, v35, 4
	v_add_co_ci_u32_e32 v36, vcc_lo, 0, v36, vcc_lo
	v_add_co_u32 v37, vcc_lo, v39, 4
	v_add_co_ci_u32_e32 v38, vcc_lo, 0, v40, vcc_lo
	s_add_u32 s4, s14, -1
	s_addc_u32 s5, s15, -1
	s_mov_b64 s[6:7], 0
	s_mov_b32 s26, 0
                                        ; implicit-def: $sgpr35
	s_set_inst_prefetch_distance 0x1
	s_branch .LBB1601_249
	.p2align	6
.LBB1601_247:                           ;   in Loop: Header=BB1601_249 Depth=1
	global_load_b32 v39, v[37:38], off
	global_load_b32 v40, v[35:36], off
	v_add_co_u32 v35, vcc_lo, v35, 4
	v_add_co_ci_u32_e32 v36, vcc_lo, 0, v36, vcc_lo
	v_add_co_u32 v37, s0, v37, 4
	s_delay_alu instid0(VALU_DEP_1)
	v_add_co_ci_u32_e64 v38, s0, 0, v38, s0
	s_add_u32 s6, s6, 1
	s_addc_u32 s7, s7, 0
	s_and_not1_b32 s0, s35, exec_lo
	s_waitcnt vmcnt(0)
	v_cmp_ne_u32_e32 vcc_lo, v39, v40
	s_and_b32 s35, vcc_lo, exec_lo
	s_delay_alu instid0(SALU_CYCLE_1)
	s_or_b32 s35, s0, s35
.LBB1601_248:                           ;   in Loop: Header=BB1601_249 Depth=1
	v_dual_mov_b32 v40, s7 :: v_dual_mov_b32 v39, s6
	s_and_b32 s0, exec_lo, s35
	s_delay_alu instid0(SALU_CYCLE_1) | instskip(NEXT) | instid1(SALU_CYCLE_1)
	s_or_b32 s26, s0, s26
	s_and_not1_b32 exec_lo, exec_lo, s26
	s_cbranch_execz .LBB1601_251
.LBB1601_249:                           ; =>This Inner Loop Header: Depth=1
	s_or_b32 s35, s35, exec_lo
	s_cmp_eq_u64 s[4:5], s[6:7]
	s_cbranch_scc0 .LBB1601_247
; %bb.250:                              ;   in Loop: Header=BB1601_249 Depth=1
	s_mov_b64 s[6:7], s[14:15]
                                        ; implicit-def: $vgpr35_vgpr36
                                        ; implicit-def: $vgpr37_vgpr38
	s_branch .LBB1601_248
.LBB1601_251:
	s_set_inst_prefetch_distance 0x2
	s_or_b32 exec_lo, exec_lo, s26
	v_cmp_gt_i64_e32 vcc_lo, s[14:15], v[39:40]
	s_or_not1_b32 s26, vcc_lo, exec_lo
.LBB1601_252:
	s_or_b32 exec_lo, exec_lo, s34
.LBB1601_253:
	v_mul_lo_u32 v37, v26, s14
	v_mul_lo_u32 v38, v25, s15
	v_mad_u64_u32 v[35:36], null, v25, s14, 0
	s_mov_b32 s34, 0
	s_and_not1_b32 vcc_lo, exec_lo, s13
	s_mov_b32 s35, 0
	s_delay_alu instid0(VALU_DEP_1) | instskip(NEXT) | instid1(VALU_DEP_1)
	v_add3_u32 v36, v36, v38, v37
	v_lshlrev_b64 v[37:38], 2, v[35:36]
	s_cbranch_vccnz .LBB1601_262
; %bb.254:
	s_delay_alu instid0(VALU_DEP_1) | instskip(NEXT) | instid1(VALU_DEP_2)
	v_add_co_u32 v35, vcc_lo, s20, v37
	v_add_co_ci_u32_e32 v36, vcc_lo, s21, v38, vcc_lo
	v_add_co_u32 v33, vcc_lo, s20, v33
	v_add_co_ci_u32_e32 v34, vcc_lo, s21, v34, vcc_lo
	s_mov_b32 s35, -1
	s_clause 0x1
	global_load_b32 v39, v[35:36], off
	global_load_b32 v40, v[33:34], off
	s_mov_b32 s36, exec_lo
	s_waitcnt vmcnt(0)
	v_cmpx_eq_u32_e64 v39, v40
	s_cbranch_execz .LBB1601_261
; %bb.255:
	v_add_co_u32 v33, vcc_lo, v33, 4
	v_add_co_ci_u32_e32 v34, vcc_lo, 0, v34, vcc_lo
	v_add_co_u32 v35, vcc_lo, v35, 4
	v_add_co_ci_u32_e32 v36, vcc_lo, 0, v36, vcc_lo
	s_add_u32 s4, s14, -1
	s_addc_u32 s5, s15, -1
	s_mov_b64 s[6:7], 0
	s_mov_b32 s35, 0
                                        ; implicit-def: $sgpr37
	s_set_inst_prefetch_distance 0x1
	s_branch .LBB1601_258
	.p2align	6
.LBB1601_256:                           ;   in Loop: Header=BB1601_258 Depth=1
	global_load_b32 v39, v[35:36], off
	global_load_b32 v40, v[33:34], off
	v_add_co_u32 v33, vcc_lo, v33, 4
	v_add_co_ci_u32_e32 v34, vcc_lo, 0, v34, vcc_lo
	v_add_co_u32 v35, s0, v35, 4
	s_delay_alu instid0(VALU_DEP_1)
	v_add_co_ci_u32_e64 v36, s0, 0, v36, s0
	s_add_u32 s6, s6, 1
	s_addc_u32 s7, s7, 0
	s_and_not1_b32 s0, s37, exec_lo
	s_waitcnt vmcnt(0)
	v_cmp_ne_u32_e32 vcc_lo, v39, v40
	s_and_b32 s37, vcc_lo, exec_lo
	s_delay_alu instid0(SALU_CYCLE_1)
	s_or_b32 s37, s0, s37
.LBB1601_257:                           ;   in Loop: Header=BB1601_258 Depth=1
	v_dual_mov_b32 v40, s7 :: v_dual_mov_b32 v39, s6
	s_and_b32 s0, exec_lo, s37
	s_delay_alu instid0(SALU_CYCLE_1) | instskip(NEXT) | instid1(SALU_CYCLE_1)
	s_or_b32 s35, s0, s35
	s_and_not1_b32 exec_lo, exec_lo, s35
	s_cbranch_execz .LBB1601_260
.LBB1601_258:                           ; =>This Inner Loop Header: Depth=1
	s_or_b32 s37, s37, exec_lo
	s_cmp_eq_u64 s[4:5], s[6:7]
	s_cbranch_scc0 .LBB1601_256
; %bb.259:                              ;   in Loop: Header=BB1601_258 Depth=1
	s_mov_b64 s[6:7], s[14:15]
                                        ; implicit-def: $vgpr33_vgpr34
                                        ; implicit-def: $vgpr35_vgpr36
	s_branch .LBB1601_257
.LBB1601_260:
	s_set_inst_prefetch_distance 0x2
	s_or_b32 exec_lo, exec_lo, s35
	v_cmp_gt_i64_e32 vcc_lo, s[14:15], v[39:40]
	s_or_not1_b32 s35, vcc_lo, exec_lo
.LBB1601_261:
	s_or_b32 exec_lo, exec_lo, s36
.LBB1601_262:
	v_mul_lo_u32 v35, v32, s14
	v_mul_lo_u32 v36, v31, s15
	v_mad_u64_u32 v[33:34], null, v31, s14, 0
	s_and_not1_b32 vcc_lo, exec_lo, s13
	s_delay_alu instid0(VALU_DEP_1) | instskip(NEXT) | instid1(VALU_DEP_1)
	v_add3_u32 v34, v34, v36, v35
	v_lshlrev_b64 v[35:36], 2, v[33:34]
	s_cbranch_vccnz .LBB1601_271
; %bb.263:
	s_delay_alu instid0(VALU_DEP_1) | instskip(NEXT) | instid1(VALU_DEP_2)
	v_add_co_u32 v39, vcc_lo, s20, v35
	v_add_co_ci_u32_e32 v40, vcc_lo, s21, v36, vcc_lo
	v_add_co_u32 v33, vcc_lo, s20, v37
	v_add_co_ci_u32_e32 v34, vcc_lo, s21, v38, vcc_lo
	s_mov_b32 s34, -1
	s_clause 0x1
	global_load_b32 v37, v[39:40], off
	global_load_b32 v38, v[33:34], off
	s_mov_b32 s36, exec_lo
	s_waitcnt vmcnt(0)
	v_cmpx_eq_u32_e64 v37, v38
	s_cbranch_execz .LBB1601_270
; %bb.264:
	v_add_co_u32 v33, vcc_lo, v33, 4
	v_add_co_ci_u32_e32 v34, vcc_lo, 0, v34, vcc_lo
	v_add_co_u32 v37, vcc_lo, v39, 4
	v_add_co_ci_u32_e32 v38, vcc_lo, 0, v40, vcc_lo
	s_add_u32 s4, s14, -1
	s_addc_u32 s5, s15, -1
	s_mov_b64 s[6:7], 0
	s_mov_b32 s34, 0
                                        ; implicit-def: $sgpr37
	s_set_inst_prefetch_distance 0x1
	s_branch .LBB1601_267
	.p2align	6
.LBB1601_265:                           ;   in Loop: Header=BB1601_267 Depth=1
	global_load_b32 v39, v[37:38], off
	global_load_b32 v40, v[33:34], off
	v_add_co_u32 v33, vcc_lo, v33, 4
	v_add_co_ci_u32_e32 v34, vcc_lo, 0, v34, vcc_lo
	v_add_co_u32 v37, s0, v37, 4
	s_delay_alu instid0(VALU_DEP_1)
	v_add_co_ci_u32_e64 v38, s0, 0, v38, s0
	s_add_u32 s6, s6, 1
	s_addc_u32 s7, s7, 0
	s_and_not1_b32 s0, s37, exec_lo
	s_waitcnt vmcnt(0)
	v_cmp_ne_u32_e32 vcc_lo, v39, v40
	s_and_b32 s37, vcc_lo, exec_lo
	s_delay_alu instid0(SALU_CYCLE_1)
	s_or_b32 s37, s0, s37
.LBB1601_266:                           ;   in Loop: Header=BB1601_267 Depth=1
	v_dual_mov_b32 v40, s7 :: v_dual_mov_b32 v39, s6
	s_and_b32 s0, exec_lo, s37
	s_delay_alu instid0(SALU_CYCLE_1) | instskip(NEXT) | instid1(SALU_CYCLE_1)
	s_or_b32 s34, s0, s34
	s_and_not1_b32 exec_lo, exec_lo, s34
	s_cbranch_execz .LBB1601_269
.LBB1601_267:                           ; =>This Inner Loop Header: Depth=1
	s_or_b32 s37, s37, exec_lo
	s_cmp_eq_u64 s[4:5], s[6:7]
	s_cbranch_scc0 .LBB1601_265
; %bb.268:                              ;   in Loop: Header=BB1601_267 Depth=1
	s_mov_b64 s[6:7], s[14:15]
                                        ; implicit-def: $vgpr33_vgpr34
                                        ; implicit-def: $vgpr37_vgpr38
	s_branch .LBB1601_266
.LBB1601_269:
	s_set_inst_prefetch_distance 0x2
	s_or_b32 exec_lo, exec_lo, s34
	v_cmp_gt_i64_e32 vcc_lo, s[14:15], v[39:40]
	s_or_not1_b32 s34, vcc_lo, exec_lo
.LBB1601_270:
	s_or_b32 exec_lo, exec_lo, s36
.LBB1601_271:
	v_mul_lo_u32 v37, v30, s14
	v_mul_lo_u32 v38, v29, s15
	v_mad_u64_u32 v[33:34], null, v29, s14, 0
	s_and_not1_b32 vcc_lo, exec_lo, s13
	s_mov_b32 s0, 0
	s_delay_alu instid0(VALU_DEP_1)
	v_add3_u32 v34, v34, v38, v37
	s_cbranch_vccnz .LBB1601_280
; %bb.272:
	s_delay_alu instid0(VALU_DEP_1) | instskip(SKIP_2) | instid1(VALU_DEP_1)
	v_lshlrev_b64 v[37:38], 2, v[33:34]
	s_mov_b32 s0, -1
	s_mov_b32 s36, exec_lo
	v_add_co_u32 v37, vcc_lo, s20, v37
	s_delay_alu instid0(VALU_DEP_2)
	v_add_co_ci_u32_e32 v38, vcc_lo, s21, v38, vcc_lo
	v_add_co_u32 v35, vcc_lo, s20, v35
	v_add_co_ci_u32_e32 v36, vcc_lo, s21, v36, vcc_lo
	s_clause 0x1
	global_load_b32 v39, v[37:38], off
	global_load_b32 v40, v[35:36], off
	s_waitcnt vmcnt(0)
	v_cmpx_eq_u32_e64 v39, v40
	s_cbranch_execz .LBB1601_279
; %bb.273:
	v_add_co_u32 v35, vcc_lo, v35, 4
	v_add_co_ci_u32_e32 v36, vcc_lo, 0, v36, vcc_lo
	v_add_co_u32 v37, vcc_lo, v37, 4
	v_add_co_ci_u32_e32 v38, vcc_lo, 0, v38, vcc_lo
	s_add_u32 s4, s14, -1
	s_addc_u32 s5, s15, -1
	s_mov_b64 s[6:7], 0
	s_mov_b32 s37, 0
                                        ; implicit-def: $sgpr38
	s_set_inst_prefetch_distance 0x1
	s_branch .LBB1601_276
	.p2align	6
.LBB1601_274:                           ;   in Loop: Header=BB1601_276 Depth=1
	global_load_b32 v39, v[37:38], off
	global_load_b32 v40, v[35:36], off
	v_add_co_u32 v35, vcc_lo, v35, 4
	v_add_co_ci_u32_e32 v36, vcc_lo, 0, v36, vcc_lo
	v_add_co_u32 v37, s0, v37, 4
	s_delay_alu instid0(VALU_DEP_1)
	v_add_co_ci_u32_e64 v38, s0, 0, v38, s0
	s_add_u32 s6, s6, 1
	s_addc_u32 s7, s7, 0
	s_and_not1_b32 s0, s38, exec_lo
	s_waitcnt vmcnt(0)
	v_cmp_ne_u32_e32 vcc_lo, v39, v40
	s_and_b32 s38, vcc_lo, exec_lo
	s_delay_alu instid0(SALU_CYCLE_1)
	s_or_b32 s38, s0, s38
.LBB1601_275:                           ;   in Loop: Header=BB1601_276 Depth=1
	v_dual_mov_b32 v40, s7 :: v_dual_mov_b32 v39, s6
	s_and_b32 s0, exec_lo, s38
	s_delay_alu instid0(SALU_CYCLE_1) | instskip(NEXT) | instid1(SALU_CYCLE_1)
	s_or_b32 s37, s0, s37
	s_and_not1_b32 exec_lo, exec_lo, s37
	s_cbranch_execz .LBB1601_278
.LBB1601_276:                           ; =>This Inner Loop Header: Depth=1
	s_or_b32 s38, s38, exec_lo
	s_cmp_eq_u64 s[4:5], s[6:7]
	s_cbranch_scc0 .LBB1601_274
; %bb.277:                              ;   in Loop: Header=BB1601_276 Depth=1
	s_mov_b64 s[6:7], s[14:15]
                                        ; implicit-def: $vgpr35_vgpr36
                                        ; implicit-def: $vgpr37_vgpr38
	s_branch .LBB1601_275
.LBB1601_278:
	s_set_inst_prefetch_distance 0x2
	s_or_b32 exec_lo, exec_lo, s37
	v_cmp_gt_i64_e32 vcc_lo, s[14:15], v[39:40]
	s_or_not1_b32 s0, vcc_lo, exec_lo
.LBB1601_279:
	s_or_b32 exec_lo, exec_lo, s36
.LBB1601_280:
	v_cndmask_b32_e64 v36, 0, 1, s35
	v_cndmask_b32_e64 v37, 0, 1, s27
	;; [unrolled: 1-line block ×7, first 2 shown]
	v_lshlrev_b16 v37, 8, v37
	v_lshlrev_b16 v38, 8, v38
	;; [unrolled: 1-line block ×4, first 2 shown]
	s_waitcnt lgkmcnt(0)
	v_or_b32_e32 v37, v40, v37
	v_or_b32_e32 v38, v41, v38
	;; [unrolled: 1-line block ×4, first 2 shown]
	s_barrier
	v_and_b32_e32 v36, 0xffff, v37
	v_lshlrev_b32_e32 v37, 16, v38
	v_and_b32_e32 v38, 0xffff, v39
	v_lshlrev_b32_e32 v35, 16, v35
	buffer_gl0_inv
                                        ; implicit-def: $sgpr0
	v_or_b32_e32 v36, v36, v37
	v_or_b32_e32 v35, v38, v35
	s_and_saveexec_b32 s4, s3
	s_delay_alu instid0(SALU_CYCLE_1)
	s_xor_b32 s24, exec_lo, s4
	s_cbranch_execz .LBB1601_291
; %bb.281:
	s_and_not1_b32 vcc_lo, exec_lo, s13
	s_mov_b32 s0, 0
	s_cbranch_vccnz .LBB1601_290
; %bb.282:
	v_add_nc_u32_e32 v37, -8, v55
	v_lshlrev_b64 v[33:34], 2, v[33:34]
	s_mov_b32 s0, -1
	s_mov_b32 s25, exec_lo
	ds_load_b64 v[37:38], v37
	s_waitcnt lgkmcnt(0)
	v_mul_lo_u32 v40, v38, s14
	v_mul_lo_u32 v41, v37, s15
	v_mad_u64_u32 v[38:39], null, v37, s14, 0
	s_delay_alu instid0(VALU_DEP_1) | instskip(NEXT) | instid1(VALU_DEP_1)
	v_add3_u32 v39, v39, v41, v40
	v_lshlrev_b64 v[37:38], 2, v[38:39]
	s_delay_alu instid0(VALU_DEP_1) | instskip(NEXT) | instid1(VALU_DEP_2)
	v_add_co_u32 v37, vcc_lo, s20, v37
	v_add_co_ci_u32_e32 v38, vcc_lo, s21, v38, vcc_lo
	v_add_co_u32 v33, vcc_lo, s20, v33
	v_add_co_ci_u32_e32 v34, vcc_lo, s21, v34, vcc_lo
	s_clause 0x1
	global_load_b32 v39, v[37:38], off
	global_load_b32 v40, v[33:34], off
	s_waitcnt vmcnt(0)
	v_cmpx_eq_u32_e64 v39, v40
	s_cbranch_execz .LBB1601_289
; %bb.283:
	v_add_co_u32 v33, vcc_lo, v33, 4
	v_add_co_ci_u32_e32 v34, vcc_lo, 0, v34, vcc_lo
	v_add_co_u32 v37, vcc_lo, v37, 4
	v_add_co_ci_u32_e32 v38, vcc_lo, 0, v38, vcc_lo
	s_add_u32 s4, s14, -1
	s_addc_u32 s5, s15, -1
	s_mov_b64 s[6:7], 0
	s_mov_b32 s26, 0
                                        ; implicit-def: $sgpr27
	s_set_inst_prefetch_distance 0x1
	s_branch .LBB1601_286
	.p2align	6
.LBB1601_284:                           ;   in Loop: Header=BB1601_286 Depth=1
	global_load_b32 v39, v[37:38], off
	global_load_b32 v40, v[33:34], off
	v_add_co_u32 v33, vcc_lo, v33, 4
	v_add_co_ci_u32_e32 v34, vcc_lo, 0, v34, vcc_lo
	v_add_co_u32 v37, s0, v37, 4
	s_delay_alu instid0(VALU_DEP_1)
	v_add_co_ci_u32_e64 v38, s0, 0, v38, s0
	s_add_u32 s6, s6, 1
	s_addc_u32 s7, s7, 0
	s_and_not1_b32 s0, s27, exec_lo
	s_waitcnt vmcnt(0)
	v_cmp_ne_u32_e32 vcc_lo, v39, v40
	s_and_b32 s27, vcc_lo, exec_lo
	s_delay_alu instid0(SALU_CYCLE_1)
	s_or_b32 s27, s0, s27
.LBB1601_285:                           ;   in Loop: Header=BB1601_286 Depth=1
	v_dual_mov_b32 v40, s7 :: v_dual_mov_b32 v39, s6
	s_and_b32 s0, exec_lo, s27
	s_delay_alu instid0(SALU_CYCLE_1) | instskip(NEXT) | instid1(SALU_CYCLE_1)
	s_or_b32 s26, s0, s26
	s_and_not1_b32 exec_lo, exec_lo, s26
	s_cbranch_execz .LBB1601_288
.LBB1601_286:                           ; =>This Inner Loop Header: Depth=1
	s_or_b32 s27, s27, exec_lo
	s_cmp_eq_u64 s[4:5], s[6:7]
	s_cbranch_scc0 .LBB1601_284
; %bb.287:                              ;   in Loop: Header=BB1601_286 Depth=1
	s_mov_b64 s[6:7], s[14:15]
                                        ; implicit-def: $vgpr33_vgpr34
                                        ; implicit-def: $vgpr37_vgpr38
	s_branch .LBB1601_285
.LBB1601_288:
	s_set_inst_prefetch_distance 0x2
	s_or_b32 exec_lo, exec_lo, s26
	v_cmp_gt_i64_e32 vcc_lo, s[14:15], v[39:40]
	s_or_not1_b32 s0, vcc_lo, exec_lo
.LBB1601_289:
	s_or_b32 exec_lo, exec_lo, s25
.LBB1601_290:
	s_delay_alu instid0(SALU_CYCLE_1)
	s_and_b32 s0, s0, exec_lo
	s_or_b32 s1, s1, exec_lo
.LBB1601_291:
	s_or_b32 exec_lo, exec_lo, s24
	s_branch .LBB1601_383
.LBB1601_292:
	s_waitcnt vmcnt(0) lgkmcnt(1)
	v_or_b32_e32 v33, 7, v55
	s_mov_b32 s24, 0
	s_mov_b32 s25, 0
	s_mov_b32 s26, exec_lo
	s_delay_alu instid0(VALU_DEP_1)
	v_cmpx_gt_u32_e64 s31, v33
	s_cbranch_execz .LBB1601_303
; %bb.293:
	s_and_not1_b32 vcc_lo, exec_lo, s13
	s_mov_b32 s0, 0
	s_cbranch_vccnz .LBB1601_302
; %bb.294:
	v_mul_lo_u32 v37, v18, s14
	v_mul_lo_u32 v38, v17, s15
	v_mad_u64_u32 v[33:34], null, v17, s14, 0
	v_mul_lo_u32 v39, v20, s14
	v_mul_lo_u32 v40, v19, s15
	v_mad_u64_u32 v[35:36], null, v19, s14, 0
	s_mov_b32 s0, -1
	s_mov_b32 s25, exec_lo
	s_delay_alu instid0(VALU_DEP_4) | instskip(NEXT) | instid1(VALU_DEP_2)
	v_add3_u32 v34, v34, v38, v37
	v_add3_u32 v36, v36, v40, v39
	s_delay_alu instid0(VALU_DEP_2) | instskip(NEXT) | instid1(VALU_DEP_2)
	v_lshlrev_b64 v[33:34], 2, v[33:34]
	v_lshlrev_b64 v[37:38], 2, v[35:36]
	s_delay_alu instid0(VALU_DEP_2) | instskip(NEXT) | instid1(VALU_DEP_3)
	v_add_co_u32 v35, vcc_lo, s20, v33
	v_add_co_ci_u32_e32 v36, vcc_lo, s21, v34, vcc_lo
	s_delay_alu instid0(VALU_DEP_3) | instskip(NEXT) | instid1(VALU_DEP_4)
	v_add_co_u32 v33, vcc_lo, s20, v37
	v_add_co_ci_u32_e32 v34, vcc_lo, s21, v38, vcc_lo
	s_clause 0x1
	global_load_b32 v37, v[35:36], off
	global_load_b32 v38, v[33:34], off
	s_waitcnt vmcnt(0)
	v_cmpx_eq_u32_e64 v37, v38
	s_cbranch_execz .LBB1601_301
; %bb.295:
	v_add_co_u32 v33, vcc_lo, v33, 4
	v_add_co_ci_u32_e32 v34, vcc_lo, 0, v34, vcc_lo
	v_add_co_u32 v35, vcc_lo, v35, 4
	v_add_co_ci_u32_e32 v36, vcc_lo, 0, v36, vcc_lo
	s_add_u32 s4, s14, -1
	s_addc_u32 s5, s15, -1
	s_mov_b64 s[6:7], 0
	s_mov_b32 s27, 0
                                        ; implicit-def: $sgpr34
	s_set_inst_prefetch_distance 0x1
	s_branch .LBB1601_298
	.p2align	6
.LBB1601_296:                           ;   in Loop: Header=BB1601_298 Depth=1
	global_load_b32 v37, v[35:36], off
	global_load_b32 v38, v[33:34], off
	v_add_co_u32 v33, vcc_lo, v33, 4
	v_add_co_ci_u32_e32 v34, vcc_lo, 0, v34, vcc_lo
	v_add_co_u32 v35, s0, v35, 4
	s_delay_alu instid0(VALU_DEP_1)
	v_add_co_ci_u32_e64 v36, s0, 0, v36, s0
	s_add_u32 s6, s6, 1
	s_addc_u32 s7, s7, 0
	s_and_not1_b32 s0, s34, exec_lo
	s_waitcnt vmcnt(0)
	v_cmp_ne_u32_e32 vcc_lo, v37, v38
	s_and_b32 s34, vcc_lo, exec_lo
	s_delay_alu instid0(SALU_CYCLE_1)
	s_or_b32 s34, s0, s34
.LBB1601_297:                           ;   in Loop: Header=BB1601_298 Depth=1
	v_dual_mov_b32 v38, s7 :: v_dual_mov_b32 v37, s6
	s_and_b32 s0, exec_lo, s34
	s_delay_alu instid0(SALU_CYCLE_1) | instskip(NEXT) | instid1(SALU_CYCLE_1)
	s_or_b32 s27, s0, s27
	s_and_not1_b32 exec_lo, exec_lo, s27
	s_cbranch_execz .LBB1601_300
.LBB1601_298:                           ; =>This Inner Loop Header: Depth=1
	s_or_b32 s34, s34, exec_lo
	s_cmp_eq_u64 s[4:5], s[6:7]
	s_cbranch_scc0 .LBB1601_296
; %bb.299:                              ;   in Loop: Header=BB1601_298 Depth=1
	s_mov_b64 s[6:7], s[14:15]
                                        ; implicit-def: $vgpr33_vgpr34
                                        ; implicit-def: $vgpr35_vgpr36
	s_branch .LBB1601_297
.LBB1601_300:
	s_set_inst_prefetch_distance 0x2
	s_or_b32 exec_lo, exec_lo, s27
	v_cmp_gt_i64_e32 vcc_lo, s[14:15], v[37:38]
	s_or_not1_b32 s0, vcc_lo, exec_lo
.LBB1601_301:
	s_or_b32 exec_lo, exec_lo, s25
.LBB1601_302:
	s_delay_alu instid0(SALU_CYCLE_1)
	s_and_b32 s25, s0, exec_lo
.LBB1601_303:
	s_or_b32 exec_lo, exec_lo, s26
	v_or_b32_e32 v33, 6, v55
	s_mov_b32 s26, exec_lo
	s_delay_alu instid0(VALU_DEP_1)
	v_cmpx_gt_u32_e64 s31, v33
	s_cbranch_execz .LBB1601_314
; %bb.304:
	s_and_not1_b32 vcc_lo, exec_lo, s13
	s_mov_b32 s0, 0
	s_cbranch_vccnz .LBB1601_313
; %bb.305:
	v_mul_lo_u32 v37, v24, s14
	v_mul_lo_u32 v38, v23, s15
	v_mad_u64_u32 v[33:34], null, v23, s14, 0
	v_mul_lo_u32 v39, v18, s14
	v_mul_lo_u32 v40, v17, s15
	v_mad_u64_u32 v[35:36], null, v17, s14, 0
	s_mov_b32 s0, -1
	s_mov_b32 s24, exec_lo
	s_delay_alu instid0(VALU_DEP_4) | instskip(NEXT) | instid1(VALU_DEP_2)
	v_add3_u32 v34, v34, v38, v37
	v_add3_u32 v36, v36, v40, v39
	s_delay_alu instid0(VALU_DEP_2) | instskip(NEXT) | instid1(VALU_DEP_2)
	v_lshlrev_b64 v[33:34], 2, v[33:34]
	v_lshlrev_b64 v[37:38], 2, v[35:36]
	s_delay_alu instid0(VALU_DEP_2) | instskip(NEXT) | instid1(VALU_DEP_3)
	v_add_co_u32 v35, vcc_lo, s20, v33
	v_add_co_ci_u32_e32 v36, vcc_lo, s21, v34, vcc_lo
	s_delay_alu instid0(VALU_DEP_3) | instskip(NEXT) | instid1(VALU_DEP_4)
	v_add_co_u32 v33, vcc_lo, s20, v37
	v_add_co_ci_u32_e32 v34, vcc_lo, s21, v38, vcc_lo
	s_clause 0x1
	global_load_b32 v37, v[35:36], off
	global_load_b32 v38, v[33:34], off
	s_waitcnt vmcnt(0)
	v_cmpx_eq_u32_e64 v37, v38
	s_cbranch_execz .LBB1601_312
; %bb.306:
	v_add_co_u32 v33, vcc_lo, v33, 4
	v_add_co_ci_u32_e32 v34, vcc_lo, 0, v34, vcc_lo
	v_add_co_u32 v35, vcc_lo, v35, 4
	v_add_co_ci_u32_e32 v36, vcc_lo, 0, v36, vcc_lo
	s_add_u32 s4, s14, -1
	s_addc_u32 s5, s15, -1
	s_mov_b64 s[6:7], 0
	s_mov_b32 s27, 0
                                        ; implicit-def: $sgpr34
	s_set_inst_prefetch_distance 0x1
	s_branch .LBB1601_309
	.p2align	6
.LBB1601_307:                           ;   in Loop: Header=BB1601_309 Depth=1
	global_load_b32 v37, v[35:36], off
	global_load_b32 v38, v[33:34], off
	v_add_co_u32 v33, vcc_lo, v33, 4
	v_add_co_ci_u32_e32 v34, vcc_lo, 0, v34, vcc_lo
	v_add_co_u32 v35, s0, v35, 4
	s_delay_alu instid0(VALU_DEP_1)
	v_add_co_ci_u32_e64 v36, s0, 0, v36, s0
	s_add_u32 s6, s6, 1
	s_addc_u32 s7, s7, 0
	s_and_not1_b32 s0, s34, exec_lo
	s_waitcnt vmcnt(0)
	v_cmp_ne_u32_e32 vcc_lo, v37, v38
	s_and_b32 s34, vcc_lo, exec_lo
	s_delay_alu instid0(SALU_CYCLE_1)
	s_or_b32 s34, s0, s34
.LBB1601_308:                           ;   in Loop: Header=BB1601_309 Depth=1
	v_dual_mov_b32 v38, s7 :: v_dual_mov_b32 v37, s6
	s_and_b32 s0, exec_lo, s34
	s_delay_alu instid0(SALU_CYCLE_1) | instskip(NEXT) | instid1(SALU_CYCLE_1)
	s_or_b32 s27, s0, s27
	s_and_not1_b32 exec_lo, exec_lo, s27
	s_cbranch_execz .LBB1601_311
.LBB1601_309:                           ; =>This Inner Loop Header: Depth=1
	s_or_b32 s34, s34, exec_lo
	s_cmp_eq_u64 s[4:5], s[6:7]
	s_cbranch_scc0 .LBB1601_307
; %bb.310:                              ;   in Loop: Header=BB1601_309 Depth=1
	s_mov_b64 s[6:7], s[14:15]
                                        ; implicit-def: $vgpr33_vgpr34
                                        ; implicit-def: $vgpr35_vgpr36
	s_branch .LBB1601_308
.LBB1601_311:
	s_set_inst_prefetch_distance 0x2
	s_or_b32 exec_lo, exec_lo, s27
	v_cmp_gt_i64_e32 vcc_lo, s[14:15], v[37:38]
	s_or_not1_b32 s0, vcc_lo, exec_lo
.LBB1601_312:
	s_or_b32 exec_lo, exec_lo, s24
.LBB1601_313:
	s_delay_alu instid0(SALU_CYCLE_1)
	s_and_b32 s24, s0, exec_lo
.LBB1601_314:
	s_or_b32 exec_lo, exec_lo, s26
	v_or_b32_e32 v33, 5, v55
	s_mov_b32 s26, 0
	s_mov_b32 s27, 0
	s_mov_b32 s34, exec_lo
	s_delay_alu instid0(VALU_DEP_1)
	v_cmpx_gt_u32_e64 s31, v33
	s_cbranch_execz .LBB1601_325
; %bb.315:
	s_and_not1_b32 vcc_lo, exec_lo, s13
	s_mov_b32 s0, 0
	s_cbranch_vccnz .LBB1601_324
; %bb.316:
	v_mul_lo_u32 v37, v22, s14
	v_mul_lo_u32 v38, v21, s15
	v_mad_u64_u32 v[33:34], null, v21, s14, 0
	v_mul_lo_u32 v39, v24, s14
	v_mul_lo_u32 v40, v23, s15
	v_mad_u64_u32 v[35:36], null, v23, s14, 0
	s_mov_b32 s0, -1
	s_mov_b32 s27, exec_lo
	s_delay_alu instid0(VALU_DEP_4) | instskip(NEXT) | instid1(VALU_DEP_2)
	v_add3_u32 v34, v34, v38, v37
	v_add3_u32 v36, v36, v40, v39
	s_delay_alu instid0(VALU_DEP_2) | instskip(NEXT) | instid1(VALU_DEP_2)
	v_lshlrev_b64 v[33:34], 2, v[33:34]
	v_lshlrev_b64 v[37:38], 2, v[35:36]
	s_delay_alu instid0(VALU_DEP_2) | instskip(NEXT) | instid1(VALU_DEP_3)
	v_add_co_u32 v35, vcc_lo, s20, v33
	v_add_co_ci_u32_e32 v36, vcc_lo, s21, v34, vcc_lo
	s_delay_alu instid0(VALU_DEP_3) | instskip(NEXT) | instid1(VALU_DEP_4)
	v_add_co_u32 v33, vcc_lo, s20, v37
	v_add_co_ci_u32_e32 v34, vcc_lo, s21, v38, vcc_lo
	s_clause 0x1
	global_load_b32 v37, v[35:36], off
	global_load_b32 v38, v[33:34], off
	s_waitcnt vmcnt(0)
	v_cmpx_eq_u32_e64 v37, v38
	s_cbranch_execz .LBB1601_323
; %bb.317:
	v_add_co_u32 v33, vcc_lo, v33, 4
	v_add_co_ci_u32_e32 v34, vcc_lo, 0, v34, vcc_lo
	v_add_co_u32 v35, vcc_lo, v35, 4
	v_add_co_ci_u32_e32 v36, vcc_lo, 0, v36, vcc_lo
	s_add_u32 s4, s14, -1
	s_addc_u32 s5, s15, -1
	s_mov_b64 s[6:7], 0
	s_mov_b32 s35, 0
                                        ; implicit-def: $sgpr36
	s_set_inst_prefetch_distance 0x1
	s_branch .LBB1601_320
	.p2align	6
.LBB1601_318:                           ;   in Loop: Header=BB1601_320 Depth=1
	global_load_b32 v37, v[35:36], off
	global_load_b32 v38, v[33:34], off
	v_add_co_u32 v33, vcc_lo, v33, 4
	v_add_co_ci_u32_e32 v34, vcc_lo, 0, v34, vcc_lo
	v_add_co_u32 v35, s0, v35, 4
	s_delay_alu instid0(VALU_DEP_1)
	v_add_co_ci_u32_e64 v36, s0, 0, v36, s0
	s_add_u32 s6, s6, 1
	s_addc_u32 s7, s7, 0
	s_and_not1_b32 s0, s36, exec_lo
	s_waitcnt vmcnt(0)
	v_cmp_ne_u32_e32 vcc_lo, v37, v38
	s_and_b32 s36, vcc_lo, exec_lo
	s_delay_alu instid0(SALU_CYCLE_1)
	s_or_b32 s36, s0, s36
.LBB1601_319:                           ;   in Loop: Header=BB1601_320 Depth=1
	v_dual_mov_b32 v38, s7 :: v_dual_mov_b32 v37, s6
	s_and_b32 s0, exec_lo, s36
	s_delay_alu instid0(SALU_CYCLE_1) | instskip(NEXT) | instid1(SALU_CYCLE_1)
	s_or_b32 s35, s0, s35
	s_and_not1_b32 exec_lo, exec_lo, s35
	s_cbranch_execz .LBB1601_322
.LBB1601_320:                           ; =>This Inner Loop Header: Depth=1
	s_or_b32 s36, s36, exec_lo
	s_cmp_eq_u64 s[4:5], s[6:7]
	s_cbranch_scc0 .LBB1601_318
; %bb.321:                              ;   in Loop: Header=BB1601_320 Depth=1
	s_mov_b64 s[6:7], s[14:15]
                                        ; implicit-def: $vgpr33_vgpr34
                                        ; implicit-def: $vgpr35_vgpr36
	s_branch .LBB1601_319
.LBB1601_322:
	s_set_inst_prefetch_distance 0x2
	s_or_b32 exec_lo, exec_lo, s35
	v_cmp_gt_i64_e32 vcc_lo, s[14:15], v[37:38]
	s_or_not1_b32 s0, vcc_lo, exec_lo
.LBB1601_323:
	s_or_b32 exec_lo, exec_lo, s27
.LBB1601_324:
	s_delay_alu instid0(SALU_CYCLE_1)
	s_and_b32 s27, s0, exec_lo
.LBB1601_325:
	s_or_b32 exec_lo, exec_lo, s34
	v_or_b32_e32 v33, 4, v55
	s_mov_b32 s34, exec_lo
	s_delay_alu instid0(VALU_DEP_1)
	v_cmpx_gt_u32_e64 s31, v33
	s_cbranch_execz .LBB1601_336
; %bb.326:
	s_and_not1_b32 vcc_lo, exec_lo, s13
	s_mov_b32 s0, 0
	s_cbranch_vccnz .LBB1601_335
; %bb.327:
	v_mul_lo_u32 v37, v28, s14
	v_mul_lo_u32 v38, v27, s15
	v_mad_u64_u32 v[33:34], null, v27, s14, 0
	v_mul_lo_u32 v39, v22, s14
	v_mul_lo_u32 v40, v21, s15
	v_mad_u64_u32 v[35:36], null, v21, s14, 0
	s_mov_b32 s0, -1
	s_mov_b32 s26, exec_lo
	s_delay_alu instid0(VALU_DEP_4) | instskip(NEXT) | instid1(VALU_DEP_2)
	v_add3_u32 v34, v34, v38, v37
	v_add3_u32 v36, v36, v40, v39
	s_delay_alu instid0(VALU_DEP_2) | instskip(NEXT) | instid1(VALU_DEP_2)
	v_lshlrev_b64 v[33:34], 2, v[33:34]
	v_lshlrev_b64 v[37:38], 2, v[35:36]
	s_delay_alu instid0(VALU_DEP_2) | instskip(NEXT) | instid1(VALU_DEP_3)
	v_add_co_u32 v35, vcc_lo, s20, v33
	v_add_co_ci_u32_e32 v36, vcc_lo, s21, v34, vcc_lo
	s_delay_alu instid0(VALU_DEP_3) | instskip(NEXT) | instid1(VALU_DEP_4)
	v_add_co_u32 v33, vcc_lo, s20, v37
	v_add_co_ci_u32_e32 v34, vcc_lo, s21, v38, vcc_lo
	s_clause 0x1
	global_load_b32 v37, v[35:36], off
	global_load_b32 v38, v[33:34], off
	s_waitcnt vmcnt(0)
	v_cmpx_eq_u32_e64 v37, v38
	s_cbranch_execz .LBB1601_334
; %bb.328:
	v_add_co_u32 v33, vcc_lo, v33, 4
	v_add_co_ci_u32_e32 v34, vcc_lo, 0, v34, vcc_lo
	v_add_co_u32 v35, vcc_lo, v35, 4
	v_add_co_ci_u32_e32 v36, vcc_lo, 0, v36, vcc_lo
	s_add_u32 s4, s14, -1
	s_addc_u32 s5, s15, -1
	s_mov_b64 s[6:7], 0
	s_mov_b32 s35, 0
                                        ; implicit-def: $sgpr36
	s_set_inst_prefetch_distance 0x1
	s_branch .LBB1601_331
	.p2align	6
.LBB1601_329:                           ;   in Loop: Header=BB1601_331 Depth=1
	global_load_b32 v37, v[35:36], off
	global_load_b32 v38, v[33:34], off
	v_add_co_u32 v33, vcc_lo, v33, 4
	v_add_co_ci_u32_e32 v34, vcc_lo, 0, v34, vcc_lo
	v_add_co_u32 v35, s0, v35, 4
	s_delay_alu instid0(VALU_DEP_1)
	v_add_co_ci_u32_e64 v36, s0, 0, v36, s0
	s_add_u32 s6, s6, 1
	s_addc_u32 s7, s7, 0
	s_and_not1_b32 s0, s36, exec_lo
	s_waitcnt vmcnt(0)
	v_cmp_ne_u32_e32 vcc_lo, v37, v38
	s_and_b32 s36, vcc_lo, exec_lo
	s_delay_alu instid0(SALU_CYCLE_1)
	s_or_b32 s36, s0, s36
.LBB1601_330:                           ;   in Loop: Header=BB1601_331 Depth=1
	v_dual_mov_b32 v38, s7 :: v_dual_mov_b32 v37, s6
	s_and_b32 s0, exec_lo, s36
	s_delay_alu instid0(SALU_CYCLE_1) | instskip(NEXT) | instid1(SALU_CYCLE_1)
	s_or_b32 s35, s0, s35
	s_and_not1_b32 exec_lo, exec_lo, s35
	s_cbranch_execz .LBB1601_333
.LBB1601_331:                           ; =>This Inner Loop Header: Depth=1
	s_or_b32 s36, s36, exec_lo
	s_cmp_eq_u64 s[4:5], s[6:7]
	s_cbranch_scc0 .LBB1601_329
; %bb.332:                              ;   in Loop: Header=BB1601_331 Depth=1
	s_mov_b64 s[6:7], s[14:15]
                                        ; implicit-def: $vgpr33_vgpr34
                                        ; implicit-def: $vgpr35_vgpr36
	s_branch .LBB1601_330
.LBB1601_333:
	s_set_inst_prefetch_distance 0x2
	s_or_b32 exec_lo, exec_lo, s35
	v_cmp_gt_i64_e32 vcc_lo, s[14:15], v[37:38]
	s_or_not1_b32 s0, vcc_lo, exec_lo
.LBB1601_334:
	s_or_b32 exec_lo, exec_lo, s26
.LBB1601_335:
	s_delay_alu instid0(SALU_CYCLE_1)
	s_and_b32 s26, s0, exec_lo
.LBB1601_336:
	s_or_b32 exec_lo, exec_lo, s34
	v_or_b32_e32 v33, 3, v55
	s_mov_b32 s35, 0
	s_mov_b32 s34, 0
	s_mov_b32 s36, exec_lo
	s_delay_alu instid0(VALU_DEP_1)
	v_cmpx_gt_u32_e64 s31, v33
	s_cbranch_execz .LBB1601_347
; %bb.337:
	s_and_not1_b32 vcc_lo, exec_lo, s13
	s_mov_b32 s0, 0
	s_cbranch_vccnz .LBB1601_346
; %bb.338:
	v_mul_lo_u32 v37, v26, s14
	v_mul_lo_u32 v38, v25, s15
	v_mad_u64_u32 v[33:34], null, v25, s14, 0
	v_mul_lo_u32 v39, v28, s14
	v_mul_lo_u32 v40, v27, s15
	v_mad_u64_u32 v[35:36], null, v27, s14, 0
	s_mov_b32 s0, -1
	s_mov_b32 s34, exec_lo
	s_delay_alu instid0(VALU_DEP_4) | instskip(NEXT) | instid1(VALU_DEP_2)
	v_add3_u32 v34, v34, v38, v37
	v_add3_u32 v36, v36, v40, v39
	s_delay_alu instid0(VALU_DEP_2) | instskip(NEXT) | instid1(VALU_DEP_2)
	v_lshlrev_b64 v[33:34], 2, v[33:34]
	v_lshlrev_b64 v[37:38], 2, v[35:36]
	s_delay_alu instid0(VALU_DEP_2) | instskip(NEXT) | instid1(VALU_DEP_3)
	v_add_co_u32 v35, vcc_lo, s20, v33
	v_add_co_ci_u32_e32 v36, vcc_lo, s21, v34, vcc_lo
	s_delay_alu instid0(VALU_DEP_3) | instskip(NEXT) | instid1(VALU_DEP_4)
	v_add_co_u32 v33, vcc_lo, s20, v37
	v_add_co_ci_u32_e32 v34, vcc_lo, s21, v38, vcc_lo
	s_clause 0x1
	global_load_b32 v37, v[35:36], off
	global_load_b32 v38, v[33:34], off
	s_waitcnt vmcnt(0)
	v_cmpx_eq_u32_e64 v37, v38
	s_cbranch_execz .LBB1601_345
; %bb.339:
	v_add_co_u32 v33, vcc_lo, v33, 4
	v_add_co_ci_u32_e32 v34, vcc_lo, 0, v34, vcc_lo
	v_add_co_u32 v35, vcc_lo, v35, 4
	v_add_co_ci_u32_e32 v36, vcc_lo, 0, v36, vcc_lo
	s_add_u32 s4, s14, -1
	s_addc_u32 s5, s15, -1
	s_mov_b64 s[6:7], 0
	s_mov_b32 s37, 0
                                        ; implicit-def: $sgpr38
	s_set_inst_prefetch_distance 0x1
	s_branch .LBB1601_342
	.p2align	6
.LBB1601_340:                           ;   in Loop: Header=BB1601_342 Depth=1
	global_load_b32 v37, v[35:36], off
	global_load_b32 v38, v[33:34], off
	v_add_co_u32 v33, vcc_lo, v33, 4
	v_add_co_ci_u32_e32 v34, vcc_lo, 0, v34, vcc_lo
	v_add_co_u32 v35, s0, v35, 4
	s_delay_alu instid0(VALU_DEP_1)
	v_add_co_ci_u32_e64 v36, s0, 0, v36, s0
	s_add_u32 s6, s6, 1
	s_addc_u32 s7, s7, 0
	s_and_not1_b32 s0, s38, exec_lo
	s_waitcnt vmcnt(0)
	v_cmp_ne_u32_e32 vcc_lo, v37, v38
	s_and_b32 s38, vcc_lo, exec_lo
	s_delay_alu instid0(SALU_CYCLE_1)
	s_or_b32 s38, s0, s38
.LBB1601_341:                           ;   in Loop: Header=BB1601_342 Depth=1
	v_dual_mov_b32 v38, s7 :: v_dual_mov_b32 v37, s6
	s_and_b32 s0, exec_lo, s38
	s_delay_alu instid0(SALU_CYCLE_1) | instskip(NEXT) | instid1(SALU_CYCLE_1)
	s_or_b32 s37, s0, s37
	s_and_not1_b32 exec_lo, exec_lo, s37
	s_cbranch_execz .LBB1601_344
.LBB1601_342:                           ; =>This Inner Loop Header: Depth=1
	s_or_b32 s38, s38, exec_lo
	s_cmp_eq_u64 s[4:5], s[6:7]
	s_cbranch_scc0 .LBB1601_340
; %bb.343:                              ;   in Loop: Header=BB1601_342 Depth=1
	s_mov_b64 s[6:7], s[14:15]
                                        ; implicit-def: $vgpr33_vgpr34
                                        ; implicit-def: $vgpr35_vgpr36
	s_branch .LBB1601_341
.LBB1601_344:
	s_set_inst_prefetch_distance 0x2
	s_or_b32 exec_lo, exec_lo, s37
	v_cmp_gt_i64_e32 vcc_lo, s[14:15], v[37:38]
	s_or_not1_b32 s0, vcc_lo, exec_lo
.LBB1601_345:
	s_or_b32 exec_lo, exec_lo, s34
.LBB1601_346:
	s_delay_alu instid0(SALU_CYCLE_1)
	s_and_b32 s34, s0, exec_lo
.LBB1601_347:
	s_or_b32 exec_lo, exec_lo, s36
	v_or_b32_e32 v33, 2, v55
	s_mov_b32 s36, exec_lo
	s_delay_alu instid0(VALU_DEP_1)
	v_cmpx_gt_u32_e64 s31, v33
	s_cbranch_execz .LBB1601_358
; %bb.348:
	s_and_not1_b32 vcc_lo, exec_lo, s13
	s_mov_b32 s0, 0
	s_cbranch_vccnz .LBB1601_357
; %bb.349:
	v_mul_lo_u32 v37, v32, s14
	v_mul_lo_u32 v38, v31, s15
	v_mad_u64_u32 v[33:34], null, v31, s14, 0
	v_mul_lo_u32 v39, v26, s14
	v_mul_lo_u32 v40, v25, s15
	v_mad_u64_u32 v[35:36], null, v25, s14, 0
	s_mov_b32 s0, -1
	s_mov_b32 s35, exec_lo
	s_delay_alu instid0(VALU_DEP_4) | instskip(NEXT) | instid1(VALU_DEP_2)
	v_add3_u32 v34, v34, v38, v37
	v_add3_u32 v36, v36, v40, v39
	s_delay_alu instid0(VALU_DEP_2) | instskip(NEXT) | instid1(VALU_DEP_2)
	v_lshlrev_b64 v[33:34], 2, v[33:34]
	v_lshlrev_b64 v[37:38], 2, v[35:36]
	s_delay_alu instid0(VALU_DEP_2) | instskip(NEXT) | instid1(VALU_DEP_3)
	v_add_co_u32 v35, vcc_lo, s20, v33
	v_add_co_ci_u32_e32 v36, vcc_lo, s21, v34, vcc_lo
	s_delay_alu instid0(VALU_DEP_3) | instskip(NEXT) | instid1(VALU_DEP_4)
	v_add_co_u32 v33, vcc_lo, s20, v37
	v_add_co_ci_u32_e32 v34, vcc_lo, s21, v38, vcc_lo
	s_clause 0x1
	global_load_b32 v37, v[35:36], off
	global_load_b32 v38, v[33:34], off
	s_waitcnt vmcnt(0)
	v_cmpx_eq_u32_e64 v37, v38
	s_cbranch_execz .LBB1601_356
; %bb.350:
	v_add_co_u32 v33, vcc_lo, v33, 4
	v_add_co_ci_u32_e32 v34, vcc_lo, 0, v34, vcc_lo
	v_add_co_u32 v35, vcc_lo, v35, 4
	v_add_co_ci_u32_e32 v36, vcc_lo, 0, v36, vcc_lo
	s_add_u32 s4, s14, -1
	s_addc_u32 s5, s15, -1
	s_mov_b64 s[6:7], 0
	s_mov_b32 s37, 0
                                        ; implicit-def: $sgpr38
	s_set_inst_prefetch_distance 0x1
	s_branch .LBB1601_353
	.p2align	6
.LBB1601_351:                           ;   in Loop: Header=BB1601_353 Depth=1
	global_load_b32 v37, v[35:36], off
	global_load_b32 v38, v[33:34], off
	v_add_co_u32 v33, vcc_lo, v33, 4
	v_add_co_ci_u32_e32 v34, vcc_lo, 0, v34, vcc_lo
	v_add_co_u32 v35, s0, v35, 4
	s_delay_alu instid0(VALU_DEP_1)
	v_add_co_ci_u32_e64 v36, s0, 0, v36, s0
	s_add_u32 s6, s6, 1
	s_addc_u32 s7, s7, 0
	s_and_not1_b32 s0, s38, exec_lo
	s_waitcnt vmcnt(0)
	v_cmp_ne_u32_e32 vcc_lo, v37, v38
	s_and_b32 s38, vcc_lo, exec_lo
	s_delay_alu instid0(SALU_CYCLE_1)
	s_or_b32 s38, s0, s38
.LBB1601_352:                           ;   in Loop: Header=BB1601_353 Depth=1
	v_dual_mov_b32 v38, s7 :: v_dual_mov_b32 v37, s6
	s_and_b32 s0, exec_lo, s38
	s_delay_alu instid0(SALU_CYCLE_1) | instskip(NEXT) | instid1(SALU_CYCLE_1)
	s_or_b32 s37, s0, s37
	s_and_not1_b32 exec_lo, exec_lo, s37
	s_cbranch_execz .LBB1601_355
.LBB1601_353:                           ; =>This Inner Loop Header: Depth=1
	s_or_b32 s38, s38, exec_lo
	s_cmp_eq_u64 s[4:5], s[6:7]
	s_cbranch_scc0 .LBB1601_351
; %bb.354:                              ;   in Loop: Header=BB1601_353 Depth=1
	s_mov_b64 s[6:7], s[14:15]
                                        ; implicit-def: $vgpr33_vgpr34
                                        ; implicit-def: $vgpr35_vgpr36
	s_branch .LBB1601_352
.LBB1601_355:
	s_set_inst_prefetch_distance 0x2
	s_or_b32 exec_lo, exec_lo, s37
	v_cmp_gt_i64_e32 vcc_lo, s[14:15], v[37:38]
	s_or_not1_b32 s0, vcc_lo, exec_lo
.LBB1601_356:
	s_or_b32 exec_lo, exec_lo, s35
.LBB1601_357:
	s_delay_alu instid0(SALU_CYCLE_1)
	s_and_b32 s35, s0, exec_lo
.LBB1601_358:
	s_or_b32 exec_lo, exec_lo, s36
	v_or_b32_e32 v33, 1, v55
	s_mov_b32 s0, 0
	s_mov_b32 s36, exec_lo
	s_delay_alu instid0(VALU_DEP_1)
	v_cmpx_gt_u32_e64 s31, v33
	s_cbranch_execz .LBB1601_369
; %bb.359:
	s_and_not1_b32 vcc_lo, exec_lo, s13
	s_cbranch_vccnz .LBB1601_368
; %bb.360:
	v_mul_lo_u32 v37, v30, s14
	v_mul_lo_u32 v38, v29, s15
	v_mad_u64_u32 v[33:34], null, v29, s14, 0
	v_mul_lo_u32 v39, v32, s14
	v_mul_lo_u32 v40, v31, s15
	v_mad_u64_u32 v[35:36], null, v31, s14, 0
	s_mov_b32 s0, -1
	s_mov_b32 s37, exec_lo
	s_delay_alu instid0(VALU_DEP_4) | instskip(NEXT) | instid1(VALU_DEP_2)
	v_add3_u32 v34, v34, v38, v37
	v_add3_u32 v36, v36, v40, v39
	s_delay_alu instid0(VALU_DEP_2) | instskip(NEXT) | instid1(VALU_DEP_2)
	v_lshlrev_b64 v[33:34], 2, v[33:34]
	v_lshlrev_b64 v[37:38], 2, v[35:36]
	s_delay_alu instid0(VALU_DEP_2) | instskip(NEXT) | instid1(VALU_DEP_3)
	v_add_co_u32 v35, vcc_lo, s20, v33
	v_add_co_ci_u32_e32 v36, vcc_lo, s21, v34, vcc_lo
	s_delay_alu instid0(VALU_DEP_3) | instskip(NEXT) | instid1(VALU_DEP_4)
	v_add_co_u32 v33, vcc_lo, s20, v37
	v_add_co_ci_u32_e32 v34, vcc_lo, s21, v38, vcc_lo
	s_clause 0x1
	global_load_b32 v37, v[35:36], off
	global_load_b32 v38, v[33:34], off
	s_waitcnt vmcnt(0)
	v_cmpx_eq_u32_e64 v37, v38
	s_cbranch_execz .LBB1601_367
; %bb.361:
	v_add_co_u32 v33, vcc_lo, v33, 4
	v_add_co_ci_u32_e32 v34, vcc_lo, 0, v34, vcc_lo
	v_add_co_u32 v35, vcc_lo, v35, 4
	v_add_co_ci_u32_e32 v36, vcc_lo, 0, v36, vcc_lo
	s_add_u32 s4, s14, -1
	s_addc_u32 s5, s15, -1
	s_mov_b64 s[6:7], 0
	s_mov_b32 s38, 0
                                        ; implicit-def: $sgpr39
	s_set_inst_prefetch_distance 0x1
	s_branch .LBB1601_364
	.p2align	6
.LBB1601_362:                           ;   in Loop: Header=BB1601_364 Depth=1
	global_load_b32 v37, v[35:36], off
	global_load_b32 v38, v[33:34], off
	v_add_co_u32 v33, vcc_lo, v33, 4
	v_add_co_ci_u32_e32 v34, vcc_lo, 0, v34, vcc_lo
	v_add_co_u32 v35, s0, v35, 4
	s_delay_alu instid0(VALU_DEP_1)
	v_add_co_ci_u32_e64 v36, s0, 0, v36, s0
	s_add_u32 s6, s6, 1
	s_addc_u32 s7, s7, 0
	s_and_not1_b32 s0, s39, exec_lo
	s_waitcnt vmcnt(0)
	v_cmp_ne_u32_e32 vcc_lo, v37, v38
	s_and_b32 s39, vcc_lo, exec_lo
	s_delay_alu instid0(SALU_CYCLE_1)
	s_or_b32 s39, s0, s39
.LBB1601_363:                           ;   in Loop: Header=BB1601_364 Depth=1
	v_dual_mov_b32 v38, s7 :: v_dual_mov_b32 v37, s6
	s_and_b32 s0, exec_lo, s39
	s_delay_alu instid0(SALU_CYCLE_1) | instskip(NEXT) | instid1(SALU_CYCLE_1)
	s_or_b32 s38, s0, s38
	s_and_not1_b32 exec_lo, exec_lo, s38
	s_cbranch_execz .LBB1601_366
.LBB1601_364:                           ; =>This Inner Loop Header: Depth=1
	s_or_b32 s39, s39, exec_lo
	s_cmp_eq_u64 s[4:5], s[6:7]
	s_cbranch_scc0 .LBB1601_362
; %bb.365:                              ;   in Loop: Header=BB1601_364 Depth=1
	s_mov_b64 s[6:7], s[14:15]
                                        ; implicit-def: $vgpr33_vgpr34
                                        ; implicit-def: $vgpr35_vgpr36
	s_branch .LBB1601_363
.LBB1601_366:
	s_set_inst_prefetch_distance 0x2
	s_or_b32 exec_lo, exec_lo, s38
	v_cmp_gt_i64_e32 vcc_lo, s[14:15], v[37:38]
	s_or_not1_b32 s0, vcc_lo, exec_lo
.LBB1601_367:
	s_or_b32 exec_lo, exec_lo, s37
.LBB1601_368:
	s_delay_alu instid0(SALU_CYCLE_1)
	s_and_b32 s0, s0, exec_lo
.LBB1601_369:
	s_or_b32 exec_lo, exec_lo, s36
	v_cndmask_b32_e64 v34, 0, 1, s34
	v_cndmask_b32_e64 v35, 0, 1, s27
	v_cndmask_b32_e64 v36, 0, 1, s25
	v_cndmask_b32_e64 v37, 0, 1, s0
	v_cndmask_b32_e64 v33, 0, 1, s35
	v_cndmask_b32_e64 v38, 0, 1, s26
	v_cndmask_b32_e64 v39, 0, 1, s24
	v_lshlrev_b16 v35, 8, v35
	v_lshlrev_b16 v36, 8, v36
	;; [unrolled: 1-line block ×4, first 2 shown]
	s_waitcnt lgkmcnt(0)
	v_or_b32_e32 v35, v38, v35
	v_or_b32_e32 v36, v39, v36
	;; [unrolled: 1-line block ×4, first 2 shown]
	s_barrier
	v_and_b32_e32 v34, 0xffff, v35
	v_lshlrev_b32_e32 v35, 16, v36
	v_and_b32_e32 v37, 0xffff, v37
	v_lshlrev_b32_e32 v33, 16, v33
	buffer_gl0_inv
                                        ; implicit-def: $sgpr0
	v_or_b32_e32 v36, v34, v35
	v_or_b32_e32 v35, v37, v33
	s_and_saveexec_b32 s24, s3
	s_cbranch_execz .LBB1601_382
; %bb.370:
	s_mov_b32 s0, 0
	s_mov_b32 s3, exec_lo
	v_cmpx_gt_u32_e64 s31, v55
	s_cbranch_execz .LBB1601_381
; %bb.371:
	s_and_not1_b32 vcc_lo, exec_lo, s13
	s_cbranch_vccnz .LBB1601_380
; %bb.372:
	v_add_nc_u32_e32 v33, -8, v55
	v_mul_lo_u32 v41, v30, s14
	v_mul_lo_u32 v42, v29, s15
	s_mov_b32 s0, -1
	s_mov_b32 s13, exec_lo
	ds_load_b64 v[33:34], v33
	s_waitcnt lgkmcnt(0)
	v_mul_lo_u32 v39, v34, s14
	v_mul_lo_u32 v40, v33, s15
	v_mad_u64_u32 v[37:38], null, v33, s14, 0
	v_mad_u64_u32 v[33:34], null, v29, s14, 0
	s_delay_alu instid0(VALU_DEP_2) | instskip(NEXT) | instid1(VALU_DEP_2)
	v_add3_u32 v38, v38, v40, v39
	v_add3_u32 v34, v34, v42, v41
	s_delay_alu instid0(VALU_DEP_2) | instskip(NEXT) | instid1(VALU_DEP_2)
	v_lshlrev_b64 v[37:38], 2, v[37:38]
	v_lshlrev_b64 v[33:34], 2, v[33:34]
	s_delay_alu instid0(VALU_DEP_2) | instskip(NEXT) | instid1(VALU_DEP_3)
	v_add_co_u32 v37, vcc_lo, s20, v37
	v_add_co_ci_u32_e32 v38, vcc_lo, s21, v38, vcc_lo
	s_delay_alu instid0(VALU_DEP_3) | instskip(NEXT) | instid1(VALU_DEP_4)
	v_add_co_u32 v33, vcc_lo, s20, v33
	v_add_co_ci_u32_e32 v34, vcc_lo, s21, v34, vcc_lo
	s_clause 0x1
	global_load_b32 v39, v[37:38], off
	global_load_b32 v40, v[33:34], off
	s_waitcnt vmcnt(0)
	v_cmpx_eq_u32_e64 v39, v40
	s_cbranch_execz .LBB1601_379
; %bb.373:
	v_add_co_u32 v33, vcc_lo, v33, 4
	v_add_co_ci_u32_e32 v34, vcc_lo, 0, v34, vcc_lo
	v_add_co_u32 v37, vcc_lo, v37, 4
	v_add_co_ci_u32_e32 v38, vcc_lo, 0, v38, vcc_lo
	s_add_u32 s4, s14, -1
	s_addc_u32 s5, s15, -1
	s_mov_b64 s[6:7], 0
	s_mov_b32 s20, 0
                                        ; implicit-def: $sgpr21
	s_set_inst_prefetch_distance 0x1
	s_branch .LBB1601_376
	.p2align	6
.LBB1601_374:                           ;   in Loop: Header=BB1601_376 Depth=1
	global_load_b32 v39, v[37:38], off
	global_load_b32 v40, v[33:34], off
	v_add_co_u32 v33, vcc_lo, v33, 4
	v_add_co_ci_u32_e32 v34, vcc_lo, 0, v34, vcc_lo
	v_add_co_u32 v37, s0, v37, 4
	s_delay_alu instid0(VALU_DEP_1)
	v_add_co_ci_u32_e64 v38, s0, 0, v38, s0
	s_add_u32 s6, s6, 1
	s_addc_u32 s7, s7, 0
	s_and_not1_b32 s0, s21, exec_lo
	s_waitcnt vmcnt(0)
	v_cmp_ne_u32_e32 vcc_lo, v39, v40
	s_and_b32 s21, vcc_lo, exec_lo
	s_delay_alu instid0(SALU_CYCLE_1)
	s_or_b32 s21, s0, s21
.LBB1601_375:                           ;   in Loop: Header=BB1601_376 Depth=1
	v_dual_mov_b32 v40, s7 :: v_dual_mov_b32 v39, s6
	s_and_b32 s0, exec_lo, s21
	s_delay_alu instid0(SALU_CYCLE_1) | instskip(NEXT) | instid1(SALU_CYCLE_1)
	s_or_b32 s20, s0, s20
	s_and_not1_b32 exec_lo, exec_lo, s20
	s_cbranch_execz .LBB1601_378
.LBB1601_376:                           ; =>This Inner Loop Header: Depth=1
	s_or_b32 s21, s21, exec_lo
	s_cmp_eq_u64 s[4:5], s[6:7]
	s_cbranch_scc0 .LBB1601_374
; %bb.377:                              ;   in Loop: Header=BB1601_376 Depth=1
	s_mov_b64 s[6:7], s[14:15]
                                        ; implicit-def: $vgpr33_vgpr34
                                        ; implicit-def: $vgpr37_vgpr38
	s_branch .LBB1601_375
.LBB1601_378:
	s_set_inst_prefetch_distance 0x2
	s_or_b32 exec_lo, exec_lo, s20
	v_cmp_gt_i64_e32 vcc_lo, s[14:15], v[39:40]
	s_or_not1_b32 s0, vcc_lo, exec_lo
.LBB1601_379:
	s_or_b32 exec_lo, exec_lo, s13
.LBB1601_380:
	s_delay_alu instid0(SALU_CYCLE_1)
	s_and_b32 s0, s0, exec_lo
.LBB1601_381:
	s_or_b32 exec_lo, exec_lo, s3
	s_delay_alu instid0(SALU_CYCLE_1)
	s_and_b32 s0, s0, exec_lo
	s_or_b32 s1, s1, exec_lo
.LBB1601_382:
	s_or_b32 exec_lo, exec_lo, s24
.LBB1601_383:
	s_and_saveexec_b32 s3, s1
	s_cbranch_execz .LBB1601_385
; %bb.384:
	s_waitcnt vmcnt(0) lgkmcnt(0)
	v_and_b32_e32 v33, 0xffffff00, v35
	v_cndmask_b32_e64 v34, 0, 1, s0
	s_delay_alu instid0(VALU_DEP_1) | instskip(NEXT) | instid1(VALU_DEP_1)
	v_or_b32_e32 v33, v34, v33
	v_and_b32_e32 v33, 0xffff, v33
	s_delay_alu instid0(VALU_DEP_1)
	v_and_or_b32 v35, 0xffff0000, v35, v33
.LBB1601_385:
	s_or_b32 exec_lo, exec_lo, s3
	s_delay_alu instid0(SALU_CYCLE_1)
	s_and_not1_b32 vcc_lo, exec_lo, s33
	s_cbranch_vccnz .LBB1601_387
; %bb.386:
	v_cmp_gt_u32_e32 vcc_lo, s31, v55
	s_waitcnt vmcnt(0) lgkmcnt(0)
	v_or_b32_e32 v34, 1, v55
	v_and_b32_e32 v37, 0xffffff00, v36
	v_or_b32_e32 v38, 2, v55
	v_cndmask_b32_e32 v33, 0, v35, vcc_lo
	s_delay_alu instid0(VALU_DEP_4) | instskip(SKIP_1) | instid1(VALU_DEP_4)
	v_cmp_gt_u32_e32 vcc_lo, s31, v34
	v_or_b32_e32 v34, 4, v55
	v_cmp_gt_u32_e64 s0, s31, v38
	v_or_b32_e32 v38, 3, v55
	v_and_b32_e32 v33, 0xff, v33
	s_delay_alu instid0(VALU_DEP_2) | instskip(NEXT) | instid1(VALU_DEP_2)
	v_cmp_gt_u32_e64 s1, s31, v38
	v_cndmask_b32_e32 v33, v33, v35, vcc_lo
	v_cmp_gt_u32_e32 vcc_lo, s31, v34
	v_cndmask_b32_e32 v34, v37, v36, vcc_lo
	v_or_b32_e32 v37, 5, v55
	s_delay_alu instid0(VALU_DEP_2) | instskip(SKIP_1) | instid1(VALU_DEP_1)
	v_and_b32_e32 v34, 0xffff00ff, v34
	v_and_b32_e32 v33, 0xffff, v33
	v_cndmask_b32_e64 v33, v33, v35, s0
	s_delay_alu instid0(VALU_DEP_4) | instskip(SKIP_1) | instid1(VALU_DEP_3)
	v_cmp_gt_u32_e64 s0, s31, v37
	v_or_b32_e32 v37, 6, v55
	v_and_b32_e32 v33, 0xffffff, v33
	s_delay_alu instid0(VALU_DEP_3) | instskip(NEXT) | instid1(VALU_DEP_2)
	v_cndmask_b32_e64 v34, v34, v36, s0
	v_cndmask_b32_e64 v33, v33, v35, s1
	s_delay_alu instid0(VALU_DEP_1) | instskip(SKIP_2) | instid1(VALU_DEP_3)
	v_dual_cndmask_b32 v33, v33, v35 :: v_dual_and_b32 v34, 0xff00ffff, v34
	v_cmp_gt_u32_e32 vcc_lo, s31, v37
	v_or_b32_e32 v37, 7, v55
	v_cndmask_b32_e64 v33, v33, v35, s0
	s_delay_alu instid0(VALU_DEP_1) | instskip(NEXT) | instid1(VALU_DEP_1)
	v_dual_cndmask_b32 v34, v34, v36 :: v_dual_cndmask_b32 v33, v33, v35
	v_and_b32_e32 v34, 0xffffff, v34
	s_delay_alu instid0(VALU_DEP_4) | instskip(NEXT) | instid1(VALU_DEP_2)
	v_cmp_gt_u32_e32 vcc_lo, s31, v37
	v_dual_cndmask_b32 v36, v34, v36 :: v_dual_cndmask_b32 v35, v33, v35
.LBB1601_387:
	s_delay_alu instid0(VALU_DEP_1) | instskip(SKIP_1) | instid1(VALU_DEP_2)
	v_and_b32_e32 v44, 0xff, v35
	s_waitcnt vmcnt(0) lgkmcnt(0)
	v_alignbit_b32 v33, v36, v35, 24
	v_bfe_u32 v46, v35, 8, 8
	v_bfe_u32 v48, v35, 16, 8
	v_and_b32_e32 v52, 0xff, v36
	v_bfe_u32 v54, v36, 8, 8
	v_and_b32_e32 v50, 0xff, v33
	v_add_nc_u32_e32 v33, v46, v44
	v_mbcnt_lo_u32_b32 v58, -1, 0
	v_bfe_u32 v57, v36, 16, 8
	v_lshrrev_b32_e32 v56, 24, v36
	v_lshrrev_b32_e32 v59, 5, v0
	v_add3_u32 v33, v33, v48, v50
	v_and_b32_e32 v34, 15, v58
	v_and_b32_e32 v37, 16, v58
	s_and_b32 vcc_lo, exec_lo, s12
	s_mov_b32 s7, -1
	v_add3_u32 v33, v33, v52, v54
	v_cmp_eq_u32_e64 s3, 0, v34
	v_cmp_lt_u32_e64 s0, 1, v34
	v_cmp_lt_u32_e64 s4, 3, v34
	;; [unrolled: 1-line block ×3, first 2 shown]
	v_add3_u32 v60, v33, v57, v56
	v_or_b32_e32 v33, 31, v0
	v_cmp_eq_u32_e64 s6, 0, v37
	s_barrier
	buffer_gl0_inv
	v_cmp_eq_u32_e64 s5, v33, v0
	s_cbranch_vccz .LBB1601_413
; %bb.388:
	v_mov_b32_dpp v33, v60 row_shr:1 row_mask:0xf bank_mask:0xf
	s_delay_alu instid0(VALU_DEP_1) | instskip(NEXT) | instid1(VALU_DEP_1)
	v_cndmask_b32_e64 v33, v33, 0, s3
	v_add_nc_u32_e32 v33, v33, v60
	s_delay_alu instid0(VALU_DEP_1) | instskip(NEXT) | instid1(VALU_DEP_1)
	v_mov_b32_dpp v34, v33 row_shr:2 row_mask:0xf bank_mask:0xf
	v_cndmask_b32_e64 v34, 0, v34, s0
	s_delay_alu instid0(VALU_DEP_1) | instskip(NEXT) | instid1(VALU_DEP_1)
	v_add_nc_u32_e32 v33, v33, v34
	v_mov_b32_dpp v34, v33 row_shr:4 row_mask:0xf bank_mask:0xf
	s_delay_alu instid0(VALU_DEP_1) | instskip(NEXT) | instid1(VALU_DEP_1)
	v_cndmask_b32_e64 v34, 0, v34, s4
	v_add_nc_u32_e32 v33, v33, v34
	s_delay_alu instid0(VALU_DEP_1) | instskip(NEXT) | instid1(VALU_DEP_1)
	v_mov_b32_dpp v34, v33 row_shr:8 row_mask:0xf bank_mask:0xf
	v_cndmask_b32_e64 v34, 0, v34, s1
	s_delay_alu instid0(VALU_DEP_1) | instskip(SKIP_3) | instid1(VALU_DEP_1)
	v_add_nc_u32_e32 v33, v33, v34
	ds_swizzle_b32 v34, v33 offset:swizzle(BROADCAST,32,15)
	s_waitcnt lgkmcnt(0)
	v_cndmask_b32_e64 v34, v34, 0, s6
	v_add_nc_u32_e32 v33, v33, v34
	s_and_saveexec_b32 s7, s5
	s_cbranch_execz .LBB1601_390
; %bb.389:
	v_lshlrev_b32_e32 v34, 2, v59
	ds_store_b32 v34, v33
.LBB1601_390:
	s_or_b32 exec_lo, exec_lo, s7
	s_delay_alu instid0(SALU_CYCLE_1)
	s_mov_b32 s7, exec_lo
	s_waitcnt lgkmcnt(0)
	s_barrier
	buffer_gl0_inv
	v_cmpx_gt_u32_e32 16, v0
	s_cbranch_execz .LBB1601_392
; %bb.391:
	v_lshlrev_b32_e32 v34, 2, v0
	ds_load_b32 v37, v34
	s_waitcnt lgkmcnt(0)
	v_mov_b32_dpp v38, v37 row_shr:1 row_mask:0xf bank_mask:0xf
	s_delay_alu instid0(VALU_DEP_1) | instskip(NEXT) | instid1(VALU_DEP_1)
	v_cndmask_b32_e64 v38, v38, 0, s3
	v_add_nc_u32_e32 v37, v38, v37
	s_delay_alu instid0(VALU_DEP_1) | instskip(NEXT) | instid1(VALU_DEP_1)
	v_mov_b32_dpp v38, v37 row_shr:2 row_mask:0xf bank_mask:0xf
	v_cndmask_b32_e64 v38, 0, v38, s0
	s_delay_alu instid0(VALU_DEP_1) | instskip(NEXT) | instid1(VALU_DEP_1)
	v_add_nc_u32_e32 v37, v37, v38
	v_mov_b32_dpp v38, v37 row_shr:4 row_mask:0xf bank_mask:0xf
	s_delay_alu instid0(VALU_DEP_1) | instskip(NEXT) | instid1(VALU_DEP_1)
	v_cndmask_b32_e64 v38, 0, v38, s4
	v_add_nc_u32_e32 v37, v37, v38
	s_delay_alu instid0(VALU_DEP_1) | instskip(NEXT) | instid1(VALU_DEP_1)
	v_mov_b32_dpp v38, v37 row_shr:8 row_mask:0xf bank_mask:0xf
	v_cndmask_b32_e64 v38, 0, v38, s1
	s_delay_alu instid0(VALU_DEP_1)
	v_add_nc_u32_e32 v37, v37, v38
	ds_store_b32 v34, v37
.LBB1601_392:
	s_or_b32 exec_lo, exec_lo, s7
	v_cmp_gt_u32_e32 vcc_lo, 32, v0
	s_mov_b32 s12, exec_lo
	s_waitcnt lgkmcnt(0)
	s_barrier
	buffer_gl0_inv
                                        ; implicit-def: $vgpr43
	v_cmpx_lt_u32_e32 31, v0
	s_cbranch_execz .LBB1601_394
; %bb.393:
	v_lshl_add_u32 v34, v59, 2, -4
	ds_load_b32 v43, v34
	s_waitcnt lgkmcnt(0)
	v_add_nc_u32_e32 v33, v43, v33
.LBB1601_394:
	s_or_b32 exec_lo, exec_lo, s12
	v_add_nc_u32_e32 v34, -1, v58
	s_delay_alu instid0(VALU_DEP_1) | instskip(NEXT) | instid1(VALU_DEP_1)
	v_cmp_gt_i32_e64 s7, 0, v34
	v_cndmask_b32_e64 v34, v34, v58, s7
	v_cmp_eq_u32_e64 s7, 0, v58
	s_delay_alu instid0(VALU_DEP_2)
	v_lshlrev_b32_e32 v34, 2, v34
	ds_bpermute_b32 v45, v34, v33
	s_and_saveexec_b32 s12, vcc_lo
	s_cbranch_execz .LBB1601_412
; %bb.395:
	v_mov_b32_e32 v39, 0
	ds_load_b32 v33, v39 offset:60
	s_and_saveexec_b32 s13, s7
	s_cbranch_execz .LBB1601_397
; %bb.396:
	s_add_i32 s14, s30, 32
	s_mov_b32 s15, 0
	v_mov_b32_e32 v34, 1
	s_lshl_b64 s[14:15], s[14:15], 3
	s_delay_alu instid0(SALU_CYCLE_1)
	s_add_u32 s14, s22, s14
	s_addc_u32 s15, s23, s15
	s_waitcnt lgkmcnt(0)
	global_store_b64 v39, v[33:34], s[14:15]
.LBB1601_397:
	s_or_b32 exec_lo, exec_lo, s13
	v_xad_u32 v37, v58, -1, s30
	s_mov_b32 s14, 0
	s_mov_b32 s13, exec_lo
	s_delay_alu instid0(VALU_DEP_1) | instskip(NEXT) | instid1(VALU_DEP_1)
	v_add_nc_u32_e32 v38, 32, v37
	v_lshlrev_b64 v[38:39], 3, v[38:39]
	s_delay_alu instid0(VALU_DEP_1) | instskip(NEXT) | instid1(VALU_DEP_2)
	v_add_co_u32 v41, vcc_lo, s22, v38
	v_add_co_ci_u32_e32 v42, vcc_lo, s23, v39, vcc_lo
	global_load_b64 v[39:40], v[41:42], off glc
	s_waitcnt vmcnt(0)
	v_and_b32_e32 v34, 0xff, v40
	s_delay_alu instid0(VALU_DEP_1)
	v_cmpx_eq_u16_e32 0, v34
	s_cbranch_execz .LBB1601_400
.LBB1601_398:                           ; =>This Inner Loop Header: Depth=1
	global_load_b64 v[39:40], v[41:42], off glc
	s_waitcnt vmcnt(0)
	v_and_b32_e32 v34, 0xff, v40
	s_delay_alu instid0(VALU_DEP_1) | instskip(SKIP_1) | instid1(SALU_CYCLE_1)
	v_cmp_ne_u16_e32 vcc_lo, 0, v34
	s_or_b32 s14, vcc_lo, s14
	s_and_not1_b32 exec_lo, exec_lo, s14
	s_cbranch_execnz .LBB1601_398
; %bb.399:
	s_or_b32 exec_lo, exec_lo, s14
.LBB1601_400:
	s_delay_alu instid0(SALU_CYCLE_1)
	s_or_b32 exec_lo, exec_lo, s13
	v_cmp_ne_u32_e32 vcc_lo, 31, v58
	v_and_b32_e32 v38, 0xff, v40
	v_lshlrev_b32_e64 v47, v58, -1
	v_add_nc_u32_e32 v51, 2, v58
	v_add_nc_u32_e32 v61, 4, v58
	v_add_co_ci_u32_e32 v34, vcc_lo, 0, v58, vcc_lo
	v_cmp_eq_u16_e32 vcc_lo, 2, v38
	v_add_nc_u32_e32 v64, 8, v58
	v_add_nc_u32_e32 v66, 16, v58
	v_and_or_b32 v38, vcc_lo, v47, 0x80000000
	v_cmp_gt_u32_e32 vcc_lo, 30, v58
	s_delay_alu instid0(VALU_DEP_2) | instskip(SKIP_1) | instid1(VALU_DEP_2)
	v_ctz_i32_b32_e32 v38, v38
	v_cndmask_b32_e64 v42, 0, 1, vcc_lo
	v_cmp_lt_u32_e32 vcc_lo, v58, v38
	v_lshlrev_b32_e32 v34, 2, v34
	s_delay_alu instid0(VALU_DEP_3)
	v_lshlrev_b32_e32 v42, 1, v42
	ds_bpermute_b32 v41, v34, v39
	v_add_lshl_u32 v49, v42, v58, 2
	s_waitcnt lgkmcnt(0)
	v_cndmask_b32_e32 v41, 0, v41, vcc_lo
	v_cmp_gt_u32_e32 vcc_lo, 28, v58
	s_delay_alu instid0(VALU_DEP_2) | instskip(SKIP_4) | instid1(VALU_DEP_1)
	v_add_nc_u32_e32 v39, v41, v39
	v_cndmask_b32_e64 v42, 0, 1, vcc_lo
	v_cmp_le_u32_e32 vcc_lo, v51, v38
	ds_bpermute_b32 v41, v49, v39
	v_lshlrev_b32_e32 v42, 2, v42
	v_add_lshl_u32 v53, v42, v58, 2
	s_waitcnt lgkmcnt(0)
	v_cndmask_b32_e32 v41, 0, v41, vcc_lo
	v_cmp_gt_u32_e32 vcc_lo, 24, v58
	s_delay_alu instid0(VALU_DEP_2) | instskip(SKIP_4) | instid1(VALU_DEP_1)
	v_add_nc_u32_e32 v39, v39, v41
	v_cndmask_b32_e64 v42, 0, 1, vcc_lo
	v_cmp_le_u32_e32 vcc_lo, v61, v38
	ds_bpermute_b32 v41, v53, v39
	v_lshlrev_b32_e32 v42, 3, v42
	;; [unrolled: 10-line block ×3, first 2 shown]
	v_add_lshl_u32 v65, v42, v58, 2
	s_waitcnt lgkmcnt(0)
	v_cndmask_b32_e32 v41, 0, v41, vcc_lo
	v_cmp_le_u32_e32 vcc_lo, v66, v38
	s_delay_alu instid0(VALU_DEP_2) | instskip(SKIP_3) | instid1(VALU_DEP_1)
	v_add_nc_u32_e32 v39, v39, v41
	ds_bpermute_b32 v41, v65, v39
	s_waitcnt lgkmcnt(0)
	v_cndmask_b32_e32 v38, 0, v41, vcc_lo
	v_dual_mov_b32 v38, 0 :: v_dual_add_nc_u32 v39, v39, v38
	s_branch .LBB1601_402
.LBB1601_401:                           ;   in Loop: Header=BB1601_402 Depth=1
	s_or_b32 exec_lo, exec_lo, s13
	ds_bpermute_b32 v42, v34, v39
	v_and_b32_e32 v41, 0xff, v40
	v_subrev_nc_u32_e32 v37, 32, v37
	s_delay_alu instid0(VALU_DEP_2) | instskip(SKIP_1) | instid1(VALU_DEP_1)
	v_cmp_eq_u16_e32 vcc_lo, 2, v41
	v_and_or_b32 v41, vcc_lo, v47, 0x80000000
	v_ctz_i32_b32_e32 v41, v41
	s_delay_alu instid0(VALU_DEP_1) | instskip(SKIP_3) | instid1(VALU_DEP_2)
	v_cmp_lt_u32_e32 vcc_lo, v58, v41
	s_waitcnt lgkmcnt(0)
	v_cndmask_b32_e32 v42, 0, v42, vcc_lo
	v_cmp_le_u32_e32 vcc_lo, v51, v41
	v_add_nc_u32_e32 v39, v42, v39
	ds_bpermute_b32 v42, v49, v39
	s_waitcnt lgkmcnt(0)
	v_cndmask_b32_e32 v42, 0, v42, vcc_lo
	v_cmp_le_u32_e32 vcc_lo, v61, v41
	s_delay_alu instid0(VALU_DEP_2) | instskip(SKIP_4) | instid1(VALU_DEP_2)
	v_add_nc_u32_e32 v39, v39, v42
	ds_bpermute_b32 v42, v53, v39
	s_waitcnt lgkmcnt(0)
	v_cndmask_b32_e32 v42, 0, v42, vcc_lo
	v_cmp_le_u32_e32 vcc_lo, v64, v41
	v_add_nc_u32_e32 v39, v39, v42
	ds_bpermute_b32 v42, v63, v39
	s_waitcnt lgkmcnt(0)
	v_cndmask_b32_e32 v42, 0, v42, vcc_lo
	v_cmp_le_u32_e32 vcc_lo, v66, v41
	s_delay_alu instid0(VALU_DEP_2) | instskip(SKIP_3) | instid1(VALU_DEP_1)
	v_add_nc_u32_e32 v39, v39, v42
	ds_bpermute_b32 v42, v65, v39
	s_waitcnt lgkmcnt(0)
	v_cndmask_b32_e32 v41, 0, v42, vcc_lo
	v_add3_u32 v39, v41, v62, v39
.LBB1601_402:                           ; =>This Loop Header: Depth=1
                                        ;     Child Loop BB1601_405 Depth 2
	v_and_b32_e32 v40, 0xff, v40
	s_delay_alu instid0(VALU_DEP_2) | instskip(NEXT) | instid1(VALU_DEP_2)
	v_mov_b32_e32 v62, v39
	v_cmp_ne_u16_e32 vcc_lo, 2, v40
	v_cndmask_b32_e64 v40, 0, 1, vcc_lo
	;;#ASMSTART
	;;#ASMEND
	s_delay_alu instid0(VALU_DEP_1)
	v_cmp_ne_u32_e32 vcc_lo, 0, v40
	s_cmp_lg_u32 vcc_lo, exec_lo
	s_cbranch_scc1 .LBB1601_407
; %bb.403:                              ;   in Loop: Header=BB1601_402 Depth=1
	v_lshlrev_b64 v[39:40], 3, v[37:38]
	s_mov_b32 s13, exec_lo
	s_delay_alu instid0(VALU_DEP_1) | instskip(NEXT) | instid1(VALU_DEP_2)
	v_add_co_u32 v41, vcc_lo, s22, v39
	v_add_co_ci_u32_e32 v42, vcc_lo, s23, v40, vcc_lo
	global_load_b64 v[39:40], v[41:42], off glc
	s_waitcnt vmcnt(0)
	v_and_b32_e32 v67, 0xff, v40
	s_delay_alu instid0(VALU_DEP_1)
	v_cmpx_eq_u16_e32 0, v67
	s_cbranch_execz .LBB1601_401
; %bb.404:                              ;   in Loop: Header=BB1601_402 Depth=1
	s_mov_b32 s14, 0
.LBB1601_405:                           ;   Parent Loop BB1601_402 Depth=1
                                        ; =>  This Inner Loop Header: Depth=2
	global_load_b64 v[39:40], v[41:42], off glc
	s_waitcnt vmcnt(0)
	v_and_b32_e32 v67, 0xff, v40
	s_delay_alu instid0(VALU_DEP_1) | instskip(SKIP_1) | instid1(SALU_CYCLE_1)
	v_cmp_ne_u16_e32 vcc_lo, 0, v67
	s_or_b32 s14, vcc_lo, s14
	s_and_not1_b32 exec_lo, exec_lo, s14
	s_cbranch_execnz .LBB1601_405
; %bb.406:                              ;   in Loop: Header=BB1601_402 Depth=1
	s_or_b32 exec_lo, exec_lo, s14
	s_branch .LBB1601_401
.LBB1601_407:                           ;   in Loop: Header=BB1601_402 Depth=1
                                        ; implicit-def: $vgpr39
                                        ; implicit-def: $vgpr40
	s_cbranch_execz .LBB1601_402
; %bb.408:
	s_and_saveexec_b32 s13, s7
	s_cbranch_execz .LBB1601_410
; %bb.409:
	s_add_i32 s14, s30, 32
	s_mov_b32 s15, 0
	v_dual_mov_b32 v38, 2 :: v_dual_add_nc_u32 v37, v62, v33
	s_lshl_b64 s[14:15], s[14:15], 3
	v_mov_b32_e32 v34, 0
	v_add_nc_u32_e64 v39, 0x8400, 0
	s_add_u32 s14, s22, s14
	s_addc_u32 s15, s23, s15
	global_store_b64 v34, v[37:38], s[14:15]
	ds_store_2addr_b32 v39, v33, v62 offset1:2
.LBB1601_410:
	s_or_b32 exec_lo, exec_lo, s13
	s_delay_alu instid0(SALU_CYCLE_1)
	s_and_b32 exec_lo, exec_lo, s2
	s_cbranch_execz .LBB1601_412
; %bb.411:
	v_mov_b32_e32 v33, 0
	ds_store_b32 v33, v62 offset:60
.LBB1601_412:
	s_or_b32 exec_lo, exec_lo, s12
	v_mov_b32_e32 v33, 0
	s_waitcnt lgkmcnt(0)
	s_waitcnt_vscnt null, 0x0
	s_barrier
	buffer_gl0_inv
	v_cndmask_b32_e64 v34, v45, v43, s7
	ds_load_b32 v33, v33 offset:60
	s_waitcnt lgkmcnt(0)
	s_barrier
	buffer_gl0_inv
	v_cndmask_b32_e64 v34, v34, 0, s2
	s_delay_alu instid0(VALU_DEP_1) | instskip(SKIP_1) | instid1(VALU_DEP_2)
	v_add_nc_u32_e32 v53, v33, v34
	v_add_nc_u32_e64 v33, 0x8400, 0
	v_add_nc_u32_e32 v51, v53, v44
	ds_load_2addr_b32 v[33:34], v33 offset1:2
	v_add_nc_u32_e32 v49, v51, v46
	s_delay_alu instid0(VALU_DEP_1) | instskip(NEXT) | instid1(VALU_DEP_1)
	v_add_nc_u32_e32 v47, v49, v48
	v_add_nc_u32_e32 v45, v47, v50
	s_delay_alu instid0(VALU_DEP_1) | instskip(SKIP_2) | instid1(VALU_DEP_2)
	v_add_nc_u32_e32 v43, v45, v52
	s_waitcnt lgkmcnt(0)
	v_readfirstlane_b32 s12, v34
	v_add_nc_u32_e32 v41, v43, v54
	s_delay_alu instid0(VALU_DEP_1)
	v_add_nc_u32_e32 v39, v41, v57
	v_lshrrev_b64 v[37:38], 24, v[35:36]
	s_branch .LBB1601_423
.LBB1601_413:
                                        ; implicit-def: $vgpr39
                                        ; implicit-def: $vgpr41
                                        ; implicit-def: $vgpr43
                                        ; implicit-def: $vgpr45
                                        ; implicit-def: $vgpr47
                                        ; implicit-def: $vgpr49
                                        ; implicit-def: $vgpr51
                                        ; implicit-def: $vgpr53
                                        ; implicit-def: $sgpr12
                                        ; implicit-def: $vgpr33
	v_lshrrev_b64 v[37:38], 24, v[35:36]
	s_and_b32 vcc_lo, exec_lo, s7
	s_cbranch_vccz .LBB1601_423
; %bb.414:
	v_mov_b32_dpp v33, v60 row_shr:1 row_mask:0xf bank_mask:0xf
	s_delay_alu instid0(VALU_DEP_1) | instskip(NEXT) | instid1(VALU_DEP_1)
	v_cndmask_b32_e64 v33, v33, 0, s3
	v_add_nc_u32_e32 v33, v33, v60
	s_delay_alu instid0(VALU_DEP_1) | instskip(NEXT) | instid1(VALU_DEP_1)
	v_mov_b32_dpp v34, v33 row_shr:2 row_mask:0xf bank_mask:0xf
	v_cndmask_b32_e64 v34, 0, v34, s0
	s_delay_alu instid0(VALU_DEP_1) | instskip(NEXT) | instid1(VALU_DEP_1)
	v_add_nc_u32_e32 v33, v33, v34
	v_mov_b32_dpp v34, v33 row_shr:4 row_mask:0xf bank_mask:0xf
	s_delay_alu instid0(VALU_DEP_1) | instskip(NEXT) | instid1(VALU_DEP_1)
	v_cndmask_b32_e64 v34, 0, v34, s4
	v_add_nc_u32_e32 v33, v33, v34
	s_delay_alu instid0(VALU_DEP_1) | instskip(NEXT) | instid1(VALU_DEP_1)
	v_mov_b32_dpp v34, v33 row_shr:8 row_mask:0xf bank_mask:0xf
	v_cndmask_b32_e64 v34, 0, v34, s1
	s_delay_alu instid0(VALU_DEP_1) | instskip(SKIP_3) | instid1(VALU_DEP_1)
	v_add_nc_u32_e32 v33, v33, v34
	ds_swizzle_b32 v34, v33 offset:swizzle(BROADCAST,32,15)
	s_waitcnt lgkmcnt(0)
	v_cndmask_b32_e64 v34, v34, 0, s6
	v_add_nc_u32_e32 v33, v33, v34
	s_and_saveexec_b32 s6, s5
	s_cbranch_execz .LBB1601_416
; %bb.415:
	v_lshlrev_b32_e32 v34, 2, v59
	ds_store_b32 v34, v33
.LBB1601_416:
	s_or_b32 exec_lo, exec_lo, s6
	s_delay_alu instid0(SALU_CYCLE_1)
	s_mov_b32 s5, exec_lo
	s_waitcnt lgkmcnt(0)
	s_barrier
	buffer_gl0_inv
	v_cmpx_gt_u32_e32 16, v0
	s_cbranch_execz .LBB1601_418
; %bb.417:
	v_lshlrev_b32_e32 v34, 2, v0
	ds_load_b32 v38, v34
	s_waitcnt lgkmcnt(0)
	v_mov_b32_dpp v39, v38 row_shr:1 row_mask:0xf bank_mask:0xf
	s_delay_alu instid0(VALU_DEP_1) | instskip(NEXT) | instid1(VALU_DEP_1)
	v_cndmask_b32_e64 v39, v39, 0, s3
	v_add_nc_u32_e32 v38, v39, v38
	s_delay_alu instid0(VALU_DEP_1) | instskip(NEXT) | instid1(VALU_DEP_1)
	v_mov_b32_dpp v39, v38 row_shr:2 row_mask:0xf bank_mask:0xf
	v_cndmask_b32_e64 v39, 0, v39, s0
	s_delay_alu instid0(VALU_DEP_1) | instskip(NEXT) | instid1(VALU_DEP_1)
	v_add_nc_u32_e32 v38, v38, v39
	v_mov_b32_dpp v39, v38 row_shr:4 row_mask:0xf bank_mask:0xf
	s_delay_alu instid0(VALU_DEP_1) | instskip(NEXT) | instid1(VALU_DEP_1)
	v_cndmask_b32_e64 v39, 0, v39, s4
	v_add_nc_u32_e32 v38, v38, v39
	s_delay_alu instid0(VALU_DEP_1) | instskip(NEXT) | instid1(VALU_DEP_1)
	v_mov_b32_dpp v39, v38 row_shr:8 row_mask:0xf bank_mask:0xf
	v_cndmask_b32_e64 v39, 0, v39, s1
	s_delay_alu instid0(VALU_DEP_1)
	v_add_nc_u32_e32 v38, v38, v39
	ds_store_b32 v34, v38
.LBB1601_418:
	s_or_b32 exec_lo, exec_lo, s5
	v_mov_b32_e32 v34, 0
	v_mov_b32_e32 v38, 0
	s_mov_b32 s0, exec_lo
	s_waitcnt lgkmcnt(0)
	s_barrier
	buffer_gl0_inv
	v_cmpx_lt_u32_e32 31, v0
	s_cbranch_execz .LBB1601_420
; %bb.419:
	v_lshl_add_u32 v38, v59, 2, -4
	ds_load_b32 v38, v38
.LBB1601_420:
	s_or_b32 exec_lo, exec_lo, s0
	v_add_nc_u32_e32 v39, -1, v58
	s_waitcnt lgkmcnt(0)
	v_add_nc_u32_e32 v33, v38, v33
	s_mov_b32 s12, 0
	s_delay_alu instid0(VALU_DEP_2) | instskip(SKIP_1) | instid1(VALU_DEP_1)
	v_cmp_gt_i32_e32 vcc_lo, 0, v39
	v_cndmask_b32_e32 v39, v39, v58, vcc_lo
	v_lshlrev_b32_e32 v39, 2, v39
	ds_bpermute_b32 v39, v39, v33
	ds_load_b32 v33, v34 offset:60
	s_and_saveexec_b32 s0, s2
	s_cbranch_execz .LBB1601_422
; %bb.421:
	v_mov_b32_e32 v40, 0
	v_mov_b32_e32 v34, 2
	s_waitcnt lgkmcnt(0)
	global_store_b64 v40, v[33:34], s[22:23] offset:256
.LBB1601_422:
	s_or_b32 exec_lo, exec_lo, s0
	v_cmp_eq_u32_e32 vcc_lo, 0, v58
	s_waitcnt lgkmcnt(0)
	s_waitcnt_vscnt null, 0x0
	s_barrier
	buffer_gl0_inv
	v_cndmask_b32_e32 v34, v39, v38, vcc_lo
	s_delay_alu instid0(VALU_DEP_1) | instskip(NEXT) | instid1(VALU_DEP_1)
	v_cndmask_b32_e64 v53, v34, 0, s2
	v_add_nc_u32_e32 v51, v53, v44
	s_delay_alu instid0(VALU_DEP_1) | instskip(NEXT) | instid1(VALU_DEP_1)
	v_add_nc_u32_e32 v49, v51, v46
	v_add_nc_u32_e32 v47, v49, v48
	s_delay_alu instid0(VALU_DEP_1) | instskip(NEXT) | instid1(VALU_DEP_1)
	v_add_nc_u32_e32 v45, v47, v50
	;; [unrolled: 3-line block ×3, first 2 shown]
	v_add_nc_u32_e32 v39, v41, v57
.LBB1601_423:
	v_add_nc_u32_e32 v59, s12, v33
	v_cmp_gt_u32_e64 s0, 0x201, v33
	v_lshrrev_b32_e32 v58, 8, v35
	v_lshrrev_b32_e32 v57, 16, v35
	;; [unrolled: 1-line block ×4, first 2 shown]
	v_cmp_lt_u32_e64 s1, v53, v59
	s_and_b32 vcc_lo, exec_lo, s0
	s_mov_b32 s3, -1
	s_cbranch_vccz .LBB1601_449
; %bb.424:
	s_delay_alu instid0(VALU_DEP_1) | instskip(NEXT) | instid1(SALU_CYCLE_1)
	s_or_b32 s3, s29, s1
	s_and_saveexec_b32 s1, s3
	s_cbranch_execz .LBB1601_427
; %bb.425:
	v_and_b32_e32 v40, 1, v35
	s_delay_alu instid0(VALU_DEP_1)
	v_cmp_eq_u32_e32 vcc_lo, 1, v40
	s_and_b32 exec_lo, exec_lo, vcc_lo
	s_cbranch_execz .LBB1601_427
; %bb.426:
	v_mov_b32_e32 v54, 0
	s_lshl_b64 s[4:5], s[10:11], 3
	s_delay_alu instid0(SALU_CYCLE_1) | instskip(SKIP_1) | instid1(VALU_DEP_1)
	s_add_u32 s3, s16, s4
	s_addc_u32 s4, s17, s5
	v_lshlrev_b64 v[60:61], 3, v[53:54]
	s_delay_alu instid0(VALU_DEP_1) | instskip(NEXT) | instid1(VALU_DEP_2)
	v_add_co_u32 v60, vcc_lo, s3, v60
	v_add_co_ci_u32_e32 v61, vcc_lo, s4, v61, vcc_lo
	global_store_b64 v[60:61], v[29:30], off
.LBB1601_427:
	s_or_b32 exec_lo, exec_lo, s1
	v_cmp_lt_u32_e32 vcc_lo, v51, v59
	s_or_b32 s3, s29, vcc_lo
	s_delay_alu instid0(SALU_CYCLE_1)
	s_and_saveexec_b32 s1, s3
	s_cbranch_execz .LBB1601_430
; %bb.428:
	v_and_b32_e32 v40, 1, v58
	s_delay_alu instid0(VALU_DEP_1)
	v_cmp_eq_u32_e32 vcc_lo, 1, v40
	s_and_b32 exec_lo, exec_lo, vcc_lo
	s_cbranch_execz .LBB1601_430
; %bb.429:
	v_mov_b32_e32 v52, 0
	s_lshl_b64 s[4:5], s[10:11], 3
	s_delay_alu instid0(SALU_CYCLE_1) | instskip(SKIP_1) | instid1(VALU_DEP_1)
	s_add_u32 s3, s16, s4
	s_addc_u32 s4, s17, s5
	v_lshlrev_b64 v[60:61], 3, v[51:52]
	s_delay_alu instid0(VALU_DEP_1) | instskip(NEXT) | instid1(VALU_DEP_2)
	v_add_co_u32 v60, vcc_lo, s3, v60
	v_add_co_ci_u32_e32 v61, vcc_lo, s4, v61, vcc_lo
	global_store_b64 v[60:61], v[31:32], off
.LBB1601_430:
	s_or_b32 exec_lo, exec_lo, s1
	v_cmp_lt_u32_e32 vcc_lo, v49, v59
	s_or_b32 s3, s29, vcc_lo
	s_delay_alu instid0(SALU_CYCLE_1)
	;; [unrolled: 24-line block ×7, first 2 shown]
	s_and_saveexec_b32 s1, s3
	s_cbranch_execz .LBB1601_448
; %bb.446:
	v_and_b32_e32 v40, 1, v56
	s_delay_alu instid0(VALU_DEP_1)
	v_cmp_eq_u32_e32 vcc_lo, 1, v40
	s_and_b32 exec_lo, exec_lo, vcc_lo
	s_cbranch_execz .LBB1601_448
; %bb.447:
	v_mov_b32_e32 v40, 0
	s_lshl_b64 s[4:5], s[10:11], 3
	s_delay_alu instid0(SALU_CYCLE_1) | instskip(SKIP_1) | instid1(VALU_DEP_1)
	s_add_u32 s3, s16, s4
	s_addc_u32 s4, s17, s5
	v_lshlrev_b64 v[60:61], 3, v[39:40]
	s_delay_alu instid0(VALU_DEP_1) | instskip(NEXT) | instid1(VALU_DEP_2)
	v_add_co_u32 v60, vcc_lo, s3, v60
	v_add_co_ci_u32_e32 v61, vcc_lo, s4, v61, vcc_lo
	global_store_b64 v[60:61], v[19:20], off
.LBB1601_448:
	s_or_b32 exec_lo, exec_lo, s1
	s_mov_b32 s3, 0
.LBB1601_449:
	v_and_b32_e32 v35, 1, v35
	s_and_b32 vcc_lo, exec_lo, s3
	s_delay_alu instid0(VALU_DEP_1)
	v_cmp_eq_u32_e64 s1, 1, v35
	s_cbranch_vccz .LBB1601_470
; %bb.450:
	s_delay_alu instid0(VALU_DEP_1)
	s_and_saveexec_b32 s3, s1
	s_cbranch_execz .LBB1601_452
; %bb.451:
	v_subrev_nc_u32_e32 v40, s12, v53
	s_delay_alu instid0(VALU_DEP_1)
	v_lshlrev_b32_e32 v40, 3, v40
	ds_store_b64 v40, v[29:30]
.LBB1601_452:
	s_or_b32 exec_lo, exec_lo, s3
	v_and_b32_e32 v29, 1, v58
	s_mov_b32 s1, exec_lo
	s_delay_alu instid0(VALU_DEP_1)
	v_cmpx_eq_u32_e32 1, v29
	s_cbranch_execz .LBB1601_454
; %bb.453:
	v_subrev_nc_u32_e32 v29, s12, v51
	s_delay_alu instid0(VALU_DEP_1)
	v_lshlrev_b32_e32 v29, 3, v29
	ds_store_b64 v29, v[31:32]
.LBB1601_454:
	s_or_b32 exec_lo, exec_lo, s1
	v_and_b32_e32 v29, 1, v57
	s_mov_b32 s1, exec_lo
	s_delay_alu instid0(VALU_DEP_1)
	v_cmpx_eq_u32_e32 1, v29
	;; [unrolled: 12-line block ×7, first 2 shown]
	s_cbranch_execz .LBB1601_466
; %bb.465:
	v_subrev_nc_u32_e32 v17, s12, v39
	s_delay_alu instid0(VALU_DEP_1)
	v_lshlrev_b32_e32 v17, 3, v17
	ds_store_b64 v17, v[19:20]
.LBB1601_466:
	s_or_b32 exec_lo, exec_lo, s1
	s_delay_alu instid0(SALU_CYCLE_1)
	s_mov_b32 s3, exec_lo
	s_waitcnt lgkmcnt(0)
	s_waitcnt_vscnt null, 0x0
	s_barrier
	buffer_gl0_inv
	v_cmpx_lt_u32_e64 v0, v33
	s_cbranch_execz .LBB1601_469
; %bb.467:
	s_mov_b32 s13, 0
	s_lshl_b64 s[4:5], s[10:11], 3
	s_lshl_b64 s[6:7], s[12:13], 3
	v_dual_mov_b32 v19, v55 :: v_dual_mov_b32 v20, v0
	s_add_u32 s1, s4, s6
	s_addc_u32 s4, s5, s7
	s_add_u32 s1, s16, s1
	s_addc_u32 s4, s17, s4
	v_add_co_u32 v17, s1, s1, v55
	s_delay_alu instid0(VALU_DEP_1)
	v_add_co_ci_u32_e64 v18, null, s4, 0, s1
	.p2align	6
.LBB1601_468:                           ; =>This Inner Loop Header: Depth=1
	ds_load_b64 v[21:22], v19
	v_add_nc_u32_e32 v20, 0x200, v20
	v_add_nc_u32_e32 v19, 0x1000, v19
	s_delay_alu instid0(VALU_DEP_2) | instskip(SKIP_4) | instid1(VALU_DEP_1)
	v_cmp_ge_u32_e32 vcc_lo, v20, v33
	s_or_b32 s13, vcc_lo, s13
	s_waitcnt lgkmcnt(0)
	global_store_b64 v[17:18], v[21:22], off
	v_add_co_u32 v17, s1, 0x1000, v17
	v_add_co_ci_u32_e64 v18, s1, 0, v18, s1
	s_and_not1_b32 exec_lo, exec_lo, s13
	s_cbranch_execnz .LBB1601_468
.LBB1601_469:
	s_or_b32 exec_lo, exec_lo, s3
.LBB1601_470:
	s_delay_alu instid0(SALU_CYCLE_1)
	s_and_b32 vcc_lo, exec_lo, s0
	s_mov_b32 s0, -1
	s_waitcnt_vscnt null, 0x0
	s_barrier
	buffer_gl0_inv
	s_cbranch_vccz .LBB1601_498
; %bb.471:
	v_cmp_lt_u32_e32 vcc_lo, v53, v59
	s_or_b32 s1, s29, vcc_lo
	s_delay_alu instid0(SALU_CYCLE_1)
	s_and_saveexec_b32 s0, s1
	s_cbranch_execz .LBB1601_474
; %bb.472:
	v_cmp_eq_u32_e32 vcc_lo, 1, v35
	s_and_b32 exec_lo, exec_lo, vcc_lo
	s_cbranch_execz .LBB1601_474
; %bb.473:
	v_mov_b32_e32 v54, 0
	s_lshl_b64 s[4:5], s[10:11], 3
	s_delay_alu instid0(SALU_CYCLE_1) | instskip(SKIP_1) | instid1(VALU_DEP_1)
	s_add_u32 s1, s18, s4
	s_addc_u32 s3, s19, s5
	v_lshlrev_b64 v[17:18], 3, v[53:54]
	s_delay_alu instid0(VALU_DEP_1) | instskip(NEXT) | instid1(VALU_DEP_2)
	v_add_co_u32 v17, vcc_lo, s1, v17
	v_add_co_ci_u32_e32 v18, vcc_lo, s3, v18, vcc_lo
	global_store_b64 v[17:18], v[13:14], off
.LBB1601_474:
	s_or_b32 exec_lo, exec_lo, s0
	v_cmp_lt_u32_e32 vcc_lo, v51, v59
	s_or_b32 s1, s29, vcc_lo
	s_delay_alu instid0(SALU_CYCLE_1)
	s_and_saveexec_b32 s0, s1
	s_cbranch_execz .LBB1601_477
; %bb.475:
	v_and_b32_e32 v17, 1, v58
	s_delay_alu instid0(VALU_DEP_1)
	v_cmp_eq_u32_e32 vcc_lo, 1, v17
	s_and_b32 exec_lo, exec_lo, vcc_lo
	s_cbranch_execz .LBB1601_477
; %bb.476:
	v_mov_b32_e32 v52, 0
	s_lshl_b64 s[4:5], s[10:11], 3
	s_delay_alu instid0(SALU_CYCLE_1) | instskip(SKIP_1) | instid1(VALU_DEP_1)
	s_add_u32 s1, s18, s4
	s_addc_u32 s3, s19, s5
	v_lshlrev_b64 v[17:18], 3, v[51:52]
	s_delay_alu instid0(VALU_DEP_1) | instskip(NEXT) | instid1(VALU_DEP_2)
	v_add_co_u32 v17, vcc_lo, s1, v17
	v_add_co_ci_u32_e32 v18, vcc_lo, s3, v18, vcc_lo
	global_store_b64 v[17:18], v[15:16], off
.LBB1601_477:
	s_or_b32 exec_lo, exec_lo, s0
	v_cmp_lt_u32_e32 vcc_lo, v49, v59
	s_or_b32 s1, s29, vcc_lo
	s_delay_alu instid0(SALU_CYCLE_1)
	s_and_saveexec_b32 s0, s1
	s_cbranch_execz .LBB1601_480
; %bb.478:
	v_and_b32_e32 v17, 1, v57
	s_delay_alu instid0(VALU_DEP_1)
	v_cmp_eq_u32_e32 vcc_lo, 1, v17
	s_and_b32 exec_lo, exec_lo, vcc_lo
	s_cbranch_execz .LBB1601_480
; %bb.479:
	v_mov_b32_e32 v50, 0
	s_lshl_b64 s[4:5], s[10:11], 3
	s_delay_alu instid0(SALU_CYCLE_1) | instskip(SKIP_1) | instid1(VALU_DEP_1)
	s_add_u32 s1, s18, s4
	s_addc_u32 s3, s19, s5
	v_lshlrev_b64 v[17:18], 3, v[49:50]
	s_delay_alu instid0(VALU_DEP_1) | instskip(NEXT) | instid1(VALU_DEP_2)
	v_add_co_u32 v17, vcc_lo, s1, v17
	v_add_co_ci_u32_e32 v18, vcc_lo, s3, v18, vcc_lo
	global_store_b64 v[17:18], v[9:10], off
.LBB1601_480:
	;; [unrolled: 24-line block ×7, first 2 shown]
	s_or_b32 exec_lo, exec_lo, s0
.LBB1601_496:
	s_and_b32 s0, s2, s28
	s_delay_alu instid0(SALU_CYCLE_1)
	s_and_saveexec_b32 s1, s0
	s_cbranch_execz .LBB1601_519
.LBB1601_497:
	v_add_co_u32 v0, s0, s10, v33
	s_delay_alu instid0(VALU_DEP_1) | instskip(SKIP_1) | instid1(VALU_DEP_3)
	v_add_co_ci_u32_e64 v1, null, s11, 0, s0
	v_mov_b32_e32 v2, 0
	v_add_co_u32 v0, vcc_lo, v0, s12
	s_delay_alu instid0(VALU_DEP_3)
	v_add_co_ci_u32_e32 v1, vcc_lo, 0, v1, vcc_lo
	global_store_b64 v2, v[0:1], s[8:9]
	s_nop 0
	s_sendmsg sendmsg(MSG_DEALLOC_VGPRS)
	s_endpgm
.LBB1601_498:
	s_and_b32 vcc_lo, exec_lo, s0
	s_cbranch_vccz .LBB1601_496
; %bb.499:
	s_mov_b32 s0, exec_lo
	v_cmpx_eq_u32_e32 1, v35
	s_cbranch_execz .LBB1601_501
; %bb.500:
	v_subrev_nc_u32_e32 v17, s12, v53
	s_delay_alu instid0(VALU_DEP_1)
	v_lshlrev_b32_e32 v17, 3, v17
	ds_store_b64 v17, v[13:14]
.LBB1601_501:
	s_or_b32 exec_lo, exec_lo, s0
	v_and_b32_e32 v13, 1, v58
	s_mov_b32 s0, exec_lo
	s_delay_alu instid0(VALU_DEP_1)
	v_cmpx_eq_u32_e32 1, v13
	s_cbranch_execz .LBB1601_503
; %bb.502:
	v_subrev_nc_u32_e32 v13, s12, v51
	s_delay_alu instid0(VALU_DEP_1)
	v_lshlrev_b32_e32 v13, 3, v13
	ds_store_b64 v13, v[15:16]
.LBB1601_503:
	s_or_b32 exec_lo, exec_lo, s0
	v_and_b32_e32 v13, 1, v57
	s_mov_b32 s0, exec_lo
	s_delay_alu instid0(VALU_DEP_1)
	;; [unrolled: 12-line block ×7, first 2 shown]
	v_cmpx_eq_u32_e32 1, v1
	s_cbranch_execz .LBB1601_515
; %bb.514:
	v_subrev_nc_u32_e32 v1, s12, v39
	s_delay_alu instid0(VALU_DEP_1)
	v_lshlrev_b32_e32 v1, 3, v1
	ds_store_b64 v1, v[3:4]
.LBB1601_515:
	s_or_b32 exec_lo, exec_lo, s0
	s_delay_alu instid0(SALU_CYCLE_1)
	s_mov_b32 s1, exec_lo
	s_waitcnt lgkmcnt(0)
	s_waitcnt_vscnt null, 0x0
	s_barrier
	buffer_gl0_inv
	v_cmpx_lt_u32_e64 v0, v33
	s_cbranch_execz .LBB1601_518
; %bb.516:
	s_mov_b32 s13, 0
	s_lshl_b64 s[4:5], s[10:11], 3
	s_lshl_b64 s[6:7], s[12:13], 3
	s_delay_alu instid0(SALU_CYCLE_1) | instskip(SKIP_4) | instid1(VALU_DEP_1)
	s_add_u32 s0, s4, s6
	s_addc_u32 s3, s5, s7
	s_add_u32 s0, s18, s0
	s_addc_u32 s3, s19, s3
	v_add_co_u32 v1, s0, s0, v55
	v_add_co_ci_u32_e64 v2, null, s3, 0, s0
	.p2align	6
.LBB1601_517:                           ; =>This Inner Loop Header: Depth=1
	ds_load_b64 v[3:4], v55
	v_add_nc_u32_e32 v0, 0x200, v0
	v_add_nc_u32_e32 v55, 0x1000, v55
	s_delay_alu instid0(VALU_DEP_2) | instskip(SKIP_4) | instid1(VALU_DEP_1)
	v_cmp_ge_u32_e32 vcc_lo, v0, v33
	s_or_b32 s13, vcc_lo, s13
	s_waitcnt lgkmcnt(0)
	global_store_b64 v[1:2], v[3:4], off
	v_add_co_u32 v1, s0, 0x1000, v1
	v_add_co_ci_u32_e64 v2, s0, 0, v2, s0
	s_and_not1_b32 exec_lo, exec_lo, s13
	s_cbranch_execnz .LBB1601_517
.LBB1601_518:
	s_or_b32 exec_lo, exec_lo, s1
	s_and_b32 s0, s2, s28
	s_delay_alu instid0(SALU_CYCLE_1)
	s_and_saveexec_b32 s1, s0
	s_cbranch_execnz .LBB1601_497
.LBB1601_519:
	s_nop 0
	s_sendmsg sendmsg(MSG_DEALLOC_VGPRS)
	s_endpgm
	.section	.rodata,"a",@progbits
	.p2align	6, 0x0
	.amdhsa_kernel _ZN7rocprim17ROCPRIM_400000_NS6detail17trampoline_kernelINS0_14default_configENS1_25partition_config_selectorILNS1_17partition_subalgoE9EllbEEZZNS1_14partition_implILS5_9ELb0ES3_jPlS8_PNS0_10empty_typeENS0_5tupleIJS8_S9_EEENSB_IJS8_SA_EEENS0_18inequality_wrapperIZN2at6native12_GLOBAL__N_124unique_dim_cuda_templateIjEESt5tupleIJNSF_6TensorESK_SK_EERKSK_lbbbEUlllE0_EEPmJS9_EEE10hipError_tPvRmT3_T4_T5_T6_T7_T9_mT8_P12ihipStream_tbDpT10_ENKUlT_T0_E_clISt17integral_constantIbLb0EES19_IbLb1EEEEDaS15_S16_EUlS15_E_NS1_11comp_targetILNS1_3genE9ELNS1_11target_archE1100ELNS1_3gpuE3ELNS1_3repE0EEENS1_30default_config_static_selectorELNS0_4arch9wavefront6targetE0EEEvT1_
		.amdhsa_group_segment_fixed_size 33804
		.amdhsa_private_segment_fixed_size 0
		.amdhsa_kernarg_size 136
		.amdhsa_user_sgpr_count 15
		.amdhsa_user_sgpr_dispatch_ptr 0
		.amdhsa_user_sgpr_queue_ptr 0
		.amdhsa_user_sgpr_kernarg_segment_ptr 1
		.amdhsa_user_sgpr_dispatch_id 0
		.amdhsa_user_sgpr_private_segment_size 0
		.amdhsa_wavefront_size32 1
		.amdhsa_uses_dynamic_stack 0
		.amdhsa_enable_private_segment 0
		.amdhsa_system_sgpr_workgroup_id_x 1
		.amdhsa_system_sgpr_workgroup_id_y 0
		.amdhsa_system_sgpr_workgroup_id_z 0
		.amdhsa_system_sgpr_workgroup_info 0
		.amdhsa_system_vgpr_workitem_id 0
		.amdhsa_next_free_vgpr 68
		.amdhsa_next_free_sgpr 40
		.amdhsa_reserve_vcc 1
		.amdhsa_float_round_mode_32 0
		.amdhsa_float_round_mode_16_64 0
		.amdhsa_float_denorm_mode_32 3
		.amdhsa_float_denorm_mode_16_64 3
		.amdhsa_dx10_clamp 1
		.amdhsa_ieee_mode 1
		.amdhsa_fp16_overflow 0
		.amdhsa_workgroup_processor_mode 1
		.amdhsa_memory_ordered 1
		.amdhsa_forward_progress 0
		.amdhsa_shared_vgpr_count 0
		.amdhsa_exception_fp_ieee_invalid_op 0
		.amdhsa_exception_fp_denorm_src 0
		.amdhsa_exception_fp_ieee_div_zero 0
		.amdhsa_exception_fp_ieee_overflow 0
		.amdhsa_exception_fp_ieee_underflow 0
		.amdhsa_exception_fp_ieee_inexact 0
		.amdhsa_exception_int_div_zero 0
	.end_amdhsa_kernel
	.section	.text._ZN7rocprim17ROCPRIM_400000_NS6detail17trampoline_kernelINS0_14default_configENS1_25partition_config_selectorILNS1_17partition_subalgoE9EllbEEZZNS1_14partition_implILS5_9ELb0ES3_jPlS8_PNS0_10empty_typeENS0_5tupleIJS8_S9_EEENSB_IJS8_SA_EEENS0_18inequality_wrapperIZN2at6native12_GLOBAL__N_124unique_dim_cuda_templateIjEESt5tupleIJNSF_6TensorESK_SK_EERKSK_lbbbEUlllE0_EEPmJS9_EEE10hipError_tPvRmT3_T4_T5_T6_T7_T9_mT8_P12ihipStream_tbDpT10_ENKUlT_T0_E_clISt17integral_constantIbLb0EES19_IbLb1EEEEDaS15_S16_EUlS15_E_NS1_11comp_targetILNS1_3genE9ELNS1_11target_archE1100ELNS1_3gpuE3ELNS1_3repE0EEENS1_30default_config_static_selectorELNS0_4arch9wavefront6targetE0EEEvT1_,"axG",@progbits,_ZN7rocprim17ROCPRIM_400000_NS6detail17trampoline_kernelINS0_14default_configENS1_25partition_config_selectorILNS1_17partition_subalgoE9EllbEEZZNS1_14partition_implILS5_9ELb0ES3_jPlS8_PNS0_10empty_typeENS0_5tupleIJS8_S9_EEENSB_IJS8_SA_EEENS0_18inequality_wrapperIZN2at6native12_GLOBAL__N_124unique_dim_cuda_templateIjEESt5tupleIJNSF_6TensorESK_SK_EERKSK_lbbbEUlllE0_EEPmJS9_EEE10hipError_tPvRmT3_T4_T5_T6_T7_T9_mT8_P12ihipStream_tbDpT10_ENKUlT_T0_E_clISt17integral_constantIbLb0EES19_IbLb1EEEEDaS15_S16_EUlS15_E_NS1_11comp_targetILNS1_3genE9ELNS1_11target_archE1100ELNS1_3gpuE3ELNS1_3repE0EEENS1_30default_config_static_selectorELNS0_4arch9wavefront6targetE0EEEvT1_,comdat
.Lfunc_end1601:
	.size	_ZN7rocprim17ROCPRIM_400000_NS6detail17trampoline_kernelINS0_14default_configENS1_25partition_config_selectorILNS1_17partition_subalgoE9EllbEEZZNS1_14partition_implILS5_9ELb0ES3_jPlS8_PNS0_10empty_typeENS0_5tupleIJS8_S9_EEENSB_IJS8_SA_EEENS0_18inequality_wrapperIZN2at6native12_GLOBAL__N_124unique_dim_cuda_templateIjEESt5tupleIJNSF_6TensorESK_SK_EERKSK_lbbbEUlllE0_EEPmJS9_EEE10hipError_tPvRmT3_T4_T5_T6_T7_T9_mT8_P12ihipStream_tbDpT10_ENKUlT_T0_E_clISt17integral_constantIbLb0EES19_IbLb1EEEEDaS15_S16_EUlS15_E_NS1_11comp_targetILNS1_3genE9ELNS1_11target_archE1100ELNS1_3gpuE3ELNS1_3repE0EEENS1_30default_config_static_selectorELNS0_4arch9wavefront6targetE0EEEvT1_, .Lfunc_end1601-_ZN7rocprim17ROCPRIM_400000_NS6detail17trampoline_kernelINS0_14default_configENS1_25partition_config_selectorILNS1_17partition_subalgoE9EllbEEZZNS1_14partition_implILS5_9ELb0ES3_jPlS8_PNS0_10empty_typeENS0_5tupleIJS8_S9_EEENSB_IJS8_SA_EEENS0_18inequality_wrapperIZN2at6native12_GLOBAL__N_124unique_dim_cuda_templateIjEESt5tupleIJNSF_6TensorESK_SK_EERKSK_lbbbEUlllE0_EEPmJS9_EEE10hipError_tPvRmT3_T4_T5_T6_T7_T9_mT8_P12ihipStream_tbDpT10_ENKUlT_T0_E_clISt17integral_constantIbLb0EES19_IbLb1EEEEDaS15_S16_EUlS15_E_NS1_11comp_targetILNS1_3genE9ELNS1_11target_archE1100ELNS1_3gpuE3ELNS1_3repE0EEENS1_30default_config_static_selectorELNS0_4arch9wavefront6targetE0EEEvT1_
                                        ; -- End function
	.section	.AMDGPU.csdata,"",@progbits
; Kernel info:
; codeLenInByte = 20632
; NumSgprs: 42
; NumVgprs: 68
; ScratchSize: 0
; MemoryBound: 0
; FloatMode: 240
; IeeeMode: 1
; LDSByteSize: 33804 bytes/workgroup (compile time only)
; SGPRBlocks: 5
; VGPRBlocks: 8
; NumSGPRsForWavesPerEU: 42
; NumVGPRsForWavesPerEU: 68
; Occupancy: 12
; WaveLimiterHint : 1
; COMPUTE_PGM_RSRC2:SCRATCH_EN: 0
; COMPUTE_PGM_RSRC2:USER_SGPR: 15
; COMPUTE_PGM_RSRC2:TRAP_HANDLER: 0
; COMPUTE_PGM_RSRC2:TGID_X_EN: 1
; COMPUTE_PGM_RSRC2:TGID_Y_EN: 0
; COMPUTE_PGM_RSRC2:TGID_Z_EN: 0
; COMPUTE_PGM_RSRC2:TIDIG_COMP_CNT: 0
	.section	.text._ZN7rocprim17ROCPRIM_400000_NS6detail17trampoline_kernelINS0_14default_configENS1_25partition_config_selectorILNS1_17partition_subalgoE9EllbEEZZNS1_14partition_implILS5_9ELb0ES3_jPlS8_PNS0_10empty_typeENS0_5tupleIJS8_S9_EEENSB_IJS8_SA_EEENS0_18inequality_wrapperIZN2at6native12_GLOBAL__N_124unique_dim_cuda_templateIjEESt5tupleIJNSF_6TensorESK_SK_EERKSK_lbbbEUlllE0_EEPmJS9_EEE10hipError_tPvRmT3_T4_T5_T6_T7_T9_mT8_P12ihipStream_tbDpT10_ENKUlT_T0_E_clISt17integral_constantIbLb0EES19_IbLb1EEEEDaS15_S16_EUlS15_E_NS1_11comp_targetILNS1_3genE8ELNS1_11target_archE1030ELNS1_3gpuE2ELNS1_3repE0EEENS1_30default_config_static_selectorELNS0_4arch9wavefront6targetE0EEEvT1_,"axG",@progbits,_ZN7rocprim17ROCPRIM_400000_NS6detail17trampoline_kernelINS0_14default_configENS1_25partition_config_selectorILNS1_17partition_subalgoE9EllbEEZZNS1_14partition_implILS5_9ELb0ES3_jPlS8_PNS0_10empty_typeENS0_5tupleIJS8_S9_EEENSB_IJS8_SA_EEENS0_18inequality_wrapperIZN2at6native12_GLOBAL__N_124unique_dim_cuda_templateIjEESt5tupleIJNSF_6TensorESK_SK_EERKSK_lbbbEUlllE0_EEPmJS9_EEE10hipError_tPvRmT3_T4_T5_T6_T7_T9_mT8_P12ihipStream_tbDpT10_ENKUlT_T0_E_clISt17integral_constantIbLb0EES19_IbLb1EEEEDaS15_S16_EUlS15_E_NS1_11comp_targetILNS1_3genE8ELNS1_11target_archE1030ELNS1_3gpuE2ELNS1_3repE0EEENS1_30default_config_static_selectorELNS0_4arch9wavefront6targetE0EEEvT1_,comdat
	.globl	_ZN7rocprim17ROCPRIM_400000_NS6detail17trampoline_kernelINS0_14default_configENS1_25partition_config_selectorILNS1_17partition_subalgoE9EllbEEZZNS1_14partition_implILS5_9ELb0ES3_jPlS8_PNS0_10empty_typeENS0_5tupleIJS8_S9_EEENSB_IJS8_SA_EEENS0_18inequality_wrapperIZN2at6native12_GLOBAL__N_124unique_dim_cuda_templateIjEESt5tupleIJNSF_6TensorESK_SK_EERKSK_lbbbEUlllE0_EEPmJS9_EEE10hipError_tPvRmT3_T4_T5_T6_T7_T9_mT8_P12ihipStream_tbDpT10_ENKUlT_T0_E_clISt17integral_constantIbLb0EES19_IbLb1EEEEDaS15_S16_EUlS15_E_NS1_11comp_targetILNS1_3genE8ELNS1_11target_archE1030ELNS1_3gpuE2ELNS1_3repE0EEENS1_30default_config_static_selectorELNS0_4arch9wavefront6targetE0EEEvT1_ ; -- Begin function _ZN7rocprim17ROCPRIM_400000_NS6detail17trampoline_kernelINS0_14default_configENS1_25partition_config_selectorILNS1_17partition_subalgoE9EllbEEZZNS1_14partition_implILS5_9ELb0ES3_jPlS8_PNS0_10empty_typeENS0_5tupleIJS8_S9_EEENSB_IJS8_SA_EEENS0_18inequality_wrapperIZN2at6native12_GLOBAL__N_124unique_dim_cuda_templateIjEESt5tupleIJNSF_6TensorESK_SK_EERKSK_lbbbEUlllE0_EEPmJS9_EEE10hipError_tPvRmT3_T4_T5_T6_T7_T9_mT8_P12ihipStream_tbDpT10_ENKUlT_T0_E_clISt17integral_constantIbLb0EES19_IbLb1EEEEDaS15_S16_EUlS15_E_NS1_11comp_targetILNS1_3genE8ELNS1_11target_archE1030ELNS1_3gpuE2ELNS1_3repE0EEENS1_30default_config_static_selectorELNS0_4arch9wavefront6targetE0EEEvT1_
	.p2align	8
	.type	_ZN7rocprim17ROCPRIM_400000_NS6detail17trampoline_kernelINS0_14default_configENS1_25partition_config_selectorILNS1_17partition_subalgoE9EllbEEZZNS1_14partition_implILS5_9ELb0ES3_jPlS8_PNS0_10empty_typeENS0_5tupleIJS8_S9_EEENSB_IJS8_SA_EEENS0_18inequality_wrapperIZN2at6native12_GLOBAL__N_124unique_dim_cuda_templateIjEESt5tupleIJNSF_6TensorESK_SK_EERKSK_lbbbEUlllE0_EEPmJS9_EEE10hipError_tPvRmT3_T4_T5_T6_T7_T9_mT8_P12ihipStream_tbDpT10_ENKUlT_T0_E_clISt17integral_constantIbLb0EES19_IbLb1EEEEDaS15_S16_EUlS15_E_NS1_11comp_targetILNS1_3genE8ELNS1_11target_archE1030ELNS1_3gpuE2ELNS1_3repE0EEENS1_30default_config_static_selectorELNS0_4arch9wavefront6targetE0EEEvT1_,@function
_ZN7rocprim17ROCPRIM_400000_NS6detail17trampoline_kernelINS0_14default_configENS1_25partition_config_selectorILNS1_17partition_subalgoE9EllbEEZZNS1_14partition_implILS5_9ELb0ES3_jPlS8_PNS0_10empty_typeENS0_5tupleIJS8_S9_EEENSB_IJS8_SA_EEENS0_18inequality_wrapperIZN2at6native12_GLOBAL__N_124unique_dim_cuda_templateIjEESt5tupleIJNSF_6TensorESK_SK_EERKSK_lbbbEUlllE0_EEPmJS9_EEE10hipError_tPvRmT3_T4_T5_T6_T7_T9_mT8_P12ihipStream_tbDpT10_ENKUlT_T0_E_clISt17integral_constantIbLb0EES19_IbLb1EEEEDaS15_S16_EUlS15_E_NS1_11comp_targetILNS1_3genE8ELNS1_11target_archE1030ELNS1_3gpuE2ELNS1_3repE0EEENS1_30default_config_static_selectorELNS0_4arch9wavefront6targetE0EEEvT1_: ; @_ZN7rocprim17ROCPRIM_400000_NS6detail17trampoline_kernelINS0_14default_configENS1_25partition_config_selectorILNS1_17partition_subalgoE9EllbEEZZNS1_14partition_implILS5_9ELb0ES3_jPlS8_PNS0_10empty_typeENS0_5tupleIJS8_S9_EEENSB_IJS8_SA_EEENS0_18inequality_wrapperIZN2at6native12_GLOBAL__N_124unique_dim_cuda_templateIjEESt5tupleIJNSF_6TensorESK_SK_EERKSK_lbbbEUlllE0_EEPmJS9_EEE10hipError_tPvRmT3_T4_T5_T6_T7_T9_mT8_P12ihipStream_tbDpT10_ENKUlT_T0_E_clISt17integral_constantIbLb0EES19_IbLb1EEEEDaS15_S16_EUlS15_E_NS1_11comp_targetILNS1_3genE8ELNS1_11target_archE1030ELNS1_3gpuE2ELNS1_3repE0EEENS1_30default_config_static_selectorELNS0_4arch9wavefront6targetE0EEEvT1_
; %bb.0:
	.section	.rodata,"a",@progbits
	.p2align	6, 0x0
	.amdhsa_kernel _ZN7rocprim17ROCPRIM_400000_NS6detail17trampoline_kernelINS0_14default_configENS1_25partition_config_selectorILNS1_17partition_subalgoE9EllbEEZZNS1_14partition_implILS5_9ELb0ES3_jPlS8_PNS0_10empty_typeENS0_5tupleIJS8_S9_EEENSB_IJS8_SA_EEENS0_18inequality_wrapperIZN2at6native12_GLOBAL__N_124unique_dim_cuda_templateIjEESt5tupleIJNSF_6TensorESK_SK_EERKSK_lbbbEUlllE0_EEPmJS9_EEE10hipError_tPvRmT3_T4_T5_T6_T7_T9_mT8_P12ihipStream_tbDpT10_ENKUlT_T0_E_clISt17integral_constantIbLb0EES19_IbLb1EEEEDaS15_S16_EUlS15_E_NS1_11comp_targetILNS1_3genE8ELNS1_11target_archE1030ELNS1_3gpuE2ELNS1_3repE0EEENS1_30default_config_static_selectorELNS0_4arch9wavefront6targetE0EEEvT1_
		.amdhsa_group_segment_fixed_size 0
		.amdhsa_private_segment_fixed_size 0
		.amdhsa_kernarg_size 136
		.amdhsa_user_sgpr_count 15
		.amdhsa_user_sgpr_dispatch_ptr 0
		.amdhsa_user_sgpr_queue_ptr 0
		.amdhsa_user_sgpr_kernarg_segment_ptr 1
		.amdhsa_user_sgpr_dispatch_id 0
		.amdhsa_user_sgpr_private_segment_size 0
		.amdhsa_wavefront_size32 1
		.amdhsa_uses_dynamic_stack 0
		.amdhsa_enable_private_segment 0
		.amdhsa_system_sgpr_workgroup_id_x 1
		.amdhsa_system_sgpr_workgroup_id_y 0
		.amdhsa_system_sgpr_workgroup_id_z 0
		.amdhsa_system_sgpr_workgroup_info 0
		.amdhsa_system_vgpr_workitem_id 0
		.amdhsa_next_free_vgpr 1
		.amdhsa_next_free_sgpr 1
		.amdhsa_reserve_vcc 0
		.amdhsa_float_round_mode_32 0
		.amdhsa_float_round_mode_16_64 0
		.amdhsa_float_denorm_mode_32 3
		.amdhsa_float_denorm_mode_16_64 3
		.amdhsa_dx10_clamp 1
		.amdhsa_ieee_mode 1
		.amdhsa_fp16_overflow 0
		.amdhsa_workgroup_processor_mode 1
		.amdhsa_memory_ordered 1
		.amdhsa_forward_progress 0
		.amdhsa_shared_vgpr_count 0
		.amdhsa_exception_fp_ieee_invalid_op 0
		.amdhsa_exception_fp_denorm_src 0
		.amdhsa_exception_fp_ieee_div_zero 0
		.amdhsa_exception_fp_ieee_overflow 0
		.amdhsa_exception_fp_ieee_underflow 0
		.amdhsa_exception_fp_ieee_inexact 0
		.amdhsa_exception_int_div_zero 0
	.end_amdhsa_kernel
	.section	.text._ZN7rocprim17ROCPRIM_400000_NS6detail17trampoline_kernelINS0_14default_configENS1_25partition_config_selectorILNS1_17partition_subalgoE9EllbEEZZNS1_14partition_implILS5_9ELb0ES3_jPlS8_PNS0_10empty_typeENS0_5tupleIJS8_S9_EEENSB_IJS8_SA_EEENS0_18inequality_wrapperIZN2at6native12_GLOBAL__N_124unique_dim_cuda_templateIjEESt5tupleIJNSF_6TensorESK_SK_EERKSK_lbbbEUlllE0_EEPmJS9_EEE10hipError_tPvRmT3_T4_T5_T6_T7_T9_mT8_P12ihipStream_tbDpT10_ENKUlT_T0_E_clISt17integral_constantIbLb0EES19_IbLb1EEEEDaS15_S16_EUlS15_E_NS1_11comp_targetILNS1_3genE8ELNS1_11target_archE1030ELNS1_3gpuE2ELNS1_3repE0EEENS1_30default_config_static_selectorELNS0_4arch9wavefront6targetE0EEEvT1_,"axG",@progbits,_ZN7rocprim17ROCPRIM_400000_NS6detail17trampoline_kernelINS0_14default_configENS1_25partition_config_selectorILNS1_17partition_subalgoE9EllbEEZZNS1_14partition_implILS5_9ELb0ES3_jPlS8_PNS0_10empty_typeENS0_5tupleIJS8_S9_EEENSB_IJS8_SA_EEENS0_18inequality_wrapperIZN2at6native12_GLOBAL__N_124unique_dim_cuda_templateIjEESt5tupleIJNSF_6TensorESK_SK_EERKSK_lbbbEUlllE0_EEPmJS9_EEE10hipError_tPvRmT3_T4_T5_T6_T7_T9_mT8_P12ihipStream_tbDpT10_ENKUlT_T0_E_clISt17integral_constantIbLb0EES19_IbLb1EEEEDaS15_S16_EUlS15_E_NS1_11comp_targetILNS1_3genE8ELNS1_11target_archE1030ELNS1_3gpuE2ELNS1_3repE0EEENS1_30default_config_static_selectorELNS0_4arch9wavefront6targetE0EEEvT1_,comdat
.Lfunc_end1602:
	.size	_ZN7rocprim17ROCPRIM_400000_NS6detail17trampoline_kernelINS0_14default_configENS1_25partition_config_selectorILNS1_17partition_subalgoE9EllbEEZZNS1_14partition_implILS5_9ELb0ES3_jPlS8_PNS0_10empty_typeENS0_5tupleIJS8_S9_EEENSB_IJS8_SA_EEENS0_18inequality_wrapperIZN2at6native12_GLOBAL__N_124unique_dim_cuda_templateIjEESt5tupleIJNSF_6TensorESK_SK_EERKSK_lbbbEUlllE0_EEPmJS9_EEE10hipError_tPvRmT3_T4_T5_T6_T7_T9_mT8_P12ihipStream_tbDpT10_ENKUlT_T0_E_clISt17integral_constantIbLb0EES19_IbLb1EEEEDaS15_S16_EUlS15_E_NS1_11comp_targetILNS1_3genE8ELNS1_11target_archE1030ELNS1_3gpuE2ELNS1_3repE0EEENS1_30default_config_static_selectorELNS0_4arch9wavefront6targetE0EEEvT1_, .Lfunc_end1602-_ZN7rocprim17ROCPRIM_400000_NS6detail17trampoline_kernelINS0_14default_configENS1_25partition_config_selectorILNS1_17partition_subalgoE9EllbEEZZNS1_14partition_implILS5_9ELb0ES3_jPlS8_PNS0_10empty_typeENS0_5tupleIJS8_S9_EEENSB_IJS8_SA_EEENS0_18inequality_wrapperIZN2at6native12_GLOBAL__N_124unique_dim_cuda_templateIjEESt5tupleIJNSF_6TensorESK_SK_EERKSK_lbbbEUlllE0_EEPmJS9_EEE10hipError_tPvRmT3_T4_T5_T6_T7_T9_mT8_P12ihipStream_tbDpT10_ENKUlT_T0_E_clISt17integral_constantIbLb0EES19_IbLb1EEEEDaS15_S16_EUlS15_E_NS1_11comp_targetILNS1_3genE8ELNS1_11target_archE1030ELNS1_3gpuE2ELNS1_3repE0EEENS1_30default_config_static_selectorELNS0_4arch9wavefront6targetE0EEEvT1_
                                        ; -- End function
	.section	.AMDGPU.csdata,"",@progbits
; Kernel info:
; codeLenInByte = 0
; NumSgprs: 0
; NumVgprs: 0
; ScratchSize: 0
; MemoryBound: 0
; FloatMode: 240
; IeeeMode: 1
; LDSByteSize: 0 bytes/workgroup (compile time only)
; SGPRBlocks: 0
; VGPRBlocks: 0
; NumSGPRsForWavesPerEU: 1
; NumVGPRsForWavesPerEU: 1
; Occupancy: 16
; WaveLimiterHint : 0
; COMPUTE_PGM_RSRC2:SCRATCH_EN: 0
; COMPUTE_PGM_RSRC2:USER_SGPR: 15
; COMPUTE_PGM_RSRC2:TRAP_HANDLER: 0
; COMPUTE_PGM_RSRC2:TGID_X_EN: 1
; COMPUTE_PGM_RSRC2:TGID_Y_EN: 0
; COMPUTE_PGM_RSRC2:TGID_Z_EN: 0
; COMPUTE_PGM_RSRC2:TIDIG_COMP_CNT: 0
	.section	.text._ZN7rocprim17ROCPRIM_400000_NS6detail17trampoline_kernelINS0_14default_configENS1_37merge_sort_block_sort_config_selectorIlNS0_10empty_typeEEEZNS1_21merge_sort_block_sortIS3_PlS8_PS5_S9_ZN2at6native12_GLOBAL__N_124unique_dim_cuda_templateImEESt5tupleIJNSA_6TensorESF_SF_EERKSF_lbbbEUlllE_EE10hipError_tT0_T1_T2_T3_mRjT4_P12ihipStream_tbNS1_7vsmem_tEEUlT_E_NS1_11comp_targetILNS1_3genE0ELNS1_11target_archE4294967295ELNS1_3gpuE0ELNS1_3repE0EEENS1_30default_config_static_selectorELNS0_4arch9wavefront6targetE0EEEvSM_,"axG",@progbits,_ZN7rocprim17ROCPRIM_400000_NS6detail17trampoline_kernelINS0_14default_configENS1_37merge_sort_block_sort_config_selectorIlNS0_10empty_typeEEEZNS1_21merge_sort_block_sortIS3_PlS8_PS5_S9_ZN2at6native12_GLOBAL__N_124unique_dim_cuda_templateImEESt5tupleIJNSA_6TensorESF_SF_EERKSF_lbbbEUlllE_EE10hipError_tT0_T1_T2_T3_mRjT4_P12ihipStream_tbNS1_7vsmem_tEEUlT_E_NS1_11comp_targetILNS1_3genE0ELNS1_11target_archE4294967295ELNS1_3gpuE0ELNS1_3repE0EEENS1_30default_config_static_selectorELNS0_4arch9wavefront6targetE0EEEvSM_,comdat
	.globl	_ZN7rocprim17ROCPRIM_400000_NS6detail17trampoline_kernelINS0_14default_configENS1_37merge_sort_block_sort_config_selectorIlNS0_10empty_typeEEEZNS1_21merge_sort_block_sortIS3_PlS8_PS5_S9_ZN2at6native12_GLOBAL__N_124unique_dim_cuda_templateImEESt5tupleIJNSA_6TensorESF_SF_EERKSF_lbbbEUlllE_EE10hipError_tT0_T1_T2_T3_mRjT4_P12ihipStream_tbNS1_7vsmem_tEEUlT_E_NS1_11comp_targetILNS1_3genE0ELNS1_11target_archE4294967295ELNS1_3gpuE0ELNS1_3repE0EEENS1_30default_config_static_selectorELNS0_4arch9wavefront6targetE0EEEvSM_ ; -- Begin function _ZN7rocprim17ROCPRIM_400000_NS6detail17trampoline_kernelINS0_14default_configENS1_37merge_sort_block_sort_config_selectorIlNS0_10empty_typeEEEZNS1_21merge_sort_block_sortIS3_PlS8_PS5_S9_ZN2at6native12_GLOBAL__N_124unique_dim_cuda_templateImEESt5tupleIJNSA_6TensorESF_SF_EERKSF_lbbbEUlllE_EE10hipError_tT0_T1_T2_T3_mRjT4_P12ihipStream_tbNS1_7vsmem_tEEUlT_E_NS1_11comp_targetILNS1_3genE0ELNS1_11target_archE4294967295ELNS1_3gpuE0ELNS1_3repE0EEENS1_30default_config_static_selectorELNS0_4arch9wavefront6targetE0EEEvSM_
	.p2align	8
	.type	_ZN7rocprim17ROCPRIM_400000_NS6detail17trampoline_kernelINS0_14default_configENS1_37merge_sort_block_sort_config_selectorIlNS0_10empty_typeEEEZNS1_21merge_sort_block_sortIS3_PlS8_PS5_S9_ZN2at6native12_GLOBAL__N_124unique_dim_cuda_templateImEESt5tupleIJNSA_6TensorESF_SF_EERKSF_lbbbEUlllE_EE10hipError_tT0_T1_T2_T3_mRjT4_P12ihipStream_tbNS1_7vsmem_tEEUlT_E_NS1_11comp_targetILNS1_3genE0ELNS1_11target_archE4294967295ELNS1_3gpuE0ELNS1_3repE0EEENS1_30default_config_static_selectorELNS0_4arch9wavefront6targetE0EEEvSM_,@function
_ZN7rocprim17ROCPRIM_400000_NS6detail17trampoline_kernelINS0_14default_configENS1_37merge_sort_block_sort_config_selectorIlNS0_10empty_typeEEEZNS1_21merge_sort_block_sortIS3_PlS8_PS5_S9_ZN2at6native12_GLOBAL__N_124unique_dim_cuda_templateImEESt5tupleIJNSA_6TensorESF_SF_EERKSF_lbbbEUlllE_EE10hipError_tT0_T1_T2_T3_mRjT4_P12ihipStream_tbNS1_7vsmem_tEEUlT_E_NS1_11comp_targetILNS1_3genE0ELNS1_11target_archE4294967295ELNS1_3gpuE0ELNS1_3repE0EEENS1_30default_config_static_selectorELNS0_4arch9wavefront6targetE0EEEvSM_: ; @_ZN7rocprim17ROCPRIM_400000_NS6detail17trampoline_kernelINS0_14default_configENS1_37merge_sort_block_sort_config_selectorIlNS0_10empty_typeEEEZNS1_21merge_sort_block_sortIS3_PlS8_PS5_S9_ZN2at6native12_GLOBAL__N_124unique_dim_cuda_templateImEESt5tupleIJNSA_6TensorESF_SF_EERKSF_lbbbEUlllE_EE10hipError_tT0_T1_T2_T3_mRjT4_P12ihipStream_tbNS1_7vsmem_tEEUlT_E_NS1_11comp_targetILNS1_3genE0ELNS1_11target_archE4294967295ELNS1_3gpuE0ELNS1_3repE0EEENS1_30default_config_static_selectorELNS0_4arch9wavefront6targetE0EEEvSM_
; %bb.0:
	.section	.rodata,"a",@progbits
	.p2align	6, 0x0
	.amdhsa_kernel _ZN7rocprim17ROCPRIM_400000_NS6detail17trampoline_kernelINS0_14default_configENS1_37merge_sort_block_sort_config_selectorIlNS0_10empty_typeEEEZNS1_21merge_sort_block_sortIS3_PlS8_PS5_S9_ZN2at6native12_GLOBAL__N_124unique_dim_cuda_templateImEESt5tupleIJNSA_6TensorESF_SF_EERKSF_lbbbEUlllE_EE10hipError_tT0_T1_T2_T3_mRjT4_P12ihipStream_tbNS1_7vsmem_tEEUlT_E_NS1_11comp_targetILNS1_3genE0ELNS1_11target_archE4294967295ELNS1_3gpuE0ELNS1_3repE0EEENS1_30default_config_static_selectorELNS0_4arch9wavefront6targetE0EEEvSM_
		.amdhsa_group_segment_fixed_size 0
		.amdhsa_private_segment_fixed_size 0
		.amdhsa_kernarg_size 72
		.amdhsa_user_sgpr_count 15
		.amdhsa_user_sgpr_dispatch_ptr 0
		.amdhsa_user_sgpr_queue_ptr 0
		.amdhsa_user_sgpr_kernarg_segment_ptr 1
		.amdhsa_user_sgpr_dispatch_id 0
		.amdhsa_user_sgpr_private_segment_size 0
		.amdhsa_wavefront_size32 1
		.amdhsa_uses_dynamic_stack 0
		.amdhsa_enable_private_segment 0
		.amdhsa_system_sgpr_workgroup_id_x 1
		.amdhsa_system_sgpr_workgroup_id_y 0
		.amdhsa_system_sgpr_workgroup_id_z 0
		.amdhsa_system_sgpr_workgroup_info 0
		.amdhsa_system_vgpr_workitem_id 0
		.amdhsa_next_free_vgpr 1
		.amdhsa_next_free_sgpr 1
		.amdhsa_reserve_vcc 0
		.amdhsa_float_round_mode_32 0
		.amdhsa_float_round_mode_16_64 0
		.amdhsa_float_denorm_mode_32 3
		.amdhsa_float_denorm_mode_16_64 3
		.amdhsa_dx10_clamp 1
		.amdhsa_ieee_mode 1
		.amdhsa_fp16_overflow 0
		.amdhsa_workgroup_processor_mode 1
		.amdhsa_memory_ordered 1
		.amdhsa_forward_progress 0
		.amdhsa_shared_vgpr_count 0
		.amdhsa_exception_fp_ieee_invalid_op 0
		.amdhsa_exception_fp_denorm_src 0
		.amdhsa_exception_fp_ieee_div_zero 0
		.amdhsa_exception_fp_ieee_overflow 0
		.amdhsa_exception_fp_ieee_underflow 0
		.amdhsa_exception_fp_ieee_inexact 0
		.amdhsa_exception_int_div_zero 0
	.end_amdhsa_kernel
	.section	.text._ZN7rocprim17ROCPRIM_400000_NS6detail17trampoline_kernelINS0_14default_configENS1_37merge_sort_block_sort_config_selectorIlNS0_10empty_typeEEEZNS1_21merge_sort_block_sortIS3_PlS8_PS5_S9_ZN2at6native12_GLOBAL__N_124unique_dim_cuda_templateImEESt5tupleIJNSA_6TensorESF_SF_EERKSF_lbbbEUlllE_EE10hipError_tT0_T1_T2_T3_mRjT4_P12ihipStream_tbNS1_7vsmem_tEEUlT_E_NS1_11comp_targetILNS1_3genE0ELNS1_11target_archE4294967295ELNS1_3gpuE0ELNS1_3repE0EEENS1_30default_config_static_selectorELNS0_4arch9wavefront6targetE0EEEvSM_,"axG",@progbits,_ZN7rocprim17ROCPRIM_400000_NS6detail17trampoline_kernelINS0_14default_configENS1_37merge_sort_block_sort_config_selectorIlNS0_10empty_typeEEEZNS1_21merge_sort_block_sortIS3_PlS8_PS5_S9_ZN2at6native12_GLOBAL__N_124unique_dim_cuda_templateImEESt5tupleIJNSA_6TensorESF_SF_EERKSF_lbbbEUlllE_EE10hipError_tT0_T1_T2_T3_mRjT4_P12ihipStream_tbNS1_7vsmem_tEEUlT_E_NS1_11comp_targetILNS1_3genE0ELNS1_11target_archE4294967295ELNS1_3gpuE0ELNS1_3repE0EEENS1_30default_config_static_selectorELNS0_4arch9wavefront6targetE0EEEvSM_,comdat
.Lfunc_end1603:
	.size	_ZN7rocprim17ROCPRIM_400000_NS6detail17trampoline_kernelINS0_14default_configENS1_37merge_sort_block_sort_config_selectorIlNS0_10empty_typeEEEZNS1_21merge_sort_block_sortIS3_PlS8_PS5_S9_ZN2at6native12_GLOBAL__N_124unique_dim_cuda_templateImEESt5tupleIJNSA_6TensorESF_SF_EERKSF_lbbbEUlllE_EE10hipError_tT0_T1_T2_T3_mRjT4_P12ihipStream_tbNS1_7vsmem_tEEUlT_E_NS1_11comp_targetILNS1_3genE0ELNS1_11target_archE4294967295ELNS1_3gpuE0ELNS1_3repE0EEENS1_30default_config_static_selectorELNS0_4arch9wavefront6targetE0EEEvSM_, .Lfunc_end1603-_ZN7rocprim17ROCPRIM_400000_NS6detail17trampoline_kernelINS0_14default_configENS1_37merge_sort_block_sort_config_selectorIlNS0_10empty_typeEEEZNS1_21merge_sort_block_sortIS3_PlS8_PS5_S9_ZN2at6native12_GLOBAL__N_124unique_dim_cuda_templateImEESt5tupleIJNSA_6TensorESF_SF_EERKSF_lbbbEUlllE_EE10hipError_tT0_T1_T2_T3_mRjT4_P12ihipStream_tbNS1_7vsmem_tEEUlT_E_NS1_11comp_targetILNS1_3genE0ELNS1_11target_archE4294967295ELNS1_3gpuE0ELNS1_3repE0EEENS1_30default_config_static_selectorELNS0_4arch9wavefront6targetE0EEEvSM_
                                        ; -- End function
	.section	.AMDGPU.csdata,"",@progbits
; Kernel info:
; codeLenInByte = 0
; NumSgprs: 0
; NumVgprs: 0
; ScratchSize: 0
; MemoryBound: 0
; FloatMode: 240
; IeeeMode: 1
; LDSByteSize: 0 bytes/workgroup (compile time only)
; SGPRBlocks: 0
; VGPRBlocks: 0
; NumSGPRsForWavesPerEU: 1
; NumVGPRsForWavesPerEU: 1
; Occupancy: 16
; WaveLimiterHint : 0
; COMPUTE_PGM_RSRC2:SCRATCH_EN: 0
; COMPUTE_PGM_RSRC2:USER_SGPR: 15
; COMPUTE_PGM_RSRC2:TRAP_HANDLER: 0
; COMPUTE_PGM_RSRC2:TGID_X_EN: 1
; COMPUTE_PGM_RSRC2:TGID_Y_EN: 0
; COMPUTE_PGM_RSRC2:TGID_Z_EN: 0
; COMPUTE_PGM_RSRC2:TIDIG_COMP_CNT: 0
	.section	.text._ZN7rocprim17ROCPRIM_400000_NS6detail17trampoline_kernelINS0_14default_configENS1_37merge_sort_block_sort_config_selectorIlNS0_10empty_typeEEEZNS1_21merge_sort_block_sortIS3_PlS8_PS5_S9_ZN2at6native12_GLOBAL__N_124unique_dim_cuda_templateImEESt5tupleIJNSA_6TensorESF_SF_EERKSF_lbbbEUlllE_EE10hipError_tT0_T1_T2_T3_mRjT4_P12ihipStream_tbNS1_7vsmem_tEEUlT_E_NS1_11comp_targetILNS1_3genE5ELNS1_11target_archE942ELNS1_3gpuE9ELNS1_3repE0EEENS1_30default_config_static_selectorELNS0_4arch9wavefront6targetE0EEEvSM_,"axG",@progbits,_ZN7rocprim17ROCPRIM_400000_NS6detail17trampoline_kernelINS0_14default_configENS1_37merge_sort_block_sort_config_selectorIlNS0_10empty_typeEEEZNS1_21merge_sort_block_sortIS3_PlS8_PS5_S9_ZN2at6native12_GLOBAL__N_124unique_dim_cuda_templateImEESt5tupleIJNSA_6TensorESF_SF_EERKSF_lbbbEUlllE_EE10hipError_tT0_T1_T2_T3_mRjT4_P12ihipStream_tbNS1_7vsmem_tEEUlT_E_NS1_11comp_targetILNS1_3genE5ELNS1_11target_archE942ELNS1_3gpuE9ELNS1_3repE0EEENS1_30default_config_static_selectorELNS0_4arch9wavefront6targetE0EEEvSM_,comdat
	.globl	_ZN7rocprim17ROCPRIM_400000_NS6detail17trampoline_kernelINS0_14default_configENS1_37merge_sort_block_sort_config_selectorIlNS0_10empty_typeEEEZNS1_21merge_sort_block_sortIS3_PlS8_PS5_S9_ZN2at6native12_GLOBAL__N_124unique_dim_cuda_templateImEESt5tupleIJNSA_6TensorESF_SF_EERKSF_lbbbEUlllE_EE10hipError_tT0_T1_T2_T3_mRjT4_P12ihipStream_tbNS1_7vsmem_tEEUlT_E_NS1_11comp_targetILNS1_3genE5ELNS1_11target_archE942ELNS1_3gpuE9ELNS1_3repE0EEENS1_30default_config_static_selectorELNS0_4arch9wavefront6targetE0EEEvSM_ ; -- Begin function _ZN7rocprim17ROCPRIM_400000_NS6detail17trampoline_kernelINS0_14default_configENS1_37merge_sort_block_sort_config_selectorIlNS0_10empty_typeEEEZNS1_21merge_sort_block_sortIS3_PlS8_PS5_S9_ZN2at6native12_GLOBAL__N_124unique_dim_cuda_templateImEESt5tupleIJNSA_6TensorESF_SF_EERKSF_lbbbEUlllE_EE10hipError_tT0_T1_T2_T3_mRjT4_P12ihipStream_tbNS1_7vsmem_tEEUlT_E_NS1_11comp_targetILNS1_3genE5ELNS1_11target_archE942ELNS1_3gpuE9ELNS1_3repE0EEENS1_30default_config_static_selectorELNS0_4arch9wavefront6targetE0EEEvSM_
	.p2align	8
	.type	_ZN7rocprim17ROCPRIM_400000_NS6detail17trampoline_kernelINS0_14default_configENS1_37merge_sort_block_sort_config_selectorIlNS0_10empty_typeEEEZNS1_21merge_sort_block_sortIS3_PlS8_PS5_S9_ZN2at6native12_GLOBAL__N_124unique_dim_cuda_templateImEESt5tupleIJNSA_6TensorESF_SF_EERKSF_lbbbEUlllE_EE10hipError_tT0_T1_T2_T3_mRjT4_P12ihipStream_tbNS1_7vsmem_tEEUlT_E_NS1_11comp_targetILNS1_3genE5ELNS1_11target_archE942ELNS1_3gpuE9ELNS1_3repE0EEENS1_30default_config_static_selectorELNS0_4arch9wavefront6targetE0EEEvSM_,@function
_ZN7rocprim17ROCPRIM_400000_NS6detail17trampoline_kernelINS0_14default_configENS1_37merge_sort_block_sort_config_selectorIlNS0_10empty_typeEEEZNS1_21merge_sort_block_sortIS3_PlS8_PS5_S9_ZN2at6native12_GLOBAL__N_124unique_dim_cuda_templateImEESt5tupleIJNSA_6TensorESF_SF_EERKSF_lbbbEUlllE_EE10hipError_tT0_T1_T2_T3_mRjT4_P12ihipStream_tbNS1_7vsmem_tEEUlT_E_NS1_11comp_targetILNS1_3genE5ELNS1_11target_archE942ELNS1_3gpuE9ELNS1_3repE0EEENS1_30default_config_static_selectorELNS0_4arch9wavefront6targetE0EEEvSM_: ; @_ZN7rocprim17ROCPRIM_400000_NS6detail17trampoline_kernelINS0_14default_configENS1_37merge_sort_block_sort_config_selectorIlNS0_10empty_typeEEEZNS1_21merge_sort_block_sortIS3_PlS8_PS5_S9_ZN2at6native12_GLOBAL__N_124unique_dim_cuda_templateImEESt5tupleIJNSA_6TensorESF_SF_EERKSF_lbbbEUlllE_EE10hipError_tT0_T1_T2_T3_mRjT4_P12ihipStream_tbNS1_7vsmem_tEEUlT_E_NS1_11comp_targetILNS1_3genE5ELNS1_11target_archE942ELNS1_3gpuE9ELNS1_3repE0EEENS1_30default_config_static_selectorELNS0_4arch9wavefront6targetE0EEEvSM_
; %bb.0:
	.section	.rodata,"a",@progbits
	.p2align	6, 0x0
	.amdhsa_kernel _ZN7rocprim17ROCPRIM_400000_NS6detail17trampoline_kernelINS0_14default_configENS1_37merge_sort_block_sort_config_selectorIlNS0_10empty_typeEEEZNS1_21merge_sort_block_sortIS3_PlS8_PS5_S9_ZN2at6native12_GLOBAL__N_124unique_dim_cuda_templateImEESt5tupleIJNSA_6TensorESF_SF_EERKSF_lbbbEUlllE_EE10hipError_tT0_T1_T2_T3_mRjT4_P12ihipStream_tbNS1_7vsmem_tEEUlT_E_NS1_11comp_targetILNS1_3genE5ELNS1_11target_archE942ELNS1_3gpuE9ELNS1_3repE0EEENS1_30default_config_static_selectorELNS0_4arch9wavefront6targetE0EEEvSM_
		.amdhsa_group_segment_fixed_size 0
		.amdhsa_private_segment_fixed_size 0
		.amdhsa_kernarg_size 72
		.amdhsa_user_sgpr_count 15
		.amdhsa_user_sgpr_dispatch_ptr 0
		.amdhsa_user_sgpr_queue_ptr 0
		.amdhsa_user_sgpr_kernarg_segment_ptr 1
		.amdhsa_user_sgpr_dispatch_id 0
		.amdhsa_user_sgpr_private_segment_size 0
		.amdhsa_wavefront_size32 1
		.amdhsa_uses_dynamic_stack 0
		.amdhsa_enable_private_segment 0
		.amdhsa_system_sgpr_workgroup_id_x 1
		.amdhsa_system_sgpr_workgroup_id_y 0
		.amdhsa_system_sgpr_workgroup_id_z 0
		.amdhsa_system_sgpr_workgroup_info 0
		.amdhsa_system_vgpr_workitem_id 0
		.amdhsa_next_free_vgpr 1
		.amdhsa_next_free_sgpr 1
		.amdhsa_reserve_vcc 0
		.amdhsa_float_round_mode_32 0
		.amdhsa_float_round_mode_16_64 0
		.amdhsa_float_denorm_mode_32 3
		.amdhsa_float_denorm_mode_16_64 3
		.amdhsa_dx10_clamp 1
		.amdhsa_ieee_mode 1
		.amdhsa_fp16_overflow 0
		.amdhsa_workgroup_processor_mode 1
		.amdhsa_memory_ordered 1
		.amdhsa_forward_progress 0
		.amdhsa_shared_vgpr_count 0
		.amdhsa_exception_fp_ieee_invalid_op 0
		.amdhsa_exception_fp_denorm_src 0
		.amdhsa_exception_fp_ieee_div_zero 0
		.amdhsa_exception_fp_ieee_overflow 0
		.amdhsa_exception_fp_ieee_underflow 0
		.amdhsa_exception_fp_ieee_inexact 0
		.amdhsa_exception_int_div_zero 0
	.end_amdhsa_kernel
	.section	.text._ZN7rocprim17ROCPRIM_400000_NS6detail17trampoline_kernelINS0_14default_configENS1_37merge_sort_block_sort_config_selectorIlNS0_10empty_typeEEEZNS1_21merge_sort_block_sortIS3_PlS8_PS5_S9_ZN2at6native12_GLOBAL__N_124unique_dim_cuda_templateImEESt5tupleIJNSA_6TensorESF_SF_EERKSF_lbbbEUlllE_EE10hipError_tT0_T1_T2_T3_mRjT4_P12ihipStream_tbNS1_7vsmem_tEEUlT_E_NS1_11comp_targetILNS1_3genE5ELNS1_11target_archE942ELNS1_3gpuE9ELNS1_3repE0EEENS1_30default_config_static_selectorELNS0_4arch9wavefront6targetE0EEEvSM_,"axG",@progbits,_ZN7rocprim17ROCPRIM_400000_NS6detail17trampoline_kernelINS0_14default_configENS1_37merge_sort_block_sort_config_selectorIlNS0_10empty_typeEEEZNS1_21merge_sort_block_sortIS3_PlS8_PS5_S9_ZN2at6native12_GLOBAL__N_124unique_dim_cuda_templateImEESt5tupleIJNSA_6TensorESF_SF_EERKSF_lbbbEUlllE_EE10hipError_tT0_T1_T2_T3_mRjT4_P12ihipStream_tbNS1_7vsmem_tEEUlT_E_NS1_11comp_targetILNS1_3genE5ELNS1_11target_archE942ELNS1_3gpuE9ELNS1_3repE0EEENS1_30default_config_static_selectorELNS0_4arch9wavefront6targetE0EEEvSM_,comdat
.Lfunc_end1604:
	.size	_ZN7rocprim17ROCPRIM_400000_NS6detail17trampoline_kernelINS0_14default_configENS1_37merge_sort_block_sort_config_selectorIlNS0_10empty_typeEEEZNS1_21merge_sort_block_sortIS3_PlS8_PS5_S9_ZN2at6native12_GLOBAL__N_124unique_dim_cuda_templateImEESt5tupleIJNSA_6TensorESF_SF_EERKSF_lbbbEUlllE_EE10hipError_tT0_T1_T2_T3_mRjT4_P12ihipStream_tbNS1_7vsmem_tEEUlT_E_NS1_11comp_targetILNS1_3genE5ELNS1_11target_archE942ELNS1_3gpuE9ELNS1_3repE0EEENS1_30default_config_static_selectorELNS0_4arch9wavefront6targetE0EEEvSM_, .Lfunc_end1604-_ZN7rocprim17ROCPRIM_400000_NS6detail17trampoline_kernelINS0_14default_configENS1_37merge_sort_block_sort_config_selectorIlNS0_10empty_typeEEEZNS1_21merge_sort_block_sortIS3_PlS8_PS5_S9_ZN2at6native12_GLOBAL__N_124unique_dim_cuda_templateImEESt5tupleIJNSA_6TensorESF_SF_EERKSF_lbbbEUlllE_EE10hipError_tT0_T1_T2_T3_mRjT4_P12ihipStream_tbNS1_7vsmem_tEEUlT_E_NS1_11comp_targetILNS1_3genE5ELNS1_11target_archE942ELNS1_3gpuE9ELNS1_3repE0EEENS1_30default_config_static_selectorELNS0_4arch9wavefront6targetE0EEEvSM_
                                        ; -- End function
	.section	.AMDGPU.csdata,"",@progbits
; Kernel info:
; codeLenInByte = 0
; NumSgprs: 0
; NumVgprs: 0
; ScratchSize: 0
; MemoryBound: 0
; FloatMode: 240
; IeeeMode: 1
; LDSByteSize: 0 bytes/workgroup (compile time only)
; SGPRBlocks: 0
; VGPRBlocks: 0
; NumSGPRsForWavesPerEU: 1
; NumVGPRsForWavesPerEU: 1
; Occupancy: 16
; WaveLimiterHint : 0
; COMPUTE_PGM_RSRC2:SCRATCH_EN: 0
; COMPUTE_PGM_RSRC2:USER_SGPR: 15
; COMPUTE_PGM_RSRC2:TRAP_HANDLER: 0
; COMPUTE_PGM_RSRC2:TGID_X_EN: 1
; COMPUTE_PGM_RSRC2:TGID_Y_EN: 0
; COMPUTE_PGM_RSRC2:TGID_Z_EN: 0
; COMPUTE_PGM_RSRC2:TIDIG_COMP_CNT: 0
	.section	.text._ZN7rocprim17ROCPRIM_400000_NS6detail17trampoline_kernelINS0_14default_configENS1_37merge_sort_block_sort_config_selectorIlNS0_10empty_typeEEEZNS1_21merge_sort_block_sortIS3_PlS8_PS5_S9_ZN2at6native12_GLOBAL__N_124unique_dim_cuda_templateImEESt5tupleIJNSA_6TensorESF_SF_EERKSF_lbbbEUlllE_EE10hipError_tT0_T1_T2_T3_mRjT4_P12ihipStream_tbNS1_7vsmem_tEEUlT_E_NS1_11comp_targetILNS1_3genE4ELNS1_11target_archE910ELNS1_3gpuE8ELNS1_3repE0EEENS1_30default_config_static_selectorELNS0_4arch9wavefront6targetE0EEEvSM_,"axG",@progbits,_ZN7rocprim17ROCPRIM_400000_NS6detail17trampoline_kernelINS0_14default_configENS1_37merge_sort_block_sort_config_selectorIlNS0_10empty_typeEEEZNS1_21merge_sort_block_sortIS3_PlS8_PS5_S9_ZN2at6native12_GLOBAL__N_124unique_dim_cuda_templateImEESt5tupleIJNSA_6TensorESF_SF_EERKSF_lbbbEUlllE_EE10hipError_tT0_T1_T2_T3_mRjT4_P12ihipStream_tbNS1_7vsmem_tEEUlT_E_NS1_11comp_targetILNS1_3genE4ELNS1_11target_archE910ELNS1_3gpuE8ELNS1_3repE0EEENS1_30default_config_static_selectorELNS0_4arch9wavefront6targetE0EEEvSM_,comdat
	.globl	_ZN7rocprim17ROCPRIM_400000_NS6detail17trampoline_kernelINS0_14default_configENS1_37merge_sort_block_sort_config_selectorIlNS0_10empty_typeEEEZNS1_21merge_sort_block_sortIS3_PlS8_PS5_S9_ZN2at6native12_GLOBAL__N_124unique_dim_cuda_templateImEESt5tupleIJNSA_6TensorESF_SF_EERKSF_lbbbEUlllE_EE10hipError_tT0_T1_T2_T3_mRjT4_P12ihipStream_tbNS1_7vsmem_tEEUlT_E_NS1_11comp_targetILNS1_3genE4ELNS1_11target_archE910ELNS1_3gpuE8ELNS1_3repE0EEENS1_30default_config_static_selectorELNS0_4arch9wavefront6targetE0EEEvSM_ ; -- Begin function _ZN7rocprim17ROCPRIM_400000_NS6detail17trampoline_kernelINS0_14default_configENS1_37merge_sort_block_sort_config_selectorIlNS0_10empty_typeEEEZNS1_21merge_sort_block_sortIS3_PlS8_PS5_S9_ZN2at6native12_GLOBAL__N_124unique_dim_cuda_templateImEESt5tupleIJNSA_6TensorESF_SF_EERKSF_lbbbEUlllE_EE10hipError_tT0_T1_T2_T3_mRjT4_P12ihipStream_tbNS1_7vsmem_tEEUlT_E_NS1_11comp_targetILNS1_3genE4ELNS1_11target_archE910ELNS1_3gpuE8ELNS1_3repE0EEENS1_30default_config_static_selectorELNS0_4arch9wavefront6targetE0EEEvSM_
	.p2align	8
	.type	_ZN7rocprim17ROCPRIM_400000_NS6detail17trampoline_kernelINS0_14default_configENS1_37merge_sort_block_sort_config_selectorIlNS0_10empty_typeEEEZNS1_21merge_sort_block_sortIS3_PlS8_PS5_S9_ZN2at6native12_GLOBAL__N_124unique_dim_cuda_templateImEESt5tupleIJNSA_6TensorESF_SF_EERKSF_lbbbEUlllE_EE10hipError_tT0_T1_T2_T3_mRjT4_P12ihipStream_tbNS1_7vsmem_tEEUlT_E_NS1_11comp_targetILNS1_3genE4ELNS1_11target_archE910ELNS1_3gpuE8ELNS1_3repE0EEENS1_30default_config_static_selectorELNS0_4arch9wavefront6targetE0EEEvSM_,@function
_ZN7rocprim17ROCPRIM_400000_NS6detail17trampoline_kernelINS0_14default_configENS1_37merge_sort_block_sort_config_selectorIlNS0_10empty_typeEEEZNS1_21merge_sort_block_sortIS3_PlS8_PS5_S9_ZN2at6native12_GLOBAL__N_124unique_dim_cuda_templateImEESt5tupleIJNSA_6TensorESF_SF_EERKSF_lbbbEUlllE_EE10hipError_tT0_T1_T2_T3_mRjT4_P12ihipStream_tbNS1_7vsmem_tEEUlT_E_NS1_11comp_targetILNS1_3genE4ELNS1_11target_archE910ELNS1_3gpuE8ELNS1_3repE0EEENS1_30default_config_static_selectorELNS0_4arch9wavefront6targetE0EEEvSM_: ; @_ZN7rocprim17ROCPRIM_400000_NS6detail17trampoline_kernelINS0_14default_configENS1_37merge_sort_block_sort_config_selectorIlNS0_10empty_typeEEEZNS1_21merge_sort_block_sortIS3_PlS8_PS5_S9_ZN2at6native12_GLOBAL__N_124unique_dim_cuda_templateImEESt5tupleIJNSA_6TensorESF_SF_EERKSF_lbbbEUlllE_EE10hipError_tT0_T1_T2_T3_mRjT4_P12ihipStream_tbNS1_7vsmem_tEEUlT_E_NS1_11comp_targetILNS1_3genE4ELNS1_11target_archE910ELNS1_3gpuE8ELNS1_3repE0EEENS1_30default_config_static_selectorELNS0_4arch9wavefront6targetE0EEEvSM_
; %bb.0:
	.section	.rodata,"a",@progbits
	.p2align	6, 0x0
	.amdhsa_kernel _ZN7rocprim17ROCPRIM_400000_NS6detail17trampoline_kernelINS0_14default_configENS1_37merge_sort_block_sort_config_selectorIlNS0_10empty_typeEEEZNS1_21merge_sort_block_sortIS3_PlS8_PS5_S9_ZN2at6native12_GLOBAL__N_124unique_dim_cuda_templateImEESt5tupleIJNSA_6TensorESF_SF_EERKSF_lbbbEUlllE_EE10hipError_tT0_T1_T2_T3_mRjT4_P12ihipStream_tbNS1_7vsmem_tEEUlT_E_NS1_11comp_targetILNS1_3genE4ELNS1_11target_archE910ELNS1_3gpuE8ELNS1_3repE0EEENS1_30default_config_static_selectorELNS0_4arch9wavefront6targetE0EEEvSM_
		.amdhsa_group_segment_fixed_size 0
		.amdhsa_private_segment_fixed_size 0
		.amdhsa_kernarg_size 72
		.amdhsa_user_sgpr_count 15
		.amdhsa_user_sgpr_dispatch_ptr 0
		.amdhsa_user_sgpr_queue_ptr 0
		.amdhsa_user_sgpr_kernarg_segment_ptr 1
		.amdhsa_user_sgpr_dispatch_id 0
		.amdhsa_user_sgpr_private_segment_size 0
		.amdhsa_wavefront_size32 1
		.amdhsa_uses_dynamic_stack 0
		.amdhsa_enable_private_segment 0
		.amdhsa_system_sgpr_workgroup_id_x 1
		.amdhsa_system_sgpr_workgroup_id_y 0
		.amdhsa_system_sgpr_workgroup_id_z 0
		.amdhsa_system_sgpr_workgroup_info 0
		.amdhsa_system_vgpr_workitem_id 0
		.amdhsa_next_free_vgpr 1
		.amdhsa_next_free_sgpr 1
		.amdhsa_reserve_vcc 0
		.amdhsa_float_round_mode_32 0
		.amdhsa_float_round_mode_16_64 0
		.amdhsa_float_denorm_mode_32 3
		.amdhsa_float_denorm_mode_16_64 3
		.amdhsa_dx10_clamp 1
		.amdhsa_ieee_mode 1
		.amdhsa_fp16_overflow 0
		.amdhsa_workgroup_processor_mode 1
		.amdhsa_memory_ordered 1
		.amdhsa_forward_progress 0
		.amdhsa_shared_vgpr_count 0
		.amdhsa_exception_fp_ieee_invalid_op 0
		.amdhsa_exception_fp_denorm_src 0
		.amdhsa_exception_fp_ieee_div_zero 0
		.amdhsa_exception_fp_ieee_overflow 0
		.amdhsa_exception_fp_ieee_underflow 0
		.amdhsa_exception_fp_ieee_inexact 0
		.amdhsa_exception_int_div_zero 0
	.end_amdhsa_kernel
	.section	.text._ZN7rocprim17ROCPRIM_400000_NS6detail17trampoline_kernelINS0_14default_configENS1_37merge_sort_block_sort_config_selectorIlNS0_10empty_typeEEEZNS1_21merge_sort_block_sortIS3_PlS8_PS5_S9_ZN2at6native12_GLOBAL__N_124unique_dim_cuda_templateImEESt5tupleIJNSA_6TensorESF_SF_EERKSF_lbbbEUlllE_EE10hipError_tT0_T1_T2_T3_mRjT4_P12ihipStream_tbNS1_7vsmem_tEEUlT_E_NS1_11comp_targetILNS1_3genE4ELNS1_11target_archE910ELNS1_3gpuE8ELNS1_3repE0EEENS1_30default_config_static_selectorELNS0_4arch9wavefront6targetE0EEEvSM_,"axG",@progbits,_ZN7rocprim17ROCPRIM_400000_NS6detail17trampoline_kernelINS0_14default_configENS1_37merge_sort_block_sort_config_selectorIlNS0_10empty_typeEEEZNS1_21merge_sort_block_sortIS3_PlS8_PS5_S9_ZN2at6native12_GLOBAL__N_124unique_dim_cuda_templateImEESt5tupleIJNSA_6TensorESF_SF_EERKSF_lbbbEUlllE_EE10hipError_tT0_T1_T2_T3_mRjT4_P12ihipStream_tbNS1_7vsmem_tEEUlT_E_NS1_11comp_targetILNS1_3genE4ELNS1_11target_archE910ELNS1_3gpuE8ELNS1_3repE0EEENS1_30default_config_static_selectorELNS0_4arch9wavefront6targetE0EEEvSM_,comdat
.Lfunc_end1605:
	.size	_ZN7rocprim17ROCPRIM_400000_NS6detail17trampoline_kernelINS0_14default_configENS1_37merge_sort_block_sort_config_selectorIlNS0_10empty_typeEEEZNS1_21merge_sort_block_sortIS3_PlS8_PS5_S9_ZN2at6native12_GLOBAL__N_124unique_dim_cuda_templateImEESt5tupleIJNSA_6TensorESF_SF_EERKSF_lbbbEUlllE_EE10hipError_tT0_T1_T2_T3_mRjT4_P12ihipStream_tbNS1_7vsmem_tEEUlT_E_NS1_11comp_targetILNS1_3genE4ELNS1_11target_archE910ELNS1_3gpuE8ELNS1_3repE0EEENS1_30default_config_static_selectorELNS0_4arch9wavefront6targetE0EEEvSM_, .Lfunc_end1605-_ZN7rocprim17ROCPRIM_400000_NS6detail17trampoline_kernelINS0_14default_configENS1_37merge_sort_block_sort_config_selectorIlNS0_10empty_typeEEEZNS1_21merge_sort_block_sortIS3_PlS8_PS5_S9_ZN2at6native12_GLOBAL__N_124unique_dim_cuda_templateImEESt5tupleIJNSA_6TensorESF_SF_EERKSF_lbbbEUlllE_EE10hipError_tT0_T1_T2_T3_mRjT4_P12ihipStream_tbNS1_7vsmem_tEEUlT_E_NS1_11comp_targetILNS1_3genE4ELNS1_11target_archE910ELNS1_3gpuE8ELNS1_3repE0EEENS1_30default_config_static_selectorELNS0_4arch9wavefront6targetE0EEEvSM_
                                        ; -- End function
	.section	.AMDGPU.csdata,"",@progbits
; Kernel info:
; codeLenInByte = 0
; NumSgprs: 0
; NumVgprs: 0
; ScratchSize: 0
; MemoryBound: 0
; FloatMode: 240
; IeeeMode: 1
; LDSByteSize: 0 bytes/workgroup (compile time only)
; SGPRBlocks: 0
; VGPRBlocks: 0
; NumSGPRsForWavesPerEU: 1
; NumVGPRsForWavesPerEU: 1
; Occupancy: 16
; WaveLimiterHint : 0
; COMPUTE_PGM_RSRC2:SCRATCH_EN: 0
; COMPUTE_PGM_RSRC2:USER_SGPR: 15
; COMPUTE_PGM_RSRC2:TRAP_HANDLER: 0
; COMPUTE_PGM_RSRC2:TGID_X_EN: 1
; COMPUTE_PGM_RSRC2:TGID_Y_EN: 0
; COMPUTE_PGM_RSRC2:TGID_Z_EN: 0
; COMPUTE_PGM_RSRC2:TIDIG_COMP_CNT: 0
	.section	.text._ZN7rocprim17ROCPRIM_400000_NS6detail17trampoline_kernelINS0_14default_configENS1_37merge_sort_block_sort_config_selectorIlNS0_10empty_typeEEEZNS1_21merge_sort_block_sortIS3_PlS8_PS5_S9_ZN2at6native12_GLOBAL__N_124unique_dim_cuda_templateImEESt5tupleIJNSA_6TensorESF_SF_EERKSF_lbbbEUlllE_EE10hipError_tT0_T1_T2_T3_mRjT4_P12ihipStream_tbNS1_7vsmem_tEEUlT_E_NS1_11comp_targetILNS1_3genE3ELNS1_11target_archE908ELNS1_3gpuE7ELNS1_3repE0EEENS1_30default_config_static_selectorELNS0_4arch9wavefront6targetE0EEEvSM_,"axG",@progbits,_ZN7rocprim17ROCPRIM_400000_NS6detail17trampoline_kernelINS0_14default_configENS1_37merge_sort_block_sort_config_selectorIlNS0_10empty_typeEEEZNS1_21merge_sort_block_sortIS3_PlS8_PS5_S9_ZN2at6native12_GLOBAL__N_124unique_dim_cuda_templateImEESt5tupleIJNSA_6TensorESF_SF_EERKSF_lbbbEUlllE_EE10hipError_tT0_T1_T2_T3_mRjT4_P12ihipStream_tbNS1_7vsmem_tEEUlT_E_NS1_11comp_targetILNS1_3genE3ELNS1_11target_archE908ELNS1_3gpuE7ELNS1_3repE0EEENS1_30default_config_static_selectorELNS0_4arch9wavefront6targetE0EEEvSM_,comdat
	.globl	_ZN7rocprim17ROCPRIM_400000_NS6detail17trampoline_kernelINS0_14default_configENS1_37merge_sort_block_sort_config_selectorIlNS0_10empty_typeEEEZNS1_21merge_sort_block_sortIS3_PlS8_PS5_S9_ZN2at6native12_GLOBAL__N_124unique_dim_cuda_templateImEESt5tupleIJNSA_6TensorESF_SF_EERKSF_lbbbEUlllE_EE10hipError_tT0_T1_T2_T3_mRjT4_P12ihipStream_tbNS1_7vsmem_tEEUlT_E_NS1_11comp_targetILNS1_3genE3ELNS1_11target_archE908ELNS1_3gpuE7ELNS1_3repE0EEENS1_30default_config_static_selectorELNS0_4arch9wavefront6targetE0EEEvSM_ ; -- Begin function _ZN7rocprim17ROCPRIM_400000_NS6detail17trampoline_kernelINS0_14default_configENS1_37merge_sort_block_sort_config_selectorIlNS0_10empty_typeEEEZNS1_21merge_sort_block_sortIS3_PlS8_PS5_S9_ZN2at6native12_GLOBAL__N_124unique_dim_cuda_templateImEESt5tupleIJNSA_6TensorESF_SF_EERKSF_lbbbEUlllE_EE10hipError_tT0_T1_T2_T3_mRjT4_P12ihipStream_tbNS1_7vsmem_tEEUlT_E_NS1_11comp_targetILNS1_3genE3ELNS1_11target_archE908ELNS1_3gpuE7ELNS1_3repE0EEENS1_30default_config_static_selectorELNS0_4arch9wavefront6targetE0EEEvSM_
	.p2align	8
	.type	_ZN7rocprim17ROCPRIM_400000_NS6detail17trampoline_kernelINS0_14default_configENS1_37merge_sort_block_sort_config_selectorIlNS0_10empty_typeEEEZNS1_21merge_sort_block_sortIS3_PlS8_PS5_S9_ZN2at6native12_GLOBAL__N_124unique_dim_cuda_templateImEESt5tupleIJNSA_6TensorESF_SF_EERKSF_lbbbEUlllE_EE10hipError_tT0_T1_T2_T3_mRjT4_P12ihipStream_tbNS1_7vsmem_tEEUlT_E_NS1_11comp_targetILNS1_3genE3ELNS1_11target_archE908ELNS1_3gpuE7ELNS1_3repE0EEENS1_30default_config_static_selectorELNS0_4arch9wavefront6targetE0EEEvSM_,@function
_ZN7rocprim17ROCPRIM_400000_NS6detail17trampoline_kernelINS0_14default_configENS1_37merge_sort_block_sort_config_selectorIlNS0_10empty_typeEEEZNS1_21merge_sort_block_sortIS3_PlS8_PS5_S9_ZN2at6native12_GLOBAL__N_124unique_dim_cuda_templateImEESt5tupleIJNSA_6TensorESF_SF_EERKSF_lbbbEUlllE_EE10hipError_tT0_T1_T2_T3_mRjT4_P12ihipStream_tbNS1_7vsmem_tEEUlT_E_NS1_11comp_targetILNS1_3genE3ELNS1_11target_archE908ELNS1_3gpuE7ELNS1_3repE0EEENS1_30default_config_static_selectorELNS0_4arch9wavefront6targetE0EEEvSM_: ; @_ZN7rocprim17ROCPRIM_400000_NS6detail17trampoline_kernelINS0_14default_configENS1_37merge_sort_block_sort_config_selectorIlNS0_10empty_typeEEEZNS1_21merge_sort_block_sortIS3_PlS8_PS5_S9_ZN2at6native12_GLOBAL__N_124unique_dim_cuda_templateImEESt5tupleIJNSA_6TensorESF_SF_EERKSF_lbbbEUlllE_EE10hipError_tT0_T1_T2_T3_mRjT4_P12ihipStream_tbNS1_7vsmem_tEEUlT_E_NS1_11comp_targetILNS1_3genE3ELNS1_11target_archE908ELNS1_3gpuE7ELNS1_3repE0EEENS1_30default_config_static_selectorELNS0_4arch9wavefront6targetE0EEEvSM_
; %bb.0:
	.section	.rodata,"a",@progbits
	.p2align	6, 0x0
	.amdhsa_kernel _ZN7rocprim17ROCPRIM_400000_NS6detail17trampoline_kernelINS0_14default_configENS1_37merge_sort_block_sort_config_selectorIlNS0_10empty_typeEEEZNS1_21merge_sort_block_sortIS3_PlS8_PS5_S9_ZN2at6native12_GLOBAL__N_124unique_dim_cuda_templateImEESt5tupleIJNSA_6TensorESF_SF_EERKSF_lbbbEUlllE_EE10hipError_tT0_T1_T2_T3_mRjT4_P12ihipStream_tbNS1_7vsmem_tEEUlT_E_NS1_11comp_targetILNS1_3genE3ELNS1_11target_archE908ELNS1_3gpuE7ELNS1_3repE0EEENS1_30default_config_static_selectorELNS0_4arch9wavefront6targetE0EEEvSM_
		.amdhsa_group_segment_fixed_size 0
		.amdhsa_private_segment_fixed_size 0
		.amdhsa_kernarg_size 72
		.amdhsa_user_sgpr_count 15
		.amdhsa_user_sgpr_dispatch_ptr 0
		.amdhsa_user_sgpr_queue_ptr 0
		.amdhsa_user_sgpr_kernarg_segment_ptr 1
		.amdhsa_user_sgpr_dispatch_id 0
		.amdhsa_user_sgpr_private_segment_size 0
		.amdhsa_wavefront_size32 1
		.amdhsa_uses_dynamic_stack 0
		.amdhsa_enable_private_segment 0
		.amdhsa_system_sgpr_workgroup_id_x 1
		.amdhsa_system_sgpr_workgroup_id_y 0
		.amdhsa_system_sgpr_workgroup_id_z 0
		.amdhsa_system_sgpr_workgroup_info 0
		.amdhsa_system_vgpr_workitem_id 0
		.amdhsa_next_free_vgpr 1
		.amdhsa_next_free_sgpr 1
		.amdhsa_reserve_vcc 0
		.amdhsa_float_round_mode_32 0
		.amdhsa_float_round_mode_16_64 0
		.amdhsa_float_denorm_mode_32 3
		.amdhsa_float_denorm_mode_16_64 3
		.amdhsa_dx10_clamp 1
		.amdhsa_ieee_mode 1
		.amdhsa_fp16_overflow 0
		.amdhsa_workgroup_processor_mode 1
		.amdhsa_memory_ordered 1
		.amdhsa_forward_progress 0
		.amdhsa_shared_vgpr_count 0
		.amdhsa_exception_fp_ieee_invalid_op 0
		.amdhsa_exception_fp_denorm_src 0
		.amdhsa_exception_fp_ieee_div_zero 0
		.amdhsa_exception_fp_ieee_overflow 0
		.amdhsa_exception_fp_ieee_underflow 0
		.amdhsa_exception_fp_ieee_inexact 0
		.amdhsa_exception_int_div_zero 0
	.end_amdhsa_kernel
	.section	.text._ZN7rocprim17ROCPRIM_400000_NS6detail17trampoline_kernelINS0_14default_configENS1_37merge_sort_block_sort_config_selectorIlNS0_10empty_typeEEEZNS1_21merge_sort_block_sortIS3_PlS8_PS5_S9_ZN2at6native12_GLOBAL__N_124unique_dim_cuda_templateImEESt5tupleIJNSA_6TensorESF_SF_EERKSF_lbbbEUlllE_EE10hipError_tT0_T1_T2_T3_mRjT4_P12ihipStream_tbNS1_7vsmem_tEEUlT_E_NS1_11comp_targetILNS1_3genE3ELNS1_11target_archE908ELNS1_3gpuE7ELNS1_3repE0EEENS1_30default_config_static_selectorELNS0_4arch9wavefront6targetE0EEEvSM_,"axG",@progbits,_ZN7rocprim17ROCPRIM_400000_NS6detail17trampoline_kernelINS0_14default_configENS1_37merge_sort_block_sort_config_selectorIlNS0_10empty_typeEEEZNS1_21merge_sort_block_sortIS3_PlS8_PS5_S9_ZN2at6native12_GLOBAL__N_124unique_dim_cuda_templateImEESt5tupleIJNSA_6TensorESF_SF_EERKSF_lbbbEUlllE_EE10hipError_tT0_T1_T2_T3_mRjT4_P12ihipStream_tbNS1_7vsmem_tEEUlT_E_NS1_11comp_targetILNS1_3genE3ELNS1_11target_archE908ELNS1_3gpuE7ELNS1_3repE0EEENS1_30default_config_static_selectorELNS0_4arch9wavefront6targetE0EEEvSM_,comdat
.Lfunc_end1606:
	.size	_ZN7rocprim17ROCPRIM_400000_NS6detail17trampoline_kernelINS0_14default_configENS1_37merge_sort_block_sort_config_selectorIlNS0_10empty_typeEEEZNS1_21merge_sort_block_sortIS3_PlS8_PS5_S9_ZN2at6native12_GLOBAL__N_124unique_dim_cuda_templateImEESt5tupleIJNSA_6TensorESF_SF_EERKSF_lbbbEUlllE_EE10hipError_tT0_T1_T2_T3_mRjT4_P12ihipStream_tbNS1_7vsmem_tEEUlT_E_NS1_11comp_targetILNS1_3genE3ELNS1_11target_archE908ELNS1_3gpuE7ELNS1_3repE0EEENS1_30default_config_static_selectorELNS0_4arch9wavefront6targetE0EEEvSM_, .Lfunc_end1606-_ZN7rocprim17ROCPRIM_400000_NS6detail17trampoline_kernelINS0_14default_configENS1_37merge_sort_block_sort_config_selectorIlNS0_10empty_typeEEEZNS1_21merge_sort_block_sortIS3_PlS8_PS5_S9_ZN2at6native12_GLOBAL__N_124unique_dim_cuda_templateImEESt5tupleIJNSA_6TensorESF_SF_EERKSF_lbbbEUlllE_EE10hipError_tT0_T1_T2_T3_mRjT4_P12ihipStream_tbNS1_7vsmem_tEEUlT_E_NS1_11comp_targetILNS1_3genE3ELNS1_11target_archE908ELNS1_3gpuE7ELNS1_3repE0EEENS1_30default_config_static_selectorELNS0_4arch9wavefront6targetE0EEEvSM_
                                        ; -- End function
	.section	.AMDGPU.csdata,"",@progbits
; Kernel info:
; codeLenInByte = 0
; NumSgprs: 0
; NumVgprs: 0
; ScratchSize: 0
; MemoryBound: 0
; FloatMode: 240
; IeeeMode: 1
; LDSByteSize: 0 bytes/workgroup (compile time only)
; SGPRBlocks: 0
; VGPRBlocks: 0
; NumSGPRsForWavesPerEU: 1
; NumVGPRsForWavesPerEU: 1
; Occupancy: 16
; WaveLimiterHint : 0
; COMPUTE_PGM_RSRC2:SCRATCH_EN: 0
; COMPUTE_PGM_RSRC2:USER_SGPR: 15
; COMPUTE_PGM_RSRC2:TRAP_HANDLER: 0
; COMPUTE_PGM_RSRC2:TGID_X_EN: 1
; COMPUTE_PGM_RSRC2:TGID_Y_EN: 0
; COMPUTE_PGM_RSRC2:TGID_Z_EN: 0
; COMPUTE_PGM_RSRC2:TIDIG_COMP_CNT: 0
	.section	.text._ZN7rocprim17ROCPRIM_400000_NS6detail17trampoline_kernelINS0_14default_configENS1_37merge_sort_block_sort_config_selectorIlNS0_10empty_typeEEEZNS1_21merge_sort_block_sortIS3_PlS8_PS5_S9_ZN2at6native12_GLOBAL__N_124unique_dim_cuda_templateImEESt5tupleIJNSA_6TensorESF_SF_EERKSF_lbbbEUlllE_EE10hipError_tT0_T1_T2_T3_mRjT4_P12ihipStream_tbNS1_7vsmem_tEEUlT_E_NS1_11comp_targetILNS1_3genE2ELNS1_11target_archE906ELNS1_3gpuE6ELNS1_3repE0EEENS1_30default_config_static_selectorELNS0_4arch9wavefront6targetE0EEEvSM_,"axG",@progbits,_ZN7rocprim17ROCPRIM_400000_NS6detail17trampoline_kernelINS0_14default_configENS1_37merge_sort_block_sort_config_selectorIlNS0_10empty_typeEEEZNS1_21merge_sort_block_sortIS3_PlS8_PS5_S9_ZN2at6native12_GLOBAL__N_124unique_dim_cuda_templateImEESt5tupleIJNSA_6TensorESF_SF_EERKSF_lbbbEUlllE_EE10hipError_tT0_T1_T2_T3_mRjT4_P12ihipStream_tbNS1_7vsmem_tEEUlT_E_NS1_11comp_targetILNS1_3genE2ELNS1_11target_archE906ELNS1_3gpuE6ELNS1_3repE0EEENS1_30default_config_static_selectorELNS0_4arch9wavefront6targetE0EEEvSM_,comdat
	.globl	_ZN7rocprim17ROCPRIM_400000_NS6detail17trampoline_kernelINS0_14default_configENS1_37merge_sort_block_sort_config_selectorIlNS0_10empty_typeEEEZNS1_21merge_sort_block_sortIS3_PlS8_PS5_S9_ZN2at6native12_GLOBAL__N_124unique_dim_cuda_templateImEESt5tupleIJNSA_6TensorESF_SF_EERKSF_lbbbEUlllE_EE10hipError_tT0_T1_T2_T3_mRjT4_P12ihipStream_tbNS1_7vsmem_tEEUlT_E_NS1_11comp_targetILNS1_3genE2ELNS1_11target_archE906ELNS1_3gpuE6ELNS1_3repE0EEENS1_30default_config_static_selectorELNS0_4arch9wavefront6targetE0EEEvSM_ ; -- Begin function _ZN7rocprim17ROCPRIM_400000_NS6detail17trampoline_kernelINS0_14default_configENS1_37merge_sort_block_sort_config_selectorIlNS0_10empty_typeEEEZNS1_21merge_sort_block_sortIS3_PlS8_PS5_S9_ZN2at6native12_GLOBAL__N_124unique_dim_cuda_templateImEESt5tupleIJNSA_6TensorESF_SF_EERKSF_lbbbEUlllE_EE10hipError_tT0_T1_T2_T3_mRjT4_P12ihipStream_tbNS1_7vsmem_tEEUlT_E_NS1_11comp_targetILNS1_3genE2ELNS1_11target_archE906ELNS1_3gpuE6ELNS1_3repE0EEENS1_30default_config_static_selectorELNS0_4arch9wavefront6targetE0EEEvSM_
	.p2align	8
	.type	_ZN7rocprim17ROCPRIM_400000_NS6detail17trampoline_kernelINS0_14default_configENS1_37merge_sort_block_sort_config_selectorIlNS0_10empty_typeEEEZNS1_21merge_sort_block_sortIS3_PlS8_PS5_S9_ZN2at6native12_GLOBAL__N_124unique_dim_cuda_templateImEESt5tupleIJNSA_6TensorESF_SF_EERKSF_lbbbEUlllE_EE10hipError_tT0_T1_T2_T3_mRjT4_P12ihipStream_tbNS1_7vsmem_tEEUlT_E_NS1_11comp_targetILNS1_3genE2ELNS1_11target_archE906ELNS1_3gpuE6ELNS1_3repE0EEENS1_30default_config_static_selectorELNS0_4arch9wavefront6targetE0EEEvSM_,@function
_ZN7rocprim17ROCPRIM_400000_NS6detail17trampoline_kernelINS0_14default_configENS1_37merge_sort_block_sort_config_selectorIlNS0_10empty_typeEEEZNS1_21merge_sort_block_sortIS3_PlS8_PS5_S9_ZN2at6native12_GLOBAL__N_124unique_dim_cuda_templateImEESt5tupleIJNSA_6TensorESF_SF_EERKSF_lbbbEUlllE_EE10hipError_tT0_T1_T2_T3_mRjT4_P12ihipStream_tbNS1_7vsmem_tEEUlT_E_NS1_11comp_targetILNS1_3genE2ELNS1_11target_archE906ELNS1_3gpuE6ELNS1_3repE0EEENS1_30default_config_static_selectorELNS0_4arch9wavefront6targetE0EEEvSM_: ; @_ZN7rocprim17ROCPRIM_400000_NS6detail17trampoline_kernelINS0_14default_configENS1_37merge_sort_block_sort_config_selectorIlNS0_10empty_typeEEEZNS1_21merge_sort_block_sortIS3_PlS8_PS5_S9_ZN2at6native12_GLOBAL__N_124unique_dim_cuda_templateImEESt5tupleIJNSA_6TensorESF_SF_EERKSF_lbbbEUlllE_EE10hipError_tT0_T1_T2_T3_mRjT4_P12ihipStream_tbNS1_7vsmem_tEEUlT_E_NS1_11comp_targetILNS1_3genE2ELNS1_11target_archE906ELNS1_3gpuE6ELNS1_3repE0EEENS1_30default_config_static_selectorELNS0_4arch9wavefront6targetE0EEEvSM_
; %bb.0:
	.section	.rodata,"a",@progbits
	.p2align	6, 0x0
	.amdhsa_kernel _ZN7rocprim17ROCPRIM_400000_NS6detail17trampoline_kernelINS0_14default_configENS1_37merge_sort_block_sort_config_selectorIlNS0_10empty_typeEEEZNS1_21merge_sort_block_sortIS3_PlS8_PS5_S9_ZN2at6native12_GLOBAL__N_124unique_dim_cuda_templateImEESt5tupleIJNSA_6TensorESF_SF_EERKSF_lbbbEUlllE_EE10hipError_tT0_T1_T2_T3_mRjT4_P12ihipStream_tbNS1_7vsmem_tEEUlT_E_NS1_11comp_targetILNS1_3genE2ELNS1_11target_archE906ELNS1_3gpuE6ELNS1_3repE0EEENS1_30default_config_static_selectorELNS0_4arch9wavefront6targetE0EEEvSM_
		.amdhsa_group_segment_fixed_size 0
		.amdhsa_private_segment_fixed_size 0
		.amdhsa_kernarg_size 72
		.amdhsa_user_sgpr_count 15
		.amdhsa_user_sgpr_dispatch_ptr 0
		.amdhsa_user_sgpr_queue_ptr 0
		.amdhsa_user_sgpr_kernarg_segment_ptr 1
		.amdhsa_user_sgpr_dispatch_id 0
		.amdhsa_user_sgpr_private_segment_size 0
		.amdhsa_wavefront_size32 1
		.amdhsa_uses_dynamic_stack 0
		.amdhsa_enable_private_segment 0
		.amdhsa_system_sgpr_workgroup_id_x 1
		.amdhsa_system_sgpr_workgroup_id_y 0
		.amdhsa_system_sgpr_workgroup_id_z 0
		.amdhsa_system_sgpr_workgroup_info 0
		.amdhsa_system_vgpr_workitem_id 0
		.amdhsa_next_free_vgpr 1
		.amdhsa_next_free_sgpr 1
		.amdhsa_reserve_vcc 0
		.amdhsa_float_round_mode_32 0
		.amdhsa_float_round_mode_16_64 0
		.amdhsa_float_denorm_mode_32 3
		.amdhsa_float_denorm_mode_16_64 3
		.amdhsa_dx10_clamp 1
		.amdhsa_ieee_mode 1
		.amdhsa_fp16_overflow 0
		.amdhsa_workgroup_processor_mode 1
		.amdhsa_memory_ordered 1
		.amdhsa_forward_progress 0
		.amdhsa_shared_vgpr_count 0
		.amdhsa_exception_fp_ieee_invalid_op 0
		.amdhsa_exception_fp_denorm_src 0
		.amdhsa_exception_fp_ieee_div_zero 0
		.amdhsa_exception_fp_ieee_overflow 0
		.amdhsa_exception_fp_ieee_underflow 0
		.amdhsa_exception_fp_ieee_inexact 0
		.amdhsa_exception_int_div_zero 0
	.end_amdhsa_kernel
	.section	.text._ZN7rocprim17ROCPRIM_400000_NS6detail17trampoline_kernelINS0_14default_configENS1_37merge_sort_block_sort_config_selectorIlNS0_10empty_typeEEEZNS1_21merge_sort_block_sortIS3_PlS8_PS5_S9_ZN2at6native12_GLOBAL__N_124unique_dim_cuda_templateImEESt5tupleIJNSA_6TensorESF_SF_EERKSF_lbbbEUlllE_EE10hipError_tT0_T1_T2_T3_mRjT4_P12ihipStream_tbNS1_7vsmem_tEEUlT_E_NS1_11comp_targetILNS1_3genE2ELNS1_11target_archE906ELNS1_3gpuE6ELNS1_3repE0EEENS1_30default_config_static_selectorELNS0_4arch9wavefront6targetE0EEEvSM_,"axG",@progbits,_ZN7rocprim17ROCPRIM_400000_NS6detail17trampoline_kernelINS0_14default_configENS1_37merge_sort_block_sort_config_selectorIlNS0_10empty_typeEEEZNS1_21merge_sort_block_sortIS3_PlS8_PS5_S9_ZN2at6native12_GLOBAL__N_124unique_dim_cuda_templateImEESt5tupleIJNSA_6TensorESF_SF_EERKSF_lbbbEUlllE_EE10hipError_tT0_T1_T2_T3_mRjT4_P12ihipStream_tbNS1_7vsmem_tEEUlT_E_NS1_11comp_targetILNS1_3genE2ELNS1_11target_archE906ELNS1_3gpuE6ELNS1_3repE0EEENS1_30default_config_static_selectorELNS0_4arch9wavefront6targetE0EEEvSM_,comdat
.Lfunc_end1607:
	.size	_ZN7rocprim17ROCPRIM_400000_NS6detail17trampoline_kernelINS0_14default_configENS1_37merge_sort_block_sort_config_selectorIlNS0_10empty_typeEEEZNS1_21merge_sort_block_sortIS3_PlS8_PS5_S9_ZN2at6native12_GLOBAL__N_124unique_dim_cuda_templateImEESt5tupleIJNSA_6TensorESF_SF_EERKSF_lbbbEUlllE_EE10hipError_tT0_T1_T2_T3_mRjT4_P12ihipStream_tbNS1_7vsmem_tEEUlT_E_NS1_11comp_targetILNS1_3genE2ELNS1_11target_archE906ELNS1_3gpuE6ELNS1_3repE0EEENS1_30default_config_static_selectorELNS0_4arch9wavefront6targetE0EEEvSM_, .Lfunc_end1607-_ZN7rocprim17ROCPRIM_400000_NS6detail17trampoline_kernelINS0_14default_configENS1_37merge_sort_block_sort_config_selectorIlNS0_10empty_typeEEEZNS1_21merge_sort_block_sortIS3_PlS8_PS5_S9_ZN2at6native12_GLOBAL__N_124unique_dim_cuda_templateImEESt5tupleIJNSA_6TensorESF_SF_EERKSF_lbbbEUlllE_EE10hipError_tT0_T1_T2_T3_mRjT4_P12ihipStream_tbNS1_7vsmem_tEEUlT_E_NS1_11comp_targetILNS1_3genE2ELNS1_11target_archE906ELNS1_3gpuE6ELNS1_3repE0EEENS1_30default_config_static_selectorELNS0_4arch9wavefront6targetE0EEEvSM_
                                        ; -- End function
	.section	.AMDGPU.csdata,"",@progbits
; Kernel info:
; codeLenInByte = 0
; NumSgprs: 0
; NumVgprs: 0
; ScratchSize: 0
; MemoryBound: 0
; FloatMode: 240
; IeeeMode: 1
; LDSByteSize: 0 bytes/workgroup (compile time only)
; SGPRBlocks: 0
; VGPRBlocks: 0
; NumSGPRsForWavesPerEU: 1
; NumVGPRsForWavesPerEU: 1
; Occupancy: 16
; WaveLimiterHint : 0
; COMPUTE_PGM_RSRC2:SCRATCH_EN: 0
; COMPUTE_PGM_RSRC2:USER_SGPR: 15
; COMPUTE_PGM_RSRC2:TRAP_HANDLER: 0
; COMPUTE_PGM_RSRC2:TGID_X_EN: 1
; COMPUTE_PGM_RSRC2:TGID_Y_EN: 0
; COMPUTE_PGM_RSRC2:TGID_Z_EN: 0
; COMPUTE_PGM_RSRC2:TIDIG_COMP_CNT: 0
	.section	.text._ZN7rocprim17ROCPRIM_400000_NS6detail17trampoline_kernelINS0_14default_configENS1_37merge_sort_block_sort_config_selectorIlNS0_10empty_typeEEEZNS1_21merge_sort_block_sortIS3_PlS8_PS5_S9_ZN2at6native12_GLOBAL__N_124unique_dim_cuda_templateImEESt5tupleIJNSA_6TensorESF_SF_EERKSF_lbbbEUlllE_EE10hipError_tT0_T1_T2_T3_mRjT4_P12ihipStream_tbNS1_7vsmem_tEEUlT_E_NS1_11comp_targetILNS1_3genE10ELNS1_11target_archE1201ELNS1_3gpuE5ELNS1_3repE0EEENS1_30default_config_static_selectorELNS0_4arch9wavefront6targetE0EEEvSM_,"axG",@progbits,_ZN7rocprim17ROCPRIM_400000_NS6detail17trampoline_kernelINS0_14default_configENS1_37merge_sort_block_sort_config_selectorIlNS0_10empty_typeEEEZNS1_21merge_sort_block_sortIS3_PlS8_PS5_S9_ZN2at6native12_GLOBAL__N_124unique_dim_cuda_templateImEESt5tupleIJNSA_6TensorESF_SF_EERKSF_lbbbEUlllE_EE10hipError_tT0_T1_T2_T3_mRjT4_P12ihipStream_tbNS1_7vsmem_tEEUlT_E_NS1_11comp_targetILNS1_3genE10ELNS1_11target_archE1201ELNS1_3gpuE5ELNS1_3repE0EEENS1_30default_config_static_selectorELNS0_4arch9wavefront6targetE0EEEvSM_,comdat
	.globl	_ZN7rocprim17ROCPRIM_400000_NS6detail17trampoline_kernelINS0_14default_configENS1_37merge_sort_block_sort_config_selectorIlNS0_10empty_typeEEEZNS1_21merge_sort_block_sortIS3_PlS8_PS5_S9_ZN2at6native12_GLOBAL__N_124unique_dim_cuda_templateImEESt5tupleIJNSA_6TensorESF_SF_EERKSF_lbbbEUlllE_EE10hipError_tT0_T1_T2_T3_mRjT4_P12ihipStream_tbNS1_7vsmem_tEEUlT_E_NS1_11comp_targetILNS1_3genE10ELNS1_11target_archE1201ELNS1_3gpuE5ELNS1_3repE0EEENS1_30default_config_static_selectorELNS0_4arch9wavefront6targetE0EEEvSM_ ; -- Begin function _ZN7rocprim17ROCPRIM_400000_NS6detail17trampoline_kernelINS0_14default_configENS1_37merge_sort_block_sort_config_selectorIlNS0_10empty_typeEEEZNS1_21merge_sort_block_sortIS3_PlS8_PS5_S9_ZN2at6native12_GLOBAL__N_124unique_dim_cuda_templateImEESt5tupleIJNSA_6TensorESF_SF_EERKSF_lbbbEUlllE_EE10hipError_tT0_T1_T2_T3_mRjT4_P12ihipStream_tbNS1_7vsmem_tEEUlT_E_NS1_11comp_targetILNS1_3genE10ELNS1_11target_archE1201ELNS1_3gpuE5ELNS1_3repE0EEENS1_30default_config_static_selectorELNS0_4arch9wavefront6targetE0EEEvSM_
	.p2align	8
	.type	_ZN7rocprim17ROCPRIM_400000_NS6detail17trampoline_kernelINS0_14default_configENS1_37merge_sort_block_sort_config_selectorIlNS0_10empty_typeEEEZNS1_21merge_sort_block_sortIS3_PlS8_PS5_S9_ZN2at6native12_GLOBAL__N_124unique_dim_cuda_templateImEESt5tupleIJNSA_6TensorESF_SF_EERKSF_lbbbEUlllE_EE10hipError_tT0_T1_T2_T3_mRjT4_P12ihipStream_tbNS1_7vsmem_tEEUlT_E_NS1_11comp_targetILNS1_3genE10ELNS1_11target_archE1201ELNS1_3gpuE5ELNS1_3repE0EEENS1_30default_config_static_selectorELNS0_4arch9wavefront6targetE0EEEvSM_,@function
_ZN7rocprim17ROCPRIM_400000_NS6detail17trampoline_kernelINS0_14default_configENS1_37merge_sort_block_sort_config_selectorIlNS0_10empty_typeEEEZNS1_21merge_sort_block_sortIS3_PlS8_PS5_S9_ZN2at6native12_GLOBAL__N_124unique_dim_cuda_templateImEESt5tupleIJNSA_6TensorESF_SF_EERKSF_lbbbEUlllE_EE10hipError_tT0_T1_T2_T3_mRjT4_P12ihipStream_tbNS1_7vsmem_tEEUlT_E_NS1_11comp_targetILNS1_3genE10ELNS1_11target_archE1201ELNS1_3gpuE5ELNS1_3repE0EEENS1_30default_config_static_selectorELNS0_4arch9wavefront6targetE0EEEvSM_: ; @_ZN7rocprim17ROCPRIM_400000_NS6detail17trampoline_kernelINS0_14default_configENS1_37merge_sort_block_sort_config_selectorIlNS0_10empty_typeEEEZNS1_21merge_sort_block_sortIS3_PlS8_PS5_S9_ZN2at6native12_GLOBAL__N_124unique_dim_cuda_templateImEESt5tupleIJNSA_6TensorESF_SF_EERKSF_lbbbEUlllE_EE10hipError_tT0_T1_T2_T3_mRjT4_P12ihipStream_tbNS1_7vsmem_tEEUlT_E_NS1_11comp_targetILNS1_3genE10ELNS1_11target_archE1201ELNS1_3gpuE5ELNS1_3repE0EEENS1_30default_config_static_selectorELNS0_4arch9wavefront6targetE0EEEvSM_
; %bb.0:
	.section	.rodata,"a",@progbits
	.p2align	6, 0x0
	.amdhsa_kernel _ZN7rocprim17ROCPRIM_400000_NS6detail17trampoline_kernelINS0_14default_configENS1_37merge_sort_block_sort_config_selectorIlNS0_10empty_typeEEEZNS1_21merge_sort_block_sortIS3_PlS8_PS5_S9_ZN2at6native12_GLOBAL__N_124unique_dim_cuda_templateImEESt5tupleIJNSA_6TensorESF_SF_EERKSF_lbbbEUlllE_EE10hipError_tT0_T1_T2_T3_mRjT4_P12ihipStream_tbNS1_7vsmem_tEEUlT_E_NS1_11comp_targetILNS1_3genE10ELNS1_11target_archE1201ELNS1_3gpuE5ELNS1_3repE0EEENS1_30default_config_static_selectorELNS0_4arch9wavefront6targetE0EEEvSM_
		.amdhsa_group_segment_fixed_size 0
		.amdhsa_private_segment_fixed_size 0
		.amdhsa_kernarg_size 72
		.amdhsa_user_sgpr_count 15
		.amdhsa_user_sgpr_dispatch_ptr 0
		.amdhsa_user_sgpr_queue_ptr 0
		.amdhsa_user_sgpr_kernarg_segment_ptr 1
		.amdhsa_user_sgpr_dispatch_id 0
		.amdhsa_user_sgpr_private_segment_size 0
		.amdhsa_wavefront_size32 1
		.amdhsa_uses_dynamic_stack 0
		.amdhsa_enable_private_segment 0
		.amdhsa_system_sgpr_workgroup_id_x 1
		.amdhsa_system_sgpr_workgroup_id_y 0
		.amdhsa_system_sgpr_workgroup_id_z 0
		.amdhsa_system_sgpr_workgroup_info 0
		.amdhsa_system_vgpr_workitem_id 0
		.amdhsa_next_free_vgpr 1
		.amdhsa_next_free_sgpr 1
		.amdhsa_reserve_vcc 0
		.amdhsa_float_round_mode_32 0
		.amdhsa_float_round_mode_16_64 0
		.amdhsa_float_denorm_mode_32 3
		.amdhsa_float_denorm_mode_16_64 3
		.amdhsa_dx10_clamp 1
		.amdhsa_ieee_mode 1
		.amdhsa_fp16_overflow 0
		.amdhsa_workgroup_processor_mode 1
		.amdhsa_memory_ordered 1
		.amdhsa_forward_progress 0
		.amdhsa_shared_vgpr_count 0
		.amdhsa_exception_fp_ieee_invalid_op 0
		.amdhsa_exception_fp_denorm_src 0
		.amdhsa_exception_fp_ieee_div_zero 0
		.amdhsa_exception_fp_ieee_overflow 0
		.amdhsa_exception_fp_ieee_underflow 0
		.amdhsa_exception_fp_ieee_inexact 0
		.amdhsa_exception_int_div_zero 0
	.end_amdhsa_kernel
	.section	.text._ZN7rocprim17ROCPRIM_400000_NS6detail17trampoline_kernelINS0_14default_configENS1_37merge_sort_block_sort_config_selectorIlNS0_10empty_typeEEEZNS1_21merge_sort_block_sortIS3_PlS8_PS5_S9_ZN2at6native12_GLOBAL__N_124unique_dim_cuda_templateImEESt5tupleIJNSA_6TensorESF_SF_EERKSF_lbbbEUlllE_EE10hipError_tT0_T1_T2_T3_mRjT4_P12ihipStream_tbNS1_7vsmem_tEEUlT_E_NS1_11comp_targetILNS1_3genE10ELNS1_11target_archE1201ELNS1_3gpuE5ELNS1_3repE0EEENS1_30default_config_static_selectorELNS0_4arch9wavefront6targetE0EEEvSM_,"axG",@progbits,_ZN7rocprim17ROCPRIM_400000_NS6detail17trampoline_kernelINS0_14default_configENS1_37merge_sort_block_sort_config_selectorIlNS0_10empty_typeEEEZNS1_21merge_sort_block_sortIS3_PlS8_PS5_S9_ZN2at6native12_GLOBAL__N_124unique_dim_cuda_templateImEESt5tupleIJNSA_6TensorESF_SF_EERKSF_lbbbEUlllE_EE10hipError_tT0_T1_T2_T3_mRjT4_P12ihipStream_tbNS1_7vsmem_tEEUlT_E_NS1_11comp_targetILNS1_3genE10ELNS1_11target_archE1201ELNS1_3gpuE5ELNS1_3repE0EEENS1_30default_config_static_selectorELNS0_4arch9wavefront6targetE0EEEvSM_,comdat
.Lfunc_end1608:
	.size	_ZN7rocprim17ROCPRIM_400000_NS6detail17trampoline_kernelINS0_14default_configENS1_37merge_sort_block_sort_config_selectorIlNS0_10empty_typeEEEZNS1_21merge_sort_block_sortIS3_PlS8_PS5_S9_ZN2at6native12_GLOBAL__N_124unique_dim_cuda_templateImEESt5tupleIJNSA_6TensorESF_SF_EERKSF_lbbbEUlllE_EE10hipError_tT0_T1_T2_T3_mRjT4_P12ihipStream_tbNS1_7vsmem_tEEUlT_E_NS1_11comp_targetILNS1_3genE10ELNS1_11target_archE1201ELNS1_3gpuE5ELNS1_3repE0EEENS1_30default_config_static_selectorELNS0_4arch9wavefront6targetE0EEEvSM_, .Lfunc_end1608-_ZN7rocprim17ROCPRIM_400000_NS6detail17trampoline_kernelINS0_14default_configENS1_37merge_sort_block_sort_config_selectorIlNS0_10empty_typeEEEZNS1_21merge_sort_block_sortIS3_PlS8_PS5_S9_ZN2at6native12_GLOBAL__N_124unique_dim_cuda_templateImEESt5tupleIJNSA_6TensorESF_SF_EERKSF_lbbbEUlllE_EE10hipError_tT0_T1_T2_T3_mRjT4_P12ihipStream_tbNS1_7vsmem_tEEUlT_E_NS1_11comp_targetILNS1_3genE10ELNS1_11target_archE1201ELNS1_3gpuE5ELNS1_3repE0EEENS1_30default_config_static_selectorELNS0_4arch9wavefront6targetE0EEEvSM_
                                        ; -- End function
	.section	.AMDGPU.csdata,"",@progbits
; Kernel info:
; codeLenInByte = 0
; NumSgprs: 0
; NumVgprs: 0
; ScratchSize: 0
; MemoryBound: 0
; FloatMode: 240
; IeeeMode: 1
; LDSByteSize: 0 bytes/workgroup (compile time only)
; SGPRBlocks: 0
; VGPRBlocks: 0
; NumSGPRsForWavesPerEU: 1
; NumVGPRsForWavesPerEU: 1
; Occupancy: 16
; WaveLimiterHint : 0
; COMPUTE_PGM_RSRC2:SCRATCH_EN: 0
; COMPUTE_PGM_RSRC2:USER_SGPR: 15
; COMPUTE_PGM_RSRC2:TRAP_HANDLER: 0
; COMPUTE_PGM_RSRC2:TGID_X_EN: 1
; COMPUTE_PGM_RSRC2:TGID_Y_EN: 0
; COMPUTE_PGM_RSRC2:TGID_Z_EN: 0
; COMPUTE_PGM_RSRC2:TIDIG_COMP_CNT: 0
	.section	.text._ZN7rocprim17ROCPRIM_400000_NS6detail17trampoline_kernelINS0_14default_configENS1_37merge_sort_block_sort_config_selectorIlNS0_10empty_typeEEEZNS1_21merge_sort_block_sortIS3_PlS8_PS5_S9_ZN2at6native12_GLOBAL__N_124unique_dim_cuda_templateImEESt5tupleIJNSA_6TensorESF_SF_EERKSF_lbbbEUlllE_EE10hipError_tT0_T1_T2_T3_mRjT4_P12ihipStream_tbNS1_7vsmem_tEEUlT_E_NS1_11comp_targetILNS1_3genE10ELNS1_11target_archE1200ELNS1_3gpuE4ELNS1_3repE0EEENS1_30default_config_static_selectorELNS0_4arch9wavefront6targetE0EEEvSM_,"axG",@progbits,_ZN7rocprim17ROCPRIM_400000_NS6detail17trampoline_kernelINS0_14default_configENS1_37merge_sort_block_sort_config_selectorIlNS0_10empty_typeEEEZNS1_21merge_sort_block_sortIS3_PlS8_PS5_S9_ZN2at6native12_GLOBAL__N_124unique_dim_cuda_templateImEESt5tupleIJNSA_6TensorESF_SF_EERKSF_lbbbEUlllE_EE10hipError_tT0_T1_T2_T3_mRjT4_P12ihipStream_tbNS1_7vsmem_tEEUlT_E_NS1_11comp_targetILNS1_3genE10ELNS1_11target_archE1200ELNS1_3gpuE4ELNS1_3repE0EEENS1_30default_config_static_selectorELNS0_4arch9wavefront6targetE0EEEvSM_,comdat
	.globl	_ZN7rocprim17ROCPRIM_400000_NS6detail17trampoline_kernelINS0_14default_configENS1_37merge_sort_block_sort_config_selectorIlNS0_10empty_typeEEEZNS1_21merge_sort_block_sortIS3_PlS8_PS5_S9_ZN2at6native12_GLOBAL__N_124unique_dim_cuda_templateImEESt5tupleIJNSA_6TensorESF_SF_EERKSF_lbbbEUlllE_EE10hipError_tT0_T1_T2_T3_mRjT4_P12ihipStream_tbNS1_7vsmem_tEEUlT_E_NS1_11comp_targetILNS1_3genE10ELNS1_11target_archE1200ELNS1_3gpuE4ELNS1_3repE0EEENS1_30default_config_static_selectorELNS0_4arch9wavefront6targetE0EEEvSM_ ; -- Begin function _ZN7rocprim17ROCPRIM_400000_NS6detail17trampoline_kernelINS0_14default_configENS1_37merge_sort_block_sort_config_selectorIlNS0_10empty_typeEEEZNS1_21merge_sort_block_sortIS3_PlS8_PS5_S9_ZN2at6native12_GLOBAL__N_124unique_dim_cuda_templateImEESt5tupleIJNSA_6TensorESF_SF_EERKSF_lbbbEUlllE_EE10hipError_tT0_T1_T2_T3_mRjT4_P12ihipStream_tbNS1_7vsmem_tEEUlT_E_NS1_11comp_targetILNS1_3genE10ELNS1_11target_archE1200ELNS1_3gpuE4ELNS1_3repE0EEENS1_30default_config_static_selectorELNS0_4arch9wavefront6targetE0EEEvSM_
	.p2align	8
	.type	_ZN7rocprim17ROCPRIM_400000_NS6detail17trampoline_kernelINS0_14default_configENS1_37merge_sort_block_sort_config_selectorIlNS0_10empty_typeEEEZNS1_21merge_sort_block_sortIS3_PlS8_PS5_S9_ZN2at6native12_GLOBAL__N_124unique_dim_cuda_templateImEESt5tupleIJNSA_6TensorESF_SF_EERKSF_lbbbEUlllE_EE10hipError_tT0_T1_T2_T3_mRjT4_P12ihipStream_tbNS1_7vsmem_tEEUlT_E_NS1_11comp_targetILNS1_3genE10ELNS1_11target_archE1200ELNS1_3gpuE4ELNS1_3repE0EEENS1_30default_config_static_selectorELNS0_4arch9wavefront6targetE0EEEvSM_,@function
_ZN7rocprim17ROCPRIM_400000_NS6detail17trampoline_kernelINS0_14default_configENS1_37merge_sort_block_sort_config_selectorIlNS0_10empty_typeEEEZNS1_21merge_sort_block_sortIS3_PlS8_PS5_S9_ZN2at6native12_GLOBAL__N_124unique_dim_cuda_templateImEESt5tupleIJNSA_6TensorESF_SF_EERKSF_lbbbEUlllE_EE10hipError_tT0_T1_T2_T3_mRjT4_P12ihipStream_tbNS1_7vsmem_tEEUlT_E_NS1_11comp_targetILNS1_3genE10ELNS1_11target_archE1200ELNS1_3gpuE4ELNS1_3repE0EEENS1_30default_config_static_selectorELNS0_4arch9wavefront6targetE0EEEvSM_: ; @_ZN7rocprim17ROCPRIM_400000_NS6detail17trampoline_kernelINS0_14default_configENS1_37merge_sort_block_sort_config_selectorIlNS0_10empty_typeEEEZNS1_21merge_sort_block_sortIS3_PlS8_PS5_S9_ZN2at6native12_GLOBAL__N_124unique_dim_cuda_templateImEESt5tupleIJNSA_6TensorESF_SF_EERKSF_lbbbEUlllE_EE10hipError_tT0_T1_T2_T3_mRjT4_P12ihipStream_tbNS1_7vsmem_tEEUlT_E_NS1_11comp_targetILNS1_3genE10ELNS1_11target_archE1200ELNS1_3gpuE4ELNS1_3repE0EEENS1_30default_config_static_selectorELNS0_4arch9wavefront6targetE0EEEvSM_
; %bb.0:
	.section	.rodata,"a",@progbits
	.p2align	6, 0x0
	.amdhsa_kernel _ZN7rocprim17ROCPRIM_400000_NS6detail17trampoline_kernelINS0_14default_configENS1_37merge_sort_block_sort_config_selectorIlNS0_10empty_typeEEEZNS1_21merge_sort_block_sortIS3_PlS8_PS5_S9_ZN2at6native12_GLOBAL__N_124unique_dim_cuda_templateImEESt5tupleIJNSA_6TensorESF_SF_EERKSF_lbbbEUlllE_EE10hipError_tT0_T1_T2_T3_mRjT4_P12ihipStream_tbNS1_7vsmem_tEEUlT_E_NS1_11comp_targetILNS1_3genE10ELNS1_11target_archE1200ELNS1_3gpuE4ELNS1_3repE0EEENS1_30default_config_static_selectorELNS0_4arch9wavefront6targetE0EEEvSM_
		.amdhsa_group_segment_fixed_size 0
		.amdhsa_private_segment_fixed_size 0
		.amdhsa_kernarg_size 72
		.amdhsa_user_sgpr_count 15
		.amdhsa_user_sgpr_dispatch_ptr 0
		.amdhsa_user_sgpr_queue_ptr 0
		.amdhsa_user_sgpr_kernarg_segment_ptr 1
		.amdhsa_user_sgpr_dispatch_id 0
		.amdhsa_user_sgpr_private_segment_size 0
		.amdhsa_wavefront_size32 1
		.amdhsa_uses_dynamic_stack 0
		.amdhsa_enable_private_segment 0
		.amdhsa_system_sgpr_workgroup_id_x 1
		.amdhsa_system_sgpr_workgroup_id_y 0
		.amdhsa_system_sgpr_workgroup_id_z 0
		.amdhsa_system_sgpr_workgroup_info 0
		.amdhsa_system_vgpr_workitem_id 0
		.amdhsa_next_free_vgpr 1
		.amdhsa_next_free_sgpr 1
		.amdhsa_reserve_vcc 0
		.amdhsa_float_round_mode_32 0
		.amdhsa_float_round_mode_16_64 0
		.amdhsa_float_denorm_mode_32 3
		.amdhsa_float_denorm_mode_16_64 3
		.amdhsa_dx10_clamp 1
		.amdhsa_ieee_mode 1
		.amdhsa_fp16_overflow 0
		.amdhsa_workgroup_processor_mode 1
		.amdhsa_memory_ordered 1
		.amdhsa_forward_progress 0
		.amdhsa_shared_vgpr_count 0
		.amdhsa_exception_fp_ieee_invalid_op 0
		.amdhsa_exception_fp_denorm_src 0
		.amdhsa_exception_fp_ieee_div_zero 0
		.amdhsa_exception_fp_ieee_overflow 0
		.amdhsa_exception_fp_ieee_underflow 0
		.amdhsa_exception_fp_ieee_inexact 0
		.amdhsa_exception_int_div_zero 0
	.end_amdhsa_kernel
	.section	.text._ZN7rocprim17ROCPRIM_400000_NS6detail17trampoline_kernelINS0_14default_configENS1_37merge_sort_block_sort_config_selectorIlNS0_10empty_typeEEEZNS1_21merge_sort_block_sortIS3_PlS8_PS5_S9_ZN2at6native12_GLOBAL__N_124unique_dim_cuda_templateImEESt5tupleIJNSA_6TensorESF_SF_EERKSF_lbbbEUlllE_EE10hipError_tT0_T1_T2_T3_mRjT4_P12ihipStream_tbNS1_7vsmem_tEEUlT_E_NS1_11comp_targetILNS1_3genE10ELNS1_11target_archE1200ELNS1_3gpuE4ELNS1_3repE0EEENS1_30default_config_static_selectorELNS0_4arch9wavefront6targetE0EEEvSM_,"axG",@progbits,_ZN7rocprim17ROCPRIM_400000_NS6detail17trampoline_kernelINS0_14default_configENS1_37merge_sort_block_sort_config_selectorIlNS0_10empty_typeEEEZNS1_21merge_sort_block_sortIS3_PlS8_PS5_S9_ZN2at6native12_GLOBAL__N_124unique_dim_cuda_templateImEESt5tupleIJNSA_6TensorESF_SF_EERKSF_lbbbEUlllE_EE10hipError_tT0_T1_T2_T3_mRjT4_P12ihipStream_tbNS1_7vsmem_tEEUlT_E_NS1_11comp_targetILNS1_3genE10ELNS1_11target_archE1200ELNS1_3gpuE4ELNS1_3repE0EEENS1_30default_config_static_selectorELNS0_4arch9wavefront6targetE0EEEvSM_,comdat
.Lfunc_end1609:
	.size	_ZN7rocprim17ROCPRIM_400000_NS6detail17trampoline_kernelINS0_14default_configENS1_37merge_sort_block_sort_config_selectorIlNS0_10empty_typeEEEZNS1_21merge_sort_block_sortIS3_PlS8_PS5_S9_ZN2at6native12_GLOBAL__N_124unique_dim_cuda_templateImEESt5tupleIJNSA_6TensorESF_SF_EERKSF_lbbbEUlllE_EE10hipError_tT0_T1_T2_T3_mRjT4_P12ihipStream_tbNS1_7vsmem_tEEUlT_E_NS1_11comp_targetILNS1_3genE10ELNS1_11target_archE1200ELNS1_3gpuE4ELNS1_3repE0EEENS1_30default_config_static_selectorELNS0_4arch9wavefront6targetE0EEEvSM_, .Lfunc_end1609-_ZN7rocprim17ROCPRIM_400000_NS6detail17trampoline_kernelINS0_14default_configENS1_37merge_sort_block_sort_config_selectorIlNS0_10empty_typeEEEZNS1_21merge_sort_block_sortIS3_PlS8_PS5_S9_ZN2at6native12_GLOBAL__N_124unique_dim_cuda_templateImEESt5tupleIJNSA_6TensorESF_SF_EERKSF_lbbbEUlllE_EE10hipError_tT0_T1_T2_T3_mRjT4_P12ihipStream_tbNS1_7vsmem_tEEUlT_E_NS1_11comp_targetILNS1_3genE10ELNS1_11target_archE1200ELNS1_3gpuE4ELNS1_3repE0EEENS1_30default_config_static_selectorELNS0_4arch9wavefront6targetE0EEEvSM_
                                        ; -- End function
	.section	.AMDGPU.csdata,"",@progbits
; Kernel info:
; codeLenInByte = 0
; NumSgprs: 0
; NumVgprs: 0
; ScratchSize: 0
; MemoryBound: 0
; FloatMode: 240
; IeeeMode: 1
; LDSByteSize: 0 bytes/workgroup (compile time only)
; SGPRBlocks: 0
; VGPRBlocks: 0
; NumSGPRsForWavesPerEU: 1
; NumVGPRsForWavesPerEU: 1
; Occupancy: 16
; WaveLimiterHint : 0
; COMPUTE_PGM_RSRC2:SCRATCH_EN: 0
; COMPUTE_PGM_RSRC2:USER_SGPR: 15
; COMPUTE_PGM_RSRC2:TRAP_HANDLER: 0
; COMPUTE_PGM_RSRC2:TGID_X_EN: 1
; COMPUTE_PGM_RSRC2:TGID_Y_EN: 0
; COMPUTE_PGM_RSRC2:TGID_Z_EN: 0
; COMPUTE_PGM_RSRC2:TIDIG_COMP_CNT: 0
	.section	.text._ZN7rocprim17ROCPRIM_400000_NS6detail17trampoline_kernelINS0_14default_configENS1_37merge_sort_block_sort_config_selectorIlNS0_10empty_typeEEEZNS1_21merge_sort_block_sortIS3_PlS8_PS5_S9_ZN2at6native12_GLOBAL__N_124unique_dim_cuda_templateImEESt5tupleIJNSA_6TensorESF_SF_EERKSF_lbbbEUlllE_EE10hipError_tT0_T1_T2_T3_mRjT4_P12ihipStream_tbNS1_7vsmem_tEEUlT_E_NS1_11comp_targetILNS1_3genE9ELNS1_11target_archE1100ELNS1_3gpuE3ELNS1_3repE0EEENS1_30default_config_static_selectorELNS0_4arch9wavefront6targetE0EEEvSM_,"axG",@progbits,_ZN7rocprim17ROCPRIM_400000_NS6detail17trampoline_kernelINS0_14default_configENS1_37merge_sort_block_sort_config_selectorIlNS0_10empty_typeEEEZNS1_21merge_sort_block_sortIS3_PlS8_PS5_S9_ZN2at6native12_GLOBAL__N_124unique_dim_cuda_templateImEESt5tupleIJNSA_6TensorESF_SF_EERKSF_lbbbEUlllE_EE10hipError_tT0_T1_T2_T3_mRjT4_P12ihipStream_tbNS1_7vsmem_tEEUlT_E_NS1_11comp_targetILNS1_3genE9ELNS1_11target_archE1100ELNS1_3gpuE3ELNS1_3repE0EEENS1_30default_config_static_selectorELNS0_4arch9wavefront6targetE0EEEvSM_,comdat
	.globl	_ZN7rocprim17ROCPRIM_400000_NS6detail17trampoline_kernelINS0_14default_configENS1_37merge_sort_block_sort_config_selectorIlNS0_10empty_typeEEEZNS1_21merge_sort_block_sortIS3_PlS8_PS5_S9_ZN2at6native12_GLOBAL__N_124unique_dim_cuda_templateImEESt5tupleIJNSA_6TensorESF_SF_EERKSF_lbbbEUlllE_EE10hipError_tT0_T1_T2_T3_mRjT4_P12ihipStream_tbNS1_7vsmem_tEEUlT_E_NS1_11comp_targetILNS1_3genE9ELNS1_11target_archE1100ELNS1_3gpuE3ELNS1_3repE0EEENS1_30default_config_static_selectorELNS0_4arch9wavefront6targetE0EEEvSM_ ; -- Begin function _ZN7rocprim17ROCPRIM_400000_NS6detail17trampoline_kernelINS0_14default_configENS1_37merge_sort_block_sort_config_selectorIlNS0_10empty_typeEEEZNS1_21merge_sort_block_sortIS3_PlS8_PS5_S9_ZN2at6native12_GLOBAL__N_124unique_dim_cuda_templateImEESt5tupleIJNSA_6TensorESF_SF_EERKSF_lbbbEUlllE_EE10hipError_tT0_T1_T2_T3_mRjT4_P12ihipStream_tbNS1_7vsmem_tEEUlT_E_NS1_11comp_targetILNS1_3genE9ELNS1_11target_archE1100ELNS1_3gpuE3ELNS1_3repE0EEENS1_30default_config_static_selectorELNS0_4arch9wavefront6targetE0EEEvSM_
	.p2align	8
	.type	_ZN7rocprim17ROCPRIM_400000_NS6detail17trampoline_kernelINS0_14default_configENS1_37merge_sort_block_sort_config_selectorIlNS0_10empty_typeEEEZNS1_21merge_sort_block_sortIS3_PlS8_PS5_S9_ZN2at6native12_GLOBAL__N_124unique_dim_cuda_templateImEESt5tupleIJNSA_6TensorESF_SF_EERKSF_lbbbEUlllE_EE10hipError_tT0_T1_T2_T3_mRjT4_P12ihipStream_tbNS1_7vsmem_tEEUlT_E_NS1_11comp_targetILNS1_3genE9ELNS1_11target_archE1100ELNS1_3gpuE3ELNS1_3repE0EEENS1_30default_config_static_selectorELNS0_4arch9wavefront6targetE0EEEvSM_,@function
_ZN7rocprim17ROCPRIM_400000_NS6detail17trampoline_kernelINS0_14default_configENS1_37merge_sort_block_sort_config_selectorIlNS0_10empty_typeEEEZNS1_21merge_sort_block_sortIS3_PlS8_PS5_S9_ZN2at6native12_GLOBAL__N_124unique_dim_cuda_templateImEESt5tupleIJNSA_6TensorESF_SF_EERKSF_lbbbEUlllE_EE10hipError_tT0_T1_T2_T3_mRjT4_P12ihipStream_tbNS1_7vsmem_tEEUlT_E_NS1_11comp_targetILNS1_3genE9ELNS1_11target_archE1100ELNS1_3gpuE3ELNS1_3repE0EEENS1_30default_config_static_selectorELNS0_4arch9wavefront6targetE0EEEvSM_: ; @_ZN7rocprim17ROCPRIM_400000_NS6detail17trampoline_kernelINS0_14default_configENS1_37merge_sort_block_sort_config_selectorIlNS0_10empty_typeEEEZNS1_21merge_sort_block_sortIS3_PlS8_PS5_S9_ZN2at6native12_GLOBAL__N_124unique_dim_cuda_templateImEESt5tupleIJNSA_6TensorESF_SF_EERKSF_lbbbEUlllE_EE10hipError_tT0_T1_T2_T3_mRjT4_P12ihipStream_tbNS1_7vsmem_tEEUlT_E_NS1_11comp_targetILNS1_3genE9ELNS1_11target_archE1100ELNS1_3gpuE3ELNS1_3repE0EEENS1_30default_config_static_selectorELNS0_4arch9wavefront6targetE0EEEvSM_
; %bb.0:
	s_clause 0x1
	s_load_b64 s[6:7], s[0:1], 0x48
	s_load_b32 s3, s[0:1], 0x0
	s_add_u32 s4, s0, 0x48
	s_addc_u32 s5, s1, 0
	s_waitcnt lgkmcnt(0)
	s_mul_i32 s2, s7, s15
	s_delay_alu instid0(SALU_CYCLE_1) | instskip(NEXT) | instid1(SALU_CYCLE_1)
	s_add_i32 s2, s2, s14
	s_mul_i32 s2, s2, s6
	s_delay_alu instid0(SALU_CYCLE_1) | instskip(NEXT) | instid1(SALU_CYCLE_1)
	s_add_i32 s2, s2, s13
	s_cmp_ge_u32 s2, s3
	s_cbranch_scc1 .LBB1610_878
; %bb.1:
	s_clause 0x2
	s_load_b64 s[18:19], s[0:1], 0x8
	s_load_b128 s[8:11], s[0:1], 0x38
	s_load_b128 s[20:23], s[0:1], 0x18
	v_and_b32_e32 v12, 0x3ff, v0
	s_mov_b32 s3, 0
	v_bfe_u32 v28, v0, 10, 10
	s_lshl_b64 s[0:1], s[2:3], 13
	v_bfe_u32 v29, v0, 20, 10
	v_lshlrev_b32_e32 v26, 3, v12
	v_lshrrev_b32_e32 v31, 2, v12
	v_add_nc_u32_e32 v34, 0x100, v12
	v_add_nc_u32_e32 v33, 0x200, v12
	;; [unrolled: 1-line block ×3, first 2 shown]
	v_lshlrev_b32_e32 v27, 2, v12
	v_lshrrev_b32_e32 v30, 3, v12
	s_waitcnt lgkmcnt(0)
	s_lshr_b64 s[24:25], s[18:19], 10
	v_cmp_gt_i64_e64 s7, s[8:9], 0
	s_add_u32 s16, s20, s0
	s_addc_u32 s17, s21, s1
	s_add_u32 s14, s22, s0
	s_addc_u32 s15, s23, s1
	s_cmp_lg_u64 s[24:25], s[2:3]
	s_cbranch_scc0 .LBB1610_8
; %bb.2:
	v_add_co_u32 v0, s0, s16, v26
	s_delay_alu instid0(VALU_DEP_1) | instskip(SKIP_1) | instid1(VALU_DEP_3)
	v_add_co_ci_u32_e64 v1, null, s17, 0, s0
	v_lshrrev_b32_e32 v8, 2, v34
	v_add_co_u32 v0, vcc_lo, 0x1000, v0
	s_delay_alu instid0(VALU_DEP_3)
	v_add_co_ci_u32_e32 v1, vcc_lo, 0, v1, vcc_lo
	v_lshrrev_b32_e32 v9, 2, v33
	s_clause 0x3
	global_load_b64 v[2:3], v26, s[16:17]
	global_load_b64 v[4:5], v26, s[16:17] offset:2048
	global_load_b64 v[6:7], v[0:1], off
	global_load_b64 v[0:1], v[0:1], off offset:2048
	v_lshrrev_b32_e32 v10, 2, v32
	v_and_b32_e32 v11, 0xf8, v31
	v_dual_mov_b32 v13, 0 :: v_dual_and_b32 v8, 0x1f8, v8
	v_and_b32_e32 v9, 0x1f8, v9
	s_delay_alu instid0(VALU_DEP_4) | instskip(NEXT) | instid1(VALU_DEP_4)
	v_and_b32_e32 v10, 0x1f8, v10
	v_add_nc_u32_e32 v35, v11, v26
	v_add_lshl_u32 v39, v30, v27, 3
	v_add_nc_u32_e32 v38, v8, v26
	v_add_nc_u32_e32 v36, v9, v26
	;; [unrolled: 1-line block ×3, first 2 shown]
	s_waitcnt vmcnt(3)
	ds_store_b64 v35, v[2:3]
	s_waitcnt vmcnt(2)
	ds_store_b64 v38, v[4:5] offset:2048
	s_waitcnt vmcnt(1)
	ds_store_b64 v36, v[6:7] offset:4096
	;; [unrolled: 2-line block ×3, first 2 shown]
	s_waitcnt lgkmcnt(0)
	s_barrier
	buffer_gl0_inv
	ds_load_2addr_b64 v[8:11], v39 offset1:1
	ds_load_2addr_b64 v[4:7], v39 offset0:2 offset1:3
	s_waitcnt lgkmcnt(0)
	s_barrier
	buffer_gl0_inv
	s_load_b32 s0, s[4:5], 0xc
	v_dual_mov_b32 v3, v11 :: v_dual_mov_b32 v2, v10
	s_waitcnt lgkmcnt(0)
	s_lshr_b32 s12, s0, 16
	s_cmp_lt_u32 s13, s6
	v_mad_u32_u24 v1, v29, s12, v28
	s_cselect_b32 s0, 12, 18
	s_mov_b32 s12, exec_lo
	s_add_u32 s0, s4, s0
	s_addc_u32 s1, s5, 0
	global_load_u16 v0, v13, s[0:1]
	s_waitcnt vmcnt(0)
	v_mul_lo_u32 v0, v1, v0
	v_mov_b32_e32 v1, v9
	s_delay_alu instid0(VALU_DEP_2) | instskip(SKIP_1) | instid1(VALU_DEP_2)
	v_add_lshl_u32 v40, v0, v12, 2
	v_mov_b32_e32 v0, v8
	v_cmpx_gt_u32_e32 0x400, v40
	s_cbranch_execz .LBB1610_62
; %bb.3:
	s_and_not1_b32 vcc_lo, exec_lo, s7
	s_cbranch_vccnz .LBB1610_14
; %bb.4:
	v_mul_lo_u32 v18, v11, s8
	v_mul_lo_u32 v19, v10, s9
	v_mad_u64_u32 v[14:15], null, v10, s8, 0
	v_mul_lo_u32 v20, v9, s8
	v_mul_lo_u32 v21, v8, s9
	v_mad_u64_u32 v[16:17], null, v8, s8, 0
	s_mov_b32 s22, 0
	s_mov_b64 s[20:21], s[8:9]
	s_delay_alu instid0(VALU_DEP_4) | instskip(NEXT) | instid1(VALU_DEP_2)
	v_add3_u32 v15, v15, v19, v18
                                        ; implicit-def: $sgpr19
                                        ; implicit-def: $sgpr23
                                        ; implicit-def: $sgpr25
                                        ; implicit-def: $sgpr24
                                        ; implicit-def: $sgpr26
                                        ; implicit-def: $sgpr27
	v_add3_u32 v17, v17, v21, v20
	s_delay_alu instid0(VALU_DEP_2) | instskip(NEXT) | instid1(VALU_DEP_2)
	v_lshlrev_b64 v[14:15], 3, v[14:15]
	v_lshlrev_b64 v[16:17], 3, v[16:17]
	s_delay_alu instid0(VALU_DEP_2) | instskip(NEXT) | instid1(VALU_DEP_3)
	v_add_co_u32 v14, vcc_lo, s10, v14
	v_add_co_ci_u32_e32 v15, vcc_lo, s11, v15, vcc_lo
	s_delay_alu instid0(VALU_DEP_3) | instskip(NEXT) | instid1(VALU_DEP_4)
	v_add_co_u32 v16, vcc_lo, s10, v16
	v_add_co_ci_u32_e32 v17, vcc_lo, s11, v17, vcc_lo
	s_set_inst_prefetch_distance 0x1
	s_branch .LBB1610_6
	.p2align	6
.LBB1610_5:                             ;   in Loop: Header=BB1610_6 Depth=1
	s_or_b32 exec_lo, exec_lo, s28
	s_delay_alu instid0(SALU_CYCLE_1) | instskip(NEXT) | instid1(SALU_CYCLE_1)
	s_and_b32 s1, exec_lo, s25
	s_or_b32 s22, s1, s22
	s_and_not1_b32 s1, s27, exec_lo
	s_and_b32 s27, s26, exec_lo
	s_and_not1_b32 s23, s23, exec_lo
	s_or_b32 s27, s1, s27
	s_and_b32 s1, s24, exec_lo
	s_and_not1_b32 s19, s19, exec_lo
	s_and_b32 s0, s0, exec_lo
	s_or_b32 s23, s23, s1
	s_or_b32 s19, s19, s0
	s_and_not1_b32 exec_lo, exec_lo, s22
	s_cbranch_execz .LBB1610_9
.LBB1610_6:                             ; =>This Inner Loop Header: Depth=1
	global_load_b64 v[18:19], v[14:15], off
	global_load_b64 v[20:21], v[16:17], off
	s_and_not1_b32 s26, s26, exec_lo
	s_or_b32 s24, s24, exec_lo
	s_or_b32 s25, s25, exec_lo
	s_waitcnt vmcnt(0)
	v_cmp_le_u64_e32 vcc_lo, v[18:19], v[20:21]
	v_cmp_lt_u64_e64 s0, v[18:19], v[20:21]
	s_and_b32 s28, vcc_lo, s27
	s_delay_alu instid0(VALU_DEP_1) | instid1(SALU_CYCLE_1)
	s_or_b32 s0, s0, s28
	s_mov_b32 s28, exec_lo
	v_cmpx_eq_u64_e64 v[18:19], v[20:21]
	s_cbranch_execz .LBB1610_5
; %bb.7:                                ;   in Loop: Header=BB1610_6 Depth=1
	s_add_u32 s20, s20, -1
	s_addc_u32 s21, s21, -1
	v_add_co_u32 v14, vcc_lo, v14, 8
	s_cmp_eq_u64 s[20:21], 0
	v_add_co_ci_u32_e32 v15, vcc_lo, 0, v15, vcc_lo
	v_add_co_u32 v16, vcc_lo, v16, 8
	s_cselect_b32 s1, -1, 0
	v_add_co_ci_u32_e32 v17, vcc_lo, 0, v17, vcc_lo
	s_and_not1_b32 s26, s26, exec_lo
	s_and_b32 s27, s0, exec_lo
	s_and_not1_b32 s25, s25, exec_lo
	s_and_b32 s1, s1, exec_lo
	s_or_b32 s26, s26, s27
	s_and_not1_b32 s24, s24, exec_lo
	s_or_b32 s25, s25, s1
                                        ; implicit-def: $sgpr27
	s_branch .LBB1610_5
.LBB1610_8:
	s_mov_b32 s19, s3
                                        ; implicit-def: $vgpr0_vgpr1
	s_cbranch_execnz .LBB1610_520
	s_branch .LBB1610_876
.LBB1610_9:
	s_set_inst_prefetch_distance 0x2
	s_or_b32 exec_lo, exec_lo, s22
	s_and_saveexec_b32 s0, s23
	s_delay_alu instid0(SALU_CYCLE_1)
	s_xor_b32 s0, exec_lo, s0
	s_cbranch_execz .LBB1610_13
; %bb.10:
	v_dual_mov_b32 v15, v11 :: v_dual_mov_b32 v14, v10
	s_and_saveexec_b32 s1, s19
; %bb.11:
	v_dual_mov_b32 v0, v10 :: v_dual_mov_b32 v1, v11
	v_dual_mov_b32 v2, v8 :: v_dual_mov_b32 v3, v9
	;; [unrolled: 1-line block ×4, first 2 shown]
; %bb.12:
	s_or_b32 exec_lo, exec_lo, s1
	s_delay_alu instid0(VALU_DEP_2)
	v_dual_mov_b32 v10, v14 :: v_dual_mov_b32 v11, v15
.LBB1610_13:
	s_or_b32 exec_lo, exec_lo, s0
.LBB1610_14:
	v_mul_lo_u32 v20, v5, s8
	v_mul_lo_u32 v21, v4, s9
	v_mad_u64_u32 v[18:19], null, v4, s8, 0
	v_dual_mov_b32 v16, v6 :: v_dual_mov_b32 v17, v7
	v_dual_mov_b32 v14, v4 :: v_dual_mov_b32 v15, v5
	s_and_not1_b32 vcc_lo, exec_lo, s7
	s_delay_alu instid0(VALU_DEP_3)
	v_add3_u32 v19, v19, v21, v20
	s_cbranch_vccnz .LBB1610_24
; %bb.15:
	v_mul_lo_u32 v22, v7, s8
	v_mul_lo_u32 v23, v6, s9
	v_mad_u64_u32 v[20:21], null, v6, s8, 0
	v_lshlrev_b64 v[24:25], 3, v[18:19]
	s_mov_b32 s22, 0
	s_mov_b64 s[20:21], s[8:9]
                                        ; implicit-def: $sgpr19
                                        ; implicit-def: $sgpr23
                                        ; implicit-def: $sgpr25
                                        ; implicit-def: $sgpr24
                                        ; implicit-def: $sgpr26
                                        ; implicit-def: $sgpr27
	s_delay_alu instid0(VALU_DEP_2) | instskip(NEXT) | instid1(VALU_DEP_1)
	v_add3_u32 v21, v21, v23, v22
	v_lshlrev_b64 v[22:23], 3, v[20:21]
	s_delay_alu instid0(VALU_DEP_1) | instskip(NEXT) | instid1(VALU_DEP_2)
	v_add_co_u32 v22, vcc_lo, s10, v22
	v_add_co_ci_u32_e32 v23, vcc_lo, s11, v23, vcc_lo
	v_add_co_u32 v24, vcc_lo, s10, v24
	v_add_co_ci_u32_e32 v25, vcc_lo, s11, v25, vcc_lo
	s_set_inst_prefetch_distance 0x1
	s_branch .LBB1610_17
	.p2align	6
.LBB1610_16:                            ;   in Loop: Header=BB1610_17 Depth=1
	s_or_b32 exec_lo, exec_lo, s28
	s_delay_alu instid0(SALU_CYCLE_1) | instskip(NEXT) | instid1(SALU_CYCLE_1)
	s_and_b32 s1, exec_lo, s25
	s_or_b32 s22, s1, s22
	s_and_not1_b32 s1, s27, exec_lo
	s_and_b32 s27, s26, exec_lo
	s_and_not1_b32 s23, s23, exec_lo
	s_or_b32 s27, s1, s27
	s_and_b32 s1, s24, exec_lo
	s_and_not1_b32 s19, s19, exec_lo
	s_and_b32 s0, s0, exec_lo
	s_or_b32 s23, s23, s1
	s_or_b32 s19, s19, s0
	s_and_not1_b32 exec_lo, exec_lo, s22
	s_cbranch_execz .LBB1610_19
.LBB1610_17:                            ; =>This Inner Loop Header: Depth=1
	global_load_b64 v[41:42], v[22:23], off
	global_load_b64 v[43:44], v[24:25], off
	s_and_not1_b32 s26, s26, exec_lo
	s_or_b32 s24, s24, exec_lo
	s_or_b32 s25, s25, exec_lo
	s_waitcnt vmcnt(0)
	v_cmp_le_u64_e32 vcc_lo, v[41:42], v[43:44]
	v_cmp_lt_u64_e64 s0, v[41:42], v[43:44]
	s_and_b32 s28, vcc_lo, s27
	s_delay_alu instid0(VALU_DEP_1) | instid1(SALU_CYCLE_1)
	s_or_b32 s0, s0, s28
	s_mov_b32 s28, exec_lo
	v_cmpx_eq_u64_e64 v[41:42], v[43:44]
	s_cbranch_execz .LBB1610_16
; %bb.18:                               ;   in Loop: Header=BB1610_17 Depth=1
	s_add_u32 s20, s20, -1
	s_addc_u32 s21, s21, -1
	v_add_co_u32 v22, vcc_lo, v22, 8
	s_cmp_eq_u64 s[20:21], 0
	v_add_co_ci_u32_e32 v23, vcc_lo, 0, v23, vcc_lo
	v_add_co_u32 v24, vcc_lo, v24, 8
	s_cselect_b32 s1, -1, 0
	v_add_co_ci_u32_e32 v25, vcc_lo, 0, v25, vcc_lo
	s_and_not1_b32 s26, s26, exec_lo
	s_and_b32 s27, s0, exec_lo
	s_and_not1_b32 s25, s25, exec_lo
	s_and_b32 s1, s1, exec_lo
	s_or_b32 s26, s26, s27
	s_and_not1_b32 s24, s24, exec_lo
	s_or_b32 s25, s25, s1
                                        ; implicit-def: $sgpr27
	s_branch .LBB1610_16
.LBB1610_19:
	s_set_inst_prefetch_distance 0x2
	s_or_b32 exec_lo, exec_lo, s22
	s_and_saveexec_b32 s0, s23
	s_delay_alu instid0(SALU_CYCLE_1)
	s_xor_b32 s0, exec_lo, s0
	s_cbranch_execz .LBB1610_23
; %bb.20:
	s_and_saveexec_b32 s1, s19
	s_cbranch_execz .LBB1610_22
; %bb.21:
	v_dual_mov_b32 v41, v0 :: v_dual_mov_b32 v42, v1
	v_dual_mov_b32 v43, v2 :: v_dual_mov_b32 v44, v3
	;; [unrolled: 1-line block ×12, first 2 shown]
.LBB1610_22:
	s_or_b32 exec_lo, exec_lo, s1
.LBB1610_23:
	s_delay_alu instid0(SALU_CYCLE_1)
	s_or_b32 exec_lo, exec_lo, s0
.LBB1610_24:
	v_mul_lo_u32 v22, v11, s8
	v_mul_lo_u32 v23, v10, s9
	v_mad_u64_u32 v[20:21], null, v10, s8, 0
	s_and_not1_b32 vcc_lo, exec_lo, s7
	s_delay_alu instid0(VALU_DEP_1)
	v_add3_u32 v21, v21, v23, v22
	s_cbranch_vccnz .LBB1610_34
; %bb.25:
	v_lshlrev_b64 v[22:23], 3, v[18:19]
	s_delay_alu instid0(VALU_DEP_2) | instskip(SKIP_2) | instid1(VALU_DEP_2)
	v_lshlrev_b64 v[24:25], 3, v[20:21]
	s_mov_b32 s22, 0
	s_mov_b64 s[20:21], s[8:9]
                                        ; implicit-def: $sgpr19
                                        ; implicit-def: $sgpr23
                                        ; implicit-def: $sgpr25
                                        ; implicit-def: $sgpr24
                                        ; implicit-def: $sgpr26
                                        ; implicit-def: $sgpr27
	v_add_co_u32 v22, vcc_lo, s10, v22
	s_delay_alu instid0(VALU_DEP_3) | instskip(NEXT) | instid1(VALU_DEP_3)
	v_add_co_ci_u32_e32 v23, vcc_lo, s11, v23, vcc_lo
	v_add_co_u32 v24, vcc_lo, s10, v24
	v_add_co_ci_u32_e32 v25, vcc_lo, s11, v25, vcc_lo
	s_set_inst_prefetch_distance 0x1
	s_branch .LBB1610_27
	.p2align	6
.LBB1610_26:                            ;   in Loop: Header=BB1610_27 Depth=1
	s_or_b32 exec_lo, exec_lo, s28
	s_delay_alu instid0(SALU_CYCLE_1) | instskip(NEXT) | instid1(SALU_CYCLE_1)
	s_and_b32 s1, exec_lo, s25
	s_or_b32 s22, s1, s22
	s_and_not1_b32 s1, s27, exec_lo
	s_and_b32 s27, s26, exec_lo
	s_and_not1_b32 s23, s23, exec_lo
	s_or_b32 s27, s1, s27
	s_and_b32 s1, s24, exec_lo
	s_and_not1_b32 s19, s19, exec_lo
	s_and_b32 s0, s0, exec_lo
	s_or_b32 s23, s23, s1
	s_or_b32 s19, s19, s0
	s_and_not1_b32 exec_lo, exec_lo, s22
	s_cbranch_execz .LBB1610_29
.LBB1610_27:                            ; =>This Inner Loop Header: Depth=1
	global_load_b64 v[41:42], v[22:23], off
	global_load_b64 v[43:44], v[24:25], off
	s_and_not1_b32 s26, s26, exec_lo
	s_or_b32 s24, s24, exec_lo
	s_or_b32 s25, s25, exec_lo
	s_waitcnt vmcnt(0)
	v_cmp_le_u64_e32 vcc_lo, v[41:42], v[43:44]
	v_cmp_lt_u64_e64 s0, v[41:42], v[43:44]
	s_and_b32 s28, vcc_lo, s27
	s_delay_alu instid0(VALU_DEP_1) | instid1(SALU_CYCLE_1)
	s_or_b32 s0, s0, s28
	s_mov_b32 s28, exec_lo
	v_cmpx_eq_u64_e64 v[41:42], v[43:44]
	s_cbranch_execz .LBB1610_26
; %bb.28:                               ;   in Loop: Header=BB1610_27 Depth=1
	s_add_u32 s20, s20, -1
	s_addc_u32 s21, s21, -1
	v_add_co_u32 v22, vcc_lo, v22, 8
	s_cmp_eq_u64 s[20:21], 0
	v_add_co_ci_u32_e32 v23, vcc_lo, 0, v23, vcc_lo
	v_add_co_u32 v24, vcc_lo, v24, 8
	s_cselect_b32 s1, -1, 0
	v_add_co_ci_u32_e32 v25, vcc_lo, 0, v25, vcc_lo
	s_and_not1_b32 s26, s26, exec_lo
	s_and_b32 s27, s0, exec_lo
	s_and_not1_b32 s25, s25, exec_lo
	s_and_b32 s1, s1, exec_lo
	s_or_b32 s26, s26, s27
	s_and_not1_b32 s24, s24, exec_lo
	s_or_b32 s25, s25, s1
                                        ; implicit-def: $sgpr27
	s_branch .LBB1610_26
.LBB1610_29:
	s_set_inst_prefetch_distance 0x2
	s_or_b32 exec_lo, exec_lo, s22
	s_and_saveexec_b32 s0, s23
	s_delay_alu instid0(SALU_CYCLE_1)
	s_xor_b32 s0, exec_lo, s0
	s_cbranch_execz .LBB1610_33
; %bb.30:
	v_dual_mov_b32 v23, v11 :: v_dual_mov_b32 v22, v10
	s_and_saveexec_b32 s1, s19
; %bb.31:
	v_dual_mov_b32 v2, v14 :: v_dual_mov_b32 v3, v15
	v_dual_mov_b32 v4, v10 :: v_dual_mov_b32 v5, v11
	;; [unrolled: 1-line block ×5, first 2 shown]
; %bb.32:
	s_or_b32 exec_lo, exec_lo, s1
	s_delay_alu instid0(VALU_DEP_3)
	v_dual_mov_b32 v10, v22 :: v_dual_mov_b32 v11, v23
.LBB1610_33:
	s_or_b32 exec_lo, exec_lo, s0
.LBB1610_34:
	s_delay_alu instid0(SALU_CYCLE_1)
	s_and_not1_b32 vcc_lo, exec_lo, s7
	s_cbranch_vccnz .LBB1610_44
; %bb.35:
	v_mul_lo_u32 v22, v9, s8
	v_mul_lo_u32 v23, v8, s9
	v_mad_u64_u32 v[18:19], null, v8, s8, 0
	v_lshlrev_b64 v[20:21], 3, v[20:21]
	s_mov_b32 s22, 0
	s_mov_b64 s[20:21], s[8:9]
                                        ; implicit-def: $sgpr19
                                        ; implicit-def: $sgpr23
                                        ; implicit-def: $sgpr25
                                        ; implicit-def: $sgpr24
                                        ; implicit-def: $sgpr26
                                        ; implicit-def: $sgpr27
	s_delay_alu instid0(VALU_DEP_2) | instskip(NEXT) | instid1(VALU_DEP_1)
	v_add3_u32 v19, v19, v23, v22
	v_lshlrev_b64 v[22:23], 3, v[18:19]
	s_delay_alu instid0(VALU_DEP_3) | instskip(SKIP_1) | instid1(VALU_DEP_3)
	v_add_co_u32 v18, vcc_lo, s10, v20
	v_add_co_ci_u32_e32 v19, vcc_lo, s11, v21, vcc_lo
	v_add_co_u32 v20, vcc_lo, s10, v22
	s_delay_alu instid0(VALU_DEP_4)
	v_add_co_ci_u32_e32 v21, vcc_lo, s11, v23, vcc_lo
	s_set_inst_prefetch_distance 0x1
	s_branch .LBB1610_37
	.p2align	6
.LBB1610_36:                            ;   in Loop: Header=BB1610_37 Depth=1
	s_or_b32 exec_lo, exec_lo, s28
	s_delay_alu instid0(SALU_CYCLE_1) | instskip(NEXT) | instid1(SALU_CYCLE_1)
	s_and_b32 s1, exec_lo, s25
	s_or_b32 s22, s1, s22
	s_and_not1_b32 s1, s27, exec_lo
	s_and_b32 s27, s26, exec_lo
	s_and_not1_b32 s23, s23, exec_lo
	s_or_b32 s27, s1, s27
	s_and_b32 s1, s24, exec_lo
	s_and_not1_b32 s19, s19, exec_lo
	s_and_b32 s0, s0, exec_lo
	s_or_b32 s23, s23, s1
	s_or_b32 s19, s19, s0
	s_and_not1_b32 exec_lo, exec_lo, s22
	s_cbranch_execz .LBB1610_39
.LBB1610_37:                            ; =>This Inner Loop Header: Depth=1
	global_load_b64 v[22:23], v[18:19], off
	global_load_b64 v[24:25], v[20:21], off
	s_and_not1_b32 s26, s26, exec_lo
	s_or_b32 s24, s24, exec_lo
	s_or_b32 s25, s25, exec_lo
	s_waitcnt vmcnt(0)
	v_cmp_le_u64_e32 vcc_lo, v[22:23], v[24:25]
	v_cmp_lt_u64_e64 s0, v[22:23], v[24:25]
	s_and_b32 s28, vcc_lo, s27
	s_delay_alu instid0(VALU_DEP_1) | instid1(SALU_CYCLE_1)
	s_or_b32 s0, s0, s28
	s_mov_b32 s28, exec_lo
	v_cmpx_eq_u64_e64 v[22:23], v[24:25]
	s_cbranch_execz .LBB1610_36
; %bb.38:                               ;   in Loop: Header=BB1610_37 Depth=1
	s_add_u32 s20, s20, -1
	s_addc_u32 s21, s21, -1
	v_add_co_u32 v18, vcc_lo, v18, 8
	s_cmp_eq_u64 s[20:21], 0
	v_add_co_ci_u32_e32 v19, vcc_lo, 0, v19, vcc_lo
	v_add_co_u32 v20, vcc_lo, v20, 8
	s_cselect_b32 s1, -1, 0
	v_add_co_ci_u32_e32 v21, vcc_lo, 0, v21, vcc_lo
	s_and_not1_b32 s26, s26, exec_lo
	s_and_b32 s27, s0, exec_lo
	s_and_not1_b32 s25, s25, exec_lo
	s_and_b32 s1, s1, exec_lo
	s_or_b32 s26, s26, s27
	s_and_not1_b32 s24, s24, exec_lo
	s_or_b32 s25, s25, s1
                                        ; implicit-def: $sgpr27
	s_branch .LBB1610_36
.LBB1610_39:
	s_set_inst_prefetch_distance 0x2
	s_or_b32 exec_lo, exec_lo, s22
	s_and_saveexec_b32 s0, s23
	s_delay_alu instid0(SALU_CYCLE_1)
	s_xor_b32 s0, exec_lo, s0
	s_cbranch_execz .LBB1610_43
; %bb.40:
	v_dual_mov_b32 v19, v11 :: v_dual_mov_b32 v18, v10
	s_and_saveexec_b32 s1, s19
; %bb.41:
	v_dual_mov_b32 v0, v10 :: v_dual_mov_b32 v1, v11
	v_dual_mov_b32 v2, v8 :: v_dual_mov_b32 v3, v9
	;; [unrolled: 1-line block ×4, first 2 shown]
; %bb.42:
	s_or_b32 exec_lo, exec_lo, s1
	s_delay_alu instid0(VALU_DEP_2)
	v_dual_mov_b32 v10, v18 :: v_dual_mov_b32 v11, v19
.LBB1610_43:
	s_or_b32 exec_lo, exec_lo, s0
.LBB1610_44:
	v_mul_lo_u32 v20, v15, s8
	v_mul_lo_u32 v21, v14, s9
	v_mad_u64_u32 v[18:19], null, v14, s8, 0
	s_and_not1_b32 vcc_lo, exec_lo, s7
	s_delay_alu instid0(VALU_DEP_1)
	v_add3_u32 v19, v19, v21, v20
	s_cbranch_vccnz .LBB1610_54
; %bb.45:
	v_mul_lo_u32 v22, v17, s8
	v_mul_lo_u32 v23, v16, s9
	v_mad_u64_u32 v[20:21], null, v16, s8, 0
	v_lshlrev_b64 v[24:25], 3, v[18:19]
	s_mov_b32 s22, 0
	s_mov_b64 s[20:21], s[8:9]
                                        ; implicit-def: $sgpr19
                                        ; implicit-def: $sgpr23
                                        ; implicit-def: $sgpr25
                                        ; implicit-def: $sgpr24
                                        ; implicit-def: $sgpr26
                                        ; implicit-def: $sgpr27
	s_delay_alu instid0(VALU_DEP_2) | instskip(NEXT) | instid1(VALU_DEP_1)
	v_add3_u32 v21, v21, v23, v22
	v_lshlrev_b64 v[22:23], 3, v[20:21]
	s_delay_alu instid0(VALU_DEP_1) | instskip(NEXT) | instid1(VALU_DEP_2)
	v_add_co_u32 v22, vcc_lo, s10, v22
	v_add_co_ci_u32_e32 v23, vcc_lo, s11, v23, vcc_lo
	v_add_co_u32 v24, vcc_lo, s10, v24
	v_add_co_ci_u32_e32 v25, vcc_lo, s11, v25, vcc_lo
	s_set_inst_prefetch_distance 0x1
	s_branch .LBB1610_47
	.p2align	6
.LBB1610_46:                            ;   in Loop: Header=BB1610_47 Depth=1
	s_or_b32 exec_lo, exec_lo, s28
	s_delay_alu instid0(SALU_CYCLE_1) | instskip(NEXT) | instid1(SALU_CYCLE_1)
	s_and_b32 s1, exec_lo, s25
	s_or_b32 s22, s1, s22
	s_and_not1_b32 s1, s27, exec_lo
	s_and_b32 s27, s26, exec_lo
	s_and_not1_b32 s23, s23, exec_lo
	s_or_b32 s27, s1, s27
	s_and_b32 s1, s24, exec_lo
	s_and_not1_b32 s19, s19, exec_lo
	s_and_b32 s0, s0, exec_lo
	s_or_b32 s23, s23, s1
	s_or_b32 s19, s19, s0
	s_and_not1_b32 exec_lo, exec_lo, s22
	s_cbranch_execz .LBB1610_49
.LBB1610_47:                            ; =>This Inner Loop Header: Depth=1
	global_load_b64 v[41:42], v[22:23], off
	global_load_b64 v[43:44], v[24:25], off
	s_and_not1_b32 s26, s26, exec_lo
	s_or_b32 s24, s24, exec_lo
	s_or_b32 s25, s25, exec_lo
	s_waitcnt vmcnt(0)
	v_cmp_le_u64_e32 vcc_lo, v[41:42], v[43:44]
	v_cmp_lt_u64_e64 s0, v[41:42], v[43:44]
	s_and_b32 s28, vcc_lo, s27
	s_delay_alu instid0(VALU_DEP_1) | instid1(SALU_CYCLE_1)
	s_or_b32 s0, s0, s28
	s_mov_b32 s28, exec_lo
	v_cmpx_eq_u64_e64 v[41:42], v[43:44]
	s_cbranch_execz .LBB1610_46
; %bb.48:                               ;   in Loop: Header=BB1610_47 Depth=1
	s_add_u32 s20, s20, -1
	s_addc_u32 s21, s21, -1
	v_add_co_u32 v22, vcc_lo, v22, 8
	s_cmp_eq_u64 s[20:21], 0
	v_add_co_ci_u32_e32 v23, vcc_lo, 0, v23, vcc_lo
	v_add_co_u32 v24, vcc_lo, v24, 8
	s_cselect_b32 s1, -1, 0
	v_add_co_ci_u32_e32 v25, vcc_lo, 0, v25, vcc_lo
	s_and_not1_b32 s26, s26, exec_lo
	s_and_b32 s27, s0, exec_lo
	s_and_not1_b32 s25, s25, exec_lo
	s_and_b32 s1, s1, exec_lo
	s_or_b32 s26, s26, s27
	s_and_not1_b32 s24, s24, exec_lo
	s_or_b32 s25, s25, s1
                                        ; implicit-def: $sgpr27
	s_branch .LBB1610_46
.LBB1610_49:
	s_set_inst_prefetch_distance 0x2
	s_or_b32 exec_lo, exec_lo, s22
	s_and_saveexec_b32 s0, s23
	s_delay_alu instid0(SALU_CYCLE_1)
	s_xor_b32 s0, exec_lo, s0
	s_cbranch_execz .LBB1610_53
; %bb.50:
	s_and_saveexec_b32 s1, s19
; %bb.51:
	v_dual_mov_b32 v4, v16 :: v_dual_mov_b32 v5, v17
	v_dual_mov_b32 v6, v14 :: v_dual_mov_b32 v7, v15
	;; [unrolled: 1-line block ×4, first 2 shown]
; %bb.52:
	s_or_b32 exec_lo, exec_lo, s1
.LBB1610_53:
	s_delay_alu instid0(SALU_CYCLE_1)
	s_or_b32 exec_lo, exec_lo, s0
.LBB1610_54:
	s_delay_alu instid0(SALU_CYCLE_1)
	s_and_not1_b32 vcc_lo, exec_lo, s7
	s_cbranch_vccnz .LBB1610_62
; %bb.55:
	v_mul_lo_u32 v20, v11, s8
	v_mul_lo_u32 v21, v10, s9
	v_mad_u64_u32 v[16:17], null, v10, s8, 0
	v_lshlrev_b64 v[18:19], 3, v[18:19]
	s_mov_b32 s22, 0
	s_mov_b64 s[20:21], s[8:9]
                                        ; implicit-def: $sgpr19
                                        ; implicit-def: $sgpr23
                                        ; implicit-def: $sgpr25
                                        ; implicit-def: $sgpr24
                                        ; implicit-def: $sgpr26
                                        ; implicit-def: $sgpr27
	s_delay_alu instid0(VALU_DEP_2) | instskip(NEXT) | instid1(VALU_DEP_1)
	v_add3_u32 v17, v17, v21, v20
	v_lshlrev_b64 v[20:21], 3, v[16:17]
	s_delay_alu instid0(VALU_DEP_3) | instskip(SKIP_1) | instid1(VALU_DEP_3)
	v_add_co_u32 v16, vcc_lo, s10, v18
	v_add_co_ci_u32_e32 v17, vcc_lo, s11, v19, vcc_lo
	v_add_co_u32 v18, vcc_lo, s10, v20
	s_delay_alu instid0(VALU_DEP_4)
	v_add_co_ci_u32_e32 v19, vcc_lo, s11, v21, vcc_lo
	s_set_inst_prefetch_distance 0x1
	s_branch .LBB1610_57
	.p2align	6
.LBB1610_56:                            ;   in Loop: Header=BB1610_57 Depth=1
	s_or_b32 exec_lo, exec_lo, s28
	s_delay_alu instid0(SALU_CYCLE_1) | instskip(NEXT) | instid1(SALU_CYCLE_1)
	s_and_b32 s1, exec_lo, s25
	s_or_b32 s22, s1, s22
	s_and_not1_b32 s1, s27, exec_lo
	s_and_b32 s27, s26, exec_lo
	s_and_not1_b32 s23, s23, exec_lo
	s_or_b32 s27, s1, s27
	s_and_b32 s1, s24, exec_lo
	s_and_not1_b32 s19, s19, exec_lo
	s_and_b32 s0, s0, exec_lo
	s_or_b32 s23, s23, s1
	s_or_b32 s19, s19, s0
	s_and_not1_b32 exec_lo, exec_lo, s22
	s_cbranch_execz .LBB1610_59
.LBB1610_57:                            ; =>This Inner Loop Header: Depth=1
	global_load_b64 v[20:21], v[16:17], off
	global_load_b64 v[22:23], v[18:19], off
	s_and_not1_b32 s26, s26, exec_lo
	s_or_b32 s24, s24, exec_lo
	s_or_b32 s25, s25, exec_lo
	s_waitcnt vmcnt(0)
	v_cmp_le_u64_e32 vcc_lo, v[20:21], v[22:23]
	v_cmp_lt_u64_e64 s0, v[20:21], v[22:23]
	s_and_b32 s28, vcc_lo, s27
	s_delay_alu instid0(VALU_DEP_1) | instid1(SALU_CYCLE_1)
	s_or_b32 s0, s0, s28
	s_mov_b32 s28, exec_lo
	v_cmpx_eq_u64_e64 v[20:21], v[22:23]
	s_cbranch_execz .LBB1610_56
; %bb.58:                               ;   in Loop: Header=BB1610_57 Depth=1
	s_add_u32 s20, s20, -1
	s_addc_u32 s21, s21, -1
	v_add_co_u32 v16, vcc_lo, v16, 8
	s_cmp_eq_u64 s[20:21], 0
	v_add_co_ci_u32_e32 v17, vcc_lo, 0, v17, vcc_lo
	v_add_co_u32 v18, vcc_lo, v18, 8
	s_cselect_b32 s1, -1, 0
	v_add_co_ci_u32_e32 v19, vcc_lo, 0, v19, vcc_lo
	s_and_not1_b32 s26, s26, exec_lo
	s_and_b32 s27, s0, exec_lo
	s_and_not1_b32 s25, s25, exec_lo
	s_and_b32 s1, s1, exec_lo
	s_or_b32 s26, s26, s27
	s_and_not1_b32 s24, s24, exec_lo
	s_or_b32 s25, s25, s1
                                        ; implicit-def: $sgpr27
	s_branch .LBB1610_56
.LBB1610_59:
	s_set_inst_prefetch_distance 0x2
	s_or_b32 exec_lo, exec_lo, s22
	s_and_saveexec_b32 s0, s23
	s_delay_alu instid0(SALU_CYCLE_1)
	s_xor_b32 s0, exec_lo, s0
; %bb.60:
	v_cndmask_b32_e64 v5, v5, v11, s19
	v_cndmask_b32_e64 v4, v4, v10, s19
	;; [unrolled: 1-line block ×4, first 2 shown]
; %bb.61:
	s_or_b32 exec_lo, exec_lo, s0
.LBB1610_62:
	s_delay_alu instid0(SALU_CYCLE_1) | instskip(SKIP_4) | instid1(VALU_DEP_2)
	s_or_b32 exec_lo, exec_lo, s12
	v_mbcnt_lo_u32_b32 v11, -1, 0
	v_and_b32_e32 v10, 0xffffff80, v40
	s_mov_b32 s1, 0
	s_mov_b32 s12, exec_lo
	v_lshlrev_b32_e32 v18, 2, v11
	s_delay_alu instid0(VALU_DEP_2) | instskip(SKIP_2) | instid1(VALU_DEP_4)
	v_sub_nc_u32_e64 v17, 0x400, v10 clamp
	v_lshlrev_b32_e32 v16, 3, v10
	v_mov_b32_e32 v10, v2
	v_or_b32_e32 v14, 4, v18
	v_and_b32_e32 v19, 4, v18
	v_and_b32_e32 v22, 0x78, v18
	s_delay_alu instid0(VALU_DEP_3) | instskip(NEXT) | instid1(VALU_DEP_3)
	v_min_u32_e32 v14, v17, v14
	v_min_u32_e32 v23, v17, v19
	v_lshl_or_b32 v19, v11, 5, v16
	v_mov_b32_e32 v11, v3
	ds_store_b128 v19, v[8:11]
	ds_store_b128 v19, v[4:7] offset:16
	v_add_nc_u32_e32 v15, 4, v14
	v_sub_nc_u32_e32 v21, v14, v22
	; wave barrier
	s_delay_alu instid0(VALU_DEP_2) | instskip(NEXT) | instid1(VALU_DEP_2)
	v_min_u32_e32 v15, v17, v15
	v_min_u32_e32 v24, v23, v21
	v_lshl_or_b32 v21, v22, 3, v16
	s_delay_alu instid0(VALU_DEP_3) | instskip(NEXT) | instid1(VALU_DEP_1)
	v_sub_nc_u32_e32 v20, v15, v14
	v_sub_nc_u32_e64 v20, v23, v20 clamp
	s_delay_alu instid0(VALU_DEP_1)
	v_cmpx_lt_u32_e64 v20, v24
	s_cbranch_execz .LBB1610_73
; %bb.63:
	v_lshlrev_b32_e32 v8, 3, v14
	v_lshlrev_b32_e32 v9, 3, v23
	s_lshl_b64 s[20:21], s[8:9], 3
	s_delay_alu instid0(VALU_DEP_1)
	v_add3_u32 v25, v16, v8, v9
	s_branch .LBB1610_66
.LBB1610_64:                            ;   in Loop: Header=BB1610_66 Depth=1
	s_set_inst_prefetch_distance 0x2
	s_or_b32 exec_lo, exec_lo, s19
.LBB1610_65:                            ;   in Loop: Header=BB1610_66 Depth=1
	s_delay_alu instid0(VALU_DEP_1) | instskip(SKIP_1) | instid1(VALU_DEP_2)
	v_add_nc_u32_e32 v8, 1, v40
	v_cndmask_b32_e64 v24, v24, v40, s24
	v_cndmask_b32_e64 v20, v8, v20, s24
	s_delay_alu instid0(VALU_DEP_1) | instskip(SKIP_1) | instid1(SALU_CYCLE_1)
	v_cmp_ge_u32_e32 vcc_lo, v20, v24
	s_or_b32 s1, vcc_lo, s1
	s_and_not1_b32 exec_lo, exec_lo, s1
	s_cbranch_execz .LBB1610_72
.LBB1610_66:                            ; =>This Loop Header: Depth=1
                                        ;     Child Loop BB1610_69 Depth 2
	v_add_nc_u32_e32 v8, v24, v20
	s_and_not1_b32 vcc_lo, exec_lo, s7
	s_delay_alu instid0(VALU_DEP_1)
	v_lshrrev_b32_e32 v40, 1, v8
	s_cbranch_vccnz .LBB1610_71
; %bb.67:                               ;   in Loop: Header=BB1610_66 Depth=1
	s_delay_alu instid0(VALU_DEP_1) | instskip(SKIP_3) | instid1(VALU_DEP_2)
	v_not_b32_e32 v8, v40
	v_lshl_add_u32 v9, v40, 3, v21
	s_mov_b32 s19, 0
	s_mov_b64 s[22:23], s[8:9]
                                        ; implicit-def: $sgpr24
                                        ; implicit-def: $sgpr25
                                        ; implicit-def: $sgpr26
                                        ; implicit-def: $sgpr27
                                        ; implicit-def: $sgpr28
	v_lshl_add_u32 v8, v8, 3, v25
	ds_load_b64 v[10:11], v8
	ds_load_b64 v[41:42], v9
	s_waitcnt lgkmcnt(1)
	v_mul_lo_u32 v43, s20, v11
	v_mul_lo_u32 v44, s21, v10
	v_mad_u64_u32 v[8:9], null, s20, v10, s[10:11]
	s_waitcnt lgkmcnt(0)
	v_mul_lo_u32 v42, s20, v42
	v_mul_lo_u32 v45, s21, v41
	v_mad_u64_u32 v[10:11], null, s20, v41, s[10:11]
	s_delay_alu instid0(VALU_DEP_4) | instskip(NEXT) | instid1(VALU_DEP_2)
	v_add3_u32 v9, v44, v9, v43
	v_add3_u32 v11, v45, v11, v42
	s_set_inst_prefetch_distance 0x1
	s_branch .LBB1610_69
	.p2align	6
.LBB1610_68:                            ;   in Loop: Header=BB1610_69 Depth=2
	s_or_b32 exec_lo, exec_lo, s0
	s_delay_alu instid0(SALU_CYCLE_1) | instskip(NEXT) | instid1(SALU_CYCLE_1)
	s_and_b32 s0, exec_lo, s25
	s_or_b32 s19, s0, s19
	s_and_not1_b32 s0, s28, exec_lo
	s_and_b32 s28, s26, exec_lo
	s_and_not1_b32 s24, s24, exec_lo
	s_and_b32 s29, s27, exec_lo
	s_or_b32 s28, s0, s28
	s_or_b32 s24, s24, s29
	s_and_not1_b32 exec_lo, exec_lo, s19
	s_cbranch_execz .LBB1610_64
.LBB1610_69:                            ;   Parent Loop BB1610_66 Depth=1
                                        ; =>  This Inner Loop Header: Depth=2
	global_load_b64 v[41:42], v[8:9], off
	global_load_b64 v[43:44], v[10:11], off
	s_and_not1_b32 s27, s27, exec_lo
	s_and_not1_b32 s26, s26, exec_lo
	s_or_b32 s25, s25, exec_lo
	s_waitcnt vmcnt(0)
	v_cmp_le_u64_e32 vcc_lo, v[41:42], v[43:44]
	v_cmp_lt_u64_e64 s0, v[41:42], v[43:44]
	s_and_b32 s29, vcc_lo, s28
	s_delay_alu instid0(VALU_DEP_1) | instid1(SALU_CYCLE_1)
	s_or_b32 s29, s0, s29
	s_delay_alu instid0(SALU_CYCLE_1) | instskip(NEXT) | instid1(SALU_CYCLE_1)
	s_and_b32 s0, s29, exec_lo
	s_or_b32 s27, s27, s0
	s_mov_b32 s0, exec_lo
	v_cmpx_eq_u64_e64 v[41:42], v[43:44]
	s_cbranch_execz .LBB1610_68
; %bb.70:                               ;   in Loop: Header=BB1610_69 Depth=2
	s_add_u32 s22, s22, -1
	s_addc_u32 s23, s23, -1
	v_add_co_u32 v8, vcc_lo, v8, 8
	s_cmp_eq_u64 s[22:23], 0
	v_add_co_ci_u32_e32 v9, vcc_lo, 0, v9, vcc_lo
	s_cselect_b32 s28, -1, 0
	v_add_co_u32 v10, vcc_lo, v10, 8
	s_and_not1_b32 s26, s26, exec_lo
	s_and_b32 s29, s29, exec_lo
	s_and_not1_b32 s25, s25, exec_lo
	s_and_b32 s28, s28, exec_lo
	v_add_co_ci_u32_e32 v11, vcc_lo, 0, v11, vcc_lo
	s_and_not1_b32 s27, s27, exec_lo
	s_or_b32 s26, s26, s29
	s_or_b32 s25, s25, s28
                                        ; implicit-def: $sgpr28
	s_branch .LBB1610_68
.LBB1610_71:                            ;   in Loop: Header=BB1610_66 Depth=1
	s_mov_b32 s24, 0
	s_branch .LBB1610_65
.LBB1610_72:
	s_or_b32 exec_lo, exec_lo, s1
.LBB1610_73:
	s_delay_alu instid0(SALU_CYCLE_1) | instskip(SKIP_2) | instid1(VALU_DEP_2)
	s_or_b32 exec_lo, exec_lo, s12
	v_add_nc_u32_e32 v9, v14, v23
	v_add_nc_u32_e32 v8, v20, v22
	v_sub_nc_u32_e32 v9, v9, v20
	s_delay_alu instid0(VALU_DEP_2) | instskip(NEXT) | instid1(VALU_DEP_2)
	v_cmp_le_u32_e32 vcc_lo, v8, v14
	v_cmp_le_u32_e64 s0, v9, v15
	s_delay_alu instid0(VALU_DEP_1) | instskip(NEXT) | instid1(SALU_CYCLE_1)
	s_or_b32 s0, vcc_lo, s0
	s_and_saveexec_b32 s1, s0
	s_cbranch_execz .LBB1610_120
; %bb.74:
	v_cmp_ge_u32_e32 vcc_lo, v8, v14
	s_mov_b32 s12, exec_lo
                                        ; implicit-def: $vgpr0_vgpr1
	v_cmpx_lt_u32_e64 v8, v14
	s_cbranch_execz .LBB1610_76
; %bb.75:
	v_lshl_add_u32 v0, v20, 3, v21
	ds_load_b64 v[0:1], v0
.LBB1610_76:
	s_or_b32 exec_lo, exec_lo, s12
	v_cmp_ge_u32_e64 s12, v9, v15
	s_mov_b32 s19, exec_lo
                                        ; implicit-def: $vgpr2_vgpr3
	v_cmpx_lt_u32_e64 v9, v15
	s_cbranch_execz .LBB1610_78
; %bb.77:
	v_lshl_add_u32 v2, v9, 3, v16
	ds_load_b64 v[2:3], v2
.LBB1610_78:
	s_or_b32 exec_lo, exec_lo, s19
	s_or_b32 s0, vcc_lo, s12
	s_mov_b32 s19, -1
	s_xor_b32 s0, s0, -1
	s_delay_alu instid0(SALU_CYCLE_1)
	s_and_saveexec_b32 s22, s0
	s_cbranch_execz .LBB1610_87
; %bb.79:
	s_and_not1_b32 vcc_lo, exec_lo, s7
	s_cbranch_vccnz .LBB1610_85
; %bb.80:
	s_waitcnt lgkmcnt(0)
	v_mul_lo_u32 v10, v3, s8
	v_mul_lo_u32 v11, v2, s9
	v_mad_u64_u32 v[4:5], null, v2, s8, 0
	v_mul_lo_u32 v20, v1, s8
	v_mul_lo_u32 v21, v0, s9
	v_mad_u64_u32 v[6:7], null, v0, s8, 0
	s_mov_b32 s23, 0
	s_mov_b64 s[20:21], s[8:9]
	s_delay_alu instid0(VALU_DEP_4) | instskip(NEXT) | instid1(VALU_DEP_2)
	v_add3_u32 v5, v5, v11, v10
                                        ; implicit-def: $sgpr24
                                        ; implicit-def: $sgpr25
                                        ; implicit-def: $sgpr26
                                        ; implicit-def: $sgpr27
                                        ; implicit-def: $sgpr28
	v_add3_u32 v7, v7, v21, v20
	s_delay_alu instid0(VALU_DEP_2) | instskip(NEXT) | instid1(VALU_DEP_2)
	v_lshlrev_b64 v[4:5], 3, v[4:5]
	v_lshlrev_b64 v[6:7], 3, v[6:7]
	s_delay_alu instid0(VALU_DEP_2) | instskip(NEXT) | instid1(VALU_DEP_3)
	v_add_co_u32 v4, vcc_lo, s10, v4
	v_add_co_ci_u32_e32 v5, vcc_lo, s11, v5, vcc_lo
	s_delay_alu instid0(VALU_DEP_3) | instskip(NEXT) | instid1(VALU_DEP_4)
	v_add_co_u32 v6, vcc_lo, s10, v6
	v_add_co_ci_u32_e32 v7, vcc_lo, s11, v7, vcc_lo
	s_set_inst_prefetch_distance 0x1
	s_branch .LBB1610_82
	.p2align	6
.LBB1610_81:                            ;   in Loop: Header=BB1610_82 Depth=1
	s_or_b32 exec_lo, exec_lo, s0
	s_delay_alu instid0(SALU_CYCLE_1) | instskip(NEXT) | instid1(SALU_CYCLE_1)
	s_and_b32 s0, exec_lo, s25
	s_or_b32 s23, s0, s23
	s_and_not1_b32 s0, s28, exec_lo
	s_and_b32 s28, s27, exec_lo
	s_and_not1_b32 s24, s24, exec_lo
	s_and_b32 s29, s26, exec_lo
	s_or_b32 s28, s0, s28
	s_or_b32 s24, s24, s29
	s_and_not1_b32 exec_lo, exec_lo, s23
	s_cbranch_execz .LBB1610_84
.LBB1610_82:                            ; =>This Inner Loop Header: Depth=1
	global_load_b64 v[10:11], v[4:5], off
	global_load_b64 v[20:21], v[6:7], off
	s_and_not1_b32 s26, s26, exec_lo
	s_and_not1_b32 s27, s27, exec_lo
	s_or_b32 s25, s25, exec_lo
	s_waitcnt vmcnt(0)
	v_cmp_le_u64_e32 vcc_lo, v[10:11], v[20:21]
	v_cmp_lt_u64_e64 s0, v[10:11], v[20:21]
	s_and_b32 s29, vcc_lo, s28
	s_delay_alu instid0(VALU_DEP_1) | instid1(SALU_CYCLE_1)
	s_or_b32 s29, s0, s29
	s_delay_alu instid0(SALU_CYCLE_1) | instskip(NEXT) | instid1(SALU_CYCLE_1)
	s_and_b32 s0, s29, exec_lo
	s_or_b32 s26, s26, s0
	s_mov_b32 s0, exec_lo
	v_cmpx_eq_u64_e64 v[10:11], v[20:21]
	s_cbranch_execz .LBB1610_81
; %bb.83:                               ;   in Loop: Header=BB1610_82 Depth=1
	s_add_u32 s20, s20, -1
	s_addc_u32 s21, s21, -1
	v_add_co_u32 v4, vcc_lo, v4, 8
	s_cmp_eq_u64 s[20:21], 0
	v_add_co_ci_u32_e32 v5, vcc_lo, 0, v5, vcc_lo
	s_cselect_b32 s28, -1, 0
	s_and_not1_b32 s27, s27, exec_lo
	s_and_b32 s29, s29, exec_lo
	v_add_co_u32 v6, vcc_lo, v6, 8
	s_and_not1_b32 s25, s25, exec_lo
	s_and_b32 s28, s28, exec_lo
	v_add_co_ci_u32_e32 v7, vcc_lo, 0, v7, vcc_lo
	s_or_b32 s27, s27, s29
	s_and_not1_b32 s26, s26, exec_lo
	s_or_b32 s25, s25, s28
                                        ; implicit-def: $sgpr28
	s_branch .LBB1610_81
.LBB1610_84:
	s_set_inst_prefetch_distance 0x2
	s_or_b32 exec_lo, exec_lo, s23
	s_xor_b32 s0, s24, -1
	s_branch .LBB1610_86
.LBB1610_85:
	s_mov_b32 s0, -1
.LBB1610_86:
	s_and_not1_b32 s12, s12, exec_lo
	s_and_b32 s0, s0, exec_lo
	s_delay_alu instid0(SALU_CYCLE_1)
	s_or_b32 s12, s12, s0
.LBB1610_87:
	s_or_b32 exec_lo, exec_lo, s22
	v_cndmask_b32_e64 v4, v9, v8, s12
	v_cndmask_b32_e64 v5, v15, v14, s12
	s_mov_b32 s22, exec_lo
	s_delay_alu instid0(VALU_DEP_2) | instskip(NEXT) | instid1(VALU_DEP_2)
	v_add_nc_u32_e32 v6, 1, v4
	v_add_nc_u32_e32 v4, -1, v5
	s_delay_alu instid0(VALU_DEP_2) | instskip(NEXT) | instid1(VALU_DEP_2)
	v_cndmask_b32_e64 v9, v6, v9, s12
	v_min_u32_e32 v4, v6, v4
	v_cndmask_b32_e64 v8, v8, v6, s12
	s_delay_alu instid0(VALU_DEP_2)
	v_lshl_add_u32 v4, v4, 3, v16
	ds_load_b64 v[4:5], v4
	s_waitcnt lgkmcnt(0)
	v_cndmask_b32_e64 v20, v5, v3, s12
	v_cndmask_b32_e64 v21, v4, v2, s12
	v_cndmask_b32_e64 v22, v1, v5, s12
	v_cndmask_b32_e64 v23, v0, v4, s12
	v_cmpx_lt_u32_e64 v9, v15
	s_cbranch_execz .LBB1610_98
; %bb.88:
	s_mov_b32 s0, 0
	s_mov_b32 s19, exec_lo
	v_cmpx_lt_u32_e64 v8, v14
	s_cbranch_execz .LBB1610_97
; %bb.89:
	s_and_not1_b32 vcc_lo, exec_lo, s7
	s_cbranch_vccnz .LBB1610_95
; %bb.90:
	v_mul_lo_u32 v10, v20, s8
	v_mul_lo_u32 v11, v21, s9
	v_mad_u64_u32 v[4:5], null, v21, s8, 0
	v_mul_lo_u32 v24, v22, s8
	v_mul_lo_u32 v25, v23, s9
	v_mad_u64_u32 v[6:7], null, v23, s8, 0
	s_mov_b32 s23, 0
	s_mov_b64 s[20:21], s[8:9]
	s_delay_alu instid0(VALU_DEP_4) | instskip(NEXT) | instid1(VALU_DEP_2)
	v_add3_u32 v5, v5, v11, v10
                                        ; implicit-def: $sgpr24
                                        ; implicit-def: $sgpr25
                                        ; implicit-def: $sgpr26
                                        ; implicit-def: $sgpr27
                                        ; implicit-def: $sgpr28
	v_add3_u32 v7, v7, v25, v24
	s_delay_alu instid0(VALU_DEP_2) | instskip(NEXT) | instid1(VALU_DEP_2)
	v_lshlrev_b64 v[4:5], 3, v[4:5]
	v_lshlrev_b64 v[6:7], 3, v[6:7]
	s_delay_alu instid0(VALU_DEP_2) | instskip(NEXT) | instid1(VALU_DEP_3)
	v_add_co_u32 v4, vcc_lo, s10, v4
	v_add_co_ci_u32_e32 v5, vcc_lo, s11, v5, vcc_lo
	s_delay_alu instid0(VALU_DEP_3) | instskip(NEXT) | instid1(VALU_DEP_4)
	v_add_co_u32 v6, vcc_lo, s10, v6
	v_add_co_ci_u32_e32 v7, vcc_lo, s11, v7, vcc_lo
	s_set_inst_prefetch_distance 0x1
	s_branch .LBB1610_92
	.p2align	6
.LBB1610_91:                            ;   in Loop: Header=BB1610_92 Depth=1
	s_or_b32 exec_lo, exec_lo, s0
	s_delay_alu instid0(SALU_CYCLE_1) | instskip(NEXT) | instid1(SALU_CYCLE_1)
	s_and_b32 s0, exec_lo, s25
	s_or_b32 s23, s0, s23
	s_and_not1_b32 s0, s28, exec_lo
	s_and_b32 s28, s27, exec_lo
	s_and_not1_b32 s24, s24, exec_lo
	s_and_b32 s29, s26, exec_lo
	s_or_b32 s28, s0, s28
	s_or_b32 s24, s24, s29
	s_and_not1_b32 exec_lo, exec_lo, s23
	s_cbranch_execz .LBB1610_94
.LBB1610_92:                            ; =>This Inner Loop Header: Depth=1
	global_load_b64 v[10:11], v[4:5], off
	global_load_b64 v[24:25], v[6:7], off
	s_and_not1_b32 s26, s26, exec_lo
	s_and_not1_b32 s27, s27, exec_lo
	s_or_b32 s25, s25, exec_lo
	s_waitcnt vmcnt(0)
	v_cmp_le_u64_e32 vcc_lo, v[10:11], v[24:25]
	v_cmp_lt_u64_e64 s0, v[10:11], v[24:25]
	s_and_b32 s29, vcc_lo, s28
	s_delay_alu instid0(VALU_DEP_1) | instid1(SALU_CYCLE_1)
	s_or_b32 s29, s0, s29
	s_delay_alu instid0(SALU_CYCLE_1) | instskip(NEXT) | instid1(SALU_CYCLE_1)
	s_and_b32 s0, s29, exec_lo
	s_or_b32 s26, s26, s0
	s_mov_b32 s0, exec_lo
	v_cmpx_eq_u64_e64 v[10:11], v[24:25]
	s_cbranch_execz .LBB1610_91
; %bb.93:                               ;   in Loop: Header=BB1610_92 Depth=1
	s_add_u32 s20, s20, -1
	s_addc_u32 s21, s21, -1
	v_add_co_u32 v4, vcc_lo, v4, 8
	s_cmp_eq_u64 s[20:21], 0
	v_add_co_ci_u32_e32 v5, vcc_lo, 0, v5, vcc_lo
	v_add_co_u32 v6, vcc_lo, v6, 8
	s_cselect_b32 s28, -1, 0
	v_add_co_ci_u32_e32 v7, vcc_lo, 0, v7, vcc_lo
	s_and_not1_b32 s27, s27, exec_lo
	s_and_b32 s29, s29, exec_lo
	s_and_not1_b32 s25, s25, exec_lo
	s_and_b32 s28, s28, exec_lo
	s_or_b32 s27, s27, s29
	s_and_not1_b32 s26, s26, exec_lo
	s_or_b32 s25, s25, s28
                                        ; implicit-def: $sgpr28
	s_branch .LBB1610_91
.LBB1610_94:
	s_set_inst_prefetch_distance 0x2
	s_or_b32 exec_lo, exec_lo, s23
	s_xor_b32 s0, s24, -1
	s_branch .LBB1610_96
.LBB1610_95:
	s_mov_b32 s0, -1
.LBB1610_96:
	s_delay_alu instid0(SALU_CYCLE_1)
	s_and_b32 s0, s0, exec_lo
.LBB1610_97:
	s_or_b32 exec_lo, exec_lo, s19
	s_delay_alu instid0(SALU_CYCLE_1)
	s_or_not1_b32 s19, s0, exec_lo
.LBB1610_98:
	s_or_b32 exec_lo, exec_lo, s22
	v_cndmask_b32_e64 v4, v9, v8, s19
	v_cndmask_b32_e64 v5, v15, v14, s19
	s_mov_b32 s22, -1
	s_mov_b32 s23, exec_lo
	s_delay_alu instid0(VALU_DEP_2) | instskip(NEXT) | instid1(VALU_DEP_2)
	v_add_nc_u32_e32 v6, 1, v4
	v_add_nc_u32_e32 v4, -1, v5
	s_delay_alu instid0(VALU_DEP_2) | instskip(NEXT) | instid1(VALU_DEP_2)
	v_cndmask_b32_e64 v9, v6, v9, s19
	v_min_u32_e32 v4, v6, v4
	v_cndmask_b32_e64 v8, v8, v6, s19
	s_delay_alu instid0(VALU_DEP_2)
	v_lshl_add_u32 v4, v4, 3, v16
	ds_load_b64 v[4:5], v4
	s_waitcnt lgkmcnt(0)
	v_cndmask_b32_e64 v24, v5, v20, s19
	v_cndmask_b32_e64 v25, v4, v21, s19
	;; [unrolled: 1-line block ×4, first 2 shown]
	v_cmpx_lt_u32_e64 v9, v15
	s_cbranch_execz .LBB1610_109
; %bb.99:
	s_mov_b32 s0, 0
	s_mov_b32 s22, exec_lo
	v_cmpx_lt_u32_e64 v8, v14
	s_cbranch_execz .LBB1610_108
; %bb.100:
	s_and_not1_b32 vcc_lo, exec_lo, s7
	s_cbranch_vccnz .LBB1610_106
; %bb.101:
	v_mul_lo_u32 v10, v24, s8
	v_mul_lo_u32 v11, v25, s9
	v_mad_u64_u32 v[4:5], null, v25, s8, 0
	v_mul_lo_u32 v42, v40, s8
	v_mul_lo_u32 v43, v41, s9
	v_mad_u64_u32 v[6:7], null, v41, s8, 0
	s_mov_b32 s24, 0
	s_mov_b64 s[20:21], s[8:9]
	s_delay_alu instid0(VALU_DEP_4) | instskip(NEXT) | instid1(VALU_DEP_2)
	v_add3_u32 v5, v5, v11, v10
                                        ; implicit-def: $sgpr25
                                        ; implicit-def: $sgpr26
                                        ; implicit-def: $sgpr27
                                        ; implicit-def: $sgpr28
                                        ; implicit-def: $sgpr29
	v_add3_u32 v7, v7, v43, v42
	s_delay_alu instid0(VALU_DEP_2) | instskip(NEXT) | instid1(VALU_DEP_2)
	v_lshlrev_b64 v[4:5], 3, v[4:5]
	v_lshlrev_b64 v[6:7], 3, v[6:7]
	s_delay_alu instid0(VALU_DEP_2) | instskip(NEXT) | instid1(VALU_DEP_3)
	v_add_co_u32 v4, vcc_lo, s10, v4
	v_add_co_ci_u32_e32 v5, vcc_lo, s11, v5, vcc_lo
	s_delay_alu instid0(VALU_DEP_3) | instskip(NEXT) | instid1(VALU_DEP_4)
	v_add_co_u32 v6, vcc_lo, s10, v6
	v_add_co_ci_u32_e32 v7, vcc_lo, s11, v7, vcc_lo
	s_set_inst_prefetch_distance 0x1
	s_branch .LBB1610_103
	.p2align	6
.LBB1610_102:                           ;   in Loop: Header=BB1610_103 Depth=1
	s_or_b32 exec_lo, exec_lo, s0
	s_delay_alu instid0(SALU_CYCLE_1) | instskip(NEXT) | instid1(SALU_CYCLE_1)
	s_and_b32 s0, exec_lo, s26
	s_or_b32 s24, s0, s24
	s_and_not1_b32 s0, s29, exec_lo
	s_and_b32 s29, s28, exec_lo
	s_and_not1_b32 s25, s25, exec_lo
	s_and_b32 s30, s27, exec_lo
	s_or_b32 s29, s0, s29
	s_or_b32 s25, s25, s30
	s_and_not1_b32 exec_lo, exec_lo, s24
	s_cbranch_execz .LBB1610_105
.LBB1610_103:                           ; =>This Inner Loop Header: Depth=1
	global_load_b64 v[10:11], v[4:5], off
	global_load_b64 v[42:43], v[6:7], off
	s_and_not1_b32 s27, s27, exec_lo
	s_and_not1_b32 s28, s28, exec_lo
	s_or_b32 s26, s26, exec_lo
	s_waitcnt vmcnt(0)
	v_cmp_le_u64_e32 vcc_lo, v[10:11], v[42:43]
	v_cmp_lt_u64_e64 s0, v[10:11], v[42:43]
	s_and_b32 s30, vcc_lo, s29
	s_delay_alu instid0(VALU_DEP_1) | instid1(SALU_CYCLE_1)
	s_or_b32 s30, s0, s30
	s_delay_alu instid0(SALU_CYCLE_1) | instskip(NEXT) | instid1(SALU_CYCLE_1)
	s_and_b32 s0, s30, exec_lo
	s_or_b32 s27, s27, s0
	s_mov_b32 s0, exec_lo
	v_cmpx_eq_u64_e64 v[10:11], v[42:43]
	s_cbranch_execz .LBB1610_102
; %bb.104:                              ;   in Loop: Header=BB1610_103 Depth=1
	s_add_u32 s20, s20, -1
	s_addc_u32 s21, s21, -1
	v_add_co_u32 v4, vcc_lo, v4, 8
	s_cmp_eq_u64 s[20:21], 0
	v_add_co_ci_u32_e32 v5, vcc_lo, 0, v5, vcc_lo
	v_add_co_u32 v6, vcc_lo, v6, 8
	s_cselect_b32 s29, -1, 0
	v_add_co_ci_u32_e32 v7, vcc_lo, 0, v7, vcc_lo
	s_and_not1_b32 s28, s28, exec_lo
	s_and_b32 s30, s30, exec_lo
	s_and_not1_b32 s26, s26, exec_lo
	s_and_b32 s29, s29, exec_lo
	s_or_b32 s28, s28, s30
	s_and_not1_b32 s27, s27, exec_lo
	s_or_b32 s26, s26, s29
                                        ; implicit-def: $sgpr29
	s_branch .LBB1610_102
.LBB1610_105:
	s_set_inst_prefetch_distance 0x2
	s_or_b32 exec_lo, exec_lo, s24
	s_xor_b32 s0, s25, -1
	s_branch .LBB1610_107
.LBB1610_106:
	s_mov_b32 s0, -1
.LBB1610_107:
	s_delay_alu instid0(SALU_CYCLE_1)
	s_and_b32 s0, s0, exec_lo
.LBB1610_108:
	s_or_b32 exec_lo, exec_lo, s22
	s_delay_alu instid0(SALU_CYCLE_1)
	s_or_not1_b32 s22, s0, exec_lo
.LBB1610_109:
	s_or_b32 exec_lo, exec_lo, s23
	v_cndmask_b32_e64 v4, v9, v8, s22
	v_cndmask_b32_e64 v5, v15, v14, s22
	s_mov_b32 s23, exec_lo
	s_delay_alu instid0(VALU_DEP_2) | instskip(NEXT) | instid1(VALU_DEP_2)
	v_add_nc_u32_e32 v10, 1, v4
	v_add_nc_u32_e32 v4, -1, v5
	s_delay_alu instid0(VALU_DEP_2) | instskip(NEXT) | instid1(VALU_DEP_2)
	v_cndmask_b32_e64 v9, v10, v9, s22
	v_min_u32_e32 v4, v10, v4
	s_delay_alu instid0(VALU_DEP_1)
	v_lshl_add_u32 v4, v4, 3, v16
	ds_load_b64 v[4:5], v4
	s_waitcnt lgkmcnt(0)
	v_cndmask_b32_e64 v7, v40, v5, s22
	v_cndmask_b32_e64 v6, v41, v4, s22
	v_cmpx_lt_u32_e64 v9, v15
	s_cbranch_execz .LBB1610_119
; %bb.110:
	v_cndmask_b32_e64 v8, v8, v10, s22
	v_cndmask_b32_e64 v5, v5, v24, s22
	;; [unrolled: 1-line block ×3, first 2 shown]
	s_mov_b32 s24, exec_lo
	s_delay_alu instid0(VALU_DEP_3)
	v_cmpx_lt_u32_e64 v8, v14
	s_cbranch_execz .LBB1610_118
; %bb.111:
	s_and_not1_b32 vcc_lo, exec_lo, s7
	s_cbranch_vccnz .LBB1610_117
; %bb.112:
	v_mul_lo_u32 v14, v5, s8
	v_mul_lo_u32 v15, v4, s9
	v_mad_u64_u32 v[8:9], null, v4, s8, 0
	v_mul_lo_u32 v42, v7, s8
	v_mul_lo_u32 v43, v6, s9
	v_mad_u64_u32 v[10:11], null, v6, s8, 0
	s_mov_b32 s25, 0
	s_mov_b64 s[20:21], s[8:9]
	s_delay_alu instid0(VALU_DEP_4) | instskip(NEXT) | instid1(VALU_DEP_2)
	v_add3_u32 v9, v9, v15, v14
                                        ; implicit-def: $sgpr26
                                        ; implicit-def: $sgpr27
                                        ; implicit-def: $sgpr28
                                        ; implicit-def: $sgpr29
                                        ; implicit-def: $sgpr30
	v_add3_u32 v11, v11, v43, v42
	s_delay_alu instid0(VALU_DEP_2) | instskip(NEXT) | instid1(VALU_DEP_2)
	v_lshlrev_b64 v[8:9], 3, v[8:9]
	v_lshlrev_b64 v[10:11], 3, v[10:11]
	s_delay_alu instid0(VALU_DEP_2) | instskip(NEXT) | instid1(VALU_DEP_3)
	v_add_co_u32 v8, vcc_lo, s10, v8
	v_add_co_ci_u32_e32 v9, vcc_lo, s11, v9, vcc_lo
	s_delay_alu instid0(VALU_DEP_3) | instskip(NEXT) | instid1(VALU_DEP_4)
	v_add_co_u32 v10, vcc_lo, s10, v10
	v_add_co_ci_u32_e32 v11, vcc_lo, s11, v11, vcc_lo
	s_set_inst_prefetch_distance 0x1
	s_branch .LBB1610_114
	.p2align	6
.LBB1610_113:                           ;   in Loop: Header=BB1610_114 Depth=1
	s_or_b32 exec_lo, exec_lo, s0
	s_delay_alu instid0(SALU_CYCLE_1) | instskip(NEXT) | instid1(SALU_CYCLE_1)
	s_and_b32 s0, exec_lo, s27
	s_or_b32 s25, s0, s25
	s_and_not1_b32 s0, s30, exec_lo
	s_and_b32 s30, s29, exec_lo
	s_and_not1_b32 s26, s26, exec_lo
	s_and_b32 s31, s28, exec_lo
	s_or_b32 s30, s0, s30
	s_or_b32 s26, s26, s31
	s_and_not1_b32 exec_lo, exec_lo, s25
	s_cbranch_execz .LBB1610_116
.LBB1610_114:                           ; =>This Inner Loop Header: Depth=1
	global_load_b64 v[14:15], v[8:9], off
	global_load_b64 v[42:43], v[10:11], off
	s_and_not1_b32 s28, s28, exec_lo
	s_and_not1_b32 s29, s29, exec_lo
	s_or_b32 s27, s27, exec_lo
	s_waitcnt vmcnt(0)
	v_cmp_le_u64_e32 vcc_lo, v[14:15], v[42:43]
	v_cmp_lt_u64_e64 s0, v[14:15], v[42:43]
	s_and_b32 s31, vcc_lo, s30
	s_delay_alu instid0(VALU_DEP_1) | instid1(SALU_CYCLE_1)
	s_or_b32 s31, s0, s31
	s_delay_alu instid0(SALU_CYCLE_1) | instskip(NEXT) | instid1(SALU_CYCLE_1)
	s_and_b32 s0, s31, exec_lo
	s_or_b32 s28, s28, s0
	s_mov_b32 s0, exec_lo
	v_cmpx_eq_u64_e64 v[14:15], v[42:43]
	s_cbranch_execz .LBB1610_113
; %bb.115:                              ;   in Loop: Header=BB1610_114 Depth=1
	s_add_u32 s20, s20, -1
	s_addc_u32 s21, s21, -1
	v_add_co_u32 v8, vcc_lo, v8, 8
	s_cmp_eq_u64 s[20:21], 0
	v_add_co_ci_u32_e32 v9, vcc_lo, 0, v9, vcc_lo
	v_add_co_u32 v10, vcc_lo, v10, 8
	s_cselect_b32 s30, -1, 0
	v_add_co_ci_u32_e32 v11, vcc_lo, 0, v11, vcc_lo
	s_and_not1_b32 s29, s29, exec_lo
	s_and_b32 s31, s31, exec_lo
	s_and_not1_b32 s27, s27, exec_lo
	s_and_b32 s30, s30, exec_lo
	s_or_b32 s29, s29, s31
	s_and_not1_b32 s28, s28, exec_lo
	s_or_b32 s27, s27, s30
                                        ; implicit-def: $sgpr30
	s_branch .LBB1610_113
.LBB1610_116:
	s_set_inst_prefetch_distance 0x2
	s_or_b32 exec_lo, exec_lo, s25
	v_cndmask_b32_e64 v7, v7, v5, s26
	v_cndmask_b32_e64 v6, v6, v4, s26
.LBB1610_117:
	s_delay_alu instid0(VALU_DEP_1)
	v_dual_mov_b32 v4, v6 :: v_dual_mov_b32 v5, v7
.LBB1610_118:
	s_or_b32 exec_lo, exec_lo, s24
	s_delay_alu instid0(VALU_DEP_1)
	v_dual_mov_b32 v7, v5 :: v_dual_mov_b32 v6, v4
.LBB1610_119:
	s_or_b32 exec_lo, exec_lo, s23
	v_cndmask_b32_e64 v1, v3, v1, s12
	v_cndmask_b32_e64 v0, v2, v0, s12
	v_cndmask_b32_e64 v3, v20, v22, s19
	v_cndmask_b32_e64 v2, v21, v23, s19
	v_cndmask_b32_e64 v5, v24, v40, s22
	v_cndmask_b32_e64 v4, v25, v41, s22
.LBB1610_120:
	s_or_b32 exec_lo, exec_lo, s1
	v_and_b32_e32 v22, 0x70, v18
	v_and_b32_e32 v9, 12, v18
	s_mov_b32 s1, exec_lo
	; wave barrier
	s_delay_alu instid0(VALU_DEP_2) | instskip(NEXT) | instid1(VALU_DEP_2)
	v_or_b32_e32 v8, 8, v22
	v_min_u32_e32 v23, v17, v9
	v_lshl_add_u32 v21, v22, 3, v16
	ds_store_b128 v19, v[0:3]
	ds_store_b128 v19, v[4:7] offset:16
	v_min_u32_e32 v14, v17, v8
	; wave barrier
	s_delay_alu instid0(VALU_DEP_1) | instskip(SKIP_1) | instid1(VALU_DEP_2)
	v_add_nc_u32_e32 v8, 8, v14
	v_sub_nc_u32_e32 v9, v14, v22
	v_min_u32_e32 v15, v17, v8
	s_delay_alu instid0(VALU_DEP_2) | instskip(NEXT) | instid1(VALU_DEP_2)
	v_min_u32_e32 v24, v23, v9
	v_sub_nc_u32_e32 v8, v15, v14
	s_delay_alu instid0(VALU_DEP_1) | instskip(NEXT) | instid1(VALU_DEP_1)
	v_sub_nc_u32_e64 v20, v23, v8 clamp
	v_cmpx_lt_u32_e64 v20, v24
	s_cbranch_execz .LBB1610_130
; %bb.121:
	v_lshlrev_b32_e32 v8, 3, v14
	v_lshlrev_b32_e32 v9, 3, v23
	s_lshl_b64 s[20:21], s[8:9], 3
	s_mov_b32 s12, 0
	s_delay_alu instid0(VALU_DEP_1)
	v_add3_u32 v25, v16, v8, v9
	s_branch .LBB1610_124
.LBB1610_122:                           ;   in Loop: Header=BB1610_124 Depth=1
	s_set_inst_prefetch_distance 0x2
	s_or_b32 exec_lo, exec_lo, s19
.LBB1610_123:                           ;   in Loop: Header=BB1610_124 Depth=1
	s_delay_alu instid0(VALU_DEP_1) | instskip(SKIP_1) | instid1(VALU_DEP_2)
	v_add_nc_u32_e32 v8, 1, v40
	v_cndmask_b32_e64 v24, v24, v40, s24
	v_cndmask_b32_e64 v20, v8, v20, s24
	s_delay_alu instid0(VALU_DEP_1) | instskip(SKIP_1) | instid1(SALU_CYCLE_1)
	v_cmp_ge_u32_e32 vcc_lo, v20, v24
	s_or_b32 s12, vcc_lo, s12
	s_and_not1_b32 exec_lo, exec_lo, s12
	s_cbranch_execz .LBB1610_129
.LBB1610_124:                           ; =>This Loop Header: Depth=1
                                        ;     Child Loop BB1610_127 Depth 2
	v_add_nc_u32_e32 v8, v24, v20
	s_and_not1_b32 vcc_lo, exec_lo, s7
	s_mov_b32 s24, 0
	s_delay_alu instid0(VALU_DEP_1)
	v_lshrrev_b32_e32 v40, 1, v8
	s_cbranch_vccnz .LBB1610_123
; %bb.125:                              ;   in Loop: Header=BB1610_124 Depth=1
	s_delay_alu instid0(VALU_DEP_1) | instskip(SKIP_3) | instid1(VALU_DEP_2)
	v_not_b32_e32 v8, v40
	v_lshl_add_u32 v9, v40, 3, v21
	s_mov_b32 s19, 0
	s_mov_b64 s[22:23], s[8:9]
                                        ; implicit-def: $sgpr24
                                        ; implicit-def: $sgpr25
                                        ; implicit-def: $sgpr26
                                        ; implicit-def: $sgpr27
                                        ; implicit-def: $sgpr28
	v_lshl_add_u32 v8, v8, 3, v25
	ds_load_b64 v[10:11], v8
	ds_load_b64 v[41:42], v9
	s_waitcnt lgkmcnt(1)
	v_mul_lo_u32 v43, s20, v11
	v_mul_lo_u32 v44, s21, v10
	v_mad_u64_u32 v[8:9], null, s20, v10, s[10:11]
	s_waitcnt lgkmcnt(0)
	v_mul_lo_u32 v42, s20, v42
	v_mul_lo_u32 v45, s21, v41
	v_mad_u64_u32 v[10:11], null, s20, v41, s[10:11]
	s_delay_alu instid0(VALU_DEP_4) | instskip(NEXT) | instid1(VALU_DEP_2)
	v_add3_u32 v9, v44, v9, v43
	v_add3_u32 v11, v45, v11, v42
	s_set_inst_prefetch_distance 0x1
	s_branch .LBB1610_127
	.p2align	6
.LBB1610_126:                           ;   in Loop: Header=BB1610_127 Depth=2
	s_or_b32 exec_lo, exec_lo, s29
	s_delay_alu instid0(SALU_CYCLE_1) | instskip(NEXT) | instid1(SALU_CYCLE_1)
	s_and_b32 s0, exec_lo, s25
	s_or_b32 s19, s0, s19
	s_and_not1_b32 s0, s28, exec_lo
	s_and_b32 s28, s26, exec_lo
	s_and_not1_b32 s24, s24, exec_lo
	s_and_b32 s29, s27, exec_lo
	s_or_b32 s28, s0, s28
	s_or_b32 s24, s24, s29
	s_and_not1_b32 exec_lo, exec_lo, s19
	s_cbranch_execz .LBB1610_122
.LBB1610_127:                           ;   Parent Loop BB1610_124 Depth=1
                                        ; =>  This Inner Loop Header: Depth=2
	global_load_b64 v[41:42], v[8:9], off
	global_load_b64 v[43:44], v[10:11], off
	s_and_not1_b32 s27, s27, exec_lo
	s_and_not1_b32 s26, s26, exec_lo
	s_or_b32 s25, s25, exec_lo
	s_waitcnt vmcnt(0)
	v_cmp_le_u64_e32 vcc_lo, v[41:42], v[43:44]
	v_cmp_lt_u64_e64 s0, v[41:42], v[43:44]
	s_and_b32 s29, vcc_lo, s28
	s_delay_alu instid0(VALU_DEP_1) | instid1(SALU_CYCLE_1)
	s_or_b32 s0, s0, s29
	s_delay_alu instid0(SALU_CYCLE_1) | instskip(NEXT) | instid1(SALU_CYCLE_1)
	s_and_b32 s29, s0, exec_lo
	s_or_b32 s27, s27, s29
	s_mov_b32 s29, exec_lo
	v_cmpx_eq_u64_e64 v[41:42], v[43:44]
	s_cbranch_execz .LBB1610_126
; %bb.128:                              ;   in Loop: Header=BB1610_127 Depth=2
	s_add_u32 s22, s22, -1
	s_addc_u32 s23, s23, -1
	v_add_co_u32 v8, vcc_lo, v8, 8
	v_add_co_ci_u32_e32 v9, vcc_lo, 0, v9, vcc_lo
	s_cmp_eq_u64 s[22:23], 0
	v_add_co_u32 v10, vcc_lo, v10, 8
	s_cselect_b32 s28, -1, 0
	v_add_co_ci_u32_e32 v11, vcc_lo, 0, v11, vcc_lo
	s_and_not1_b32 s26, s26, exec_lo
	s_and_b32 s0, s0, exec_lo
	s_and_not1_b32 s25, s25, exec_lo
	s_and_b32 s28, s28, exec_lo
	s_and_not1_b32 s27, s27, exec_lo
	s_or_b32 s26, s26, s0
	s_or_b32 s25, s25, s28
                                        ; implicit-def: $sgpr28
	s_branch .LBB1610_126
.LBB1610_129:
	s_or_b32 exec_lo, exec_lo, s12
.LBB1610_130:
	s_delay_alu instid0(SALU_CYCLE_1) | instskip(SKIP_2) | instid1(VALU_DEP_2)
	s_or_b32 exec_lo, exec_lo, s1
	v_add_nc_u32_e32 v9, v14, v23
	v_add_nc_u32_e32 v8, v20, v22
	v_sub_nc_u32_e32 v9, v9, v20
	s_delay_alu instid0(VALU_DEP_2) | instskip(NEXT) | instid1(VALU_DEP_2)
	v_cmp_le_u32_e32 vcc_lo, v8, v14
	v_cmp_le_u32_e64 s0, v9, v15
	s_delay_alu instid0(VALU_DEP_1) | instskip(NEXT) | instid1(SALU_CYCLE_1)
	s_or_b32 s0, vcc_lo, s0
	s_and_saveexec_b32 s1, s0
	s_cbranch_execz .LBB1610_177
; %bb.131:
	v_cmp_ge_u32_e32 vcc_lo, v8, v14
	s_mov_b32 s12, exec_lo
                                        ; implicit-def: $vgpr0_vgpr1
	v_cmpx_lt_u32_e64 v8, v14
	s_cbranch_execz .LBB1610_133
; %bb.132:
	v_lshl_add_u32 v0, v20, 3, v21
	ds_load_b64 v[0:1], v0
.LBB1610_133:
	s_or_b32 exec_lo, exec_lo, s12
	v_cmp_ge_u32_e64 s12, v9, v15
	s_mov_b32 s19, exec_lo
                                        ; implicit-def: $vgpr4_vgpr5
	v_cmpx_lt_u32_e64 v9, v15
	s_cbranch_execz .LBB1610_135
; %bb.134:
	v_lshl_add_u32 v2, v9, 3, v16
	ds_load_b64 v[4:5], v2
.LBB1610_135:
	s_or_b32 exec_lo, exec_lo, s19
	s_or_b32 s0, vcc_lo, s12
	s_mov_b32 s19, -1
	s_xor_b32 s0, s0, -1
	s_delay_alu instid0(SALU_CYCLE_1)
	s_and_saveexec_b32 s22, s0
	s_cbranch_execz .LBB1610_144
; %bb.136:
	s_and_not1_b32 vcc_lo, exec_lo, s7
	s_cbranch_vccnz .LBB1610_142
; %bb.137:
	s_waitcnt lgkmcnt(0)
	v_mul_lo_u32 v10, v5, s8
	v_mul_lo_u32 v11, v4, s9
	v_mad_u64_u32 v[2:3], null, v4, s8, 0
	v_mul_lo_u32 v20, v1, s8
	v_mul_lo_u32 v21, v0, s9
	v_mad_u64_u32 v[6:7], null, v0, s8, 0
	s_mov_b32 s23, 0
	s_mov_b64 s[20:21], s[8:9]
	s_delay_alu instid0(VALU_DEP_4) | instskip(NEXT) | instid1(VALU_DEP_2)
	v_add3_u32 v3, v3, v11, v10
                                        ; implicit-def: $sgpr24
                                        ; implicit-def: $sgpr25
                                        ; implicit-def: $sgpr26
                                        ; implicit-def: $sgpr27
                                        ; implicit-def: $sgpr28
	v_add3_u32 v7, v7, v21, v20
	s_delay_alu instid0(VALU_DEP_2) | instskip(NEXT) | instid1(VALU_DEP_2)
	v_lshlrev_b64 v[2:3], 3, v[2:3]
	v_lshlrev_b64 v[6:7], 3, v[6:7]
	s_delay_alu instid0(VALU_DEP_2) | instskip(NEXT) | instid1(VALU_DEP_3)
	v_add_co_u32 v2, vcc_lo, s10, v2
	v_add_co_ci_u32_e32 v3, vcc_lo, s11, v3, vcc_lo
	s_delay_alu instid0(VALU_DEP_3) | instskip(NEXT) | instid1(VALU_DEP_4)
	v_add_co_u32 v6, vcc_lo, s10, v6
	v_add_co_ci_u32_e32 v7, vcc_lo, s11, v7, vcc_lo
	s_set_inst_prefetch_distance 0x1
	s_branch .LBB1610_139
	.p2align	6
.LBB1610_138:                           ;   in Loop: Header=BB1610_139 Depth=1
	s_or_b32 exec_lo, exec_lo, s0
	s_delay_alu instid0(SALU_CYCLE_1) | instskip(NEXT) | instid1(SALU_CYCLE_1)
	s_and_b32 s0, exec_lo, s25
	s_or_b32 s23, s0, s23
	s_and_not1_b32 s0, s28, exec_lo
	s_and_b32 s28, s27, exec_lo
	s_and_not1_b32 s24, s24, exec_lo
	s_and_b32 s29, s26, exec_lo
	s_or_b32 s28, s0, s28
	s_or_b32 s24, s24, s29
	s_and_not1_b32 exec_lo, exec_lo, s23
	s_cbranch_execz .LBB1610_141
.LBB1610_139:                           ; =>This Inner Loop Header: Depth=1
	global_load_b64 v[10:11], v[2:3], off
	global_load_b64 v[20:21], v[6:7], off
	s_and_not1_b32 s26, s26, exec_lo
	s_and_not1_b32 s27, s27, exec_lo
	s_or_b32 s25, s25, exec_lo
	s_waitcnt vmcnt(0)
	v_cmp_le_u64_e32 vcc_lo, v[10:11], v[20:21]
	v_cmp_lt_u64_e64 s0, v[10:11], v[20:21]
	s_and_b32 s29, vcc_lo, s28
	s_delay_alu instid0(VALU_DEP_1) | instid1(SALU_CYCLE_1)
	s_or_b32 s29, s0, s29
	s_delay_alu instid0(SALU_CYCLE_1) | instskip(NEXT) | instid1(SALU_CYCLE_1)
	s_and_b32 s0, s29, exec_lo
	s_or_b32 s26, s26, s0
	s_mov_b32 s0, exec_lo
	v_cmpx_eq_u64_e64 v[10:11], v[20:21]
	s_cbranch_execz .LBB1610_138
; %bb.140:                              ;   in Loop: Header=BB1610_139 Depth=1
	s_add_u32 s20, s20, -1
	s_addc_u32 s21, s21, -1
	v_add_co_u32 v2, vcc_lo, v2, 8
	s_cmp_eq_u64 s[20:21], 0
	v_add_co_ci_u32_e32 v3, vcc_lo, 0, v3, vcc_lo
	v_add_co_u32 v6, vcc_lo, v6, 8
	s_cselect_b32 s28, -1, 0
	v_add_co_ci_u32_e32 v7, vcc_lo, 0, v7, vcc_lo
	s_and_not1_b32 s27, s27, exec_lo
	s_and_b32 s29, s29, exec_lo
	s_and_not1_b32 s25, s25, exec_lo
	s_and_b32 s28, s28, exec_lo
	s_or_b32 s27, s27, s29
	s_and_not1_b32 s26, s26, exec_lo
	s_or_b32 s25, s25, s28
                                        ; implicit-def: $sgpr28
	s_branch .LBB1610_138
.LBB1610_141:
	s_set_inst_prefetch_distance 0x2
	s_or_b32 exec_lo, exec_lo, s23
	s_xor_b32 s0, s24, -1
	s_branch .LBB1610_143
.LBB1610_142:
	s_mov_b32 s0, -1
.LBB1610_143:
	s_and_not1_b32 s12, s12, exec_lo
	s_and_b32 s0, s0, exec_lo
	s_delay_alu instid0(SALU_CYCLE_1)
	s_or_b32 s12, s12, s0
.LBB1610_144:
	s_or_b32 exec_lo, exec_lo, s22
	v_cndmask_b32_e64 v2, v9, v8, s12
	v_cndmask_b32_e64 v3, v15, v14, s12
	s_mov_b32 s22, exec_lo
	s_delay_alu instid0(VALU_DEP_2) | instskip(NEXT) | instid1(VALU_DEP_2)
	v_add_nc_u32_e32 v6, 1, v2
	v_add_nc_u32_e32 v2, -1, v3
	s_delay_alu instid0(VALU_DEP_2) | instskip(NEXT) | instid1(VALU_DEP_2)
	v_cndmask_b32_e64 v9, v6, v9, s12
	v_min_u32_e32 v2, v6, v2
	v_cndmask_b32_e64 v8, v8, v6, s12
	s_delay_alu instid0(VALU_DEP_2)
	v_lshl_add_u32 v2, v2, 3, v16
	ds_load_b64 v[2:3], v2
	s_waitcnt lgkmcnt(0)
	v_cndmask_b32_e64 v10, v3, v5, s12
	v_cndmask_b32_e64 v11, v2, v4, s12
	;; [unrolled: 1-line block ×4, first 2 shown]
	v_cmpx_lt_u32_e64 v9, v15
	s_cbranch_execz .LBB1610_155
; %bb.145:
	s_mov_b32 s0, 0
	s_mov_b32 s19, exec_lo
	v_cmpx_lt_u32_e64 v8, v14
	s_cbranch_execz .LBB1610_154
; %bb.146:
	s_and_not1_b32 vcc_lo, exec_lo, s7
	s_cbranch_vccnz .LBB1610_152
; %bb.147:
	v_mul_lo_u32 v22, v10, s8
	v_mul_lo_u32 v23, v11, s9
	v_mad_u64_u32 v[2:3], null, v11, s8, 0
	v_mul_lo_u32 v24, v20, s8
	v_mul_lo_u32 v25, v21, s9
	v_mad_u64_u32 v[6:7], null, v21, s8, 0
	s_mov_b32 s23, 0
	s_mov_b64 s[20:21], s[8:9]
	s_delay_alu instid0(VALU_DEP_4) | instskip(NEXT) | instid1(VALU_DEP_2)
	v_add3_u32 v3, v3, v23, v22
                                        ; implicit-def: $sgpr24
                                        ; implicit-def: $sgpr25
                                        ; implicit-def: $sgpr26
                                        ; implicit-def: $sgpr27
                                        ; implicit-def: $sgpr28
	v_add3_u32 v7, v7, v25, v24
	s_delay_alu instid0(VALU_DEP_2) | instskip(NEXT) | instid1(VALU_DEP_2)
	v_lshlrev_b64 v[2:3], 3, v[2:3]
	v_lshlrev_b64 v[6:7], 3, v[6:7]
	s_delay_alu instid0(VALU_DEP_2) | instskip(NEXT) | instid1(VALU_DEP_3)
	v_add_co_u32 v2, vcc_lo, s10, v2
	v_add_co_ci_u32_e32 v3, vcc_lo, s11, v3, vcc_lo
	s_delay_alu instid0(VALU_DEP_3) | instskip(NEXT) | instid1(VALU_DEP_4)
	v_add_co_u32 v6, vcc_lo, s10, v6
	v_add_co_ci_u32_e32 v7, vcc_lo, s11, v7, vcc_lo
	s_set_inst_prefetch_distance 0x1
	s_branch .LBB1610_149
	.p2align	6
.LBB1610_148:                           ;   in Loop: Header=BB1610_149 Depth=1
	s_or_b32 exec_lo, exec_lo, s0
	s_delay_alu instid0(SALU_CYCLE_1) | instskip(NEXT) | instid1(SALU_CYCLE_1)
	s_and_b32 s0, exec_lo, s25
	s_or_b32 s23, s0, s23
	s_and_not1_b32 s0, s28, exec_lo
	s_and_b32 s28, s27, exec_lo
	s_and_not1_b32 s24, s24, exec_lo
	s_and_b32 s29, s26, exec_lo
	s_or_b32 s28, s0, s28
	s_or_b32 s24, s24, s29
	s_and_not1_b32 exec_lo, exec_lo, s23
	s_cbranch_execz .LBB1610_151
.LBB1610_149:                           ; =>This Inner Loop Header: Depth=1
	global_load_b64 v[22:23], v[2:3], off
	global_load_b64 v[24:25], v[6:7], off
	s_and_not1_b32 s26, s26, exec_lo
	s_and_not1_b32 s27, s27, exec_lo
	s_or_b32 s25, s25, exec_lo
	s_waitcnt vmcnt(0)
	v_cmp_le_u64_e32 vcc_lo, v[22:23], v[24:25]
	v_cmp_lt_u64_e64 s0, v[22:23], v[24:25]
	s_and_b32 s29, vcc_lo, s28
	s_delay_alu instid0(VALU_DEP_1) | instid1(SALU_CYCLE_1)
	s_or_b32 s29, s0, s29
	s_delay_alu instid0(SALU_CYCLE_1) | instskip(NEXT) | instid1(SALU_CYCLE_1)
	s_and_b32 s0, s29, exec_lo
	s_or_b32 s26, s26, s0
	s_mov_b32 s0, exec_lo
	v_cmpx_eq_u64_e64 v[22:23], v[24:25]
	s_cbranch_execz .LBB1610_148
; %bb.150:                              ;   in Loop: Header=BB1610_149 Depth=1
	s_add_u32 s20, s20, -1
	s_addc_u32 s21, s21, -1
	v_add_co_u32 v2, vcc_lo, v2, 8
	s_cmp_eq_u64 s[20:21], 0
	v_add_co_ci_u32_e32 v3, vcc_lo, 0, v3, vcc_lo
	v_add_co_u32 v6, vcc_lo, v6, 8
	s_cselect_b32 s28, -1, 0
	v_add_co_ci_u32_e32 v7, vcc_lo, 0, v7, vcc_lo
	s_and_not1_b32 s27, s27, exec_lo
	s_and_b32 s29, s29, exec_lo
	s_and_not1_b32 s25, s25, exec_lo
	s_and_b32 s28, s28, exec_lo
	s_or_b32 s27, s27, s29
	s_and_not1_b32 s26, s26, exec_lo
	s_or_b32 s25, s25, s28
                                        ; implicit-def: $sgpr28
	s_branch .LBB1610_148
.LBB1610_151:
	s_set_inst_prefetch_distance 0x2
	s_or_b32 exec_lo, exec_lo, s23
	s_xor_b32 s0, s24, -1
	s_branch .LBB1610_153
.LBB1610_152:
	s_mov_b32 s0, -1
.LBB1610_153:
	s_delay_alu instid0(SALU_CYCLE_1)
	s_and_b32 s0, s0, exec_lo
.LBB1610_154:
	s_or_b32 exec_lo, exec_lo, s19
	s_delay_alu instid0(SALU_CYCLE_1)
	s_or_not1_b32 s19, s0, exec_lo
.LBB1610_155:
	s_or_b32 exec_lo, exec_lo, s22
	v_cndmask_b32_e64 v2, v9, v8, s19
	v_cndmask_b32_e64 v3, v15, v14, s19
	s_mov_b32 s0, -1
	s_mov_b32 s22, exec_lo
	s_delay_alu instid0(VALU_DEP_2) | instskip(NEXT) | instid1(VALU_DEP_2)
	v_add_nc_u32_e32 v6, 1, v2
	v_add_nc_u32_e32 v2, -1, v3
	s_delay_alu instid0(VALU_DEP_2) | instskip(NEXT) | instid1(VALU_DEP_2)
	v_cndmask_b32_e64 v25, v6, v9, s19
	v_min_u32_e32 v2, v6, v2
	v_cndmask_b32_e64 v22, v8, v6, s19
	s_delay_alu instid0(VALU_DEP_2)
	v_lshl_add_u32 v2, v2, 3, v16
	ds_load_b64 v[2:3], v2
	s_waitcnt lgkmcnt(0)
	v_cndmask_b32_e64 v23, v3, v10, s19
	v_cndmask_b32_e64 v24, v2, v11, s19
	;; [unrolled: 1-line block ×4, first 2 shown]
	v_cmpx_lt_u32_e64 v25, v15
	s_cbranch_execz .LBB1610_166
; %bb.156:
	s_mov_b32 s0, 0
	s_mov_b32 s23, exec_lo
	v_cmpx_lt_u32_e64 v22, v14
	s_cbranch_execz .LBB1610_165
; %bb.157:
	s_and_not1_b32 vcc_lo, exec_lo, s7
	s_cbranch_vccnz .LBB1610_163
; %bb.158:
	v_mul_lo_u32 v8, v23, s8
	v_mul_lo_u32 v9, v24, s9
	v_mad_u64_u32 v[2:3], null, v24, s8, 0
	v_mul_lo_u32 v42, v40, s8
	v_mul_lo_u32 v43, v41, s9
	v_mad_u64_u32 v[6:7], null, v41, s8, 0
	s_mov_b32 s24, 0
	s_mov_b64 s[20:21], s[8:9]
	s_delay_alu instid0(VALU_DEP_4) | instskip(NEXT) | instid1(VALU_DEP_2)
	v_add3_u32 v3, v3, v9, v8
                                        ; implicit-def: $sgpr25
                                        ; implicit-def: $sgpr26
                                        ; implicit-def: $sgpr27
                                        ; implicit-def: $sgpr28
                                        ; implicit-def: $sgpr29
	v_add3_u32 v7, v7, v43, v42
	s_delay_alu instid0(VALU_DEP_2) | instskip(NEXT) | instid1(VALU_DEP_2)
	v_lshlrev_b64 v[2:3], 3, v[2:3]
	v_lshlrev_b64 v[6:7], 3, v[6:7]
	s_delay_alu instid0(VALU_DEP_2) | instskip(NEXT) | instid1(VALU_DEP_3)
	v_add_co_u32 v2, vcc_lo, s10, v2
	v_add_co_ci_u32_e32 v3, vcc_lo, s11, v3, vcc_lo
	s_delay_alu instid0(VALU_DEP_3) | instskip(NEXT) | instid1(VALU_DEP_4)
	v_add_co_u32 v6, vcc_lo, s10, v6
	v_add_co_ci_u32_e32 v7, vcc_lo, s11, v7, vcc_lo
	s_set_inst_prefetch_distance 0x1
	s_branch .LBB1610_160
	.p2align	6
.LBB1610_159:                           ;   in Loop: Header=BB1610_160 Depth=1
	s_or_b32 exec_lo, exec_lo, s0
	s_delay_alu instid0(SALU_CYCLE_1) | instskip(NEXT) | instid1(SALU_CYCLE_1)
	s_and_b32 s0, exec_lo, s26
	s_or_b32 s24, s0, s24
	s_and_not1_b32 s0, s29, exec_lo
	s_and_b32 s29, s28, exec_lo
	s_and_not1_b32 s25, s25, exec_lo
	s_and_b32 s30, s27, exec_lo
	s_or_b32 s29, s0, s29
	s_or_b32 s25, s25, s30
	s_and_not1_b32 exec_lo, exec_lo, s24
	s_cbranch_execz .LBB1610_162
.LBB1610_160:                           ; =>This Inner Loop Header: Depth=1
	global_load_b64 v[8:9], v[2:3], off
	global_load_b64 v[42:43], v[6:7], off
	s_and_not1_b32 s27, s27, exec_lo
	s_and_not1_b32 s28, s28, exec_lo
	s_or_b32 s26, s26, exec_lo
	s_waitcnt vmcnt(0)
	v_cmp_le_u64_e32 vcc_lo, v[8:9], v[42:43]
	v_cmp_lt_u64_e64 s0, v[8:9], v[42:43]
	s_and_b32 s30, vcc_lo, s29
	s_delay_alu instid0(VALU_DEP_1) | instid1(SALU_CYCLE_1)
	s_or_b32 s30, s0, s30
	s_delay_alu instid0(SALU_CYCLE_1) | instskip(NEXT) | instid1(SALU_CYCLE_1)
	s_and_b32 s0, s30, exec_lo
	s_or_b32 s27, s27, s0
	s_mov_b32 s0, exec_lo
	v_cmpx_eq_u64_e64 v[8:9], v[42:43]
	s_cbranch_execz .LBB1610_159
; %bb.161:                              ;   in Loop: Header=BB1610_160 Depth=1
	s_add_u32 s20, s20, -1
	s_addc_u32 s21, s21, -1
	v_add_co_u32 v2, vcc_lo, v2, 8
	s_cmp_eq_u64 s[20:21], 0
	v_add_co_ci_u32_e32 v3, vcc_lo, 0, v3, vcc_lo
	v_add_co_u32 v6, vcc_lo, v6, 8
	s_cselect_b32 s29, -1, 0
	v_add_co_ci_u32_e32 v7, vcc_lo, 0, v7, vcc_lo
	s_and_not1_b32 s28, s28, exec_lo
	s_and_b32 s30, s30, exec_lo
	s_and_not1_b32 s26, s26, exec_lo
	s_and_b32 s29, s29, exec_lo
	s_or_b32 s28, s28, s30
	s_and_not1_b32 s27, s27, exec_lo
	s_or_b32 s26, s26, s29
                                        ; implicit-def: $sgpr29
	s_branch .LBB1610_159
.LBB1610_162:
	s_set_inst_prefetch_distance 0x2
	s_or_b32 exec_lo, exec_lo, s24
	s_xor_b32 s0, s25, -1
	s_branch .LBB1610_164
.LBB1610_163:
	s_mov_b32 s0, -1
.LBB1610_164:
	s_delay_alu instid0(SALU_CYCLE_1)
	s_and_b32 s0, s0, exec_lo
.LBB1610_165:
	s_or_b32 exec_lo, exec_lo, s23
	s_delay_alu instid0(SALU_CYCLE_1)
	s_or_not1_b32 s0, s0, exec_lo
.LBB1610_166:
	s_or_b32 exec_lo, exec_lo, s22
	v_cndmask_b32_e64 v2, v25, v22, s0
	v_cndmask_b32_e64 v3, v15, v14, s0
	;; [unrolled: 1-line block ×5, first 2 shown]
	v_add_nc_u32_e32 v42, 1, v2
	v_add_nc_u32_e32 v2, -1, v3
	v_cndmask_b32_e64 v3, v10, v20, s19
	v_cndmask_b32_e64 v4, v24, v41, s0
	s_mov_b32 s12, exec_lo
	v_cndmask_b32_e64 v10, v42, v25, s0
	v_min_u32_e32 v2, v42, v2
	s_delay_alu instid0(VALU_DEP_1)
	v_lshl_add_u32 v2, v2, 3, v16
	ds_load_b64 v[8:9], v2
	v_cndmask_b32_e64 v2, v11, v21, s19
	s_waitcnt lgkmcnt(0)
	v_cndmask_b32_e64 v7, v40, v9, s0
	v_cndmask_b32_e64 v6, v41, v8, s0
	v_cmpx_lt_u32_e64 v10, v15
	s_cbranch_execz .LBB1610_176
; %bb.167:
	v_cndmask_b32_e64 v10, v22, v42, s0
	v_cndmask_b32_e64 v9, v9, v23, s0
	;; [unrolled: 1-line block ×3, first 2 shown]
	s_mov_b32 s19, exec_lo
	s_delay_alu instid0(VALU_DEP_3)
	v_cmpx_lt_u32_e64 v10, v14
	s_cbranch_execz .LBB1610_175
; %bb.168:
	s_and_not1_b32 vcc_lo, exec_lo, s7
	s_cbranch_vccnz .LBB1610_174
; %bb.169:
	v_mul_lo_u32 v20, v9, s8
	v_mul_lo_u32 v21, v8, s9
	v_mad_u64_u32 v[10:11], null, v8, s8, 0
	v_mul_lo_u32 v22, v7, s8
	v_mul_lo_u32 v23, v6, s9
	v_mad_u64_u32 v[14:15], null, v6, s8, 0
	s_mov_b32 s22, 0
	s_mov_b64 s[20:21], s[8:9]
	s_delay_alu instid0(VALU_DEP_4) | instskip(NEXT) | instid1(VALU_DEP_2)
	v_add3_u32 v11, v11, v21, v20
                                        ; implicit-def: $sgpr23
                                        ; implicit-def: $sgpr24
                                        ; implicit-def: $sgpr25
                                        ; implicit-def: $sgpr26
                                        ; implicit-def: $sgpr27
	v_add3_u32 v15, v15, v23, v22
	s_delay_alu instid0(VALU_DEP_2) | instskip(NEXT) | instid1(VALU_DEP_2)
	v_lshlrev_b64 v[10:11], 3, v[10:11]
	v_lshlrev_b64 v[14:15], 3, v[14:15]
	s_delay_alu instid0(VALU_DEP_2) | instskip(NEXT) | instid1(VALU_DEP_3)
	v_add_co_u32 v10, vcc_lo, s10, v10
	v_add_co_ci_u32_e32 v11, vcc_lo, s11, v11, vcc_lo
	s_delay_alu instid0(VALU_DEP_3) | instskip(NEXT) | instid1(VALU_DEP_4)
	v_add_co_u32 v14, vcc_lo, s10, v14
	v_add_co_ci_u32_e32 v15, vcc_lo, s11, v15, vcc_lo
	s_set_inst_prefetch_distance 0x1
	s_branch .LBB1610_171
	.p2align	6
.LBB1610_170:                           ;   in Loop: Header=BB1610_171 Depth=1
	s_or_b32 exec_lo, exec_lo, s0
	s_delay_alu instid0(SALU_CYCLE_1) | instskip(NEXT) | instid1(SALU_CYCLE_1)
	s_and_b32 s0, exec_lo, s24
	s_or_b32 s22, s0, s22
	s_and_not1_b32 s0, s27, exec_lo
	s_and_b32 s27, s26, exec_lo
	s_and_not1_b32 s23, s23, exec_lo
	s_and_b32 s28, s25, exec_lo
	s_or_b32 s27, s0, s27
	s_or_b32 s23, s23, s28
	s_and_not1_b32 exec_lo, exec_lo, s22
	s_cbranch_execz .LBB1610_173
.LBB1610_171:                           ; =>This Inner Loop Header: Depth=1
	global_load_b64 v[20:21], v[10:11], off
	global_load_b64 v[22:23], v[14:15], off
	s_and_not1_b32 s25, s25, exec_lo
	s_and_not1_b32 s26, s26, exec_lo
	s_or_b32 s24, s24, exec_lo
	s_waitcnt vmcnt(0)
	v_cmp_le_u64_e32 vcc_lo, v[20:21], v[22:23]
	v_cmp_lt_u64_e64 s0, v[20:21], v[22:23]
	s_and_b32 s28, vcc_lo, s27
	s_delay_alu instid0(VALU_DEP_1) | instid1(SALU_CYCLE_1)
	s_or_b32 s28, s0, s28
	s_delay_alu instid0(SALU_CYCLE_1) | instskip(NEXT) | instid1(SALU_CYCLE_1)
	s_and_b32 s0, s28, exec_lo
	s_or_b32 s25, s25, s0
	s_mov_b32 s0, exec_lo
	v_cmpx_eq_u64_e64 v[20:21], v[22:23]
	s_cbranch_execz .LBB1610_170
; %bb.172:                              ;   in Loop: Header=BB1610_171 Depth=1
	s_add_u32 s20, s20, -1
	s_addc_u32 s21, s21, -1
	v_add_co_u32 v10, vcc_lo, v10, 8
	s_cmp_eq_u64 s[20:21], 0
	v_add_co_ci_u32_e32 v11, vcc_lo, 0, v11, vcc_lo
	v_add_co_u32 v14, vcc_lo, v14, 8
	s_cselect_b32 s27, -1, 0
	v_add_co_ci_u32_e32 v15, vcc_lo, 0, v15, vcc_lo
	s_and_not1_b32 s26, s26, exec_lo
	s_and_b32 s28, s28, exec_lo
	s_and_not1_b32 s24, s24, exec_lo
	s_and_b32 s27, s27, exec_lo
	s_or_b32 s26, s26, s28
	s_and_not1_b32 s25, s25, exec_lo
	s_or_b32 s24, s24, s27
                                        ; implicit-def: $sgpr27
	s_branch .LBB1610_170
.LBB1610_173:
	s_set_inst_prefetch_distance 0x2
	s_or_b32 exec_lo, exec_lo, s22
	v_cndmask_b32_e64 v7, v7, v9, s23
	v_cndmask_b32_e64 v6, v6, v8, s23
.LBB1610_174:
	s_delay_alu instid0(VALU_DEP_1)
	v_dual_mov_b32 v9, v7 :: v_dual_mov_b32 v8, v6
.LBB1610_175:
	s_or_b32 exec_lo, exec_lo, s19
	s_delay_alu instid0(VALU_DEP_1)
	v_dual_mov_b32 v6, v8 :: v_dual_mov_b32 v7, v9
.LBB1610_176:
	s_or_b32 exec_lo, exec_lo, s12
.LBB1610_177:
	s_delay_alu instid0(SALU_CYCLE_1) | instskip(SKIP_3) | instid1(VALU_DEP_2)
	s_or_b32 exec_lo, exec_lo, s1
	v_and_b32_e32 v22, 0x60, v18
	v_and_b32_e32 v9, 28, v18
	s_mov_b32 s1, exec_lo
	; wave barrier
	v_or_b32_e32 v8, 16, v22
	s_delay_alu instid0(VALU_DEP_2) | instskip(SKIP_4) | instid1(VALU_DEP_1)
	v_min_u32_e32 v23, v17, v9
	v_lshl_add_u32 v21, v22, 3, v16
	ds_store_b128 v19, v[0:3]
	ds_store_b128 v19, v[4:7] offset:16
	v_min_u32_e32 v14, v17, v8
	; wave barrier
	v_add_nc_u32_e32 v8, 16, v14
	v_sub_nc_u32_e32 v9, v14, v22
	s_delay_alu instid0(VALU_DEP_2) | instskip(NEXT) | instid1(VALU_DEP_2)
	v_min_u32_e32 v15, v17, v8
	v_min_u32_e32 v24, v23, v9
	s_delay_alu instid0(VALU_DEP_2) | instskip(NEXT) | instid1(VALU_DEP_1)
	v_sub_nc_u32_e32 v8, v15, v14
	v_sub_nc_u32_e64 v20, v23, v8 clamp
	s_delay_alu instid0(VALU_DEP_1)
	v_cmpx_lt_u32_e64 v20, v24
	s_cbranch_execz .LBB1610_187
; %bb.178:
	v_lshlrev_b32_e32 v8, 3, v14
	v_lshlrev_b32_e32 v9, 3, v23
	s_lshl_b64 s[20:21], s[8:9], 3
	s_mov_b32 s12, 0
	s_delay_alu instid0(VALU_DEP_1)
	v_add3_u32 v25, v16, v8, v9
	s_branch .LBB1610_181
.LBB1610_179:                           ;   in Loop: Header=BB1610_181 Depth=1
	s_set_inst_prefetch_distance 0x2
	s_or_b32 exec_lo, exec_lo, s19
.LBB1610_180:                           ;   in Loop: Header=BB1610_181 Depth=1
	s_delay_alu instid0(VALU_DEP_1) | instskip(SKIP_1) | instid1(VALU_DEP_2)
	v_add_nc_u32_e32 v8, 1, v40
	v_cndmask_b32_e64 v24, v24, v40, s24
	v_cndmask_b32_e64 v20, v8, v20, s24
	s_delay_alu instid0(VALU_DEP_1) | instskip(SKIP_1) | instid1(SALU_CYCLE_1)
	v_cmp_ge_u32_e32 vcc_lo, v20, v24
	s_or_b32 s12, vcc_lo, s12
	s_and_not1_b32 exec_lo, exec_lo, s12
	s_cbranch_execz .LBB1610_186
.LBB1610_181:                           ; =>This Loop Header: Depth=1
                                        ;     Child Loop BB1610_184 Depth 2
	v_add_nc_u32_e32 v8, v24, v20
	s_and_not1_b32 vcc_lo, exec_lo, s7
	s_mov_b32 s24, 0
	s_delay_alu instid0(VALU_DEP_1)
	v_lshrrev_b32_e32 v40, 1, v8
	s_cbranch_vccnz .LBB1610_180
; %bb.182:                              ;   in Loop: Header=BB1610_181 Depth=1
	s_delay_alu instid0(VALU_DEP_1) | instskip(SKIP_3) | instid1(VALU_DEP_2)
	v_not_b32_e32 v8, v40
	v_lshl_add_u32 v9, v40, 3, v21
	s_mov_b32 s19, 0
	s_mov_b64 s[22:23], s[8:9]
                                        ; implicit-def: $sgpr24
                                        ; implicit-def: $sgpr25
                                        ; implicit-def: $sgpr26
                                        ; implicit-def: $sgpr27
                                        ; implicit-def: $sgpr28
	v_lshl_add_u32 v8, v8, 3, v25
	ds_load_b64 v[10:11], v8
	ds_load_b64 v[41:42], v9
	s_waitcnt lgkmcnt(1)
	v_mul_lo_u32 v43, s20, v11
	v_mul_lo_u32 v44, s21, v10
	v_mad_u64_u32 v[8:9], null, s20, v10, s[10:11]
	s_waitcnt lgkmcnt(0)
	v_mul_lo_u32 v42, s20, v42
	v_mul_lo_u32 v45, s21, v41
	v_mad_u64_u32 v[10:11], null, s20, v41, s[10:11]
	s_delay_alu instid0(VALU_DEP_4) | instskip(NEXT) | instid1(VALU_DEP_2)
	v_add3_u32 v9, v44, v9, v43
	v_add3_u32 v11, v45, v11, v42
	s_set_inst_prefetch_distance 0x1
	s_branch .LBB1610_184
	.p2align	6
.LBB1610_183:                           ;   in Loop: Header=BB1610_184 Depth=2
	s_or_b32 exec_lo, exec_lo, s29
	s_delay_alu instid0(SALU_CYCLE_1) | instskip(NEXT) | instid1(SALU_CYCLE_1)
	s_and_b32 s0, exec_lo, s25
	s_or_b32 s19, s0, s19
	s_and_not1_b32 s0, s28, exec_lo
	s_and_b32 s28, s26, exec_lo
	s_and_not1_b32 s24, s24, exec_lo
	s_and_b32 s29, s27, exec_lo
	s_or_b32 s28, s0, s28
	s_or_b32 s24, s24, s29
	s_and_not1_b32 exec_lo, exec_lo, s19
	s_cbranch_execz .LBB1610_179
.LBB1610_184:                           ;   Parent Loop BB1610_181 Depth=1
                                        ; =>  This Inner Loop Header: Depth=2
	global_load_b64 v[41:42], v[8:9], off
	global_load_b64 v[43:44], v[10:11], off
	s_and_not1_b32 s27, s27, exec_lo
	s_and_not1_b32 s26, s26, exec_lo
	s_or_b32 s25, s25, exec_lo
	s_waitcnt vmcnt(0)
	v_cmp_le_u64_e32 vcc_lo, v[41:42], v[43:44]
	v_cmp_lt_u64_e64 s0, v[41:42], v[43:44]
	s_and_b32 s29, vcc_lo, s28
	s_delay_alu instid0(VALU_DEP_1) | instid1(SALU_CYCLE_1)
	s_or_b32 s0, s0, s29
	s_delay_alu instid0(SALU_CYCLE_1) | instskip(NEXT) | instid1(SALU_CYCLE_1)
	s_and_b32 s29, s0, exec_lo
	s_or_b32 s27, s27, s29
	s_mov_b32 s29, exec_lo
	v_cmpx_eq_u64_e64 v[41:42], v[43:44]
	s_cbranch_execz .LBB1610_183
; %bb.185:                              ;   in Loop: Header=BB1610_184 Depth=2
	s_add_u32 s22, s22, -1
	s_addc_u32 s23, s23, -1
	v_add_co_u32 v8, vcc_lo, v8, 8
	v_add_co_ci_u32_e32 v9, vcc_lo, 0, v9, vcc_lo
	s_cmp_eq_u64 s[22:23], 0
	v_add_co_u32 v10, vcc_lo, v10, 8
	s_cselect_b32 s28, -1, 0
	v_add_co_ci_u32_e32 v11, vcc_lo, 0, v11, vcc_lo
	s_and_not1_b32 s26, s26, exec_lo
	s_and_b32 s0, s0, exec_lo
	s_and_not1_b32 s25, s25, exec_lo
	s_and_b32 s28, s28, exec_lo
	s_and_not1_b32 s27, s27, exec_lo
	s_or_b32 s26, s26, s0
	s_or_b32 s25, s25, s28
                                        ; implicit-def: $sgpr28
	s_branch .LBB1610_183
.LBB1610_186:
	s_or_b32 exec_lo, exec_lo, s12
.LBB1610_187:
	s_delay_alu instid0(SALU_CYCLE_1) | instskip(SKIP_2) | instid1(VALU_DEP_2)
	s_or_b32 exec_lo, exec_lo, s1
	v_add_nc_u32_e32 v9, v14, v23
	v_add_nc_u32_e32 v8, v20, v22
	v_sub_nc_u32_e32 v9, v9, v20
	s_delay_alu instid0(VALU_DEP_2) | instskip(NEXT) | instid1(VALU_DEP_2)
	v_cmp_le_u32_e32 vcc_lo, v8, v14
	v_cmp_le_u32_e64 s0, v9, v15
	s_delay_alu instid0(VALU_DEP_1) | instskip(NEXT) | instid1(SALU_CYCLE_1)
	s_or_b32 s0, vcc_lo, s0
	s_and_saveexec_b32 s1, s0
	s_cbranch_execz .LBB1610_234
; %bb.188:
	v_cmp_ge_u32_e32 vcc_lo, v8, v14
	s_mov_b32 s12, exec_lo
                                        ; implicit-def: $vgpr0_vgpr1
	v_cmpx_lt_u32_e64 v8, v14
	s_cbranch_execz .LBB1610_190
; %bb.189:
	v_lshl_add_u32 v0, v20, 3, v21
	ds_load_b64 v[0:1], v0
.LBB1610_190:
	s_or_b32 exec_lo, exec_lo, s12
	v_cmp_ge_u32_e64 s12, v9, v15
	s_mov_b32 s19, exec_lo
                                        ; implicit-def: $vgpr4_vgpr5
	v_cmpx_lt_u32_e64 v9, v15
	s_cbranch_execz .LBB1610_192
; %bb.191:
	v_lshl_add_u32 v2, v9, 3, v16
	ds_load_b64 v[4:5], v2
.LBB1610_192:
	s_or_b32 exec_lo, exec_lo, s19
	s_or_b32 s0, vcc_lo, s12
	s_mov_b32 s19, -1
	s_xor_b32 s0, s0, -1
	s_delay_alu instid0(SALU_CYCLE_1)
	s_and_saveexec_b32 s22, s0
	s_cbranch_execz .LBB1610_201
; %bb.193:
	s_and_not1_b32 vcc_lo, exec_lo, s7
	s_cbranch_vccnz .LBB1610_199
; %bb.194:
	s_waitcnt lgkmcnt(0)
	v_mul_lo_u32 v10, v5, s8
	v_mul_lo_u32 v11, v4, s9
	v_mad_u64_u32 v[2:3], null, v4, s8, 0
	v_mul_lo_u32 v20, v1, s8
	v_mul_lo_u32 v21, v0, s9
	v_mad_u64_u32 v[6:7], null, v0, s8, 0
	s_mov_b32 s23, 0
	s_mov_b64 s[20:21], s[8:9]
	s_delay_alu instid0(VALU_DEP_4) | instskip(NEXT) | instid1(VALU_DEP_2)
	v_add3_u32 v3, v3, v11, v10
                                        ; implicit-def: $sgpr24
                                        ; implicit-def: $sgpr25
                                        ; implicit-def: $sgpr26
                                        ; implicit-def: $sgpr27
                                        ; implicit-def: $sgpr28
	v_add3_u32 v7, v7, v21, v20
	s_delay_alu instid0(VALU_DEP_2) | instskip(NEXT) | instid1(VALU_DEP_2)
	v_lshlrev_b64 v[2:3], 3, v[2:3]
	v_lshlrev_b64 v[6:7], 3, v[6:7]
	s_delay_alu instid0(VALU_DEP_2) | instskip(NEXT) | instid1(VALU_DEP_3)
	v_add_co_u32 v2, vcc_lo, s10, v2
	v_add_co_ci_u32_e32 v3, vcc_lo, s11, v3, vcc_lo
	s_delay_alu instid0(VALU_DEP_3) | instskip(NEXT) | instid1(VALU_DEP_4)
	v_add_co_u32 v6, vcc_lo, s10, v6
	v_add_co_ci_u32_e32 v7, vcc_lo, s11, v7, vcc_lo
	s_set_inst_prefetch_distance 0x1
	s_branch .LBB1610_196
	.p2align	6
.LBB1610_195:                           ;   in Loop: Header=BB1610_196 Depth=1
	s_or_b32 exec_lo, exec_lo, s0
	s_delay_alu instid0(SALU_CYCLE_1) | instskip(NEXT) | instid1(SALU_CYCLE_1)
	s_and_b32 s0, exec_lo, s25
	s_or_b32 s23, s0, s23
	s_and_not1_b32 s0, s28, exec_lo
	s_and_b32 s28, s27, exec_lo
	s_and_not1_b32 s24, s24, exec_lo
	s_and_b32 s29, s26, exec_lo
	s_or_b32 s28, s0, s28
	s_or_b32 s24, s24, s29
	s_and_not1_b32 exec_lo, exec_lo, s23
	s_cbranch_execz .LBB1610_198
.LBB1610_196:                           ; =>This Inner Loop Header: Depth=1
	global_load_b64 v[10:11], v[2:3], off
	global_load_b64 v[20:21], v[6:7], off
	s_and_not1_b32 s26, s26, exec_lo
	s_and_not1_b32 s27, s27, exec_lo
	s_or_b32 s25, s25, exec_lo
	s_waitcnt vmcnt(0)
	v_cmp_le_u64_e32 vcc_lo, v[10:11], v[20:21]
	v_cmp_lt_u64_e64 s0, v[10:11], v[20:21]
	s_and_b32 s29, vcc_lo, s28
	s_delay_alu instid0(VALU_DEP_1) | instid1(SALU_CYCLE_1)
	s_or_b32 s29, s0, s29
	s_delay_alu instid0(SALU_CYCLE_1) | instskip(NEXT) | instid1(SALU_CYCLE_1)
	s_and_b32 s0, s29, exec_lo
	s_or_b32 s26, s26, s0
	s_mov_b32 s0, exec_lo
	v_cmpx_eq_u64_e64 v[10:11], v[20:21]
	s_cbranch_execz .LBB1610_195
; %bb.197:                              ;   in Loop: Header=BB1610_196 Depth=1
	s_add_u32 s20, s20, -1
	s_addc_u32 s21, s21, -1
	v_add_co_u32 v2, vcc_lo, v2, 8
	s_cmp_eq_u64 s[20:21], 0
	v_add_co_ci_u32_e32 v3, vcc_lo, 0, v3, vcc_lo
	v_add_co_u32 v6, vcc_lo, v6, 8
	s_cselect_b32 s28, -1, 0
	v_add_co_ci_u32_e32 v7, vcc_lo, 0, v7, vcc_lo
	s_and_not1_b32 s27, s27, exec_lo
	s_and_b32 s29, s29, exec_lo
	s_and_not1_b32 s25, s25, exec_lo
	s_and_b32 s28, s28, exec_lo
	s_or_b32 s27, s27, s29
	s_and_not1_b32 s26, s26, exec_lo
	s_or_b32 s25, s25, s28
                                        ; implicit-def: $sgpr28
	s_branch .LBB1610_195
.LBB1610_198:
	s_set_inst_prefetch_distance 0x2
	s_or_b32 exec_lo, exec_lo, s23
	s_xor_b32 s0, s24, -1
	s_branch .LBB1610_200
.LBB1610_199:
	s_mov_b32 s0, -1
.LBB1610_200:
	s_and_not1_b32 s12, s12, exec_lo
	s_and_b32 s0, s0, exec_lo
	s_delay_alu instid0(SALU_CYCLE_1)
	s_or_b32 s12, s12, s0
.LBB1610_201:
	s_or_b32 exec_lo, exec_lo, s22
	v_cndmask_b32_e64 v2, v9, v8, s12
	v_cndmask_b32_e64 v3, v15, v14, s12
	s_mov_b32 s22, exec_lo
	s_delay_alu instid0(VALU_DEP_2) | instskip(NEXT) | instid1(VALU_DEP_2)
	v_add_nc_u32_e32 v6, 1, v2
	v_add_nc_u32_e32 v2, -1, v3
	s_delay_alu instid0(VALU_DEP_2) | instskip(NEXT) | instid1(VALU_DEP_2)
	v_cndmask_b32_e64 v9, v6, v9, s12
	v_min_u32_e32 v2, v6, v2
	v_cndmask_b32_e64 v8, v8, v6, s12
	s_delay_alu instid0(VALU_DEP_2)
	v_lshl_add_u32 v2, v2, 3, v16
	ds_load_b64 v[2:3], v2
	s_waitcnt lgkmcnt(0)
	v_cndmask_b32_e64 v10, v3, v5, s12
	v_cndmask_b32_e64 v11, v2, v4, s12
	;; [unrolled: 1-line block ×4, first 2 shown]
	v_cmpx_lt_u32_e64 v9, v15
	s_cbranch_execz .LBB1610_212
; %bb.202:
	s_mov_b32 s0, 0
	s_mov_b32 s19, exec_lo
	v_cmpx_lt_u32_e64 v8, v14
	s_cbranch_execz .LBB1610_211
; %bb.203:
	s_and_not1_b32 vcc_lo, exec_lo, s7
	s_cbranch_vccnz .LBB1610_209
; %bb.204:
	v_mul_lo_u32 v22, v10, s8
	v_mul_lo_u32 v23, v11, s9
	v_mad_u64_u32 v[2:3], null, v11, s8, 0
	v_mul_lo_u32 v24, v20, s8
	v_mul_lo_u32 v25, v21, s9
	v_mad_u64_u32 v[6:7], null, v21, s8, 0
	s_mov_b32 s23, 0
	s_mov_b64 s[20:21], s[8:9]
	s_delay_alu instid0(VALU_DEP_4) | instskip(NEXT) | instid1(VALU_DEP_2)
	v_add3_u32 v3, v3, v23, v22
                                        ; implicit-def: $sgpr24
                                        ; implicit-def: $sgpr25
                                        ; implicit-def: $sgpr26
                                        ; implicit-def: $sgpr27
                                        ; implicit-def: $sgpr28
	v_add3_u32 v7, v7, v25, v24
	s_delay_alu instid0(VALU_DEP_2) | instskip(NEXT) | instid1(VALU_DEP_2)
	v_lshlrev_b64 v[2:3], 3, v[2:3]
	v_lshlrev_b64 v[6:7], 3, v[6:7]
	s_delay_alu instid0(VALU_DEP_2) | instskip(NEXT) | instid1(VALU_DEP_3)
	v_add_co_u32 v2, vcc_lo, s10, v2
	v_add_co_ci_u32_e32 v3, vcc_lo, s11, v3, vcc_lo
	s_delay_alu instid0(VALU_DEP_3) | instskip(NEXT) | instid1(VALU_DEP_4)
	v_add_co_u32 v6, vcc_lo, s10, v6
	v_add_co_ci_u32_e32 v7, vcc_lo, s11, v7, vcc_lo
	s_set_inst_prefetch_distance 0x1
	s_branch .LBB1610_206
	.p2align	6
.LBB1610_205:                           ;   in Loop: Header=BB1610_206 Depth=1
	s_or_b32 exec_lo, exec_lo, s0
	s_delay_alu instid0(SALU_CYCLE_1) | instskip(NEXT) | instid1(SALU_CYCLE_1)
	s_and_b32 s0, exec_lo, s25
	s_or_b32 s23, s0, s23
	s_and_not1_b32 s0, s28, exec_lo
	s_and_b32 s28, s27, exec_lo
	s_and_not1_b32 s24, s24, exec_lo
	s_and_b32 s29, s26, exec_lo
	s_or_b32 s28, s0, s28
	s_or_b32 s24, s24, s29
	s_and_not1_b32 exec_lo, exec_lo, s23
	s_cbranch_execz .LBB1610_208
.LBB1610_206:                           ; =>This Inner Loop Header: Depth=1
	global_load_b64 v[22:23], v[2:3], off
	global_load_b64 v[24:25], v[6:7], off
	s_and_not1_b32 s26, s26, exec_lo
	s_and_not1_b32 s27, s27, exec_lo
	s_or_b32 s25, s25, exec_lo
	s_waitcnt vmcnt(0)
	v_cmp_le_u64_e32 vcc_lo, v[22:23], v[24:25]
	v_cmp_lt_u64_e64 s0, v[22:23], v[24:25]
	s_and_b32 s29, vcc_lo, s28
	s_delay_alu instid0(VALU_DEP_1) | instid1(SALU_CYCLE_1)
	s_or_b32 s29, s0, s29
	s_delay_alu instid0(SALU_CYCLE_1) | instskip(NEXT) | instid1(SALU_CYCLE_1)
	s_and_b32 s0, s29, exec_lo
	s_or_b32 s26, s26, s0
	s_mov_b32 s0, exec_lo
	v_cmpx_eq_u64_e64 v[22:23], v[24:25]
	s_cbranch_execz .LBB1610_205
; %bb.207:                              ;   in Loop: Header=BB1610_206 Depth=1
	s_add_u32 s20, s20, -1
	s_addc_u32 s21, s21, -1
	v_add_co_u32 v2, vcc_lo, v2, 8
	s_cmp_eq_u64 s[20:21], 0
	v_add_co_ci_u32_e32 v3, vcc_lo, 0, v3, vcc_lo
	v_add_co_u32 v6, vcc_lo, v6, 8
	s_cselect_b32 s28, -1, 0
	v_add_co_ci_u32_e32 v7, vcc_lo, 0, v7, vcc_lo
	s_and_not1_b32 s27, s27, exec_lo
	s_and_b32 s29, s29, exec_lo
	s_and_not1_b32 s25, s25, exec_lo
	s_and_b32 s28, s28, exec_lo
	s_or_b32 s27, s27, s29
	s_and_not1_b32 s26, s26, exec_lo
	s_or_b32 s25, s25, s28
                                        ; implicit-def: $sgpr28
	s_branch .LBB1610_205
.LBB1610_208:
	s_set_inst_prefetch_distance 0x2
	s_or_b32 exec_lo, exec_lo, s23
	s_xor_b32 s0, s24, -1
	s_branch .LBB1610_210
.LBB1610_209:
	s_mov_b32 s0, -1
.LBB1610_210:
	s_delay_alu instid0(SALU_CYCLE_1)
	s_and_b32 s0, s0, exec_lo
.LBB1610_211:
	s_or_b32 exec_lo, exec_lo, s19
	s_delay_alu instid0(SALU_CYCLE_1)
	s_or_not1_b32 s19, s0, exec_lo
.LBB1610_212:
	s_or_b32 exec_lo, exec_lo, s22
	v_cndmask_b32_e64 v2, v9, v8, s19
	v_cndmask_b32_e64 v3, v15, v14, s19
	s_mov_b32 s0, -1
	s_mov_b32 s22, exec_lo
	s_delay_alu instid0(VALU_DEP_2) | instskip(NEXT) | instid1(VALU_DEP_2)
	v_add_nc_u32_e32 v6, 1, v2
	v_add_nc_u32_e32 v2, -1, v3
	s_delay_alu instid0(VALU_DEP_2) | instskip(NEXT) | instid1(VALU_DEP_2)
	v_cndmask_b32_e64 v25, v6, v9, s19
	v_min_u32_e32 v2, v6, v2
	v_cndmask_b32_e64 v22, v8, v6, s19
	s_delay_alu instid0(VALU_DEP_2)
	v_lshl_add_u32 v2, v2, 3, v16
	ds_load_b64 v[2:3], v2
	s_waitcnt lgkmcnt(0)
	v_cndmask_b32_e64 v23, v3, v10, s19
	v_cndmask_b32_e64 v24, v2, v11, s19
	v_cndmask_b32_e64 v40, v20, v3, s19
	v_cndmask_b32_e64 v41, v21, v2, s19
	v_cmpx_lt_u32_e64 v25, v15
	s_cbranch_execz .LBB1610_223
; %bb.213:
	s_mov_b32 s0, 0
	s_mov_b32 s23, exec_lo
	v_cmpx_lt_u32_e64 v22, v14
	s_cbranch_execz .LBB1610_222
; %bb.214:
	s_and_not1_b32 vcc_lo, exec_lo, s7
	s_cbranch_vccnz .LBB1610_220
; %bb.215:
	v_mul_lo_u32 v8, v23, s8
	v_mul_lo_u32 v9, v24, s9
	v_mad_u64_u32 v[2:3], null, v24, s8, 0
	v_mul_lo_u32 v42, v40, s8
	v_mul_lo_u32 v43, v41, s9
	v_mad_u64_u32 v[6:7], null, v41, s8, 0
	s_mov_b32 s24, 0
	s_mov_b64 s[20:21], s[8:9]
	s_delay_alu instid0(VALU_DEP_4) | instskip(NEXT) | instid1(VALU_DEP_2)
	v_add3_u32 v3, v3, v9, v8
                                        ; implicit-def: $sgpr25
                                        ; implicit-def: $sgpr26
                                        ; implicit-def: $sgpr27
                                        ; implicit-def: $sgpr28
                                        ; implicit-def: $sgpr29
	v_add3_u32 v7, v7, v43, v42
	s_delay_alu instid0(VALU_DEP_2) | instskip(NEXT) | instid1(VALU_DEP_2)
	v_lshlrev_b64 v[2:3], 3, v[2:3]
	v_lshlrev_b64 v[6:7], 3, v[6:7]
	s_delay_alu instid0(VALU_DEP_2) | instskip(NEXT) | instid1(VALU_DEP_3)
	v_add_co_u32 v2, vcc_lo, s10, v2
	v_add_co_ci_u32_e32 v3, vcc_lo, s11, v3, vcc_lo
	s_delay_alu instid0(VALU_DEP_3) | instskip(NEXT) | instid1(VALU_DEP_4)
	v_add_co_u32 v6, vcc_lo, s10, v6
	v_add_co_ci_u32_e32 v7, vcc_lo, s11, v7, vcc_lo
	s_set_inst_prefetch_distance 0x1
	s_branch .LBB1610_217
	.p2align	6
.LBB1610_216:                           ;   in Loop: Header=BB1610_217 Depth=1
	s_or_b32 exec_lo, exec_lo, s0
	s_delay_alu instid0(SALU_CYCLE_1) | instskip(NEXT) | instid1(SALU_CYCLE_1)
	s_and_b32 s0, exec_lo, s26
	s_or_b32 s24, s0, s24
	s_and_not1_b32 s0, s29, exec_lo
	s_and_b32 s29, s28, exec_lo
	s_and_not1_b32 s25, s25, exec_lo
	s_and_b32 s30, s27, exec_lo
	s_or_b32 s29, s0, s29
	s_or_b32 s25, s25, s30
	s_and_not1_b32 exec_lo, exec_lo, s24
	s_cbranch_execz .LBB1610_219
.LBB1610_217:                           ; =>This Inner Loop Header: Depth=1
	global_load_b64 v[8:9], v[2:3], off
	global_load_b64 v[42:43], v[6:7], off
	s_and_not1_b32 s27, s27, exec_lo
	s_and_not1_b32 s28, s28, exec_lo
	s_or_b32 s26, s26, exec_lo
	s_waitcnt vmcnt(0)
	v_cmp_le_u64_e32 vcc_lo, v[8:9], v[42:43]
	v_cmp_lt_u64_e64 s0, v[8:9], v[42:43]
	s_and_b32 s30, vcc_lo, s29
	s_delay_alu instid0(VALU_DEP_1) | instid1(SALU_CYCLE_1)
	s_or_b32 s30, s0, s30
	s_delay_alu instid0(SALU_CYCLE_1) | instskip(NEXT) | instid1(SALU_CYCLE_1)
	s_and_b32 s0, s30, exec_lo
	s_or_b32 s27, s27, s0
	s_mov_b32 s0, exec_lo
	v_cmpx_eq_u64_e64 v[8:9], v[42:43]
	s_cbranch_execz .LBB1610_216
; %bb.218:                              ;   in Loop: Header=BB1610_217 Depth=1
	s_add_u32 s20, s20, -1
	s_addc_u32 s21, s21, -1
	v_add_co_u32 v2, vcc_lo, v2, 8
	s_cmp_eq_u64 s[20:21], 0
	v_add_co_ci_u32_e32 v3, vcc_lo, 0, v3, vcc_lo
	v_add_co_u32 v6, vcc_lo, v6, 8
	s_cselect_b32 s29, -1, 0
	v_add_co_ci_u32_e32 v7, vcc_lo, 0, v7, vcc_lo
	s_and_not1_b32 s28, s28, exec_lo
	s_and_b32 s30, s30, exec_lo
	s_and_not1_b32 s26, s26, exec_lo
	s_and_b32 s29, s29, exec_lo
	s_or_b32 s28, s28, s30
	s_and_not1_b32 s27, s27, exec_lo
	s_or_b32 s26, s26, s29
                                        ; implicit-def: $sgpr29
	s_branch .LBB1610_216
.LBB1610_219:
	s_set_inst_prefetch_distance 0x2
	s_or_b32 exec_lo, exec_lo, s24
	s_xor_b32 s0, s25, -1
	s_branch .LBB1610_221
.LBB1610_220:
	s_mov_b32 s0, -1
.LBB1610_221:
	s_delay_alu instid0(SALU_CYCLE_1)
	s_and_b32 s0, s0, exec_lo
.LBB1610_222:
	s_or_b32 exec_lo, exec_lo, s23
	s_delay_alu instid0(SALU_CYCLE_1)
	s_or_not1_b32 s0, s0, exec_lo
.LBB1610_223:
	s_or_b32 exec_lo, exec_lo, s22
	v_cndmask_b32_e64 v2, v25, v22, s0
	v_cndmask_b32_e64 v3, v15, v14, s0
	;; [unrolled: 1-line block ×5, first 2 shown]
	v_add_nc_u32_e32 v42, 1, v2
	v_add_nc_u32_e32 v2, -1, v3
	v_cndmask_b32_e64 v3, v10, v20, s19
	v_cndmask_b32_e64 v4, v24, v41, s0
	s_mov_b32 s12, exec_lo
	v_cndmask_b32_e64 v10, v42, v25, s0
	v_min_u32_e32 v2, v42, v2
	s_delay_alu instid0(VALU_DEP_1)
	v_lshl_add_u32 v2, v2, 3, v16
	ds_load_b64 v[8:9], v2
	v_cndmask_b32_e64 v2, v11, v21, s19
	s_waitcnt lgkmcnt(0)
	v_cndmask_b32_e64 v7, v40, v9, s0
	v_cndmask_b32_e64 v6, v41, v8, s0
	v_cmpx_lt_u32_e64 v10, v15
	s_cbranch_execz .LBB1610_233
; %bb.224:
	v_cndmask_b32_e64 v10, v22, v42, s0
	v_cndmask_b32_e64 v9, v9, v23, s0
	;; [unrolled: 1-line block ×3, first 2 shown]
	s_mov_b32 s19, exec_lo
	s_delay_alu instid0(VALU_DEP_3)
	v_cmpx_lt_u32_e64 v10, v14
	s_cbranch_execz .LBB1610_232
; %bb.225:
	s_and_not1_b32 vcc_lo, exec_lo, s7
	s_cbranch_vccnz .LBB1610_231
; %bb.226:
	v_mul_lo_u32 v20, v9, s8
	v_mul_lo_u32 v21, v8, s9
	v_mad_u64_u32 v[10:11], null, v8, s8, 0
	v_mul_lo_u32 v22, v7, s8
	v_mul_lo_u32 v23, v6, s9
	v_mad_u64_u32 v[14:15], null, v6, s8, 0
	s_mov_b32 s22, 0
	s_mov_b64 s[20:21], s[8:9]
	s_delay_alu instid0(VALU_DEP_4) | instskip(NEXT) | instid1(VALU_DEP_2)
	v_add3_u32 v11, v11, v21, v20
                                        ; implicit-def: $sgpr23
                                        ; implicit-def: $sgpr24
                                        ; implicit-def: $sgpr25
                                        ; implicit-def: $sgpr26
                                        ; implicit-def: $sgpr27
	v_add3_u32 v15, v15, v23, v22
	s_delay_alu instid0(VALU_DEP_2) | instskip(NEXT) | instid1(VALU_DEP_2)
	v_lshlrev_b64 v[10:11], 3, v[10:11]
	v_lshlrev_b64 v[14:15], 3, v[14:15]
	s_delay_alu instid0(VALU_DEP_2) | instskip(NEXT) | instid1(VALU_DEP_3)
	v_add_co_u32 v10, vcc_lo, s10, v10
	v_add_co_ci_u32_e32 v11, vcc_lo, s11, v11, vcc_lo
	s_delay_alu instid0(VALU_DEP_3) | instskip(NEXT) | instid1(VALU_DEP_4)
	v_add_co_u32 v14, vcc_lo, s10, v14
	v_add_co_ci_u32_e32 v15, vcc_lo, s11, v15, vcc_lo
	s_set_inst_prefetch_distance 0x1
	s_branch .LBB1610_228
	.p2align	6
.LBB1610_227:                           ;   in Loop: Header=BB1610_228 Depth=1
	s_or_b32 exec_lo, exec_lo, s0
	s_delay_alu instid0(SALU_CYCLE_1) | instskip(NEXT) | instid1(SALU_CYCLE_1)
	s_and_b32 s0, exec_lo, s24
	s_or_b32 s22, s0, s22
	s_and_not1_b32 s0, s27, exec_lo
	s_and_b32 s27, s26, exec_lo
	s_and_not1_b32 s23, s23, exec_lo
	s_and_b32 s28, s25, exec_lo
	s_or_b32 s27, s0, s27
	s_or_b32 s23, s23, s28
	s_and_not1_b32 exec_lo, exec_lo, s22
	s_cbranch_execz .LBB1610_230
.LBB1610_228:                           ; =>This Inner Loop Header: Depth=1
	global_load_b64 v[20:21], v[10:11], off
	global_load_b64 v[22:23], v[14:15], off
	s_and_not1_b32 s25, s25, exec_lo
	s_and_not1_b32 s26, s26, exec_lo
	s_or_b32 s24, s24, exec_lo
	s_waitcnt vmcnt(0)
	v_cmp_le_u64_e32 vcc_lo, v[20:21], v[22:23]
	v_cmp_lt_u64_e64 s0, v[20:21], v[22:23]
	s_and_b32 s28, vcc_lo, s27
	s_delay_alu instid0(VALU_DEP_1) | instid1(SALU_CYCLE_1)
	s_or_b32 s28, s0, s28
	s_delay_alu instid0(SALU_CYCLE_1) | instskip(NEXT) | instid1(SALU_CYCLE_1)
	s_and_b32 s0, s28, exec_lo
	s_or_b32 s25, s25, s0
	s_mov_b32 s0, exec_lo
	v_cmpx_eq_u64_e64 v[20:21], v[22:23]
	s_cbranch_execz .LBB1610_227
; %bb.229:                              ;   in Loop: Header=BB1610_228 Depth=1
	s_add_u32 s20, s20, -1
	s_addc_u32 s21, s21, -1
	v_add_co_u32 v10, vcc_lo, v10, 8
	s_cmp_eq_u64 s[20:21], 0
	v_add_co_ci_u32_e32 v11, vcc_lo, 0, v11, vcc_lo
	v_add_co_u32 v14, vcc_lo, v14, 8
	s_cselect_b32 s27, -1, 0
	v_add_co_ci_u32_e32 v15, vcc_lo, 0, v15, vcc_lo
	s_and_not1_b32 s26, s26, exec_lo
	s_and_b32 s28, s28, exec_lo
	s_and_not1_b32 s24, s24, exec_lo
	s_and_b32 s27, s27, exec_lo
	s_or_b32 s26, s26, s28
	s_and_not1_b32 s25, s25, exec_lo
	s_or_b32 s24, s24, s27
                                        ; implicit-def: $sgpr27
	s_branch .LBB1610_227
.LBB1610_230:
	s_set_inst_prefetch_distance 0x2
	s_or_b32 exec_lo, exec_lo, s22
	v_cndmask_b32_e64 v7, v7, v9, s23
	v_cndmask_b32_e64 v6, v6, v8, s23
.LBB1610_231:
	s_delay_alu instid0(VALU_DEP_1)
	v_dual_mov_b32 v9, v7 :: v_dual_mov_b32 v8, v6
.LBB1610_232:
	s_or_b32 exec_lo, exec_lo, s19
	s_delay_alu instid0(VALU_DEP_1)
	v_dual_mov_b32 v6, v8 :: v_dual_mov_b32 v7, v9
.LBB1610_233:
	s_or_b32 exec_lo, exec_lo, s12
.LBB1610_234:
	s_delay_alu instid0(SALU_CYCLE_1) | instskip(SKIP_3) | instid1(VALU_DEP_2)
	s_or_b32 exec_lo, exec_lo, s1
	v_and_b32_e32 v20, 64, v18
	v_and_b32_e32 v9, 60, v18
	s_mov_b32 s1, exec_lo
	; wave barrier
	v_or_b32_e32 v8, 32, v20
	s_delay_alu instid0(VALU_DEP_2) | instskip(SKIP_4) | instid1(VALU_DEP_1)
	v_min_u32_e32 v21, v17, v9
	v_lshl_add_u32 v18, v20, 3, v16
	ds_store_b128 v19, v[0:3]
	ds_store_b128 v19, v[4:7] offset:16
	v_min_u32_e32 v14, v17, v8
	; wave barrier
	v_add_nc_u32_e32 v8, 32, v14
	v_sub_nc_u32_e32 v9, v14, v20
	s_delay_alu instid0(VALU_DEP_2) | instskip(NEXT) | instid1(VALU_DEP_2)
	v_min_u32_e32 v15, v17, v8
	v_min_u32_e32 v22, v21, v9
	s_delay_alu instid0(VALU_DEP_2) | instskip(NEXT) | instid1(VALU_DEP_1)
	v_sub_nc_u32_e32 v8, v15, v14
	v_sub_nc_u32_e64 v17, v21, v8 clamp
	s_delay_alu instid0(VALU_DEP_1)
	v_cmpx_lt_u32_e64 v17, v22
	s_cbranch_execz .LBB1610_244
; %bb.235:
	v_lshlrev_b32_e32 v8, 3, v14
	v_lshlrev_b32_e32 v9, 3, v21
	s_lshl_b64 s[20:21], s[8:9], 3
	s_mov_b32 s12, 0
	s_delay_alu instid0(VALU_DEP_1)
	v_add3_u32 v19, v16, v8, v9
	s_branch .LBB1610_238
.LBB1610_236:                           ;   in Loop: Header=BB1610_238 Depth=1
	s_set_inst_prefetch_distance 0x2
	s_or_b32 exec_lo, exec_lo, s19
.LBB1610_237:                           ;   in Loop: Header=BB1610_238 Depth=1
	s_delay_alu instid0(VALU_DEP_1) | instskip(SKIP_1) | instid1(VALU_DEP_2)
	v_add_nc_u32_e32 v8, 1, v23
	v_cndmask_b32_e64 v22, v22, v23, s24
	v_cndmask_b32_e64 v17, v8, v17, s24
	s_delay_alu instid0(VALU_DEP_1) | instskip(SKIP_1) | instid1(SALU_CYCLE_1)
	v_cmp_ge_u32_e32 vcc_lo, v17, v22
	s_or_b32 s12, vcc_lo, s12
	s_and_not1_b32 exec_lo, exec_lo, s12
	s_cbranch_execz .LBB1610_243
.LBB1610_238:                           ; =>This Loop Header: Depth=1
                                        ;     Child Loop BB1610_241 Depth 2
	v_add_nc_u32_e32 v8, v22, v17
	s_and_not1_b32 vcc_lo, exec_lo, s7
	s_mov_b32 s24, 0
	s_delay_alu instid0(VALU_DEP_1)
	v_lshrrev_b32_e32 v23, 1, v8
	s_cbranch_vccnz .LBB1610_237
; %bb.239:                              ;   in Loop: Header=BB1610_238 Depth=1
	s_delay_alu instid0(VALU_DEP_1) | instskip(SKIP_3) | instid1(VALU_DEP_2)
	v_not_b32_e32 v8, v23
	v_lshl_add_u32 v9, v23, 3, v18
	s_mov_b32 s19, 0
	s_mov_b64 s[22:23], s[8:9]
                                        ; implicit-def: $sgpr24
                                        ; implicit-def: $sgpr25
                                        ; implicit-def: $sgpr26
                                        ; implicit-def: $sgpr27
                                        ; implicit-def: $sgpr28
	v_lshl_add_u32 v8, v8, 3, v19
	ds_load_b64 v[10:11], v8
	ds_load_b64 v[24:25], v9
	s_waitcnt lgkmcnt(1)
	v_mul_lo_u32 v40, s20, v11
	v_mul_lo_u32 v41, s21, v10
	v_mad_u64_u32 v[8:9], null, s20, v10, s[10:11]
	s_waitcnt lgkmcnt(0)
	v_mul_lo_u32 v25, s20, v25
	v_mul_lo_u32 v42, s21, v24
	v_mad_u64_u32 v[10:11], null, s20, v24, s[10:11]
	s_delay_alu instid0(VALU_DEP_4) | instskip(NEXT) | instid1(VALU_DEP_2)
	v_add3_u32 v9, v41, v9, v40
	v_add3_u32 v11, v42, v11, v25
	s_set_inst_prefetch_distance 0x1
	s_branch .LBB1610_241
	.p2align	6
.LBB1610_240:                           ;   in Loop: Header=BB1610_241 Depth=2
	s_or_b32 exec_lo, exec_lo, s29
	s_delay_alu instid0(SALU_CYCLE_1) | instskip(NEXT) | instid1(SALU_CYCLE_1)
	s_and_b32 s0, exec_lo, s25
	s_or_b32 s19, s0, s19
	s_and_not1_b32 s0, s28, exec_lo
	s_and_b32 s28, s26, exec_lo
	s_and_not1_b32 s24, s24, exec_lo
	s_and_b32 s29, s27, exec_lo
	s_or_b32 s28, s0, s28
	s_or_b32 s24, s24, s29
	s_and_not1_b32 exec_lo, exec_lo, s19
	s_cbranch_execz .LBB1610_236
.LBB1610_241:                           ;   Parent Loop BB1610_238 Depth=1
                                        ; =>  This Inner Loop Header: Depth=2
	global_load_b64 v[24:25], v[8:9], off
	global_load_b64 v[40:41], v[10:11], off
	s_and_not1_b32 s27, s27, exec_lo
	s_and_not1_b32 s26, s26, exec_lo
	s_or_b32 s25, s25, exec_lo
	s_waitcnt vmcnt(0)
	v_cmp_le_u64_e32 vcc_lo, v[24:25], v[40:41]
	v_cmp_lt_u64_e64 s0, v[24:25], v[40:41]
	s_and_b32 s29, vcc_lo, s28
	s_delay_alu instid0(VALU_DEP_1) | instid1(SALU_CYCLE_1)
	s_or_b32 s0, s0, s29
	s_delay_alu instid0(SALU_CYCLE_1) | instskip(NEXT) | instid1(SALU_CYCLE_1)
	s_and_b32 s29, s0, exec_lo
	s_or_b32 s27, s27, s29
	s_mov_b32 s29, exec_lo
	v_cmpx_eq_u64_e64 v[24:25], v[40:41]
	s_cbranch_execz .LBB1610_240
; %bb.242:                              ;   in Loop: Header=BB1610_241 Depth=2
	s_add_u32 s22, s22, -1
	s_addc_u32 s23, s23, -1
	v_add_co_u32 v8, vcc_lo, v8, 8
	v_add_co_ci_u32_e32 v9, vcc_lo, 0, v9, vcc_lo
	s_cmp_eq_u64 s[22:23], 0
	v_add_co_u32 v10, vcc_lo, v10, 8
	s_cselect_b32 s28, -1, 0
	v_add_co_ci_u32_e32 v11, vcc_lo, 0, v11, vcc_lo
	s_and_not1_b32 s26, s26, exec_lo
	s_and_b32 s0, s0, exec_lo
	s_and_not1_b32 s25, s25, exec_lo
	s_and_b32 s28, s28, exec_lo
	s_and_not1_b32 s27, s27, exec_lo
	s_or_b32 s26, s26, s0
	s_or_b32 s25, s25, s28
                                        ; implicit-def: $sgpr28
	s_branch .LBB1610_240
.LBB1610_243:
	s_or_b32 exec_lo, exec_lo, s12
.LBB1610_244:
	s_delay_alu instid0(SALU_CYCLE_1) | instskip(SKIP_2) | instid1(VALU_DEP_2)
	s_or_b32 exec_lo, exec_lo, s1
	v_add_nc_u32_e32 v9, v14, v21
	v_add_nc_u32_e32 v8, v17, v20
	v_sub_nc_u32_e32 v9, v9, v17
	s_delay_alu instid0(VALU_DEP_2) | instskip(NEXT) | instid1(VALU_DEP_2)
	v_cmp_le_u32_e32 vcc_lo, v8, v14
	v_cmp_le_u32_e64 s0, v9, v15
	s_delay_alu instid0(VALU_DEP_1) | instskip(NEXT) | instid1(SALU_CYCLE_1)
	s_or_b32 s0, vcc_lo, s0
	s_and_saveexec_b32 s1, s0
	s_cbranch_execz .LBB1610_291
; %bb.245:
	v_cmp_ge_u32_e32 vcc_lo, v8, v14
	s_mov_b32 s12, exec_lo
                                        ; implicit-def: $vgpr0_vgpr1
	v_cmpx_lt_u32_e64 v8, v14
	s_cbranch_execz .LBB1610_247
; %bb.246:
	v_lshl_add_u32 v0, v17, 3, v18
	ds_load_b64 v[0:1], v0
.LBB1610_247:
	s_or_b32 exec_lo, exec_lo, s12
	v_cmp_ge_u32_e64 s12, v9, v15
	s_mov_b32 s19, exec_lo
                                        ; implicit-def: $vgpr4_vgpr5
	v_cmpx_lt_u32_e64 v9, v15
	s_cbranch_execz .LBB1610_249
; %bb.248:
	v_lshl_add_u32 v2, v9, 3, v16
	ds_load_b64 v[4:5], v2
.LBB1610_249:
	s_or_b32 exec_lo, exec_lo, s19
	s_or_b32 s0, vcc_lo, s12
	s_mov_b32 s19, -1
	s_xor_b32 s0, s0, -1
	s_delay_alu instid0(SALU_CYCLE_1)
	s_and_saveexec_b32 s22, s0
	s_cbranch_execz .LBB1610_258
; %bb.250:
	s_and_not1_b32 vcc_lo, exec_lo, s7
	s_cbranch_vccnz .LBB1610_256
; %bb.251:
	s_waitcnt lgkmcnt(0)
	v_mul_lo_u32 v10, v5, s8
	v_mul_lo_u32 v11, v4, s9
	v_mad_u64_u32 v[2:3], null, v4, s8, 0
	v_mul_lo_u32 v17, v1, s8
	v_mul_lo_u32 v18, v0, s9
	v_mad_u64_u32 v[6:7], null, v0, s8, 0
	s_mov_b32 s23, 0
	s_mov_b64 s[20:21], s[8:9]
	s_delay_alu instid0(VALU_DEP_4) | instskip(NEXT) | instid1(VALU_DEP_2)
	v_add3_u32 v3, v3, v11, v10
                                        ; implicit-def: $sgpr24
                                        ; implicit-def: $sgpr25
                                        ; implicit-def: $sgpr26
                                        ; implicit-def: $sgpr27
                                        ; implicit-def: $sgpr28
	v_add3_u32 v7, v7, v18, v17
	s_delay_alu instid0(VALU_DEP_2) | instskip(NEXT) | instid1(VALU_DEP_2)
	v_lshlrev_b64 v[2:3], 3, v[2:3]
	v_lshlrev_b64 v[6:7], 3, v[6:7]
	s_delay_alu instid0(VALU_DEP_2) | instskip(NEXT) | instid1(VALU_DEP_3)
	v_add_co_u32 v2, vcc_lo, s10, v2
	v_add_co_ci_u32_e32 v3, vcc_lo, s11, v3, vcc_lo
	s_delay_alu instid0(VALU_DEP_3) | instskip(NEXT) | instid1(VALU_DEP_4)
	v_add_co_u32 v6, vcc_lo, s10, v6
	v_add_co_ci_u32_e32 v7, vcc_lo, s11, v7, vcc_lo
	s_set_inst_prefetch_distance 0x1
	s_branch .LBB1610_253
	.p2align	6
.LBB1610_252:                           ;   in Loop: Header=BB1610_253 Depth=1
	s_or_b32 exec_lo, exec_lo, s0
	s_delay_alu instid0(SALU_CYCLE_1) | instskip(NEXT) | instid1(SALU_CYCLE_1)
	s_and_b32 s0, exec_lo, s25
	s_or_b32 s23, s0, s23
	s_and_not1_b32 s0, s28, exec_lo
	s_and_b32 s28, s27, exec_lo
	s_and_not1_b32 s24, s24, exec_lo
	s_and_b32 s29, s26, exec_lo
	s_or_b32 s28, s0, s28
	s_or_b32 s24, s24, s29
	s_and_not1_b32 exec_lo, exec_lo, s23
	s_cbranch_execz .LBB1610_255
.LBB1610_253:                           ; =>This Inner Loop Header: Depth=1
	global_load_b64 v[10:11], v[2:3], off
	global_load_b64 v[17:18], v[6:7], off
	s_and_not1_b32 s26, s26, exec_lo
	s_and_not1_b32 s27, s27, exec_lo
	s_or_b32 s25, s25, exec_lo
	s_waitcnt vmcnt(0)
	v_cmp_le_u64_e32 vcc_lo, v[10:11], v[17:18]
	v_cmp_lt_u64_e64 s0, v[10:11], v[17:18]
	s_and_b32 s29, vcc_lo, s28
	s_delay_alu instid0(VALU_DEP_1) | instid1(SALU_CYCLE_1)
	s_or_b32 s29, s0, s29
	s_delay_alu instid0(SALU_CYCLE_1) | instskip(NEXT) | instid1(SALU_CYCLE_1)
	s_and_b32 s0, s29, exec_lo
	s_or_b32 s26, s26, s0
	s_mov_b32 s0, exec_lo
	v_cmpx_eq_u64_e64 v[10:11], v[17:18]
	s_cbranch_execz .LBB1610_252
; %bb.254:                              ;   in Loop: Header=BB1610_253 Depth=1
	s_add_u32 s20, s20, -1
	s_addc_u32 s21, s21, -1
	v_add_co_u32 v2, vcc_lo, v2, 8
	s_cmp_eq_u64 s[20:21], 0
	v_add_co_ci_u32_e32 v3, vcc_lo, 0, v3, vcc_lo
	v_add_co_u32 v6, vcc_lo, v6, 8
	s_cselect_b32 s28, -1, 0
	v_add_co_ci_u32_e32 v7, vcc_lo, 0, v7, vcc_lo
	s_and_not1_b32 s27, s27, exec_lo
	s_and_b32 s29, s29, exec_lo
	s_and_not1_b32 s25, s25, exec_lo
	s_and_b32 s28, s28, exec_lo
	s_or_b32 s27, s27, s29
	s_and_not1_b32 s26, s26, exec_lo
	s_or_b32 s25, s25, s28
                                        ; implicit-def: $sgpr28
	s_branch .LBB1610_252
.LBB1610_255:
	s_set_inst_prefetch_distance 0x2
	s_or_b32 exec_lo, exec_lo, s23
	s_xor_b32 s0, s24, -1
	s_branch .LBB1610_257
.LBB1610_256:
	s_mov_b32 s0, -1
.LBB1610_257:
	s_and_not1_b32 s12, s12, exec_lo
	s_and_b32 s0, s0, exec_lo
	s_delay_alu instid0(SALU_CYCLE_1)
	s_or_b32 s12, s12, s0
.LBB1610_258:
	s_or_b32 exec_lo, exec_lo, s22
	v_cndmask_b32_e64 v2, v9, v8, s12
	v_cndmask_b32_e64 v3, v15, v14, s12
	s_mov_b32 s22, exec_lo
	s_delay_alu instid0(VALU_DEP_2) | instskip(NEXT) | instid1(VALU_DEP_2)
	v_add_nc_u32_e32 v6, 1, v2
	v_add_nc_u32_e32 v2, -1, v3
	s_delay_alu instid0(VALU_DEP_2) | instskip(NEXT) | instid1(VALU_DEP_2)
	v_cndmask_b32_e64 v9, v6, v9, s12
	v_min_u32_e32 v2, v6, v2
	v_cndmask_b32_e64 v8, v8, v6, s12
	s_delay_alu instid0(VALU_DEP_2)
	v_lshl_add_u32 v2, v2, 3, v16
	ds_load_b64 v[2:3], v2
	s_waitcnt lgkmcnt(0)
	v_cndmask_b32_e64 v10, v3, v5, s12
	v_cndmask_b32_e64 v11, v2, v4, s12
	;; [unrolled: 1-line block ×4, first 2 shown]
	v_cmpx_lt_u32_e64 v9, v15
	s_cbranch_execz .LBB1610_269
; %bb.259:
	s_mov_b32 s0, 0
	s_mov_b32 s19, exec_lo
	v_cmpx_lt_u32_e64 v8, v14
	s_cbranch_execz .LBB1610_268
; %bb.260:
	s_and_not1_b32 vcc_lo, exec_lo, s7
	s_cbranch_vccnz .LBB1610_266
; %bb.261:
	v_mul_lo_u32 v19, v10, s8
	v_mul_lo_u32 v20, v11, s9
	v_mad_u64_u32 v[2:3], null, v11, s8, 0
	v_mul_lo_u32 v21, v17, s8
	v_mul_lo_u32 v22, v18, s9
	v_mad_u64_u32 v[6:7], null, v18, s8, 0
	s_mov_b32 s23, 0
	s_mov_b64 s[20:21], s[8:9]
	s_delay_alu instid0(VALU_DEP_4) | instskip(NEXT) | instid1(VALU_DEP_2)
	v_add3_u32 v3, v3, v20, v19
                                        ; implicit-def: $sgpr24
                                        ; implicit-def: $sgpr25
                                        ; implicit-def: $sgpr26
                                        ; implicit-def: $sgpr27
                                        ; implicit-def: $sgpr28
	v_add3_u32 v7, v7, v22, v21
	s_delay_alu instid0(VALU_DEP_2) | instskip(NEXT) | instid1(VALU_DEP_2)
	v_lshlrev_b64 v[2:3], 3, v[2:3]
	v_lshlrev_b64 v[6:7], 3, v[6:7]
	s_delay_alu instid0(VALU_DEP_2) | instskip(NEXT) | instid1(VALU_DEP_3)
	v_add_co_u32 v2, vcc_lo, s10, v2
	v_add_co_ci_u32_e32 v3, vcc_lo, s11, v3, vcc_lo
	s_delay_alu instid0(VALU_DEP_3) | instskip(NEXT) | instid1(VALU_DEP_4)
	v_add_co_u32 v6, vcc_lo, s10, v6
	v_add_co_ci_u32_e32 v7, vcc_lo, s11, v7, vcc_lo
	s_set_inst_prefetch_distance 0x1
	s_branch .LBB1610_263
	.p2align	6
.LBB1610_262:                           ;   in Loop: Header=BB1610_263 Depth=1
	s_or_b32 exec_lo, exec_lo, s0
	s_delay_alu instid0(SALU_CYCLE_1) | instskip(NEXT) | instid1(SALU_CYCLE_1)
	s_and_b32 s0, exec_lo, s25
	s_or_b32 s23, s0, s23
	s_and_not1_b32 s0, s28, exec_lo
	s_and_b32 s28, s27, exec_lo
	s_and_not1_b32 s24, s24, exec_lo
	s_and_b32 s29, s26, exec_lo
	s_or_b32 s28, s0, s28
	s_or_b32 s24, s24, s29
	s_and_not1_b32 exec_lo, exec_lo, s23
	s_cbranch_execz .LBB1610_265
.LBB1610_263:                           ; =>This Inner Loop Header: Depth=1
	global_load_b64 v[19:20], v[2:3], off
	global_load_b64 v[21:22], v[6:7], off
	s_and_not1_b32 s26, s26, exec_lo
	s_and_not1_b32 s27, s27, exec_lo
	s_or_b32 s25, s25, exec_lo
	s_waitcnt vmcnt(0)
	v_cmp_le_u64_e32 vcc_lo, v[19:20], v[21:22]
	v_cmp_lt_u64_e64 s0, v[19:20], v[21:22]
	s_and_b32 s29, vcc_lo, s28
	s_delay_alu instid0(VALU_DEP_1) | instid1(SALU_CYCLE_1)
	s_or_b32 s29, s0, s29
	s_delay_alu instid0(SALU_CYCLE_1) | instskip(NEXT) | instid1(SALU_CYCLE_1)
	s_and_b32 s0, s29, exec_lo
	s_or_b32 s26, s26, s0
	s_mov_b32 s0, exec_lo
	v_cmpx_eq_u64_e64 v[19:20], v[21:22]
	s_cbranch_execz .LBB1610_262
; %bb.264:                              ;   in Loop: Header=BB1610_263 Depth=1
	s_add_u32 s20, s20, -1
	s_addc_u32 s21, s21, -1
	v_add_co_u32 v2, vcc_lo, v2, 8
	s_cmp_eq_u64 s[20:21], 0
	v_add_co_ci_u32_e32 v3, vcc_lo, 0, v3, vcc_lo
	v_add_co_u32 v6, vcc_lo, v6, 8
	s_cselect_b32 s28, -1, 0
	v_add_co_ci_u32_e32 v7, vcc_lo, 0, v7, vcc_lo
	s_and_not1_b32 s27, s27, exec_lo
	s_and_b32 s29, s29, exec_lo
	s_and_not1_b32 s25, s25, exec_lo
	s_and_b32 s28, s28, exec_lo
	s_or_b32 s27, s27, s29
	s_and_not1_b32 s26, s26, exec_lo
	s_or_b32 s25, s25, s28
                                        ; implicit-def: $sgpr28
	s_branch .LBB1610_262
.LBB1610_265:
	s_set_inst_prefetch_distance 0x2
	s_or_b32 exec_lo, exec_lo, s23
	s_xor_b32 s0, s24, -1
	s_branch .LBB1610_267
.LBB1610_266:
	s_mov_b32 s0, -1
.LBB1610_267:
	s_delay_alu instid0(SALU_CYCLE_1)
	s_and_b32 s0, s0, exec_lo
.LBB1610_268:
	s_or_b32 exec_lo, exec_lo, s19
	s_delay_alu instid0(SALU_CYCLE_1)
	s_or_not1_b32 s19, s0, exec_lo
.LBB1610_269:
	s_or_b32 exec_lo, exec_lo, s22
	v_cndmask_b32_e64 v2, v9, v8, s19
	v_cndmask_b32_e64 v3, v15, v14, s19
	s_mov_b32 s0, -1
	s_mov_b32 s22, exec_lo
	s_delay_alu instid0(VALU_DEP_2) | instskip(NEXT) | instid1(VALU_DEP_2)
	v_add_nc_u32_e32 v6, 1, v2
	v_add_nc_u32_e32 v2, -1, v3
	s_delay_alu instid0(VALU_DEP_2) | instskip(NEXT) | instid1(VALU_DEP_2)
	v_cndmask_b32_e64 v22, v6, v9, s19
	v_min_u32_e32 v2, v6, v2
	v_cndmask_b32_e64 v19, v8, v6, s19
	s_delay_alu instid0(VALU_DEP_2)
	v_lshl_add_u32 v2, v2, 3, v16
	ds_load_b64 v[2:3], v2
	s_waitcnt lgkmcnt(0)
	v_cndmask_b32_e64 v20, v3, v10, s19
	v_cndmask_b32_e64 v21, v2, v11, s19
	v_cndmask_b32_e64 v23, v17, v3, s19
	v_cndmask_b32_e64 v24, v18, v2, s19
	v_cmpx_lt_u32_e64 v22, v15
	s_cbranch_execz .LBB1610_280
; %bb.270:
	s_mov_b32 s0, 0
	s_mov_b32 s23, exec_lo
	v_cmpx_lt_u32_e64 v19, v14
	s_cbranch_execz .LBB1610_279
; %bb.271:
	s_and_not1_b32 vcc_lo, exec_lo, s7
	s_cbranch_vccnz .LBB1610_277
; %bb.272:
	v_mul_lo_u32 v8, v20, s8
	v_mul_lo_u32 v9, v21, s9
	v_mad_u64_u32 v[2:3], null, v21, s8, 0
	v_mul_lo_u32 v25, v23, s8
	v_mul_lo_u32 v40, v24, s9
	v_mad_u64_u32 v[6:7], null, v24, s8, 0
	s_mov_b32 s24, 0
	s_mov_b64 s[20:21], s[8:9]
	s_delay_alu instid0(VALU_DEP_4) | instskip(NEXT) | instid1(VALU_DEP_2)
	v_add3_u32 v3, v3, v9, v8
                                        ; implicit-def: $sgpr25
                                        ; implicit-def: $sgpr26
                                        ; implicit-def: $sgpr27
                                        ; implicit-def: $sgpr28
                                        ; implicit-def: $sgpr29
	v_add3_u32 v7, v7, v40, v25
	s_delay_alu instid0(VALU_DEP_2) | instskip(NEXT) | instid1(VALU_DEP_2)
	v_lshlrev_b64 v[2:3], 3, v[2:3]
	v_lshlrev_b64 v[6:7], 3, v[6:7]
	s_delay_alu instid0(VALU_DEP_2) | instskip(NEXT) | instid1(VALU_DEP_3)
	v_add_co_u32 v2, vcc_lo, s10, v2
	v_add_co_ci_u32_e32 v3, vcc_lo, s11, v3, vcc_lo
	s_delay_alu instid0(VALU_DEP_3) | instskip(NEXT) | instid1(VALU_DEP_4)
	v_add_co_u32 v6, vcc_lo, s10, v6
	v_add_co_ci_u32_e32 v7, vcc_lo, s11, v7, vcc_lo
	s_set_inst_prefetch_distance 0x1
	s_branch .LBB1610_274
	.p2align	6
.LBB1610_273:                           ;   in Loop: Header=BB1610_274 Depth=1
	s_or_b32 exec_lo, exec_lo, s0
	s_delay_alu instid0(SALU_CYCLE_1) | instskip(NEXT) | instid1(SALU_CYCLE_1)
	s_and_b32 s0, exec_lo, s26
	s_or_b32 s24, s0, s24
	s_and_not1_b32 s0, s29, exec_lo
	s_and_b32 s29, s28, exec_lo
	s_and_not1_b32 s25, s25, exec_lo
	s_and_b32 s30, s27, exec_lo
	s_or_b32 s29, s0, s29
	s_or_b32 s25, s25, s30
	s_and_not1_b32 exec_lo, exec_lo, s24
	s_cbranch_execz .LBB1610_276
.LBB1610_274:                           ; =>This Inner Loop Header: Depth=1
	global_load_b64 v[8:9], v[2:3], off
	global_load_b64 v[40:41], v[6:7], off
	s_and_not1_b32 s27, s27, exec_lo
	s_and_not1_b32 s28, s28, exec_lo
	s_or_b32 s26, s26, exec_lo
	s_waitcnt vmcnt(0)
	v_cmp_le_u64_e32 vcc_lo, v[8:9], v[40:41]
	v_cmp_lt_u64_e64 s0, v[8:9], v[40:41]
	s_and_b32 s30, vcc_lo, s29
	s_delay_alu instid0(VALU_DEP_1) | instid1(SALU_CYCLE_1)
	s_or_b32 s30, s0, s30
	s_delay_alu instid0(SALU_CYCLE_1) | instskip(NEXT) | instid1(SALU_CYCLE_1)
	s_and_b32 s0, s30, exec_lo
	s_or_b32 s27, s27, s0
	s_mov_b32 s0, exec_lo
	v_cmpx_eq_u64_e64 v[8:9], v[40:41]
	s_cbranch_execz .LBB1610_273
; %bb.275:                              ;   in Loop: Header=BB1610_274 Depth=1
	s_add_u32 s20, s20, -1
	s_addc_u32 s21, s21, -1
	v_add_co_u32 v2, vcc_lo, v2, 8
	s_cmp_eq_u64 s[20:21], 0
	v_add_co_ci_u32_e32 v3, vcc_lo, 0, v3, vcc_lo
	v_add_co_u32 v6, vcc_lo, v6, 8
	s_cselect_b32 s29, -1, 0
	v_add_co_ci_u32_e32 v7, vcc_lo, 0, v7, vcc_lo
	s_and_not1_b32 s28, s28, exec_lo
	s_and_b32 s30, s30, exec_lo
	s_and_not1_b32 s26, s26, exec_lo
	s_and_b32 s29, s29, exec_lo
	s_or_b32 s28, s28, s30
	s_and_not1_b32 s27, s27, exec_lo
	s_or_b32 s26, s26, s29
                                        ; implicit-def: $sgpr29
	s_branch .LBB1610_273
.LBB1610_276:
	s_set_inst_prefetch_distance 0x2
	s_or_b32 exec_lo, exec_lo, s24
	s_xor_b32 s0, s25, -1
	s_branch .LBB1610_278
.LBB1610_277:
	s_mov_b32 s0, -1
.LBB1610_278:
	s_delay_alu instid0(SALU_CYCLE_1)
	s_and_b32 s0, s0, exec_lo
.LBB1610_279:
	s_or_b32 exec_lo, exec_lo, s23
	s_delay_alu instid0(SALU_CYCLE_1)
	s_or_not1_b32 s0, s0, exec_lo
.LBB1610_280:
	s_or_b32 exec_lo, exec_lo, s22
	v_cndmask_b32_e64 v2, v22, v19, s0
	v_cndmask_b32_e64 v3, v15, v14, s0
	;; [unrolled: 1-line block ×5, first 2 shown]
	v_add_nc_u32_e32 v25, 1, v2
	v_add_nc_u32_e32 v2, -1, v3
	v_cndmask_b32_e64 v3, v10, v17, s19
	v_cndmask_b32_e64 v4, v21, v24, s0
	s_mov_b32 s12, exec_lo
	v_cndmask_b32_e64 v10, v25, v22, s0
	v_min_u32_e32 v2, v25, v2
	s_delay_alu instid0(VALU_DEP_1)
	v_lshl_add_u32 v2, v2, 3, v16
	ds_load_b64 v[8:9], v2
	v_cndmask_b32_e64 v2, v11, v18, s19
	s_waitcnt lgkmcnt(0)
	v_cndmask_b32_e64 v7, v23, v9, s0
	v_cndmask_b32_e64 v6, v24, v8, s0
	v_cmpx_lt_u32_e64 v10, v15
	s_cbranch_execz .LBB1610_290
; %bb.281:
	v_cndmask_b32_e64 v10, v19, v25, s0
	v_cndmask_b32_e64 v9, v9, v20, s0
	v_cndmask_b32_e64 v8, v8, v21, s0
	s_mov_b32 s19, exec_lo
	s_delay_alu instid0(VALU_DEP_3)
	v_cmpx_lt_u32_e64 v10, v14
	s_cbranch_execz .LBB1610_289
; %bb.282:
	s_and_not1_b32 vcc_lo, exec_lo, s7
	s_cbranch_vccnz .LBB1610_288
; %bb.283:
	v_mul_lo_u32 v16, v9, s8
	v_mul_lo_u32 v17, v8, s9
	v_mad_u64_u32 v[10:11], null, v8, s8, 0
	v_mul_lo_u32 v18, v7, s8
	v_mul_lo_u32 v19, v6, s9
	v_mad_u64_u32 v[14:15], null, v6, s8, 0
	s_mov_b32 s22, 0
	s_mov_b64 s[20:21], s[8:9]
	s_delay_alu instid0(VALU_DEP_4) | instskip(NEXT) | instid1(VALU_DEP_2)
	v_add3_u32 v11, v11, v17, v16
                                        ; implicit-def: $sgpr23
                                        ; implicit-def: $sgpr24
                                        ; implicit-def: $sgpr25
                                        ; implicit-def: $sgpr26
                                        ; implicit-def: $sgpr27
	v_add3_u32 v15, v15, v19, v18
	s_delay_alu instid0(VALU_DEP_2) | instskip(NEXT) | instid1(VALU_DEP_2)
	v_lshlrev_b64 v[10:11], 3, v[10:11]
	v_lshlrev_b64 v[14:15], 3, v[14:15]
	s_delay_alu instid0(VALU_DEP_2) | instskip(NEXT) | instid1(VALU_DEP_3)
	v_add_co_u32 v10, vcc_lo, s10, v10
	v_add_co_ci_u32_e32 v11, vcc_lo, s11, v11, vcc_lo
	s_delay_alu instid0(VALU_DEP_3) | instskip(NEXT) | instid1(VALU_DEP_4)
	v_add_co_u32 v14, vcc_lo, s10, v14
	v_add_co_ci_u32_e32 v15, vcc_lo, s11, v15, vcc_lo
	s_set_inst_prefetch_distance 0x1
	s_branch .LBB1610_285
	.p2align	6
.LBB1610_284:                           ;   in Loop: Header=BB1610_285 Depth=1
	s_or_b32 exec_lo, exec_lo, s0
	s_delay_alu instid0(SALU_CYCLE_1) | instskip(NEXT) | instid1(SALU_CYCLE_1)
	s_and_b32 s0, exec_lo, s24
	s_or_b32 s22, s0, s22
	s_and_not1_b32 s0, s27, exec_lo
	s_and_b32 s27, s26, exec_lo
	s_and_not1_b32 s23, s23, exec_lo
	s_and_b32 s28, s25, exec_lo
	s_or_b32 s27, s0, s27
	s_or_b32 s23, s23, s28
	s_and_not1_b32 exec_lo, exec_lo, s22
	s_cbranch_execz .LBB1610_287
.LBB1610_285:                           ; =>This Inner Loop Header: Depth=1
	global_load_b64 v[16:17], v[10:11], off
	global_load_b64 v[18:19], v[14:15], off
	s_and_not1_b32 s25, s25, exec_lo
	s_and_not1_b32 s26, s26, exec_lo
	s_or_b32 s24, s24, exec_lo
	s_waitcnt vmcnt(0)
	v_cmp_le_u64_e32 vcc_lo, v[16:17], v[18:19]
	v_cmp_lt_u64_e64 s0, v[16:17], v[18:19]
	s_and_b32 s28, vcc_lo, s27
	s_delay_alu instid0(VALU_DEP_1) | instid1(SALU_CYCLE_1)
	s_or_b32 s28, s0, s28
	s_delay_alu instid0(SALU_CYCLE_1) | instskip(NEXT) | instid1(SALU_CYCLE_1)
	s_and_b32 s0, s28, exec_lo
	s_or_b32 s25, s25, s0
	s_mov_b32 s0, exec_lo
	v_cmpx_eq_u64_e64 v[16:17], v[18:19]
	s_cbranch_execz .LBB1610_284
; %bb.286:                              ;   in Loop: Header=BB1610_285 Depth=1
	s_add_u32 s20, s20, -1
	s_addc_u32 s21, s21, -1
	v_add_co_u32 v10, vcc_lo, v10, 8
	s_cmp_eq_u64 s[20:21], 0
	v_add_co_ci_u32_e32 v11, vcc_lo, 0, v11, vcc_lo
	v_add_co_u32 v14, vcc_lo, v14, 8
	s_cselect_b32 s27, -1, 0
	v_add_co_ci_u32_e32 v15, vcc_lo, 0, v15, vcc_lo
	s_and_not1_b32 s26, s26, exec_lo
	s_and_b32 s28, s28, exec_lo
	s_and_not1_b32 s24, s24, exec_lo
	s_and_b32 s27, s27, exec_lo
	s_or_b32 s26, s26, s28
	s_and_not1_b32 s25, s25, exec_lo
	s_or_b32 s24, s24, s27
                                        ; implicit-def: $sgpr27
	s_branch .LBB1610_284
.LBB1610_287:
	s_set_inst_prefetch_distance 0x2
	s_or_b32 exec_lo, exec_lo, s22
	v_cndmask_b32_e64 v7, v7, v9, s23
	v_cndmask_b32_e64 v6, v6, v8, s23
.LBB1610_288:
	s_delay_alu instid0(VALU_DEP_1)
	v_dual_mov_b32 v9, v7 :: v_dual_mov_b32 v8, v6
.LBB1610_289:
	s_or_b32 exec_lo, exec_lo, s19
	s_delay_alu instid0(VALU_DEP_1)
	v_dual_mov_b32 v6, v8 :: v_dual_mov_b32 v7, v9
.LBB1610_290:
	s_or_b32 exec_lo, exec_lo, s12
.LBB1610_291:
	s_delay_alu instid0(SALU_CYCLE_1) | instskip(SKIP_4) | instid1(VALU_DEP_3)
	s_or_b32 exec_lo, exec_lo, s1
	v_and_b32_e32 v19, 0xf80, v27
	v_and_b32_e32 v20, 0x7c, v27
	v_lshlrev_b32_e32 v16, 3, v27
	s_mov_b32 s1, exec_lo
	v_or_b32_e32 v8, 64, v19
	v_lshlrev_b32_e32 v18, 3, v19
	; wave barrier
	s_waitcnt lgkmcnt(0)
	s_barrier
	s_delay_alu instid0(VALU_DEP_2)
	v_min_u32_e32 v9, 0x3c0, v8
	v_min_u32_e32 v14, 0x400, v8
	buffer_gl0_inv
	ds_store_b128 v16, v[0:3]
	ds_store_b128 v16, v[4:7] offset:16
	s_waitcnt lgkmcnt(0)
	v_add_nc_u32_e32 v15, 64, v9
	v_sub_nc_u32_e32 v8, v14, v19
	s_barrier
	buffer_gl0_inv
	v_sub_nc_u32_e32 v9, v15, v14
	v_min_u32_e32 v21, v20, v8
	s_delay_alu instid0(VALU_DEP_2) | instskip(NEXT) | instid1(VALU_DEP_1)
	v_sub_nc_u32_e64 v17, v20, v9 clamp
	v_cmpx_lt_u32_e64 v17, v21
	s_cbranch_execz .LBB1610_301
; %bb.292:
	v_lshlrev_b32_e32 v8, 3, v20
	s_lshl_b64 s[20:21], s[8:9], 3
	s_mov_b32 s12, 0
	s_delay_alu instid0(VALU_DEP_1)
	v_lshl_add_u32 v22, v14, 3, v8
	s_branch .LBB1610_295
.LBB1610_293:                           ;   in Loop: Header=BB1610_295 Depth=1
	s_set_inst_prefetch_distance 0x2
	s_or_b32 exec_lo, exec_lo, s19
.LBB1610_294:                           ;   in Loop: Header=BB1610_295 Depth=1
	s_delay_alu instid0(VALU_DEP_1) | instskip(SKIP_1) | instid1(VALU_DEP_2)
	v_add_nc_u32_e32 v8, 1, v23
	v_cndmask_b32_e64 v21, v21, v23, s24
	v_cndmask_b32_e64 v17, v8, v17, s24
	s_delay_alu instid0(VALU_DEP_1) | instskip(SKIP_1) | instid1(SALU_CYCLE_1)
	v_cmp_ge_u32_e32 vcc_lo, v17, v21
	s_or_b32 s12, vcc_lo, s12
	s_and_not1_b32 exec_lo, exec_lo, s12
	s_cbranch_execz .LBB1610_300
.LBB1610_295:                           ; =>This Loop Header: Depth=1
                                        ;     Child Loop BB1610_298 Depth 2
	v_add_nc_u32_e32 v8, v21, v17
	s_and_not1_b32 vcc_lo, exec_lo, s7
	s_mov_b32 s24, 0
	s_delay_alu instid0(VALU_DEP_1)
	v_lshrrev_b32_e32 v23, 1, v8
	s_cbranch_vccnz .LBB1610_294
; %bb.296:                              ;   in Loop: Header=BB1610_295 Depth=1
	s_delay_alu instid0(VALU_DEP_1) | instskip(SKIP_3) | instid1(VALU_DEP_2)
	v_not_b32_e32 v8, v23
	v_lshl_add_u32 v9, v23, 3, v18
	s_mov_b32 s19, 0
	s_mov_b64 s[22:23], s[8:9]
                                        ; implicit-def: $sgpr24
                                        ; implicit-def: $sgpr25
                                        ; implicit-def: $sgpr26
                                        ; implicit-def: $sgpr27
                                        ; implicit-def: $sgpr28
	v_lshl_add_u32 v8, v8, 3, v22
	ds_load_b64 v[10:11], v8
	ds_load_b64 v[24:25], v9
	s_waitcnt lgkmcnt(1)
	v_mul_lo_u32 v40, s20, v11
	v_mul_lo_u32 v41, s21, v10
	v_mad_u64_u32 v[8:9], null, s20, v10, s[10:11]
	s_waitcnt lgkmcnt(0)
	v_mul_lo_u32 v25, s20, v25
	v_mul_lo_u32 v42, s21, v24
	v_mad_u64_u32 v[10:11], null, s20, v24, s[10:11]
	s_delay_alu instid0(VALU_DEP_4) | instskip(NEXT) | instid1(VALU_DEP_2)
	v_add3_u32 v9, v41, v9, v40
	v_add3_u32 v11, v42, v11, v25
	s_set_inst_prefetch_distance 0x1
	s_branch .LBB1610_298
	.p2align	6
.LBB1610_297:                           ;   in Loop: Header=BB1610_298 Depth=2
	s_or_b32 exec_lo, exec_lo, s0
	s_delay_alu instid0(SALU_CYCLE_1) | instskip(NEXT) | instid1(SALU_CYCLE_1)
	s_and_b32 s0, exec_lo, s25
	s_or_b32 s19, s0, s19
	s_and_not1_b32 s0, s28, exec_lo
	s_and_b32 s28, s26, exec_lo
	s_and_not1_b32 s24, s24, exec_lo
	s_and_b32 s29, s27, exec_lo
	s_or_b32 s28, s0, s28
	s_or_b32 s24, s24, s29
	s_and_not1_b32 exec_lo, exec_lo, s19
	s_cbranch_execz .LBB1610_293
.LBB1610_298:                           ;   Parent Loop BB1610_295 Depth=1
                                        ; =>  This Inner Loop Header: Depth=2
	global_load_b64 v[24:25], v[8:9], off
	global_load_b64 v[40:41], v[10:11], off
	s_and_not1_b32 s27, s27, exec_lo
	s_and_not1_b32 s26, s26, exec_lo
	s_or_b32 s25, s25, exec_lo
	s_waitcnt vmcnt(0)
	v_cmp_le_u64_e32 vcc_lo, v[24:25], v[40:41]
	v_cmp_lt_u64_e64 s0, v[24:25], v[40:41]
	s_and_b32 s29, vcc_lo, s28
	s_delay_alu instid0(VALU_DEP_1) | instid1(SALU_CYCLE_1)
	s_or_b32 s29, s0, s29
	s_delay_alu instid0(SALU_CYCLE_1) | instskip(NEXT) | instid1(SALU_CYCLE_1)
	s_and_b32 s0, s29, exec_lo
	s_or_b32 s27, s27, s0
	s_mov_b32 s0, exec_lo
	v_cmpx_eq_u64_e64 v[24:25], v[40:41]
	s_cbranch_execz .LBB1610_297
; %bb.299:                              ;   in Loop: Header=BB1610_298 Depth=2
	s_add_u32 s22, s22, -1
	s_addc_u32 s23, s23, -1
	v_add_co_u32 v8, vcc_lo, v8, 8
	v_add_co_ci_u32_e32 v9, vcc_lo, 0, v9, vcc_lo
	s_cmp_eq_u64 s[22:23], 0
	v_add_co_u32 v10, vcc_lo, v10, 8
	s_cselect_b32 s28, -1, 0
	v_add_co_ci_u32_e32 v11, vcc_lo, 0, v11, vcc_lo
	s_and_not1_b32 s26, s26, exec_lo
	s_and_b32 s29, s29, exec_lo
	s_and_not1_b32 s25, s25, exec_lo
	s_and_b32 s28, s28, exec_lo
	s_and_not1_b32 s27, s27, exec_lo
	s_or_b32 s26, s26, s29
	s_or_b32 s25, s25, s28
                                        ; implicit-def: $sgpr28
	s_branch .LBB1610_297
.LBB1610_300:
	s_or_b32 exec_lo, exec_lo, s12
.LBB1610_301:
	s_delay_alu instid0(SALU_CYCLE_1) | instskip(SKIP_2) | instid1(VALU_DEP_2)
	s_or_b32 exec_lo, exec_lo, s1
	v_sub_nc_u32_e32 v9, v20, v17
	v_add_nc_u32_e32 v8, v17, v19
	v_add_nc_u32_e32 v9, v9, v14
	s_delay_alu instid0(VALU_DEP_2) | instskip(NEXT) | instid1(VALU_DEP_2)
	v_cmp_le_u32_e32 vcc_lo, v8, v14
	v_cmp_le_u32_e64 s0, v9, v15
	s_delay_alu instid0(VALU_DEP_1) | instskip(NEXT) | instid1(SALU_CYCLE_1)
	s_or_b32 s0, vcc_lo, s0
	s_and_saveexec_b32 s1, s0
	s_cbranch_execz .LBB1610_348
; %bb.302:
	v_cmp_ge_u32_e32 vcc_lo, v8, v14
	s_mov_b32 s12, exec_lo
                                        ; implicit-def: $vgpr0_vgpr1
	v_cmpx_lt_u32_e64 v8, v14
	s_cbranch_execz .LBB1610_304
; %bb.303:
	v_lshl_add_u32 v0, v17, 3, v18
	ds_load_b64 v[0:1], v0
.LBB1610_304:
	s_or_b32 exec_lo, exec_lo, s12
	v_cmp_ge_u32_e64 s12, v9, v15
	s_mov_b32 s19, exec_lo
                                        ; implicit-def: $vgpr4_vgpr5
	v_cmpx_lt_u32_e64 v9, v15
	s_cbranch_execz .LBB1610_306
; %bb.305:
	v_lshlrev_b32_e32 v2, 3, v9
	ds_load_b64 v[4:5], v2
.LBB1610_306:
	s_or_b32 exec_lo, exec_lo, s19
	s_or_b32 s0, vcc_lo, s12
	s_mov_b32 s19, -1
	s_xor_b32 s0, s0, -1
	s_delay_alu instid0(SALU_CYCLE_1)
	s_and_saveexec_b32 s22, s0
	s_cbranch_execz .LBB1610_315
; %bb.307:
	s_and_not1_b32 vcc_lo, exec_lo, s7
	s_cbranch_vccnz .LBB1610_313
; %bb.308:
	s_waitcnt lgkmcnt(0)
	v_mul_lo_u32 v10, v5, s8
	v_mul_lo_u32 v11, v4, s9
	v_mad_u64_u32 v[2:3], null, v4, s8, 0
	v_mul_lo_u32 v17, v1, s8
	v_mul_lo_u32 v18, v0, s9
	v_mad_u64_u32 v[6:7], null, v0, s8, 0
	s_mov_b32 s23, 0
	s_mov_b64 s[20:21], s[8:9]
	s_delay_alu instid0(VALU_DEP_4) | instskip(NEXT) | instid1(VALU_DEP_2)
	v_add3_u32 v3, v3, v11, v10
                                        ; implicit-def: $sgpr24
                                        ; implicit-def: $sgpr25
                                        ; implicit-def: $sgpr26
                                        ; implicit-def: $sgpr27
                                        ; implicit-def: $sgpr28
	v_add3_u32 v7, v7, v18, v17
	s_delay_alu instid0(VALU_DEP_2) | instskip(NEXT) | instid1(VALU_DEP_2)
	v_lshlrev_b64 v[2:3], 3, v[2:3]
	v_lshlrev_b64 v[6:7], 3, v[6:7]
	s_delay_alu instid0(VALU_DEP_2) | instskip(NEXT) | instid1(VALU_DEP_3)
	v_add_co_u32 v2, vcc_lo, s10, v2
	v_add_co_ci_u32_e32 v3, vcc_lo, s11, v3, vcc_lo
	s_delay_alu instid0(VALU_DEP_3) | instskip(NEXT) | instid1(VALU_DEP_4)
	v_add_co_u32 v6, vcc_lo, s10, v6
	v_add_co_ci_u32_e32 v7, vcc_lo, s11, v7, vcc_lo
	s_set_inst_prefetch_distance 0x1
	s_branch .LBB1610_310
	.p2align	6
.LBB1610_309:                           ;   in Loop: Header=BB1610_310 Depth=1
	s_or_b32 exec_lo, exec_lo, s0
	s_delay_alu instid0(SALU_CYCLE_1) | instskip(NEXT) | instid1(SALU_CYCLE_1)
	s_and_b32 s0, exec_lo, s25
	s_or_b32 s23, s0, s23
	s_and_not1_b32 s0, s28, exec_lo
	s_and_b32 s28, s27, exec_lo
	s_and_not1_b32 s24, s24, exec_lo
	s_and_b32 s29, s26, exec_lo
	s_or_b32 s28, s0, s28
	s_or_b32 s24, s24, s29
	s_and_not1_b32 exec_lo, exec_lo, s23
	s_cbranch_execz .LBB1610_312
.LBB1610_310:                           ; =>This Inner Loop Header: Depth=1
	global_load_b64 v[10:11], v[2:3], off
	global_load_b64 v[17:18], v[6:7], off
	s_and_not1_b32 s26, s26, exec_lo
	s_and_not1_b32 s27, s27, exec_lo
	s_or_b32 s25, s25, exec_lo
	s_waitcnt vmcnt(0)
	v_cmp_le_u64_e32 vcc_lo, v[10:11], v[17:18]
	v_cmp_lt_u64_e64 s0, v[10:11], v[17:18]
	s_and_b32 s29, vcc_lo, s28
	s_delay_alu instid0(VALU_DEP_1) | instid1(SALU_CYCLE_1)
	s_or_b32 s29, s0, s29
	s_delay_alu instid0(SALU_CYCLE_1) | instskip(NEXT) | instid1(SALU_CYCLE_1)
	s_and_b32 s0, s29, exec_lo
	s_or_b32 s26, s26, s0
	s_mov_b32 s0, exec_lo
	v_cmpx_eq_u64_e64 v[10:11], v[17:18]
	s_cbranch_execz .LBB1610_309
; %bb.311:                              ;   in Loop: Header=BB1610_310 Depth=1
	s_add_u32 s20, s20, -1
	s_addc_u32 s21, s21, -1
	v_add_co_u32 v2, vcc_lo, v2, 8
	s_cmp_eq_u64 s[20:21], 0
	v_add_co_ci_u32_e32 v3, vcc_lo, 0, v3, vcc_lo
	s_cselect_b32 s28, -1, 0
	s_and_not1_b32 s27, s27, exec_lo
	s_and_b32 s29, s29, exec_lo
	v_add_co_u32 v6, vcc_lo, v6, 8
	s_and_not1_b32 s25, s25, exec_lo
	s_and_b32 s28, s28, exec_lo
	v_add_co_ci_u32_e32 v7, vcc_lo, 0, v7, vcc_lo
	s_or_b32 s27, s27, s29
	s_and_not1_b32 s26, s26, exec_lo
	s_or_b32 s25, s25, s28
                                        ; implicit-def: $sgpr28
	s_branch .LBB1610_309
.LBB1610_312:
	s_set_inst_prefetch_distance 0x2
	s_or_b32 exec_lo, exec_lo, s23
	s_xor_b32 s0, s24, -1
	s_branch .LBB1610_314
.LBB1610_313:
	s_mov_b32 s0, -1
.LBB1610_314:
	s_and_not1_b32 s12, s12, exec_lo
	s_and_b32 s0, s0, exec_lo
	s_delay_alu instid0(SALU_CYCLE_1)
	s_or_b32 s12, s12, s0
.LBB1610_315:
	s_or_b32 exec_lo, exec_lo, s22
	v_cndmask_b32_e64 v2, v9, v8, s12
	v_cndmask_b32_e64 v3, v15, v14, s12
	s_mov_b32 s22, exec_lo
	s_delay_alu instid0(VALU_DEP_2) | instskip(NEXT) | instid1(VALU_DEP_2)
	v_add_nc_u32_e32 v6, 1, v2
	v_add_nc_u32_e32 v2, -1, v3
	s_delay_alu instid0(VALU_DEP_2) | instskip(NEXT) | instid1(VALU_DEP_2)
	v_cndmask_b32_e64 v9, v6, v9, s12
	v_min_u32_e32 v2, v6, v2
	v_cndmask_b32_e64 v8, v8, v6, s12
	s_delay_alu instid0(VALU_DEP_2)
	v_lshlrev_b32_e32 v2, 3, v2
	ds_load_b64 v[2:3], v2
	s_waitcnt lgkmcnt(0)
	v_cndmask_b32_e64 v10, v3, v5, s12
	v_cndmask_b32_e64 v11, v2, v4, s12
	;; [unrolled: 1-line block ×4, first 2 shown]
	v_cmpx_lt_u32_e64 v9, v15
	s_cbranch_execz .LBB1610_326
; %bb.316:
	s_mov_b32 s0, 0
	s_mov_b32 s19, exec_lo
	v_cmpx_lt_u32_e64 v8, v14
	s_cbranch_execz .LBB1610_325
; %bb.317:
	s_and_not1_b32 vcc_lo, exec_lo, s7
	s_cbranch_vccnz .LBB1610_323
; %bb.318:
	v_mul_lo_u32 v19, v10, s8
	v_mul_lo_u32 v20, v11, s9
	v_mad_u64_u32 v[2:3], null, v11, s8, 0
	v_mul_lo_u32 v21, v17, s8
	v_mul_lo_u32 v22, v18, s9
	v_mad_u64_u32 v[6:7], null, v18, s8, 0
	s_mov_b32 s23, 0
	s_mov_b64 s[20:21], s[8:9]
	s_delay_alu instid0(VALU_DEP_4) | instskip(NEXT) | instid1(VALU_DEP_2)
	v_add3_u32 v3, v3, v20, v19
                                        ; implicit-def: $sgpr24
                                        ; implicit-def: $sgpr25
                                        ; implicit-def: $sgpr26
                                        ; implicit-def: $sgpr27
                                        ; implicit-def: $sgpr28
	v_add3_u32 v7, v7, v22, v21
	s_delay_alu instid0(VALU_DEP_2) | instskip(NEXT) | instid1(VALU_DEP_2)
	v_lshlrev_b64 v[2:3], 3, v[2:3]
	v_lshlrev_b64 v[6:7], 3, v[6:7]
	s_delay_alu instid0(VALU_DEP_2) | instskip(NEXT) | instid1(VALU_DEP_3)
	v_add_co_u32 v2, vcc_lo, s10, v2
	v_add_co_ci_u32_e32 v3, vcc_lo, s11, v3, vcc_lo
	s_delay_alu instid0(VALU_DEP_3) | instskip(NEXT) | instid1(VALU_DEP_4)
	v_add_co_u32 v6, vcc_lo, s10, v6
	v_add_co_ci_u32_e32 v7, vcc_lo, s11, v7, vcc_lo
	s_set_inst_prefetch_distance 0x1
	s_branch .LBB1610_320
	.p2align	6
.LBB1610_319:                           ;   in Loop: Header=BB1610_320 Depth=1
	s_or_b32 exec_lo, exec_lo, s0
	s_delay_alu instid0(SALU_CYCLE_1) | instskip(NEXT) | instid1(SALU_CYCLE_1)
	s_and_b32 s0, exec_lo, s25
	s_or_b32 s23, s0, s23
	s_and_not1_b32 s0, s28, exec_lo
	s_and_b32 s28, s27, exec_lo
	s_and_not1_b32 s24, s24, exec_lo
	s_and_b32 s29, s26, exec_lo
	s_or_b32 s28, s0, s28
	s_or_b32 s24, s24, s29
	s_and_not1_b32 exec_lo, exec_lo, s23
	s_cbranch_execz .LBB1610_322
.LBB1610_320:                           ; =>This Inner Loop Header: Depth=1
	global_load_b64 v[19:20], v[2:3], off
	global_load_b64 v[21:22], v[6:7], off
	s_and_not1_b32 s26, s26, exec_lo
	s_and_not1_b32 s27, s27, exec_lo
	s_or_b32 s25, s25, exec_lo
	s_waitcnt vmcnt(0)
	v_cmp_le_u64_e32 vcc_lo, v[19:20], v[21:22]
	v_cmp_lt_u64_e64 s0, v[19:20], v[21:22]
	s_and_b32 s29, vcc_lo, s28
	s_delay_alu instid0(VALU_DEP_1) | instid1(SALU_CYCLE_1)
	s_or_b32 s29, s0, s29
	s_delay_alu instid0(SALU_CYCLE_1) | instskip(NEXT) | instid1(SALU_CYCLE_1)
	s_and_b32 s0, s29, exec_lo
	s_or_b32 s26, s26, s0
	s_mov_b32 s0, exec_lo
	v_cmpx_eq_u64_e64 v[19:20], v[21:22]
	s_cbranch_execz .LBB1610_319
; %bb.321:                              ;   in Loop: Header=BB1610_320 Depth=1
	s_add_u32 s20, s20, -1
	s_addc_u32 s21, s21, -1
	v_add_co_u32 v2, vcc_lo, v2, 8
	s_cmp_eq_u64 s[20:21], 0
	v_add_co_ci_u32_e32 v3, vcc_lo, 0, v3, vcc_lo
	v_add_co_u32 v6, vcc_lo, v6, 8
	s_cselect_b32 s28, -1, 0
	v_add_co_ci_u32_e32 v7, vcc_lo, 0, v7, vcc_lo
	s_and_not1_b32 s27, s27, exec_lo
	s_and_b32 s29, s29, exec_lo
	s_and_not1_b32 s25, s25, exec_lo
	s_and_b32 s28, s28, exec_lo
	s_or_b32 s27, s27, s29
	s_and_not1_b32 s26, s26, exec_lo
	s_or_b32 s25, s25, s28
                                        ; implicit-def: $sgpr28
	s_branch .LBB1610_319
.LBB1610_322:
	s_set_inst_prefetch_distance 0x2
	s_or_b32 exec_lo, exec_lo, s23
	s_xor_b32 s0, s24, -1
	s_branch .LBB1610_324
.LBB1610_323:
	s_mov_b32 s0, -1
.LBB1610_324:
	s_delay_alu instid0(SALU_CYCLE_1)
	s_and_b32 s0, s0, exec_lo
.LBB1610_325:
	s_or_b32 exec_lo, exec_lo, s19
	s_delay_alu instid0(SALU_CYCLE_1)
	s_or_not1_b32 s19, s0, exec_lo
.LBB1610_326:
	s_or_b32 exec_lo, exec_lo, s22
	v_cndmask_b32_e64 v2, v9, v8, s19
	v_cndmask_b32_e64 v3, v15, v14, s19
	s_mov_b32 s0, -1
	s_mov_b32 s22, exec_lo
	s_delay_alu instid0(VALU_DEP_2) | instskip(NEXT) | instid1(VALU_DEP_2)
	v_add_nc_u32_e32 v6, 1, v2
	v_add_nc_u32_e32 v2, -1, v3
	s_delay_alu instid0(VALU_DEP_2) | instskip(NEXT) | instid1(VALU_DEP_2)
	v_cndmask_b32_e64 v22, v6, v9, s19
	v_min_u32_e32 v2, v6, v2
	v_cndmask_b32_e64 v19, v8, v6, s19
	s_delay_alu instid0(VALU_DEP_2)
	v_lshlrev_b32_e32 v2, 3, v2
	ds_load_b64 v[2:3], v2
	s_waitcnt lgkmcnt(0)
	v_cndmask_b32_e64 v20, v3, v10, s19
	v_cndmask_b32_e64 v21, v2, v11, s19
	;; [unrolled: 1-line block ×4, first 2 shown]
	v_cmpx_lt_u32_e64 v22, v15
	s_cbranch_execz .LBB1610_337
; %bb.327:
	s_mov_b32 s0, 0
	s_mov_b32 s23, exec_lo
	v_cmpx_lt_u32_e64 v19, v14
	s_cbranch_execz .LBB1610_336
; %bb.328:
	s_and_not1_b32 vcc_lo, exec_lo, s7
	s_cbranch_vccnz .LBB1610_334
; %bb.329:
	v_mul_lo_u32 v8, v20, s8
	v_mul_lo_u32 v9, v21, s9
	v_mad_u64_u32 v[2:3], null, v21, s8, 0
	v_mul_lo_u32 v25, v23, s8
	v_mul_lo_u32 v40, v24, s9
	v_mad_u64_u32 v[6:7], null, v24, s8, 0
	s_mov_b32 s24, 0
	s_mov_b64 s[20:21], s[8:9]
	s_delay_alu instid0(VALU_DEP_4) | instskip(NEXT) | instid1(VALU_DEP_2)
	v_add3_u32 v3, v3, v9, v8
                                        ; implicit-def: $sgpr25
                                        ; implicit-def: $sgpr26
                                        ; implicit-def: $sgpr27
                                        ; implicit-def: $sgpr28
                                        ; implicit-def: $sgpr29
	v_add3_u32 v7, v7, v40, v25
	s_delay_alu instid0(VALU_DEP_2) | instskip(NEXT) | instid1(VALU_DEP_2)
	v_lshlrev_b64 v[2:3], 3, v[2:3]
	v_lshlrev_b64 v[6:7], 3, v[6:7]
	s_delay_alu instid0(VALU_DEP_2) | instskip(NEXT) | instid1(VALU_DEP_3)
	v_add_co_u32 v2, vcc_lo, s10, v2
	v_add_co_ci_u32_e32 v3, vcc_lo, s11, v3, vcc_lo
	s_delay_alu instid0(VALU_DEP_3) | instskip(NEXT) | instid1(VALU_DEP_4)
	v_add_co_u32 v6, vcc_lo, s10, v6
	v_add_co_ci_u32_e32 v7, vcc_lo, s11, v7, vcc_lo
	s_set_inst_prefetch_distance 0x1
	s_branch .LBB1610_331
	.p2align	6
.LBB1610_330:                           ;   in Loop: Header=BB1610_331 Depth=1
	s_or_b32 exec_lo, exec_lo, s0
	s_delay_alu instid0(SALU_CYCLE_1) | instskip(NEXT) | instid1(SALU_CYCLE_1)
	s_and_b32 s0, exec_lo, s26
	s_or_b32 s24, s0, s24
	s_and_not1_b32 s0, s29, exec_lo
	s_and_b32 s29, s28, exec_lo
	s_and_not1_b32 s25, s25, exec_lo
	s_and_b32 s30, s27, exec_lo
	s_or_b32 s29, s0, s29
	s_or_b32 s25, s25, s30
	s_and_not1_b32 exec_lo, exec_lo, s24
	s_cbranch_execz .LBB1610_333
.LBB1610_331:                           ; =>This Inner Loop Header: Depth=1
	global_load_b64 v[8:9], v[2:3], off
	global_load_b64 v[40:41], v[6:7], off
	s_and_not1_b32 s27, s27, exec_lo
	s_and_not1_b32 s28, s28, exec_lo
	s_or_b32 s26, s26, exec_lo
	s_waitcnt vmcnt(0)
	v_cmp_le_u64_e32 vcc_lo, v[8:9], v[40:41]
	v_cmp_lt_u64_e64 s0, v[8:9], v[40:41]
	s_and_b32 s30, vcc_lo, s29
	s_delay_alu instid0(VALU_DEP_1) | instid1(SALU_CYCLE_1)
	s_or_b32 s30, s0, s30
	s_delay_alu instid0(SALU_CYCLE_1) | instskip(NEXT) | instid1(SALU_CYCLE_1)
	s_and_b32 s0, s30, exec_lo
	s_or_b32 s27, s27, s0
	s_mov_b32 s0, exec_lo
	v_cmpx_eq_u64_e64 v[8:9], v[40:41]
	s_cbranch_execz .LBB1610_330
; %bb.332:                              ;   in Loop: Header=BB1610_331 Depth=1
	s_add_u32 s20, s20, -1
	s_addc_u32 s21, s21, -1
	v_add_co_u32 v2, vcc_lo, v2, 8
	s_cmp_eq_u64 s[20:21], 0
	v_add_co_ci_u32_e32 v3, vcc_lo, 0, v3, vcc_lo
	v_add_co_u32 v6, vcc_lo, v6, 8
	s_cselect_b32 s29, -1, 0
	v_add_co_ci_u32_e32 v7, vcc_lo, 0, v7, vcc_lo
	s_and_not1_b32 s28, s28, exec_lo
	s_and_b32 s30, s30, exec_lo
	s_and_not1_b32 s26, s26, exec_lo
	s_and_b32 s29, s29, exec_lo
	s_or_b32 s28, s28, s30
	s_and_not1_b32 s27, s27, exec_lo
	s_or_b32 s26, s26, s29
                                        ; implicit-def: $sgpr29
	s_branch .LBB1610_330
.LBB1610_333:
	s_set_inst_prefetch_distance 0x2
	s_or_b32 exec_lo, exec_lo, s24
	s_xor_b32 s0, s25, -1
	s_branch .LBB1610_335
.LBB1610_334:
	s_mov_b32 s0, -1
.LBB1610_335:
	s_delay_alu instid0(SALU_CYCLE_1)
	s_and_b32 s0, s0, exec_lo
.LBB1610_336:
	s_or_b32 exec_lo, exec_lo, s23
	s_delay_alu instid0(SALU_CYCLE_1)
	s_or_not1_b32 s0, s0, exec_lo
.LBB1610_337:
	s_or_b32 exec_lo, exec_lo, s22
	v_cndmask_b32_e64 v2, v22, v19, s0
	v_cndmask_b32_e64 v3, v15, v14, s0
	;; [unrolled: 1-line block ×5, first 2 shown]
	v_add_nc_u32_e32 v25, 1, v2
	v_add_nc_u32_e32 v2, -1, v3
	v_cndmask_b32_e64 v3, v10, v17, s19
	v_cndmask_b32_e64 v4, v21, v24, s0
	s_mov_b32 s12, exec_lo
	v_cndmask_b32_e64 v10, v25, v22, s0
	v_min_u32_e32 v2, v25, v2
	s_delay_alu instid0(VALU_DEP_1)
	v_lshlrev_b32_e32 v2, 3, v2
	ds_load_b64 v[8:9], v2
	v_cndmask_b32_e64 v2, v11, v18, s19
	s_waitcnt lgkmcnt(0)
	v_cndmask_b32_e64 v7, v23, v9, s0
	v_cndmask_b32_e64 v6, v24, v8, s0
	v_cmpx_lt_u32_e64 v10, v15
	s_cbranch_execz .LBB1610_347
; %bb.338:
	v_cndmask_b32_e64 v10, v19, v25, s0
	v_cndmask_b32_e64 v9, v9, v20, s0
	;; [unrolled: 1-line block ×3, first 2 shown]
	s_mov_b32 s19, exec_lo
	s_delay_alu instid0(VALU_DEP_3)
	v_cmpx_lt_u32_e64 v10, v14
	s_cbranch_execz .LBB1610_346
; %bb.339:
	s_and_not1_b32 vcc_lo, exec_lo, s7
	s_cbranch_vccnz .LBB1610_345
; %bb.340:
	v_mul_lo_u32 v17, v9, s8
	v_mul_lo_u32 v18, v8, s9
	v_mad_u64_u32 v[10:11], null, v8, s8, 0
	v_mul_lo_u32 v19, v7, s8
	v_mul_lo_u32 v20, v6, s9
	v_mad_u64_u32 v[14:15], null, v6, s8, 0
	s_mov_b32 s22, 0
	s_mov_b64 s[20:21], s[8:9]
	s_delay_alu instid0(VALU_DEP_4) | instskip(NEXT) | instid1(VALU_DEP_2)
	v_add3_u32 v11, v11, v18, v17
                                        ; implicit-def: $sgpr23
                                        ; implicit-def: $sgpr24
                                        ; implicit-def: $sgpr25
                                        ; implicit-def: $sgpr26
                                        ; implicit-def: $sgpr27
	v_add3_u32 v15, v15, v20, v19
	s_delay_alu instid0(VALU_DEP_2) | instskip(NEXT) | instid1(VALU_DEP_2)
	v_lshlrev_b64 v[10:11], 3, v[10:11]
	v_lshlrev_b64 v[14:15], 3, v[14:15]
	s_delay_alu instid0(VALU_DEP_2) | instskip(NEXT) | instid1(VALU_DEP_3)
	v_add_co_u32 v10, vcc_lo, s10, v10
	v_add_co_ci_u32_e32 v11, vcc_lo, s11, v11, vcc_lo
	s_delay_alu instid0(VALU_DEP_3) | instskip(NEXT) | instid1(VALU_DEP_4)
	v_add_co_u32 v14, vcc_lo, s10, v14
	v_add_co_ci_u32_e32 v15, vcc_lo, s11, v15, vcc_lo
	s_set_inst_prefetch_distance 0x1
	s_branch .LBB1610_342
	.p2align	6
.LBB1610_341:                           ;   in Loop: Header=BB1610_342 Depth=1
	s_or_b32 exec_lo, exec_lo, s0
	s_delay_alu instid0(SALU_CYCLE_1) | instskip(NEXT) | instid1(SALU_CYCLE_1)
	s_and_b32 s0, exec_lo, s24
	s_or_b32 s22, s0, s22
	s_and_not1_b32 s0, s27, exec_lo
	s_and_b32 s27, s26, exec_lo
	s_and_not1_b32 s23, s23, exec_lo
	s_and_b32 s28, s25, exec_lo
	s_or_b32 s27, s0, s27
	s_or_b32 s23, s23, s28
	s_and_not1_b32 exec_lo, exec_lo, s22
	s_cbranch_execz .LBB1610_344
.LBB1610_342:                           ; =>This Inner Loop Header: Depth=1
	global_load_b64 v[17:18], v[10:11], off
	global_load_b64 v[19:20], v[14:15], off
	s_and_not1_b32 s25, s25, exec_lo
	s_and_not1_b32 s26, s26, exec_lo
	s_or_b32 s24, s24, exec_lo
	s_waitcnt vmcnt(0)
	v_cmp_le_u64_e32 vcc_lo, v[17:18], v[19:20]
	v_cmp_lt_u64_e64 s0, v[17:18], v[19:20]
	s_and_b32 s28, vcc_lo, s27
	s_delay_alu instid0(VALU_DEP_1) | instid1(SALU_CYCLE_1)
	s_or_b32 s28, s0, s28
	s_delay_alu instid0(SALU_CYCLE_1) | instskip(NEXT) | instid1(SALU_CYCLE_1)
	s_and_b32 s0, s28, exec_lo
	s_or_b32 s25, s25, s0
	s_mov_b32 s0, exec_lo
	v_cmpx_eq_u64_e64 v[17:18], v[19:20]
	s_cbranch_execz .LBB1610_341
; %bb.343:                              ;   in Loop: Header=BB1610_342 Depth=1
	s_add_u32 s20, s20, -1
	s_addc_u32 s21, s21, -1
	v_add_co_u32 v10, vcc_lo, v10, 8
	s_cmp_eq_u64 s[20:21], 0
	v_add_co_ci_u32_e32 v11, vcc_lo, 0, v11, vcc_lo
	v_add_co_u32 v14, vcc_lo, v14, 8
	s_cselect_b32 s27, -1, 0
	v_add_co_ci_u32_e32 v15, vcc_lo, 0, v15, vcc_lo
	s_and_not1_b32 s26, s26, exec_lo
	s_and_b32 s28, s28, exec_lo
	s_and_not1_b32 s24, s24, exec_lo
	s_and_b32 s27, s27, exec_lo
	s_or_b32 s26, s26, s28
	s_and_not1_b32 s25, s25, exec_lo
	s_or_b32 s24, s24, s27
                                        ; implicit-def: $sgpr27
	s_branch .LBB1610_341
.LBB1610_344:
	s_set_inst_prefetch_distance 0x2
	s_or_b32 exec_lo, exec_lo, s22
	v_cndmask_b32_e64 v7, v7, v9, s23
	v_cndmask_b32_e64 v6, v6, v8, s23
.LBB1610_345:
	s_delay_alu instid0(VALU_DEP_1)
	v_dual_mov_b32 v9, v7 :: v_dual_mov_b32 v8, v6
.LBB1610_346:
	s_or_b32 exec_lo, exec_lo, s19
	s_delay_alu instid0(VALU_DEP_1)
	v_dual_mov_b32 v6, v8 :: v_dual_mov_b32 v7, v9
.LBB1610_347:
	s_or_b32 exec_lo, exec_lo, s12
.LBB1610_348:
	s_delay_alu instid0(SALU_CYCLE_1) | instskip(SKIP_4) | instid1(VALU_DEP_2)
	s_or_b32 exec_lo, exec_lo, s1
	v_and_b32_e32 v19, 0xf00, v27
	v_and_b32_e32 v20, 0xfc, v27
	s_mov_b32 s1, exec_lo
	s_barrier
	v_or_b32_e32 v8, 0x80, v19
	v_lshlrev_b32_e32 v18, 3, v19
	buffer_gl0_inv
	ds_store_b128 v16, v[0:3]
	ds_store_b128 v16, v[4:7] offset:16
	s_waitcnt lgkmcnt(0)
	v_min_u32_e32 v9, 0x380, v8
	v_min_u32_e32 v14, 0x400, v8
	s_barrier
	buffer_gl0_inv
	v_add_nc_u32_e32 v15, 0x80, v9
	v_sub_nc_u32_e32 v8, v14, v19
	s_delay_alu instid0(VALU_DEP_2) | instskip(NEXT) | instid1(VALU_DEP_2)
	v_sub_nc_u32_e32 v9, v15, v14
	v_min_u32_e32 v21, v20, v8
	s_delay_alu instid0(VALU_DEP_2) | instskip(NEXT) | instid1(VALU_DEP_1)
	v_sub_nc_u32_e64 v17, v20, v9 clamp
	v_cmpx_lt_u32_e64 v17, v21
	s_cbranch_execz .LBB1610_358
; %bb.349:
	v_lshlrev_b32_e32 v8, 3, v20
	s_lshl_b64 s[20:21], s[8:9], 3
	s_mov_b32 s12, 0
	s_delay_alu instid0(VALU_DEP_1)
	v_lshl_add_u32 v22, v14, 3, v8
	s_branch .LBB1610_352
.LBB1610_350:                           ;   in Loop: Header=BB1610_352 Depth=1
	s_set_inst_prefetch_distance 0x2
	s_or_b32 exec_lo, exec_lo, s19
.LBB1610_351:                           ;   in Loop: Header=BB1610_352 Depth=1
	s_delay_alu instid0(VALU_DEP_1) | instskip(SKIP_1) | instid1(VALU_DEP_2)
	v_add_nc_u32_e32 v8, 1, v23
	v_cndmask_b32_e64 v21, v21, v23, s24
	v_cndmask_b32_e64 v17, v8, v17, s24
	s_delay_alu instid0(VALU_DEP_1) | instskip(SKIP_1) | instid1(SALU_CYCLE_1)
	v_cmp_ge_u32_e32 vcc_lo, v17, v21
	s_or_b32 s12, vcc_lo, s12
	s_and_not1_b32 exec_lo, exec_lo, s12
	s_cbranch_execz .LBB1610_357
.LBB1610_352:                           ; =>This Loop Header: Depth=1
                                        ;     Child Loop BB1610_355 Depth 2
	v_add_nc_u32_e32 v8, v21, v17
	s_and_not1_b32 vcc_lo, exec_lo, s7
	s_mov_b32 s24, 0
	s_delay_alu instid0(VALU_DEP_1)
	v_lshrrev_b32_e32 v23, 1, v8
	s_cbranch_vccnz .LBB1610_351
; %bb.353:                              ;   in Loop: Header=BB1610_352 Depth=1
	s_delay_alu instid0(VALU_DEP_1) | instskip(SKIP_3) | instid1(VALU_DEP_2)
	v_not_b32_e32 v8, v23
	v_lshl_add_u32 v9, v23, 3, v18
	s_mov_b32 s19, 0
	s_mov_b64 s[22:23], s[8:9]
                                        ; implicit-def: $sgpr24
                                        ; implicit-def: $sgpr25
                                        ; implicit-def: $sgpr26
                                        ; implicit-def: $sgpr27
                                        ; implicit-def: $sgpr28
	v_lshl_add_u32 v8, v8, 3, v22
	ds_load_b64 v[10:11], v8
	ds_load_b64 v[24:25], v9
	s_waitcnt lgkmcnt(1)
	v_mul_lo_u32 v40, s20, v11
	v_mul_lo_u32 v41, s21, v10
	v_mad_u64_u32 v[8:9], null, s20, v10, s[10:11]
	s_waitcnt lgkmcnt(0)
	v_mul_lo_u32 v25, s20, v25
	v_mul_lo_u32 v42, s21, v24
	v_mad_u64_u32 v[10:11], null, s20, v24, s[10:11]
	s_delay_alu instid0(VALU_DEP_4) | instskip(NEXT) | instid1(VALU_DEP_2)
	v_add3_u32 v9, v41, v9, v40
	v_add3_u32 v11, v42, v11, v25
	s_set_inst_prefetch_distance 0x1
	s_branch .LBB1610_355
	.p2align	6
.LBB1610_354:                           ;   in Loop: Header=BB1610_355 Depth=2
	s_or_b32 exec_lo, exec_lo, s29
	s_delay_alu instid0(SALU_CYCLE_1) | instskip(NEXT) | instid1(SALU_CYCLE_1)
	s_and_b32 s0, exec_lo, s25
	s_or_b32 s19, s0, s19
	s_and_not1_b32 s0, s28, exec_lo
	s_and_b32 s28, s26, exec_lo
	s_and_not1_b32 s24, s24, exec_lo
	s_and_b32 s29, s27, exec_lo
	s_or_b32 s28, s0, s28
	s_or_b32 s24, s24, s29
	s_and_not1_b32 exec_lo, exec_lo, s19
	s_cbranch_execz .LBB1610_350
.LBB1610_355:                           ;   Parent Loop BB1610_352 Depth=1
                                        ; =>  This Inner Loop Header: Depth=2
	global_load_b64 v[24:25], v[8:9], off
	global_load_b64 v[40:41], v[10:11], off
	s_and_not1_b32 s27, s27, exec_lo
	s_and_not1_b32 s26, s26, exec_lo
	s_or_b32 s25, s25, exec_lo
	s_waitcnt vmcnt(0)
	v_cmp_le_u64_e32 vcc_lo, v[24:25], v[40:41]
	v_cmp_lt_u64_e64 s0, v[24:25], v[40:41]
	s_and_b32 s29, vcc_lo, s28
	s_delay_alu instid0(VALU_DEP_1) | instid1(SALU_CYCLE_1)
	s_or_b32 s0, s0, s29
	s_delay_alu instid0(SALU_CYCLE_1) | instskip(NEXT) | instid1(SALU_CYCLE_1)
	s_and_b32 s29, s0, exec_lo
	s_or_b32 s27, s27, s29
	s_mov_b32 s29, exec_lo
	v_cmpx_eq_u64_e64 v[24:25], v[40:41]
	s_cbranch_execz .LBB1610_354
; %bb.356:                              ;   in Loop: Header=BB1610_355 Depth=2
	s_add_u32 s22, s22, -1
	s_addc_u32 s23, s23, -1
	v_add_co_u32 v8, vcc_lo, v8, 8
	v_add_co_ci_u32_e32 v9, vcc_lo, 0, v9, vcc_lo
	s_cmp_eq_u64 s[22:23], 0
	v_add_co_u32 v10, vcc_lo, v10, 8
	s_cselect_b32 s28, -1, 0
	v_add_co_ci_u32_e32 v11, vcc_lo, 0, v11, vcc_lo
	s_and_not1_b32 s26, s26, exec_lo
	s_and_b32 s0, s0, exec_lo
	s_and_not1_b32 s25, s25, exec_lo
	s_and_b32 s28, s28, exec_lo
	s_and_not1_b32 s27, s27, exec_lo
	s_or_b32 s26, s26, s0
	s_or_b32 s25, s25, s28
                                        ; implicit-def: $sgpr28
	s_branch .LBB1610_354
.LBB1610_357:
	s_or_b32 exec_lo, exec_lo, s12
.LBB1610_358:
	s_delay_alu instid0(SALU_CYCLE_1) | instskip(SKIP_2) | instid1(VALU_DEP_2)
	s_or_b32 exec_lo, exec_lo, s1
	v_sub_nc_u32_e32 v9, v20, v17
	v_add_nc_u32_e32 v8, v17, v19
	v_add_nc_u32_e32 v9, v9, v14
	s_delay_alu instid0(VALU_DEP_2) | instskip(NEXT) | instid1(VALU_DEP_2)
	v_cmp_le_u32_e32 vcc_lo, v8, v14
	v_cmp_le_u32_e64 s0, v9, v15
	s_delay_alu instid0(VALU_DEP_1) | instskip(NEXT) | instid1(SALU_CYCLE_1)
	s_or_b32 s0, vcc_lo, s0
	s_and_saveexec_b32 s1, s0
	s_cbranch_execz .LBB1610_405
; %bb.359:
	v_cmp_ge_u32_e32 vcc_lo, v8, v14
	s_mov_b32 s12, exec_lo
                                        ; implicit-def: $vgpr0_vgpr1
	v_cmpx_lt_u32_e64 v8, v14
	s_cbranch_execz .LBB1610_361
; %bb.360:
	v_lshl_add_u32 v0, v17, 3, v18
	ds_load_b64 v[0:1], v0
.LBB1610_361:
	s_or_b32 exec_lo, exec_lo, s12
	v_cmp_ge_u32_e64 s12, v9, v15
	s_mov_b32 s19, exec_lo
                                        ; implicit-def: $vgpr4_vgpr5
	v_cmpx_lt_u32_e64 v9, v15
	s_cbranch_execz .LBB1610_363
; %bb.362:
	v_lshlrev_b32_e32 v2, 3, v9
	ds_load_b64 v[4:5], v2
.LBB1610_363:
	s_or_b32 exec_lo, exec_lo, s19
	s_or_b32 s0, vcc_lo, s12
	s_mov_b32 s19, -1
	s_xor_b32 s0, s0, -1
	s_delay_alu instid0(SALU_CYCLE_1)
	s_and_saveexec_b32 s22, s0
	s_cbranch_execz .LBB1610_372
; %bb.364:
	s_and_not1_b32 vcc_lo, exec_lo, s7
	s_cbranch_vccnz .LBB1610_370
; %bb.365:
	s_waitcnt lgkmcnt(0)
	v_mul_lo_u32 v10, v5, s8
	v_mul_lo_u32 v11, v4, s9
	v_mad_u64_u32 v[2:3], null, v4, s8, 0
	v_mul_lo_u32 v17, v1, s8
	v_mul_lo_u32 v18, v0, s9
	v_mad_u64_u32 v[6:7], null, v0, s8, 0
	s_mov_b32 s23, 0
	s_mov_b64 s[20:21], s[8:9]
	s_delay_alu instid0(VALU_DEP_4) | instskip(NEXT) | instid1(VALU_DEP_2)
	v_add3_u32 v3, v3, v11, v10
                                        ; implicit-def: $sgpr24
                                        ; implicit-def: $sgpr25
                                        ; implicit-def: $sgpr26
                                        ; implicit-def: $sgpr27
                                        ; implicit-def: $sgpr28
	v_add3_u32 v7, v7, v18, v17
	s_delay_alu instid0(VALU_DEP_2) | instskip(NEXT) | instid1(VALU_DEP_2)
	v_lshlrev_b64 v[2:3], 3, v[2:3]
	v_lshlrev_b64 v[6:7], 3, v[6:7]
	s_delay_alu instid0(VALU_DEP_2) | instskip(NEXT) | instid1(VALU_DEP_3)
	v_add_co_u32 v2, vcc_lo, s10, v2
	v_add_co_ci_u32_e32 v3, vcc_lo, s11, v3, vcc_lo
	s_delay_alu instid0(VALU_DEP_3) | instskip(NEXT) | instid1(VALU_DEP_4)
	v_add_co_u32 v6, vcc_lo, s10, v6
	v_add_co_ci_u32_e32 v7, vcc_lo, s11, v7, vcc_lo
	s_set_inst_prefetch_distance 0x1
	s_branch .LBB1610_367
	.p2align	6
.LBB1610_366:                           ;   in Loop: Header=BB1610_367 Depth=1
	s_or_b32 exec_lo, exec_lo, s0
	s_delay_alu instid0(SALU_CYCLE_1) | instskip(NEXT) | instid1(SALU_CYCLE_1)
	s_and_b32 s0, exec_lo, s25
	s_or_b32 s23, s0, s23
	s_and_not1_b32 s0, s28, exec_lo
	s_and_b32 s28, s27, exec_lo
	s_and_not1_b32 s24, s24, exec_lo
	s_and_b32 s29, s26, exec_lo
	s_or_b32 s28, s0, s28
	s_or_b32 s24, s24, s29
	s_and_not1_b32 exec_lo, exec_lo, s23
	s_cbranch_execz .LBB1610_369
.LBB1610_367:                           ; =>This Inner Loop Header: Depth=1
	global_load_b64 v[10:11], v[2:3], off
	global_load_b64 v[17:18], v[6:7], off
	s_and_not1_b32 s26, s26, exec_lo
	s_and_not1_b32 s27, s27, exec_lo
	s_or_b32 s25, s25, exec_lo
	s_waitcnt vmcnt(0)
	v_cmp_le_u64_e32 vcc_lo, v[10:11], v[17:18]
	v_cmp_lt_u64_e64 s0, v[10:11], v[17:18]
	s_and_b32 s29, vcc_lo, s28
	s_delay_alu instid0(VALU_DEP_1) | instid1(SALU_CYCLE_1)
	s_or_b32 s29, s0, s29
	s_delay_alu instid0(SALU_CYCLE_1) | instskip(NEXT) | instid1(SALU_CYCLE_1)
	s_and_b32 s0, s29, exec_lo
	s_or_b32 s26, s26, s0
	s_mov_b32 s0, exec_lo
	v_cmpx_eq_u64_e64 v[10:11], v[17:18]
	s_cbranch_execz .LBB1610_366
; %bb.368:                              ;   in Loop: Header=BB1610_367 Depth=1
	s_add_u32 s20, s20, -1
	s_addc_u32 s21, s21, -1
	v_add_co_u32 v2, vcc_lo, v2, 8
	s_cmp_eq_u64 s[20:21], 0
	v_add_co_ci_u32_e32 v3, vcc_lo, 0, v3, vcc_lo
	v_add_co_u32 v6, vcc_lo, v6, 8
	s_cselect_b32 s28, -1, 0
	v_add_co_ci_u32_e32 v7, vcc_lo, 0, v7, vcc_lo
	s_and_not1_b32 s27, s27, exec_lo
	s_and_b32 s29, s29, exec_lo
	s_and_not1_b32 s25, s25, exec_lo
	s_and_b32 s28, s28, exec_lo
	s_or_b32 s27, s27, s29
	s_and_not1_b32 s26, s26, exec_lo
	s_or_b32 s25, s25, s28
                                        ; implicit-def: $sgpr28
	s_branch .LBB1610_366
.LBB1610_369:
	s_set_inst_prefetch_distance 0x2
	s_or_b32 exec_lo, exec_lo, s23
	s_xor_b32 s0, s24, -1
	s_branch .LBB1610_371
.LBB1610_370:
	s_mov_b32 s0, -1
.LBB1610_371:
	s_and_not1_b32 s12, s12, exec_lo
	s_and_b32 s0, s0, exec_lo
	s_delay_alu instid0(SALU_CYCLE_1)
	s_or_b32 s12, s12, s0
.LBB1610_372:
	s_or_b32 exec_lo, exec_lo, s22
	v_cndmask_b32_e64 v2, v9, v8, s12
	v_cndmask_b32_e64 v3, v15, v14, s12
	s_mov_b32 s22, exec_lo
	s_delay_alu instid0(VALU_DEP_2) | instskip(NEXT) | instid1(VALU_DEP_2)
	v_add_nc_u32_e32 v6, 1, v2
	v_add_nc_u32_e32 v2, -1, v3
	s_delay_alu instid0(VALU_DEP_2) | instskip(NEXT) | instid1(VALU_DEP_2)
	v_cndmask_b32_e64 v9, v6, v9, s12
	v_min_u32_e32 v2, v6, v2
	v_cndmask_b32_e64 v8, v8, v6, s12
	s_delay_alu instid0(VALU_DEP_2)
	v_lshlrev_b32_e32 v2, 3, v2
	ds_load_b64 v[2:3], v2
	s_waitcnt lgkmcnt(0)
	v_cndmask_b32_e64 v10, v3, v5, s12
	v_cndmask_b32_e64 v11, v2, v4, s12
	;; [unrolled: 1-line block ×4, first 2 shown]
	v_cmpx_lt_u32_e64 v9, v15
	s_cbranch_execz .LBB1610_383
; %bb.373:
	s_mov_b32 s0, 0
	s_mov_b32 s19, exec_lo
	v_cmpx_lt_u32_e64 v8, v14
	s_cbranch_execz .LBB1610_382
; %bb.374:
	s_and_not1_b32 vcc_lo, exec_lo, s7
	s_cbranch_vccnz .LBB1610_380
; %bb.375:
	v_mul_lo_u32 v19, v10, s8
	v_mul_lo_u32 v20, v11, s9
	v_mad_u64_u32 v[2:3], null, v11, s8, 0
	v_mul_lo_u32 v21, v17, s8
	v_mul_lo_u32 v22, v18, s9
	v_mad_u64_u32 v[6:7], null, v18, s8, 0
	s_mov_b32 s23, 0
	s_mov_b64 s[20:21], s[8:9]
	s_delay_alu instid0(VALU_DEP_4) | instskip(NEXT) | instid1(VALU_DEP_2)
	v_add3_u32 v3, v3, v20, v19
                                        ; implicit-def: $sgpr24
                                        ; implicit-def: $sgpr25
                                        ; implicit-def: $sgpr26
                                        ; implicit-def: $sgpr27
                                        ; implicit-def: $sgpr28
	v_add3_u32 v7, v7, v22, v21
	s_delay_alu instid0(VALU_DEP_2) | instskip(NEXT) | instid1(VALU_DEP_2)
	v_lshlrev_b64 v[2:3], 3, v[2:3]
	v_lshlrev_b64 v[6:7], 3, v[6:7]
	s_delay_alu instid0(VALU_DEP_2) | instskip(NEXT) | instid1(VALU_DEP_3)
	v_add_co_u32 v2, vcc_lo, s10, v2
	v_add_co_ci_u32_e32 v3, vcc_lo, s11, v3, vcc_lo
	s_delay_alu instid0(VALU_DEP_3) | instskip(NEXT) | instid1(VALU_DEP_4)
	v_add_co_u32 v6, vcc_lo, s10, v6
	v_add_co_ci_u32_e32 v7, vcc_lo, s11, v7, vcc_lo
	s_set_inst_prefetch_distance 0x1
	s_branch .LBB1610_377
	.p2align	6
.LBB1610_376:                           ;   in Loop: Header=BB1610_377 Depth=1
	s_or_b32 exec_lo, exec_lo, s0
	s_delay_alu instid0(SALU_CYCLE_1) | instskip(NEXT) | instid1(SALU_CYCLE_1)
	s_and_b32 s0, exec_lo, s25
	s_or_b32 s23, s0, s23
	s_and_not1_b32 s0, s28, exec_lo
	s_and_b32 s28, s27, exec_lo
	s_and_not1_b32 s24, s24, exec_lo
	s_and_b32 s29, s26, exec_lo
	s_or_b32 s28, s0, s28
	s_or_b32 s24, s24, s29
	s_and_not1_b32 exec_lo, exec_lo, s23
	s_cbranch_execz .LBB1610_379
.LBB1610_377:                           ; =>This Inner Loop Header: Depth=1
	global_load_b64 v[19:20], v[2:3], off
	global_load_b64 v[21:22], v[6:7], off
	s_and_not1_b32 s26, s26, exec_lo
	s_and_not1_b32 s27, s27, exec_lo
	s_or_b32 s25, s25, exec_lo
	s_waitcnt vmcnt(0)
	v_cmp_le_u64_e32 vcc_lo, v[19:20], v[21:22]
	v_cmp_lt_u64_e64 s0, v[19:20], v[21:22]
	s_and_b32 s29, vcc_lo, s28
	s_delay_alu instid0(VALU_DEP_1) | instid1(SALU_CYCLE_1)
	s_or_b32 s29, s0, s29
	s_delay_alu instid0(SALU_CYCLE_1) | instskip(NEXT) | instid1(SALU_CYCLE_1)
	s_and_b32 s0, s29, exec_lo
	s_or_b32 s26, s26, s0
	s_mov_b32 s0, exec_lo
	v_cmpx_eq_u64_e64 v[19:20], v[21:22]
	s_cbranch_execz .LBB1610_376
; %bb.378:                              ;   in Loop: Header=BB1610_377 Depth=1
	s_add_u32 s20, s20, -1
	s_addc_u32 s21, s21, -1
	v_add_co_u32 v2, vcc_lo, v2, 8
	s_cmp_eq_u64 s[20:21], 0
	v_add_co_ci_u32_e32 v3, vcc_lo, 0, v3, vcc_lo
	v_add_co_u32 v6, vcc_lo, v6, 8
	s_cselect_b32 s28, -1, 0
	v_add_co_ci_u32_e32 v7, vcc_lo, 0, v7, vcc_lo
	s_and_not1_b32 s27, s27, exec_lo
	s_and_b32 s29, s29, exec_lo
	s_and_not1_b32 s25, s25, exec_lo
	s_and_b32 s28, s28, exec_lo
	s_or_b32 s27, s27, s29
	s_and_not1_b32 s26, s26, exec_lo
	s_or_b32 s25, s25, s28
                                        ; implicit-def: $sgpr28
	s_branch .LBB1610_376
.LBB1610_379:
	s_set_inst_prefetch_distance 0x2
	s_or_b32 exec_lo, exec_lo, s23
	s_xor_b32 s0, s24, -1
	s_branch .LBB1610_381
.LBB1610_380:
	s_mov_b32 s0, -1
.LBB1610_381:
	s_delay_alu instid0(SALU_CYCLE_1)
	s_and_b32 s0, s0, exec_lo
.LBB1610_382:
	s_or_b32 exec_lo, exec_lo, s19
	s_delay_alu instid0(SALU_CYCLE_1)
	s_or_not1_b32 s19, s0, exec_lo
.LBB1610_383:
	s_or_b32 exec_lo, exec_lo, s22
	v_cndmask_b32_e64 v2, v9, v8, s19
	v_cndmask_b32_e64 v3, v15, v14, s19
	s_mov_b32 s0, -1
	s_mov_b32 s22, exec_lo
	s_delay_alu instid0(VALU_DEP_2) | instskip(NEXT) | instid1(VALU_DEP_2)
	v_add_nc_u32_e32 v6, 1, v2
	v_add_nc_u32_e32 v2, -1, v3
	s_delay_alu instid0(VALU_DEP_2) | instskip(NEXT) | instid1(VALU_DEP_2)
	v_cndmask_b32_e64 v22, v6, v9, s19
	v_min_u32_e32 v2, v6, v2
	v_cndmask_b32_e64 v19, v8, v6, s19
	s_delay_alu instid0(VALU_DEP_2)
	v_lshlrev_b32_e32 v2, 3, v2
	ds_load_b64 v[2:3], v2
	s_waitcnt lgkmcnt(0)
	v_cndmask_b32_e64 v20, v3, v10, s19
	v_cndmask_b32_e64 v21, v2, v11, s19
	;; [unrolled: 1-line block ×4, first 2 shown]
	v_cmpx_lt_u32_e64 v22, v15
	s_cbranch_execz .LBB1610_394
; %bb.384:
	s_mov_b32 s0, 0
	s_mov_b32 s23, exec_lo
	v_cmpx_lt_u32_e64 v19, v14
	s_cbranch_execz .LBB1610_393
; %bb.385:
	s_and_not1_b32 vcc_lo, exec_lo, s7
	s_cbranch_vccnz .LBB1610_391
; %bb.386:
	v_mul_lo_u32 v8, v20, s8
	v_mul_lo_u32 v9, v21, s9
	v_mad_u64_u32 v[2:3], null, v21, s8, 0
	v_mul_lo_u32 v25, v23, s8
	v_mul_lo_u32 v40, v24, s9
	v_mad_u64_u32 v[6:7], null, v24, s8, 0
	s_mov_b32 s24, 0
	s_mov_b64 s[20:21], s[8:9]
	s_delay_alu instid0(VALU_DEP_4) | instskip(NEXT) | instid1(VALU_DEP_2)
	v_add3_u32 v3, v3, v9, v8
                                        ; implicit-def: $sgpr25
                                        ; implicit-def: $sgpr26
                                        ; implicit-def: $sgpr27
                                        ; implicit-def: $sgpr28
                                        ; implicit-def: $sgpr29
	v_add3_u32 v7, v7, v40, v25
	s_delay_alu instid0(VALU_DEP_2) | instskip(NEXT) | instid1(VALU_DEP_2)
	v_lshlrev_b64 v[2:3], 3, v[2:3]
	v_lshlrev_b64 v[6:7], 3, v[6:7]
	s_delay_alu instid0(VALU_DEP_2) | instskip(NEXT) | instid1(VALU_DEP_3)
	v_add_co_u32 v2, vcc_lo, s10, v2
	v_add_co_ci_u32_e32 v3, vcc_lo, s11, v3, vcc_lo
	s_delay_alu instid0(VALU_DEP_3) | instskip(NEXT) | instid1(VALU_DEP_4)
	v_add_co_u32 v6, vcc_lo, s10, v6
	v_add_co_ci_u32_e32 v7, vcc_lo, s11, v7, vcc_lo
	s_set_inst_prefetch_distance 0x1
	s_branch .LBB1610_388
	.p2align	6
.LBB1610_387:                           ;   in Loop: Header=BB1610_388 Depth=1
	s_or_b32 exec_lo, exec_lo, s0
	s_delay_alu instid0(SALU_CYCLE_1) | instskip(NEXT) | instid1(SALU_CYCLE_1)
	s_and_b32 s0, exec_lo, s26
	s_or_b32 s24, s0, s24
	s_and_not1_b32 s0, s29, exec_lo
	s_and_b32 s29, s28, exec_lo
	s_and_not1_b32 s25, s25, exec_lo
	s_and_b32 s30, s27, exec_lo
	s_or_b32 s29, s0, s29
	s_or_b32 s25, s25, s30
	s_and_not1_b32 exec_lo, exec_lo, s24
	s_cbranch_execz .LBB1610_390
.LBB1610_388:                           ; =>This Inner Loop Header: Depth=1
	global_load_b64 v[8:9], v[2:3], off
	global_load_b64 v[40:41], v[6:7], off
	s_and_not1_b32 s27, s27, exec_lo
	s_and_not1_b32 s28, s28, exec_lo
	s_or_b32 s26, s26, exec_lo
	s_waitcnt vmcnt(0)
	v_cmp_le_u64_e32 vcc_lo, v[8:9], v[40:41]
	v_cmp_lt_u64_e64 s0, v[8:9], v[40:41]
	s_and_b32 s30, vcc_lo, s29
	s_delay_alu instid0(VALU_DEP_1) | instid1(SALU_CYCLE_1)
	s_or_b32 s30, s0, s30
	s_delay_alu instid0(SALU_CYCLE_1) | instskip(NEXT) | instid1(SALU_CYCLE_1)
	s_and_b32 s0, s30, exec_lo
	s_or_b32 s27, s27, s0
	s_mov_b32 s0, exec_lo
	v_cmpx_eq_u64_e64 v[8:9], v[40:41]
	s_cbranch_execz .LBB1610_387
; %bb.389:                              ;   in Loop: Header=BB1610_388 Depth=1
	s_add_u32 s20, s20, -1
	s_addc_u32 s21, s21, -1
	v_add_co_u32 v2, vcc_lo, v2, 8
	s_cmp_eq_u64 s[20:21], 0
	v_add_co_ci_u32_e32 v3, vcc_lo, 0, v3, vcc_lo
	v_add_co_u32 v6, vcc_lo, v6, 8
	s_cselect_b32 s29, -1, 0
	v_add_co_ci_u32_e32 v7, vcc_lo, 0, v7, vcc_lo
	s_and_not1_b32 s28, s28, exec_lo
	s_and_b32 s30, s30, exec_lo
	s_and_not1_b32 s26, s26, exec_lo
	s_and_b32 s29, s29, exec_lo
	s_or_b32 s28, s28, s30
	s_and_not1_b32 s27, s27, exec_lo
	s_or_b32 s26, s26, s29
                                        ; implicit-def: $sgpr29
	s_branch .LBB1610_387
.LBB1610_390:
	s_set_inst_prefetch_distance 0x2
	s_or_b32 exec_lo, exec_lo, s24
	s_xor_b32 s0, s25, -1
	s_branch .LBB1610_392
.LBB1610_391:
	s_mov_b32 s0, -1
.LBB1610_392:
	s_delay_alu instid0(SALU_CYCLE_1)
	s_and_b32 s0, s0, exec_lo
.LBB1610_393:
	s_or_b32 exec_lo, exec_lo, s23
	s_delay_alu instid0(SALU_CYCLE_1)
	s_or_not1_b32 s0, s0, exec_lo
.LBB1610_394:
	s_or_b32 exec_lo, exec_lo, s22
	v_cndmask_b32_e64 v2, v22, v19, s0
	v_cndmask_b32_e64 v3, v15, v14, s0
	;; [unrolled: 1-line block ×5, first 2 shown]
	v_add_nc_u32_e32 v25, 1, v2
	v_add_nc_u32_e32 v2, -1, v3
	v_cndmask_b32_e64 v3, v10, v17, s19
	v_cndmask_b32_e64 v4, v21, v24, s0
	s_mov_b32 s12, exec_lo
	v_cndmask_b32_e64 v10, v25, v22, s0
	v_min_u32_e32 v2, v25, v2
	s_delay_alu instid0(VALU_DEP_1)
	v_lshlrev_b32_e32 v2, 3, v2
	ds_load_b64 v[8:9], v2
	v_cndmask_b32_e64 v2, v11, v18, s19
	s_waitcnt lgkmcnt(0)
	v_cndmask_b32_e64 v7, v23, v9, s0
	v_cndmask_b32_e64 v6, v24, v8, s0
	v_cmpx_lt_u32_e64 v10, v15
	s_cbranch_execz .LBB1610_404
; %bb.395:
	v_cndmask_b32_e64 v10, v19, v25, s0
	v_cndmask_b32_e64 v9, v9, v20, s0
	;; [unrolled: 1-line block ×3, first 2 shown]
	s_mov_b32 s19, exec_lo
	s_delay_alu instid0(VALU_DEP_3)
	v_cmpx_lt_u32_e64 v10, v14
	s_cbranch_execz .LBB1610_403
; %bb.396:
	s_and_not1_b32 vcc_lo, exec_lo, s7
	s_cbranch_vccnz .LBB1610_402
; %bb.397:
	v_mul_lo_u32 v17, v9, s8
	v_mul_lo_u32 v18, v8, s9
	v_mad_u64_u32 v[10:11], null, v8, s8, 0
	v_mul_lo_u32 v19, v7, s8
	v_mul_lo_u32 v20, v6, s9
	v_mad_u64_u32 v[14:15], null, v6, s8, 0
	s_mov_b32 s22, 0
	s_mov_b64 s[20:21], s[8:9]
	s_delay_alu instid0(VALU_DEP_4) | instskip(NEXT) | instid1(VALU_DEP_2)
	v_add3_u32 v11, v11, v18, v17
                                        ; implicit-def: $sgpr23
                                        ; implicit-def: $sgpr24
                                        ; implicit-def: $sgpr25
                                        ; implicit-def: $sgpr26
                                        ; implicit-def: $sgpr27
	v_add3_u32 v15, v15, v20, v19
	s_delay_alu instid0(VALU_DEP_2) | instskip(NEXT) | instid1(VALU_DEP_2)
	v_lshlrev_b64 v[10:11], 3, v[10:11]
	v_lshlrev_b64 v[14:15], 3, v[14:15]
	s_delay_alu instid0(VALU_DEP_2) | instskip(NEXT) | instid1(VALU_DEP_3)
	v_add_co_u32 v10, vcc_lo, s10, v10
	v_add_co_ci_u32_e32 v11, vcc_lo, s11, v11, vcc_lo
	s_delay_alu instid0(VALU_DEP_3) | instskip(NEXT) | instid1(VALU_DEP_4)
	v_add_co_u32 v14, vcc_lo, s10, v14
	v_add_co_ci_u32_e32 v15, vcc_lo, s11, v15, vcc_lo
	s_set_inst_prefetch_distance 0x1
	s_branch .LBB1610_399
	.p2align	6
.LBB1610_398:                           ;   in Loop: Header=BB1610_399 Depth=1
	s_or_b32 exec_lo, exec_lo, s0
	s_delay_alu instid0(SALU_CYCLE_1) | instskip(NEXT) | instid1(SALU_CYCLE_1)
	s_and_b32 s0, exec_lo, s24
	s_or_b32 s22, s0, s22
	s_and_not1_b32 s0, s27, exec_lo
	s_and_b32 s27, s26, exec_lo
	s_and_not1_b32 s23, s23, exec_lo
	s_and_b32 s28, s25, exec_lo
	s_or_b32 s27, s0, s27
	s_or_b32 s23, s23, s28
	s_and_not1_b32 exec_lo, exec_lo, s22
	s_cbranch_execz .LBB1610_401
.LBB1610_399:                           ; =>This Inner Loop Header: Depth=1
	global_load_b64 v[17:18], v[10:11], off
	global_load_b64 v[19:20], v[14:15], off
	s_and_not1_b32 s25, s25, exec_lo
	s_and_not1_b32 s26, s26, exec_lo
	s_or_b32 s24, s24, exec_lo
	s_waitcnt vmcnt(0)
	v_cmp_le_u64_e32 vcc_lo, v[17:18], v[19:20]
	v_cmp_lt_u64_e64 s0, v[17:18], v[19:20]
	s_and_b32 s28, vcc_lo, s27
	s_delay_alu instid0(VALU_DEP_1) | instid1(SALU_CYCLE_1)
	s_or_b32 s28, s0, s28
	s_delay_alu instid0(SALU_CYCLE_1) | instskip(NEXT) | instid1(SALU_CYCLE_1)
	s_and_b32 s0, s28, exec_lo
	s_or_b32 s25, s25, s0
	s_mov_b32 s0, exec_lo
	v_cmpx_eq_u64_e64 v[17:18], v[19:20]
	s_cbranch_execz .LBB1610_398
; %bb.400:                              ;   in Loop: Header=BB1610_399 Depth=1
	s_add_u32 s20, s20, -1
	s_addc_u32 s21, s21, -1
	v_add_co_u32 v10, vcc_lo, v10, 8
	s_cmp_eq_u64 s[20:21], 0
	v_add_co_ci_u32_e32 v11, vcc_lo, 0, v11, vcc_lo
	v_add_co_u32 v14, vcc_lo, v14, 8
	s_cselect_b32 s27, -1, 0
	v_add_co_ci_u32_e32 v15, vcc_lo, 0, v15, vcc_lo
	s_and_not1_b32 s26, s26, exec_lo
	s_and_b32 s28, s28, exec_lo
	s_and_not1_b32 s24, s24, exec_lo
	s_and_b32 s27, s27, exec_lo
	s_or_b32 s26, s26, s28
	s_and_not1_b32 s25, s25, exec_lo
	s_or_b32 s24, s24, s27
                                        ; implicit-def: $sgpr27
	s_branch .LBB1610_398
.LBB1610_401:
	s_set_inst_prefetch_distance 0x2
	s_or_b32 exec_lo, exec_lo, s22
	v_cndmask_b32_e64 v7, v7, v9, s23
	v_cndmask_b32_e64 v6, v6, v8, s23
.LBB1610_402:
	s_delay_alu instid0(VALU_DEP_1)
	v_dual_mov_b32 v9, v7 :: v_dual_mov_b32 v8, v6
.LBB1610_403:
	s_or_b32 exec_lo, exec_lo, s19
	s_delay_alu instid0(VALU_DEP_1)
	v_dual_mov_b32 v6, v8 :: v_dual_mov_b32 v7, v9
.LBB1610_404:
	s_or_b32 exec_lo, exec_lo, s12
.LBB1610_405:
	s_delay_alu instid0(SALU_CYCLE_1) | instskip(SKIP_4) | instid1(VALU_DEP_2)
	s_or_b32 exec_lo, exec_lo, s1
	v_and_b32_e32 v19, 0xe00, v27
	v_and_b32_e32 v20, 0x1fc, v27
	s_mov_b32 s1, exec_lo
	s_barrier
	v_or_b32_e32 v8, 0x100, v19
	v_lshlrev_b32_e32 v18, 3, v19
	buffer_gl0_inv
	ds_store_b128 v16, v[0:3]
	ds_store_b128 v16, v[4:7] offset:16
	s_waitcnt lgkmcnt(0)
	v_min_u32_e32 v9, 0x300, v8
	v_min_u32_e32 v14, 0x400, v8
	s_barrier
	buffer_gl0_inv
	v_add_nc_u32_e32 v15, 0x100, v9
	v_sub_nc_u32_e32 v8, v14, v19
	s_delay_alu instid0(VALU_DEP_2) | instskip(NEXT) | instid1(VALU_DEP_2)
	v_sub_nc_u32_e32 v9, v15, v14
	v_min_u32_e32 v21, v20, v8
	s_delay_alu instid0(VALU_DEP_2) | instskip(NEXT) | instid1(VALU_DEP_1)
	v_sub_nc_u32_e64 v17, v20, v9 clamp
	v_cmpx_lt_u32_e64 v17, v21
	s_cbranch_execz .LBB1610_415
; %bb.406:
	v_lshlrev_b32_e32 v8, 3, v20
	s_lshl_b64 s[20:21], s[8:9], 3
	s_mov_b32 s12, 0
	s_delay_alu instid0(VALU_DEP_1)
	v_lshl_add_u32 v22, v14, 3, v8
	s_branch .LBB1610_409
.LBB1610_407:                           ;   in Loop: Header=BB1610_409 Depth=1
	s_set_inst_prefetch_distance 0x2
	s_or_b32 exec_lo, exec_lo, s19
.LBB1610_408:                           ;   in Loop: Header=BB1610_409 Depth=1
	s_delay_alu instid0(VALU_DEP_1) | instskip(SKIP_1) | instid1(VALU_DEP_2)
	v_add_nc_u32_e32 v8, 1, v23
	v_cndmask_b32_e64 v21, v21, v23, s24
	v_cndmask_b32_e64 v17, v8, v17, s24
	s_delay_alu instid0(VALU_DEP_1) | instskip(SKIP_1) | instid1(SALU_CYCLE_1)
	v_cmp_ge_u32_e32 vcc_lo, v17, v21
	s_or_b32 s12, vcc_lo, s12
	s_and_not1_b32 exec_lo, exec_lo, s12
	s_cbranch_execz .LBB1610_414
.LBB1610_409:                           ; =>This Loop Header: Depth=1
                                        ;     Child Loop BB1610_412 Depth 2
	v_add_nc_u32_e32 v8, v21, v17
	s_and_not1_b32 vcc_lo, exec_lo, s7
	s_mov_b32 s24, 0
	s_delay_alu instid0(VALU_DEP_1)
	v_lshrrev_b32_e32 v23, 1, v8
	s_cbranch_vccnz .LBB1610_408
; %bb.410:                              ;   in Loop: Header=BB1610_409 Depth=1
	s_delay_alu instid0(VALU_DEP_1) | instskip(SKIP_3) | instid1(VALU_DEP_2)
	v_not_b32_e32 v8, v23
	v_lshl_add_u32 v9, v23, 3, v18
	s_mov_b32 s19, 0
	s_mov_b64 s[22:23], s[8:9]
                                        ; implicit-def: $sgpr24
                                        ; implicit-def: $sgpr25
                                        ; implicit-def: $sgpr26
                                        ; implicit-def: $sgpr27
                                        ; implicit-def: $sgpr28
	v_lshl_add_u32 v8, v8, 3, v22
	ds_load_b64 v[10:11], v8
	ds_load_b64 v[24:25], v9
	s_waitcnt lgkmcnt(1)
	v_mul_lo_u32 v40, s20, v11
	v_mul_lo_u32 v41, s21, v10
	v_mad_u64_u32 v[8:9], null, s20, v10, s[10:11]
	s_waitcnt lgkmcnt(0)
	v_mul_lo_u32 v25, s20, v25
	v_mul_lo_u32 v42, s21, v24
	v_mad_u64_u32 v[10:11], null, s20, v24, s[10:11]
	s_delay_alu instid0(VALU_DEP_4) | instskip(NEXT) | instid1(VALU_DEP_2)
	v_add3_u32 v9, v41, v9, v40
	v_add3_u32 v11, v42, v11, v25
	s_set_inst_prefetch_distance 0x1
	s_branch .LBB1610_412
	.p2align	6
.LBB1610_411:                           ;   in Loop: Header=BB1610_412 Depth=2
	s_or_b32 exec_lo, exec_lo, s29
	s_delay_alu instid0(SALU_CYCLE_1) | instskip(NEXT) | instid1(SALU_CYCLE_1)
	s_and_b32 s0, exec_lo, s25
	s_or_b32 s19, s0, s19
	s_and_not1_b32 s0, s28, exec_lo
	s_and_b32 s28, s26, exec_lo
	s_and_not1_b32 s24, s24, exec_lo
	s_and_b32 s29, s27, exec_lo
	s_or_b32 s28, s0, s28
	s_or_b32 s24, s24, s29
	s_and_not1_b32 exec_lo, exec_lo, s19
	s_cbranch_execz .LBB1610_407
.LBB1610_412:                           ;   Parent Loop BB1610_409 Depth=1
                                        ; =>  This Inner Loop Header: Depth=2
	global_load_b64 v[24:25], v[8:9], off
	global_load_b64 v[40:41], v[10:11], off
	s_and_not1_b32 s27, s27, exec_lo
	s_and_not1_b32 s26, s26, exec_lo
	s_or_b32 s25, s25, exec_lo
	s_waitcnt vmcnt(0)
	v_cmp_le_u64_e32 vcc_lo, v[24:25], v[40:41]
	v_cmp_lt_u64_e64 s0, v[24:25], v[40:41]
	s_and_b32 s29, vcc_lo, s28
	s_delay_alu instid0(VALU_DEP_1) | instid1(SALU_CYCLE_1)
	s_or_b32 s0, s0, s29
	s_delay_alu instid0(SALU_CYCLE_1) | instskip(NEXT) | instid1(SALU_CYCLE_1)
	s_and_b32 s29, s0, exec_lo
	s_or_b32 s27, s27, s29
	s_mov_b32 s29, exec_lo
	v_cmpx_eq_u64_e64 v[24:25], v[40:41]
	s_cbranch_execz .LBB1610_411
; %bb.413:                              ;   in Loop: Header=BB1610_412 Depth=2
	s_add_u32 s22, s22, -1
	s_addc_u32 s23, s23, -1
	v_add_co_u32 v8, vcc_lo, v8, 8
	v_add_co_ci_u32_e32 v9, vcc_lo, 0, v9, vcc_lo
	s_cmp_eq_u64 s[22:23], 0
	v_add_co_u32 v10, vcc_lo, v10, 8
	s_cselect_b32 s28, -1, 0
	v_add_co_ci_u32_e32 v11, vcc_lo, 0, v11, vcc_lo
	s_and_not1_b32 s26, s26, exec_lo
	s_and_b32 s0, s0, exec_lo
	s_and_not1_b32 s25, s25, exec_lo
	s_and_b32 s28, s28, exec_lo
	s_and_not1_b32 s27, s27, exec_lo
	s_or_b32 s26, s26, s0
	s_or_b32 s25, s25, s28
                                        ; implicit-def: $sgpr28
	s_branch .LBB1610_411
.LBB1610_414:
	s_or_b32 exec_lo, exec_lo, s12
.LBB1610_415:
	s_delay_alu instid0(SALU_CYCLE_1) | instskip(SKIP_2) | instid1(VALU_DEP_2)
	s_or_b32 exec_lo, exec_lo, s1
	v_sub_nc_u32_e32 v9, v20, v17
	v_add_nc_u32_e32 v8, v17, v19
	v_add_nc_u32_e32 v9, v9, v14
	s_delay_alu instid0(VALU_DEP_2) | instskip(NEXT) | instid1(VALU_DEP_2)
	v_cmp_le_u32_e32 vcc_lo, v8, v14
	v_cmp_le_u32_e64 s0, v9, v15
	s_delay_alu instid0(VALU_DEP_1) | instskip(NEXT) | instid1(SALU_CYCLE_1)
	s_or_b32 s0, vcc_lo, s0
	s_and_saveexec_b32 s1, s0
	s_cbranch_execz .LBB1610_462
; %bb.416:
	v_cmp_ge_u32_e32 vcc_lo, v8, v14
	s_mov_b32 s12, exec_lo
                                        ; implicit-def: $vgpr0_vgpr1
	v_cmpx_lt_u32_e64 v8, v14
	s_cbranch_execz .LBB1610_418
; %bb.417:
	v_lshl_add_u32 v0, v17, 3, v18
	ds_load_b64 v[0:1], v0
.LBB1610_418:
	s_or_b32 exec_lo, exec_lo, s12
	v_cmp_ge_u32_e64 s12, v9, v15
	s_mov_b32 s19, exec_lo
                                        ; implicit-def: $vgpr4_vgpr5
	v_cmpx_lt_u32_e64 v9, v15
	s_cbranch_execz .LBB1610_420
; %bb.419:
	v_lshlrev_b32_e32 v2, 3, v9
	ds_load_b64 v[4:5], v2
.LBB1610_420:
	s_or_b32 exec_lo, exec_lo, s19
	s_or_b32 s0, vcc_lo, s12
	s_mov_b32 s19, -1
	s_xor_b32 s0, s0, -1
	s_delay_alu instid0(SALU_CYCLE_1)
	s_and_saveexec_b32 s22, s0
	s_cbranch_execz .LBB1610_429
; %bb.421:
	s_and_not1_b32 vcc_lo, exec_lo, s7
	s_cbranch_vccnz .LBB1610_427
; %bb.422:
	s_waitcnt lgkmcnt(0)
	v_mul_lo_u32 v10, v5, s8
	v_mul_lo_u32 v11, v4, s9
	v_mad_u64_u32 v[2:3], null, v4, s8, 0
	v_mul_lo_u32 v17, v1, s8
	v_mul_lo_u32 v18, v0, s9
	v_mad_u64_u32 v[6:7], null, v0, s8, 0
	s_mov_b32 s23, 0
	s_mov_b64 s[20:21], s[8:9]
	s_delay_alu instid0(VALU_DEP_4) | instskip(NEXT) | instid1(VALU_DEP_2)
	v_add3_u32 v3, v3, v11, v10
                                        ; implicit-def: $sgpr24
                                        ; implicit-def: $sgpr25
                                        ; implicit-def: $sgpr26
                                        ; implicit-def: $sgpr27
                                        ; implicit-def: $sgpr28
	v_add3_u32 v7, v7, v18, v17
	s_delay_alu instid0(VALU_DEP_2) | instskip(NEXT) | instid1(VALU_DEP_2)
	v_lshlrev_b64 v[2:3], 3, v[2:3]
	v_lshlrev_b64 v[6:7], 3, v[6:7]
	s_delay_alu instid0(VALU_DEP_2) | instskip(NEXT) | instid1(VALU_DEP_3)
	v_add_co_u32 v2, vcc_lo, s10, v2
	v_add_co_ci_u32_e32 v3, vcc_lo, s11, v3, vcc_lo
	s_delay_alu instid0(VALU_DEP_3) | instskip(NEXT) | instid1(VALU_DEP_4)
	v_add_co_u32 v6, vcc_lo, s10, v6
	v_add_co_ci_u32_e32 v7, vcc_lo, s11, v7, vcc_lo
	s_set_inst_prefetch_distance 0x1
	s_branch .LBB1610_424
	.p2align	6
.LBB1610_423:                           ;   in Loop: Header=BB1610_424 Depth=1
	s_or_b32 exec_lo, exec_lo, s0
	s_delay_alu instid0(SALU_CYCLE_1) | instskip(NEXT) | instid1(SALU_CYCLE_1)
	s_and_b32 s0, exec_lo, s25
	s_or_b32 s23, s0, s23
	s_and_not1_b32 s0, s28, exec_lo
	s_and_b32 s28, s27, exec_lo
	s_and_not1_b32 s24, s24, exec_lo
	s_and_b32 s29, s26, exec_lo
	s_or_b32 s28, s0, s28
	s_or_b32 s24, s24, s29
	s_and_not1_b32 exec_lo, exec_lo, s23
	s_cbranch_execz .LBB1610_426
.LBB1610_424:                           ; =>This Inner Loop Header: Depth=1
	global_load_b64 v[10:11], v[2:3], off
	global_load_b64 v[17:18], v[6:7], off
	s_and_not1_b32 s26, s26, exec_lo
	s_and_not1_b32 s27, s27, exec_lo
	s_or_b32 s25, s25, exec_lo
	s_waitcnt vmcnt(0)
	v_cmp_le_u64_e32 vcc_lo, v[10:11], v[17:18]
	v_cmp_lt_u64_e64 s0, v[10:11], v[17:18]
	s_and_b32 s29, vcc_lo, s28
	s_delay_alu instid0(VALU_DEP_1) | instid1(SALU_CYCLE_1)
	s_or_b32 s29, s0, s29
	s_delay_alu instid0(SALU_CYCLE_1) | instskip(NEXT) | instid1(SALU_CYCLE_1)
	s_and_b32 s0, s29, exec_lo
	s_or_b32 s26, s26, s0
	s_mov_b32 s0, exec_lo
	v_cmpx_eq_u64_e64 v[10:11], v[17:18]
	s_cbranch_execz .LBB1610_423
; %bb.425:                              ;   in Loop: Header=BB1610_424 Depth=1
	s_add_u32 s20, s20, -1
	s_addc_u32 s21, s21, -1
	v_add_co_u32 v2, vcc_lo, v2, 8
	s_cmp_eq_u64 s[20:21], 0
	v_add_co_ci_u32_e32 v3, vcc_lo, 0, v3, vcc_lo
	v_add_co_u32 v6, vcc_lo, v6, 8
	s_cselect_b32 s28, -1, 0
	v_add_co_ci_u32_e32 v7, vcc_lo, 0, v7, vcc_lo
	s_and_not1_b32 s27, s27, exec_lo
	s_and_b32 s29, s29, exec_lo
	s_and_not1_b32 s25, s25, exec_lo
	s_and_b32 s28, s28, exec_lo
	s_or_b32 s27, s27, s29
	s_and_not1_b32 s26, s26, exec_lo
	s_or_b32 s25, s25, s28
                                        ; implicit-def: $sgpr28
	s_branch .LBB1610_423
.LBB1610_426:
	s_set_inst_prefetch_distance 0x2
	s_or_b32 exec_lo, exec_lo, s23
	s_xor_b32 s0, s24, -1
	s_branch .LBB1610_428
.LBB1610_427:
	s_mov_b32 s0, -1
.LBB1610_428:
	s_and_not1_b32 s12, s12, exec_lo
	s_and_b32 s0, s0, exec_lo
	s_delay_alu instid0(SALU_CYCLE_1)
	s_or_b32 s12, s12, s0
.LBB1610_429:
	s_or_b32 exec_lo, exec_lo, s22
	v_cndmask_b32_e64 v2, v9, v8, s12
	v_cndmask_b32_e64 v3, v15, v14, s12
	s_mov_b32 s22, exec_lo
	s_delay_alu instid0(VALU_DEP_2) | instskip(NEXT) | instid1(VALU_DEP_2)
	v_add_nc_u32_e32 v6, 1, v2
	v_add_nc_u32_e32 v2, -1, v3
	s_delay_alu instid0(VALU_DEP_2) | instskip(NEXT) | instid1(VALU_DEP_2)
	v_cndmask_b32_e64 v9, v6, v9, s12
	v_min_u32_e32 v2, v6, v2
	v_cndmask_b32_e64 v8, v8, v6, s12
	s_delay_alu instid0(VALU_DEP_2)
	v_lshlrev_b32_e32 v2, 3, v2
	ds_load_b64 v[2:3], v2
	s_waitcnt lgkmcnt(0)
	v_cndmask_b32_e64 v10, v3, v5, s12
	v_cndmask_b32_e64 v11, v2, v4, s12
	;; [unrolled: 1-line block ×4, first 2 shown]
	v_cmpx_lt_u32_e64 v9, v15
	s_cbranch_execz .LBB1610_440
; %bb.430:
	s_mov_b32 s0, 0
	s_mov_b32 s19, exec_lo
	v_cmpx_lt_u32_e64 v8, v14
	s_cbranch_execz .LBB1610_439
; %bb.431:
	s_and_not1_b32 vcc_lo, exec_lo, s7
	s_cbranch_vccnz .LBB1610_437
; %bb.432:
	v_mul_lo_u32 v19, v10, s8
	v_mul_lo_u32 v20, v11, s9
	v_mad_u64_u32 v[2:3], null, v11, s8, 0
	v_mul_lo_u32 v21, v17, s8
	v_mul_lo_u32 v22, v18, s9
	v_mad_u64_u32 v[6:7], null, v18, s8, 0
	s_mov_b32 s23, 0
	s_mov_b64 s[20:21], s[8:9]
	s_delay_alu instid0(VALU_DEP_4) | instskip(NEXT) | instid1(VALU_DEP_2)
	v_add3_u32 v3, v3, v20, v19
                                        ; implicit-def: $sgpr24
                                        ; implicit-def: $sgpr25
                                        ; implicit-def: $sgpr26
                                        ; implicit-def: $sgpr27
                                        ; implicit-def: $sgpr28
	v_add3_u32 v7, v7, v22, v21
	s_delay_alu instid0(VALU_DEP_2) | instskip(NEXT) | instid1(VALU_DEP_2)
	v_lshlrev_b64 v[2:3], 3, v[2:3]
	v_lshlrev_b64 v[6:7], 3, v[6:7]
	s_delay_alu instid0(VALU_DEP_2) | instskip(NEXT) | instid1(VALU_DEP_3)
	v_add_co_u32 v2, vcc_lo, s10, v2
	v_add_co_ci_u32_e32 v3, vcc_lo, s11, v3, vcc_lo
	s_delay_alu instid0(VALU_DEP_3) | instskip(NEXT) | instid1(VALU_DEP_4)
	v_add_co_u32 v6, vcc_lo, s10, v6
	v_add_co_ci_u32_e32 v7, vcc_lo, s11, v7, vcc_lo
	s_set_inst_prefetch_distance 0x1
	s_branch .LBB1610_434
	.p2align	6
.LBB1610_433:                           ;   in Loop: Header=BB1610_434 Depth=1
	s_or_b32 exec_lo, exec_lo, s0
	s_delay_alu instid0(SALU_CYCLE_1) | instskip(NEXT) | instid1(SALU_CYCLE_1)
	s_and_b32 s0, exec_lo, s25
	s_or_b32 s23, s0, s23
	s_and_not1_b32 s0, s28, exec_lo
	s_and_b32 s28, s27, exec_lo
	s_and_not1_b32 s24, s24, exec_lo
	s_and_b32 s29, s26, exec_lo
	s_or_b32 s28, s0, s28
	s_or_b32 s24, s24, s29
	s_and_not1_b32 exec_lo, exec_lo, s23
	s_cbranch_execz .LBB1610_436
.LBB1610_434:                           ; =>This Inner Loop Header: Depth=1
	global_load_b64 v[19:20], v[2:3], off
	global_load_b64 v[21:22], v[6:7], off
	s_and_not1_b32 s26, s26, exec_lo
	s_and_not1_b32 s27, s27, exec_lo
	s_or_b32 s25, s25, exec_lo
	s_waitcnt vmcnt(0)
	v_cmp_le_u64_e32 vcc_lo, v[19:20], v[21:22]
	v_cmp_lt_u64_e64 s0, v[19:20], v[21:22]
	s_and_b32 s29, vcc_lo, s28
	s_delay_alu instid0(VALU_DEP_1) | instid1(SALU_CYCLE_1)
	s_or_b32 s29, s0, s29
	s_delay_alu instid0(SALU_CYCLE_1) | instskip(NEXT) | instid1(SALU_CYCLE_1)
	s_and_b32 s0, s29, exec_lo
	s_or_b32 s26, s26, s0
	s_mov_b32 s0, exec_lo
	v_cmpx_eq_u64_e64 v[19:20], v[21:22]
	s_cbranch_execz .LBB1610_433
; %bb.435:                              ;   in Loop: Header=BB1610_434 Depth=1
	s_add_u32 s20, s20, -1
	s_addc_u32 s21, s21, -1
	v_add_co_u32 v2, vcc_lo, v2, 8
	s_cmp_eq_u64 s[20:21], 0
	v_add_co_ci_u32_e32 v3, vcc_lo, 0, v3, vcc_lo
	v_add_co_u32 v6, vcc_lo, v6, 8
	s_cselect_b32 s28, -1, 0
	v_add_co_ci_u32_e32 v7, vcc_lo, 0, v7, vcc_lo
	s_and_not1_b32 s27, s27, exec_lo
	s_and_b32 s29, s29, exec_lo
	s_and_not1_b32 s25, s25, exec_lo
	s_and_b32 s28, s28, exec_lo
	s_or_b32 s27, s27, s29
	s_and_not1_b32 s26, s26, exec_lo
	s_or_b32 s25, s25, s28
                                        ; implicit-def: $sgpr28
	s_branch .LBB1610_433
.LBB1610_436:
	s_set_inst_prefetch_distance 0x2
	s_or_b32 exec_lo, exec_lo, s23
	s_xor_b32 s0, s24, -1
	s_branch .LBB1610_438
.LBB1610_437:
	s_mov_b32 s0, -1
.LBB1610_438:
	s_delay_alu instid0(SALU_CYCLE_1)
	s_and_b32 s0, s0, exec_lo
.LBB1610_439:
	s_or_b32 exec_lo, exec_lo, s19
	s_delay_alu instid0(SALU_CYCLE_1)
	s_or_not1_b32 s19, s0, exec_lo
.LBB1610_440:
	s_or_b32 exec_lo, exec_lo, s22
	v_cndmask_b32_e64 v2, v9, v8, s19
	v_cndmask_b32_e64 v3, v15, v14, s19
	s_mov_b32 s0, -1
	s_mov_b32 s22, exec_lo
	s_delay_alu instid0(VALU_DEP_2) | instskip(NEXT) | instid1(VALU_DEP_2)
	v_add_nc_u32_e32 v6, 1, v2
	v_add_nc_u32_e32 v2, -1, v3
	s_delay_alu instid0(VALU_DEP_2) | instskip(NEXT) | instid1(VALU_DEP_2)
	v_cndmask_b32_e64 v22, v6, v9, s19
	v_min_u32_e32 v2, v6, v2
	v_cndmask_b32_e64 v19, v8, v6, s19
	s_delay_alu instid0(VALU_DEP_2)
	v_lshlrev_b32_e32 v2, 3, v2
	ds_load_b64 v[2:3], v2
	s_waitcnt lgkmcnt(0)
	v_cndmask_b32_e64 v20, v3, v10, s19
	v_cndmask_b32_e64 v21, v2, v11, s19
	v_cndmask_b32_e64 v23, v17, v3, s19
	v_cndmask_b32_e64 v24, v18, v2, s19
	v_cmpx_lt_u32_e64 v22, v15
	s_cbranch_execz .LBB1610_451
; %bb.441:
	s_mov_b32 s0, 0
	s_mov_b32 s23, exec_lo
	v_cmpx_lt_u32_e64 v19, v14
	s_cbranch_execz .LBB1610_450
; %bb.442:
	s_and_not1_b32 vcc_lo, exec_lo, s7
	s_cbranch_vccnz .LBB1610_448
; %bb.443:
	v_mul_lo_u32 v8, v20, s8
	v_mul_lo_u32 v9, v21, s9
	v_mad_u64_u32 v[2:3], null, v21, s8, 0
	v_mul_lo_u32 v25, v23, s8
	v_mul_lo_u32 v40, v24, s9
	v_mad_u64_u32 v[6:7], null, v24, s8, 0
	s_mov_b32 s24, 0
	s_mov_b64 s[20:21], s[8:9]
	s_delay_alu instid0(VALU_DEP_4) | instskip(NEXT) | instid1(VALU_DEP_2)
	v_add3_u32 v3, v3, v9, v8
                                        ; implicit-def: $sgpr25
                                        ; implicit-def: $sgpr26
                                        ; implicit-def: $sgpr27
                                        ; implicit-def: $sgpr28
                                        ; implicit-def: $sgpr29
	v_add3_u32 v7, v7, v40, v25
	s_delay_alu instid0(VALU_DEP_2) | instskip(NEXT) | instid1(VALU_DEP_2)
	v_lshlrev_b64 v[2:3], 3, v[2:3]
	v_lshlrev_b64 v[6:7], 3, v[6:7]
	s_delay_alu instid0(VALU_DEP_2) | instskip(NEXT) | instid1(VALU_DEP_3)
	v_add_co_u32 v2, vcc_lo, s10, v2
	v_add_co_ci_u32_e32 v3, vcc_lo, s11, v3, vcc_lo
	s_delay_alu instid0(VALU_DEP_3) | instskip(NEXT) | instid1(VALU_DEP_4)
	v_add_co_u32 v6, vcc_lo, s10, v6
	v_add_co_ci_u32_e32 v7, vcc_lo, s11, v7, vcc_lo
	s_set_inst_prefetch_distance 0x1
	s_branch .LBB1610_445
	.p2align	6
.LBB1610_444:                           ;   in Loop: Header=BB1610_445 Depth=1
	s_or_b32 exec_lo, exec_lo, s0
	s_delay_alu instid0(SALU_CYCLE_1) | instskip(NEXT) | instid1(SALU_CYCLE_1)
	s_and_b32 s0, exec_lo, s26
	s_or_b32 s24, s0, s24
	s_and_not1_b32 s0, s29, exec_lo
	s_and_b32 s29, s28, exec_lo
	s_and_not1_b32 s25, s25, exec_lo
	s_and_b32 s30, s27, exec_lo
	s_or_b32 s29, s0, s29
	s_or_b32 s25, s25, s30
	s_and_not1_b32 exec_lo, exec_lo, s24
	s_cbranch_execz .LBB1610_447
.LBB1610_445:                           ; =>This Inner Loop Header: Depth=1
	global_load_b64 v[8:9], v[2:3], off
	global_load_b64 v[40:41], v[6:7], off
	s_and_not1_b32 s27, s27, exec_lo
	s_and_not1_b32 s28, s28, exec_lo
	s_or_b32 s26, s26, exec_lo
	s_waitcnt vmcnt(0)
	v_cmp_le_u64_e32 vcc_lo, v[8:9], v[40:41]
	v_cmp_lt_u64_e64 s0, v[8:9], v[40:41]
	s_and_b32 s30, vcc_lo, s29
	s_delay_alu instid0(VALU_DEP_1) | instid1(SALU_CYCLE_1)
	s_or_b32 s30, s0, s30
	s_delay_alu instid0(SALU_CYCLE_1) | instskip(NEXT) | instid1(SALU_CYCLE_1)
	s_and_b32 s0, s30, exec_lo
	s_or_b32 s27, s27, s0
	s_mov_b32 s0, exec_lo
	v_cmpx_eq_u64_e64 v[8:9], v[40:41]
	s_cbranch_execz .LBB1610_444
; %bb.446:                              ;   in Loop: Header=BB1610_445 Depth=1
	s_add_u32 s20, s20, -1
	s_addc_u32 s21, s21, -1
	v_add_co_u32 v2, vcc_lo, v2, 8
	s_cmp_eq_u64 s[20:21], 0
	v_add_co_ci_u32_e32 v3, vcc_lo, 0, v3, vcc_lo
	v_add_co_u32 v6, vcc_lo, v6, 8
	s_cselect_b32 s29, -1, 0
	v_add_co_ci_u32_e32 v7, vcc_lo, 0, v7, vcc_lo
	s_and_not1_b32 s28, s28, exec_lo
	s_and_b32 s30, s30, exec_lo
	s_and_not1_b32 s26, s26, exec_lo
	s_and_b32 s29, s29, exec_lo
	s_or_b32 s28, s28, s30
	s_and_not1_b32 s27, s27, exec_lo
	s_or_b32 s26, s26, s29
                                        ; implicit-def: $sgpr29
	s_branch .LBB1610_444
.LBB1610_447:
	s_set_inst_prefetch_distance 0x2
	s_or_b32 exec_lo, exec_lo, s24
	s_xor_b32 s0, s25, -1
	s_branch .LBB1610_449
.LBB1610_448:
	s_mov_b32 s0, -1
.LBB1610_449:
	s_delay_alu instid0(SALU_CYCLE_1)
	s_and_b32 s0, s0, exec_lo
.LBB1610_450:
	s_or_b32 exec_lo, exec_lo, s23
	s_delay_alu instid0(SALU_CYCLE_1)
	s_or_not1_b32 s0, s0, exec_lo
.LBB1610_451:
	s_or_b32 exec_lo, exec_lo, s22
	v_cndmask_b32_e64 v2, v22, v19, s0
	v_cndmask_b32_e64 v3, v15, v14, s0
	;; [unrolled: 1-line block ×5, first 2 shown]
	v_add_nc_u32_e32 v25, 1, v2
	v_add_nc_u32_e32 v2, -1, v3
	v_cndmask_b32_e64 v3, v10, v17, s19
	v_cndmask_b32_e64 v4, v21, v24, s0
	s_mov_b32 s12, exec_lo
	v_cndmask_b32_e64 v10, v25, v22, s0
	v_min_u32_e32 v2, v25, v2
	s_delay_alu instid0(VALU_DEP_1)
	v_lshlrev_b32_e32 v2, 3, v2
	ds_load_b64 v[8:9], v2
	v_cndmask_b32_e64 v2, v11, v18, s19
	s_waitcnt lgkmcnt(0)
	v_cndmask_b32_e64 v7, v23, v9, s0
	v_cndmask_b32_e64 v6, v24, v8, s0
	v_cmpx_lt_u32_e64 v10, v15
	s_cbranch_execz .LBB1610_461
; %bb.452:
	v_cndmask_b32_e64 v10, v19, v25, s0
	v_cndmask_b32_e64 v9, v9, v20, s0
	;; [unrolled: 1-line block ×3, first 2 shown]
	s_mov_b32 s19, exec_lo
	s_delay_alu instid0(VALU_DEP_3)
	v_cmpx_lt_u32_e64 v10, v14
	s_cbranch_execz .LBB1610_460
; %bb.453:
	s_and_not1_b32 vcc_lo, exec_lo, s7
	s_cbranch_vccnz .LBB1610_459
; %bb.454:
	v_mul_lo_u32 v17, v9, s8
	v_mul_lo_u32 v18, v8, s9
	v_mad_u64_u32 v[10:11], null, v8, s8, 0
	v_mul_lo_u32 v19, v7, s8
	v_mul_lo_u32 v20, v6, s9
	v_mad_u64_u32 v[14:15], null, v6, s8, 0
	s_mov_b32 s22, 0
	s_mov_b64 s[20:21], s[8:9]
	s_delay_alu instid0(VALU_DEP_4) | instskip(NEXT) | instid1(VALU_DEP_2)
	v_add3_u32 v11, v11, v18, v17
                                        ; implicit-def: $sgpr23
                                        ; implicit-def: $sgpr24
                                        ; implicit-def: $sgpr25
                                        ; implicit-def: $sgpr26
                                        ; implicit-def: $sgpr27
	v_add3_u32 v15, v15, v20, v19
	s_delay_alu instid0(VALU_DEP_2) | instskip(NEXT) | instid1(VALU_DEP_2)
	v_lshlrev_b64 v[10:11], 3, v[10:11]
	v_lshlrev_b64 v[14:15], 3, v[14:15]
	s_delay_alu instid0(VALU_DEP_2) | instskip(NEXT) | instid1(VALU_DEP_3)
	v_add_co_u32 v10, vcc_lo, s10, v10
	v_add_co_ci_u32_e32 v11, vcc_lo, s11, v11, vcc_lo
	s_delay_alu instid0(VALU_DEP_3) | instskip(NEXT) | instid1(VALU_DEP_4)
	v_add_co_u32 v14, vcc_lo, s10, v14
	v_add_co_ci_u32_e32 v15, vcc_lo, s11, v15, vcc_lo
	s_set_inst_prefetch_distance 0x1
	s_branch .LBB1610_456
	.p2align	6
.LBB1610_455:                           ;   in Loop: Header=BB1610_456 Depth=1
	s_or_b32 exec_lo, exec_lo, s0
	s_delay_alu instid0(SALU_CYCLE_1) | instskip(NEXT) | instid1(SALU_CYCLE_1)
	s_and_b32 s0, exec_lo, s24
	s_or_b32 s22, s0, s22
	s_and_not1_b32 s0, s27, exec_lo
	s_and_b32 s27, s26, exec_lo
	s_and_not1_b32 s23, s23, exec_lo
	s_and_b32 s28, s25, exec_lo
	s_or_b32 s27, s0, s27
	s_or_b32 s23, s23, s28
	s_and_not1_b32 exec_lo, exec_lo, s22
	s_cbranch_execz .LBB1610_458
.LBB1610_456:                           ; =>This Inner Loop Header: Depth=1
	global_load_b64 v[17:18], v[10:11], off
	global_load_b64 v[19:20], v[14:15], off
	s_and_not1_b32 s25, s25, exec_lo
	s_and_not1_b32 s26, s26, exec_lo
	s_or_b32 s24, s24, exec_lo
	s_waitcnt vmcnt(0)
	v_cmp_le_u64_e32 vcc_lo, v[17:18], v[19:20]
	v_cmp_lt_u64_e64 s0, v[17:18], v[19:20]
	s_and_b32 s28, vcc_lo, s27
	s_delay_alu instid0(VALU_DEP_1) | instid1(SALU_CYCLE_1)
	s_or_b32 s28, s0, s28
	s_delay_alu instid0(SALU_CYCLE_1) | instskip(NEXT) | instid1(SALU_CYCLE_1)
	s_and_b32 s0, s28, exec_lo
	s_or_b32 s25, s25, s0
	s_mov_b32 s0, exec_lo
	v_cmpx_eq_u64_e64 v[17:18], v[19:20]
	s_cbranch_execz .LBB1610_455
; %bb.457:                              ;   in Loop: Header=BB1610_456 Depth=1
	s_add_u32 s20, s20, -1
	s_addc_u32 s21, s21, -1
	v_add_co_u32 v10, vcc_lo, v10, 8
	s_cmp_eq_u64 s[20:21], 0
	v_add_co_ci_u32_e32 v11, vcc_lo, 0, v11, vcc_lo
	v_add_co_u32 v14, vcc_lo, v14, 8
	s_cselect_b32 s27, -1, 0
	v_add_co_ci_u32_e32 v15, vcc_lo, 0, v15, vcc_lo
	s_and_not1_b32 s26, s26, exec_lo
	s_and_b32 s28, s28, exec_lo
	s_and_not1_b32 s24, s24, exec_lo
	s_and_b32 s27, s27, exec_lo
	s_or_b32 s26, s26, s28
	s_and_not1_b32 s25, s25, exec_lo
	s_or_b32 s24, s24, s27
                                        ; implicit-def: $sgpr27
	s_branch .LBB1610_455
.LBB1610_458:
	s_set_inst_prefetch_distance 0x2
	s_or_b32 exec_lo, exec_lo, s22
	v_cndmask_b32_e64 v7, v7, v9, s23
	v_cndmask_b32_e64 v6, v6, v8, s23
.LBB1610_459:
	s_delay_alu instid0(VALU_DEP_1)
	v_dual_mov_b32 v9, v7 :: v_dual_mov_b32 v8, v6
.LBB1610_460:
	s_or_b32 exec_lo, exec_lo, s19
	s_delay_alu instid0(VALU_DEP_1)
	v_dual_mov_b32 v6, v8 :: v_dual_mov_b32 v7, v9
.LBB1610_461:
	s_or_b32 exec_lo, exec_lo, s12
.LBB1610_462:
	s_delay_alu instid0(SALU_CYCLE_1) | instskip(SKIP_4) | instid1(VALU_DEP_2)
	s_or_b32 exec_lo, exec_lo, s1
	v_and_b32_e32 v18, 0xc00, v27
	v_and_b32_e32 v19, 0x3fc, v27
	s_mov_b32 s1, exec_lo
	s_barrier
	v_or_b32_e32 v8, 0x200, v18
	v_lshlrev_b32_e32 v17, 3, v18
	buffer_gl0_inv
	ds_store_b128 v16, v[0:3]
	ds_store_b128 v16, v[4:7] offset:16
	s_waitcnt lgkmcnt(0)
	v_min_u32_e32 v14, 0x400, v8
	s_barrier
	buffer_gl0_inv
	v_sub_nc_u32_e32 v8, 0x400, v14
	v_sub_nc_u32_e32 v9, v14, v18
	s_delay_alu instid0(VALU_DEP_2) | instskip(NEXT) | instid1(VALU_DEP_2)
	v_sub_nc_u32_e64 v15, v19, v8 clamp
	v_min_u32_e32 v20, v19, v9
	s_delay_alu instid0(VALU_DEP_1)
	v_cmpx_lt_u32_e64 v15, v20
	s_cbranch_execz .LBB1610_472
; %bb.463:
	v_lshlrev_b32_e32 v8, 3, v19
	s_lshl_b64 s[20:21], s[8:9], 3
	s_mov_b32 s12, 0
	s_delay_alu instid0(VALU_DEP_1)
	v_lshl_add_u32 v16, v14, 3, v8
	s_branch .LBB1610_466
.LBB1610_464:                           ;   in Loop: Header=BB1610_466 Depth=1
	s_set_inst_prefetch_distance 0x2
	s_or_b32 exec_lo, exec_lo, s19
.LBB1610_465:                           ;   in Loop: Header=BB1610_466 Depth=1
	s_delay_alu instid0(VALU_DEP_1) | instskip(SKIP_1) | instid1(VALU_DEP_2)
	v_add_nc_u32_e32 v8, 1, v21
	v_cndmask_b32_e64 v20, v20, v21, s24
	v_cndmask_b32_e64 v15, v8, v15, s24
	s_delay_alu instid0(VALU_DEP_1) | instskip(SKIP_1) | instid1(SALU_CYCLE_1)
	v_cmp_ge_u32_e32 vcc_lo, v15, v20
	s_or_b32 s12, vcc_lo, s12
	s_and_not1_b32 exec_lo, exec_lo, s12
	s_cbranch_execz .LBB1610_471
.LBB1610_466:                           ; =>This Loop Header: Depth=1
                                        ;     Child Loop BB1610_469 Depth 2
	v_add_nc_u32_e32 v8, v20, v15
	s_and_not1_b32 vcc_lo, exec_lo, s7
	s_mov_b32 s24, 0
	s_delay_alu instid0(VALU_DEP_1)
	v_lshrrev_b32_e32 v21, 1, v8
	s_cbranch_vccnz .LBB1610_465
; %bb.467:                              ;   in Loop: Header=BB1610_466 Depth=1
	s_delay_alu instid0(VALU_DEP_1) | instskip(SKIP_3) | instid1(VALU_DEP_2)
	v_not_b32_e32 v8, v21
	v_lshl_add_u32 v9, v21, 3, v17
	s_mov_b32 s19, 0
	s_mov_b64 s[22:23], s[8:9]
                                        ; implicit-def: $sgpr24
                                        ; implicit-def: $sgpr25
                                        ; implicit-def: $sgpr26
                                        ; implicit-def: $sgpr27
                                        ; implicit-def: $sgpr28
	v_lshl_add_u32 v8, v8, 3, v16
	ds_load_b64 v[10:11], v8
	ds_load_b64 v[22:23], v9
	s_waitcnt lgkmcnt(1)
	v_mul_lo_u32 v24, s20, v11
	v_mul_lo_u32 v25, s21, v10
	v_mad_u64_u32 v[8:9], null, s20, v10, s[10:11]
	s_waitcnt lgkmcnt(0)
	v_mul_lo_u32 v23, s20, v23
	v_mul_lo_u32 v40, s21, v22
	v_mad_u64_u32 v[10:11], null, s20, v22, s[10:11]
	s_delay_alu instid0(VALU_DEP_4) | instskip(NEXT) | instid1(VALU_DEP_2)
	v_add3_u32 v9, v25, v9, v24
	v_add3_u32 v11, v40, v11, v23
	s_set_inst_prefetch_distance 0x1
	s_branch .LBB1610_469
	.p2align	6
.LBB1610_468:                           ;   in Loop: Header=BB1610_469 Depth=2
	s_or_b32 exec_lo, exec_lo, s29
	s_delay_alu instid0(SALU_CYCLE_1) | instskip(NEXT) | instid1(SALU_CYCLE_1)
	s_and_b32 s0, exec_lo, s25
	s_or_b32 s19, s0, s19
	s_and_not1_b32 s0, s28, exec_lo
	s_and_b32 s28, s26, exec_lo
	s_and_not1_b32 s24, s24, exec_lo
	s_and_b32 s29, s27, exec_lo
	s_or_b32 s28, s0, s28
	s_or_b32 s24, s24, s29
	s_and_not1_b32 exec_lo, exec_lo, s19
	s_cbranch_execz .LBB1610_464
.LBB1610_469:                           ;   Parent Loop BB1610_466 Depth=1
                                        ; =>  This Inner Loop Header: Depth=2
	global_load_b64 v[22:23], v[8:9], off
	global_load_b64 v[24:25], v[10:11], off
	s_and_not1_b32 s27, s27, exec_lo
	s_and_not1_b32 s26, s26, exec_lo
	s_or_b32 s25, s25, exec_lo
	s_waitcnt vmcnt(0)
	v_cmp_le_u64_e32 vcc_lo, v[22:23], v[24:25]
	v_cmp_lt_u64_e64 s0, v[22:23], v[24:25]
	s_and_b32 s29, vcc_lo, s28
	s_delay_alu instid0(VALU_DEP_1) | instid1(SALU_CYCLE_1)
	s_or_b32 s0, s0, s29
	s_delay_alu instid0(SALU_CYCLE_1) | instskip(NEXT) | instid1(SALU_CYCLE_1)
	s_and_b32 s29, s0, exec_lo
	s_or_b32 s27, s27, s29
	s_mov_b32 s29, exec_lo
	v_cmpx_eq_u64_e64 v[22:23], v[24:25]
	s_cbranch_execz .LBB1610_468
; %bb.470:                              ;   in Loop: Header=BB1610_469 Depth=2
	s_add_u32 s22, s22, -1
	s_addc_u32 s23, s23, -1
	v_add_co_u32 v8, vcc_lo, v8, 8
	v_add_co_ci_u32_e32 v9, vcc_lo, 0, v9, vcc_lo
	s_cmp_eq_u64 s[22:23], 0
	v_add_co_u32 v10, vcc_lo, v10, 8
	s_cselect_b32 s28, -1, 0
	v_add_co_ci_u32_e32 v11, vcc_lo, 0, v11, vcc_lo
	s_and_not1_b32 s26, s26, exec_lo
	s_and_b32 s0, s0, exec_lo
	s_and_not1_b32 s25, s25, exec_lo
	s_and_b32 s28, s28, exec_lo
	s_and_not1_b32 s27, s27, exec_lo
	s_or_b32 s26, s26, s0
	s_or_b32 s25, s25, s28
                                        ; implicit-def: $sgpr28
	s_branch .LBB1610_468
.LBB1610_471:
	s_or_b32 exec_lo, exec_lo, s12
.LBB1610_472:
	s_delay_alu instid0(SALU_CYCLE_1) | instskip(SKIP_2) | instid1(VALU_DEP_2)
	s_or_b32 exec_lo, exec_lo, s1
	v_sub_nc_u32_e32 v8, v19, v15
	v_add_nc_u32_e32 v9, v15, v18
	v_add_nc_u32_e32 v10, v8, v14
	s_delay_alu instid0(VALU_DEP_2) | instskip(NEXT) | instid1(VALU_DEP_2)
	v_cmp_le_u32_e32 vcc_lo, v9, v14
	v_cmp_gt_u32_e64 s0, 0x401, v10
	s_delay_alu instid0(VALU_DEP_1) | instskip(NEXT) | instid1(SALU_CYCLE_1)
	s_or_b32 s0, vcc_lo, s0
	s_and_saveexec_b32 s1, s0
	s_cbranch_execz .LBB1610_519
; %bb.473:
	v_cmp_ge_u32_e32 vcc_lo, v9, v14
	s_mov_b32 s12, exec_lo
                                        ; implicit-def: $vgpr0_vgpr1
	v_cmpx_lt_u32_e64 v9, v14
	s_cbranch_execz .LBB1610_475
; %bb.474:
	v_lshl_add_u32 v0, v15, 3, v17
	ds_load_b64 v[0:1], v0
.LBB1610_475:
	s_or_b32 exec_lo, exec_lo, s12
	v_cmp_lt_u32_e64 s12, 0x3ff, v10
	s_mov_b32 s19, exec_lo
                                        ; implicit-def: $vgpr4_vgpr5
	v_cmpx_gt_u32_e32 0x400, v10
	s_cbranch_execz .LBB1610_477
; %bb.476:
	v_lshlrev_b32_e32 v2, 3, v10
	ds_load_b64 v[4:5], v2
.LBB1610_477:
	s_or_b32 exec_lo, exec_lo, s19
	s_or_b32 s0, vcc_lo, s12
	s_mov_b32 s19, -1
	s_xor_b32 s0, s0, -1
	s_delay_alu instid0(SALU_CYCLE_1)
	s_and_saveexec_b32 s22, s0
	s_cbranch_execz .LBB1610_486
; %bb.478:
	s_and_not1_b32 vcc_lo, exec_lo, s7
	s_cbranch_vccnz .LBB1610_484
; %bb.479:
	s_waitcnt lgkmcnt(0)
	v_mul_lo_u32 v8, v5, s8
	v_mul_lo_u32 v11, v4, s9
	v_mad_u64_u32 v[2:3], null, v4, s8, 0
	v_mul_lo_u32 v15, v1, s8
	v_mul_lo_u32 v16, v0, s9
	v_mad_u64_u32 v[6:7], null, v0, s8, 0
	s_mov_b32 s23, 0
	s_mov_b64 s[20:21], s[8:9]
	s_delay_alu instid0(VALU_DEP_4) | instskip(NEXT) | instid1(VALU_DEP_2)
	v_add3_u32 v3, v3, v11, v8
                                        ; implicit-def: $sgpr24
                                        ; implicit-def: $sgpr25
                                        ; implicit-def: $sgpr26
                                        ; implicit-def: $sgpr27
                                        ; implicit-def: $sgpr28
	v_add3_u32 v7, v7, v16, v15
	s_delay_alu instid0(VALU_DEP_2) | instskip(NEXT) | instid1(VALU_DEP_2)
	v_lshlrev_b64 v[2:3], 3, v[2:3]
	v_lshlrev_b64 v[6:7], 3, v[6:7]
	s_delay_alu instid0(VALU_DEP_2) | instskip(NEXT) | instid1(VALU_DEP_3)
	v_add_co_u32 v2, vcc_lo, s10, v2
	v_add_co_ci_u32_e32 v3, vcc_lo, s11, v3, vcc_lo
	s_delay_alu instid0(VALU_DEP_3) | instskip(NEXT) | instid1(VALU_DEP_4)
	v_add_co_u32 v6, vcc_lo, s10, v6
	v_add_co_ci_u32_e32 v7, vcc_lo, s11, v7, vcc_lo
	s_set_inst_prefetch_distance 0x1
	s_branch .LBB1610_481
	.p2align	6
.LBB1610_480:                           ;   in Loop: Header=BB1610_481 Depth=1
	s_or_b32 exec_lo, exec_lo, s0
	s_delay_alu instid0(SALU_CYCLE_1) | instskip(NEXT) | instid1(SALU_CYCLE_1)
	s_and_b32 s0, exec_lo, s25
	s_or_b32 s23, s0, s23
	s_and_not1_b32 s0, s28, exec_lo
	s_and_b32 s28, s27, exec_lo
	s_and_not1_b32 s24, s24, exec_lo
	s_and_b32 s29, s26, exec_lo
	s_or_b32 s28, s0, s28
	s_or_b32 s24, s24, s29
	s_and_not1_b32 exec_lo, exec_lo, s23
	s_cbranch_execz .LBB1610_483
.LBB1610_481:                           ; =>This Inner Loop Header: Depth=1
	global_load_b64 v[15:16], v[2:3], off
	global_load_b64 v[17:18], v[6:7], off
	s_and_not1_b32 s26, s26, exec_lo
	s_and_not1_b32 s27, s27, exec_lo
	s_or_b32 s25, s25, exec_lo
	s_waitcnt vmcnt(0)
	v_cmp_le_u64_e32 vcc_lo, v[15:16], v[17:18]
	v_cmp_lt_u64_e64 s0, v[15:16], v[17:18]
	s_and_b32 s29, vcc_lo, s28
	s_delay_alu instid0(VALU_DEP_1) | instid1(SALU_CYCLE_1)
	s_or_b32 s29, s0, s29
	s_delay_alu instid0(SALU_CYCLE_1) | instskip(NEXT) | instid1(SALU_CYCLE_1)
	s_and_b32 s0, s29, exec_lo
	s_or_b32 s26, s26, s0
	s_mov_b32 s0, exec_lo
	v_cmpx_eq_u64_e64 v[15:16], v[17:18]
	s_cbranch_execz .LBB1610_480
; %bb.482:                              ;   in Loop: Header=BB1610_481 Depth=1
	s_add_u32 s20, s20, -1
	s_addc_u32 s21, s21, -1
	v_add_co_u32 v2, vcc_lo, v2, 8
	s_cmp_eq_u64 s[20:21], 0
	v_add_co_ci_u32_e32 v3, vcc_lo, 0, v3, vcc_lo
	v_add_co_u32 v6, vcc_lo, v6, 8
	s_cselect_b32 s28, -1, 0
	v_add_co_ci_u32_e32 v7, vcc_lo, 0, v7, vcc_lo
	s_and_not1_b32 s27, s27, exec_lo
	s_and_b32 s29, s29, exec_lo
	s_and_not1_b32 s25, s25, exec_lo
	s_and_b32 s28, s28, exec_lo
	s_or_b32 s27, s27, s29
	s_and_not1_b32 s26, s26, exec_lo
	s_or_b32 s25, s25, s28
                                        ; implicit-def: $sgpr28
	s_branch .LBB1610_480
.LBB1610_483:
	s_set_inst_prefetch_distance 0x2
	s_or_b32 exec_lo, exec_lo, s23
	s_xor_b32 s0, s24, -1
	s_branch .LBB1610_485
.LBB1610_484:
	s_mov_b32 s0, -1
.LBB1610_485:
	s_and_not1_b32 s12, s12, exec_lo
	s_and_b32 s0, s0, exec_lo
	s_delay_alu instid0(SALU_CYCLE_1)
	s_or_b32 s12, s12, s0
.LBB1610_486:
	s_or_b32 exec_lo, exec_lo, s22
	v_cndmask_b32_e64 v2, v10, v9, s12
	v_add_nc_u32_e32 v8, -1, v14
	s_mov_b32 s22, exec_lo
	s_delay_alu instid0(VALU_DEP_2) | instskip(NEXT) | instid1(VALU_DEP_2)
	v_add_nc_u32_e32 v6, 1, v2
	v_cndmask_b32_e64 v2, 0x3ff, v8, s12
	s_delay_alu instid0(VALU_DEP_2) | instskip(NEXT) | instid1(VALU_DEP_2)
	v_cndmask_b32_e64 v17, v6, v10, s12
	v_min_u32_e32 v2, v6, v2
	v_cndmask_b32_e64 v9, v9, v6, s12
	s_delay_alu instid0(VALU_DEP_2)
	v_lshlrev_b32_e32 v2, 3, v2
	ds_load_b64 v[2:3], v2
	s_waitcnt lgkmcnt(0)
	v_cndmask_b32_e64 v10, v3, v5, s12
	v_cndmask_b32_e64 v11, v2, v4, s12
	;; [unrolled: 1-line block ×4, first 2 shown]
	v_cmpx_gt_u32_e32 0x400, v17
	s_cbranch_execz .LBB1610_497
; %bb.487:
	s_mov_b32 s0, 0
	s_mov_b32 s19, exec_lo
	v_cmpx_lt_u32_e64 v9, v14
	s_cbranch_execz .LBB1610_496
; %bb.488:
	s_and_not1_b32 vcc_lo, exec_lo, s7
	s_cbranch_vccnz .LBB1610_494
; %bb.489:
	v_mul_lo_u32 v18, v10, s8
	v_mul_lo_u32 v19, v11, s9
	v_mad_u64_u32 v[2:3], null, v11, s8, 0
	v_mul_lo_u32 v20, v15, s8
	v_mul_lo_u32 v21, v16, s9
	v_mad_u64_u32 v[6:7], null, v16, s8, 0
	s_mov_b32 s23, 0
	s_mov_b64 s[20:21], s[8:9]
	s_delay_alu instid0(VALU_DEP_4) | instskip(NEXT) | instid1(VALU_DEP_2)
	v_add3_u32 v3, v3, v19, v18
                                        ; implicit-def: $sgpr24
                                        ; implicit-def: $sgpr25
                                        ; implicit-def: $sgpr26
                                        ; implicit-def: $sgpr27
                                        ; implicit-def: $sgpr28
	v_add3_u32 v7, v7, v21, v20
	s_delay_alu instid0(VALU_DEP_2) | instskip(NEXT) | instid1(VALU_DEP_2)
	v_lshlrev_b64 v[2:3], 3, v[2:3]
	v_lshlrev_b64 v[6:7], 3, v[6:7]
	s_delay_alu instid0(VALU_DEP_2) | instskip(NEXT) | instid1(VALU_DEP_3)
	v_add_co_u32 v2, vcc_lo, s10, v2
	v_add_co_ci_u32_e32 v3, vcc_lo, s11, v3, vcc_lo
	s_delay_alu instid0(VALU_DEP_3) | instskip(NEXT) | instid1(VALU_DEP_4)
	v_add_co_u32 v6, vcc_lo, s10, v6
	v_add_co_ci_u32_e32 v7, vcc_lo, s11, v7, vcc_lo
	s_set_inst_prefetch_distance 0x1
	s_branch .LBB1610_491
	.p2align	6
.LBB1610_490:                           ;   in Loop: Header=BB1610_491 Depth=1
	s_or_b32 exec_lo, exec_lo, s0
	s_delay_alu instid0(SALU_CYCLE_1) | instskip(NEXT) | instid1(SALU_CYCLE_1)
	s_and_b32 s0, exec_lo, s25
	s_or_b32 s23, s0, s23
	s_and_not1_b32 s0, s28, exec_lo
	s_and_b32 s28, s27, exec_lo
	s_and_not1_b32 s24, s24, exec_lo
	s_and_b32 s29, s26, exec_lo
	s_or_b32 s28, s0, s28
	s_or_b32 s24, s24, s29
	s_and_not1_b32 exec_lo, exec_lo, s23
	s_cbranch_execz .LBB1610_493
.LBB1610_491:                           ; =>This Inner Loop Header: Depth=1
	global_load_b64 v[18:19], v[2:3], off
	global_load_b64 v[20:21], v[6:7], off
	s_and_not1_b32 s26, s26, exec_lo
	s_and_not1_b32 s27, s27, exec_lo
	s_or_b32 s25, s25, exec_lo
	s_waitcnt vmcnt(0)
	v_cmp_le_u64_e32 vcc_lo, v[18:19], v[20:21]
	v_cmp_lt_u64_e64 s0, v[18:19], v[20:21]
	s_and_b32 s29, vcc_lo, s28
	s_delay_alu instid0(VALU_DEP_1) | instid1(SALU_CYCLE_1)
	s_or_b32 s29, s0, s29
	s_delay_alu instid0(SALU_CYCLE_1) | instskip(NEXT) | instid1(SALU_CYCLE_1)
	s_and_b32 s0, s29, exec_lo
	s_or_b32 s26, s26, s0
	s_mov_b32 s0, exec_lo
	v_cmpx_eq_u64_e64 v[18:19], v[20:21]
	s_cbranch_execz .LBB1610_490
; %bb.492:                              ;   in Loop: Header=BB1610_491 Depth=1
	s_add_u32 s20, s20, -1
	s_addc_u32 s21, s21, -1
	v_add_co_u32 v2, vcc_lo, v2, 8
	s_cmp_eq_u64 s[20:21], 0
	v_add_co_ci_u32_e32 v3, vcc_lo, 0, v3, vcc_lo
	v_add_co_u32 v6, vcc_lo, v6, 8
	s_cselect_b32 s28, -1, 0
	v_add_co_ci_u32_e32 v7, vcc_lo, 0, v7, vcc_lo
	s_and_not1_b32 s27, s27, exec_lo
	s_and_b32 s29, s29, exec_lo
	s_and_not1_b32 s25, s25, exec_lo
	s_and_b32 s28, s28, exec_lo
	s_or_b32 s27, s27, s29
	s_and_not1_b32 s26, s26, exec_lo
	s_or_b32 s25, s25, s28
                                        ; implicit-def: $sgpr28
	s_branch .LBB1610_490
.LBB1610_493:
	s_set_inst_prefetch_distance 0x2
	s_or_b32 exec_lo, exec_lo, s23
	s_xor_b32 s0, s24, -1
	s_branch .LBB1610_495
.LBB1610_494:
	s_mov_b32 s0, -1
.LBB1610_495:
	s_delay_alu instid0(SALU_CYCLE_1)
	s_and_b32 s0, s0, exec_lo
.LBB1610_496:
	s_or_b32 exec_lo, exec_lo, s19
	s_delay_alu instid0(SALU_CYCLE_1)
	s_or_not1_b32 s19, s0, exec_lo
.LBB1610_497:
	s_or_b32 exec_lo, exec_lo, s22
	v_cndmask_b32_e64 v2, v17, v9, s19
	v_cndmask_b32_e64 v3, 0x3ff, v8, s19
	s_mov_b32 s0, -1
	s_mov_b32 s22, exec_lo
	s_delay_alu instid0(VALU_DEP_2) | instskip(NEXT) | instid1(VALU_DEP_1)
	v_add_nc_u32_e32 v6, 1, v2
	v_min_u32_e32 v2, v6, v3
	v_cndmask_b32_e64 v20, v6, v17, s19
	v_cndmask_b32_e64 v17, v9, v6, s19
	s_delay_alu instid0(VALU_DEP_3)
	v_lshlrev_b32_e32 v2, 3, v2
	ds_load_b64 v[2:3], v2
	s_waitcnt lgkmcnt(0)
	v_cndmask_b32_e64 v18, v3, v10, s19
	v_cndmask_b32_e64 v19, v2, v11, s19
	;; [unrolled: 1-line block ×4, first 2 shown]
	v_cmpx_gt_u32_e32 0x400, v20
	s_cbranch_execz .LBB1610_508
; %bb.498:
	s_mov_b32 s0, 0
	s_mov_b32 s23, exec_lo
	v_cmpx_lt_u32_e64 v17, v14
	s_cbranch_execz .LBB1610_507
; %bb.499:
	s_and_not1_b32 vcc_lo, exec_lo, s7
	s_cbranch_vccnz .LBB1610_505
; %bb.500:
	v_mul_lo_u32 v9, v18, s8
	v_mul_lo_u32 v23, v19, s9
	v_mad_u64_u32 v[2:3], null, v19, s8, 0
	v_mul_lo_u32 v24, v21, s8
	v_mul_lo_u32 v25, v22, s9
	v_mad_u64_u32 v[6:7], null, v22, s8, 0
	s_mov_b32 s24, 0
	s_mov_b64 s[20:21], s[8:9]
	s_delay_alu instid0(VALU_DEP_4) | instskip(NEXT) | instid1(VALU_DEP_2)
	v_add3_u32 v3, v3, v23, v9
                                        ; implicit-def: $sgpr25
                                        ; implicit-def: $sgpr26
                                        ; implicit-def: $sgpr27
                                        ; implicit-def: $sgpr28
                                        ; implicit-def: $sgpr29
	v_add3_u32 v7, v7, v25, v24
	s_delay_alu instid0(VALU_DEP_2) | instskip(NEXT) | instid1(VALU_DEP_2)
	v_lshlrev_b64 v[2:3], 3, v[2:3]
	v_lshlrev_b64 v[6:7], 3, v[6:7]
	s_delay_alu instid0(VALU_DEP_2) | instskip(NEXT) | instid1(VALU_DEP_3)
	v_add_co_u32 v2, vcc_lo, s10, v2
	v_add_co_ci_u32_e32 v3, vcc_lo, s11, v3, vcc_lo
	s_delay_alu instid0(VALU_DEP_3) | instskip(NEXT) | instid1(VALU_DEP_4)
	v_add_co_u32 v6, vcc_lo, s10, v6
	v_add_co_ci_u32_e32 v7, vcc_lo, s11, v7, vcc_lo
	s_set_inst_prefetch_distance 0x1
	s_branch .LBB1610_502
	.p2align	6
.LBB1610_501:                           ;   in Loop: Header=BB1610_502 Depth=1
	s_or_b32 exec_lo, exec_lo, s0
	s_delay_alu instid0(SALU_CYCLE_1) | instskip(NEXT) | instid1(SALU_CYCLE_1)
	s_and_b32 s0, exec_lo, s26
	s_or_b32 s24, s0, s24
	s_and_not1_b32 s0, s29, exec_lo
	s_and_b32 s29, s28, exec_lo
	s_and_not1_b32 s25, s25, exec_lo
	s_and_b32 s30, s27, exec_lo
	s_or_b32 s29, s0, s29
	s_or_b32 s25, s25, s30
	s_and_not1_b32 exec_lo, exec_lo, s24
	s_cbranch_execz .LBB1610_504
.LBB1610_502:                           ; =>This Inner Loop Header: Depth=1
	global_load_b64 v[23:24], v[2:3], off
	global_load_b64 v[40:41], v[6:7], off
	s_and_not1_b32 s27, s27, exec_lo
	s_and_not1_b32 s28, s28, exec_lo
	s_or_b32 s26, s26, exec_lo
	s_waitcnt vmcnt(0)
	v_cmp_le_u64_e32 vcc_lo, v[23:24], v[40:41]
	v_cmp_lt_u64_e64 s0, v[23:24], v[40:41]
	s_and_b32 s30, vcc_lo, s29
	s_delay_alu instid0(VALU_DEP_1) | instid1(SALU_CYCLE_1)
	s_or_b32 s30, s0, s30
	s_delay_alu instid0(SALU_CYCLE_1) | instskip(NEXT) | instid1(SALU_CYCLE_1)
	s_and_b32 s0, s30, exec_lo
	s_or_b32 s27, s27, s0
	s_mov_b32 s0, exec_lo
	v_cmpx_eq_u64_e64 v[23:24], v[40:41]
	s_cbranch_execz .LBB1610_501
; %bb.503:                              ;   in Loop: Header=BB1610_502 Depth=1
	s_add_u32 s20, s20, -1
	s_addc_u32 s21, s21, -1
	v_add_co_u32 v2, vcc_lo, v2, 8
	s_cmp_eq_u64 s[20:21], 0
	v_add_co_ci_u32_e32 v3, vcc_lo, 0, v3, vcc_lo
	v_add_co_u32 v6, vcc_lo, v6, 8
	s_cselect_b32 s29, -1, 0
	v_add_co_ci_u32_e32 v7, vcc_lo, 0, v7, vcc_lo
	s_and_not1_b32 s28, s28, exec_lo
	s_and_b32 s30, s30, exec_lo
	s_and_not1_b32 s26, s26, exec_lo
	s_and_b32 s29, s29, exec_lo
	s_or_b32 s28, s28, s30
	s_and_not1_b32 s27, s27, exec_lo
	s_or_b32 s26, s26, s29
                                        ; implicit-def: $sgpr29
	s_branch .LBB1610_501
.LBB1610_504:
	s_set_inst_prefetch_distance 0x2
	s_or_b32 exec_lo, exec_lo, s24
	s_xor_b32 s0, s25, -1
	s_branch .LBB1610_506
.LBB1610_505:
	s_mov_b32 s0, -1
.LBB1610_506:
	s_delay_alu instid0(SALU_CYCLE_1)
	s_and_b32 s0, s0, exec_lo
.LBB1610_507:
	s_or_b32 exec_lo, exec_lo, s23
	s_delay_alu instid0(SALU_CYCLE_1)
	s_or_not1_b32 s0, s0, exec_lo
.LBB1610_508:
	s_or_b32 exec_lo, exec_lo, s22
	v_cndmask_b32_e64 v2, v20, v17, s0
	v_cndmask_b32_e64 v3, 0x3ff, v8, s0
	;; [unrolled: 1-line block ×5, first 2 shown]
	v_add_nc_u32_e32 v23, 1, v2
	v_cndmask_b32_e64 v4, v19, v22, s0
	s_mov_b32 s12, exec_lo
	s_delay_alu instid0(VALU_DEP_2) | instskip(SKIP_2) | instid1(VALU_DEP_3)
	v_min_u32_e32 v2, v23, v3
	v_cndmask_b32_e64 v3, v10, v15, s19
	v_cndmask_b32_e64 v10, v23, v20, s0
	v_lshlrev_b32_e32 v2, 3, v2
	ds_load_b64 v[8:9], v2
	v_cndmask_b32_e64 v2, v11, v16, s19
	s_waitcnt lgkmcnt(0)
	v_cndmask_b32_e64 v7, v21, v9, s0
	v_cndmask_b32_e64 v6, v22, v8, s0
	v_cmpx_gt_u32_e32 0x400, v10
	s_cbranch_execz .LBB1610_518
; %bb.509:
	v_cndmask_b32_e64 v10, v17, v23, s0
	v_cndmask_b32_e64 v9, v9, v18, s0
	;; [unrolled: 1-line block ×3, first 2 shown]
	s_mov_b32 s19, exec_lo
	s_delay_alu instid0(VALU_DEP_3)
	v_cmpx_lt_u32_e64 v10, v14
	s_cbranch_execz .LBB1610_517
; %bb.510:
	s_and_not1_b32 vcc_lo, exec_lo, s7
	s_cbranch_vccnz .LBB1610_516
; %bb.511:
	v_mul_lo_u32 v16, v9, s8
	v_mul_lo_u32 v17, v8, s9
	v_mad_u64_u32 v[10:11], null, v8, s8, 0
	v_mul_lo_u32 v18, v7, s8
	v_mul_lo_u32 v19, v6, s9
	v_mad_u64_u32 v[14:15], null, v6, s8, 0
	s_mov_b32 s7, 0
	s_mov_b64 s[20:21], s[8:9]
	s_delay_alu instid0(VALU_DEP_4) | instskip(NEXT) | instid1(VALU_DEP_2)
	v_add3_u32 v11, v11, v17, v16
                                        ; implicit-def: $sgpr22
                                        ; implicit-def: $sgpr23
                                        ; implicit-def: $sgpr24
                                        ; implicit-def: $sgpr25
                                        ; implicit-def: $sgpr26
	v_add3_u32 v15, v15, v19, v18
	s_delay_alu instid0(VALU_DEP_2) | instskip(NEXT) | instid1(VALU_DEP_2)
	v_lshlrev_b64 v[10:11], 3, v[10:11]
	v_lshlrev_b64 v[14:15], 3, v[14:15]
	s_delay_alu instid0(VALU_DEP_2) | instskip(NEXT) | instid1(VALU_DEP_3)
	v_add_co_u32 v10, vcc_lo, s10, v10
	v_add_co_ci_u32_e32 v11, vcc_lo, s11, v11, vcc_lo
	s_delay_alu instid0(VALU_DEP_3) | instskip(NEXT) | instid1(VALU_DEP_4)
	v_add_co_u32 v14, vcc_lo, s10, v14
	v_add_co_ci_u32_e32 v15, vcc_lo, s11, v15, vcc_lo
	s_set_inst_prefetch_distance 0x1
	s_branch .LBB1610_513
	.p2align	6
.LBB1610_512:                           ;   in Loop: Header=BB1610_513 Depth=1
	s_or_b32 exec_lo, exec_lo, s0
	s_delay_alu instid0(SALU_CYCLE_1) | instskip(NEXT) | instid1(SALU_CYCLE_1)
	s_and_b32 s0, exec_lo, s23
	s_or_b32 s7, s0, s7
	s_and_not1_b32 s0, s26, exec_lo
	s_and_b32 s26, s25, exec_lo
	s_and_not1_b32 s22, s22, exec_lo
	s_and_b32 s27, s24, exec_lo
	s_or_b32 s26, s0, s26
	s_or_b32 s22, s22, s27
	s_and_not1_b32 exec_lo, exec_lo, s7
	s_cbranch_execz .LBB1610_515
.LBB1610_513:                           ; =>This Inner Loop Header: Depth=1
	global_load_b64 v[16:17], v[10:11], off
	global_load_b64 v[18:19], v[14:15], off
	s_and_not1_b32 s24, s24, exec_lo
	s_and_not1_b32 s25, s25, exec_lo
	s_or_b32 s23, s23, exec_lo
	s_waitcnt vmcnt(0)
	v_cmp_le_u64_e32 vcc_lo, v[16:17], v[18:19]
	v_cmp_lt_u64_e64 s0, v[16:17], v[18:19]
	s_and_b32 s27, vcc_lo, s26
	s_delay_alu instid0(VALU_DEP_1) | instid1(SALU_CYCLE_1)
	s_or_b32 s27, s0, s27
	s_delay_alu instid0(SALU_CYCLE_1) | instskip(NEXT) | instid1(SALU_CYCLE_1)
	s_and_b32 s0, s27, exec_lo
	s_or_b32 s24, s24, s0
	s_mov_b32 s0, exec_lo
	v_cmpx_eq_u64_e64 v[16:17], v[18:19]
	s_cbranch_execz .LBB1610_512
; %bb.514:                              ;   in Loop: Header=BB1610_513 Depth=1
	s_add_u32 s20, s20, -1
	s_addc_u32 s21, s21, -1
	v_add_co_u32 v10, vcc_lo, v10, 8
	s_cmp_eq_u64 s[20:21], 0
	v_add_co_ci_u32_e32 v11, vcc_lo, 0, v11, vcc_lo
	v_add_co_u32 v14, vcc_lo, v14, 8
	s_cselect_b32 s26, -1, 0
	v_add_co_ci_u32_e32 v15, vcc_lo, 0, v15, vcc_lo
	s_and_not1_b32 s25, s25, exec_lo
	s_and_b32 s27, s27, exec_lo
	s_and_not1_b32 s23, s23, exec_lo
	s_and_b32 s26, s26, exec_lo
	s_or_b32 s25, s25, s27
	s_and_not1_b32 s24, s24, exec_lo
	s_or_b32 s23, s23, s26
                                        ; implicit-def: $sgpr26
	s_branch .LBB1610_512
.LBB1610_515:
	s_set_inst_prefetch_distance 0x2
	s_or_b32 exec_lo, exec_lo, s7
	v_cndmask_b32_e64 v7, v7, v9, s22
	v_cndmask_b32_e64 v6, v6, v8, s22
.LBB1610_516:
	s_delay_alu instid0(VALU_DEP_1)
	v_dual_mov_b32 v9, v7 :: v_dual_mov_b32 v8, v6
.LBB1610_517:
	s_or_b32 exec_lo, exec_lo, s19
	s_delay_alu instid0(VALU_DEP_1)
	v_dual_mov_b32 v6, v8 :: v_dual_mov_b32 v7, v9
.LBB1610_518:
	s_or_b32 exec_lo, exec_lo, s12
.LBB1610_519:
	s_delay_alu instid0(SALU_CYCLE_1)
	s_or_b32 exec_lo, exec_lo, s1
	s_barrier
	buffer_gl0_inv
	s_barrier
	buffer_gl0_inv
	ds_store_2addr_b64 v39, v[0:1], v[2:3] offset1:1
	ds_store_2addr_b64 v39, v[4:5], v[6:7] offset0:2 offset1:3
	s_waitcnt lgkmcnt(0)
	s_barrier
	buffer_gl0_inv
	ds_load_b64 v[2:3], v38 offset:2048
	ds_load_b64 v[4:5], v35
	ds_load_b64 v[6:7], v36 offset:4096
	ds_load_b64 v[0:1], v37 offset:6144
	v_add_co_u32 v8, s0, s14, v26
	s_delay_alu instid0(VALU_DEP_1) | instskip(NEXT) | instid1(VALU_DEP_2)
	v_add_co_ci_u32_e64 v9, null, s15, 0, s0
	v_add_co_u32 v8, vcc_lo, 0x1000, v8
	s_delay_alu instid0(VALU_DEP_2)
	v_add_co_ci_u32_e32 v9, vcc_lo, 0, v9, vcc_lo
	s_mov_b32 s19, -1
	s_waitcnt lgkmcnt(3)
	global_store_b64 v26, v[2:3], s[14:15] offset:2048
	s_waitcnt lgkmcnt(2)
	global_store_b64 v26, v[4:5], s[14:15]
	s_waitcnt lgkmcnt(1)
	global_store_b64 v[8:9], v[6:7], off
	s_branch .LBB1610_876
.LBB1610_520:
	s_lshl_b64 s[0:1], s[2:3], 10
                                        ; implicit-def: $vgpr0_vgpr1_vgpr2_vgpr3_vgpr4_vgpr5_vgpr6_vgpr7
	s_delay_alu instid0(SALU_CYCLE_1) | instskip(NEXT) | instid1(SALU_CYCLE_1)
	s_sub_i32 s18, s18, s0
	v_cmp_gt_u32_e64 s0, s18, v12
	s_delay_alu instid0(VALU_DEP_1)
	s_and_saveexec_b32 s1, s0
	s_cbranch_execnz .LBB1610_531
; %bb.521:
	s_or_b32 exec_lo, exec_lo, s1
	v_cmp_gt_u32_e64 s1, s18, v34
	s_delay_alu instid0(VALU_DEP_1)
	s_and_saveexec_b32 s2, s1
	s_cbranch_execnz .LBB1610_532
.LBB1610_522:
	s_or_b32 exec_lo, exec_lo, s2
	v_cmp_gt_u32_e64 s2, s18, v33
	s_delay_alu instid0(VALU_DEP_1)
	s_and_saveexec_b32 s3, s2
	s_cbranch_execnz .LBB1610_533
.LBB1610_523:
	s_or_b32 exec_lo, exec_lo, s3
	v_cmp_gt_u32_e64 s19, s18, v32
	s_delay_alu instid0(VALU_DEP_1)
	s_and_saveexec_b32 s3, s19
	s_cbranch_execz .LBB1610_525
.LBB1610_524:
	v_lshlrev_b32_e32 v6, 3, v32
	global_load_b64 v[6:7], v6, s[16:17]
.LBB1610_525:
	s_or_b32 exec_lo, exec_lo, s3
	v_lshrrev_b32_e32 v8, 2, v34
	v_lshrrev_b32_e32 v9, 2, v33
	;; [unrolled: 1-line block ×3, first 2 shown]
	v_and_b32_e32 v11, 0xf8, v31
	v_add_lshl_u32 v17, v30, v27, 3
	v_and_b32_e32 v8, 0x1f8, v8
	v_and_b32_e32 v9, 0x1f8, v9
	;; [unrolled: 1-line block ×3, first 2 shown]
	v_cmp_gt_i64_e64 s16, s[8:9], 0
	s_delay_alu instid0(VALU_DEP_4)
	v_dual_mov_b32 v8, 0 :: v_dual_add_nc_u32 v13, v8, v26
	v_add_nc_u32_e32 v14, v11, v26
	v_add_nc_u32_e32 v15, v9, v26
	;; [unrolled: 1-line block ×3, first 2 shown]
	s_waitcnt vmcnt(0) lgkmcnt(0)
	ds_store_b64 v14, v[0:1]
	ds_store_b64 v13, v[2:3] offset:2048
	ds_store_b64 v15, v[4:5] offset:4096
	;; [unrolled: 1-line block ×3, first 2 shown]
	s_waitcnt lgkmcnt(0)
	s_waitcnt_vscnt null, 0x0
	s_barrier
	buffer_gl0_inv
	ds_load_2addr_b64 v[0:3], v17 offset1:1
	ds_load_2addr_b64 v[4:7], v17 offset0:2 offset1:3
	s_waitcnt lgkmcnt(0)
	s_barrier
	buffer_gl0_inv
	s_load_b32 s3, s[4:5], 0xc
	s_waitcnt lgkmcnt(0)
	s_lshr_b32 s3, s3, 16
	s_cmp_lt_u32 s13, s6
	v_mad_u32_u24 v9, v29, s3, v28
	s_cselect_b32 s6, 12, 18
	s_delay_alu instid0(SALU_CYCLE_1) | instskip(SKIP_4) | instid1(VALU_DEP_1)
	s_add_u32 s4, s4, s6
	s_addc_u32 s5, s5, 0
	global_load_u16 v8, v8, s[4:5]
	s_waitcnt vmcnt(0)
	v_mul_lo_u32 v8, v9, v8
	v_add_lshl_u32 v18, v8, v12, 2
	s_delay_alu instid0(VALU_DEP_1) | instskip(NEXT) | instid1(VALU_DEP_1)
	v_sub_nc_u32_e64 v19, s18, v18 clamp
	v_cmp_lt_u32_e64 s3, 1, v19
	s_delay_alu instid0(VALU_DEP_1)
	s_and_saveexec_b32 s12, s3
	s_cbranch_execz .LBB1610_537
; %bb.526:
	s_and_not1_b32 vcc_lo, exec_lo, s16
	s_cbranch_vccnz .LBB1610_537
; %bb.527:
	v_mul_lo_u32 v20, v3, s8
	v_mul_lo_u32 v21, v2, s9
	v_mad_u64_u32 v[8:9], null, v2, s8, 0
	v_mul_lo_u32 v22, v1, s8
	v_mul_lo_u32 v23, v0, s9
	v_mad_u64_u32 v[10:11], null, v0, s8, 0
	s_mov_b32 s13, 0
	s_mov_b64 s[6:7], s[8:9]
	s_delay_alu instid0(VALU_DEP_4) | instskip(NEXT) | instid1(VALU_DEP_2)
	v_add3_u32 v9, v9, v21, v20
                                        ; implicit-def: $sgpr17
                                        ; implicit-def: $sgpr20
                                        ; implicit-def: $sgpr22
                                        ; implicit-def: $sgpr21
                                        ; implicit-def: $sgpr23
                                        ; implicit-def: $sgpr24
	v_add3_u32 v11, v11, v23, v22
	s_delay_alu instid0(VALU_DEP_2) | instskip(NEXT) | instid1(VALU_DEP_2)
	v_lshlrev_b64 v[8:9], 3, v[8:9]
	v_lshlrev_b64 v[10:11], 3, v[10:11]
	s_delay_alu instid0(VALU_DEP_2) | instskip(NEXT) | instid1(VALU_DEP_3)
	v_add_co_u32 v8, vcc_lo, s10, v8
	v_add_co_ci_u32_e32 v9, vcc_lo, s11, v9, vcc_lo
	s_delay_alu instid0(VALU_DEP_3) | instskip(NEXT) | instid1(VALU_DEP_4)
	v_add_co_u32 v10, vcc_lo, s10, v10
	v_add_co_ci_u32_e32 v11, vcc_lo, s11, v11, vcc_lo
	s_set_inst_prefetch_distance 0x1
	s_branch .LBB1610_529
	.p2align	6
.LBB1610_528:                           ;   in Loop: Header=BB1610_529 Depth=1
	s_or_b32 exec_lo, exec_lo, s25
	s_delay_alu instid0(SALU_CYCLE_1) | instskip(NEXT) | instid1(SALU_CYCLE_1)
	s_and_b32 s5, exec_lo, s22
	s_or_b32 s13, s5, s13
	s_and_not1_b32 s5, s24, exec_lo
	s_and_b32 s24, s23, exec_lo
	s_and_not1_b32 s20, s20, exec_lo
	s_or_b32 s24, s5, s24
	s_and_b32 s5, s21, exec_lo
	s_and_not1_b32 s17, s17, exec_lo
	s_and_b32 s4, s4, exec_lo
	s_or_b32 s20, s20, s5
	s_or_b32 s17, s17, s4
	s_and_not1_b32 exec_lo, exec_lo, s13
	s_cbranch_execz .LBB1610_534
.LBB1610_529:                           ; =>This Inner Loop Header: Depth=1
	global_load_b64 v[20:21], v[8:9], off
	global_load_b64 v[22:23], v[10:11], off
	s_and_not1_b32 s23, s23, exec_lo
	s_or_b32 s21, s21, exec_lo
	s_or_b32 s22, s22, exec_lo
	s_waitcnt vmcnt(0)
	v_cmp_le_u64_e32 vcc_lo, v[20:21], v[22:23]
	v_cmp_lt_u64_e64 s4, v[20:21], v[22:23]
	s_and_b32 s25, vcc_lo, s24
	s_delay_alu instid0(VALU_DEP_1) | instid1(SALU_CYCLE_1)
	s_or_b32 s4, s4, s25
	s_mov_b32 s25, exec_lo
	v_cmpx_eq_u64_e64 v[20:21], v[22:23]
	s_cbranch_execz .LBB1610_528
; %bb.530:                              ;   in Loop: Header=BB1610_529 Depth=1
	s_add_u32 s6, s6, -1
	s_addc_u32 s7, s7, -1
	v_add_co_u32 v8, vcc_lo, v8, 8
	s_cmp_eq_u64 s[6:7], 0
	v_add_co_ci_u32_e32 v9, vcc_lo, 0, v9, vcc_lo
	v_add_co_u32 v10, vcc_lo, v10, 8
	s_cselect_b32 s5, -1, 0
	v_add_co_ci_u32_e32 v11, vcc_lo, 0, v11, vcc_lo
	s_and_not1_b32 s23, s23, exec_lo
	s_and_b32 s24, s4, exec_lo
	s_and_not1_b32 s22, s22, exec_lo
	s_and_b32 s5, s5, exec_lo
	s_or_b32 s23, s23, s24
	s_and_not1_b32 s21, s21, exec_lo
	s_or_b32 s22, s22, s5
                                        ; implicit-def: $sgpr24
	s_branch .LBB1610_528
.LBB1610_531:
	s_waitcnt lgkmcnt(0)
	global_load_b64 v[0:1], v26, s[16:17]
	s_or_b32 exec_lo, exec_lo, s1
	v_cmp_gt_u32_e64 s1, s18, v34
	s_delay_alu instid0(VALU_DEP_1)
	s_and_saveexec_b32 s2, s1
	s_cbranch_execz .LBB1610_522
.LBB1610_532:
	global_load_b64 v[2:3], v26, s[16:17] offset:2048
	s_or_b32 exec_lo, exec_lo, s2
	v_cmp_gt_u32_e64 s2, s18, v33
	s_delay_alu instid0(VALU_DEP_1)
	s_and_saveexec_b32 s3, s2
	s_cbranch_execz .LBB1610_523
.LBB1610_533:
	v_lshlrev_b32_e32 v4, 3, v33
	global_load_b64 v[4:5], v4, s[16:17]
	s_or_b32 exec_lo, exec_lo, s3
	v_cmp_gt_u32_e64 s19, s18, v32
	s_delay_alu instid0(VALU_DEP_1)
	s_and_saveexec_b32 s3, s19
	s_cbranch_execnz .LBB1610_524
	s_branch .LBB1610_525
.LBB1610_534:
	s_set_inst_prefetch_distance 0x2
	s_or_b32 exec_lo, exec_lo, s13
	s_and_saveexec_b32 s4, s20
	s_delay_alu instid0(SALU_CYCLE_1)
	s_xor_b32 s4, exec_lo, s4
; %bb.535:
	v_cndmask_b32_e64 v28, v0, v2, s17
	v_cndmask_b32_e64 v31, v3, v1, s17
	;; [unrolled: 1-line block ×4, first 2 shown]
	v_dual_mov_b32 v32, v4 :: v_dual_mov_b32 v33, v5
	v_dual_mov_b32 v34, v6 :: v_dual_mov_b32 v35, v7
	s_delay_alu instid0(VALU_DEP_3) | instskip(SKIP_1) | instid1(VALU_DEP_4)
	v_dual_mov_b32 v0, v28 :: v_dual_mov_b32 v1, v29
	v_dual_mov_b32 v2, v30 :: v_dual_mov_b32 v3, v31
	;; [unrolled: 1-line block ×3, first 2 shown]
	s_delay_alu instid0(VALU_DEP_4)
	v_dual_mov_b32 v6, v34 :: v_dual_mov_b32 v7, v35
; %bb.536:
	s_or_b32 exec_lo, exec_lo, s4
.LBB1610_537:
	s_delay_alu instid0(SALU_CYCLE_1) | instskip(SKIP_1) | instid1(VALU_DEP_1)
	s_or_b32 exec_lo, exec_lo, s12
	v_cmp_lt_u32_e64 s4, 3, v19
	s_and_saveexec_b32 s7, s4
	s_cbranch_execz .LBB1610_546
; %bb.538:
	s_and_not1_b32 vcc_lo, exec_lo, s16
	s_cbranch_vccnz .LBB1610_546
; %bb.539:
	v_mul_lo_u32 v20, v7, s8
	v_mul_lo_u32 v21, v6, s9
	v_mad_u64_u32 v[8:9], null, v6, s8, 0
	v_mul_lo_u32 v22, v5, s8
	v_mul_lo_u32 v23, v4, s9
	v_mad_u64_u32 v[10:11], null, v4, s8, 0
	s_mov_b32 s20, 0
	s_mov_b64 s[12:13], s[8:9]
	s_delay_alu instid0(VALU_DEP_4) | instskip(NEXT) | instid1(VALU_DEP_2)
	v_add3_u32 v9, v9, v21, v20
                                        ; implicit-def: $sgpr17
                                        ; implicit-def: $sgpr21
                                        ; implicit-def: $sgpr23
                                        ; implicit-def: $sgpr22
                                        ; implicit-def: $sgpr24
                                        ; implicit-def: $sgpr25
	v_add3_u32 v11, v11, v23, v22
	s_delay_alu instid0(VALU_DEP_2) | instskip(NEXT) | instid1(VALU_DEP_2)
	v_lshlrev_b64 v[8:9], 3, v[8:9]
	v_lshlrev_b64 v[10:11], 3, v[10:11]
	s_delay_alu instid0(VALU_DEP_2) | instskip(NEXT) | instid1(VALU_DEP_3)
	v_add_co_u32 v8, vcc_lo, s10, v8
	v_add_co_ci_u32_e32 v9, vcc_lo, s11, v9, vcc_lo
	s_delay_alu instid0(VALU_DEP_3) | instskip(NEXT) | instid1(VALU_DEP_4)
	v_add_co_u32 v10, vcc_lo, s10, v10
	v_add_co_ci_u32_e32 v11, vcc_lo, s11, v11, vcc_lo
	s_set_inst_prefetch_distance 0x1
	s_branch .LBB1610_541
	.p2align	6
.LBB1610_540:                           ;   in Loop: Header=BB1610_541 Depth=1
	s_or_b32 exec_lo, exec_lo, s26
	s_delay_alu instid0(SALU_CYCLE_1) | instskip(NEXT) | instid1(SALU_CYCLE_1)
	s_and_b32 s6, exec_lo, s23
	s_or_b32 s20, s6, s20
	s_and_not1_b32 s6, s25, exec_lo
	s_and_b32 s25, s24, exec_lo
	s_and_not1_b32 s21, s21, exec_lo
	s_or_b32 s25, s6, s25
	s_and_b32 s6, s22, exec_lo
	s_and_not1_b32 s17, s17, exec_lo
	s_and_b32 s5, s5, exec_lo
	s_or_b32 s21, s21, s6
	s_or_b32 s17, s17, s5
	s_and_not1_b32 exec_lo, exec_lo, s20
	s_cbranch_execz .LBB1610_543
.LBB1610_541:                           ; =>This Inner Loop Header: Depth=1
	global_load_b64 v[20:21], v[8:9], off
	global_load_b64 v[22:23], v[10:11], off
	s_and_not1_b32 s24, s24, exec_lo
	s_or_b32 s22, s22, exec_lo
	s_or_b32 s23, s23, exec_lo
	s_waitcnt vmcnt(0)
	v_cmp_le_u64_e32 vcc_lo, v[20:21], v[22:23]
	v_cmp_lt_u64_e64 s5, v[20:21], v[22:23]
	s_and_b32 s26, vcc_lo, s25
	s_delay_alu instid0(VALU_DEP_1) | instid1(SALU_CYCLE_1)
	s_or_b32 s5, s5, s26
	s_mov_b32 s26, exec_lo
	v_cmpx_eq_u64_e64 v[20:21], v[22:23]
	s_cbranch_execz .LBB1610_540
; %bb.542:                              ;   in Loop: Header=BB1610_541 Depth=1
	s_add_u32 s12, s12, -1
	s_addc_u32 s13, s13, -1
	v_add_co_u32 v8, vcc_lo, v8, 8
	s_cmp_eq_u64 s[12:13], 0
	v_add_co_ci_u32_e32 v9, vcc_lo, 0, v9, vcc_lo
	v_add_co_u32 v10, vcc_lo, v10, 8
	s_cselect_b32 s6, -1, 0
	v_add_co_ci_u32_e32 v11, vcc_lo, 0, v11, vcc_lo
	s_and_not1_b32 s24, s24, exec_lo
	s_and_b32 s25, s5, exec_lo
	s_and_not1_b32 s23, s23, exec_lo
	s_and_b32 s6, s6, exec_lo
	s_or_b32 s24, s24, s25
	s_and_not1_b32 s22, s22, exec_lo
	s_or_b32 s23, s23, s6
                                        ; implicit-def: $sgpr25
	s_branch .LBB1610_540
.LBB1610_543:
	s_set_inst_prefetch_distance 0x2
	s_or_b32 exec_lo, exec_lo, s20
	s_and_saveexec_b32 s5, s21
	s_delay_alu instid0(SALU_CYCLE_1)
	s_xor_b32 s5, exec_lo, s5
; %bb.544:
	v_cndmask_b32_e64 v8, v6, v4, s17
	v_cndmask_b32_e64 v9, v7, v5, s17
	;; [unrolled: 1-line block ×4, first 2 shown]
	s_delay_alu instid0(VALU_DEP_3)
	v_dual_mov_b32 v6, v8 :: v_dual_mov_b32 v7, v9
; %bb.545:
	s_or_b32 exec_lo, exec_lo, s5
.LBB1610_546:
	s_delay_alu instid0(SALU_CYCLE_1) | instskip(SKIP_1) | instid1(VALU_DEP_1)
	s_or_b32 exec_lo, exec_lo, s7
	v_cmp_lt_u32_e64 s5, 2, v19
	s_and_saveexec_b32 s6, s5
	s_delay_alu instid0(SALU_CYCLE_1)
	s_xor_b32 s17, exec_lo, s6
	s_cbranch_execz .LBB1610_555
; %bb.547:
	s_and_not1_b32 vcc_lo, exec_lo, s16
	s_cbranch_vccnz .LBB1610_555
; %bb.548:
	v_mul_lo_u32 v19, v5, s8
	v_mul_lo_u32 v20, v4, s9
	v_mad_u64_u32 v[8:9], null, v4, s8, 0
	v_mul_lo_u32 v21, v3, s8
	v_mul_lo_u32 v22, v2, s9
	v_mad_u64_u32 v[10:11], null, v2, s8, 0
	s_mov_b32 s21, 0
	s_mov_b64 s[12:13], s[8:9]
	s_delay_alu instid0(VALU_DEP_4) | instskip(NEXT) | instid1(VALU_DEP_2)
	v_add3_u32 v9, v9, v20, v19
                                        ; implicit-def: $sgpr20
                                        ; implicit-def: $sgpr22
                                        ; implicit-def: $sgpr24
                                        ; implicit-def: $sgpr23
                                        ; implicit-def: $sgpr25
                                        ; implicit-def: $sgpr26
	v_add3_u32 v11, v11, v22, v21
	s_delay_alu instid0(VALU_DEP_2) | instskip(NEXT) | instid1(VALU_DEP_2)
	v_lshlrev_b64 v[8:9], 3, v[8:9]
	v_lshlrev_b64 v[10:11], 3, v[10:11]
	s_delay_alu instid0(VALU_DEP_2) | instskip(NEXT) | instid1(VALU_DEP_3)
	v_add_co_u32 v8, vcc_lo, s10, v8
	v_add_co_ci_u32_e32 v9, vcc_lo, s11, v9, vcc_lo
	s_delay_alu instid0(VALU_DEP_3) | instskip(NEXT) | instid1(VALU_DEP_4)
	v_add_co_u32 v10, vcc_lo, s10, v10
	v_add_co_ci_u32_e32 v11, vcc_lo, s11, v11, vcc_lo
	s_set_inst_prefetch_distance 0x1
	s_branch .LBB1610_550
	.p2align	6
.LBB1610_549:                           ;   in Loop: Header=BB1610_550 Depth=1
	s_or_b32 exec_lo, exec_lo, s27
	s_delay_alu instid0(SALU_CYCLE_1) | instskip(NEXT) | instid1(SALU_CYCLE_1)
	s_and_b32 s7, exec_lo, s24
	s_or_b32 s21, s7, s21
	s_and_not1_b32 s7, s26, exec_lo
	s_and_b32 s26, s25, exec_lo
	s_and_not1_b32 s22, s22, exec_lo
	s_or_b32 s26, s7, s26
	s_and_b32 s7, s23, exec_lo
	s_and_not1_b32 s20, s20, exec_lo
	s_and_b32 s6, s6, exec_lo
	s_or_b32 s22, s22, s7
	s_or_b32 s20, s20, s6
	s_and_not1_b32 exec_lo, exec_lo, s21
	s_cbranch_execz .LBB1610_552
.LBB1610_550:                           ; =>This Inner Loop Header: Depth=1
	global_load_b64 v[19:20], v[8:9], off
	global_load_b64 v[21:22], v[10:11], off
	s_and_not1_b32 s25, s25, exec_lo
	s_or_b32 s23, s23, exec_lo
	s_or_b32 s24, s24, exec_lo
	s_waitcnt vmcnt(0)
	v_cmp_le_u64_e32 vcc_lo, v[19:20], v[21:22]
	v_cmp_lt_u64_e64 s6, v[19:20], v[21:22]
	s_and_b32 s27, vcc_lo, s26
	s_delay_alu instid0(VALU_DEP_1) | instid1(SALU_CYCLE_1)
	s_or_b32 s6, s6, s27
	s_mov_b32 s27, exec_lo
	v_cmpx_eq_u64_e64 v[19:20], v[21:22]
	s_cbranch_execz .LBB1610_549
; %bb.551:                              ;   in Loop: Header=BB1610_550 Depth=1
	s_add_u32 s12, s12, -1
	s_addc_u32 s13, s13, -1
	v_add_co_u32 v8, vcc_lo, v8, 8
	s_cmp_eq_u64 s[12:13], 0
	v_add_co_ci_u32_e32 v9, vcc_lo, 0, v9, vcc_lo
	v_add_co_u32 v10, vcc_lo, v10, 8
	s_cselect_b32 s7, -1, 0
	v_add_co_ci_u32_e32 v11, vcc_lo, 0, v11, vcc_lo
	s_and_not1_b32 s25, s25, exec_lo
	s_and_b32 s26, s6, exec_lo
	s_and_not1_b32 s24, s24, exec_lo
	s_and_b32 s7, s7, exec_lo
	s_or_b32 s25, s25, s26
	s_and_not1_b32 s23, s23, exec_lo
	s_or_b32 s24, s24, s7
                                        ; implicit-def: $sgpr26
	s_branch .LBB1610_549
.LBB1610_552:
	s_set_inst_prefetch_distance 0x2
	s_or_b32 exec_lo, exec_lo, s21
	s_and_saveexec_b32 s6, s22
	s_delay_alu instid0(SALU_CYCLE_1)
	s_xor_b32 s6, exec_lo, s6
; %bb.553:
	v_cndmask_b32_e64 v8, v4, v2, s20
	v_cndmask_b32_e64 v9, v5, v3, s20
	;; [unrolled: 1-line block ×4, first 2 shown]
	s_delay_alu instid0(VALU_DEP_3)
	v_dual_mov_b32 v4, v8 :: v_dual_mov_b32 v5, v9
; %bb.554:
	s_or_b32 exec_lo, exec_lo, s6
.LBB1610_555:
	s_delay_alu instid0(SALU_CYCLE_1)
	s_or_b32 exec_lo, exec_lo, s17
	s_and_saveexec_b32 s7, s3
	s_cbranch_execz .LBB1610_564
; %bb.556:
	s_and_not1_b32 vcc_lo, exec_lo, s16
	s_cbranch_vccnz .LBB1610_564
; %bb.557:
	v_mul_lo_u32 v19, v3, s8
	v_mul_lo_u32 v20, v2, s9
	v_mad_u64_u32 v[8:9], null, v2, s8, 0
	v_mul_lo_u32 v21, v1, s8
	v_mul_lo_u32 v22, v0, s9
	v_mad_u64_u32 v[10:11], null, v0, s8, 0
	s_mov_b32 s17, 0
	s_mov_b64 s[12:13], s[8:9]
	s_delay_alu instid0(VALU_DEP_4) | instskip(NEXT) | instid1(VALU_DEP_2)
	v_add3_u32 v9, v9, v20, v19
                                        ; implicit-def: $sgpr20
                                        ; implicit-def: $sgpr21
                                        ; implicit-def: $sgpr23
                                        ; implicit-def: $sgpr22
                                        ; implicit-def: $sgpr24
                                        ; implicit-def: $sgpr25
	v_add3_u32 v11, v11, v22, v21
	s_delay_alu instid0(VALU_DEP_2) | instskip(NEXT) | instid1(VALU_DEP_2)
	v_lshlrev_b64 v[8:9], 3, v[8:9]
	v_lshlrev_b64 v[10:11], 3, v[10:11]
	s_delay_alu instid0(VALU_DEP_2) | instskip(NEXT) | instid1(VALU_DEP_3)
	v_add_co_u32 v8, vcc_lo, s10, v8
	v_add_co_ci_u32_e32 v9, vcc_lo, s11, v9, vcc_lo
	s_delay_alu instid0(VALU_DEP_3) | instskip(NEXT) | instid1(VALU_DEP_4)
	v_add_co_u32 v10, vcc_lo, s10, v10
	v_add_co_ci_u32_e32 v11, vcc_lo, s11, v11, vcc_lo
	s_set_inst_prefetch_distance 0x1
	s_branch .LBB1610_559
	.p2align	6
.LBB1610_558:                           ;   in Loop: Header=BB1610_559 Depth=1
	s_or_b32 exec_lo, exec_lo, s26
	s_delay_alu instid0(SALU_CYCLE_1) | instskip(NEXT) | instid1(SALU_CYCLE_1)
	s_and_b32 s6, exec_lo, s23
	s_or_b32 s17, s6, s17
	s_and_not1_b32 s6, s25, exec_lo
	s_and_b32 s25, s24, exec_lo
	s_and_not1_b32 s21, s21, exec_lo
	s_or_b32 s25, s6, s25
	s_and_b32 s6, s22, exec_lo
	s_and_not1_b32 s20, s20, exec_lo
	s_and_b32 s3, s3, exec_lo
	s_or_b32 s21, s21, s6
	s_or_b32 s20, s20, s3
	s_and_not1_b32 exec_lo, exec_lo, s17
	s_cbranch_execz .LBB1610_561
.LBB1610_559:                           ; =>This Inner Loop Header: Depth=1
	global_load_b64 v[19:20], v[8:9], off
	global_load_b64 v[21:22], v[10:11], off
	s_and_not1_b32 s24, s24, exec_lo
	s_or_b32 s22, s22, exec_lo
	s_or_b32 s23, s23, exec_lo
	s_waitcnt vmcnt(0)
	v_cmp_le_u64_e32 vcc_lo, v[19:20], v[21:22]
	v_cmp_lt_u64_e64 s3, v[19:20], v[21:22]
	s_and_b32 s26, vcc_lo, s25
	s_delay_alu instid0(VALU_DEP_1) | instid1(SALU_CYCLE_1)
	s_or_b32 s3, s3, s26
	s_mov_b32 s26, exec_lo
	v_cmpx_eq_u64_e64 v[19:20], v[21:22]
	s_cbranch_execz .LBB1610_558
; %bb.560:                              ;   in Loop: Header=BB1610_559 Depth=1
	s_add_u32 s12, s12, -1
	s_addc_u32 s13, s13, -1
	v_add_co_u32 v8, vcc_lo, v8, 8
	s_cmp_eq_u64 s[12:13], 0
	v_add_co_ci_u32_e32 v9, vcc_lo, 0, v9, vcc_lo
	v_add_co_u32 v10, vcc_lo, v10, 8
	s_cselect_b32 s6, -1, 0
	v_add_co_ci_u32_e32 v11, vcc_lo, 0, v11, vcc_lo
	s_and_not1_b32 s24, s24, exec_lo
	s_and_b32 s25, s3, exec_lo
	s_and_not1_b32 s23, s23, exec_lo
	s_and_b32 s6, s6, exec_lo
	s_or_b32 s24, s24, s25
	s_and_not1_b32 s22, s22, exec_lo
	s_or_b32 s23, s23, s6
                                        ; implicit-def: $sgpr25
	s_branch .LBB1610_558
.LBB1610_561:
	s_set_inst_prefetch_distance 0x2
	s_or_b32 exec_lo, exec_lo, s17
	s_and_saveexec_b32 s3, s21
	s_delay_alu instid0(SALU_CYCLE_1)
	s_xor_b32 s3, exec_lo, s3
; %bb.562:
	v_cndmask_b32_e64 v28, v0, v2, s20
	v_cndmask_b32_e64 v31, v3, v1, s20
	v_cndmask_b32_e64 v30, v2, v0, s20
	v_cndmask_b32_e64 v29, v1, v3, s20
	v_dual_mov_b32 v32, v4 :: v_dual_mov_b32 v33, v5
	v_dual_mov_b32 v34, v6 :: v_dual_mov_b32 v35, v7
	s_delay_alu instid0(VALU_DEP_3) | instskip(SKIP_1) | instid1(VALU_DEP_4)
	v_dual_mov_b32 v0, v28 :: v_dual_mov_b32 v1, v29
	v_dual_mov_b32 v2, v30 :: v_dual_mov_b32 v3, v31
	;; [unrolled: 1-line block ×3, first 2 shown]
	s_delay_alu instid0(VALU_DEP_4)
	v_dual_mov_b32 v6, v34 :: v_dual_mov_b32 v7, v35
; %bb.563:
	s_or_b32 exec_lo, exec_lo, s3
.LBB1610_564:
	s_delay_alu instid0(SALU_CYCLE_1)
	s_or_b32 exec_lo, exec_lo, s7
	s_and_saveexec_b32 s12, s4
	s_cbranch_execz .LBB1610_573
; %bb.565:
	s_and_not1_b32 vcc_lo, exec_lo, s16
	s_cbranch_vccnz .LBB1610_573
; %bb.566:
	v_mul_lo_u32 v19, v7, s8
	v_mul_lo_u32 v20, v6, s9
	v_mad_u64_u32 v[8:9], null, v6, s8, 0
	v_mul_lo_u32 v21, v5, s8
	v_mul_lo_u32 v22, v4, s9
	v_mad_u64_u32 v[10:11], null, v4, s8, 0
	s_mov_b32 s17, 0
	s_mov_b64 s[6:7], s[8:9]
	s_delay_alu instid0(VALU_DEP_4) | instskip(NEXT) | instid1(VALU_DEP_2)
	v_add3_u32 v9, v9, v20, v19
                                        ; implicit-def: $sgpr13
                                        ; implicit-def: $sgpr20
                                        ; implicit-def: $sgpr22
                                        ; implicit-def: $sgpr21
                                        ; implicit-def: $sgpr23
                                        ; implicit-def: $sgpr24
	v_add3_u32 v11, v11, v22, v21
	s_delay_alu instid0(VALU_DEP_2) | instskip(NEXT) | instid1(VALU_DEP_2)
	v_lshlrev_b64 v[8:9], 3, v[8:9]
	v_lshlrev_b64 v[10:11], 3, v[10:11]
	s_delay_alu instid0(VALU_DEP_2) | instskip(NEXT) | instid1(VALU_DEP_3)
	v_add_co_u32 v8, vcc_lo, s10, v8
	v_add_co_ci_u32_e32 v9, vcc_lo, s11, v9, vcc_lo
	s_delay_alu instid0(VALU_DEP_3) | instskip(NEXT) | instid1(VALU_DEP_4)
	v_add_co_u32 v10, vcc_lo, s10, v10
	v_add_co_ci_u32_e32 v11, vcc_lo, s11, v11, vcc_lo
	s_set_inst_prefetch_distance 0x1
	s_branch .LBB1610_568
	.p2align	6
.LBB1610_567:                           ;   in Loop: Header=BB1610_568 Depth=1
	s_or_b32 exec_lo, exec_lo, s25
	s_delay_alu instid0(SALU_CYCLE_1) | instskip(NEXT) | instid1(SALU_CYCLE_1)
	s_and_b32 s4, exec_lo, s22
	s_or_b32 s17, s4, s17
	s_and_not1_b32 s4, s24, exec_lo
	s_and_b32 s24, s23, exec_lo
	s_and_not1_b32 s20, s20, exec_lo
	s_or_b32 s24, s4, s24
	s_and_b32 s4, s21, exec_lo
	s_and_not1_b32 s13, s13, exec_lo
	s_and_b32 s3, s3, exec_lo
	s_or_b32 s20, s20, s4
	s_or_b32 s13, s13, s3
	s_and_not1_b32 exec_lo, exec_lo, s17
	s_cbranch_execz .LBB1610_570
.LBB1610_568:                           ; =>This Inner Loop Header: Depth=1
	global_load_b64 v[19:20], v[8:9], off
	global_load_b64 v[21:22], v[10:11], off
	s_and_not1_b32 s23, s23, exec_lo
	s_or_b32 s21, s21, exec_lo
	s_or_b32 s22, s22, exec_lo
	s_waitcnt vmcnt(0)
	v_cmp_le_u64_e32 vcc_lo, v[19:20], v[21:22]
	v_cmp_lt_u64_e64 s3, v[19:20], v[21:22]
	s_and_b32 s25, vcc_lo, s24
	s_delay_alu instid0(VALU_DEP_1) | instid1(SALU_CYCLE_1)
	s_or_b32 s3, s3, s25
	s_mov_b32 s25, exec_lo
	v_cmpx_eq_u64_e64 v[19:20], v[21:22]
	s_cbranch_execz .LBB1610_567
; %bb.569:                              ;   in Loop: Header=BB1610_568 Depth=1
	s_add_u32 s6, s6, -1
	s_addc_u32 s7, s7, -1
	v_add_co_u32 v8, vcc_lo, v8, 8
	s_cmp_eq_u64 s[6:7], 0
	v_add_co_ci_u32_e32 v9, vcc_lo, 0, v9, vcc_lo
	v_add_co_u32 v10, vcc_lo, v10, 8
	s_cselect_b32 s4, -1, 0
	v_add_co_ci_u32_e32 v11, vcc_lo, 0, v11, vcc_lo
	s_and_not1_b32 s23, s23, exec_lo
	s_and_b32 s24, s3, exec_lo
	s_and_not1_b32 s22, s22, exec_lo
	s_and_b32 s4, s4, exec_lo
	s_or_b32 s23, s23, s24
	s_and_not1_b32 s21, s21, exec_lo
	s_or_b32 s22, s22, s4
                                        ; implicit-def: $sgpr24
	s_branch .LBB1610_567
.LBB1610_570:
	s_set_inst_prefetch_distance 0x2
	s_or_b32 exec_lo, exec_lo, s17
	s_and_saveexec_b32 s3, s20
	s_delay_alu instid0(SALU_CYCLE_1)
	s_xor_b32 s3, exec_lo, s3
; %bb.571:
	v_cndmask_b32_e64 v8, v6, v4, s13
	v_cndmask_b32_e64 v9, v7, v5, s13
	;; [unrolled: 1-line block ×4, first 2 shown]
	s_delay_alu instid0(VALU_DEP_3)
	v_dual_mov_b32 v6, v8 :: v_dual_mov_b32 v7, v9
; %bb.572:
	s_or_b32 exec_lo, exec_lo, s3
.LBB1610_573:
	s_delay_alu instid0(SALU_CYCLE_1)
	s_or_b32 exec_lo, exec_lo, s12
	s_and_saveexec_b32 s12, s5
	s_cbranch_execz .LBB1610_582
; %bb.574:
	s_and_not1_b32 vcc_lo, exec_lo, s16
	s_cbranch_vccnz .LBB1610_582
; %bb.575:
	v_mul_lo_u32 v19, v5, s8
	v_mul_lo_u32 v20, v4, s9
	v_mad_u64_u32 v[8:9], null, v4, s8, 0
	v_mul_lo_u32 v21, v3, s8
	v_mul_lo_u32 v22, v2, s9
	v_mad_u64_u32 v[10:11], null, v2, s8, 0
	s_mov_b32 s13, 0
	s_mov_b64 s[6:7], s[8:9]
	s_delay_alu instid0(VALU_DEP_4) | instskip(NEXT) | instid1(VALU_DEP_2)
	v_add3_u32 v9, v9, v20, v19
                                        ; implicit-def: $sgpr5
                                        ; implicit-def: $sgpr17
                                        ; implicit-def: $sgpr21
                                        ; implicit-def: $sgpr20
                                        ; implicit-def: $sgpr22
                                        ; implicit-def: $sgpr23
	v_add3_u32 v11, v11, v22, v21
	s_delay_alu instid0(VALU_DEP_2) | instskip(NEXT) | instid1(VALU_DEP_2)
	v_lshlrev_b64 v[8:9], 3, v[8:9]
	v_lshlrev_b64 v[10:11], 3, v[10:11]
	s_delay_alu instid0(VALU_DEP_2) | instskip(NEXT) | instid1(VALU_DEP_3)
	v_add_co_u32 v8, vcc_lo, s10, v8
	v_add_co_ci_u32_e32 v9, vcc_lo, s11, v9, vcc_lo
	s_delay_alu instid0(VALU_DEP_3) | instskip(NEXT) | instid1(VALU_DEP_4)
	v_add_co_u32 v10, vcc_lo, s10, v10
	v_add_co_ci_u32_e32 v11, vcc_lo, s11, v11, vcc_lo
	s_set_inst_prefetch_distance 0x1
	s_branch .LBB1610_577
	.p2align	6
.LBB1610_576:                           ;   in Loop: Header=BB1610_577 Depth=1
	s_or_b32 exec_lo, exec_lo, s24
	s_delay_alu instid0(SALU_CYCLE_1) | instskip(NEXT) | instid1(SALU_CYCLE_1)
	s_and_b32 s4, exec_lo, s21
	s_or_b32 s13, s4, s13
	s_and_not1_b32 s4, s23, exec_lo
	s_and_b32 s23, s22, exec_lo
	s_and_not1_b32 s17, s17, exec_lo
	s_or_b32 s23, s4, s23
	s_and_b32 s4, s20, exec_lo
	s_and_not1_b32 s5, s5, exec_lo
	s_and_b32 s3, s3, exec_lo
	s_or_b32 s17, s17, s4
	s_or_b32 s5, s5, s3
	s_and_not1_b32 exec_lo, exec_lo, s13
	s_cbranch_execz .LBB1610_579
.LBB1610_577:                           ; =>This Inner Loop Header: Depth=1
	global_load_b64 v[19:20], v[8:9], off
	global_load_b64 v[21:22], v[10:11], off
	s_and_not1_b32 s22, s22, exec_lo
	s_or_b32 s20, s20, exec_lo
	s_or_b32 s21, s21, exec_lo
	s_waitcnt vmcnt(0)
	v_cmp_le_u64_e32 vcc_lo, v[19:20], v[21:22]
	v_cmp_lt_u64_e64 s3, v[19:20], v[21:22]
	s_and_b32 s24, vcc_lo, s23
	s_delay_alu instid0(VALU_DEP_1) | instid1(SALU_CYCLE_1)
	s_or_b32 s3, s3, s24
	s_mov_b32 s24, exec_lo
	v_cmpx_eq_u64_e64 v[19:20], v[21:22]
	s_cbranch_execz .LBB1610_576
; %bb.578:                              ;   in Loop: Header=BB1610_577 Depth=1
	s_add_u32 s6, s6, -1
	s_addc_u32 s7, s7, -1
	v_add_co_u32 v8, vcc_lo, v8, 8
	s_cmp_eq_u64 s[6:7], 0
	v_add_co_ci_u32_e32 v9, vcc_lo, 0, v9, vcc_lo
	v_add_co_u32 v10, vcc_lo, v10, 8
	s_cselect_b32 s4, -1, 0
	v_add_co_ci_u32_e32 v11, vcc_lo, 0, v11, vcc_lo
	s_and_not1_b32 s22, s22, exec_lo
	s_and_b32 s23, s3, exec_lo
	s_and_not1_b32 s21, s21, exec_lo
	s_and_b32 s4, s4, exec_lo
	s_or_b32 s22, s22, s23
	s_and_not1_b32 s20, s20, exec_lo
	s_or_b32 s21, s21, s4
                                        ; implicit-def: $sgpr23
	s_branch .LBB1610_576
.LBB1610_579:
	s_set_inst_prefetch_distance 0x2
	s_or_b32 exec_lo, exec_lo, s13
	s_and_saveexec_b32 s3, s17
	s_delay_alu instid0(SALU_CYCLE_1)
	s_xor_b32 s3, exec_lo, s3
; %bb.580:
	v_cndmask_b32_e64 v8, v4, v2, s5
	v_cndmask_b32_e64 v9, v5, v3, s5
	;; [unrolled: 1-line block ×4, first 2 shown]
	s_delay_alu instid0(VALU_DEP_3)
	v_dual_mov_b32 v4, v8 :: v_dual_mov_b32 v5, v9
; %bb.581:
	s_or_b32 exec_lo, exec_lo, s3
.LBB1610_582:
	s_delay_alu instid0(SALU_CYCLE_1) | instskip(SKIP_4) | instid1(VALU_DEP_2)
	s_or_b32 exec_lo, exec_lo, s12
	v_mbcnt_lo_u32_b32 v8, -1, 0
	v_and_b32_e32 v9, 0xffffff80, v18
	s_mov_b32 s12, 0
	s_mov_b32 s13, exec_lo
	v_lshlrev_b32_e32 v20, 2, v8
	s_delay_alu instid0(VALU_DEP_2) | instskip(SKIP_1) | instid1(VALU_DEP_3)
	v_sub_nc_u32_e64 v19, s18, v9 clamp
	v_lshlrev_b32_e32 v18, 3, v9
	v_or_b32_e32 v10, 4, v20
	v_and_b32_e32 v11, 4, v20
	v_and_b32_e32 v28, 0x78, v20
	s_delay_alu instid0(VALU_DEP_4)
	v_lshl_or_b32 v21, v8, 5, v18
	ds_store_b128 v21, v[0:3]
	ds_store_b128 v21, v[4:7] offset:16
	v_min_u32_e32 v22, v19, v10
	v_min_u32_e32 v29, v19, v11
	v_lshl_or_b32 v25, v28, 3, v18
	; wave barrier
	s_delay_alu instid0(VALU_DEP_3) | instskip(SKIP_1) | instid1(VALU_DEP_2)
	v_add_nc_u32_e32 v10, 4, v22
	v_sub_nc_u32_e32 v11, v22, v28
	v_min_u32_e32 v23, v19, v10
	s_delay_alu instid0(VALU_DEP_2) | instskip(NEXT) | instid1(VALU_DEP_2)
	v_min_u32_e32 v30, v29, v11
	v_sub_nc_u32_e32 v10, v23, v22
	s_delay_alu instid0(VALU_DEP_1) | instskip(NEXT) | instid1(VALU_DEP_1)
	v_sub_nc_u32_e64 v24, v29, v10 clamp
	v_cmpx_lt_u32_e64 v24, v30
	s_cbranch_execz .LBB1610_593
; %bb.583:
	v_lshlrev_b32_e32 v8, 3, v22
	v_lshlrev_b32_e32 v9, 3, v29
	s_lshl_b64 s[4:5], s[8:9], 3
	s_delay_alu instid0(VALU_DEP_1)
	v_add3_u32 v31, v18, v8, v9
	s_branch .LBB1610_586
.LBB1610_584:                           ;   in Loop: Header=BB1610_586 Depth=1
	s_set_inst_prefetch_distance 0x2
	s_or_b32 exec_lo, exec_lo, s17
.LBB1610_585:                           ;   in Loop: Header=BB1610_586 Depth=1
	s_delay_alu instid0(VALU_DEP_1) | instskip(SKIP_1) | instid1(VALU_DEP_2)
	v_add_nc_u32_e32 v8, 1, v32
	v_cndmask_b32_e64 v30, v30, v32, s20
	v_cndmask_b32_e64 v24, v8, v24, s20
	s_delay_alu instid0(VALU_DEP_1) | instskip(SKIP_1) | instid1(SALU_CYCLE_1)
	v_cmp_ge_u32_e32 vcc_lo, v24, v30
	s_or_b32 s12, vcc_lo, s12
	s_and_not1_b32 exec_lo, exec_lo, s12
	s_cbranch_execz .LBB1610_592
.LBB1610_586:                           ; =>This Loop Header: Depth=1
                                        ;     Child Loop BB1610_589 Depth 2
	v_add_nc_u32_e32 v8, v30, v24
	s_and_not1_b32 vcc_lo, exec_lo, s16
	s_delay_alu instid0(VALU_DEP_1)
	v_lshrrev_b32_e32 v32, 1, v8
	s_cbranch_vccnz .LBB1610_591
; %bb.587:                              ;   in Loop: Header=BB1610_586 Depth=1
	s_delay_alu instid0(VALU_DEP_1) | instskip(SKIP_3) | instid1(VALU_DEP_2)
	v_not_b32_e32 v8, v32
	v_lshl_add_u32 v9, v32, 3, v25
	s_mov_b32 s17, 0
	s_mov_b64 s[6:7], s[8:9]
                                        ; implicit-def: $sgpr20
                                        ; implicit-def: $sgpr21
                                        ; implicit-def: $sgpr22
                                        ; implicit-def: $sgpr23
                                        ; implicit-def: $sgpr24
	v_lshl_add_u32 v8, v8, 3, v31
	ds_load_b64 v[10:11], v8
	ds_load_b64 v[33:34], v9
	s_waitcnt lgkmcnt(1)
	v_mul_lo_u32 v35, s4, v11
	v_mul_lo_u32 v36, s5, v10
	v_mad_u64_u32 v[8:9], null, s4, v10, s[10:11]
	s_waitcnt lgkmcnt(0)
	v_mul_lo_u32 v34, s4, v34
	v_mul_lo_u32 v37, s5, v33
	v_mad_u64_u32 v[10:11], null, s4, v33, s[10:11]
	s_delay_alu instid0(VALU_DEP_4) | instskip(NEXT) | instid1(VALU_DEP_2)
	v_add3_u32 v9, v36, v9, v35
	v_add3_u32 v11, v37, v11, v34
	s_set_inst_prefetch_distance 0x1
	s_branch .LBB1610_589
	.p2align	6
.LBB1610_588:                           ;   in Loop: Header=BB1610_589 Depth=2
	s_or_b32 exec_lo, exec_lo, s3
	s_delay_alu instid0(SALU_CYCLE_1) | instskip(NEXT) | instid1(SALU_CYCLE_1)
	s_and_b32 s3, exec_lo, s21
	s_or_b32 s17, s3, s17
	s_and_not1_b32 s3, s24, exec_lo
	s_and_b32 s24, s22, exec_lo
	s_and_not1_b32 s20, s20, exec_lo
	s_and_b32 s25, s23, exec_lo
	s_or_b32 s24, s3, s24
	s_or_b32 s20, s20, s25
	s_and_not1_b32 exec_lo, exec_lo, s17
	s_cbranch_execz .LBB1610_584
.LBB1610_589:                           ;   Parent Loop BB1610_586 Depth=1
                                        ; =>  This Inner Loop Header: Depth=2
	global_load_b64 v[33:34], v[8:9], off
	global_load_b64 v[35:36], v[10:11], off
	s_and_not1_b32 s23, s23, exec_lo
	s_and_not1_b32 s22, s22, exec_lo
	s_or_b32 s21, s21, exec_lo
	s_waitcnt vmcnt(0)
	v_cmp_le_u64_e32 vcc_lo, v[33:34], v[35:36]
	v_cmp_lt_u64_e64 s3, v[33:34], v[35:36]
	s_and_b32 s25, vcc_lo, s24
	s_delay_alu instid0(VALU_DEP_1) | instid1(SALU_CYCLE_1)
	s_or_b32 s25, s3, s25
	s_delay_alu instid0(SALU_CYCLE_1) | instskip(NEXT) | instid1(SALU_CYCLE_1)
	s_and_b32 s3, s25, exec_lo
	s_or_b32 s23, s23, s3
	s_mov_b32 s3, exec_lo
	v_cmpx_eq_u64_e64 v[33:34], v[35:36]
	s_cbranch_execz .LBB1610_588
; %bb.590:                              ;   in Loop: Header=BB1610_589 Depth=2
	s_add_u32 s6, s6, -1
	s_addc_u32 s7, s7, -1
	v_add_co_u32 v8, vcc_lo, v8, 8
	s_cmp_eq_u64 s[6:7], 0
	v_add_co_ci_u32_e32 v9, vcc_lo, 0, v9, vcc_lo
	s_cselect_b32 s24, -1, 0
	v_add_co_u32 v10, vcc_lo, v10, 8
	s_and_not1_b32 s22, s22, exec_lo
	s_and_b32 s25, s25, exec_lo
	s_and_not1_b32 s21, s21, exec_lo
	s_and_b32 s24, s24, exec_lo
	v_add_co_ci_u32_e32 v11, vcc_lo, 0, v11, vcc_lo
	s_and_not1_b32 s23, s23, exec_lo
	s_or_b32 s22, s22, s25
	s_or_b32 s21, s21, s24
                                        ; implicit-def: $sgpr24
	s_branch .LBB1610_588
.LBB1610_591:                           ;   in Loop: Header=BB1610_586 Depth=1
	s_mov_b32 s20, 0
	s_branch .LBB1610_585
.LBB1610_592:
	s_or_b32 exec_lo, exec_lo, s12
.LBB1610_593:
	s_delay_alu instid0(SALU_CYCLE_1) | instskip(SKIP_2) | instid1(VALU_DEP_2)
	s_or_b32 exec_lo, exec_lo, s13
	v_add_nc_u32_e32 v9, v22, v29
	v_add_nc_u32_e32 v8, v24, v28
	v_sub_nc_u32_e32 v9, v9, v24
	s_delay_alu instid0(VALU_DEP_2) | instskip(NEXT) | instid1(VALU_DEP_2)
	v_cmp_le_u32_e32 vcc_lo, v8, v22
	v_cmp_le_u32_e64 s3, v9, v23
	s_delay_alu instid0(VALU_DEP_1) | instskip(NEXT) | instid1(SALU_CYCLE_1)
	s_or_b32 s3, vcc_lo, s3
	s_and_saveexec_b32 s6, s3
	s_cbranch_execz .LBB1610_640
; %bb.594:
	v_cmp_ge_u32_e32 vcc_lo, v8, v22
	s_mov_b32 s4, exec_lo
                                        ; implicit-def: $vgpr0_vgpr1
	v_cmpx_lt_u32_e64 v8, v22
	s_cbranch_execz .LBB1610_596
; %bb.595:
	v_lshl_add_u32 v0, v24, 3, v25
	ds_load_b64 v[0:1], v0
.LBB1610_596:
	s_or_b32 exec_lo, exec_lo, s4
	v_cmp_ge_u32_e64 s7, v9, v23
	s_mov_b32 s4, exec_lo
                                        ; implicit-def: $vgpr2_vgpr3
	v_cmpx_lt_u32_e64 v9, v23
	s_cbranch_execz .LBB1610_598
; %bb.597:
	v_lshl_add_u32 v2, v9, 3, v18
	ds_load_b64 v[2:3], v2
.LBB1610_598:
	s_or_b32 exec_lo, exec_lo, s4
	s_or_b32 s3, vcc_lo, s7
	s_mov_b32 s12, -1
	s_xor_b32 s3, s3, -1
	s_delay_alu instid0(SALU_CYCLE_1)
	s_and_saveexec_b32 s13, s3
	s_cbranch_execz .LBB1610_607
; %bb.599:
	s_and_not1_b32 vcc_lo, exec_lo, s16
	s_cbranch_vccnz .LBB1610_605
; %bb.600:
	s_waitcnt lgkmcnt(0)
	v_mul_lo_u32 v10, v3, s8
	v_mul_lo_u32 v11, v2, s9
	v_mad_u64_u32 v[4:5], null, v2, s8, 0
	v_mul_lo_u32 v24, v1, s8
	v_mul_lo_u32 v25, v0, s9
	v_mad_u64_u32 v[6:7], null, v0, s8, 0
	s_mov_b32 s17, 0
	s_mov_b64 s[4:5], s[8:9]
	s_delay_alu instid0(VALU_DEP_4) | instskip(NEXT) | instid1(VALU_DEP_2)
	v_add3_u32 v5, v5, v11, v10
                                        ; implicit-def: $sgpr20
                                        ; implicit-def: $sgpr21
                                        ; implicit-def: $sgpr22
                                        ; implicit-def: $sgpr23
                                        ; implicit-def: $sgpr24
	v_add3_u32 v7, v7, v25, v24
	s_delay_alu instid0(VALU_DEP_2) | instskip(NEXT) | instid1(VALU_DEP_2)
	v_lshlrev_b64 v[4:5], 3, v[4:5]
	v_lshlrev_b64 v[6:7], 3, v[6:7]
	s_delay_alu instid0(VALU_DEP_2) | instskip(NEXT) | instid1(VALU_DEP_3)
	v_add_co_u32 v4, vcc_lo, s10, v4
	v_add_co_ci_u32_e32 v5, vcc_lo, s11, v5, vcc_lo
	s_delay_alu instid0(VALU_DEP_3) | instskip(NEXT) | instid1(VALU_DEP_4)
	v_add_co_u32 v6, vcc_lo, s10, v6
	v_add_co_ci_u32_e32 v7, vcc_lo, s11, v7, vcc_lo
	s_set_inst_prefetch_distance 0x1
	s_branch .LBB1610_602
	.p2align	6
.LBB1610_601:                           ;   in Loop: Header=BB1610_602 Depth=1
	s_or_b32 exec_lo, exec_lo, s3
	s_delay_alu instid0(SALU_CYCLE_1) | instskip(NEXT) | instid1(SALU_CYCLE_1)
	s_and_b32 s3, exec_lo, s21
	s_or_b32 s17, s3, s17
	s_and_not1_b32 s3, s24, exec_lo
	s_and_b32 s24, s23, exec_lo
	s_and_not1_b32 s20, s20, exec_lo
	s_and_b32 s25, s22, exec_lo
	s_or_b32 s24, s3, s24
	s_or_b32 s20, s20, s25
	s_and_not1_b32 exec_lo, exec_lo, s17
	s_cbranch_execz .LBB1610_604
.LBB1610_602:                           ; =>This Inner Loop Header: Depth=1
	global_load_b64 v[10:11], v[4:5], off
	global_load_b64 v[24:25], v[6:7], off
	s_and_not1_b32 s22, s22, exec_lo
	s_and_not1_b32 s23, s23, exec_lo
	s_or_b32 s21, s21, exec_lo
	s_waitcnt vmcnt(0)
	v_cmp_le_u64_e32 vcc_lo, v[10:11], v[24:25]
	v_cmp_lt_u64_e64 s3, v[10:11], v[24:25]
	s_and_b32 s25, vcc_lo, s24
	s_delay_alu instid0(VALU_DEP_1) | instid1(SALU_CYCLE_1)
	s_or_b32 s25, s3, s25
	s_delay_alu instid0(SALU_CYCLE_1) | instskip(NEXT) | instid1(SALU_CYCLE_1)
	s_and_b32 s3, s25, exec_lo
	s_or_b32 s22, s22, s3
	s_mov_b32 s3, exec_lo
	v_cmpx_eq_u64_e64 v[10:11], v[24:25]
	s_cbranch_execz .LBB1610_601
; %bb.603:                              ;   in Loop: Header=BB1610_602 Depth=1
	s_add_u32 s4, s4, -1
	s_addc_u32 s5, s5, -1
	v_add_co_u32 v4, vcc_lo, v4, 8
	s_cmp_eq_u64 s[4:5], 0
	v_add_co_ci_u32_e32 v5, vcc_lo, 0, v5, vcc_lo
	s_cselect_b32 s24, -1, 0
	s_and_not1_b32 s23, s23, exec_lo
	s_and_b32 s25, s25, exec_lo
	v_add_co_u32 v6, vcc_lo, v6, 8
	s_and_not1_b32 s21, s21, exec_lo
	s_and_b32 s24, s24, exec_lo
	v_add_co_ci_u32_e32 v7, vcc_lo, 0, v7, vcc_lo
	s_or_b32 s23, s23, s25
	s_and_not1_b32 s22, s22, exec_lo
	s_or_b32 s21, s21, s24
                                        ; implicit-def: $sgpr24
	s_branch .LBB1610_601
.LBB1610_604:
	s_set_inst_prefetch_distance 0x2
	s_or_b32 exec_lo, exec_lo, s17
	s_xor_b32 s3, s20, -1
	s_branch .LBB1610_606
.LBB1610_605:
	s_mov_b32 s3, -1
.LBB1610_606:
	s_and_not1_b32 s4, s7, exec_lo
	s_and_b32 s3, s3, exec_lo
	s_delay_alu instid0(SALU_CYCLE_1)
	s_or_b32 s7, s4, s3
.LBB1610_607:
	s_or_b32 exec_lo, exec_lo, s13
	v_cndmask_b32_e64 v4, v9, v8, s7
	v_cndmask_b32_e64 v5, v23, v22, s7
	s_mov_b32 s13, exec_lo
	s_delay_alu instid0(VALU_DEP_2) | instskip(NEXT) | instid1(VALU_DEP_2)
	v_add_nc_u32_e32 v6, 1, v4
	v_add_nc_u32_e32 v4, -1, v5
	s_delay_alu instid0(VALU_DEP_2) | instskip(NEXT) | instid1(VALU_DEP_2)
	v_cndmask_b32_e64 v9, v6, v9, s7
	v_min_u32_e32 v4, v6, v4
	v_cndmask_b32_e64 v8, v8, v6, s7
	s_delay_alu instid0(VALU_DEP_2)
	v_lshl_add_u32 v4, v4, 3, v18
	ds_load_b64 v[4:5], v4
	s_waitcnt lgkmcnt(0)
	v_cndmask_b32_e64 v24, v5, v3, s7
	v_cndmask_b32_e64 v25, v4, v2, s7
	;; [unrolled: 1-line block ×4, first 2 shown]
	v_cmpx_lt_u32_e64 v9, v23
	s_cbranch_execz .LBB1610_618
; %bb.608:
	s_mov_b32 s3, 0
	s_mov_b32 s12, exec_lo
	v_cmpx_lt_u32_e64 v8, v22
	s_cbranch_execz .LBB1610_617
; %bb.609:
	s_and_not1_b32 vcc_lo, exec_lo, s16
	s_cbranch_vccnz .LBB1610_615
; %bb.610:
	v_mul_lo_u32 v10, v24, s8
	v_mul_lo_u32 v11, v25, s9
	v_mad_u64_u32 v[4:5], null, v25, s8, 0
	v_mul_lo_u32 v30, v28, s8
	v_mul_lo_u32 v31, v29, s9
	v_mad_u64_u32 v[6:7], null, v29, s8, 0
	s_mov_b32 s17, 0
	s_mov_b64 s[4:5], s[8:9]
	s_delay_alu instid0(VALU_DEP_4) | instskip(NEXT) | instid1(VALU_DEP_2)
	v_add3_u32 v5, v5, v11, v10
                                        ; implicit-def: $sgpr20
                                        ; implicit-def: $sgpr21
                                        ; implicit-def: $sgpr22
                                        ; implicit-def: $sgpr23
                                        ; implicit-def: $sgpr24
	v_add3_u32 v7, v7, v31, v30
	s_delay_alu instid0(VALU_DEP_2) | instskip(NEXT) | instid1(VALU_DEP_2)
	v_lshlrev_b64 v[4:5], 3, v[4:5]
	v_lshlrev_b64 v[6:7], 3, v[6:7]
	s_delay_alu instid0(VALU_DEP_2) | instskip(NEXT) | instid1(VALU_DEP_3)
	v_add_co_u32 v4, vcc_lo, s10, v4
	v_add_co_ci_u32_e32 v5, vcc_lo, s11, v5, vcc_lo
	s_delay_alu instid0(VALU_DEP_3) | instskip(NEXT) | instid1(VALU_DEP_4)
	v_add_co_u32 v6, vcc_lo, s10, v6
	v_add_co_ci_u32_e32 v7, vcc_lo, s11, v7, vcc_lo
	s_set_inst_prefetch_distance 0x1
	s_branch .LBB1610_612
	.p2align	6
.LBB1610_611:                           ;   in Loop: Header=BB1610_612 Depth=1
	s_or_b32 exec_lo, exec_lo, s3
	s_delay_alu instid0(SALU_CYCLE_1) | instskip(NEXT) | instid1(SALU_CYCLE_1)
	s_and_b32 s3, exec_lo, s21
	s_or_b32 s17, s3, s17
	s_and_not1_b32 s3, s24, exec_lo
	s_and_b32 s24, s23, exec_lo
	s_and_not1_b32 s20, s20, exec_lo
	s_and_b32 s25, s22, exec_lo
	s_or_b32 s24, s3, s24
	s_or_b32 s20, s20, s25
	s_and_not1_b32 exec_lo, exec_lo, s17
	s_cbranch_execz .LBB1610_614
.LBB1610_612:                           ; =>This Inner Loop Header: Depth=1
	global_load_b64 v[10:11], v[4:5], off
	global_load_b64 v[30:31], v[6:7], off
	s_and_not1_b32 s22, s22, exec_lo
	s_and_not1_b32 s23, s23, exec_lo
	s_or_b32 s21, s21, exec_lo
	s_waitcnt vmcnt(0)
	v_cmp_le_u64_e32 vcc_lo, v[10:11], v[30:31]
	v_cmp_lt_u64_e64 s3, v[10:11], v[30:31]
	s_and_b32 s25, vcc_lo, s24
	s_delay_alu instid0(VALU_DEP_1) | instid1(SALU_CYCLE_1)
	s_or_b32 s25, s3, s25
	s_delay_alu instid0(SALU_CYCLE_1) | instskip(NEXT) | instid1(SALU_CYCLE_1)
	s_and_b32 s3, s25, exec_lo
	s_or_b32 s22, s22, s3
	s_mov_b32 s3, exec_lo
	v_cmpx_eq_u64_e64 v[10:11], v[30:31]
	s_cbranch_execz .LBB1610_611
; %bb.613:                              ;   in Loop: Header=BB1610_612 Depth=1
	s_add_u32 s4, s4, -1
	s_addc_u32 s5, s5, -1
	v_add_co_u32 v4, vcc_lo, v4, 8
	s_cmp_eq_u64 s[4:5], 0
	v_add_co_ci_u32_e32 v5, vcc_lo, 0, v5, vcc_lo
	v_add_co_u32 v6, vcc_lo, v6, 8
	s_cselect_b32 s24, -1, 0
	v_add_co_ci_u32_e32 v7, vcc_lo, 0, v7, vcc_lo
	s_and_not1_b32 s23, s23, exec_lo
	s_and_b32 s25, s25, exec_lo
	s_and_not1_b32 s21, s21, exec_lo
	s_and_b32 s24, s24, exec_lo
	s_or_b32 s23, s23, s25
	s_and_not1_b32 s22, s22, exec_lo
	s_or_b32 s21, s21, s24
                                        ; implicit-def: $sgpr24
	s_branch .LBB1610_611
.LBB1610_614:
	s_set_inst_prefetch_distance 0x2
	s_or_b32 exec_lo, exec_lo, s17
	s_xor_b32 s3, s20, -1
	s_branch .LBB1610_616
.LBB1610_615:
	s_mov_b32 s3, -1
.LBB1610_616:
	s_delay_alu instid0(SALU_CYCLE_1)
	s_and_b32 s3, s3, exec_lo
.LBB1610_617:
	s_or_b32 exec_lo, exec_lo, s12
	s_delay_alu instid0(SALU_CYCLE_1)
	s_or_not1_b32 s12, s3, exec_lo
.LBB1610_618:
	s_or_b32 exec_lo, exec_lo, s13
	v_cndmask_b32_e64 v4, v9, v8, s12
	v_cndmask_b32_e64 v5, v23, v22, s12
	s_mov_b32 s13, -1
	s_mov_b32 s17, exec_lo
	s_delay_alu instid0(VALU_DEP_2) | instskip(NEXT) | instid1(VALU_DEP_2)
	v_add_nc_u32_e32 v6, 1, v4
	v_add_nc_u32_e32 v4, -1, v5
	s_delay_alu instid0(VALU_DEP_2) | instskip(NEXT) | instid1(VALU_DEP_2)
	v_cndmask_b32_e64 v9, v6, v9, s12
	v_min_u32_e32 v4, v6, v4
	v_cndmask_b32_e64 v8, v8, v6, s12
	s_delay_alu instid0(VALU_DEP_2)
	v_lshl_add_u32 v4, v4, 3, v18
	ds_load_b64 v[4:5], v4
	s_waitcnt lgkmcnt(0)
	v_cndmask_b32_e64 v30, v5, v24, s12
	v_cndmask_b32_e64 v31, v4, v25, s12
	;; [unrolled: 1-line block ×4, first 2 shown]
	v_cmpx_lt_u32_e64 v9, v23
	s_cbranch_execz .LBB1610_629
; %bb.619:
	s_mov_b32 s3, 0
	s_mov_b32 s13, exec_lo
	v_cmpx_lt_u32_e64 v8, v22
	s_cbranch_execz .LBB1610_628
; %bb.620:
	s_and_not1_b32 vcc_lo, exec_lo, s16
	s_cbranch_vccnz .LBB1610_626
; %bb.621:
	v_mul_lo_u32 v10, v30, s8
	v_mul_lo_u32 v11, v31, s9
	v_mad_u64_u32 v[4:5], null, v31, s8, 0
	v_mul_lo_u32 v34, v32, s8
	v_mul_lo_u32 v35, v33, s9
	v_mad_u64_u32 v[6:7], null, v33, s8, 0
	s_mov_b32 s20, 0
	s_mov_b64 s[4:5], s[8:9]
	s_delay_alu instid0(VALU_DEP_4) | instskip(NEXT) | instid1(VALU_DEP_2)
	v_add3_u32 v5, v5, v11, v10
                                        ; implicit-def: $sgpr21
                                        ; implicit-def: $sgpr22
                                        ; implicit-def: $sgpr23
                                        ; implicit-def: $sgpr24
                                        ; implicit-def: $sgpr25
	v_add3_u32 v7, v7, v35, v34
	s_delay_alu instid0(VALU_DEP_2) | instskip(NEXT) | instid1(VALU_DEP_2)
	v_lshlrev_b64 v[4:5], 3, v[4:5]
	v_lshlrev_b64 v[6:7], 3, v[6:7]
	s_delay_alu instid0(VALU_DEP_2) | instskip(NEXT) | instid1(VALU_DEP_3)
	v_add_co_u32 v4, vcc_lo, s10, v4
	v_add_co_ci_u32_e32 v5, vcc_lo, s11, v5, vcc_lo
	s_delay_alu instid0(VALU_DEP_3) | instskip(NEXT) | instid1(VALU_DEP_4)
	v_add_co_u32 v6, vcc_lo, s10, v6
	v_add_co_ci_u32_e32 v7, vcc_lo, s11, v7, vcc_lo
	s_set_inst_prefetch_distance 0x1
	s_branch .LBB1610_623
	.p2align	6
.LBB1610_622:                           ;   in Loop: Header=BB1610_623 Depth=1
	s_or_b32 exec_lo, exec_lo, s3
	s_delay_alu instid0(SALU_CYCLE_1) | instskip(NEXT) | instid1(SALU_CYCLE_1)
	s_and_b32 s3, exec_lo, s22
	s_or_b32 s20, s3, s20
	s_and_not1_b32 s3, s25, exec_lo
	s_and_b32 s25, s24, exec_lo
	s_and_not1_b32 s21, s21, exec_lo
	s_and_b32 s26, s23, exec_lo
	s_or_b32 s25, s3, s25
	s_or_b32 s21, s21, s26
	s_and_not1_b32 exec_lo, exec_lo, s20
	s_cbranch_execz .LBB1610_625
.LBB1610_623:                           ; =>This Inner Loop Header: Depth=1
	global_load_b64 v[10:11], v[4:5], off
	global_load_b64 v[34:35], v[6:7], off
	s_and_not1_b32 s23, s23, exec_lo
	s_and_not1_b32 s24, s24, exec_lo
	s_or_b32 s22, s22, exec_lo
	s_waitcnt vmcnt(0)
	v_cmp_le_u64_e32 vcc_lo, v[10:11], v[34:35]
	v_cmp_lt_u64_e64 s3, v[10:11], v[34:35]
	s_and_b32 s26, vcc_lo, s25
	s_delay_alu instid0(VALU_DEP_1) | instid1(SALU_CYCLE_1)
	s_or_b32 s26, s3, s26
	s_delay_alu instid0(SALU_CYCLE_1) | instskip(NEXT) | instid1(SALU_CYCLE_1)
	s_and_b32 s3, s26, exec_lo
	s_or_b32 s23, s23, s3
	s_mov_b32 s3, exec_lo
	v_cmpx_eq_u64_e64 v[10:11], v[34:35]
	s_cbranch_execz .LBB1610_622
; %bb.624:                              ;   in Loop: Header=BB1610_623 Depth=1
	s_add_u32 s4, s4, -1
	s_addc_u32 s5, s5, -1
	v_add_co_u32 v4, vcc_lo, v4, 8
	s_cmp_eq_u64 s[4:5], 0
	v_add_co_ci_u32_e32 v5, vcc_lo, 0, v5, vcc_lo
	v_add_co_u32 v6, vcc_lo, v6, 8
	s_cselect_b32 s25, -1, 0
	v_add_co_ci_u32_e32 v7, vcc_lo, 0, v7, vcc_lo
	s_and_not1_b32 s24, s24, exec_lo
	s_and_b32 s26, s26, exec_lo
	s_and_not1_b32 s22, s22, exec_lo
	s_and_b32 s25, s25, exec_lo
	s_or_b32 s24, s24, s26
	s_and_not1_b32 s23, s23, exec_lo
	s_or_b32 s22, s22, s25
                                        ; implicit-def: $sgpr25
	s_branch .LBB1610_622
.LBB1610_625:
	s_set_inst_prefetch_distance 0x2
	s_or_b32 exec_lo, exec_lo, s20
	s_xor_b32 s3, s21, -1
	s_branch .LBB1610_627
.LBB1610_626:
	s_mov_b32 s3, -1
.LBB1610_627:
	s_delay_alu instid0(SALU_CYCLE_1)
	s_and_b32 s3, s3, exec_lo
.LBB1610_628:
	s_or_b32 exec_lo, exec_lo, s13
	s_delay_alu instid0(SALU_CYCLE_1)
	s_or_not1_b32 s13, s3, exec_lo
.LBB1610_629:
	s_or_b32 exec_lo, exec_lo, s17
	v_cndmask_b32_e64 v4, v9, v8, s13
	v_cndmask_b32_e64 v5, v23, v22, s13
	s_mov_b32 s17, exec_lo
	s_delay_alu instid0(VALU_DEP_2) | instskip(NEXT) | instid1(VALU_DEP_2)
	v_add_nc_u32_e32 v10, 1, v4
	v_add_nc_u32_e32 v4, -1, v5
	s_delay_alu instid0(VALU_DEP_2) | instskip(NEXT) | instid1(VALU_DEP_2)
	v_cndmask_b32_e64 v9, v10, v9, s13
	v_min_u32_e32 v4, v10, v4
	s_delay_alu instid0(VALU_DEP_1)
	v_lshl_add_u32 v4, v4, 3, v18
	ds_load_b64 v[4:5], v4
	s_waitcnt lgkmcnt(0)
	v_cndmask_b32_e64 v7, v32, v5, s13
	v_cndmask_b32_e64 v6, v33, v4, s13
	v_cmpx_lt_u32_e64 v9, v23
	s_cbranch_execz .LBB1610_639
; %bb.630:
	v_cndmask_b32_e64 v8, v8, v10, s13
	v_cndmask_b32_e64 v5, v5, v30, s13
	;; [unrolled: 1-line block ×3, first 2 shown]
	s_mov_b32 s20, exec_lo
	s_delay_alu instid0(VALU_DEP_3)
	v_cmpx_lt_u32_e64 v8, v22
	s_cbranch_execz .LBB1610_638
; %bb.631:
	s_and_not1_b32 vcc_lo, exec_lo, s16
	s_cbranch_vccnz .LBB1610_637
; %bb.632:
	v_mul_lo_u32 v22, v5, s8
	v_mul_lo_u32 v23, v4, s9
	v_mad_u64_u32 v[8:9], null, v4, s8, 0
	v_mul_lo_u32 v34, v7, s8
	v_mul_lo_u32 v35, v6, s9
	v_mad_u64_u32 v[10:11], null, v6, s8, 0
	s_mov_b32 s21, 0
	s_mov_b64 s[4:5], s[8:9]
	s_delay_alu instid0(VALU_DEP_4) | instskip(NEXT) | instid1(VALU_DEP_2)
	v_add3_u32 v9, v9, v23, v22
                                        ; implicit-def: $sgpr22
                                        ; implicit-def: $sgpr23
                                        ; implicit-def: $sgpr24
                                        ; implicit-def: $sgpr25
                                        ; implicit-def: $sgpr26
	v_add3_u32 v11, v11, v35, v34
	s_delay_alu instid0(VALU_DEP_2) | instskip(NEXT) | instid1(VALU_DEP_2)
	v_lshlrev_b64 v[8:9], 3, v[8:9]
	v_lshlrev_b64 v[10:11], 3, v[10:11]
	s_delay_alu instid0(VALU_DEP_2) | instskip(NEXT) | instid1(VALU_DEP_3)
	v_add_co_u32 v8, vcc_lo, s10, v8
	v_add_co_ci_u32_e32 v9, vcc_lo, s11, v9, vcc_lo
	s_delay_alu instid0(VALU_DEP_3) | instskip(NEXT) | instid1(VALU_DEP_4)
	v_add_co_u32 v10, vcc_lo, s10, v10
	v_add_co_ci_u32_e32 v11, vcc_lo, s11, v11, vcc_lo
	s_set_inst_prefetch_distance 0x1
	s_branch .LBB1610_634
	.p2align	6
.LBB1610_633:                           ;   in Loop: Header=BB1610_634 Depth=1
	s_or_b32 exec_lo, exec_lo, s3
	s_delay_alu instid0(SALU_CYCLE_1) | instskip(NEXT) | instid1(SALU_CYCLE_1)
	s_and_b32 s3, exec_lo, s23
	s_or_b32 s21, s3, s21
	s_and_not1_b32 s3, s26, exec_lo
	s_and_b32 s26, s25, exec_lo
	s_and_not1_b32 s22, s22, exec_lo
	s_and_b32 s27, s24, exec_lo
	s_or_b32 s26, s3, s26
	s_or_b32 s22, s22, s27
	s_and_not1_b32 exec_lo, exec_lo, s21
	s_cbranch_execz .LBB1610_636
.LBB1610_634:                           ; =>This Inner Loop Header: Depth=1
	global_load_b64 v[22:23], v[8:9], off
	global_load_b64 v[34:35], v[10:11], off
	s_and_not1_b32 s24, s24, exec_lo
	s_and_not1_b32 s25, s25, exec_lo
	s_or_b32 s23, s23, exec_lo
	s_waitcnt vmcnt(0)
	v_cmp_le_u64_e32 vcc_lo, v[22:23], v[34:35]
	v_cmp_lt_u64_e64 s3, v[22:23], v[34:35]
	s_and_b32 s27, vcc_lo, s26
	s_delay_alu instid0(VALU_DEP_1) | instid1(SALU_CYCLE_1)
	s_or_b32 s27, s3, s27
	s_delay_alu instid0(SALU_CYCLE_1) | instskip(NEXT) | instid1(SALU_CYCLE_1)
	s_and_b32 s3, s27, exec_lo
	s_or_b32 s24, s24, s3
	s_mov_b32 s3, exec_lo
	v_cmpx_eq_u64_e64 v[22:23], v[34:35]
	s_cbranch_execz .LBB1610_633
; %bb.635:                              ;   in Loop: Header=BB1610_634 Depth=1
	s_add_u32 s4, s4, -1
	s_addc_u32 s5, s5, -1
	v_add_co_u32 v8, vcc_lo, v8, 8
	s_cmp_eq_u64 s[4:5], 0
	v_add_co_ci_u32_e32 v9, vcc_lo, 0, v9, vcc_lo
	v_add_co_u32 v10, vcc_lo, v10, 8
	s_cselect_b32 s26, -1, 0
	v_add_co_ci_u32_e32 v11, vcc_lo, 0, v11, vcc_lo
	s_and_not1_b32 s25, s25, exec_lo
	s_and_b32 s27, s27, exec_lo
	s_and_not1_b32 s23, s23, exec_lo
	s_and_b32 s26, s26, exec_lo
	s_or_b32 s25, s25, s27
	s_and_not1_b32 s24, s24, exec_lo
	s_or_b32 s23, s23, s26
                                        ; implicit-def: $sgpr26
	s_branch .LBB1610_633
.LBB1610_636:
	s_set_inst_prefetch_distance 0x2
	s_or_b32 exec_lo, exec_lo, s21
	v_cndmask_b32_e64 v7, v7, v5, s22
	v_cndmask_b32_e64 v6, v6, v4, s22
.LBB1610_637:
	s_delay_alu instid0(VALU_DEP_1)
	v_dual_mov_b32 v4, v6 :: v_dual_mov_b32 v5, v7
.LBB1610_638:
	s_or_b32 exec_lo, exec_lo, s20
	s_delay_alu instid0(VALU_DEP_1)
	v_dual_mov_b32 v7, v5 :: v_dual_mov_b32 v6, v4
.LBB1610_639:
	s_or_b32 exec_lo, exec_lo, s17
	v_cndmask_b32_e64 v1, v3, v1, s7
	v_cndmask_b32_e64 v0, v2, v0, s7
	;; [unrolled: 1-line block ×6, first 2 shown]
.LBB1610_640:
	s_or_b32 exec_lo, exec_lo, s6
	v_and_b32_e32 v28, 0x70, v20
	v_and_b32_e32 v9, 12, v20
	s_mov_b32 s12, exec_lo
	; wave barrier
	s_delay_alu instid0(VALU_DEP_2) | instskip(NEXT) | instid1(VALU_DEP_2)
	v_or_b32_e32 v8, 8, v28
	v_min_u32_e32 v29, v19, v9
	v_lshl_add_u32 v25, v28, 3, v18
	ds_store_b128 v21, v[0:3]
	ds_store_b128 v21, v[4:7] offset:16
	v_min_u32_e32 v22, v19, v8
	; wave barrier
	s_delay_alu instid0(VALU_DEP_1) | instskip(SKIP_1) | instid1(VALU_DEP_2)
	v_add_nc_u32_e32 v8, 8, v22
	v_sub_nc_u32_e32 v9, v22, v28
	v_min_u32_e32 v23, v19, v8
	s_delay_alu instid0(VALU_DEP_2) | instskip(NEXT) | instid1(VALU_DEP_2)
	v_min_u32_e32 v30, v29, v9
	v_sub_nc_u32_e32 v8, v23, v22
	s_delay_alu instid0(VALU_DEP_1) | instskip(NEXT) | instid1(VALU_DEP_1)
	v_sub_nc_u32_e64 v24, v29, v8 clamp
	v_cmpx_lt_u32_e64 v24, v30
	s_cbranch_execz .LBB1610_650
; %bb.641:
	v_lshlrev_b32_e32 v8, 3, v22
	v_lshlrev_b32_e32 v9, 3, v29
	s_lshl_b64 s[4:5], s[8:9], 3
	s_mov_b32 s13, 0
	s_delay_alu instid0(VALU_DEP_1)
	v_add3_u32 v31, v18, v8, v9
	s_branch .LBB1610_644
.LBB1610_642:                           ;   in Loop: Header=BB1610_644 Depth=1
	s_set_inst_prefetch_distance 0x2
	s_or_b32 exec_lo, exec_lo, s17
.LBB1610_643:                           ;   in Loop: Header=BB1610_644 Depth=1
	s_delay_alu instid0(VALU_DEP_1) | instskip(SKIP_1) | instid1(VALU_DEP_2)
	v_add_nc_u32_e32 v8, 1, v32
	v_cndmask_b32_e64 v30, v30, v32, s20
	v_cndmask_b32_e64 v24, v8, v24, s20
	s_delay_alu instid0(VALU_DEP_1) | instskip(SKIP_1) | instid1(SALU_CYCLE_1)
	v_cmp_ge_u32_e32 vcc_lo, v24, v30
	s_or_b32 s13, vcc_lo, s13
	s_and_not1_b32 exec_lo, exec_lo, s13
	s_cbranch_execz .LBB1610_649
.LBB1610_644:                           ; =>This Loop Header: Depth=1
                                        ;     Child Loop BB1610_647 Depth 2
	v_add_nc_u32_e32 v8, v30, v24
	s_and_not1_b32 vcc_lo, exec_lo, s16
	s_mov_b32 s20, 0
	s_delay_alu instid0(VALU_DEP_1)
	v_lshrrev_b32_e32 v32, 1, v8
	s_cbranch_vccnz .LBB1610_643
; %bb.645:                              ;   in Loop: Header=BB1610_644 Depth=1
	s_delay_alu instid0(VALU_DEP_1) | instskip(SKIP_3) | instid1(VALU_DEP_2)
	v_not_b32_e32 v8, v32
	v_lshl_add_u32 v9, v32, 3, v25
	s_mov_b32 s17, 0
	s_mov_b64 s[6:7], s[8:9]
                                        ; implicit-def: $sgpr20
                                        ; implicit-def: $sgpr21
                                        ; implicit-def: $sgpr22
                                        ; implicit-def: $sgpr23
                                        ; implicit-def: $sgpr24
	v_lshl_add_u32 v8, v8, 3, v31
	ds_load_b64 v[10:11], v8
	ds_load_b64 v[33:34], v9
	s_waitcnt lgkmcnt(1)
	v_mul_lo_u32 v35, s4, v11
	v_mul_lo_u32 v36, s5, v10
	v_mad_u64_u32 v[8:9], null, s4, v10, s[10:11]
	s_waitcnt lgkmcnt(0)
	v_mul_lo_u32 v34, s4, v34
	v_mul_lo_u32 v37, s5, v33
	v_mad_u64_u32 v[10:11], null, s4, v33, s[10:11]
	s_delay_alu instid0(VALU_DEP_4) | instskip(NEXT) | instid1(VALU_DEP_2)
	v_add3_u32 v9, v36, v9, v35
	v_add3_u32 v11, v37, v11, v34
	s_set_inst_prefetch_distance 0x1
	s_branch .LBB1610_647
	.p2align	6
.LBB1610_646:                           ;   in Loop: Header=BB1610_647 Depth=2
	s_or_b32 exec_lo, exec_lo, s25
	s_delay_alu instid0(SALU_CYCLE_1) | instskip(NEXT) | instid1(SALU_CYCLE_1)
	s_and_b32 s3, exec_lo, s21
	s_or_b32 s17, s3, s17
	s_and_not1_b32 s3, s24, exec_lo
	s_and_b32 s24, s22, exec_lo
	s_and_not1_b32 s20, s20, exec_lo
	s_and_b32 s25, s23, exec_lo
	s_or_b32 s24, s3, s24
	s_or_b32 s20, s20, s25
	s_and_not1_b32 exec_lo, exec_lo, s17
	s_cbranch_execz .LBB1610_642
.LBB1610_647:                           ;   Parent Loop BB1610_644 Depth=1
                                        ; =>  This Inner Loop Header: Depth=2
	global_load_b64 v[33:34], v[8:9], off
	global_load_b64 v[35:36], v[10:11], off
	s_and_not1_b32 s23, s23, exec_lo
	s_and_not1_b32 s22, s22, exec_lo
	s_or_b32 s21, s21, exec_lo
	s_waitcnt vmcnt(0)
	v_cmp_le_u64_e32 vcc_lo, v[33:34], v[35:36]
	v_cmp_lt_u64_e64 s3, v[33:34], v[35:36]
	s_and_b32 s25, vcc_lo, s24
	s_delay_alu instid0(VALU_DEP_1) | instid1(SALU_CYCLE_1)
	s_or_b32 s3, s3, s25
	s_delay_alu instid0(SALU_CYCLE_1) | instskip(NEXT) | instid1(SALU_CYCLE_1)
	s_and_b32 s25, s3, exec_lo
	s_or_b32 s23, s23, s25
	s_mov_b32 s25, exec_lo
	v_cmpx_eq_u64_e64 v[33:34], v[35:36]
	s_cbranch_execz .LBB1610_646
; %bb.648:                              ;   in Loop: Header=BB1610_647 Depth=2
	s_add_u32 s6, s6, -1
	s_addc_u32 s7, s7, -1
	v_add_co_u32 v8, vcc_lo, v8, 8
	v_add_co_ci_u32_e32 v9, vcc_lo, 0, v9, vcc_lo
	s_cmp_eq_u64 s[6:7], 0
	v_add_co_u32 v10, vcc_lo, v10, 8
	s_cselect_b32 s24, -1, 0
	v_add_co_ci_u32_e32 v11, vcc_lo, 0, v11, vcc_lo
	s_and_not1_b32 s22, s22, exec_lo
	s_and_b32 s3, s3, exec_lo
	s_and_not1_b32 s21, s21, exec_lo
	s_and_b32 s24, s24, exec_lo
	s_and_not1_b32 s23, s23, exec_lo
	s_or_b32 s22, s22, s3
	s_or_b32 s21, s21, s24
                                        ; implicit-def: $sgpr24
	s_branch .LBB1610_646
.LBB1610_649:
	s_or_b32 exec_lo, exec_lo, s13
.LBB1610_650:
	s_delay_alu instid0(SALU_CYCLE_1) | instskip(SKIP_2) | instid1(VALU_DEP_2)
	s_or_b32 exec_lo, exec_lo, s12
	v_add_nc_u32_e32 v9, v22, v29
	v_add_nc_u32_e32 v8, v24, v28
	v_sub_nc_u32_e32 v9, v9, v24
	s_delay_alu instid0(VALU_DEP_2) | instskip(NEXT) | instid1(VALU_DEP_2)
	v_cmp_le_u32_e32 vcc_lo, v8, v22
	v_cmp_le_u32_e64 s3, v9, v23
	s_delay_alu instid0(VALU_DEP_1) | instskip(NEXT) | instid1(SALU_CYCLE_1)
	s_or_b32 s3, vcc_lo, s3
	s_and_saveexec_b32 s6, s3
	s_cbranch_execz .LBB1610_697
; %bb.651:
	v_cmp_ge_u32_e32 vcc_lo, v8, v22
	s_mov_b32 s4, exec_lo
                                        ; implicit-def: $vgpr0_vgpr1
	v_cmpx_lt_u32_e64 v8, v22
	s_cbranch_execz .LBB1610_653
; %bb.652:
	v_lshl_add_u32 v0, v24, 3, v25
	ds_load_b64 v[0:1], v0
.LBB1610_653:
	s_or_b32 exec_lo, exec_lo, s4
	v_cmp_ge_u32_e64 s7, v9, v23
	s_mov_b32 s4, exec_lo
                                        ; implicit-def: $vgpr2_vgpr3
	v_cmpx_lt_u32_e64 v9, v23
	s_cbranch_execz .LBB1610_655
; %bb.654:
	v_lshl_add_u32 v2, v9, 3, v18
	ds_load_b64 v[2:3], v2
.LBB1610_655:
	s_or_b32 exec_lo, exec_lo, s4
	s_or_b32 s3, vcc_lo, s7
	s_mov_b32 s12, -1
	s_xor_b32 s3, s3, -1
	s_delay_alu instid0(SALU_CYCLE_1)
	s_and_saveexec_b32 s13, s3
	s_cbranch_execz .LBB1610_664
; %bb.656:
	s_and_not1_b32 vcc_lo, exec_lo, s16
	s_cbranch_vccnz .LBB1610_662
; %bb.657:
	s_waitcnt lgkmcnt(0)
	v_mul_lo_u32 v10, v3, s8
	v_mul_lo_u32 v11, v2, s9
	v_mad_u64_u32 v[4:5], null, v2, s8, 0
	v_mul_lo_u32 v24, v1, s8
	v_mul_lo_u32 v25, v0, s9
	v_mad_u64_u32 v[6:7], null, v0, s8, 0
	s_mov_b32 s17, 0
	s_mov_b64 s[4:5], s[8:9]
	s_delay_alu instid0(VALU_DEP_4) | instskip(NEXT) | instid1(VALU_DEP_2)
	v_add3_u32 v5, v5, v11, v10
                                        ; implicit-def: $sgpr20
                                        ; implicit-def: $sgpr21
                                        ; implicit-def: $sgpr22
                                        ; implicit-def: $sgpr23
                                        ; implicit-def: $sgpr24
	v_add3_u32 v7, v7, v25, v24
	s_delay_alu instid0(VALU_DEP_2) | instskip(NEXT) | instid1(VALU_DEP_2)
	v_lshlrev_b64 v[4:5], 3, v[4:5]
	v_lshlrev_b64 v[6:7], 3, v[6:7]
	s_delay_alu instid0(VALU_DEP_2) | instskip(NEXT) | instid1(VALU_DEP_3)
	v_add_co_u32 v4, vcc_lo, s10, v4
	v_add_co_ci_u32_e32 v5, vcc_lo, s11, v5, vcc_lo
	s_delay_alu instid0(VALU_DEP_3) | instskip(NEXT) | instid1(VALU_DEP_4)
	v_add_co_u32 v6, vcc_lo, s10, v6
	v_add_co_ci_u32_e32 v7, vcc_lo, s11, v7, vcc_lo
	s_set_inst_prefetch_distance 0x1
	s_branch .LBB1610_659
	.p2align	6
.LBB1610_658:                           ;   in Loop: Header=BB1610_659 Depth=1
	s_or_b32 exec_lo, exec_lo, s3
	s_delay_alu instid0(SALU_CYCLE_1) | instskip(NEXT) | instid1(SALU_CYCLE_1)
	s_and_b32 s3, exec_lo, s21
	s_or_b32 s17, s3, s17
	s_and_not1_b32 s3, s24, exec_lo
	s_and_b32 s24, s23, exec_lo
	s_and_not1_b32 s20, s20, exec_lo
	s_and_b32 s25, s22, exec_lo
	s_or_b32 s24, s3, s24
	s_or_b32 s20, s20, s25
	s_and_not1_b32 exec_lo, exec_lo, s17
	s_cbranch_execz .LBB1610_661
.LBB1610_659:                           ; =>This Inner Loop Header: Depth=1
	global_load_b64 v[10:11], v[4:5], off
	global_load_b64 v[24:25], v[6:7], off
	s_and_not1_b32 s22, s22, exec_lo
	s_and_not1_b32 s23, s23, exec_lo
	s_or_b32 s21, s21, exec_lo
	s_waitcnt vmcnt(0)
	v_cmp_le_u64_e32 vcc_lo, v[10:11], v[24:25]
	v_cmp_lt_u64_e64 s3, v[10:11], v[24:25]
	s_and_b32 s25, vcc_lo, s24
	s_delay_alu instid0(VALU_DEP_1) | instid1(SALU_CYCLE_1)
	s_or_b32 s25, s3, s25
	s_delay_alu instid0(SALU_CYCLE_1) | instskip(NEXT) | instid1(SALU_CYCLE_1)
	s_and_b32 s3, s25, exec_lo
	s_or_b32 s22, s22, s3
	s_mov_b32 s3, exec_lo
	v_cmpx_eq_u64_e64 v[10:11], v[24:25]
	s_cbranch_execz .LBB1610_658
; %bb.660:                              ;   in Loop: Header=BB1610_659 Depth=1
	s_add_u32 s4, s4, -1
	s_addc_u32 s5, s5, -1
	v_add_co_u32 v4, vcc_lo, v4, 8
	s_cmp_eq_u64 s[4:5], 0
	v_add_co_ci_u32_e32 v5, vcc_lo, 0, v5, vcc_lo
	v_add_co_u32 v6, vcc_lo, v6, 8
	s_cselect_b32 s24, -1, 0
	v_add_co_ci_u32_e32 v7, vcc_lo, 0, v7, vcc_lo
	s_and_not1_b32 s23, s23, exec_lo
	s_and_b32 s25, s25, exec_lo
	s_and_not1_b32 s21, s21, exec_lo
	s_and_b32 s24, s24, exec_lo
	s_or_b32 s23, s23, s25
	s_and_not1_b32 s22, s22, exec_lo
	s_or_b32 s21, s21, s24
                                        ; implicit-def: $sgpr24
	s_branch .LBB1610_658
.LBB1610_661:
	s_set_inst_prefetch_distance 0x2
	s_or_b32 exec_lo, exec_lo, s17
	s_xor_b32 s3, s20, -1
	s_branch .LBB1610_663
.LBB1610_662:
	s_mov_b32 s3, -1
.LBB1610_663:
	s_and_not1_b32 s4, s7, exec_lo
	s_and_b32 s3, s3, exec_lo
	s_delay_alu instid0(SALU_CYCLE_1)
	s_or_b32 s7, s4, s3
.LBB1610_664:
	s_or_b32 exec_lo, exec_lo, s13
	v_cndmask_b32_e64 v4, v9, v8, s7
	v_cndmask_b32_e64 v5, v23, v22, s7
	s_mov_b32 s13, exec_lo
	s_delay_alu instid0(VALU_DEP_2) | instskip(NEXT) | instid1(VALU_DEP_2)
	v_add_nc_u32_e32 v6, 1, v4
	v_add_nc_u32_e32 v4, -1, v5
	s_delay_alu instid0(VALU_DEP_2) | instskip(NEXT) | instid1(VALU_DEP_2)
	v_cndmask_b32_e64 v9, v6, v9, s7
	v_min_u32_e32 v4, v6, v4
	v_cndmask_b32_e64 v8, v8, v6, s7
	s_delay_alu instid0(VALU_DEP_2)
	v_lshl_add_u32 v4, v4, 3, v18
	ds_load_b64 v[4:5], v4
	s_waitcnt lgkmcnt(0)
	v_cndmask_b32_e64 v24, v5, v3, s7
	v_cndmask_b32_e64 v25, v4, v2, s7
	v_cndmask_b32_e64 v28, v1, v5, s7
	v_cndmask_b32_e64 v29, v0, v4, s7
	v_cmpx_lt_u32_e64 v9, v23
	s_cbranch_execz .LBB1610_675
; %bb.665:
	s_mov_b32 s3, 0
	s_mov_b32 s12, exec_lo
	v_cmpx_lt_u32_e64 v8, v22
	s_cbranch_execz .LBB1610_674
; %bb.666:
	s_and_not1_b32 vcc_lo, exec_lo, s16
	s_cbranch_vccnz .LBB1610_672
; %bb.667:
	v_mul_lo_u32 v10, v24, s8
	v_mul_lo_u32 v11, v25, s9
	v_mad_u64_u32 v[4:5], null, v25, s8, 0
	v_mul_lo_u32 v30, v28, s8
	v_mul_lo_u32 v31, v29, s9
	v_mad_u64_u32 v[6:7], null, v29, s8, 0
	s_mov_b32 s17, 0
	s_mov_b64 s[4:5], s[8:9]
	s_delay_alu instid0(VALU_DEP_4) | instskip(NEXT) | instid1(VALU_DEP_2)
	v_add3_u32 v5, v5, v11, v10
                                        ; implicit-def: $sgpr20
                                        ; implicit-def: $sgpr21
                                        ; implicit-def: $sgpr22
                                        ; implicit-def: $sgpr23
                                        ; implicit-def: $sgpr24
	v_add3_u32 v7, v7, v31, v30
	s_delay_alu instid0(VALU_DEP_2) | instskip(NEXT) | instid1(VALU_DEP_2)
	v_lshlrev_b64 v[4:5], 3, v[4:5]
	v_lshlrev_b64 v[6:7], 3, v[6:7]
	s_delay_alu instid0(VALU_DEP_2) | instskip(NEXT) | instid1(VALU_DEP_3)
	v_add_co_u32 v4, vcc_lo, s10, v4
	v_add_co_ci_u32_e32 v5, vcc_lo, s11, v5, vcc_lo
	s_delay_alu instid0(VALU_DEP_3) | instskip(NEXT) | instid1(VALU_DEP_4)
	v_add_co_u32 v6, vcc_lo, s10, v6
	v_add_co_ci_u32_e32 v7, vcc_lo, s11, v7, vcc_lo
	s_set_inst_prefetch_distance 0x1
	s_branch .LBB1610_669
	.p2align	6
.LBB1610_668:                           ;   in Loop: Header=BB1610_669 Depth=1
	s_or_b32 exec_lo, exec_lo, s3
	s_delay_alu instid0(SALU_CYCLE_1) | instskip(NEXT) | instid1(SALU_CYCLE_1)
	s_and_b32 s3, exec_lo, s21
	s_or_b32 s17, s3, s17
	s_and_not1_b32 s3, s24, exec_lo
	s_and_b32 s24, s23, exec_lo
	s_and_not1_b32 s20, s20, exec_lo
	s_and_b32 s25, s22, exec_lo
	s_or_b32 s24, s3, s24
	s_or_b32 s20, s20, s25
	s_and_not1_b32 exec_lo, exec_lo, s17
	s_cbranch_execz .LBB1610_671
.LBB1610_669:                           ; =>This Inner Loop Header: Depth=1
	global_load_b64 v[10:11], v[4:5], off
	global_load_b64 v[30:31], v[6:7], off
	s_and_not1_b32 s22, s22, exec_lo
	s_and_not1_b32 s23, s23, exec_lo
	s_or_b32 s21, s21, exec_lo
	s_waitcnt vmcnt(0)
	v_cmp_le_u64_e32 vcc_lo, v[10:11], v[30:31]
	v_cmp_lt_u64_e64 s3, v[10:11], v[30:31]
	s_and_b32 s25, vcc_lo, s24
	s_delay_alu instid0(VALU_DEP_1) | instid1(SALU_CYCLE_1)
	s_or_b32 s25, s3, s25
	s_delay_alu instid0(SALU_CYCLE_1) | instskip(NEXT) | instid1(SALU_CYCLE_1)
	s_and_b32 s3, s25, exec_lo
	s_or_b32 s22, s22, s3
	s_mov_b32 s3, exec_lo
	v_cmpx_eq_u64_e64 v[10:11], v[30:31]
	s_cbranch_execz .LBB1610_668
; %bb.670:                              ;   in Loop: Header=BB1610_669 Depth=1
	s_add_u32 s4, s4, -1
	s_addc_u32 s5, s5, -1
	v_add_co_u32 v4, vcc_lo, v4, 8
	s_cmp_eq_u64 s[4:5], 0
	v_add_co_ci_u32_e32 v5, vcc_lo, 0, v5, vcc_lo
	v_add_co_u32 v6, vcc_lo, v6, 8
	s_cselect_b32 s24, -1, 0
	v_add_co_ci_u32_e32 v7, vcc_lo, 0, v7, vcc_lo
	s_and_not1_b32 s23, s23, exec_lo
	s_and_b32 s25, s25, exec_lo
	s_and_not1_b32 s21, s21, exec_lo
	s_and_b32 s24, s24, exec_lo
	s_or_b32 s23, s23, s25
	s_and_not1_b32 s22, s22, exec_lo
	s_or_b32 s21, s21, s24
                                        ; implicit-def: $sgpr24
	s_branch .LBB1610_668
.LBB1610_671:
	s_set_inst_prefetch_distance 0x2
	s_or_b32 exec_lo, exec_lo, s17
	s_xor_b32 s3, s20, -1
	s_branch .LBB1610_673
.LBB1610_672:
	s_mov_b32 s3, -1
.LBB1610_673:
	s_delay_alu instid0(SALU_CYCLE_1)
	s_and_b32 s3, s3, exec_lo
.LBB1610_674:
	s_or_b32 exec_lo, exec_lo, s12
	s_delay_alu instid0(SALU_CYCLE_1)
	s_or_not1_b32 s12, s3, exec_lo
.LBB1610_675:
	s_or_b32 exec_lo, exec_lo, s13
	v_cndmask_b32_e64 v4, v9, v8, s12
	v_cndmask_b32_e64 v5, v23, v22, s12
	s_mov_b32 s13, -1
	s_mov_b32 s17, exec_lo
	s_delay_alu instid0(VALU_DEP_2) | instskip(NEXT) | instid1(VALU_DEP_2)
	v_add_nc_u32_e32 v6, 1, v4
	v_add_nc_u32_e32 v4, -1, v5
	s_delay_alu instid0(VALU_DEP_2) | instskip(NEXT) | instid1(VALU_DEP_2)
	v_cndmask_b32_e64 v9, v6, v9, s12
	v_min_u32_e32 v4, v6, v4
	v_cndmask_b32_e64 v8, v8, v6, s12
	s_delay_alu instid0(VALU_DEP_2)
	v_lshl_add_u32 v4, v4, 3, v18
	ds_load_b64 v[4:5], v4
	s_waitcnt lgkmcnt(0)
	v_cndmask_b32_e64 v30, v5, v24, s12
	v_cndmask_b32_e64 v31, v4, v25, s12
	;; [unrolled: 1-line block ×4, first 2 shown]
	v_cmpx_lt_u32_e64 v9, v23
	s_cbranch_execz .LBB1610_686
; %bb.676:
	s_mov_b32 s3, 0
	s_mov_b32 s13, exec_lo
	v_cmpx_lt_u32_e64 v8, v22
	s_cbranch_execz .LBB1610_685
; %bb.677:
	s_and_not1_b32 vcc_lo, exec_lo, s16
	s_cbranch_vccnz .LBB1610_683
; %bb.678:
	v_mul_lo_u32 v10, v30, s8
	v_mul_lo_u32 v11, v31, s9
	v_mad_u64_u32 v[4:5], null, v31, s8, 0
	v_mul_lo_u32 v34, v32, s8
	v_mul_lo_u32 v35, v33, s9
	v_mad_u64_u32 v[6:7], null, v33, s8, 0
	s_mov_b32 s20, 0
	s_mov_b64 s[4:5], s[8:9]
	s_delay_alu instid0(VALU_DEP_4) | instskip(NEXT) | instid1(VALU_DEP_2)
	v_add3_u32 v5, v5, v11, v10
                                        ; implicit-def: $sgpr21
                                        ; implicit-def: $sgpr22
                                        ; implicit-def: $sgpr23
                                        ; implicit-def: $sgpr24
                                        ; implicit-def: $sgpr25
	v_add3_u32 v7, v7, v35, v34
	s_delay_alu instid0(VALU_DEP_2) | instskip(NEXT) | instid1(VALU_DEP_2)
	v_lshlrev_b64 v[4:5], 3, v[4:5]
	v_lshlrev_b64 v[6:7], 3, v[6:7]
	s_delay_alu instid0(VALU_DEP_2) | instskip(NEXT) | instid1(VALU_DEP_3)
	v_add_co_u32 v4, vcc_lo, s10, v4
	v_add_co_ci_u32_e32 v5, vcc_lo, s11, v5, vcc_lo
	s_delay_alu instid0(VALU_DEP_3) | instskip(NEXT) | instid1(VALU_DEP_4)
	v_add_co_u32 v6, vcc_lo, s10, v6
	v_add_co_ci_u32_e32 v7, vcc_lo, s11, v7, vcc_lo
	s_set_inst_prefetch_distance 0x1
	s_branch .LBB1610_680
	.p2align	6
.LBB1610_679:                           ;   in Loop: Header=BB1610_680 Depth=1
	s_or_b32 exec_lo, exec_lo, s3
	s_delay_alu instid0(SALU_CYCLE_1) | instskip(NEXT) | instid1(SALU_CYCLE_1)
	s_and_b32 s3, exec_lo, s22
	s_or_b32 s20, s3, s20
	s_and_not1_b32 s3, s25, exec_lo
	s_and_b32 s25, s24, exec_lo
	s_and_not1_b32 s21, s21, exec_lo
	s_and_b32 s26, s23, exec_lo
	s_or_b32 s25, s3, s25
	s_or_b32 s21, s21, s26
	s_and_not1_b32 exec_lo, exec_lo, s20
	s_cbranch_execz .LBB1610_682
.LBB1610_680:                           ; =>This Inner Loop Header: Depth=1
	global_load_b64 v[10:11], v[4:5], off
	global_load_b64 v[34:35], v[6:7], off
	s_and_not1_b32 s23, s23, exec_lo
	s_and_not1_b32 s24, s24, exec_lo
	s_or_b32 s22, s22, exec_lo
	s_waitcnt vmcnt(0)
	v_cmp_le_u64_e32 vcc_lo, v[10:11], v[34:35]
	v_cmp_lt_u64_e64 s3, v[10:11], v[34:35]
	s_and_b32 s26, vcc_lo, s25
	s_delay_alu instid0(VALU_DEP_1) | instid1(SALU_CYCLE_1)
	s_or_b32 s26, s3, s26
	s_delay_alu instid0(SALU_CYCLE_1) | instskip(NEXT) | instid1(SALU_CYCLE_1)
	s_and_b32 s3, s26, exec_lo
	s_or_b32 s23, s23, s3
	s_mov_b32 s3, exec_lo
	v_cmpx_eq_u64_e64 v[10:11], v[34:35]
	s_cbranch_execz .LBB1610_679
; %bb.681:                              ;   in Loop: Header=BB1610_680 Depth=1
	s_add_u32 s4, s4, -1
	s_addc_u32 s5, s5, -1
	v_add_co_u32 v4, vcc_lo, v4, 8
	s_cmp_eq_u64 s[4:5], 0
	v_add_co_ci_u32_e32 v5, vcc_lo, 0, v5, vcc_lo
	v_add_co_u32 v6, vcc_lo, v6, 8
	s_cselect_b32 s25, -1, 0
	v_add_co_ci_u32_e32 v7, vcc_lo, 0, v7, vcc_lo
	s_and_not1_b32 s24, s24, exec_lo
	s_and_b32 s26, s26, exec_lo
	s_and_not1_b32 s22, s22, exec_lo
	s_and_b32 s25, s25, exec_lo
	s_or_b32 s24, s24, s26
	s_and_not1_b32 s23, s23, exec_lo
	s_or_b32 s22, s22, s25
                                        ; implicit-def: $sgpr25
	s_branch .LBB1610_679
.LBB1610_682:
	s_set_inst_prefetch_distance 0x2
	s_or_b32 exec_lo, exec_lo, s20
	s_xor_b32 s3, s21, -1
	s_branch .LBB1610_684
.LBB1610_683:
	s_mov_b32 s3, -1
.LBB1610_684:
	s_delay_alu instid0(SALU_CYCLE_1)
	s_and_b32 s3, s3, exec_lo
.LBB1610_685:
	s_or_b32 exec_lo, exec_lo, s13
	s_delay_alu instid0(SALU_CYCLE_1)
	s_or_not1_b32 s13, s3, exec_lo
.LBB1610_686:
	s_or_b32 exec_lo, exec_lo, s17
	v_cndmask_b32_e64 v4, v9, v8, s13
	v_cndmask_b32_e64 v5, v23, v22, s13
	s_mov_b32 s17, exec_lo
	s_delay_alu instid0(VALU_DEP_2) | instskip(NEXT) | instid1(VALU_DEP_2)
	v_add_nc_u32_e32 v10, 1, v4
	v_add_nc_u32_e32 v4, -1, v5
	s_delay_alu instid0(VALU_DEP_2) | instskip(NEXT) | instid1(VALU_DEP_2)
	v_cndmask_b32_e64 v9, v10, v9, s13
	v_min_u32_e32 v4, v10, v4
	s_delay_alu instid0(VALU_DEP_1)
	v_lshl_add_u32 v4, v4, 3, v18
	ds_load_b64 v[4:5], v4
	s_waitcnt lgkmcnt(0)
	v_cndmask_b32_e64 v7, v32, v5, s13
	v_cndmask_b32_e64 v6, v33, v4, s13
	v_cmpx_lt_u32_e64 v9, v23
	s_cbranch_execz .LBB1610_696
; %bb.687:
	v_cndmask_b32_e64 v8, v8, v10, s13
	v_cndmask_b32_e64 v5, v5, v30, s13
	;; [unrolled: 1-line block ×3, first 2 shown]
	s_mov_b32 s20, exec_lo
	s_delay_alu instid0(VALU_DEP_3)
	v_cmpx_lt_u32_e64 v8, v22
	s_cbranch_execz .LBB1610_695
; %bb.688:
	s_and_not1_b32 vcc_lo, exec_lo, s16
	s_cbranch_vccnz .LBB1610_694
; %bb.689:
	v_mul_lo_u32 v22, v5, s8
	v_mul_lo_u32 v23, v4, s9
	v_mad_u64_u32 v[8:9], null, v4, s8, 0
	v_mul_lo_u32 v34, v7, s8
	v_mul_lo_u32 v35, v6, s9
	v_mad_u64_u32 v[10:11], null, v6, s8, 0
	s_mov_b32 s21, 0
	s_mov_b64 s[4:5], s[8:9]
	s_delay_alu instid0(VALU_DEP_4) | instskip(NEXT) | instid1(VALU_DEP_2)
	v_add3_u32 v9, v9, v23, v22
                                        ; implicit-def: $sgpr22
                                        ; implicit-def: $sgpr23
                                        ; implicit-def: $sgpr24
                                        ; implicit-def: $sgpr25
                                        ; implicit-def: $sgpr26
	v_add3_u32 v11, v11, v35, v34
	s_delay_alu instid0(VALU_DEP_2) | instskip(NEXT) | instid1(VALU_DEP_2)
	v_lshlrev_b64 v[8:9], 3, v[8:9]
	v_lshlrev_b64 v[10:11], 3, v[10:11]
	s_delay_alu instid0(VALU_DEP_2) | instskip(NEXT) | instid1(VALU_DEP_3)
	v_add_co_u32 v8, vcc_lo, s10, v8
	v_add_co_ci_u32_e32 v9, vcc_lo, s11, v9, vcc_lo
	s_delay_alu instid0(VALU_DEP_3) | instskip(NEXT) | instid1(VALU_DEP_4)
	v_add_co_u32 v10, vcc_lo, s10, v10
	v_add_co_ci_u32_e32 v11, vcc_lo, s11, v11, vcc_lo
	s_set_inst_prefetch_distance 0x1
	s_branch .LBB1610_691
	.p2align	6
.LBB1610_690:                           ;   in Loop: Header=BB1610_691 Depth=1
	s_or_b32 exec_lo, exec_lo, s3
	s_delay_alu instid0(SALU_CYCLE_1) | instskip(NEXT) | instid1(SALU_CYCLE_1)
	s_and_b32 s3, exec_lo, s23
	s_or_b32 s21, s3, s21
	s_and_not1_b32 s3, s26, exec_lo
	s_and_b32 s26, s25, exec_lo
	s_and_not1_b32 s22, s22, exec_lo
	s_and_b32 s27, s24, exec_lo
	s_or_b32 s26, s3, s26
	s_or_b32 s22, s22, s27
	s_and_not1_b32 exec_lo, exec_lo, s21
	s_cbranch_execz .LBB1610_693
.LBB1610_691:                           ; =>This Inner Loop Header: Depth=1
	global_load_b64 v[22:23], v[8:9], off
	global_load_b64 v[34:35], v[10:11], off
	s_and_not1_b32 s24, s24, exec_lo
	s_and_not1_b32 s25, s25, exec_lo
	s_or_b32 s23, s23, exec_lo
	s_waitcnt vmcnt(0)
	v_cmp_le_u64_e32 vcc_lo, v[22:23], v[34:35]
	v_cmp_lt_u64_e64 s3, v[22:23], v[34:35]
	s_and_b32 s27, vcc_lo, s26
	s_delay_alu instid0(VALU_DEP_1) | instid1(SALU_CYCLE_1)
	s_or_b32 s27, s3, s27
	s_delay_alu instid0(SALU_CYCLE_1) | instskip(NEXT) | instid1(SALU_CYCLE_1)
	s_and_b32 s3, s27, exec_lo
	s_or_b32 s24, s24, s3
	s_mov_b32 s3, exec_lo
	v_cmpx_eq_u64_e64 v[22:23], v[34:35]
	s_cbranch_execz .LBB1610_690
; %bb.692:                              ;   in Loop: Header=BB1610_691 Depth=1
	s_add_u32 s4, s4, -1
	s_addc_u32 s5, s5, -1
	v_add_co_u32 v8, vcc_lo, v8, 8
	s_cmp_eq_u64 s[4:5], 0
	v_add_co_ci_u32_e32 v9, vcc_lo, 0, v9, vcc_lo
	v_add_co_u32 v10, vcc_lo, v10, 8
	s_cselect_b32 s26, -1, 0
	v_add_co_ci_u32_e32 v11, vcc_lo, 0, v11, vcc_lo
	s_and_not1_b32 s25, s25, exec_lo
	s_and_b32 s27, s27, exec_lo
	s_and_not1_b32 s23, s23, exec_lo
	s_and_b32 s26, s26, exec_lo
	s_or_b32 s25, s25, s27
	s_and_not1_b32 s24, s24, exec_lo
	s_or_b32 s23, s23, s26
                                        ; implicit-def: $sgpr26
	s_branch .LBB1610_690
.LBB1610_693:
	s_set_inst_prefetch_distance 0x2
	s_or_b32 exec_lo, exec_lo, s21
	v_cndmask_b32_e64 v7, v7, v5, s22
	v_cndmask_b32_e64 v6, v6, v4, s22
.LBB1610_694:
	s_delay_alu instid0(VALU_DEP_1)
	v_dual_mov_b32 v4, v6 :: v_dual_mov_b32 v5, v7
.LBB1610_695:
	s_or_b32 exec_lo, exec_lo, s20
	s_delay_alu instid0(VALU_DEP_1)
	v_dual_mov_b32 v7, v5 :: v_dual_mov_b32 v6, v4
.LBB1610_696:
	s_or_b32 exec_lo, exec_lo, s17
	v_cndmask_b32_e64 v1, v3, v1, s7
	v_cndmask_b32_e64 v0, v2, v0, s7
	;; [unrolled: 1-line block ×6, first 2 shown]
.LBB1610_697:
	s_or_b32 exec_lo, exec_lo, s6
	v_and_b32_e32 v28, 0x60, v20
	v_and_b32_e32 v9, 28, v20
	s_mov_b32 s12, exec_lo
	; wave barrier
	s_delay_alu instid0(VALU_DEP_2) | instskip(NEXT) | instid1(VALU_DEP_2)
	v_or_b32_e32 v8, 16, v28
	v_min_u32_e32 v29, v19, v9
	v_lshl_add_u32 v25, v28, 3, v18
	ds_store_b128 v21, v[0:3]
	ds_store_b128 v21, v[4:7] offset:16
	v_min_u32_e32 v22, v19, v8
	; wave barrier
	s_delay_alu instid0(VALU_DEP_1) | instskip(SKIP_1) | instid1(VALU_DEP_2)
	v_add_nc_u32_e32 v8, 16, v22
	v_sub_nc_u32_e32 v9, v22, v28
	v_min_u32_e32 v23, v19, v8
	s_delay_alu instid0(VALU_DEP_2) | instskip(NEXT) | instid1(VALU_DEP_2)
	v_min_u32_e32 v30, v29, v9
	v_sub_nc_u32_e32 v8, v23, v22
	s_delay_alu instid0(VALU_DEP_1) | instskip(NEXT) | instid1(VALU_DEP_1)
	v_sub_nc_u32_e64 v24, v29, v8 clamp
	v_cmpx_lt_u32_e64 v24, v30
	s_cbranch_execz .LBB1610_707
; %bb.698:
	v_lshlrev_b32_e32 v8, 3, v22
	v_lshlrev_b32_e32 v9, 3, v29
	s_lshl_b64 s[4:5], s[8:9], 3
	s_mov_b32 s13, 0
	s_delay_alu instid0(VALU_DEP_1)
	v_add3_u32 v31, v18, v8, v9
	s_branch .LBB1610_701
.LBB1610_699:                           ;   in Loop: Header=BB1610_701 Depth=1
	s_set_inst_prefetch_distance 0x2
	s_or_b32 exec_lo, exec_lo, s17
.LBB1610_700:                           ;   in Loop: Header=BB1610_701 Depth=1
	s_delay_alu instid0(VALU_DEP_1) | instskip(SKIP_1) | instid1(VALU_DEP_2)
	v_add_nc_u32_e32 v8, 1, v32
	v_cndmask_b32_e64 v30, v30, v32, s20
	v_cndmask_b32_e64 v24, v8, v24, s20
	s_delay_alu instid0(VALU_DEP_1) | instskip(SKIP_1) | instid1(SALU_CYCLE_1)
	v_cmp_ge_u32_e32 vcc_lo, v24, v30
	s_or_b32 s13, vcc_lo, s13
	s_and_not1_b32 exec_lo, exec_lo, s13
	s_cbranch_execz .LBB1610_706
.LBB1610_701:                           ; =>This Loop Header: Depth=1
                                        ;     Child Loop BB1610_704 Depth 2
	v_add_nc_u32_e32 v8, v30, v24
	s_and_not1_b32 vcc_lo, exec_lo, s16
	s_mov_b32 s20, 0
	s_delay_alu instid0(VALU_DEP_1)
	v_lshrrev_b32_e32 v32, 1, v8
	s_cbranch_vccnz .LBB1610_700
; %bb.702:                              ;   in Loop: Header=BB1610_701 Depth=1
	s_delay_alu instid0(VALU_DEP_1) | instskip(SKIP_3) | instid1(VALU_DEP_2)
	v_not_b32_e32 v8, v32
	v_lshl_add_u32 v9, v32, 3, v25
	s_mov_b32 s17, 0
	s_mov_b64 s[6:7], s[8:9]
                                        ; implicit-def: $sgpr20
                                        ; implicit-def: $sgpr21
                                        ; implicit-def: $sgpr22
                                        ; implicit-def: $sgpr23
                                        ; implicit-def: $sgpr24
	v_lshl_add_u32 v8, v8, 3, v31
	ds_load_b64 v[10:11], v8
	ds_load_b64 v[33:34], v9
	s_waitcnt lgkmcnt(1)
	v_mul_lo_u32 v35, s4, v11
	v_mul_lo_u32 v36, s5, v10
	v_mad_u64_u32 v[8:9], null, s4, v10, s[10:11]
	s_waitcnt lgkmcnt(0)
	v_mul_lo_u32 v34, s4, v34
	v_mul_lo_u32 v37, s5, v33
	v_mad_u64_u32 v[10:11], null, s4, v33, s[10:11]
	s_delay_alu instid0(VALU_DEP_4) | instskip(NEXT) | instid1(VALU_DEP_2)
	v_add3_u32 v9, v36, v9, v35
	v_add3_u32 v11, v37, v11, v34
	s_set_inst_prefetch_distance 0x1
	s_branch .LBB1610_704
	.p2align	6
.LBB1610_703:                           ;   in Loop: Header=BB1610_704 Depth=2
	s_or_b32 exec_lo, exec_lo, s25
	s_delay_alu instid0(SALU_CYCLE_1) | instskip(NEXT) | instid1(SALU_CYCLE_1)
	s_and_b32 s3, exec_lo, s21
	s_or_b32 s17, s3, s17
	s_and_not1_b32 s3, s24, exec_lo
	s_and_b32 s24, s22, exec_lo
	s_and_not1_b32 s20, s20, exec_lo
	s_and_b32 s25, s23, exec_lo
	s_or_b32 s24, s3, s24
	s_or_b32 s20, s20, s25
	s_and_not1_b32 exec_lo, exec_lo, s17
	s_cbranch_execz .LBB1610_699
.LBB1610_704:                           ;   Parent Loop BB1610_701 Depth=1
                                        ; =>  This Inner Loop Header: Depth=2
	global_load_b64 v[33:34], v[8:9], off
	global_load_b64 v[35:36], v[10:11], off
	s_and_not1_b32 s23, s23, exec_lo
	s_and_not1_b32 s22, s22, exec_lo
	s_or_b32 s21, s21, exec_lo
	s_waitcnt vmcnt(0)
	v_cmp_le_u64_e32 vcc_lo, v[33:34], v[35:36]
	v_cmp_lt_u64_e64 s3, v[33:34], v[35:36]
	s_and_b32 s25, vcc_lo, s24
	s_delay_alu instid0(VALU_DEP_1) | instid1(SALU_CYCLE_1)
	s_or_b32 s3, s3, s25
	s_delay_alu instid0(SALU_CYCLE_1) | instskip(NEXT) | instid1(SALU_CYCLE_1)
	s_and_b32 s25, s3, exec_lo
	s_or_b32 s23, s23, s25
	s_mov_b32 s25, exec_lo
	v_cmpx_eq_u64_e64 v[33:34], v[35:36]
	s_cbranch_execz .LBB1610_703
; %bb.705:                              ;   in Loop: Header=BB1610_704 Depth=2
	s_add_u32 s6, s6, -1
	s_addc_u32 s7, s7, -1
	v_add_co_u32 v8, vcc_lo, v8, 8
	v_add_co_ci_u32_e32 v9, vcc_lo, 0, v9, vcc_lo
	s_cmp_eq_u64 s[6:7], 0
	v_add_co_u32 v10, vcc_lo, v10, 8
	s_cselect_b32 s24, -1, 0
	v_add_co_ci_u32_e32 v11, vcc_lo, 0, v11, vcc_lo
	s_and_not1_b32 s22, s22, exec_lo
	s_and_b32 s3, s3, exec_lo
	s_and_not1_b32 s21, s21, exec_lo
	s_and_b32 s24, s24, exec_lo
	s_and_not1_b32 s23, s23, exec_lo
	s_or_b32 s22, s22, s3
	s_or_b32 s21, s21, s24
                                        ; implicit-def: $sgpr24
	s_branch .LBB1610_703
.LBB1610_706:
	s_or_b32 exec_lo, exec_lo, s13
.LBB1610_707:
	s_delay_alu instid0(SALU_CYCLE_1) | instskip(SKIP_2) | instid1(VALU_DEP_2)
	s_or_b32 exec_lo, exec_lo, s12
	v_add_nc_u32_e32 v9, v22, v29
	v_add_nc_u32_e32 v8, v24, v28
	v_sub_nc_u32_e32 v9, v9, v24
	s_delay_alu instid0(VALU_DEP_2) | instskip(NEXT) | instid1(VALU_DEP_2)
	v_cmp_le_u32_e32 vcc_lo, v8, v22
	v_cmp_le_u32_e64 s3, v9, v23
	s_delay_alu instid0(VALU_DEP_1) | instskip(NEXT) | instid1(SALU_CYCLE_1)
	s_or_b32 s3, vcc_lo, s3
	s_and_saveexec_b32 s6, s3
	s_cbranch_execz .LBB1610_754
; %bb.708:
	v_cmp_ge_u32_e32 vcc_lo, v8, v22
	s_mov_b32 s4, exec_lo
                                        ; implicit-def: $vgpr0_vgpr1
	v_cmpx_lt_u32_e64 v8, v22
	s_cbranch_execz .LBB1610_710
; %bb.709:
	v_lshl_add_u32 v0, v24, 3, v25
	ds_load_b64 v[0:1], v0
.LBB1610_710:
	s_or_b32 exec_lo, exec_lo, s4
	v_cmp_ge_u32_e64 s7, v9, v23
	s_mov_b32 s4, exec_lo
                                        ; implicit-def: $vgpr2_vgpr3
	v_cmpx_lt_u32_e64 v9, v23
	s_cbranch_execz .LBB1610_712
; %bb.711:
	v_lshl_add_u32 v2, v9, 3, v18
	ds_load_b64 v[2:3], v2
.LBB1610_712:
	s_or_b32 exec_lo, exec_lo, s4
	s_or_b32 s3, vcc_lo, s7
	s_mov_b32 s12, -1
	s_xor_b32 s3, s3, -1
	s_delay_alu instid0(SALU_CYCLE_1)
	s_and_saveexec_b32 s13, s3
	s_cbranch_execz .LBB1610_721
; %bb.713:
	s_and_not1_b32 vcc_lo, exec_lo, s16
	s_cbranch_vccnz .LBB1610_719
; %bb.714:
	s_waitcnt lgkmcnt(0)
	v_mul_lo_u32 v10, v3, s8
	v_mul_lo_u32 v11, v2, s9
	v_mad_u64_u32 v[4:5], null, v2, s8, 0
	v_mul_lo_u32 v24, v1, s8
	v_mul_lo_u32 v25, v0, s9
	v_mad_u64_u32 v[6:7], null, v0, s8, 0
	s_mov_b32 s17, 0
	s_mov_b64 s[4:5], s[8:9]
	s_delay_alu instid0(VALU_DEP_4) | instskip(NEXT) | instid1(VALU_DEP_2)
	v_add3_u32 v5, v5, v11, v10
                                        ; implicit-def: $sgpr20
                                        ; implicit-def: $sgpr21
                                        ; implicit-def: $sgpr22
                                        ; implicit-def: $sgpr23
                                        ; implicit-def: $sgpr24
	v_add3_u32 v7, v7, v25, v24
	s_delay_alu instid0(VALU_DEP_2) | instskip(NEXT) | instid1(VALU_DEP_2)
	v_lshlrev_b64 v[4:5], 3, v[4:5]
	v_lshlrev_b64 v[6:7], 3, v[6:7]
	s_delay_alu instid0(VALU_DEP_2) | instskip(NEXT) | instid1(VALU_DEP_3)
	v_add_co_u32 v4, vcc_lo, s10, v4
	v_add_co_ci_u32_e32 v5, vcc_lo, s11, v5, vcc_lo
	s_delay_alu instid0(VALU_DEP_3) | instskip(NEXT) | instid1(VALU_DEP_4)
	v_add_co_u32 v6, vcc_lo, s10, v6
	v_add_co_ci_u32_e32 v7, vcc_lo, s11, v7, vcc_lo
	s_set_inst_prefetch_distance 0x1
	s_branch .LBB1610_716
	.p2align	6
.LBB1610_715:                           ;   in Loop: Header=BB1610_716 Depth=1
	s_or_b32 exec_lo, exec_lo, s3
	s_delay_alu instid0(SALU_CYCLE_1) | instskip(NEXT) | instid1(SALU_CYCLE_1)
	s_and_b32 s3, exec_lo, s21
	s_or_b32 s17, s3, s17
	s_and_not1_b32 s3, s24, exec_lo
	s_and_b32 s24, s23, exec_lo
	s_and_not1_b32 s20, s20, exec_lo
	s_and_b32 s25, s22, exec_lo
	s_or_b32 s24, s3, s24
	s_or_b32 s20, s20, s25
	s_and_not1_b32 exec_lo, exec_lo, s17
	s_cbranch_execz .LBB1610_718
.LBB1610_716:                           ; =>This Inner Loop Header: Depth=1
	global_load_b64 v[10:11], v[4:5], off
	global_load_b64 v[24:25], v[6:7], off
	s_and_not1_b32 s22, s22, exec_lo
	s_and_not1_b32 s23, s23, exec_lo
	s_or_b32 s21, s21, exec_lo
	s_waitcnt vmcnt(0)
	v_cmp_le_u64_e32 vcc_lo, v[10:11], v[24:25]
	v_cmp_lt_u64_e64 s3, v[10:11], v[24:25]
	s_and_b32 s25, vcc_lo, s24
	s_delay_alu instid0(VALU_DEP_1) | instid1(SALU_CYCLE_1)
	s_or_b32 s25, s3, s25
	s_delay_alu instid0(SALU_CYCLE_1) | instskip(NEXT) | instid1(SALU_CYCLE_1)
	s_and_b32 s3, s25, exec_lo
	s_or_b32 s22, s22, s3
	s_mov_b32 s3, exec_lo
	v_cmpx_eq_u64_e64 v[10:11], v[24:25]
	s_cbranch_execz .LBB1610_715
; %bb.717:                              ;   in Loop: Header=BB1610_716 Depth=1
	s_add_u32 s4, s4, -1
	s_addc_u32 s5, s5, -1
	v_add_co_u32 v4, vcc_lo, v4, 8
	s_cmp_eq_u64 s[4:5], 0
	v_add_co_ci_u32_e32 v5, vcc_lo, 0, v5, vcc_lo
	v_add_co_u32 v6, vcc_lo, v6, 8
	s_cselect_b32 s24, -1, 0
	v_add_co_ci_u32_e32 v7, vcc_lo, 0, v7, vcc_lo
	s_and_not1_b32 s23, s23, exec_lo
	s_and_b32 s25, s25, exec_lo
	s_and_not1_b32 s21, s21, exec_lo
	s_and_b32 s24, s24, exec_lo
	s_or_b32 s23, s23, s25
	s_and_not1_b32 s22, s22, exec_lo
	s_or_b32 s21, s21, s24
                                        ; implicit-def: $sgpr24
	s_branch .LBB1610_715
.LBB1610_718:
	s_set_inst_prefetch_distance 0x2
	s_or_b32 exec_lo, exec_lo, s17
	s_xor_b32 s3, s20, -1
	s_branch .LBB1610_720
.LBB1610_719:
	s_mov_b32 s3, -1
.LBB1610_720:
	s_and_not1_b32 s4, s7, exec_lo
	s_and_b32 s3, s3, exec_lo
	s_delay_alu instid0(SALU_CYCLE_1)
	s_or_b32 s7, s4, s3
.LBB1610_721:
	s_or_b32 exec_lo, exec_lo, s13
	v_cndmask_b32_e64 v4, v9, v8, s7
	v_cndmask_b32_e64 v5, v23, v22, s7
	s_mov_b32 s13, exec_lo
	s_delay_alu instid0(VALU_DEP_2) | instskip(NEXT) | instid1(VALU_DEP_2)
	v_add_nc_u32_e32 v6, 1, v4
	v_add_nc_u32_e32 v4, -1, v5
	s_delay_alu instid0(VALU_DEP_2) | instskip(NEXT) | instid1(VALU_DEP_2)
	v_cndmask_b32_e64 v9, v6, v9, s7
	v_min_u32_e32 v4, v6, v4
	v_cndmask_b32_e64 v8, v8, v6, s7
	s_delay_alu instid0(VALU_DEP_2)
	v_lshl_add_u32 v4, v4, 3, v18
	ds_load_b64 v[4:5], v4
	s_waitcnt lgkmcnt(0)
	v_cndmask_b32_e64 v24, v5, v3, s7
	v_cndmask_b32_e64 v25, v4, v2, s7
	;; [unrolled: 1-line block ×4, first 2 shown]
	v_cmpx_lt_u32_e64 v9, v23
	s_cbranch_execz .LBB1610_732
; %bb.722:
	s_mov_b32 s3, 0
	s_mov_b32 s12, exec_lo
	v_cmpx_lt_u32_e64 v8, v22
	s_cbranch_execz .LBB1610_731
; %bb.723:
	s_and_not1_b32 vcc_lo, exec_lo, s16
	s_cbranch_vccnz .LBB1610_729
; %bb.724:
	v_mul_lo_u32 v10, v24, s8
	v_mul_lo_u32 v11, v25, s9
	v_mad_u64_u32 v[4:5], null, v25, s8, 0
	v_mul_lo_u32 v30, v28, s8
	v_mul_lo_u32 v31, v29, s9
	v_mad_u64_u32 v[6:7], null, v29, s8, 0
	s_mov_b32 s17, 0
	s_mov_b64 s[4:5], s[8:9]
	s_delay_alu instid0(VALU_DEP_4) | instskip(NEXT) | instid1(VALU_DEP_2)
	v_add3_u32 v5, v5, v11, v10
                                        ; implicit-def: $sgpr20
                                        ; implicit-def: $sgpr21
                                        ; implicit-def: $sgpr22
                                        ; implicit-def: $sgpr23
                                        ; implicit-def: $sgpr24
	v_add3_u32 v7, v7, v31, v30
	s_delay_alu instid0(VALU_DEP_2) | instskip(NEXT) | instid1(VALU_DEP_2)
	v_lshlrev_b64 v[4:5], 3, v[4:5]
	v_lshlrev_b64 v[6:7], 3, v[6:7]
	s_delay_alu instid0(VALU_DEP_2) | instskip(NEXT) | instid1(VALU_DEP_3)
	v_add_co_u32 v4, vcc_lo, s10, v4
	v_add_co_ci_u32_e32 v5, vcc_lo, s11, v5, vcc_lo
	s_delay_alu instid0(VALU_DEP_3) | instskip(NEXT) | instid1(VALU_DEP_4)
	v_add_co_u32 v6, vcc_lo, s10, v6
	v_add_co_ci_u32_e32 v7, vcc_lo, s11, v7, vcc_lo
	s_set_inst_prefetch_distance 0x1
	s_branch .LBB1610_726
	.p2align	6
.LBB1610_725:                           ;   in Loop: Header=BB1610_726 Depth=1
	s_or_b32 exec_lo, exec_lo, s3
	s_delay_alu instid0(SALU_CYCLE_1) | instskip(NEXT) | instid1(SALU_CYCLE_1)
	s_and_b32 s3, exec_lo, s21
	s_or_b32 s17, s3, s17
	s_and_not1_b32 s3, s24, exec_lo
	s_and_b32 s24, s23, exec_lo
	s_and_not1_b32 s20, s20, exec_lo
	s_and_b32 s25, s22, exec_lo
	s_or_b32 s24, s3, s24
	s_or_b32 s20, s20, s25
	s_and_not1_b32 exec_lo, exec_lo, s17
	s_cbranch_execz .LBB1610_728
.LBB1610_726:                           ; =>This Inner Loop Header: Depth=1
	global_load_b64 v[10:11], v[4:5], off
	global_load_b64 v[30:31], v[6:7], off
	s_and_not1_b32 s22, s22, exec_lo
	s_and_not1_b32 s23, s23, exec_lo
	s_or_b32 s21, s21, exec_lo
	s_waitcnt vmcnt(0)
	v_cmp_le_u64_e32 vcc_lo, v[10:11], v[30:31]
	v_cmp_lt_u64_e64 s3, v[10:11], v[30:31]
	s_and_b32 s25, vcc_lo, s24
	s_delay_alu instid0(VALU_DEP_1) | instid1(SALU_CYCLE_1)
	s_or_b32 s25, s3, s25
	s_delay_alu instid0(SALU_CYCLE_1) | instskip(NEXT) | instid1(SALU_CYCLE_1)
	s_and_b32 s3, s25, exec_lo
	s_or_b32 s22, s22, s3
	s_mov_b32 s3, exec_lo
	v_cmpx_eq_u64_e64 v[10:11], v[30:31]
	s_cbranch_execz .LBB1610_725
; %bb.727:                              ;   in Loop: Header=BB1610_726 Depth=1
	s_add_u32 s4, s4, -1
	s_addc_u32 s5, s5, -1
	v_add_co_u32 v4, vcc_lo, v4, 8
	s_cmp_eq_u64 s[4:5], 0
	v_add_co_ci_u32_e32 v5, vcc_lo, 0, v5, vcc_lo
	v_add_co_u32 v6, vcc_lo, v6, 8
	s_cselect_b32 s24, -1, 0
	v_add_co_ci_u32_e32 v7, vcc_lo, 0, v7, vcc_lo
	s_and_not1_b32 s23, s23, exec_lo
	s_and_b32 s25, s25, exec_lo
	s_and_not1_b32 s21, s21, exec_lo
	s_and_b32 s24, s24, exec_lo
	s_or_b32 s23, s23, s25
	s_and_not1_b32 s22, s22, exec_lo
	s_or_b32 s21, s21, s24
                                        ; implicit-def: $sgpr24
	s_branch .LBB1610_725
.LBB1610_728:
	s_set_inst_prefetch_distance 0x2
	s_or_b32 exec_lo, exec_lo, s17
	s_xor_b32 s3, s20, -1
	s_branch .LBB1610_730
.LBB1610_729:
	s_mov_b32 s3, -1
.LBB1610_730:
	s_delay_alu instid0(SALU_CYCLE_1)
	s_and_b32 s3, s3, exec_lo
.LBB1610_731:
	s_or_b32 exec_lo, exec_lo, s12
	s_delay_alu instid0(SALU_CYCLE_1)
	s_or_not1_b32 s12, s3, exec_lo
.LBB1610_732:
	s_or_b32 exec_lo, exec_lo, s13
	v_cndmask_b32_e64 v4, v9, v8, s12
	v_cndmask_b32_e64 v5, v23, v22, s12
	s_mov_b32 s13, -1
	s_mov_b32 s17, exec_lo
	s_delay_alu instid0(VALU_DEP_2) | instskip(NEXT) | instid1(VALU_DEP_2)
	v_add_nc_u32_e32 v6, 1, v4
	v_add_nc_u32_e32 v4, -1, v5
	s_delay_alu instid0(VALU_DEP_2) | instskip(NEXT) | instid1(VALU_DEP_2)
	v_cndmask_b32_e64 v9, v6, v9, s12
	v_min_u32_e32 v4, v6, v4
	v_cndmask_b32_e64 v8, v8, v6, s12
	s_delay_alu instid0(VALU_DEP_2)
	v_lshl_add_u32 v4, v4, 3, v18
	ds_load_b64 v[4:5], v4
	s_waitcnt lgkmcnt(0)
	v_cndmask_b32_e64 v30, v5, v24, s12
	v_cndmask_b32_e64 v31, v4, v25, s12
	;; [unrolled: 1-line block ×4, first 2 shown]
	v_cmpx_lt_u32_e64 v9, v23
	s_cbranch_execz .LBB1610_743
; %bb.733:
	s_mov_b32 s3, 0
	s_mov_b32 s13, exec_lo
	v_cmpx_lt_u32_e64 v8, v22
	s_cbranch_execz .LBB1610_742
; %bb.734:
	s_and_not1_b32 vcc_lo, exec_lo, s16
	s_cbranch_vccnz .LBB1610_740
; %bb.735:
	v_mul_lo_u32 v10, v30, s8
	v_mul_lo_u32 v11, v31, s9
	v_mad_u64_u32 v[4:5], null, v31, s8, 0
	v_mul_lo_u32 v34, v32, s8
	v_mul_lo_u32 v35, v33, s9
	v_mad_u64_u32 v[6:7], null, v33, s8, 0
	s_mov_b32 s20, 0
	s_mov_b64 s[4:5], s[8:9]
	s_delay_alu instid0(VALU_DEP_4) | instskip(NEXT) | instid1(VALU_DEP_2)
	v_add3_u32 v5, v5, v11, v10
                                        ; implicit-def: $sgpr21
                                        ; implicit-def: $sgpr22
                                        ; implicit-def: $sgpr23
                                        ; implicit-def: $sgpr24
                                        ; implicit-def: $sgpr25
	v_add3_u32 v7, v7, v35, v34
	s_delay_alu instid0(VALU_DEP_2) | instskip(NEXT) | instid1(VALU_DEP_2)
	v_lshlrev_b64 v[4:5], 3, v[4:5]
	v_lshlrev_b64 v[6:7], 3, v[6:7]
	s_delay_alu instid0(VALU_DEP_2) | instskip(NEXT) | instid1(VALU_DEP_3)
	v_add_co_u32 v4, vcc_lo, s10, v4
	v_add_co_ci_u32_e32 v5, vcc_lo, s11, v5, vcc_lo
	s_delay_alu instid0(VALU_DEP_3) | instskip(NEXT) | instid1(VALU_DEP_4)
	v_add_co_u32 v6, vcc_lo, s10, v6
	v_add_co_ci_u32_e32 v7, vcc_lo, s11, v7, vcc_lo
	s_set_inst_prefetch_distance 0x1
	s_branch .LBB1610_737
	.p2align	6
.LBB1610_736:                           ;   in Loop: Header=BB1610_737 Depth=1
	s_or_b32 exec_lo, exec_lo, s3
	s_delay_alu instid0(SALU_CYCLE_1) | instskip(NEXT) | instid1(SALU_CYCLE_1)
	s_and_b32 s3, exec_lo, s22
	s_or_b32 s20, s3, s20
	s_and_not1_b32 s3, s25, exec_lo
	s_and_b32 s25, s24, exec_lo
	s_and_not1_b32 s21, s21, exec_lo
	s_and_b32 s26, s23, exec_lo
	s_or_b32 s25, s3, s25
	s_or_b32 s21, s21, s26
	s_and_not1_b32 exec_lo, exec_lo, s20
	s_cbranch_execz .LBB1610_739
.LBB1610_737:                           ; =>This Inner Loop Header: Depth=1
	global_load_b64 v[10:11], v[4:5], off
	global_load_b64 v[34:35], v[6:7], off
	s_and_not1_b32 s23, s23, exec_lo
	s_and_not1_b32 s24, s24, exec_lo
	s_or_b32 s22, s22, exec_lo
	s_waitcnt vmcnt(0)
	v_cmp_le_u64_e32 vcc_lo, v[10:11], v[34:35]
	v_cmp_lt_u64_e64 s3, v[10:11], v[34:35]
	s_and_b32 s26, vcc_lo, s25
	s_delay_alu instid0(VALU_DEP_1) | instid1(SALU_CYCLE_1)
	s_or_b32 s26, s3, s26
	s_delay_alu instid0(SALU_CYCLE_1) | instskip(NEXT) | instid1(SALU_CYCLE_1)
	s_and_b32 s3, s26, exec_lo
	s_or_b32 s23, s23, s3
	s_mov_b32 s3, exec_lo
	v_cmpx_eq_u64_e64 v[10:11], v[34:35]
	s_cbranch_execz .LBB1610_736
; %bb.738:                              ;   in Loop: Header=BB1610_737 Depth=1
	s_add_u32 s4, s4, -1
	s_addc_u32 s5, s5, -1
	v_add_co_u32 v4, vcc_lo, v4, 8
	s_cmp_eq_u64 s[4:5], 0
	v_add_co_ci_u32_e32 v5, vcc_lo, 0, v5, vcc_lo
	v_add_co_u32 v6, vcc_lo, v6, 8
	s_cselect_b32 s25, -1, 0
	v_add_co_ci_u32_e32 v7, vcc_lo, 0, v7, vcc_lo
	s_and_not1_b32 s24, s24, exec_lo
	s_and_b32 s26, s26, exec_lo
	s_and_not1_b32 s22, s22, exec_lo
	s_and_b32 s25, s25, exec_lo
	s_or_b32 s24, s24, s26
	s_and_not1_b32 s23, s23, exec_lo
	s_or_b32 s22, s22, s25
                                        ; implicit-def: $sgpr25
	s_branch .LBB1610_736
.LBB1610_739:
	s_set_inst_prefetch_distance 0x2
	s_or_b32 exec_lo, exec_lo, s20
	s_xor_b32 s3, s21, -1
	s_branch .LBB1610_741
.LBB1610_740:
	s_mov_b32 s3, -1
.LBB1610_741:
	s_delay_alu instid0(SALU_CYCLE_1)
	s_and_b32 s3, s3, exec_lo
.LBB1610_742:
	s_or_b32 exec_lo, exec_lo, s13
	s_delay_alu instid0(SALU_CYCLE_1)
	s_or_not1_b32 s13, s3, exec_lo
.LBB1610_743:
	s_or_b32 exec_lo, exec_lo, s17
	v_cndmask_b32_e64 v4, v9, v8, s13
	v_cndmask_b32_e64 v5, v23, v22, s13
	s_mov_b32 s17, exec_lo
	s_delay_alu instid0(VALU_DEP_2) | instskip(NEXT) | instid1(VALU_DEP_2)
	v_add_nc_u32_e32 v10, 1, v4
	v_add_nc_u32_e32 v4, -1, v5
	s_delay_alu instid0(VALU_DEP_2) | instskip(NEXT) | instid1(VALU_DEP_2)
	v_cndmask_b32_e64 v9, v10, v9, s13
	v_min_u32_e32 v4, v10, v4
	s_delay_alu instid0(VALU_DEP_1)
	v_lshl_add_u32 v4, v4, 3, v18
	ds_load_b64 v[4:5], v4
	s_waitcnt lgkmcnt(0)
	v_cndmask_b32_e64 v7, v32, v5, s13
	v_cndmask_b32_e64 v6, v33, v4, s13
	v_cmpx_lt_u32_e64 v9, v23
	s_cbranch_execz .LBB1610_753
; %bb.744:
	v_cndmask_b32_e64 v8, v8, v10, s13
	v_cndmask_b32_e64 v5, v5, v30, s13
	;; [unrolled: 1-line block ×3, first 2 shown]
	s_mov_b32 s20, exec_lo
	s_delay_alu instid0(VALU_DEP_3)
	v_cmpx_lt_u32_e64 v8, v22
	s_cbranch_execz .LBB1610_752
; %bb.745:
	s_and_not1_b32 vcc_lo, exec_lo, s16
	s_cbranch_vccnz .LBB1610_751
; %bb.746:
	v_mul_lo_u32 v22, v5, s8
	v_mul_lo_u32 v23, v4, s9
	v_mad_u64_u32 v[8:9], null, v4, s8, 0
	v_mul_lo_u32 v34, v7, s8
	v_mul_lo_u32 v35, v6, s9
	v_mad_u64_u32 v[10:11], null, v6, s8, 0
	s_mov_b32 s21, 0
	s_mov_b64 s[4:5], s[8:9]
	s_delay_alu instid0(VALU_DEP_4) | instskip(NEXT) | instid1(VALU_DEP_2)
	v_add3_u32 v9, v9, v23, v22
                                        ; implicit-def: $sgpr22
                                        ; implicit-def: $sgpr23
                                        ; implicit-def: $sgpr24
                                        ; implicit-def: $sgpr25
                                        ; implicit-def: $sgpr26
	v_add3_u32 v11, v11, v35, v34
	s_delay_alu instid0(VALU_DEP_2) | instskip(NEXT) | instid1(VALU_DEP_2)
	v_lshlrev_b64 v[8:9], 3, v[8:9]
	v_lshlrev_b64 v[10:11], 3, v[10:11]
	s_delay_alu instid0(VALU_DEP_2) | instskip(NEXT) | instid1(VALU_DEP_3)
	v_add_co_u32 v8, vcc_lo, s10, v8
	v_add_co_ci_u32_e32 v9, vcc_lo, s11, v9, vcc_lo
	s_delay_alu instid0(VALU_DEP_3) | instskip(NEXT) | instid1(VALU_DEP_4)
	v_add_co_u32 v10, vcc_lo, s10, v10
	v_add_co_ci_u32_e32 v11, vcc_lo, s11, v11, vcc_lo
	s_set_inst_prefetch_distance 0x1
	s_branch .LBB1610_748
	.p2align	6
.LBB1610_747:                           ;   in Loop: Header=BB1610_748 Depth=1
	s_or_b32 exec_lo, exec_lo, s3
	s_delay_alu instid0(SALU_CYCLE_1) | instskip(NEXT) | instid1(SALU_CYCLE_1)
	s_and_b32 s3, exec_lo, s23
	s_or_b32 s21, s3, s21
	s_and_not1_b32 s3, s26, exec_lo
	s_and_b32 s26, s25, exec_lo
	s_and_not1_b32 s22, s22, exec_lo
	s_and_b32 s27, s24, exec_lo
	s_or_b32 s26, s3, s26
	s_or_b32 s22, s22, s27
	s_and_not1_b32 exec_lo, exec_lo, s21
	s_cbranch_execz .LBB1610_750
.LBB1610_748:                           ; =>This Inner Loop Header: Depth=1
	global_load_b64 v[22:23], v[8:9], off
	global_load_b64 v[34:35], v[10:11], off
	s_and_not1_b32 s24, s24, exec_lo
	s_and_not1_b32 s25, s25, exec_lo
	s_or_b32 s23, s23, exec_lo
	s_waitcnt vmcnt(0)
	v_cmp_le_u64_e32 vcc_lo, v[22:23], v[34:35]
	v_cmp_lt_u64_e64 s3, v[22:23], v[34:35]
	s_and_b32 s27, vcc_lo, s26
	s_delay_alu instid0(VALU_DEP_1) | instid1(SALU_CYCLE_1)
	s_or_b32 s27, s3, s27
	s_delay_alu instid0(SALU_CYCLE_1) | instskip(NEXT) | instid1(SALU_CYCLE_1)
	s_and_b32 s3, s27, exec_lo
	s_or_b32 s24, s24, s3
	s_mov_b32 s3, exec_lo
	v_cmpx_eq_u64_e64 v[22:23], v[34:35]
	s_cbranch_execz .LBB1610_747
; %bb.749:                              ;   in Loop: Header=BB1610_748 Depth=1
	s_add_u32 s4, s4, -1
	s_addc_u32 s5, s5, -1
	v_add_co_u32 v8, vcc_lo, v8, 8
	s_cmp_eq_u64 s[4:5], 0
	v_add_co_ci_u32_e32 v9, vcc_lo, 0, v9, vcc_lo
	v_add_co_u32 v10, vcc_lo, v10, 8
	s_cselect_b32 s26, -1, 0
	v_add_co_ci_u32_e32 v11, vcc_lo, 0, v11, vcc_lo
	s_and_not1_b32 s25, s25, exec_lo
	s_and_b32 s27, s27, exec_lo
	s_and_not1_b32 s23, s23, exec_lo
	s_and_b32 s26, s26, exec_lo
	s_or_b32 s25, s25, s27
	s_and_not1_b32 s24, s24, exec_lo
	s_or_b32 s23, s23, s26
                                        ; implicit-def: $sgpr26
	s_branch .LBB1610_747
.LBB1610_750:
	s_set_inst_prefetch_distance 0x2
	s_or_b32 exec_lo, exec_lo, s21
	v_cndmask_b32_e64 v7, v7, v5, s22
	v_cndmask_b32_e64 v6, v6, v4, s22
.LBB1610_751:
	s_delay_alu instid0(VALU_DEP_1)
	v_dual_mov_b32 v4, v6 :: v_dual_mov_b32 v5, v7
.LBB1610_752:
	s_or_b32 exec_lo, exec_lo, s20
	s_delay_alu instid0(VALU_DEP_1)
	v_dual_mov_b32 v7, v5 :: v_dual_mov_b32 v6, v4
.LBB1610_753:
	s_or_b32 exec_lo, exec_lo, s17
	v_cndmask_b32_e64 v1, v3, v1, s7
	v_cndmask_b32_e64 v0, v2, v0, s7
	;; [unrolled: 1-line block ×6, first 2 shown]
.LBB1610_754:
	s_or_b32 exec_lo, exec_lo, s6
	v_and_b32_e32 v24, 64, v20
	v_and_b32_e32 v9, 60, v20
	s_mov_b32 s12, exec_lo
	; wave barrier
	s_delay_alu instid0(VALU_DEP_2) | instskip(NEXT) | instid1(VALU_DEP_2)
	v_or_b32_e32 v8, 32, v24
	v_min_u32_e32 v25, v19, v9
	v_lshl_add_u32 v23, v24, 3, v18
	ds_store_b128 v21, v[0:3]
	ds_store_b128 v21, v[4:7] offset:16
	v_min_u32_e32 v22, v19, v8
	; wave barrier
	s_delay_alu instid0(VALU_DEP_1) | instskip(SKIP_1) | instid1(VALU_DEP_2)
	v_add_nc_u32_e32 v8, 32, v22
	v_sub_nc_u32_e32 v9, v22, v24
	v_min_u32_e32 v20, v19, v8
	s_delay_alu instid0(VALU_DEP_2) | instskip(NEXT) | instid1(VALU_DEP_2)
	v_min_u32_e32 v28, v25, v9
	v_sub_nc_u32_e32 v8, v20, v22
	s_delay_alu instid0(VALU_DEP_1) | instskip(NEXT) | instid1(VALU_DEP_1)
	v_sub_nc_u32_e64 v19, v25, v8 clamp
	v_cmpx_lt_u32_e64 v19, v28
	s_cbranch_execz .LBB1610_764
; %bb.755:
	v_lshlrev_b32_e32 v8, 3, v22
	v_lshlrev_b32_e32 v9, 3, v25
	s_lshl_b64 s[4:5], s[8:9], 3
	s_mov_b32 s13, 0
	s_delay_alu instid0(VALU_DEP_1)
	v_add3_u32 v21, v18, v8, v9
	s_branch .LBB1610_758
.LBB1610_756:                           ;   in Loop: Header=BB1610_758 Depth=1
	s_set_inst_prefetch_distance 0x2
	s_or_b32 exec_lo, exec_lo, s17
.LBB1610_757:                           ;   in Loop: Header=BB1610_758 Depth=1
	s_delay_alu instid0(VALU_DEP_1) | instskip(SKIP_1) | instid1(VALU_DEP_2)
	v_add_nc_u32_e32 v8, 1, v29
	v_cndmask_b32_e64 v28, v28, v29, s20
	v_cndmask_b32_e64 v19, v8, v19, s20
	s_delay_alu instid0(VALU_DEP_1) | instskip(SKIP_1) | instid1(SALU_CYCLE_1)
	v_cmp_ge_u32_e32 vcc_lo, v19, v28
	s_or_b32 s13, vcc_lo, s13
	s_and_not1_b32 exec_lo, exec_lo, s13
	s_cbranch_execz .LBB1610_763
.LBB1610_758:                           ; =>This Loop Header: Depth=1
                                        ;     Child Loop BB1610_761 Depth 2
	v_add_nc_u32_e32 v8, v28, v19
	s_and_not1_b32 vcc_lo, exec_lo, s16
	s_mov_b32 s20, 0
	s_delay_alu instid0(VALU_DEP_1)
	v_lshrrev_b32_e32 v29, 1, v8
	s_cbranch_vccnz .LBB1610_757
; %bb.759:                              ;   in Loop: Header=BB1610_758 Depth=1
	s_delay_alu instid0(VALU_DEP_1) | instskip(SKIP_3) | instid1(VALU_DEP_2)
	v_not_b32_e32 v8, v29
	v_lshl_add_u32 v9, v29, 3, v23
	s_mov_b32 s17, 0
	s_mov_b64 s[6:7], s[8:9]
                                        ; implicit-def: $sgpr20
                                        ; implicit-def: $sgpr21
                                        ; implicit-def: $sgpr22
                                        ; implicit-def: $sgpr23
                                        ; implicit-def: $sgpr24
	v_lshl_add_u32 v8, v8, 3, v21
	ds_load_b64 v[10:11], v8
	ds_load_b64 v[30:31], v9
	s_waitcnt lgkmcnt(1)
	v_mul_lo_u32 v32, s4, v11
	v_mul_lo_u32 v33, s5, v10
	v_mad_u64_u32 v[8:9], null, s4, v10, s[10:11]
	s_waitcnt lgkmcnt(0)
	v_mul_lo_u32 v31, s4, v31
	v_mul_lo_u32 v34, s5, v30
	v_mad_u64_u32 v[10:11], null, s4, v30, s[10:11]
	s_delay_alu instid0(VALU_DEP_4) | instskip(NEXT) | instid1(VALU_DEP_2)
	v_add3_u32 v9, v33, v9, v32
	v_add3_u32 v11, v34, v11, v31
	s_set_inst_prefetch_distance 0x1
	s_branch .LBB1610_761
	.p2align	6
.LBB1610_760:                           ;   in Loop: Header=BB1610_761 Depth=2
	s_or_b32 exec_lo, exec_lo, s25
	s_delay_alu instid0(SALU_CYCLE_1) | instskip(NEXT) | instid1(SALU_CYCLE_1)
	s_and_b32 s3, exec_lo, s21
	s_or_b32 s17, s3, s17
	s_and_not1_b32 s3, s24, exec_lo
	s_and_b32 s24, s22, exec_lo
	s_and_not1_b32 s20, s20, exec_lo
	s_and_b32 s25, s23, exec_lo
	s_or_b32 s24, s3, s24
	s_or_b32 s20, s20, s25
	s_and_not1_b32 exec_lo, exec_lo, s17
	s_cbranch_execz .LBB1610_756
.LBB1610_761:                           ;   Parent Loop BB1610_758 Depth=1
                                        ; =>  This Inner Loop Header: Depth=2
	global_load_b64 v[30:31], v[8:9], off
	global_load_b64 v[32:33], v[10:11], off
	s_and_not1_b32 s23, s23, exec_lo
	s_and_not1_b32 s22, s22, exec_lo
	s_or_b32 s21, s21, exec_lo
	s_waitcnt vmcnt(0)
	v_cmp_le_u64_e32 vcc_lo, v[30:31], v[32:33]
	v_cmp_lt_u64_e64 s3, v[30:31], v[32:33]
	s_and_b32 s25, vcc_lo, s24
	s_delay_alu instid0(VALU_DEP_1) | instid1(SALU_CYCLE_1)
	s_or_b32 s3, s3, s25
	s_delay_alu instid0(SALU_CYCLE_1) | instskip(NEXT) | instid1(SALU_CYCLE_1)
	s_and_b32 s25, s3, exec_lo
	s_or_b32 s23, s23, s25
	s_mov_b32 s25, exec_lo
	v_cmpx_eq_u64_e64 v[30:31], v[32:33]
	s_cbranch_execz .LBB1610_760
; %bb.762:                              ;   in Loop: Header=BB1610_761 Depth=2
	s_add_u32 s6, s6, -1
	s_addc_u32 s7, s7, -1
	v_add_co_u32 v8, vcc_lo, v8, 8
	v_add_co_ci_u32_e32 v9, vcc_lo, 0, v9, vcc_lo
	s_cmp_eq_u64 s[6:7], 0
	v_add_co_u32 v10, vcc_lo, v10, 8
	s_cselect_b32 s24, -1, 0
	v_add_co_ci_u32_e32 v11, vcc_lo, 0, v11, vcc_lo
	s_and_not1_b32 s22, s22, exec_lo
	s_and_b32 s3, s3, exec_lo
	s_and_not1_b32 s21, s21, exec_lo
	s_and_b32 s24, s24, exec_lo
	s_and_not1_b32 s23, s23, exec_lo
	s_or_b32 s22, s22, s3
	s_or_b32 s21, s21, s24
                                        ; implicit-def: $sgpr24
	s_branch .LBB1610_760
.LBB1610_763:
	s_or_b32 exec_lo, exec_lo, s13
.LBB1610_764:
	s_delay_alu instid0(SALU_CYCLE_1) | instskip(SKIP_2) | instid1(VALU_DEP_2)
	s_or_b32 exec_lo, exec_lo, s12
	v_add_nc_u32_e32 v9, v22, v25
	v_add_nc_u32_e32 v8, v19, v24
	v_sub_nc_u32_e32 v9, v9, v19
	s_delay_alu instid0(VALU_DEP_2) | instskip(NEXT) | instid1(VALU_DEP_2)
	v_cmp_le_u32_e32 vcc_lo, v8, v22
	v_cmp_le_u32_e64 s3, v9, v20
	s_delay_alu instid0(VALU_DEP_1) | instskip(NEXT) | instid1(SALU_CYCLE_1)
	s_or_b32 s3, vcc_lo, s3
	s_and_saveexec_b32 s6, s3
	s_cbranch_execz .LBB1610_811
; %bb.765:
	v_cmp_ge_u32_e32 vcc_lo, v8, v22
	s_mov_b32 s4, exec_lo
                                        ; implicit-def: $vgpr0_vgpr1
	v_cmpx_lt_u32_e64 v8, v22
	s_cbranch_execz .LBB1610_767
; %bb.766:
	v_lshl_add_u32 v0, v19, 3, v23
	ds_load_b64 v[0:1], v0
.LBB1610_767:
	s_or_b32 exec_lo, exec_lo, s4
	v_cmp_ge_u32_e64 s7, v9, v20
	s_mov_b32 s4, exec_lo
                                        ; implicit-def: $vgpr2_vgpr3
	v_cmpx_lt_u32_e64 v9, v20
	s_cbranch_execz .LBB1610_769
; %bb.768:
	v_lshl_add_u32 v2, v9, 3, v18
	ds_load_b64 v[2:3], v2
.LBB1610_769:
	s_or_b32 exec_lo, exec_lo, s4
	s_or_b32 s3, vcc_lo, s7
	s_mov_b32 s12, -1
	s_xor_b32 s3, s3, -1
	s_delay_alu instid0(SALU_CYCLE_1)
	s_and_saveexec_b32 s13, s3
	s_cbranch_execz .LBB1610_778
; %bb.770:
	s_and_not1_b32 vcc_lo, exec_lo, s16
	s_cbranch_vccnz .LBB1610_776
; %bb.771:
	s_waitcnt lgkmcnt(0)
	v_mul_lo_u32 v10, v3, s8
	v_mul_lo_u32 v11, v2, s9
	v_mad_u64_u32 v[4:5], null, v2, s8, 0
	v_mul_lo_u32 v19, v1, s8
	v_mul_lo_u32 v21, v0, s9
	v_mad_u64_u32 v[6:7], null, v0, s8, 0
	s_mov_b32 s17, 0
	s_mov_b64 s[4:5], s[8:9]
	s_delay_alu instid0(VALU_DEP_4) | instskip(NEXT) | instid1(VALU_DEP_2)
	v_add3_u32 v5, v5, v11, v10
                                        ; implicit-def: $sgpr20
                                        ; implicit-def: $sgpr21
                                        ; implicit-def: $sgpr22
                                        ; implicit-def: $sgpr23
                                        ; implicit-def: $sgpr24
	v_add3_u32 v7, v7, v21, v19
	s_delay_alu instid0(VALU_DEP_2) | instskip(NEXT) | instid1(VALU_DEP_2)
	v_lshlrev_b64 v[4:5], 3, v[4:5]
	v_lshlrev_b64 v[6:7], 3, v[6:7]
	s_delay_alu instid0(VALU_DEP_2) | instskip(NEXT) | instid1(VALU_DEP_3)
	v_add_co_u32 v4, vcc_lo, s10, v4
	v_add_co_ci_u32_e32 v5, vcc_lo, s11, v5, vcc_lo
	s_delay_alu instid0(VALU_DEP_3) | instskip(NEXT) | instid1(VALU_DEP_4)
	v_add_co_u32 v6, vcc_lo, s10, v6
	v_add_co_ci_u32_e32 v7, vcc_lo, s11, v7, vcc_lo
	s_set_inst_prefetch_distance 0x1
	s_branch .LBB1610_773
	.p2align	6
.LBB1610_772:                           ;   in Loop: Header=BB1610_773 Depth=1
	s_or_b32 exec_lo, exec_lo, s3
	s_delay_alu instid0(SALU_CYCLE_1) | instskip(NEXT) | instid1(SALU_CYCLE_1)
	s_and_b32 s3, exec_lo, s21
	s_or_b32 s17, s3, s17
	s_and_not1_b32 s3, s24, exec_lo
	s_and_b32 s24, s23, exec_lo
	s_and_not1_b32 s20, s20, exec_lo
	s_and_b32 s25, s22, exec_lo
	s_or_b32 s24, s3, s24
	s_or_b32 s20, s20, s25
	s_and_not1_b32 exec_lo, exec_lo, s17
	s_cbranch_execz .LBB1610_775
.LBB1610_773:                           ; =>This Inner Loop Header: Depth=1
	global_load_b64 v[10:11], v[4:5], off
	global_load_b64 v[23:24], v[6:7], off
	s_and_not1_b32 s22, s22, exec_lo
	s_and_not1_b32 s23, s23, exec_lo
	s_or_b32 s21, s21, exec_lo
	s_waitcnt vmcnt(0)
	v_cmp_le_u64_e32 vcc_lo, v[10:11], v[23:24]
	v_cmp_lt_u64_e64 s3, v[10:11], v[23:24]
	s_and_b32 s25, vcc_lo, s24
	s_delay_alu instid0(VALU_DEP_1) | instid1(SALU_CYCLE_1)
	s_or_b32 s25, s3, s25
	s_delay_alu instid0(SALU_CYCLE_1) | instskip(NEXT) | instid1(SALU_CYCLE_1)
	s_and_b32 s3, s25, exec_lo
	s_or_b32 s22, s22, s3
	s_mov_b32 s3, exec_lo
	v_cmpx_eq_u64_e64 v[10:11], v[23:24]
	s_cbranch_execz .LBB1610_772
; %bb.774:                              ;   in Loop: Header=BB1610_773 Depth=1
	s_add_u32 s4, s4, -1
	s_addc_u32 s5, s5, -1
	v_add_co_u32 v4, vcc_lo, v4, 8
	s_cmp_eq_u64 s[4:5], 0
	v_add_co_ci_u32_e32 v5, vcc_lo, 0, v5, vcc_lo
	v_add_co_u32 v6, vcc_lo, v6, 8
	s_cselect_b32 s24, -1, 0
	v_add_co_ci_u32_e32 v7, vcc_lo, 0, v7, vcc_lo
	s_and_not1_b32 s23, s23, exec_lo
	s_and_b32 s25, s25, exec_lo
	s_and_not1_b32 s21, s21, exec_lo
	s_and_b32 s24, s24, exec_lo
	s_or_b32 s23, s23, s25
	s_and_not1_b32 s22, s22, exec_lo
	s_or_b32 s21, s21, s24
                                        ; implicit-def: $sgpr24
	s_branch .LBB1610_772
.LBB1610_775:
	s_set_inst_prefetch_distance 0x2
	s_or_b32 exec_lo, exec_lo, s17
	s_xor_b32 s3, s20, -1
	s_branch .LBB1610_777
.LBB1610_776:
	s_mov_b32 s3, -1
.LBB1610_777:
	s_and_not1_b32 s4, s7, exec_lo
	s_and_b32 s3, s3, exec_lo
	s_delay_alu instid0(SALU_CYCLE_1)
	s_or_b32 s7, s4, s3
.LBB1610_778:
	s_or_b32 exec_lo, exec_lo, s13
	v_cndmask_b32_e64 v4, v9, v8, s7
	v_cndmask_b32_e64 v5, v20, v22, s7
	s_mov_b32 s13, exec_lo
	s_delay_alu instid0(VALU_DEP_2) | instskip(NEXT) | instid1(VALU_DEP_2)
	v_add_nc_u32_e32 v6, 1, v4
	v_add_nc_u32_e32 v4, -1, v5
	s_delay_alu instid0(VALU_DEP_2) | instskip(NEXT) | instid1(VALU_DEP_2)
	v_cndmask_b32_e64 v9, v6, v9, s7
	v_min_u32_e32 v4, v6, v4
	v_cndmask_b32_e64 v8, v8, v6, s7
	s_delay_alu instid0(VALU_DEP_2)
	v_lshl_add_u32 v4, v4, 3, v18
	ds_load_b64 v[4:5], v4
	s_waitcnt lgkmcnt(0)
	v_cndmask_b32_e64 v19, v5, v3, s7
	v_cndmask_b32_e64 v21, v4, v2, s7
	;; [unrolled: 1-line block ×4, first 2 shown]
	v_cmpx_lt_u32_e64 v9, v20
	s_cbranch_execz .LBB1610_789
; %bb.779:
	s_mov_b32 s3, 0
	s_mov_b32 s12, exec_lo
	v_cmpx_lt_u32_e64 v8, v22
	s_cbranch_execz .LBB1610_788
; %bb.780:
	s_and_not1_b32 vcc_lo, exec_lo, s16
	s_cbranch_vccnz .LBB1610_786
; %bb.781:
	v_mul_lo_u32 v10, v19, s8
	v_mul_lo_u32 v11, v21, s9
	v_mad_u64_u32 v[4:5], null, v21, s8, 0
	v_mul_lo_u32 v25, v23, s8
	v_mul_lo_u32 v28, v24, s9
	v_mad_u64_u32 v[6:7], null, v24, s8, 0
	s_mov_b32 s17, 0
	s_mov_b64 s[4:5], s[8:9]
	s_delay_alu instid0(VALU_DEP_4) | instskip(NEXT) | instid1(VALU_DEP_2)
	v_add3_u32 v5, v5, v11, v10
                                        ; implicit-def: $sgpr20
                                        ; implicit-def: $sgpr21
                                        ; implicit-def: $sgpr22
                                        ; implicit-def: $sgpr23
                                        ; implicit-def: $sgpr24
	v_add3_u32 v7, v7, v28, v25
	s_delay_alu instid0(VALU_DEP_2) | instskip(NEXT) | instid1(VALU_DEP_2)
	v_lshlrev_b64 v[4:5], 3, v[4:5]
	v_lshlrev_b64 v[6:7], 3, v[6:7]
	s_delay_alu instid0(VALU_DEP_2) | instskip(NEXT) | instid1(VALU_DEP_3)
	v_add_co_u32 v4, vcc_lo, s10, v4
	v_add_co_ci_u32_e32 v5, vcc_lo, s11, v5, vcc_lo
	s_delay_alu instid0(VALU_DEP_3) | instskip(NEXT) | instid1(VALU_DEP_4)
	v_add_co_u32 v6, vcc_lo, s10, v6
	v_add_co_ci_u32_e32 v7, vcc_lo, s11, v7, vcc_lo
	s_set_inst_prefetch_distance 0x1
	s_branch .LBB1610_783
	.p2align	6
.LBB1610_782:                           ;   in Loop: Header=BB1610_783 Depth=1
	s_or_b32 exec_lo, exec_lo, s3
	s_delay_alu instid0(SALU_CYCLE_1) | instskip(NEXT) | instid1(SALU_CYCLE_1)
	s_and_b32 s3, exec_lo, s21
	s_or_b32 s17, s3, s17
	s_and_not1_b32 s3, s24, exec_lo
	s_and_b32 s24, s23, exec_lo
	s_and_not1_b32 s20, s20, exec_lo
	s_and_b32 s25, s22, exec_lo
	s_or_b32 s24, s3, s24
	s_or_b32 s20, s20, s25
	s_and_not1_b32 exec_lo, exec_lo, s17
	s_cbranch_execz .LBB1610_785
.LBB1610_783:                           ; =>This Inner Loop Header: Depth=1
	global_load_b64 v[10:11], v[4:5], off
	global_load_b64 v[28:29], v[6:7], off
	s_and_not1_b32 s22, s22, exec_lo
	s_and_not1_b32 s23, s23, exec_lo
	s_or_b32 s21, s21, exec_lo
	s_waitcnt vmcnt(0)
	v_cmp_le_u64_e32 vcc_lo, v[10:11], v[28:29]
	v_cmp_lt_u64_e64 s3, v[10:11], v[28:29]
	s_and_b32 s25, vcc_lo, s24
	s_delay_alu instid0(VALU_DEP_1) | instid1(SALU_CYCLE_1)
	s_or_b32 s25, s3, s25
	s_delay_alu instid0(SALU_CYCLE_1) | instskip(NEXT) | instid1(SALU_CYCLE_1)
	s_and_b32 s3, s25, exec_lo
	s_or_b32 s22, s22, s3
	s_mov_b32 s3, exec_lo
	v_cmpx_eq_u64_e64 v[10:11], v[28:29]
	s_cbranch_execz .LBB1610_782
; %bb.784:                              ;   in Loop: Header=BB1610_783 Depth=1
	s_add_u32 s4, s4, -1
	s_addc_u32 s5, s5, -1
	v_add_co_u32 v4, vcc_lo, v4, 8
	s_cmp_eq_u64 s[4:5], 0
	v_add_co_ci_u32_e32 v5, vcc_lo, 0, v5, vcc_lo
	v_add_co_u32 v6, vcc_lo, v6, 8
	s_cselect_b32 s24, -1, 0
	v_add_co_ci_u32_e32 v7, vcc_lo, 0, v7, vcc_lo
	s_and_not1_b32 s23, s23, exec_lo
	s_and_b32 s25, s25, exec_lo
	s_and_not1_b32 s21, s21, exec_lo
	s_and_b32 s24, s24, exec_lo
	s_or_b32 s23, s23, s25
	s_and_not1_b32 s22, s22, exec_lo
	s_or_b32 s21, s21, s24
                                        ; implicit-def: $sgpr24
	s_branch .LBB1610_782
.LBB1610_785:
	s_set_inst_prefetch_distance 0x2
	s_or_b32 exec_lo, exec_lo, s17
	s_xor_b32 s3, s20, -1
	s_branch .LBB1610_787
.LBB1610_786:
	s_mov_b32 s3, -1
.LBB1610_787:
	s_delay_alu instid0(SALU_CYCLE_1)
	s_and_b32 s3, s3, exec_lo
.LBB1610_788:
	s_or_b32 exec_lo, exec_lo, s12
	s_delay_alu instid0(SALU_CYCLE_1)
	s_or_not1_b32 s12, s3, exec_lo
.LBB1610_789:
	s_or_b32 exec_lo, exec_lo, s13
	v_cndmask_b32_e64 v4, v9, v8, s12
	v_cndmask_b32_e64 v5, v20, v22, s12
	s_mov_b32 s13, -1
	s_mov_b32 s17, exec_lo
	s_delay_alu instid0(VALU_DEP_2) | instskip(NEXT) | instid1(VALU_DEP_2)
	v_add_nc_u32_e32 v6, 1, v4
	v_add_nc_u32_e32 v4, -1, v5
	s_delay_alu instid0(VALU_DEP_2) | instskip(NEXT) | instid1(VALU_DEP_2)
	v_cndmask_b32_e64 v9, v6, v9, s12
	v_min_u32_e32 v4, v6, v4
	v_cndmask_b32_e64 v8, v8, v6, s12
	s_delay_alu instid0(VALU_DEP_2)
	v_lshl_add_u32 v4, v4, 3, v18
	ds_load_b64 v[4:5], v4
	s_waitcnt lgkmcnt(0)
	v_cndmask_b32_e64 v25, v5, v19, s12
	v_cndmask_b32_e64 v28, v4, v21, s12
	;; [unrolled: 1-line block ×4, first 2 shown]
	v_cmpx_lt_u32_e64 v9, v20
	s_cbranch_execz .LBB1610_800
; %bb.790:
	s_mov_b32 s3, 0
	s_mov_b32 s13, exec_lo
	v_cmpx_lt_u32_e64 v8, v22
	s_cbranch_execz .LBB1610_799
; %bb.791:
	s_and_not1_b32 vcc_lo, exec_lo, s16
	s_cbranch_vccnz .LBB1610_797
; %bb.792:
	v_mul_lo_u32 v10, v25, s8
	v_mul_lo_u32 v11, v28, s9
	v_mad_u64_u32 v[4:5], null, v28, s8, 0
	v_mul_lo_u32 v31, v29, s8
	v_mul_lo_u32 v32, v30, s9
	v_mad_u64_u32 v[6:7], null, v30, s8, 0
	s_mov_b32 s20, 0
	s_mov_b64 s[4:5], s[8:9]
	s_delay_alu instid0(VALU_DEP_4) | instskip(NEXT) | instid1(VALU_DEP_2)
	v_add3_u32 v5, v5, v11, v10
                                        ; implicit-def: $sgpr21
                                        ; implicit-def: $sgpr22
                                        ; implicit-def: $sgpr23
                                        ; implicit-def: $sgpr24
                                        ; implicit-def: $sgpr25
	v_add3_u32 v7, v7, v32, v31
	s_delay_alu instid0(VALU_DEP_2) | instskip(NEXT) | instid1(VALU_DEP_2)
	v_lshlrev_b64 v[4:5], 3, v[4:5]
	v_lshlrev_b64 v[6:7], 3, v[6:7]
	s_delay_alu instid0(VALU_DEP_2) | instskip(NEXT) | instid1(VALU_DEP_3)
	v_add_co_u32 v4, vcc_lo, s10, v4
	v_add_co_ci_u32_e32 v5, vcc_lo, s11, v5, vcc_lo
	s_delay_alu instid0(VALU_DEP_3) | instskip(NEXT) | instid1(VALU_DEP_4)
	v_add_co_u32 v6, vcc_lo, s10, v6
	v_add_co_ci_u32_e32 v7, vcc_lo, s11, v7, vcc_lo
	s_set_inst_prefetch_distance 0x1
	s_branch .LBB1610_794
	.p2align	6
.LBB1610_793:                           ;   in Loop: Header=BB1610_794 Depth=1
	s_or_b32 exec_lo, exec_lo, s3
	s_delay_alu instid0(SALU_CYCLE_1) | instskip(NEXT) | instid1(SALU_CYCLE_1)
	s_and_b32 s3, exec_lo, s22
	s_or_b32 s20, s3, s20
	s_and_not1_b32 s3, s25, exec_lo
	s_and_b32 s25, s24, exec_lo
	s_and_not1_b32 s21, s21, exec_lo
	s_and_b32 s26, s23, exec_lo
	s_or_b32 s25, s3, s25
	s_or_b32 s21, s21, s26
	s_and_not1_b32 exec_lo, exec_lo, s20
	s_cbranch_execz .LBB1610_796
.LBB1610_794:                           ; =>This Inner Loop Header: Depth=1
	global_load_b64 v[10:11], v[4:5], off
	global_load_b64 v[31:32], v[6:7], off
	s_and_not1_b32 s23, s23, exec_lo
	s_and_not1_b32 s24, s24, exec_lo
	s_or_b32 s22, s22, exec_lo
	s_waitcnt vmcnt(0)
	v_cmp_le_u64_e32 vcc_lo, v[10:11], v[31:32]
	v_cmp_lt_u64_e64 s3, v[10:11], v[31:32]
	s_and_b32 s26, vcc_lo, s25
	s_delay_alu instid0(VALU_DEP_1) | instid1(SALU_CYCLE_1)
	s_or_b32 s26, s3, s26
	s_delay_alu instid0(SALU_CYCLE_1) | instskip(NEXT) | instid1(SALU_CYCLE_1)
	s_and_b32 s3, s26, exec_lo
	s_or_b32 s23, s23, s3
	s_mov_b32 s3, exec_lo
	v_cmpx_eq_u64_e64 v[10:11], v[31:32]
	s_cbranch_execz .LBB1610_793
; %bb.795:                              ;   in Loop: Header=BB1610_794 Depth=1
	s_add_u32 s4, s4, -1
	s_addc_u32 s5, s5, -1
	v_add_co_u32 v4, vcc_lo, v4, 8
	s_cmp_eq_u64 s[4:5], 0
	v_add_co_ci_u32_e32 v5, vcc_lo, 0, v5, vcc_lo
	v_add_co_u32 v6, vcc_lo, v6, 8
	s_cselect_b32 s25, -1, 0
	v_add_co_ci_u32_e32 v7, vcc_lo, 0, v7, vcc_lo
	s_and_not1_b32 s24, s24, exec_lo
	s_and_b32 s26, s26, exec_lo
	s_and_not1_b32 s22, s22, exec_lo
	s_and_b32 s25, s25, exec_lo
	s_or_b32 s24, s24, s26
	s_and_not1_b32 s23, s23, exec_lo
	s_or_b32 s22, s22, s25
                                        ; implicit-def: $sgpr25
	s_branch .LBB1610_793
.LBB1610_796:
	s_set_inst_prefetch_distance 0x2
	s_or_b32 exec_lo, exec_lo, s20
	s_xor_b32 s3, s21, -1
	s_branch .LBB1610_798
.LBB1610_797:
	s_mov_b32 s3, -1
.LBB1610_798:
	s_delay_alu instid0(SALU_CYCLE_1)
	s_and_b32 s3, s3, exec_lo
.LBB1610_799:
	s_or_b32 exec_lo, exec_lo, s13
	s_delay_alu instid0(SALU_CYCLE_1)
	s_or_not1_b32 s13, s3, exec_lo
.LBB1610_800:
	s_or_b32 exec_lo, exec_lo, s17
	v_cndmask_b32_e64 v4, v9, v8, s13
	v_cndmask_b32_e64 v5, v20, v22, s13
	s_mov_b32 s17, exec_lo
	s_delay_alu instid0(VALU_DEP_2) | instskip(NEXT) | instid1(VALU_DEP_2)
	v_add_nc_u32_e32 v10, 1, v4
	v_add_nc_u32_e32 v4, -1, v5
	s_delay_alu instid0(VALU_DEP_2) | instskip(NEXT) | instid1(VALU_DEP_2)
	v_cndmask_b32_e64 v9, v10, v9, s13
	v_min_u32_e32 v4, v10, v4
	s_delay_alu instid0(VALU_DEP_1)
	v_lshl_add_u32 v4, v4, 3, v18
	ds_load_b64 v[4:5], v4
	s_waitcnt lgkmcnt(0)
	v_cndmask_b32_e64 v7, v29, v5, s13
	v_cndmask_b32_e64 v6, v30, v4, s13
	v_cmpx_lt_u32_e64 v9, v20
	s_cbranch_execz .LBB1610_810
; %bb.801:
	v_cndmask_b32_e64 v8, v8, v10, s13
	v_cndmask_b32_e64 v5, v5, v25, s13
	;; [unrolled: 1-line block ×3, first 2 shown]
	s_mov_b32 s20, exec_lo
	s_delay_alu instid0(VALU_DEP_3)
	v_cmpx_lt_u32_e64 v8, v22
	s_cbranch_execz .LBB1610_809
; %bb.802:
	s_and_not1_b32 vcc_lo, exec_lo, s16
	s_cbranch_vccnz .LBB1610_808
; %bb.803:
	v_mul_lo_u32 v18, v5, s8
	v_mul_lo_u32 v20, v4, s9
	v_mad_u64_u32 v[8:9], null, v4, s8, 0
	v_mul_lo_u32 v22, v7, s8
	v_mul_lo_u32 v31, v6, s9
	v_mad_u64_u32 v[10:11], null, v6, s8, 0
	s_mov_b32 s21, 0
	s_mov_b64 s[4:5], s[8:9]
	s_delay_alu instid0(VALU_DEP_4) | instskip(NEXT) | instid1(VALU_DEP_2)
	v_add3_u32 v9, v9, v20, v18
                                        ; implicit-def: $sgpr22
                                        ; implicit-def: $sgpr23
                                        ; implicit-def: $sgpr24
                                        ; implicit-def: $sgpr25
                                        ; implicit-def: $sgpr26
	v_add3_u32 v11, v11, v31, v22
	s_delay_alu instid0(VALU_DEP_2) | instskip(NEXT) | instid1(VALU_DEP_2)
	v_lshlrev_b64 v[8:9], 3, v[8:9]
	v_lshlrev_b64 v[10:11], 3, v[10:11]
	s_delay_alu instid0(VALU_DEP_2) | instskip(NEXT) | instid1(VALU_DEP_3)
	v_add_co_u32 v8, vcc_lo, s10, v8
	v_add_co_ci_u32_e32 v9, vcc_lo, s11, v9, vcc_lo
	s_delay_alu instid0(VALU_DEP_3) | instskip(NEXT) | instid1(VALU_DEP_4)
	v_add_co_u32 v10, vcc_lo, s10, v10
	v_add_co_ci_u32_e32 v11, vcc_lo, s11, v11, vcc_lo
	s_set_inst_prefetch_distance 0x1
	s_branch .LBB1610_805
	.p2align	6
.LBB1610_804:                           ;   in Loop: Header=BB1610_805 Depth=1
	s_or_b32 exec_lo, exec_lo, s3
	s_delay_alu instid0(SALU_CYCLE_1) | instskip(NEXT) | instid1(SALU_CYCLE_1)
	s_and_b32 s3, exec_lo, s23
	s_or_b32 s21, s3, s21
	s_and_not1_b32 s3, s26, exec_lo
	s_and_b32 s26, s25, exec_lo
	s_and_not1_b32 s22, s22, exec_lo
	s_and_b32 s27, s24, exec_lo
	s_or_b32 s26, s3, s26
	s_or_b32 s22, s22, s27
	s_and_not1_b32 exec_lo, exec_lo, s21
	s_cbranch_execz .LBB1610_807
.LBB1610_805:                           ; =>This Inner Loop Header: Depth=1
	global_load_b64 v[31:32], v[8:9], off
	global_load_b64 v[33:34], v[10:11], off
	s_and_not1_b32 s24, s24, exec_lo
	s_and_not1_b32 s25, s25, exec_lo
	s_or_b32 s23, s23, exec_lo
	s_waitcnt vmcnt(0)
	v_cmp_le_u64_e32 vcc_lo, v[31:32], v[33:34]
	v_cmp_lt_u64_e64 s3, v[31:32], v[33:34]
	s_and_b32 s27, vcc_lo, s26
	s_delay_alu instid0(VALU_DEP_1) | instid1(SALU_CYCLE_1)
	s_or_b32 s27, s3, s27
	s_delay_alu instid0(SALU_CYCLE_1) | instskip(NEXT) | instid1(SALU_CYCLE_1)
	s_and_b32 s3, s27, exec_lo
	s_or_b32 s24, s24, s3
	s_mov_b32 s3, exec_lo
	v_cmpx_eq_u64_e64 v[31:32], v[33:34]
	s_cbranch_execz .LBB1610_804
; %bb.806:                              ;   in Loop: Header=BB1610_805 Depth=1
	s_add_u32 s4, s4, -1
	s_addc_u32 s5, s5, -1
	v_add_co_u32 v8, vcc_lo, v8, 8
	s_cmp_eq_u64 s[4:5], 0
	v_add_co_ci_u32_e32 v9, vcc_lo, 0, v9, vcc_lo
	v_add_co_u32 v10, vcc_lo, v10, 8
	s_cselect_b32 s26, -1, 0
	v_add_co_ci_u32_e32 v11, vcc_lo, 0, v11, vcc_lo
	s_and_not1_b32 s25, s25, exec_lo
	s_and_b32 s27, s27, exec_lo
	s_and_not1_b32 s23, s23, exec_lo
	s_and_b32 s26, s26, exec_lo
	s_or_b32 s25, s25, s27
	s_and_not1_b32 s24, s24, exec_lo
	s_or_b32 s23, s23, s26
                                        ; implicit-def: $sgpr26
	s_branch .LBB1610_804
.LBB1610_807:
	s_set_inst_prefetch_distance 0x2
	s_or_b32 exec_lo, exec_lo, s21
	v_cndmask_b32_e64 v7, v7, v5, s22
	v_cndmask_b32_e64 v6, v6, v4, s22
.LBB1610_808:
	s_delay_alu instid0(VALU_DEP_1)
	v_dual_mov_b32 v4, v6 :: v_dual_mov_b32 v5, v7
.LBB1610_809:
	s_or_b32 exec_lo, exec_lo, s20
	s_delay_alu instid0(VALU_DEP_1)
	v_dual_mov_b32 v7, v5 :: v_dual_mov_b32 v6, v4
.LBB1610_810:
	s_or_b32 exec_lo, exec_lo, s17
	v_cndmask_b32_e64 v1, v3, v1, s7
	v_cndmask_b32_e64 v0, v2, v0, s7
	;; [unrolled: 1-line block ×6, first 2 shown]
.LBB1610_811:
	s_or_b32 exec_lo, exec_lo, s6
	s_cmpk_lt_u32 s18, 0x41
	; wave barrier
	s_waitcnt lgkmcnt(0)
	s_barrier
	buffer_gl0_inv
	s_cbranch_scc1 .LBB1610_871
; %bb.812:
	v_lshlrev_b32_e32 v18, 3, v27
	s_lshl_b64 s[4:5], s[8:9], 3
	s_mov_b32 s12, 64
	s_branch .LBB1610_818
.LBB1610_813:                           ;   in Loop: Header=BB1610_818 Depth=1
	s_set_inst_prefetch_distance 0x2
	s_or_b32 exec_lo, exec_lo, s24
	v_cndmask_b32_e64 v7, v7, v5, s25
	v_cndmask_b32_e64 v6, v6, v4, s25
.LBB1610_814:                           ;   in Loop: Header=BB1610_818 Depth=1
	s_delay_alu instid0(VALU_DEP_1)
	v_dual_mov_b32 v4, v6 :: v_dual_mov_b32 v5, v7
.LBB1610_815:                           ;   in Loop: Header=BB1610_818 Depth=1
	s_or_b32 exec_lo, exec_lo, s23
	s_delay_alu instid0(VALU_DEP_1)
	v_dual_mov_b32 v7, v5 :: v_dual_mov_b32 v6, v4
.LBB1610_816:                           ;   in Loop: Header=BB1610_818 Depth=1
	s_or_b32 exec_lo, exec_lo, s22
	v_cndmask_b32_e64 v1, v3, v1, s17
	v_cndmask_b32_e64 v0, v2, v0, s17
	;; [unrolled: 1-line block ×6, first 2 shown]
.LBB1610_817:                           ;   in Loop: Header=BB1610_818 Depth=1
	s_or_b32 exec_lo, exec_lo, s13
	s_cmp_lt_u32 s12, s18
	s_barrier
	buffer_gl0_inv
	s_cbranch_scc0 .LBB1610_871
.LBB1610_818:                           ; =>This Loop Header: Depth=1
                                        ;     Child Loop BB1610_822 Depth 2
                                        ;       Child Loop BB1610_825 Depth 3
                                        ;     Child Loop BB1610_837 Depth 2
                                        ;     Child Loop BB1610_847 Depth 2
                                        ;     Child Loop BB1610_858 Depth 2
                                        ;     Child Loop BB1610_869 Depth 2
	s_mov_b32 s3, s12
	s_lshl_b32 s12, s12, 1
	s_mov_b32 s13, exec_lo
	s_sub_i32 s6, 0, s12
	ds_store_b128 v18, v[0:3]
	ds_store_b128 v18, v[4:7] offset:16
	v_and_b32_e32 v23, s6, v27
	s_waitcnt lgkmcnt(0)
	s_barrier
	buffer_gl0_inv
	v_add_nc_u32_e32 v8, s3, v23
	v_lshlrev_b32_e32 v22, 3, v23
	s_delay_alu instid0(VALU_DEP_2) | instskip(NEXT) | instid1(VALU_DEP_1)
	v_min_u32_e32 v19, s18, v8
	v_add_nc_u32_e32 v8, s3, v19
	s_add_i32 s3, s12, -1
	s_delay_alu instid0(SALU_CYCLE_1) | instskip(NEXT) | instid1(VALU_DEP_2)
	v_and_b32_e32 v9, s3, v27
	v_min_u32_e32 v20, s18, v8
	v_sub_nc_u32_e32 v8, v19, v23
	s_delay_alu instid0(VALU_DEP_3) | instskip(NEXT) | instid1(VALU_DEP_3)
	v_min_u32_e32 v24, s18, v9
	v_sub_nc_u32_e32 v9, v20, v19
	s_delay_alu instid0(VALU_DEP_2) | instskip(NEXT) | instid1(VALU_DEP_2)
	v_min_u32_e32 v25, v24, v8
	v_sub_nc_u32_e64 v21, v24, v9 clamp
	s_delay_alu instid0(VALU_DEP_1)
	v_cmpx_lt_u32_e64 v21, v25
	s_cbranch_execz .LBB1610_828
; %bb.819:                              ;   in Loop: Header=BB1610_818 Depth=1
	v_lshlrev_b32_e32 v8, 3, v24
	s_mov_b32 s17, 0
	s_delay_alu instid0(VALU_DEP_1)
	v_lshl_add_u32 v28, v19, 3, v8
	s_branch .LBB1610_822
.LBB1610_820:                           ;   in Loop: Header=BB1610_822 Depth=2
	s_set_inst_prefetch_distance 0x2
	s_or_b32 exec_lo, exec_lo, s20
.LBB1610_821:                           ;   in Loop: Header=BB1610_822 Depth=2
	s_delay_alu instid0(VALU_DEP_1) | instskip(SKIP_1) | instid1(VALU_DEP_2)
	v_add_nc_u32_e32 v8, 1, v29
	v_cndmask_b32_e64 v25, v25, v29, s21
	v_cndmask_b32_e64 v21, v8, v21, s21
	s_delay_alu instid0(VALU_DEP_1) | instskip(SKIP_1) | instid1(SALU_CYCLE_1)
	v_cmp_ge_u32_e32 vcc_lo, v21, v25
	s_or_b32 s17, vcc_lo, s17
	s_and_not1_b32 exec_lo, exec_lo, s17
	s_cbranch_execz .LBB1610_827
.LBB1610_822:                           ;   Parent Loop BB1610_818 Depth=1
                                        ; =>  This Loop Header: Depth=2
                                        ;       Child Loop BB1610_825 Depth 3
	v_add_nc_u32_e32 v8, v25, v21
	s_and_not1_b32 vcc_lo, exec_lo, s16
	s_mov_b32 s21, 0
	s_delay_alu instid0(VALU_DEP_1)
	v_lshrrev_b32_e32 v29, 1, v8
	s_cbranch_vccnz .LBB1610_821
; %bb.823:                              ;   in Loop: Header=BB1610_822 Depth=2
	s_delay_alu instid0(VALU_DEP_1) | instskip(SKIP_3) | instid1(VALU_DEP_2)
	v_not_b32_e32 v8, v29
	v_lshl_add_u32 v9, v29, 3, v22
	s_mov_b32 s20, 0
	s_mov_b64 s[6:7], s[8:9]
                                        ; implicit-def: $sgpr21
                                        ; implicit-def: $sgpr22
                                        ; implicit-def: $sgpr23
                                        ; implicit-def: $sgpr24
                                        ; implicit-def: $sgpr25
	v_lshl_add_u32 v8, v8, 3, v28
	ds_load_b64 v[10:11], v8
	ds_load_b64 v[30:31], v9
	s_waitcnt lgkmcnt(1)
	v_mul_lo_u32 v32, s4, v11
	v_mul_lo_u32 v33, s5, v10
	v_mad_u64_u32 v[8:9], null, s4, v10, s[10:11]
	s_waitcnt lgkmcnt(0)
	v_mul_lo_u32 v31, s4, v31
	v_mul_lo_u32 v34, s5, v30
	v_mad_u64_u32 v[10:11], null, s4, v30, s[10:11]
	s_delay_alu instid0(VALU_DEP_4) | instskip(NEXT) | instid1(VALU_DEP_2)
	v_add3_u32 v9, v33, v9, v32
	v_add3_u32 v11, v34, v11, v31
	s_set_inst_prefetch_distance 0x1
	s_branch .LBB1610_825
	.p2align	6
.LBB1610_824:                           ;   in Loop: Header=BB1610_825 Depth=3
	s_or_b32 exec_lo, exec_lo, s3
	s_delay_alu instid0(SALU_CYCLE_1) | instskip(NEXT) | instid1(SALU_CYCLE_1)
	s_and_b32 s3, exec_lo, s22
	s_or_b32 s20, s3, s20
	s_and_not1_b32 s3, s25, exec_lo
	s_and_b32 s25, s23, exec_lo
	s_and_not1_b32 s21, s21, exec_lo
	s_and_b32 s26, s24, exec_lo
	s_or_b32 s25, s3, s25
	s_or_b32 s21, s21, s26
	s_and_not1_b32 exec_lo, exec_lo, s20
	s_cbranch_execz .LBB1610_820
.LBB1610_825:                           ;   Parent Loop BB1610_818 Depth=1
                                        ;     Parent Loop BB1610_822 Depth=2
                                        ; =>    This Inner Loop Header: Depth=3
	global_load_b64 v[30:31], v[8:9], off
	global_load_b64 v[32:33], v[10:11], off
	s_and_not1_b32 s24, s24, exec_lo
	s_and_not1_b32 s23, s23, exec_lo
	s_or_b32 s22, s22, exec_lo
	s_waitcnt vmcnt(0)
	v_cmp_le_u64_e32 vcc_lo, v[30:31], v[32:33]
	v_cmp_lt_u64_e64 s3, v[30:31], v[32:33]
	s_and_b32 s26, vcc_lo, s25
	s_delay_alu instid0(VALU_DEP_1) | instid1(SALU_CYCLE_1)
	s_or_b32 s26, s3, s26
	s_delay_alu instid0(SALU_CYCLE_1) | instskip(NEXT) | instid1(SALU_CYCLE_1)
	s_and_b32 s3, s26, exec_lo
	s_or_b32 s24, s24, s3
	s_mov_b32 s3, exec_lo
	v_cmpx_eq_u64_e64 v[30:31], v[32:33]
	s_cbranch_execz .LBB1610_824
; %bb.826:                              ;   in Loop: Header=BB1610_825 Depth=3
	s_add_u32 s6, s6, -1
	s_addc_u32 s7, s7, -1
	v_add_co_u32 v8, vcc_lo, v8, 8
	v_add_co_ci_u32_e32 v9, vcc_lo, 0, v9, vcc_lo
	s_cmp_eq_u64 s[6:7], 0
	v_add_co_u32 v10, vcc_lo, v10, 8
	s_cselect_b32 s25, -1, 0
	v_add_co_ci_u32_e32 v11, vcc_lo, 0, v11, vcc_lo
	s_and_not1_b32 s23, s23, exec_lo
	s_and_b32 s26, s26, exec_lo
	s_and_not1_b32 s22, s22, exec_lo
	s_and_b32 s25, s25, exec_lo
	s_and_not1_b32 s24, s24, exec_lo
	s_or_b32 s23, s23, s26
	s_or_b32 s22, s22, s25
                                        ; implicit-def: $sgpr25
	s_branch .LBB1610_824
.LBB1610_827:                           ;   in Loop: Header=BB1610_818 Depth=1
	s_or_b32 exec_lo, exec_lo, s17
.LBB1610_828:                           ;   in Loop: Header=BB1610_818 Depth=1
	s_delay_alu instid0(SALU_CYCLE_1) | instskip(SKIP_2) | instid1(VALU_DEP_2)
	s_or_b32 exec_lo, exec_lo, s13
	v_sub_nc_u32_e32 v9, v24, v21
	v_add_nc_u32_e32 v8, v21, v23
	v_add_nc_u32_e32 v9, v9, v19
	s_delay_alu instid0(VALU_DEP_2) | instskip(NEXT) | instid1(VALU_DEP_2)
	v_cmp_le_u32_e32 vcc_lo, v8, v19
	v_cmp_le_u32_e64 s3, v9, v20
	s_delay_alu instid0(VALU_DEP_1) | instskip(NEXT) | instid1(SALU_CYCLE_1)
	s_or_b32 s3, vcc_lo, s3
	s_and_saveexec_b32 s13, s3
	s_cbranch_execz .LBB1610_817
; %bb.829:                              ;   in Loop: Header=BB1610_818 Depth=1
	v_cmp_ge_u32_e32 vcc_lo, v8, v19
	s_mov_b32 s6, exec_lo
                                        ; implicit-def: $vgpr0_vgpr1
	v_cmpx_lt_u32_e64 v8, v19
	s_cbranch_execz .LBB1610_831
; %bb.830:                              ;   in Loop: Header=BB1610_818 Depth=1
	v_lshl_add_u32 v0, v21, 3, v22
	ds_load_b64 v[0:1], v0
.LBB1610_831:                           ;   in Loop: Header=BB1610_818 Depth=1
	s_or_b32 exec_lo, exec_lo, s6
	v_cmp_ge_u32_e64 s17, v9, v20
	s_mov_b32 s6, exec_lo
                                        ; implicit-def: $vgpr2_vgpr3
	v_cmpx_lt_u32_e64 v9, v20
	s_cbranch_execz .LBB1610_833
; %bb.832:                              ;   in Loop: Header=BB1610_818 Depth=1
	v_lshlrev_b32_e32 v2, 3, v9
	ds_load_b64 v[2:3], v2
.LBB1610_833:                           ;   in Loop: Header=BB1610_818 Depth=1
	s_or_b32 exec_lo, exec_lo, s6
	s_or_b32 s3, vcc_lo, s17
	s_delay_alu instid0(SALU_CYCLE_1) | instskip(NEXT) | instid1(SALU_CYCLE_1)
	s_xor_b32 s3, s3, -1
	s_and_saveexec_b32 s20, s3
	s_cbranch_execz .LBB1610_842
; %bb.834:                              ;   in Loop: Header=BB1610_818 Depth=1
	s_and_not1_b32 vcc_lo, exec_lo, s16
	s_cbranch_vccnz .LBB1610_840
; %bb.835:                              ;   in Loop: Header=BB1610_818 Depth=1
	s_waitcnt lgkmcnt(0)
	v_mad_u64_u32 v[4:5], null, s4, v2, s[10:11]
	v_mul_lo_u32 v10, s4, v3
	v_mul_lo_u32 v11, s5, v2
	v_mad_u64_u32 v[6:7], null, s4, v0, s[10:11]
	v_mul_lo_u32 v21, s4, v1
	v_mul_lo_u32 v22, s5, v0
	s_mov_b32 s21, 0
	s_mov_b64 s[6:7], s[8:9]
                                        ; implicit-def: $sgpr22
                                        ; implicit-def: $sgpr23
                                        ; implicit-def: $sgpr24
                                        ; implicit-def: $sgpr25
                                        ; implicit-def: $sgpr26
	s_delay_alu instid0(VALU_DEP_4) | instskip(NEXT) | instid1(VALU_DEP_2)
	v_add3_u32 v5, v11, v5, v10
	v_add3_u32 v7, v22, v7, v21
	s_set_inst_prefetch_distance 0x1
	s_branch .LBB1610_837
	.p2align	6
.LBB1610_836:                           ;   in Loop: Header=BB1610_837 Depth=2
	s_or_b32 exec_lo, exec_lo, s3
	s_delay_alu instid0(SALU_CYCLE_1) | instskip(NEXT) | instid1(SALU_CYCLE_1)
	s_and_b32 s3, exec_lo, s23
	s_or_b32 s21, s3, s21
	s_and_not1_b32 s3, s26, exec_lo
	s_and_b32 s26, s25, exec_lo
	s_and_not1_b32 s22, s22, exec_lo
	s_and_b32 s27, s24, exec_lo
	s_or_b32 s26, s3, s26
	s_or_b32 s22, s22, s27
	s_and_not1_b32 exec_lo, exec_lo, s21
	s_cbranch_execz .LBB1610_839
.LBB1610_837:                           ;   Parent Loop BB1610_818 Depth=1
                                        ; =>  This Inner Loop Header: Depth=2
	global_load_b64 v[10:11], v[4:5], off
	global_load_b64 v[21:22], v[6:7], off
	s_and_not1_b32 s24, s24, exec_lo
	s_and_not1_b32 s25, s25, exec_lo
	s_or_b32 s23, s23, exec_lo
	s_waitcnt vmcnt(0)
	v_cmp_le_u64_e32 vcc_lo, v[10:11], v[21:22]
	v_cmp_lt_u64_e64 s3, v[10:11], v[21:22]
	s_and_b32 s27, vcc_lo, s26
	s_delay_alu instid0(VALU_DEP_1) | instid1(SALU_CYCLE_1)
	s_or_b32 s27, s3, s27
	s_delay_alu instid0(SALU_CYCLE_1) | instskip(NEXT) | instid1(SALU_CYCLE_1)
	s_and_b32 s3, s27, exec_lo
	s_or_b32 s24, s24, s3
	s_mov_b32 s3, exec_lo
	v_cmpx_eq_u64_e64 v[10:11], v[21:22]
	s_cbranch_execz .LBB1610_836
; %bb.838:                              ;   in Loop: Header=BB1610_837 Depth=2
	s_add_u32 s6, s6, -1
	s_addc_u32 s7, s7, -1
	v_add_co_u32 v4, vcc_lo, v4, 8
	s_cmp_eq_u64 s[6:7], 0
	v_add_co_ci_u32_e32 v5, vcc_lo, 0, v5, vcc_lo
	s_cselect_b32 s26, -1, 0
	s_and_not1_b32 s25, s25, exec_lo
	s_and_b32 s27, s27, exec_lo
	v_add_co_u32 v6, vcc_lo, v6, 8
	s_and_not1_b32 s23, s23, exec_lo
	s_and_b32 s26, s26, exec_lo
	v_add_co_ci_u32_e32 v7, vcc_lo, 0, v7, vcc_lo
	s_or_b32 s25, s25, s27
	s_and_not1_b32 s24, s24, exec_lo
	s_or_b32 s23, s23, s26
                                        ; implicit-def: $sgpr26
	s_branch .LBB1610_836
.LBB1610_839:                           ;   in Loop: Header=BB1610_818 Depth=1
	s_set_inst_prefetch_distance 0x2
	s_or_b32 exec_lo, exec_lo, s21
	s_xor_b32 s3, s22, -1
	s_branch .LBB1610_841
.LBB1610_840:                           ;   in Loop: Header=BB1610_818 Depth=1
	s_mov_b32 s3, -1
.LBB1610_841:                           ;   in Loop: Header=BB1610_818 Depth=1
	s_and_not1_b32 s6, s17, exec_lo
	s_and_b32 s3, s3, exec_lo
	s_delay_alu instid0(SALU_CYCLE_1)
	s_or_b32 s17, s6, s3
.LBB1610_842:                           ;   in Loop: Header=BB1610_818 Depth=1
	s_or_b32 exec_lo, exec_lo, s20
	v_cndmask_b32_e64 v4, v9, v8, s17
	v_cndmask_b32_e64 v5, v20, v19, s17
	s_mov_b32 s20, -1
	s_mov_b32 s21, -1
	s_mov_b32 s22, exec_lo
	v_add_nc_u32_e32 v6, 1, v4
	v_add_nc_u32_e32 v4, -1, v5
	s_delay_alu instid0(VALU_DEP_2) | instskip(NEXT) | instid1(VALU_DEP_2)
	v_cndmask_b32_e64 v9, v6, v9, s17
	v_min_u32_e32 v4, v6, v4
	v_cndmask_b32_e64 v8, v8, v6, s17
	s_delay_alu instid0(VALU_DEP_2)
	v_lshlrev_b32_e32 v4, 3, v4
	ds_load_b64 v[4:5], v4
	s_waitcnt lgkmcnt(0)
	v_cndmask_b32_e64 v21, v5, v3, s17
	v_cndmask_b32_e64 v22, v4, v2, s17
	v_cndmask_b32_e64 v23, v1, v5, s17
	v_cndmask_b32_e64 v24, v0, v4, s17
	v_cmpx_lt_u32_e64 v9, v20
	s_cbranch_execz .LBB1610_853
; %bb.843:                              ;   in Loop: Header=BB1610_818 Depth=1
	s_mov_b32 s3, 0
	s_mov_b32 s21, exec_lo
	v_cmpx_lt_u32_e64 v8, v19
	s_cbranch_execz .LBB1610_852
; %bb.844:                              ;   in Loop: Header=BB1610_818 Depth=1
	s_and_not1_b32 vcc_lo, exec_lo, s16
	s_cbranch_vccnz .LBB1610_850
; %bb.845:                              ;   in Loop: Header=BB1610_818 Depth=1
	v_mad_u64_u32 v[4:5], null, s4, v22, s[10:11]
	v_mul_lo_u32 v10, s4, v21
	v_mul_lo_u32 v11, s5, v22
	v_mad_u64_u32 v[6:7], null, s4, v24, s[10:11]
	v_mul_lo_u32 v25, s4, v23
	v_mul_lo_u32 v28, s5, v24
	s_mov_b32 s23, 0
	s_mov_b64 s[6:7], s[8:9]
                                        ; implicit-def: $sgpr24
                                        ; implicit-def: $sgpr25
                                        ; implicit-def: $sgpr26
                                        ; implicit-def: $sgpr27
                                        ; implicit-def: $sgpr28
	s_delay_alu instid0(VALU_DEP_4) | instskip(NEXT) | instid1(VALU_DEP_2)
	v_add3_u32 v5, v11, v5, v10
	v_add3_u32 v7, v28, v7, v25
	s_set_inst_prefetch_distance 0x1
	s_branch .LBB1610_847
	.p2align	6
.LBB1610_846:                           ;   in Loop: Header=BB1610_847 Depth=2
	s_or_b32 exec_lo, exec_lo, s3
	s_delay_alu instid0(SALU_CYCLE_1) | instskip(NEXT) | instid1(SALU_CYCLE_1)
	s_and_b32 s3, exec_lo, s25
	s_or_b32 s23, s3, s23
	s_and_not1_b32 s3, s28, exec_lo
	s_and_b32 s28, s27, exec_lo
	s_and_not1_b32 s24, s24, exec_lo
	s_and_b32 s29, s26, exec_lo
	s_or_b32 s28, s3, s28
	s_or_b32 s24, s24, s29
	s_and_not1_b32 exec_lo, exec_lo, s23
	s_cbranch_execz .LBB1610_849
.LBB1610_847:                           ;   Parent Loop BB1610_818 Depth=1
                                        ; =>  This Inner Loop Header: Depth=2
	global_load_b64 v[10:11], v[4:5], off
	global_load_b64 v[28:29], v[6:7], off
	s_and_not1_b32 s26, s26, exec_lo
	s_and_not1_b32 s27, s27, exec_lo
	s_or_b32 s25, s25, exec_lo
	s_waitcnt vmcnt(0)
	v_cmp_le_u64_e32 vcc_lo, v[10:11], v[28:29]
	v_cmp_lt_u64_e64 s3, v[10:11], v[28:29]
	s_and_b32 s29, vcc_lo, s28
	s_delay_alu instid0(VALU_DEP_1) | instid1(SALU_CYCLE_1)
	s_or_b32 s29, s3, s29
	s_delay_alu instid0(SALU_CYCLE_1) | instskip(NEXT) | instid1(SALU_CYCLE_1)
	s_and_b32 s3, s29, exec_lo
	s_or_b32 s26, s26, s3
	s_mov_b32 s3, exec_lo
	v_cmpx_eq_u64_e64 v[10:11], v[28:29]
	s_cbranch_execz .LBB1610_846
; %bb.848:                              ;   in Loop: Header=BB1610_847 Depth=2
	s_add_u32 s6, s6, -1
	s_addc_u32 s7, s7, -1
	v_add_co_u32 v4, vcc_lo, v4, 8
	s_cmp_eq_u64 s[6:7], 0
	v_add_co_ci_u32_e32 v5, vcc_lo, 0, v5, vcc_lo
	v_add_co_u32 v6, vcc_lo, v6, 8
	s_cselect_b32 s28, -1, 0
	v_add_co_ci_u32_e32 v7, vcc_lo, 0, v7, vcc_lo
	s_and_not1_b32 s27, s27, exec_lo
	s_and_b32 s29, s29, exec_lo
	s_and_not1_b32 s25, s25, exec_lo
	s_and_b32 s28, s28, exec_lo
	s_or_b32 s27, s27, s29
	s_and_not1_b32 s26, s26, exec_lo
	s_or_b32 s25, s25, s28
                                        ; implicit-def: $sgpr28
	s_branch .LBB1610_846
.LBB1610_849:                           ;   in Loop: Header=BB1610_818 Depth=1
	s_set_inst_prefetch_distance 0x2
	s_or_b32 exec_lo, exec_lo, s23
	s_xor_b32 s3, s24, -1
	s_branch .LBB1610_851
.LBB1610_850:                           ;   in Loop: Header=BB1610_818 Depth=1
	s_mov_b32 s3, -1
.LBB1610_851:                           ;   in Loop: Header=BB1610_818 Depth=1
	s_delay_alu instid0(SALU_CYCLE_1)
	s_and_b32 s3, s3, exec_lo
.LBB1610_852:                           ;   in Loop: Header=BB1610_818 Depth=1
	s_or_b32 exec_lo, exec_lo, s21
	s_delay_alu instid0(SALU_CYCLE_1)
	s_or_not1_b32 s21, s3, exec_lo
.LBB1610_853:                           ;   in Loop: Header=BB1610_818 Depth=1
	s_or_b32 exec_lo, exec_lo, s22
	v_cndmask_b32_e64 v4, v9, v8, s21
	v_cndmask_b32_e64 v5, v20, v19, s21
	s_mov_b32 s22, exec_lo
	s_delay_alu instid0(VALU_DEP_2) | instskip(NEXT) | instid1(VALU_DEP_2)
	v_add_nc_u32_e32 v6, 1, v4
	v_add_nc_u32_e32 v4, -1, v5
	s_delay_alu instid0(VALU_DEP_2) | instskip(NEXT) | instid1(VALU_DEP_2)
	v_cndmask_b32_e64 v9, v6, v9, s21
	v_min_u32_e32 v4, v6, v4
	v_cndmask_b32_e64 v8, v8, v6, s21
	s_delay_alu instid0(VALU_DEP_2)
	v_lshlrev_b32_e32 v4, 3, v4
	ds_load_b64 v[4:5], v4
	s_waitcnt lgkmcnt(0)
	v_cndmask_b32_e64 v25, v5, v21, s21
	v_cndmask_b32_e64 v28, v4, v22, s21
	v_cndmask_b32_e64 v29, v23, v5, s21
	v_cndmask_b32_e64 v30, v24, v4, s21
	v_cmpx_lt_u32_e64 v9, v20
	s_cbranch_execz .LBB1610_864
; %bb.854:                              ;   in Loop: Header=BB1610_818 Depth=1
	s_mov_b32 s3, 0
	s_mov_b32 s20, exec_lo
	v_cmpx_lt_u32_e64 v8, v19
	s_cbranch_execz .LBB1610_863
; %bb.855:                              ;   in Loop: Header=BB1610_818 Depth=1
	s_and_not1_b32 vcc_lo, exec_lo, s16
	s_cbranch_vccnz .LBB1610_861
; %bb.856:                              ;   in Loop: Header=BB1610_818 Depth=1
	v_mad_u64_u32 v[4:5], null, s4, v28, s[10:11]
	v_mul_lo_u32 v10, s4, v25
	v_mul_lo_u32 v11, s5, v28
	v_mad_u64_u32 v[6:7], null, s4, v30, s[10:11]
	v_mul_lo_u32 v31, s4, v29
	v_mul_lo_u32 v32, s5, v30
	s_mov_b32 s23, 0
	s_mov_b64 s[6:7], s[8:9]
                                        ; implicit-def: $sgpr24
                                        ; implicit-def: $sgpr25
                                        ; implicit-def: $sgpr26
                                        ; implicit-def: $sgpr27
                                        ; implicit-def: $sgpr28
	s_delay_alu instid0(VALU_DEP_4) | instskip(NEXT) | instid1(VALU_DEP_2)
	v_add3_u32 v5, v11, v5, v10
	v_add3_u32 v7, v32, v7, v31
	s_set_inst_prefetch_distance 0x1
	s_branch .LBB1610_858
	.p2align	6
.LBB1610_857:                           ;   in Loop: Header=BB1610_858 Depth=2
	s_or_b32 exec_lo, exec_lo, s3
	s_delay_alu instid0(SALU_CYCLE_1) | instskip(NEXT) | instid1(SALU_CYCLE_1)
	s_and_b32 s3, exec_lo, s25
	s_or_b32 s23, s3, s23
	s_and_not1_b32 s3, s28, exec_lo
	s_and_b32 s28, s27, exec_lo
	s_and_not1_b32 s24, s24, exec_lo
	s_and_b32 s29, s26, exec_lo
	s_or_b32 s28, s3, s28
	s_or_b32 s24, s24, s29
	s_and_not1_b32 exec_lo, exec_lo, s23
	s_cbranch_execz .LBB1610_860
.LBB1610_858:                           ;   Parent Loop BB1610_818 Depth=1
                                        ; =>  This Inner Loop Header: Depth=2
	global_load_b64 v[10:11], v[4:5], off
	global_load_b64 v[31:32], v[6:7], off
	s_and_not1_b32 s26, s26, exec_lo
	s_and_not1_b32 s27, s27, exec_lo
	s_or_b32 s25, s25, exec_lo
	s_waitcnt vmcnt(0)
	v_cmp_le_u64_e32 vcc_lo, v[10:11], v[31:32]
	v_cmp_lt_u64_e64 s3, v[10:11], v[31:32]
	s_and_b32 s29, vcc_lo, s28
	s_delay_alu instid0(VALU_DEP_1) | instid1(SALU_CYCLE_1)
	s_or_b32 s29, s3, s29
	s_delay_alu instid0(SALU_CYCLE_1) | instskip(NEXT) | instid1(SALU_CYCLE_1)
	s_and_b32 s3, s29, exec_lo
	s_or_b32 s26, s26, s3
	s_mov_b32 s3, exec_lo
	v_cmpx_eq_u64_e64 v[10:11], v[31:32]
	s_cbranch_execz .LBB1610_857
; %bb.859:                              ;   in Loop: Header=BB1610_858 Depth=2
	s_add_u32 s6, s6, -1
	s_addc_u32 s7, s7, -1
	v_add_co_u32 v4, vcc_lo, v4, 8
	s_cmp_eq_u64 s[6:7], 0
	v_add_co_ci_u32_e32 v5, vcc_lo, 0, v5, vcc_lo
	v_add_co_u32 v6, vcc_lo, v6, 8
	s_cselect_b32 s28, -1, 0
	v_add_co_ci_u32_e32 v7, vcc_lo, 0, v7, vcc_lo
	s_and_not1_b32 s27, s27, exec_lo
	s_and_b32 s29, s29, exec_lo
	s_and_not1_b32 s25, s25, exec_lo
	s_and_b32 s28, s28, exec_lo
	s_or_b32 s27, s27, s29
	s_and_not1_b32 s26, s26, exec_lo
	s_or_b32 s25, s25, s28
                                        ; implicit-def: $sgpr28
	s_branch .LBB1610_857
.LBB1610_860:                           ;   in Loop: Header=BB1610_818 Depth=1
	s_set_inst_prefetch_distance 0x2
	s_or_b32 exec_lo, exec_lo, s23
	s_xor_b32 s3, s24, -1
	s_branch .LBB1610_862
.LBB1610_861:                           ;   in Loop: Header=BB1610_818 Depth=1
	s_mov_b32 s3, -1
.LBB1610_862:                           ;   in Loop: Header=BB1610_818 Depth=1
	s_delay_alu instid0(SALU_CYCLE_1)
	s_and_b32 s3, s3, exec_lo
.LBB1610_863:                           ;   in Loop: Header=BB1610_818 Depth=1
	s_or_b32 exec_lo, exec_lo, s20
	s_delay_alu instid0(SALU_CYCLE_1)
	s_or_not1_b32 s20, s3, exec_lo
.LBB1610_864:                           ;   in Loop: Header=BB1610_818 Depth=1
	s_or_b32 exec_lo, exec_lo, s22
	v_cndmask_b32_e64 v4, v9, v8, s20
	v_cndmask_b32_e64 v5, v20, v19, s20
	s_mov_b32 s22, exec_lo
	s_delay_alu instid0(VALU_DEP_2) | instskip(NEXT) | instid1(VALU_DEP_2)
	v_add_nc_u32_e32 v10, 1, v4
	v_add_nc_u32_e32 v4, -1, v5
	s_delay_alu instid0(VALU_DEP_2) | instskip(NEXT) | instid1(VALU_DEP_2)
	v_cndmask_b32_e64 v9, v10, v9, s20
	v_min_u32_e32 v4, v10, v4
	s_delay_alu instid0(VALU_DEP_1)
	v_lshlrev_b32_e32 v4, 3, v4
	ds_load_b64 v[4:5], v4
	s_waitcnt lgkmcnt(0)
	v_cndmask_b32_e64 v7, v29, v5, s20
	v_cndmask_b32_e64 v6, v30, v4, s20
	v_cmpx_lt_u32_e64 v9, v20
	s_cbranch_execz .LBB1610_816
; %bb.865:                              ;   in Loop: Header=BB1610_818 Depth=1
	v_cndmask_b32_e64 v8, v8, v10, s20
	v_cndmask_b32_e64 v5, v5, v25, s20
	;; [unrolled: 1-line block ×3, first 2 shown]
	s_mov_b32 s23, exec_lo
	s_delay_alu instid0(VALU_DEP_3)
	v_cmpx_lt_u32_e64 v8, v19
	s_cbranch_execz .LBB1610_815
; %bb.866:                              ;   in Loop: Header=BB1610_818 Depth=1
	s_and_not1_b32 vcc_lo, exec_lo, s16
	s_cbranch_vccnz .LBB1610_814
; %bb.867:                              ;   in Loop: Header=BB1610_818 Depth=1
	v_mad_u64_u32 v[8:9], null, s4, v4, s[10:11]
	v_mul_lo_u32 v19, s4, v5
	v_mul_lo_u32 v20, s5, v4
	v_mad_u64_u32 v[10:11], null, s4, v6, s[10:11]
	v_mul_lo_u32 v31, s4, v7
	v_mul_lo_u32 v32, s5, v6
	s_mov_b32 s24, 0
	s_mov_b64 s[6:7], s[8:9]
                                        ; implicit-def: $sgpr25
                                        ; implicit-def: $sgpr26
                                        ; implicit-def: $sgpr27
                                        ; implicit-def: $sgpr28
                                        ; implicit-def: $sgpr29
	s_delay_alu instid0(VALU_DEP_4) | instskip(NEXT) | instid1(VALU_DEP_2)
	v_add3_u32 v9, v20, v9, v19
	v_add3_u32 v11, v32, v11, v31
	s_set_inst_prefetch_distance 0x1
	s_branch .LBB1610_869
	.p2align	6
.LBB1610_868:                           ;   in Loop: Header=BB1610_869 Depth=2
	s_or_b32 exec_lo, exec_lo, s3
	s_delay_alu instid0(SALU_CYCLE_1) | instskip(NEXT) | instid1(SALU_CYCLE_1)
	s_and_b32 s3, exec_lo, s26
	s_or_b32 s24, s3, s24
	s_and_not1_b32 s3, s29, exec_lo
	s_and_b32 s29, s28, exec_lo
	s_and_not1_b32 s25, s25, exec_lo
	s_and_b32 s30, s27, exec_lo
	s_or_b32 s29, s3, s29
	s_or_b32 s25, s25, s30
	s_and_not1_b32 exec_lo, exec_lo, s24
	s_cbranch_execz .LBB1610_813
.LBB1610_869:                           ;   Parent Loop BB1610_818 Depth=1
                                        ; =>  This Inner Loop Header: Depth=2
	global_load_b64 v[19:20], v[8:9], off
	global_load_b64 v[31:32], v[10:11], off
	s_and_not1_b32 s27, s27, exec_lo
	s_and_not1_b32 s28, s28, exec_lo
	s_or_b32 s26, s26, exec_lo
	s_waitcnt vmcnt(0)
	v_cmp_le_u64_e32 vcc_lo, v[19:20], v[31:32]
	v_cmp_lt_u64_e64 s3, v[19:20], v[31:32]
	s_and_b32 s30, vcc_lo, s29
	s_delay_alu instid0(VALU_DEP_1) | instid1(SALU_CYCLE_1)
	s_or_b32 s30, s3, s30
	s_delay_alu instid0(SALU_CYCLE_1) | instskip(NEXT) | instid1(SALU_CYCLE_1)
	s_and_b32 s3, s30, exec_lo
	s_or_b32 s27, s27, s3
	s_mov_b32 s3, exec_lo
	v_cmpx_eq_u64_e64 v[19:20], v[31:32]
	s_cbranch_execz .LBB1610_868
; %bb.870:                              ;   in Loop: Header=BB1610_869 Depth=2
	s_add_u32 s6, s6, -1
	s_addc_u32 s7, s7, -1
	v_add_co_u32 v8, vcc_lo, v8, 8
	s_cmp_eq_u64 s[6:7], 0
	v_add_co_ci_u32_e32 v9, vcc_lo, 0, v9, vcc_lo
	v_add_co_u32 v10, vcc_lo, v10, 8
	s_cselect_b32 s29, -1, 0
	v_add_co_ci_u32_e32 v11, vcc_lo, 0, v11, vcc_lo
	s_and_not1_b32 s28, s28, exec_lo
	s_and_b32 s30, s30, exec_lo
	s_and_not1_b32 s26, s26, exec_lo
	s_and_b32 s29, s29, exec_lo
	s_or_b32 s28, s28, s30
	s_and_not1_b32 s27, s27, exec_lo
	s_or_b32 s26, s26, s29
                                        ; implicit-def: $sgpr29
	s_branch .LBB1610_868
.LBB1610_871:
	s_barrier
	buffer_gl0_inv
	ds_store_2addr_b64 v17, v[0:1], v[2:3] offset1:1
	ds_store_2addr_b64 v17, v[4:5], v[6:7] offset0:2 offset1:3
	s_waitcnt lgkmcnt(0)
	s_barrier
	buffer_gl0_inv
	ds_load_b64 v[6:7], v13 offset:2048
	ds_load_b64 v[2:3], v15 offset:4096
	;; [unrolled: 1-line block ×3, first 2 shown]
	v_add_co_u32 v4, s3, s14, v26
	v_mov_b32_e32 v13, 0
	v_add_co_ci_u32_e64 v5, null, s15, 0, s3
	s_and_saveexec_b32 s3, s0
	s_cbranch_execnz .LBB1610_879
; %bb.872:
	s_or_b32 exec_lo, exec_lo, s3
	s_and_saveexec_b32 s0, s1
	s_cbranch_execnz .LBB1610_880
.LBB1610_873:
	s_or_b32 exec_lo, exec_lo, s0
	s_and_saveexec_b32 s0, s2
	s_cbranch_execz .LBB1610_875
.LBB1610_874:
	v_add_co_u32 v4, vcc_lo, 0x1000, v4
	v_add_co_ci_u32_e32 v5, vcc_lo, 0, v5, vcc_lo
	s_waitcnt lgkmcnt(1)
	global_store_b64 v[4:5], v[2:3], off
.LBB1610_875:
	s_or_b32 exec_lo, exec_lo, s0
.LBB1610_876:
	s_and_saveexec_b32 s0, s19
	s_cbranch_execz .LBB1610_878
; %bb.877:
	s_waitcnt lgkmcnt(1)
	v_lshlrev_b64 v[2:3], 3, v[12:13]
	s_delay_alu instid0(VALU_DEP_1) | instskip(NEXT) | instid1(VALU_DEP_2)
	v_add_co_u32 v2, vcc_lo, s14, v2
	v_add_co_ci_u32_e32 v3, vcc_lo, s15, v3, vcc_lo
	s_delay_alu instid0(VALU_DEP_2) | instskip(NEXT) | instid1(VALU_DEP_2)
	v_add_co_u32 v2, vcc_lo, 0x1000, v2
	v_add_co_ci_u32_e32 v3, vcc_lo, 0, v3, vcc_lo
	s_waitcnt lgkmcnt(0)
	global_store_b64 v[2:3], v[0:1], off offset:2048
.LBB1610_878:
	s_nop 0
	s_sendmsg sendmsg(MSG_DEALLOC_VGPRS)
	s_endpgm
.LBB1610_879:
	ds_load_b64 v[8:9], v14
	s_waitcnt lgkmcnt(0)
	global_store_b64 v[4:5], v[8:9], off
	s_or_b32 exec_lo, exec_lo, s3
	s_and_saveexec_b32 s0, s1
	s_cbranch_execz .LBB1610_873
.LBB1610_880:
	s_waitcnt lgkmcnt(2)
	global_store_b64 v[4:5], v[6:7], off offset:2048
	s_or_b32 exec_lo, exec_lo, s0
	s_and_saveexec_b32 s0, s2
	s_cbranch_execnz .LBB1610_874
	s_branch .LBB1610_875
	.section	.rodata,"a",@progbits
	.p2align	6, 0x0
	.amdhsa_kernel _ZN7rocprim17ROCPRIM_400000_NS6detail17trampoline_kernelINS0_14default_configENS1_37merge_sort_block_sort_config_selectorIlNS0_10empty_typeEEEZNS1_21merge_sort_block_sortIS3_PlS8_PS5_S9_ZN2at6native12_GLOBAL__N_124unique_dim_cuda_templateImEESt5tupleIJNSA_6TensorESF_SF_EERKSF_lbbbEUlllE_EE10hipError_tT0_T1_T2_T3_mRjT4_P12ihipStream_tbNS1_7vsmem_tEEUlT_E_NS1_11comp_targetILNS1_3genE9ELNS1_11target_archE1100ELNS1_3gpuE3ELNS1_3repE0EEENS1_30default_config_static_selectorELNS0_4arch9wavefront6targetE0EEEvSM_
		.amdhsa_group_segment_fixed_size 8448
		.amdhsa_private_segment_fixed_size 0
		.amdhsa_kernarg_size 328
		.amdhsa_user_sgpr_count 13
		.amdhsa_user_sgpr_dispatch_ptr 0
		.amdhsa_user_sgpr_queue_ptr 0
		.amdhsa_user_sgpr_kernarg_segment_ptr 1
		.amdhsa_user_sgpr_dispatch_id 0
		.amdhsa_user_sgpr_private_segment_size 0
		.amdhsa_wavefront_size32 1
		.amdhsa_uses_dynamic_stack 0
		.amdhsa_enable_private_segment 0
		.amdhsa_system_sgpr_workgroup_id_x 1
		.amdhsa_system_sgpr_workgroup_id_y 1
		.amdhsa_system_sgpr_workgroup_id_z 1
		.amdhsa_system_sgpr_workgroup_info 0
		.amdhsa_system_vgpr_workitem_id 2
		.amdhsa_next_free_vgpr 49
		.amdhsa_next_free_sgpr 32
		.amdhsa_reserve_vcc 1
		.amdhsa_float_round_mode_32 0
		.amdhsa_float_round_mode_16_64 0
		.amdhsa_float_denorm_mode_32 3
		.amdhsa_float_denorm_mode_16_64 3
		.amdhsa_dx10_clamp 1
		.amdhsa_ieee_mode 1
		.amdhsa_fp16_overflow 0
		.amdhsa_workgroup_processor_mode 1
		.amdhsa_memory_ordered 1
		.amdhsa_forward_progress 0
		.amdhsa_shared_vgpr_count 0
		.amdhsa_exception_fp_ieee_invalid_op 0
		.amdhsa_exception_fp_denorm_src 0
		.amdhsa_exception_fp_ieee_div_zero 0
		.amdhsa_exception_fp_ieee_overflow 0
		.amdhsa_exception_fp_ieee_underflow 0
		.amdhsa_exception_fp_ieee_inexact 0
		.amdhsa_exception_int_div_zero 0
	.end_amdhsa_kernel
	.section	.text._ZN7rocprim17ROCPRIM_400000_NS6detail17trampoline_kernelINS0_14default_configENS1_37merge_sort_block_sort_config_selectorIlNS0_10empty_typeEEEZNS1_21merge_sort_block_sortIS3_PlS8_PS5_S9_ZN2at6native12_GLOBAL__N_124unique_dim_cuda_templateImEESt5tupleIJNSA_6TensorESF_SF_EERKSF_lbbbEUlllE_EE10hipError_tT0_T1_T2_T3_mRjT4_P12ihipStream_tbNS1_7vsmem_tEEUlT_E_NS1_11comp_targetILNS1_3genE9ELNS1_11target_archE1100ELNS1_3gpuE3ELNS1_3repE0EEENS1_30default_config_static_selectorELNS0_4arch9wavefront6targetE0EEEvSM_,"axG",@progbits,_ZN7rocprim17ROCPRIM_400000_NS6detail17trampoline_kernelINS0_14default_configENS1_37merge_sort_block_sort_config_selectorIlNS0_10empty_typeEEEZNS1_21merge_sort_block_sortIS3_PlS8_PS5_S9_ZN2at6native12_GLOBAL__N_124unique_dim_cuda_templateImEESt5tupleIJNSA_6TensorESF_SF_EERKSF_lbbbEUlllE_EE10hipError_tT0_T1_T2_T3_mRjT4_P12ihipStream_tbNS1_7vsmem_tEEUlT_E_NS1_11comp_targetILNS1_3genE9ELNS1_11target_archE1100ELNS1_3gpuE3ELNS1_3repE0EEENS1_30default_config_static_selectorELNS0_4arch9wavefront6targetE0EEEvSM_,comdat
.Lfunc_end1610:
	.size	_ZN7rocprim17ROCPRIM_400000_NS6detail17trampoline_kernelINS0_14default_configENS1_37merge_sort_block_sort_config_selectorIlNS0_10empty_typeEEEZNS1_21merge_sort_block_sortIS3_PlS8_PS5_S9_ZN2at6native12_GLOBAL__N_124unique_dim_cuda_templateImEESt5tupleIJNSA_6TensorESF_SF_EERKSF_lbbbEUlllE_EE10hipError_tT0_T1_T2_T3_mRjT4_P12ihipStream_tbNS1_7vsmem_tEEUlT_E_NS1_11comp_targetILNS1_3genE9ELNS1_11target_archE1100ELNS1_3gpuE3ELNS1_3repE0EEENS1_30default_config_static_selectorELNS0_4arch9wavefront6targetE0EEEvSM_, .Lfunc_end1610-_ZN7rocprim17ROCPRIM_400000_NS6detail17trampoline_kernelINS0_14default_configENS1_37merge_sort_block_sort_config_selectorIlNS0_10empty_typeEEEZNS1_21merge_sort_block_sortIS3_PlS8_PS5_S9_ZN2at6native12_GLOBAL__N_124unique_dim_cuda_templateImEESt5tupleIJNSA_6TensorESF_SF_EERKSF_lbbbEUlllE_EE10hipError_tT0_T1_T2_T3_mRjT4_P12ihipStream_tbNS1_7vsmem_tEEUlT_E_NS1_11comp_targetILNS1_3genE9ELNS1_11target_archE1100ELNS1_3gpuE3ELNS1_3repE0EEENS1_30default_config_static_selectorELNS0_4arch9wavefront6targetE0EEEvSM_
                                        ; -- End function
	.section	.AMDGPU.csdata,"",@progbits
; Kernel info:
; codeLenInByte = 42940
; NumSgprs: 34
; NumVgprs: 49
; ScratchSize: 0
; MemoryBound: 0
; FloatMode: 240
; IeeeMode: 1
; LDSByteSize: 8448 bytes/workgroup (compile time only)
; SGPRBlocks: 4
; VGPRBlocks: 6
; NumSGPRsForWavesPerEU: 34
; NumVGPRsForWavesPerEU: 49
; Occupancy: 16
; WaveLimiterHint : 1
; COMPUTE_PGM_RSRC2:SCRATCH_EN: 0
; COMPUTE_PGM_RSRC2:USER_SGPR: 13
; COMPUTE_PGM_RSRC2:TRAP_HANDLER: 0
; COMPUTE_PGM_RSRC2:TGID_X_EN: 1
; COMPUTE_PGM_RSRC2:TGID_Y_EN: 1
; COMPUTE_PGM_RSRC2:TGID_Z_EN: 1
; COMPUTE_PGM_RSRC2:TIDIG_COMP_CNT: 2
	.section	.text._ZN7rocprim17ROCPRIM_400000_NS6detail17trampoline_kernelINS0_14default_configENS1_37merge_sort_block_sort_config_selectorIlNS0_10empty_typeEEEZNS1_21merge_sort_block_sortIS3_PlS8_PS5_S9_ZN2at6native12_GLOBAL__N_124unique_dim_cuda_templateImEESt5tupleIJNSA_6TensorESF_SF_EERKSF_lbbbEUlllE_EE10hipError_tT0_T1_T2_T3_mRjT4_P12ihipStream_tbNS1_7vsmem_tEEUlT_E_NS1_11comp_targetILNS1_3genE8ELNS1_11target_archE1030ELNS1_3gpuE2ELNS1_3repE0EEENS1_30default_config_static_selectorELNS0_4arch9wavefront6targetE0EEEvSM_,"axG",@progbits,_ZN7rocprim17ROCPRIM_400000_NS6detail17trampoline_kernelINS0_14default_configENS1_37merge_sort_block_sort_config_selectorIlNS0_10empty_typeEEEZNS1_21merge_sort_block_sortIS3_PlS8_PS5_S9_ZN2at6native12_GLOBAL__N_124unique_dim_cuda_templateImEESt5tupleIJNSA_6TensorESF_SF_EERKSF_lbbbEUlllE_EE10hipError_tT0_T1_T2_T3_mRjT4_P12ihipStream_tbNS1_7vsmem_tEEUlT_E_NS1_11comp_targetILNS1_3genE8ELNS1_11target_archE1030ELNS1_3gpuE2ELNS1_3repE0EEENS1_30default_config_static_selectorELNS0_4arch9wavefront6targetE0EEEvSM_,comdat
	.globl	_ZN7rocprim17ROCPRIM_400000_NS6detail17trampoline_kernelINS0_14default_configENS1_37merge_sort_block_sort_config_selectorIlNS0_10empty_typeEEEZNS1_21merge_sort_block_sortIS3_PlS8_PS5_S9_ZN2at6native12_GLOBAL__N_124unique_dim_cuda_templateImEESt5tupleIJNSA_6TensorESF_SF_EERKSF_lbbbEUlllE_EE10hipError_tT0_T1_T2_T3_mRjT4_P12ihipStream_tbNS1_7vsmem_tEEUlT_E_NS1_11comp_targetILNS1_3genE8ELNS1_11target_archE1030ELNS1_3gpuE2ELNS1_3repE0EEENS1_30default_config_static_selectorELNS0_4arch9wavefront6targetE0EEEvSM_ ; -- Begin function _ZN7rocprim17ROCPRIM_400000_NS6detail17trampoline_kernelINS0_14default_configENS1_37merge_sort_block_sort_config_selectorIlNS0_10empty_typeEEEZNS1_21merge_sort_block_sortIS3_PlS8_PS5_S9_ZN2at6native12_GLOBAL__N_124unique_dim_cuda_templateImEESt5tupleIJNSA_6TensorESF_SF_EERKSF_lbbbEUlllE_EE10hipError_tT0_T1_T2_T3_mRjT4_P12ihipStream_tbNS1_7vsmem_tEEUlT_E_NS1_11comp_targetILNS1_3genE8ELNS1_11target_archE1030ELNS1_3gpuE2ELNS1_3repE0EEENS1_30default_config_static_selectorELNS0_4arch9wavefront6targetE0EEEvSM_
	.p2align	8
	.type	_ZN7rocprim17ROCPRIM_400000_NS6detail17trampoline_kernelINS0_14default_configENS1_37merge_sort_block_sort_config_selectorIlNS0_10empty_typeEEEZNS1_21merge_sort_block_sortIS3_PlS8_PS5_S9_ZN2at6native12_GLOBAL__N_124unique_dim_cuda_templateImEESt5tupleIJNSA_6TensorESF_SF_EERKSF_lbbbEUlllE_EE10hipError_tT0_T1_T2_T3_mRjT4_P12ihipStream_tbNS1_7vsmem_tEEUlT_E_NS1_11comp_targetILNS1_3genE8ELNS1_11target_archE1030ELNS1_3gpuE2ELNS1_3repE0EEENS1_30default_config_static_selectorELNS0_4arch9wavefront6targetE0EEEvSM_,@function
_ZN7rocprim17ROCPRIM_400000_NS6detail17trampoline_kernelINS0_14default_configENS1_37merge_sort_block_sort_config_selectorIlNS0_10empty_typeEEEZNS1_21merge_sort_block_sortIS3_PlS8_PS5_S9_ZN2at6native12_GLOBAL__N_124unique_dim_cuda_templateImEESt5tupleIJNSA_6TensorESF_SF_EERKSF_lbbbEUlllE_EE10hipError_tT0_T1_T2_T3_mRjT4_P12ihipStream_tbNS1_7vsmem_tEEUlT_E_NS1_11comp_targetILNS1_3genE8ELNS1_11target_archE1030ELNS1_3gpuE2ELNS1_3repE0EEENS1_30default_config_static_selectorELNS0_4arch9wavefront6targetE0EEEvSM_: ; @_ZN7rocprim17ROCPRIM_400000_NS6detail17trampoline_kernelINS0_14default_configENS1_37merge_sort_block_sort_config_selectorIlNS0_10empty_typeEEEZNS1_21merge_sort_block_sortIS3_PlS8_PS5_S9_ZN2at6native12_GLOBAL__N_124unique_dim_cuda_templateImEESt5tupleIJNSA_6TensorESF_SF_EERKSF_lbbbEUlllE_EE10hipError_tT0_T1_T2_T3_mRjT4_P12ihipStream_tbNS1_7vsmem_tEEUlT_E_NS1_11comp_targetILNS1_3genE8ELNS1_11target_archE1030ELNS1_3gpuE2ELNS1_3repE0EEENS1_30default_config_static_selectorELNS0_4arch9wavefront6targetE0EEEvSM_
; %bb.0:
	.section	.rodata,"a",@progbits
	.p2align	6, 0x0
	.amdhsa_kernel _ZN7rocprim17ROCPRIM_400000_NS6detail17trampoline_kernelINS0_14default_configENS1_37merge_sort_block_sort_config_selectorIlNS0_10empty_typeEEEZNS1_21merge_sort_block_sortIS3_PlS8_PS5_S9_ZN2at6native12_GLOBAL__N_124unique_dim_cuda_templateImEESt5tupleIJNSA_6TensorESF_SF_EERKSF_lbbbEUlllE_EE10hipError_tT0_T1_T2_T3_mRjT4_P12ihipStream_tbNS1_7vsmem_tEEUlT_E_NS1_11comp_targetILNS1_3genE8ELNS1_11target_archE1030ELNS1_3gpuE2ELNS1_3repE0EEENS1_30default_config_static_selectorELNS0_4arch9wavefront6targetE0EEEvSM_
		.amdhsa_group_segment_fixed_size 0
		.amdhsa_private_segment_fixed_size 0
		.amdhsa_kernarg_size 72
		.amdhsa_user_sgpr_count 15
		.amdhsa_user_sgpr_dispatch_ptr 0
		.amdhsa_user_sgpr_queue_ptr 0
		.amdhsa_user_sgpr_kernarg_segment_ptr 1
		.amdhsa_user_sgpr_dispatch_id 0
		.amdhsa_user_sgpr_private_segment_size 0
		.amdhsa_wavefront_size32 1
		.amdhsa_uses_dynamic_stack 0
		.amdhsa_enable_private_segment 0
		.amdhsa_system_sgpr_workgroup_id_x 1
		.amdhsa_system_sgpr_workgroup_id_y 0
		.amdhsa_system_sgpr_workgroup_id_z 0
		.amdhsa_system_sgpr_workgroup_info 0
		.amdhsa_system_vgpr_workitem_id 0
		.amdhsa_next_free_vgpr 1
		.amdhsa_next_free_sgpr 1
		.amdhsa_reserve_vcc 0
		.amdhsa_float_round_mode_32 0
		.amdhsa_float_round_mode_16_64 0
		.amdhsa_float_denorm_mode_32 3
		.amdhsa_float_denorm_mode_16_64 3
		.amdhsa_dx10_clamp 1
		.amdhsa_ieee_mode 1
		.amdhsa_fp16_overflow 0
		.amdhsa_workgroup_processor_mode 1
		.amdhsa_memory_ordered 1
		.amdhsa_forward_progress 0
		.amdhsa_shared_vgpr_count 0
		.amdhsa_exception_fp_ieee_invalid_op 0
		.amdhsa_exception_fp_denorm_src 0
		.amdhsa_exception_fp_ieee_div_zero 0
		.amdhsa_exception_fp_ieee_overflow 0
		.amdhsa_exception_fp_ieee_underflow 0
		.amdhsa_exception_fp_ieee_inexact 0
		.amdhsa_exception_int_div_zero 0
	.end_amdhsa_kernel
	.section	.text._ZN7rocprim17ROCPRIM_400000_NS6detail17trampoline_kernelINS0_14default_configENS1_37merge_sort_block_sort_config_selectorIlNS0_10empty_typeEEEZNS1_21merge_sort_block_sortIS3_PlS8_PS5_S9_ZN2at6native12_GLOBAL__N_124unique_dim_cuda_templateImEESt5tupleIJNSA_6TensorESF_SF_EERKSF_lbbbEUlllE_EE10hipError_tT0_T1_T2_T3_mRjT4_P12ihipStream_tbNS1_7vsmem_tEEUlT_E_NS1_11comp_targetILNS1_3genE8ELNS1_11target_archE1030ELNS1_3gpuE2ELNS1_3repE0EEENS1_30default_config_static_selectorELNS0_4arch9wavefront6targetE0EEEvSM_,"axG",@progbits,_ZN7rocprim17ROCPRIM_400000_NS6detail17trampoline_kernelINS0_14default_configENS1_37merge_sort_block_sort_config_selectorIlNS0_10empty_typeEEEZNS1_21merge_sort_block_sortIS3_PlS8_PS5_S9_ZN2at6native12_GLOBAL__N_124unique_dim_cuda_templateImEESt5tupleIJNSA_6TensorESF_SF_EERKSF_lbbbEUlllE_EE10hipError_tT0_T1_T2_T3_mRjT4_P12ihipStream_tbNS1_7vsmem_tEEUlT_E_NS1_11comp_targetILNS1_3genE8ELNS1_11target_archE1030ELNS1_3gpuE2ELNS1_3repE0EEENS1_30default_config_static_selectorELNS0_4arch9wavefront6targetE0EEEvSM_,comdat
.Lfunc_end1611:
	.size	_ZN7rocprim17ROCPRIM_400000_NS6detail17trampoline_kernelINS0_14default_configENS1_37merge_sort_block_sort_config_selectorIlNS0_10empty_typeEEEZNS1_21merge_sort_block_sortIS3_PlS8_PS5_S9_ZN2at6native12_GLOBAL__N_124unique_dim_cuda_templateImEESt5tupleIJNSA_6TensorESF_SF_EERKSF_lbbbEUlllE_EE10hipError_tT0_T1_T2_T3_mRjT4_P12ihipStream_tbNS1_7vsmem_tEEUlT_E_NS1_11comp_targetILNS1_3genE8ELNS1_11target_archE1030ELNS1_3gpuE2ELNS1_3repE0EEENS1_30default_config_static_selectorELNS0_4arch9wavefront6targetE0EEEvSM_, .Lfunc_end1611-_ZN7rocprim17ROCPRIM_400000_NS6detail17trampoline_kernelINS0_14default_configENS1_37merge_sort_block_sort_config_selectorIlNS0_10empty_typeEEEZNS1_21merge_sort_block_sortIS3_PlS8_PS5_S9_ZN2at6native12_GLOBAL__N_124unique_dim_cuda_templateImEESt5tupleIJNSA_6TensorESF_SF_EERKSF_lbbbEUlllE_EE10hipError_tT0_T1_T2_T3_mRjT4_P12ihipStream_tbNS1_7vsmem_tEEUlT_E_NS1_11comp_targetILNS1_3genE8ELNS1_11target_archE1030ELNS1_3gpuE2ELNS1_3repE0EEENS1_30default_config_static_selectorELNS0_4arch9wavefront6targetE0EEEvSM_
                                        ; -- End function
	.section	.AMDGPU.csdata,"",@progbits
; Kernel info:
; codeLenInByte = 0
; NumSgprs: 0
; NumVgprs: 0
; ScratchSize: 0
; MemoryBound: 0
; FloatMode: 240
; IeeeMode: 1
; LDSByteSize: 0 bytes/workgroup (compile time only)
; SGPRBlocks: 0
; VGPRBlocks: 0
; NumSGPRsForWavesPerEU: 1
; NumVGPRsForWavesPerEU: 1
; Occupancy: 16
; WaveLimiterHint : 0
; COMPUTE_PGM_RSRC2:SCRATCH_EN: 0
; COMPUTE_PGM_RSRC2:USER_SGPR: 15
; COMPUTE_PGM_RSRC2:TRAP_HANDLER: 0
; COMPUTE_PGM_RSRC2:TGID_X_EN: 1
; COMPUTE_PGM_RSRC2:TGID_Y_EN: 0
; COMPUTE_PGM_RSRC2:TGID_Z_EN: 0
; COMPUTE_PGM_RSRC2:TIDIG_COMP_CNT: 0
	.section	.text._ZN7rocprim17ROCPRIM_400000_NS6detail17trampoline_kernelINS0_14default_configENS1_38merge_sort_block_merge_config_selectorIlNS0_10empty_typeEEEZZNS1_27merge_sort_block_merge_implIS3_PlPS5_mZN2at6native12_GLOBAL__N_124unique_dim_cuda_templateImEESt5tupleIJNSA_6TensorESF_SF_EERKSF_lbbbEUlllE_EE10hipError_tT0_T1_T2_jT3_P12ihipStream_tbPNSt15iterator_traitsISL_E10value_typeEPNSR_ISM_E10value_typeEPSN_NS1_7vsmem_tEENKUlT_SL_SM_SN_E_clIS8_S8_S9_S9_EESK_S10_SL_SM_SN_EUlS10_E_NS1_11comp_targetILNS1_3genE0ELNS1_11target_archE4294967295ELNS1_3gpuE0ELNS1_3repE0EEENS1_48merge_mergepath_partition_config_static_selectorELNS0_4arch9wavefront6targetE0EEEvSM_,"axG",@progbits,_ZN7rocprim17ROCPRIM_400000_NS6detail17trampoline_kernelINS0_14default_configENS1_38merge_sort_block_merge_config_selectorIlNS0_10empty_typeEEEZZNS1_27merge_sort_block_merge_implIS3_PlPS5_mZN2at6native12_GLOBAL__N_124unique_dim_cuda_templateImEESt5tupleIJNSA_6TensorESF_SF_EERKSF_lbbbEUlllE_EE10hipError_tT0_T1_T2_jT3_P12ihipStream_tbPNSt15iterator_traitsISL_E10value_typeEPNSR_ISM_E10value_typeEPSN_NS1_7vsmem_tEENKUlT_SL_SM_SN_E_clIS8_S8_S9_S9_EESK_S10_SL_SM_SN_EUlS10_E_NS1_11comp_targetILNS1_3genE0ELNS1_11target_archE4294967295ELNS1_3gpuE0ELNS1_3repE0EEENS1_48merge_mergepath_partition_config_static_selectorELNS0_4arch9wavefront6targetE0EEEvSM_,comdat
	.globl	_ZN7rocprim17ROCPRIM_400000_NS6detail17trampoline_kernelINS0_14default_configENS1_38merge_sort_block_merge_config_selectorIlNS0_10empty_typeEEEZZNS1_27merge_sort_block_merge_implIS3_PlPS5_mZN2at6native12_GLOBAL__N_124unique_dim_cuda_templateImEESt5tupleIJNSA_6TensorESF_SF_EERKSF_lbbbEUlllE_EE10hipError_tT0_T1_T2_jT3_P12ihipStream_tbPNSt15iterator_traitsISL_E10value_typeEPNSR_ISM_E10value_typeEPSN_NS1_7vsmem_tEENKUlT_SL_SM_SN_E_clIS8_S8_S9_S9_EESK_S10_SL_SM_SN_EUlS10_E_NS1_11comp_targetILNS1_3genE0ELNS1_11target_archE4294967295ELNS1_3gpuE0ELNS1_3repE0EEENS1_48merge_mergepath_partition_config_static_selectorELNS0_4arch9wavefront6targetE0EEEvSM_ ; -- Begin function _ZN7rocprim17ROCPRIM_400000_NS6detail17trampoline_kernelINS0_14default_configENS1_38merge_sort_block_merge_config_selectorIlNS0_10empty_typeEEEZZNS1_27merge_sort_block_merge_implIS3_PlPS5_mZN2at6native12_GLOBAL__N_124unique_dim_cuda_templateImEESt5tupleIJNSA_6TensorESF_SF_EERKSF_lbbbEUlllE_EE10hipError_tT0_T1_T2_jT3_P12ihipStream_tbPNSt15iterator_traitsISL_E10value_typeEPNSR_ISM_E10value_typeEPSN_NS1_7vsmem_tEENKUlT_SL_SM_SN_E_clIS8_S8_S9_S9_EESK_S10_SL_SM_SN_EUlS10_E_NS1_11comp_targetILNS1_3genE0ELNS1_11target_archE4294967295ELNS1_3gpuE0ELNS1_3repE0EEENS1_48merge_mergepath_partition_config_static_selectorELNS0_4arch9wavefront6targetE0EEEvSM_
	.p2align	8
	.type	_ZN7rocprim17ROCPRIM_400000_NS6detail17trampoline_kernelINS0_14default_configENS1_38merge_sort_block_merge_config_selectorIlNS0_10empty_typeEEEZZNS1_27merge_sort_block_merge_implIS3_PlPS5_mZN2at6native12_GLOBAL__N_124unique_dim_cuda_templateImEESt5tupleIJNSA_6TensorESF_SF_EERKSF_lbbbEUlllE_EE10hipError_tT0_T1_T2_jT3_P12ihipStream_tbPNSt15iterator_traitsISL_E10value_typeEPNSR_ISM_E10value_typeEPSN_NS1_7vsmem_tEENKUlT_SL_SM_SN_E_clIS8_S8_S9_S9_EESK_S10_SL_SM_SN_EUlS10_E_NS1_11comp_targetILNS1_3genE0ELNS1_11target_archE4294967295ELNS1_3gpuE0ELNS1_3repE0EEENS1_48merge_mergepath_partition_config_static_selectorELNS0_4arch9wavefront6targetE0EEEvSM_,@function
_ZN7rocprim17ROCPRIM_400000_NS6detail17trampoline_kernelINS0_14default_configENS1_38merge_sort_block_merge_config_selectorIlNS0_10empty_typeEEEZZNS1_27merge_sort_block_merge_implIS3_PlPS5_mZN2at6native12_GLOBAL__N_124unique_dim_cuda_templateImEESt5tupleIJNSA_6TensorESF_SF_EERKSF_lbbbEUlllE_EE10hipError_tT0_T1_T2_jT3_P12ihipStream_tbPNSt15iterator_traitsISL_E10value_typeEPNSR_ISM_E10value_typeEPSN_NS1_7vsmem_tEENKUlT_SL_SM_SN_E_clIS8_S8_S9_S9_EESK_S10_SL_SM_SN_EUlS10_E_NS1_11comp_targetILNS1_3genE0ELNS1_11target_archE4294967295ELNS1_3gpuE0ELNS1_3repE0EEENS1_48merge_mergepath_partition_config_static_selectorELNS0_4arch9wavefront6targetE0EEEvSM_: ; @_ZN7rocprim17ROCPRIM_400000_NS6detail17trampoline_kernelINS0_14default_configENS1_38merge_sort_block_merge_config_selectorIlNS0_10empty_typeEEEZZNS1_27merge_sort_block_merge_implIS3_PlPS5_mZN2at6native12_GLOBAL__N_124unique_dim_cuda_templateImEESt5tupleIJNSA_6TensorESF_SF_EERKSF_lbbbEUlllE_EE10hipError_tT0_T1_T2_jT3_P12ihipStream_tbPNSt15iterator_traitsISL_E10value_typeEPNSR_ISM_E10value_typeEPSN_NS1_7vsmem_tEENKUlT_SL_SM_SN_E_clIS8_S8_S9_S9_EESK_S10_SL_SM_SN_EUlS10_E_NS1_11comp_targetILNS1_3genE0ELNS1_11target_archE4294967295ELNS1_3gpuE0ELNS1_3repE0EEENS1_48merge_mergepath_partition_config_static_selectorELNS0_4arch9wavefront6targetE0EEEvSM_
; %bb.0:
	.section	.rodata,"a",@progbits
	.p2align	6, 0x0
	.amdhsa_kernel _ZN7rocprim17ROCPRIM_400000_NS6detail17trampoline_kernelINS0_14default_configENS1_38merge_sort_block_merge_config_selectorIlNS0_10empty_typeEEEZZNS1_27merge_sort_block_merge_implIS3_PlPS5_mZN2at6native12_GLOBAL__N_124unique_dim_cuda_templateImEESt5tupleIJNSA_6TensorESF_SF_EERKSF_lbbbEUlllE_EE10hipError_tT0_T1_T2_jT3_P12ihipStream_tbPNSt15iterator_traitsISL_E10value_typeEPNSR_ISM_E10value_typeEPSN_NS1_7vsmem_tEENKUlT_SL_SM_SN_E_clIS8_S8_S9_S9_EESK_S10_SL_SM_SN_EUlS10_E_NS1_11comp_targetILNS1_3genE0ELNS1_11target_archE4294967295ELNS1_3gpuE0ELNS1_3repE0EEENS1_48merge_mergepath_partition_config_static_selectorELNS0_4arch9wavefront6targetE0EEEvSM_
		.amdhsa_group_segment_fixed_size 0
		.amdhsa_private_segment_fixed_size 0
		.amdhsa_kernarg_size 56
		.amdhsa_user_sgpr_count 15
		.amdhsa_user_sgpr_dispatch_ptr 0
		.amdhsa_user_sgpr_queue_ptr 0
		.amdhsa_user_sgpr_kernarg_segment_ptr 1
		.amdhsa_user_sgpr_dispatch_id 0
		.amdhsa_user_sgpr_private_segment_size 0
		.amdhsa_wavefront_size32 1
		.amdhsa_uses_dynamic_stack 0
		.amdhsa_enable_private_segment 0
		.amdhsa_system_sgpr_workgroup_id_x 1
		.amdhsa_system_sgpr_workgroup_id_y 0
		.amdhsa_system_sgpr_workgroup_id_z 0
		.amdhsa_system_sgpr_workgroup_info 0
		.amdhsa_system_vgpr_workitem_id 0
		.amdhsa_next_free_vgpr 1
		.amdhsa_next_free_sgpr 1
		.amdhsa_reserve_vcc 0
		.amdhsa_float_round_mode_32 0
		.amdhsa_float_round_mode_16_64 0
		.amdhsa_float_denorm_mode_32 3
		.amdhsa_float_denorm_mode_16_64 3
		.amdhsa_dx10_clamp 1
		.amdhsa_ieee_mode 1
		.amdhsa_fp16_overflow 0
		.amdhsa_workgroup_processor_mode 1
		.amdhsa_memory_ordered 1
		.amdhsa_forward_progress 0
		.amdhsa_shared_vgpr_count 0
		.amdhsa_exception_fp_ieee_invalid_op 0
		.amdhsa_exception_fp_denorm_src 0
		.amdhsa_exception_fp_ieee_div_zero 0
		.amdhsa_exception_fp_ieee_overflow 0
		.amdhsa_exception_fp_ieee_underflow 0
		.amdhsa_exception_fp_ieee_inexact 0
		.amdhsa_exception_int_div_zero 0
	.end_amdhsa_kernel
	.section	.text._ZN7rocprim17ROCPRIM_400000_NS6detail17trampoline_kernelINS0_14default_configENS1_38merge_sort_block_merge_config_selectorIlNS0_10empty_typeEEEZZNS1_27merge_sort_block_merge_implIS3_PlPS5_mZN2at6native12_GLOBAL__N_124unique_dim_cuda_templateImEESt5tupleIJNSA_6TensorESF_SF_EERKSF_lbbbEUlllE_EE10hipError_tT0_T1_T2_jT3_P12ihipStream_tbPNSt15iterator_traitsISL_E10value_typeEPNSR_ISM_E10value_typeEPSN_NS1_7vsmem_tEENKUlT_SL_SM_SN_E_clIS8_S8_S9_S9_EESK_S10_SL_SM_SN_EUlS10_E_NS1_11comp_targetILNS1_3genE0ELNS1_11target_archE4294967295ELNS1_3gpuE0ELNS1_3repE0EEENS1_48merge_mergepath_partition_config_static_selectorELNS0_4arch9wavefront6targetE0EEEvSM_,"axG",@progbits,_ZN7rocprim17ROCPRIM_400000_NS6detail17trampoline_kernelINS0_14default_configENS1_38merge_sort_block_merge_config_selectorIlNS0_10empty_typeEEEZZNS1_27merge_sort_block_merge_implIS3_PlPS5_mZN2at6native12_GLOBAL__N_124unique_dim_cuda_templateImEESt5tupleIJNSA_6TensorESF_SF_EERKSF_lbbbEUlllE_EE10hipError_tT0_T1_T2_jT3_P12ihipStream_tbPNSt15iterator_traitsISL_E10value_typeEPNSR_ISM_E10value_typeEPSN_NS1_7vsmem_tEENKUlT_SL_SM_SN_E_clIS8_S8_S9_S9_EESK_S10_SL_SM_SN_EUlS10_E_NS1_11comp_targetILNS1_3genE0ELNS1_11target_archE4294967295ELNS1_3gpuE0ELNS1_3repE0EEENS1_48merge_mergepath_partition_config_static_selectorELNS0_4arch9wavefront6targetE0EEEvSM_,comdat
.Lfunc_end1612:
	.size	_ZN7rocprim17ROCPRIM_400000_NS6detail17trampoline_kernelINS0_14default_configENS1_38merge_sort_block_merge_config_selectorIlNS0_10empty_typeEEEZZNS1_27merge_sort_block_merge_implIS3_PlPS5_mZN2at6native12_GLOBAL__N_124unique_dim_cuda_templateImEESt5tupleIJNSA_6TensorESF_SF_EERKSF_lbbbEUlllE_EE10hipError_tT0_T1_T2_jT3_P12ihipStream_tbPNSt15iterator_traitsISL_E10value_typeEPNSR_ISM_E10value_typeEPSN_NS1_7vsmem_tEENKUlT_SL_SM_SN_E_clIS8_S8_S9_S9_EESK_S10_SL_SM_SN_EUlS10_E_NS1_11comp_targetILNS1_3genE0ELNS1_11target_archE4294967295ELNS1_3gpuE0ELNS1_3repE0EEENS1_48merge_mergepath_partition_config_static_selectorELNS0_4arch9wavefront6targetE0EEEvSM_, .Lfunc_end1612-_ZN7rocprim17ROCPRIM_400000_NS6detail17trampoline_kernelINS0_14default_configENS1_38merge_sort_block_merge_config_selectorIlNS0_10empty_typeEEEZZNS1_27merge_sort_block_merge_implIS3_PlPS5_mZN2at6native12_GLOBAL__N_124unique_dim_cuda_templateImEESt5tupleIJNSA_6TensorESF_SF_EERKSF_lbbbEUlllE_EE10hipError_tT0_T1_T2_jT3_P12ihipStream_tbPNSt15iterator_traitsISL_E10value_typeEPNSR_ISM_E10value_typeEPSN_NS1_7vsmem_tEENKUlT_SL_SM_SN_E_clIS8_S8_S9_S9_EESK_S10_SL_SM_SN_EUlS10_E_NS1_11comp_targetILNS1_3genE0ELNS1_11target_archE4294967295ELNS1_3gpuE0ELNS1_3repE0EEENS1_48merge_mergepath_partition_config_static_selectorELNS0_4arch9wavefront6targetE0EEEvSM_
                                        ; -- End function
	.section	.AMDGPU.csdata,"",@progbits
; Kernel info:
; codeLenInByte = 0
; NumSgprs: 0
; NumVgprs: 0
; ScratchSize: 0
; MemoryBound: 0
; FloatMode: 240
; IeeeMode: 1
; LDSByteSize: 0 bytes/workgroup (compile time only)
; SGPRBlocks: 0
; VGPRBlocks: 0
; NumSGPRsForWavesPerEU: 1
; NumVGPRsForWavesPerEU: 1
; Occupancy: 16
; WaveLimiterHint : 0
; COMPUTE_PGM_RSRC2:SCRATCH_EN: 0
; COMPUTE_PGM_RSRC2:USER_SGPR: 15
; COMPUTE_PGM_RSRC2:TRAP_HANDLER: 0
; COMPUTE_PGM_RSRC2:TGID_X_EN: 1
; COMPUTE_PGM_RSRC2:TGID_Y_EN: 0
; COMPUTE_PGM_RSRC2:TGID_Z_EN: 0
; COMPUTE_PGM_RSRC2:TIDIG_COMP_CNT: 0
	.section	.text._ZN7rocprim17ROCPRIM_400000_NS6detail17trampoline_kernelINS0_14default_configENS1_38merge_sort_block_merge_config_selectorIlNS0_10empty_typeEEEZZNS1_27merge_sort_block_merge_implIS3_PlPS5_mZN2at6native12_GLOBAL__N_124unique_dim_cuda_templateImEESt5tupleIJNSA_6TensorESF_SF_EERKSF_lbbbEUlllE_EE10hipError_tT0_T1_T2_jT3_P12ihipStream_tbPNSt15iterator_traitsISL_E10value_typeEPNSR_ISM_E10value_typeEPSN_NS1_7vsmem_tEENKUlT_SL_SM_SN_E_clIS8_S8_S9_S9_EESK_S10_SL_SM_SN_EUlS10_E_NS1_11comp_targetILNS1_3genE10ELNS1_11target_archE1201ELNS1_3gpuE5ELNS1_3repE0EEENS1_48merge_mergepath_partition_config_static_selectorELNS0_4arch9wavefront6targetE0EEEvSM_,"axG",@progbits,_ZN7rocprim17ROCPRIM_400000_NS6detail17trampoline_kernelINS0_14default_configENS1_38merge_sort_block_merge_config_selectorIlNS0_10empty_typeEEEZZNS1_27merge_sort_block_merge_implIS3_PlPS5_mZN2at6native12_GLOBAL__N_124unique_dim_cuda_templateImEESt5tupleIJNSA_6TensorESF_SF_EERKSF_lbbbEUlllE_EE10hipError_tT0_T1_T2_jT3_P12ihipStream_tbPNSt15iterator_traitsISL_E10value_typeEPNSR_ISM_E10value_typeEPSN_NS1_7vsmem_tEENKUlT_SL_SM_SN_E_clIS8_S8_S9_S9_EESK_S10_SL_SM_SN_EUlS10_E_NS1_11comp_targetILNS1_3genE10ELNS1_11target_archE1201ELNS1_3gpuE5ELNS1_3repE0EEENS1_48merge_mergepath_partition_config_static_selectorELNS0_4arch9wavefront6targetE0EEEvSM_,comdat
	.globl	_ZN7rocprim17ROCPRIM_400000_NS6detail17trampoline_kernelINS0_14default_configENS1_38merge_sort_block_merge_config_selectorIlNS0_10empty_typeEEEZZNS1_27merge_sort_block_merge_implIS3_PlPS5_mZN2at6native12_GLOBAL__N_124unique_dim_cuda_templateImEESt5tupleIJNSA_6TensorESF_SF_EERKSF_lbbbEUlllE_EE10hipError_tT0_T1_T2_jT3_P12ihipStream_tbPNSt15iterator_traitsISL_E10value_typeEPNSR_ISM_E10value_typeEPSN_NS1_7vsmem_tEENKUlT_SL_SM_SN_E_clIS8_S8_S9_S9_EESK_S10_SL_SM_SN_EUlS10_E_NS1_11comp_targetILNS1_3genE10ELNS1_11target_archE1201ELNS1_3gpuE5ELNS1_3repE0EEENS1_48merge_mergepath_partition_config_static_selectorELNS0_4arch9wavefront6targetE0EEEvSM_ ; -- Begin function _ZN7rocprim17ROCPRIM_400000_NS6detail17trampoline_kernelINS0_14default_configENS1_38merge_sort_block_merge_config_selectorIlNS0_10empty_typeEEEZZNS1_27merge_sort_block_merge_implIS3_PlPS5_mZN2at6native12_GLOBAL__N_124unique_dim_cuda_templateImEESt5tupleIJNSA_6TensorESF_SF_EERKSF_lbbbEUlllE_EE10hipError_tT0_T1_T2_jT3_P12ihipStream_tbPNSt15iterator_traitsISL_E10value_typeEPNSR_ISM_E10value_typeEPSN_NS1_7vsmem_tEENKUlT_SL_SM_SN_E_clIS8_S8_S9_S9_EESK_S10_SL_SM_SN_EUlS10_E_NS1_11comp_targetILNS1_3genE10ELNS1_11target_archE1201ELNS1_3gpuE5ELNS1_3repE0EEENS1_48merge_mergepath_partition_config_static_selectorELNS0_4arch9wavefront6targetE0EEEvSM_
	.p2align	8
	.type	_ZN7rocprim17ROCPRIM_400000_NS6detail17trampoline_kernelINS0_14default_configENS1_38merge_sort_block_merge_config_selectorIlNS0_10empty_typeEEEZZNS1_27merge_sort_block_merge_implIS3_PlPS5_mZN2at6native12_GLOBAL__N_124unique_dim_cuda_templateImEESt5tupleIJNSA_6TensorESF_SF_EERKSF_lbbbEUlllE_EE10hipError_tT0_T1_T2_jT3_P12ihipStream_tbPNSt15iterator_traitsISL_E10value_typeEPNSR_ISM_E10value_typeEPSN_NS1_7vsmem_tEENKUlT_SL_SM_SN_E_clIS8_S8_S9_S9_EESK_S10_SL_SM_SN_EUlS10_E_NS1_11comp_targetILNS1_3genE10ELNS1_11target_archE1201ELNS1_3gpuE5ELNS1_3repE0EEENS1_48merge_mergepath_partition_config_static_selectorELNS0_4arch9wavefront6targetE0EEEvSM_,@function
_ZN7rocprim17ROCPRIM_400000_NS6detail17trampoline_kernelINS0_14default_configENS1_38merge_sort_block_merge_config_selectorIlNS0_10empty_typeEEEZZNS1_27merge_sort_block_merge_implIS3_PlPS5_mZN2at6native12_GLOBAL__N_124unique_dim_cuda_templateImEESt5tupleIJNSA_6TensorESF_SF_EERKSF_lbbbEUlllE_EE10hipError_tT0_T1_T2_jT3_P12ihipStream_tbPNSt15iterator_traitsISL_E10value_typeEPNSR_ISM_E10value_typeEPSN_NS1_7vsmem_tEENKUlT_SL_SM_SN_E_clIS8_S8_S9_S9_EESK_S10_SL_SM_SN_EUlS10_E_NS1_11comp_targetILNS1_3genE10ELNS1_11target_archE1201ELNS1_3gpuE5ELNS1_3repE0EEENS1_48merge_mergepath_partition_config_static_selectorELNS0_4arch9wavefront6targetE0EEEvSM_: ; @_ZN7rocprim17ROCPRIM_400000_NS6detail17trampoline_kernelINS0_14default_configENS1_38merge_sort_block_merge_config_selectorIlNS0_10empty_typeEEEZZNS1_27merge_sort_block_merge_implIS3_PlPS5_mZN2at6native12_GLOBAL__N_124unique_dim_cuda_templateImEESt5tupleIJNSA_6TensorESF_SF_EERKSF_lbbbEUlllE_EE10hipError_tT0_T1_T2_jT3_P12ihipStream_tbPNSt15iterator_traitsISL_E10value_typeEPNSR_ISM_E10value_typeEPSN_NS1_7vsmem_tEENKUlT_SL_SM_SN_E_clIS8_S8_S9_S9_EESK_S10_SL_SM_SN_EUlS10_E_NS1_11comp_targetILNS1_3genE10ELNS1_11target_archE1201ELNS1_3gpuE5ELNS1_3repE0EEENS1_48merge_mergepath_partition_config_static_selectorELNS0_4arch9wavefront6targetE0EEEvSM_
; %bb.0:
	.section	.rodata,"a",@progbits
	.p2align	6, 0x0
	.amdhsa_kernel _ZN7rocprim17ROCPRIM_400000_NS6detail17trampoline_kernelINS0_14default_configENS1_38merge_sort_block_merge_config_selectorIlNS0_10empty_typeEEEZZNS1_27merge_sort_block_merge_implIS3_PlPS5_mZN2at6native12_GLOBAL__N_124unique_dim_cuda_templateImEESt5tupleIJNSA_6TensorESF_SF_EERKSF_lbbbEUlllE_EE10hipError_tT0_T1_T2_jT3_P12ihipStream_tbPNSt15iterator_traitsISL_E10value_typeEPNSR_ISM_E10value_typeEPSN_NS1_7vsmem_tEENKUlT_SL_SM_SN_E_clIS8_S8_S9_S9_EESK_S10_SL_SM_SN_EUlS10_E_NS1_11comp_targetILNS1_3genE10ELNS1_11target_archE1201ELNS1_3gpuE5ELNS1_3repE0EEENS1_48merge_mergepath_partition_config_static_selectorELNS0_4arch9wavefront6targetE0EEEvSM_
		.amdhsa_group_segment_fixed_size 0
		.amdhsa_private_segment_fixed_size 0
		.amdhsa_kernarg_size 56
		.amdhsa_user_sgpr_count 15
		.amdhsa_user_sgpr_dispatch_ptr 0
		.amdhsa_user_sgpr_queue_ptr 0
		.amdhsa_user_sgpr_kernarg_segment_ptr 1
		.amdhsa_user_sgpr_dispatch_id 0
		.amdhsa_user_sgpr_private_segment_size 0
		.amdhsa_wavefront_size32 1
		.amdhsa_uses_dynamic_stack 0
		.amdhsa_enable_private_segment 0
		.amdhsa_system_sgpr_workgroup_id_x 1
		.amdhsa_system_sgpr_workgroup_id_y 0
		.amdhsa_system_sgpr_workgroup_id_z 0
		.amdhsa_system_sgpr_workgroup_info 0
		.amdhsa_system_vgpr_workitem_id 0
		.amdhsa_next_free_vgpr 1
		.amdhsa_next_free_sgpr 1
		.amdhsa_reserve_vcc 0
		.amdhsa_float_round_mode_32 0
		.amdhsa_float_round_mode_16_64 0
		.amdhsa_float_denorm_mode_32 3
		.amdhsa_float_denorm_mode_16_64 3
		.amdhsa_dx10_clamp 1
		.amdhsa_ieee_mode 1
		.amdhsa_fp16_overflow 0
		.amdhsa_workgroup_processor_mode 1
		.amdhsa_memory_ordered 1
		.amdhsa_forward_progress 0
		.amdhsa_shared_vgpr_count 0
		.amdhsa_exception_fp_ieee_invalid_op 0
		.amdhsa_exception_fp_denorm_src 0
		.amdhsa_exception_fp_ieee_div_zero 0
		.amdhsa_exception_fp_ieee_overflow 0
		.amdhsa_exception_fp_ieee_underflow 0
		.amdhsa_exception_fp_ieee_inexact 0
		.amdhsa_exception_int_div_zero 0
	.end_amdhsa_kernel
	.section	.text._ZN7rocprim17ROCPRIM_400000_NS6detail17trampoline_kernelINS0_14default_configENS1_38merge_sort_block_merge_config_selectorIlNS0_10empty_typeEEEZZNS1_27merge_sort_block_merge_implIS3_PlPS5_mZN2at6native12_GLOBAL__N_124unique_dim_cuda_templateImEESt5tupleIJNSA_6TensorESF_SF_EERKSF_lbbbEUlllE_EE10hipError_tT0_T1_T2_jT3_P12ihipStream_tbPNSt15iterator_traitsISL_E10value_typeEPNSR_ISM_E10value_typeEPSN_NS1_7vsmem_tEENKUlT_SL_SM_SN_E_clIS8_S8_S9_S9_EESK_S10_SL_SM_SN_EUlS10_E_NS1_11comp_targetILNS1_3genE10ELNS1_11target_archE1201ELNS1_3gpuE5ELNS1_3repE0EEENS1_48merge_mergepath_partition_config_static_selectorELNS0_4arch9wavefront6targetE0EEEvSM_,"axG",@progbits,_ZN7rocprim17ROCPRIM_400000_NS6detail17trampoline_kernelINS0_14default_configENS1_38merge_sort_block_merge_config_selectorIlNS0_10empty_typeEEEZZNS1_27merge_sort_block_merge_implIS3_PlPS5_mZN2at6native12_GLOBAL__N_124unique_dim_cuda_templateImEESt5tupleIJNSA_6TensorESF_SF_EERKSF_lbbbEUlllE_EE10hipError_tT0_T1_T2_jT3_P12ihipStream_tbPNSt15iterator_traitsISL_E10value_typeEPNSR_ISM_E10value_typeEPSN_NS1_7vsmem_tEENKUlT_SL_SM_SN_E_clIS8_S8_S9_S9_EESK_S10_SL_SM_SN_EUlS10_E_NS1_11comp_targetILNS1_3genE10ELNS1_11target_archE1201ELNS1_3gpuE5ELNS1_3repE0EEENS1_48merge_mergepath_partition_config_static_selectorELNS0_4arch9wavefront6targetE0EEEvSM_,comdat
.Lfunc_end1613:
	.size	_ZN7rocprim17ROCPRIM_400000_NS6detail17trampoline_kernelINS0_14default_configENS1_38merge_sort_block_merge_config_selectorIlNS0_10empty_typeEEEZZNS1_27merge_sort_block_merge_implIS3_PlPS5_mZN2at6native12_GLOBAL__N_124unique_dim_cuda_templateImEESt5tupleIJNSA_6TensorESF_SF_EERKSF_lbbbEUlllE_EE10hipError_tT0_T1_T2_jT3_P12ihipStream_tbPNSt15iterator_traitsISL_E10value_typeEPNSR_ISM_E10value_typeEPSN_NS1_7vsmem_tEENKUlT_SL_SM_SN_E_clIS8_S8_S9_S9_EESK_S10_SL_SM_SN_EUlS10_E_NS1_11comp_targetILNS1_3genE10ELNS1_11target_archE1201ELNS1_3gpuE5ELNS1_3repE0EEENS1_48merge_mergepath_partition_config_static_selectorELNS0_4arch9wavefront6targetE0EEEvSM_, .Lfunc_end1613-_ZN7rocprim17ROCPRIM_400000_NS6detail17trampoline_kernelINS0_14default_configENS1_38merge_sort_block_merge_config_selectorIlNS0_10empty_typeEEEZZNS1_27merge_sort_block_merge_implIS3_PlPS5_mZN2at6native12_GLOBAL__N_124unique_dim_cuda_templateImEESt5tupleIJNSA_6TensorESF_SF_EERKSF_lbbbEUlllE_EE10hipError_tT0_T1_T2_jT3_P12ihipStream_tbPNSt15iterator_traitsISL_E10value_typeEPNSR_ISM_E10value_typeEPSN_NS1_7vsmem_tEENKUlT_SL_SM_SN_E_clIS8_S8_S9_S9_EESK_S10_SL_SM_SN_EUlS10_E_NS1_11comp_targetILNS1_3genE10ELNS1_11target_archE1201ELNS1_3gpuE5ELNS1_3repE0EEENS1_48merge_mergepath_partition_config_static_selectorELNS0_4arch9wavefront6targetE0EEEvSM_
                                        ; -- End function
	.section	.AMDGPU.csdata,"",@progbits
; Kernel info:
; codeLenInByte = 0
; NumSgprs: 0
; NumVgprs: 0
; ScratchSize: 0
; MemoryBound: 0
; FloatMode: 240
; IeeeMode: 1
; LDSByteSize: 0 bytes/workgroup (compile time only)
; SGPRBlocks: 0
; VGPRBlocks: 0
; NumSGPRsForWavesPerEU: 1
; NumVGPRsForWavesPerEU: 1
; Occupancy: 16
; WaveLimiterHint : 0
; COMPUTE_PGM_RSRC2:SCRATCH_EN: 0
; COMPUTE_PGM_RSRC2:USER_SGPR: 15
; COMPUTE_PGM_RSRC2:TRAP_HANDLER: 0
; COMPUTE_PGM_RSRC2:TGID_X_EN: 1
; COMPUTE_PGM_RSRC2:TGID_Y_EN: 0
; COMPUTE_PGM_RSRC2:TGID_Z_EN: 0
; COMPUTE_PGM_RSRC2:TIDIG_COMP_CNT: 0
	.section	.text._ZN7rocprim17ROCPRIM_400000_NS6detail17trampoline_kernelINS0_14default_configENS1_38merge_sort_block_merge_config_selectorIlNS0_10empty_typeEEEZZNS1_27merge_sort_block_merge_implIS3_PlPS5_mZN2at6native12_GLOBAL__N_124unique_dim_cuda_templateImEESt5tupleIJNSA_6TensorESF_SF_EERKSF_lbbbEUlllE_EE10hipError_tT0_T1_T2_jT3_P12ihipStream_tbPNSt15iterator_traitsISL_E10value_typeEPNSR_ISM_E10value_typeEPSN_NS1_7vsmem_tEENKUlT_SL_SM_SN_E_clIS8_S8_S9_S9_EESK_S10_SL_SM_SN_EUlS10_E_NS1_11comp_targetILNS1_3genE5ELNS1_11target_archE942ELNS1_3gpuE9ELNS1_3repE0EEENS1_48merge_mergepath_partition_config_static_selectorELNS0_4arch9wavefront6targetE0EEEvSM_,"axG",@progbits,_ZN7rocprim17ROCPRIM_400000_NS6detail17trampoline_kernelINS0_14default_configENS1_38merge_sort_block_merge_config_selectorIlNS0_10empty_typeEEEZZNS1_27merge_sort_block_merge_implIS3_PlPS5_mZN2at6native12_GLOBAL__N_124unique_dim_cuda_templateImEESt5tupleIJNSA_6TensorESF_SF_EERKSF_lbbbEUlllE_EE10hipError_tT0_T1_T2_jT3_P12ihipStream_tbPNSt15iterator_traitsISL_E10value_typeEPNSR_ISM_E10value_typeEPSN_NS1_7vsmem_tEENKUlT_SL_SM_SN_E_clIS8_S8_S9_S9_EESK_S10_SL_SM_SN_EUlS10_E_NS1_11comp_targetILNS1_3genE5ELNS1_11target_archE942ELNS1_3gpuE9ELNS1_3repE0EEENS1_48merge_mergepath_partition_config_static_selectorELNS0_4arch9wavefront6targetE0EEEvSM_,comdat
	.globl	_ZN7rocprim17ROCPRIM_400000_NS6detail17trampoline_kernelINS0_14default_configENS1_38merge_sort_block_merge_config_selectorIlNS0_10empty_typeEEEZZNS1_27merge_sort_block_merge_implIS3_PlPS5_mZN2at6native12_GLOBAL__N_124unique_dim_cuda_templateImEESt5tupleIJNSA_6TensorESF_SF_EERKSF_lbbbEUlllE_EE10hipError_tT0_T1_T2_jT3_P12ihipStream_tbPNSt15iterator_traitsISL_E10value_typeEPNSR_ISM_E10value_typeEPSN_NS1_7vsmem_tEENKUlT_SL_SM_SN_E_clIS8_S8_S9_S9_EESK_S10_SL_SM_SN_EUlS10_E_NS1_11comp_targetILNS1_3genE5ELNS1_11target_archE942ELNS1_3gpuE9ELNS1_3repE0EEENS1_48merge_mergepath_partition_config_static_selectorELNS0_4arch9wavefront6targetE0EEEvSM_ ; -- Begin function _ZN7rocprim17ROCPRIM_400000_NS6detail17trampoline_kernelINS0_14default_configENS1_38merge_sort_block_merge_config_selectorIlNS0_10empty_typeEEEZZNS1_27merge_sort_block_merge_implIS3_PlPS5_mZN2at6native12_GLOBAL__N_124unique_dim_cuda_templateImEESt5tupleIJNSA_6TensorESF_SF_EERKSF_lbbbEUlllE_EE10hipError_tT0_T1_T2_jT3_P12ihipStream_tbPNSt15iterator_traitsISL_E10value_typeEPNSR_ISM_E10value_typeEPSN_NS1_7vsmem_tEENKUlT_SL_SM_SN_E_clIS8_S8_S9_S9_EESK_S10_SL_SM_SN_EUlS10_E_NS1_11comp_targetILNS1_3genE5ELNS1_11target_archE942ELNS1_3gpuE9ELNS1_3repE0EEENS1_48merge_mergepath_partition_config_static_selectorELNS0_4arch9wavefront6targetE0EEEvSM_
	.p2align	8
	.type	_ZN7rocprim17ROCPRIM_400000_NS6detail17trampoline_kernelINS0_14default_configENS1_38merge_sort_block_merge_config_selectorIlNS0_10empty_typeEEEZZNS1_27merge_sort_block_merge_implIS3_PlPS5_mZN2at6native12_GLOBAL__N_124unique_dim_cuda_templateImEESt5tupleIJNSA_6TensorESF_SF_EERKSF_lbbbEUlllE_EE10hipError_tT0_T1_T2_jT3_P12ihipStream_tbPNSt15iterator_traitsISL_E10value_typeEPNSR_ISM_E10value_typeEPSN_NS1_7vsmem_tEENKUlT_SL_SM_SN_E_clIS8_S8_S9_S9_EESK_S10_SL_SM_SN_EUlS10_E_NS1_11comp_targetILNS1_3genE5ELNS1_11target_archE942ELNS1_3gpuE9ELNS1_3repE0EEENS1_48merge_mergepath_partition_config_static_selectorELNS0_4arch9wavefront6targetE0EEEvSM_,@function
_ZN7rocprim17ROCPRIM_400000_NS6detail17trampoline_kernelINS0_14default_configENS1_38merge_sort_block_merge_config_selectorIlNS0_10empty_typeEEEZZNS1_27merge_sort_block_merge_implIS3_PlPS5_mZN2at6native12_GLOBAL__N_124unique_dim_cuda_templateImEESt5tupleIJNSA_6TensorESF_SF_EERKSF_lbbbEUlllE_EE10hipError_tT0_T1_T2_jT3_P12ihipStream_tbPNSt15iterator_traitsISL_E10value_typeEPNSR_ISM_E10value_typeEPSN_NS1_7vsmem_tEENKUlT_SL_SM_SN_E_clIS8_S8_S9_S9_EESK_S10_SL_SM_SN_EUlS10_E_NS1_11comp_targetILNS1_3genE5ELNS1_11target_archE942ELNS1_3gpuE9ELNS1_3repE0EEENS1_48merge_mergepath_partition_config_static_selectorELNS0_4arch9wavefront6targetE0EEEvSM_: ; @_ZN7rocprim17ROCPRIM_400000_NS6detail17trampoline_kernelINS0_14default_configENS1_38merge_sort_block_merge_config_selectorIlNS0_10empty_typeEEEZZNS1_27merge_sort_block_merge_implIS3_PlPS5_mZN2at6native12_GLOBAL__N_124unique_dim_cuda_templateImEESt5tupleIJNSA_6TensorESF_SF_EERKSF_lbbbEUlllE_EE10hipError_tT0_T1_T2_jT3_P12ihipStream_tbPNSt15iterator_traitsISL_E10value_typeEPNSR_ISM_E10value_typeEPSN_NS1_7vsmem_tEENKUlT_SL_SM_SN_E_clIS8_S8_S9_S9_EESK_S10_SL_SM_SN_EUlS10_E_NS1_11comp_targetILNS1_3genE5ELNS1_11target_archE942ELNS1_3gpuE9ELNS1_3repE0EEENS1_48merge_mergepath_partition_config_static_selectorELNS0_4arch9wavefront6targetE0EEEvSM_
; %bb.0:
	.section	.rodata,"a",@progbits
	.p2align	6, 0x0
	.amdhsa_kernel _ZN7rocprim17ROCPRIM_400000_NS6detail17trampoline_kernelINS0_14default_configENS1_38merge_sort_block_merge_config_selectorIlNS0_10empty_typeEEEZZNS1_27merge_sort_block_merge_implIS3_PlPS5_mZN2at6native12_GLOBAL__N_124unique_dim_cuda_templateImEESt5tupleIJNSA_6TensorESF_SF_EERKSF_lbbbEUlllE_EE10hipError_tT0_T1_T2_jT3_P12ihipStream_tbPNSt15iterator_traitsISL_E10value_typeEPNSR_ISM_E10value_typeEPSN_NS1_7vsmem_tEENKUlT_SL_SM_SN_E_clIS8_S8_S9_S9_EESK_S10_SL_SM_SN_EUlS10_E_NS1_11comp_targetILNS1_3genE5ELNS1_11target_archE942ELNS1_3gpuE9ELNS1_3repE0EEENS1_48merge_mergepath_partition_config_static_selectorELNS0_4arch9wavefront6targetE0EEEvSM_
		.amdhsa_group_segment_fixed_size 0
		.amdhsa_private_segment_fixed_size 0
		.amdhsa_kernarg_size 56
		.amdhsa_user_sgpr_count 15
		.amdhsa_user_sgpr_dispatch_ptr 0
		.amdhsa_user_sgpr_queue_ptr 0
		.amdhsa_user_sgpr_kernarg_segment_ptr 1
		.amdhsa_user_sgpr_dispatch_id 0
		.amdhsa_user_sgpr_private_segment_size 0
		.amdhsa_wavefront_size32 1
		.amdhsa_uses_dynamic_stack 0
		.amdhsa_enable_private_segment 0
		.amdhsa_system_sgpr_workgroup_id_x 1
		.amdhsa_system_sgpr_workgroup_id_y 0
		.amdhsa_system_sgpr_workgroup_id_z 0
		.amdhsa_system_sgpr_workgroup_info 0
		.amdhsa_system_vgpr_workitem_id 0
		.amdhsa_next_free_vgpr 1
		.amdhsa_next_free_sgpr 1
		.amdhsa_reserve_vcc 0
		.amdhsa_float_round_mode_32 0
		.amdhsa_float_round_mode_16_64 0
		.amdhsa_float_denorm_mode_32 3
		.amdhsa_float_denorm_mode_16_64 3
		.amdhsa_dx10_clamp 1
		.amdhsa_ieee_mode 1
		.amdhsa_fp16_overflow 0
		.amdhsa_workgroup_processor_mode 1
		.amdhsa_memory_ordered 1
		.amdhsa_forward_progress 0
		.amdhsa_shared_vgpr_count 0
		.amdhsa_exception_fp_ieee_invalid_op 0
		.amdhsa_exception_fp_denorm_src 0
		.amdhsa_exception_fp_ieee_div_zero 0
		.amdhsa_exception_fp_ieee_overflow 0
		.amdhsa_exception_fp_ieee_underflow 0
		.amdhsa_exception_fp_ieee_inexact 0
		.amdhsa_exception_int_div_zero 0
	.end_amdhsa_kernel
	.section	.text._ZN7rocprim17ROCPRIM_400000_NS6detail17trampoline_kernelINS0_14default_configENS1_38merge_sort_block_merge_config_selectorIlNS0_10empty_typeEEEZZNS1_27merge_sort_block_merge_implIS3_PlPS5_mZN2at6native12_GLOBAL__N_124unique_dim_cuda_templateImEESt5tupleIJNSA_6TensorESF_SF_EERKSF_lbbbEUlllE_EE10hipError_tT0_T1_T2_jT3_P12ihipStream_tbPNSt15iterator_traitsISL_E10value_typeEPNSR_ISM_E10value_typeEPSN_NS1_7vsmem_tEENKUlT_SL_SM_SN_E_clIS8_S8_S9_S9_EESK_S10_SL_SM_SN_EUlS10_E_NS1_11comp_targetILNS1_3genE5ELNS1_11target_archE942ELNS1_3gpuE9ELNS1_3repE0EEENS1_48merge_mergepath_partition_config_static_selectorELNS0_4arch9wavefront6targetE0EEEvSM_,"axG",@progbits,_ZN7rocprim17ROCPRIM_400000_NS6detail17trampoline_kernelINS0_14default_configENS1_38merge_sort_block_merge_config_selectorIlNS0_10empty_typeEEEZZNS1_27merge_sort_block_merge_implIS3_PlPS5_mZN2at6native12_GLOBAL__N_124unique_dim_cuda_templateImEESt5tupleIJNSA_6TensorESF_SF_EERKSF_lbbbEUlllE_EE10hipError_tT0_T1_T2_jT3_P12ihipStream_tbPNSt15iterator_traitsISL_E10value_typeEPNSR_ISM_E10value_typeEPSN_NS1_7vsmem_tEENKUlT_SL_SM_SN_E_clIS8_S8_S9_S9_EESK_S10_SL_SM_SN_EUlS10_E_NS1_11comp_targetILNS1_3genE5ELNS1_11target_archE942ELNS1_3gpuE9ELNS1_3repE0EEENS1_48merge_mergepath_partition_config_static_selectorELNS0_4arch9wavefront6targetE0EEEvSM_,comdat
.Lfunc_end1614:
	.size	_ZN7rocprim17ROCPRIM_400000_NS6detail17trampoline_kernelINS0_14default_configENS1_38merge_sort_block_merge_config_selectorIlNS0_10empty_typeEEEZZNS1_27merge_sort_block_merge_implIS3_PlPS5_mZN2at6native12_GLOBAL__N_124unique_dim_cuda_templateImEESt5tupleIJNSA_6TensorESF_SF_EERKSF_lbbbEUlllE_EE10hipError_tT0_T1_T2_jT3_P12ihipStream_tbPNSt15iterator_traitsISL_E10value_typeEPNSR_ISM_E10value_typeEPSN_NS1_7vsmem_tEENKUlT_SL_SM_SN_E_clIS8_S8_S9_S9_EESK_S10_SL_SM_SN_EUlS10_E_NS1_11comp_targetILNS1_3genE5ELNS1_11target_archE942ELNS1_3gpuE9ELNS1_3repE0EEENS1_48merge_mergepath_partition_config_static_selectorELNS0_4arch9wavefront6targetE0EEEvSM_, .Lfunc_end1614-_ZN7rocprim17ROCPRIM_400000_NS6detail17trampoline_kernelINS0_14default_configENS1_38merge_sort_block_merge_config_selectorIlNS0_10empty_typeEEEZZNS1_27merge_sort_block_merge_implIS3_PlPS5_mZN2at6native12_GLOBAL__N_124unique_dim_cuda_templateImEESt5tupleIJNSA_6TensorESF_SF_EERKSF_lbbbEUlllE_EE10hipError_tT0_T1_T2_jT3_P12ihipStream_tbPNSt15iterator_traitsISL_E10value_typeEPNSR_ISM_E10value_typeEPSN_NS1_7vsmem_tEENKUlT_SL_SM_SN_E_clIS8_S8_S9_S9_EESK_S10_SL_SM_SN_EUlS10_E_NS1_11comp_targetILNS1_3genE5ELNS1_11target_archE942ELNS1_3gpuE9ELNS1_3repE0EEENS1_48merge_mergepath_partition_config_static_selectorELNS0_4arch9wavefront6targetE0EEEvSM_
                                        ; -- End function
	.section	.AMDGPU.csdata,"",@progbits
; Kernel info:
; codeLenInByte = 0
; NumSgprs: 0
; NumVgprs: 0
; ScratchSize: 0
; MemoryBound: 0
; FloatMode: 240
; IeeeMode: 1
; LDSByteSize: 0 bytes/workgroup (compile time only)
; SGPRBlocks: 0
; VGPRBlocks: 0
; NumSGPRsForWavesPerEU: 1
; NumVGPRsForWavesPerEU: 1
; Occupancy: 16
; WaveLimiterHint : 0
; COMPUTE_PGM_RSRC2:SCRATCH_EN: 0
; COMPUTE_PGM_RSRC2:USER_SGPR: 15
; COMPUTE_PGM_RSRC2:TRAP_HANDLER: 0
; COMPUTE_PGM_RSRC2:TGID_X_EN: 1
; COMPUTE_PGM_RSRC2:TGID_Y_EN: 0
; COMPUTE_PGM_RSRC2:TGID_Z_EN: 0
; COMPUTE_PGM_RSRC2:TIDIG_COMP_CNT: 0
	.section	.text._ZN7rocprim17ROCPRIM_400000_NS6detail17trampoline_kernelINS0_14default_configENS1_38merge_sort_block_merge_config_selectorIlNS0_10empty_typeEEEZZNS1_27merge_sort_block_merge_implIS3_PlPS5_mZN2at6native12_GLOBAL__N_124unique_dim_cuda_templateImEESt5tupleIJNSA_6TensorESF_SF_EERKSF_lbbbEUlllE_EE10hipError_tT0_T1_T2_jT3_P12ihipStream_tbPNSt15iterator_traitsISL_E10value_typeEPNSR_ISM_E10value_typeEPSN_NS1_7vsmem_tEENKUlT_SL_SM_SN_E_clIS8_S8_S9_S9_EESK_S10_SL_SM_SN_EUlS10_E_NS1_11comp_targetILNS1_3genE4ELNS1_11target_archE910ELNS1_3gpuE8ELNS1_3repE0EEENS1_48merge_mergepath_partition_config_static_selectorELNS0_4arch9wavefront6targetE0EEEvSM_,"axG",@progbits,_ZN7rocprim17ROCPRIM_400000_NS6detail17trampoline_kernelINS0_14default_configENS1_38merge_sort_block_merge_config_selectorIlNS0_10empty_typeEEEZZNS1_27merge_sort_block_merge_implIS3_PlPS5_mZN2at6native12_GLOBAL__N_124unique_dim_cuda_templateImEESt5tupleIJNSA_6TensorESF_SF_EERKSF_lbbbEUlllE_EE10hipError_tT0_T1_T2_jT3_P12ihipStream_tbPNSt15iterator_traitsISL_E10value_typeEPNSR_ISM_E10value_typeEPSN_NS1_7vsmem_tEENKUlT_SL_SM_SN_E_clIS8_S8_S9_S9_EESK_S10_SL_SM_SN_EUlS10_E_NS1_11comp_targetILNS1_3genE4ELNS1_11target_archE910ELNS1_3gpuE8ELNS1_3repE0EEENS1_48merge_mergepath_partition_config_static_selectorELNS0_4arch9wavefront6targetE0EEEvSM_,comdat
	.globl	_ZN7rocprim17ROCPRIM_400000_NS6detail17trampoline_kernelINS0_14default_configENS1_38merge_sort_block_merge_config_selectorIlNS0_10empty_typeEEEZZNS1_27merge_sort_block_merge_implIS3_PlPS5_mZN2at6native12_GLOBAL__N_124unique_dim_cuda_templateImEESt5tupleIJNSA_6TensorESF_SF_EERKSF_lbbbEUlllE_EE10hipError_tT0_T1_T2_jT3_P12ihipStream_tbPNSt15iterator_traitsISL_E10value_typeEPNSR_ISM_E10value_typeEPSN_NS1_7vsmem_tEENKUlT_SL_SM_SN_E_clIS8_S8_S9_S9_EESK_S10_SL_SM_SN_EUlS10_E_NS1_11comp_targetILNS1_3genE4ELNS1_11target_archE910ELNS1_3gpuE8ELNS1_3repE0EEENS1_48merge_mergepath_partition_config_static_selectorELNS0_4arch9wavefront6targetE0EEEvSM_ ; -- Begin function _ZN7rocprim17ROCPRIM_400000_NS6detail17trampoline_kernelINS0_14default_configENS1_38merge_sort_block_merge_config_selectorIlNS0_10empty_typeEEEZZNS1_27merge_sort_block_merge_implIS3_PlPS5_mZN2at6native12_GLOBAL__N_124unique_dim_cuda_templateImEESt5tupleIJNSA_6TensorESF_SF_EERKSF_lbbbEUlllE_EE10hipError_tT0_T1_T2_jT3_P12ihipStream_tbPNSt15iterator_traitsISL_E10value_typeEPNSR_ISM_E10value_typeEPSN_NS1_7vsmem_tEENKUlT_SL_SM_SN_E_clIS8_S8_S9_S9_EESK_S10_SL_SM_SN_EUlS10_E_NS1_11comp_targetILNS1_3genE4ELNS1_11target_archE910ELNS1_3gpuE8ELNS1_3repE0EEENS1_48merge_mergepath_partition_config_static_selectorELNS0_4arch9wavefront6targetE0EEEvSM_
	.p2align	8
	.type	_ZN7rocprim17ROCPRIM_400000_NS6detail17trampoline_kernelINS0_14default_configENS1_38merge_sort_block_merge_config_selectorIlNS0_10empty_typeEEEZZNS1_27merge_sort_block_merge_implIS3_PlPS5_mZN2at6native12_GLOBAL__N_124unique_dim_cuda_templateImEESt5tupleIJNSA_6TensorESF_SF_EERKSF_lbbbEUlllE_EE10hipError_tT0_T1_T2_jT3_P12ihipStream_tbPNSt15iterator_traitsISL_E10value_typeEPNSR_ISM_E10value_typeEPSN_NS1_7vsmem_tEENKUlT_SL_SM_SN_E_clIS8_S8_S9_S9_EESK_S10_SL_SM_SN_EUlS10_E_NS1_11comp_targetILNS1_3genE4ELNS1_11target_archE910ELNS1_3gpuE8ELNS1_3repE0EEENS1_48merge_mergepath_partition_config_static_selectorELNS0_4arch9wavefront6targetE0EEEvSM_,@function
_ZN7rocprim17ROCPRIM_400000_NS6detail17trampoline_kernelINS0_14default_configENS1_38merge_sort_block_merge_config_selectorIlNS0_10empty_typeEEEZZNS1_27merge_sort_block_merge_implIS3_PlPS5_mZN2at6native12_GLOBAL__N_124unique_dim_cuda_templateImEESt5tupleIJNSA_6TensorESF_SF_EERKSF_lbbbEUlllE_EE10hipError_tT0_T1_T2_jT3_P12ihipStream_tbPNSt15iterator_traitsISL_E10value_typeEPNSR_ISM_E10value_typeEPSN_NS1_7vsmem_tEENKUlT_SL_SM_SN_E_clIS8_S8_S9_S9_EESK_S10_SL_SM_SN_EUlS10_E_NS1_11comp_targetILNS1_3genE4ELNS1_11target_archE910ELNS1_3gpuE8ELNS1_3repE0EEENS1_48merge_mergepath_partition_config_static_selectorELNS0_4arch9wavefront6targetE0EEEvSM_: ; @_ZN7rocprim17ROCPRIM_400000_NS6detail17trampoline_kernelINS0_14default_configENS1_38merge_sort_block_merge_config_selectorIlNS0_10empty_typeEEEZZNS1_27merge_sort_block_merge_implIS3_PlPS5_mZN2at6native12_GLOBAL__N_124unique_dim_cuda_templateImEESt5tupleIJNSA_6TensorESF_SF_EERKSF_lbbbEUlllE_EE10hipError_tT0_T1_T2_jT3_P12ihipStream_tbPNSt15iterator_traitsISL_E10value_typeEPNSR_ISM_E10value_typeEPSN_NS1_7vsmem_tEENKUlT_SL_SM_SN_E_clIS8_S8_S9_S9_EESK_S10_SL_SM_SN_EUlS10_E_NS1_11comp_targetILNS1_3genE4ELNS1_11target_archE910ELNS1_3gpuE8ELNS1_3repE0EEENS1_48merge_mergepath_partition_config_static_selectorELNS0_4arch9wavefront6targetE0EEEvSM_
; %bb.0:
	.section	.rodata,"a",@progbits
	.p2align	6, 0x0
	.amdhsa_kernel _ZN7rocprim17ROCPRIM_400000_NS6detail17trampoline_kernelINS0_14default_configENS1_38merge_sort_block_merge_config_selectorIlNS0_10empty_typeEEEZZNS1_27merge_sort_block_merge_implIS3_PlPS5_mZN2at6native12_GLOBAL__N_124unique_dim_cuda_templateImEESt5tupleIJNSA_6TensorESF_SF_EERKSF_lbbbEUlllE_EE10hipError_tT0_T1_T2_jT3_P12ihipStream_tbPNSt15iterator_traitsISL_E10value_typeEPNSR_ISM_E10value_typeEPSN_NS1_7vsmem_tEENKUlT_SL_SM_SN_E_clIS8_S8_S9_S9_EESK_S10_SL_SM_SN_EUlS10_E_NS1_11comp_targetILNS1_3genE4ELNS1_11target_archE910ELNS1_3gpuE8ELNS1_3repE0EEENS1_48merge_mergepath_partition_config_static_selectorELNS0_4arch9wavefront6targetE0EEEvSM_
		.amdhsa_group_segment_fixed_size 0
		.amdhsa_private_segment_fixed_size 0
		.amdhsa_kernarg_size 56
		.amdhsa_user_sgpr_count 15
		.amdhsa_user_sgpr_dispatch_ptr 0
		.amdhsa_user_sgpr_queue_ptr 0
		.amdhsa_user_sgpr_kernarg_segment_ptr 1
		.amdhsa_user_sgpr_dispatch_id 0
		.amdhsa_user_sgpr_private_segment_size 0
		.amdhsa_wavefront_size32 1
		.amdhsa_uses_dynamic_stack 0
		.amdhsa_enable_private_segment 0
		.amdhsa_system_sgpr_workgroup_id_x 1
		.amdhsa_system_sgpr_workgroup_id_y 0
		.amdhsa_system_sgpr_workgroup_id_z 0
		.amdhsa_system_sgpr_workgroup_info 0
		.amdhsa_system_vgpr_workitem_id 0
		.amdhsa_next_free_vgpr 1
		.amdhsa_next_free_sgpr 1
		.amdhsa_reserve_vcc 0
		.amdhsa_float_round_mode_32 0
		.amdhsa_float_round_mode_16_64 0
		.amdhsa_float_denorm_mode_32 3
		.amdhsa_float_denorm_mode_16_64 3
		.amdhsa_dx10_clamp 1
		.amdhsa_ieee_mode 1
		.amdhsa_fp16_overflow 0
		.amdhsa_workgroup_processor_mode 1
		.amdhsa_memory_ordered 1
		.amdhsa_forward_progress 0
		.amdhsa_shared_vgpr_count 0
		.amdhsa_exception_fp_ieee_invalid_op 0
		.amdhsa_exception_fp_denorm_src 0
		.amdhsa_exception_fp_ieee_div_zero 0
		.amdhsa_exception_fp_ieee_overflow 0
		.amdhsa_exception_fp_ieee_underflow 0
		.amdhsa_exception_fp_ieee_inexact 0
		.amdhsa_exception_int_div_zero 0
	.end_amdhsa_kernel
	.section	.text._ZN7rocprim17ROCPRIM_400000_NS6detail17trampoline_kernelINS0_14default_configENS1_38merge_sort_block_merge_config_selectorIlNS0_10empty_typeEEEZZNS1_27merge_sort_block_merge_implIS3_PlPS5_mZN2at6native12_GLOBAL__N_124unique_dim_cuda_templateImEESt5tupleIJNSA_6TensorESF_SF_EERKSF_lbbbEUlllE_EE10hipError_tT0_T1_T2_jT3_P12ihipStream_tbPNSt15iterator_traitsISL_E10value_typeEPNSR_ISM_E10value_typeEPSN_NS1_7vsmem_tEENKUlT_SL_SM_SN_E_clIS8_S8_S9_S9_EESK_S10_SL_SM_SN_EUlS10_E_NS1_11comp_targetILNS1_3genE4ELNS1_11target_archE910ELNS1_3gpuE8ELNS1_3repE0EEENS1_48merge_mergepath_partition_config_static_selectorELNS0_4arch9wavefront6targetE0EEEvSM_,"axG",@progbits,_ZN7rocprim17ROCPRIM_400000_NS6detail17trampoline_kernelINS0_14default_configENS1_38merge_sort_block_merge_config_selectorIlNS0_10empty_typeEEEZZNS1_27merge_sort_block_merge_implIS3_PlPS5_mZN2at6native12_GLOBAL__N_124unique_dim_cuda_templateImEESt5tupleIJNSA_6TensorESF_SF_EERKSF_lbbbEUlllE_EE10hipError_tT0_T1_T2_jT3_P12ihipStream_tbPNSt15iterator_traitsISL_E10value_typeEPNSR_ISM_E10value_typeEPSN_NS1_7vsmem_tEENKUlT_SL_SM_SN_E_clIS8_S8_S9_S9_EESK_S10_SL_SM_SN_EUlS10_E_NS1_11comp_targetILNS1_3genE4ELNS1_11target_archE910ELNS1_3gpuE8ELNS1_3repE0EEENS1_48merge_mergepath_partition_config_static_selectorELNS0_4arch9wavefront6targetE0EEEvSM_,comdat
.Lfunc_end1615:
	.size	_ZN7rocprim17ROCPRIM_400000_NS6detail17trampoline_kernelINS0_14default_configENS1_38merge_sort_block_merge_config_selectorIlNS0_10empty_typeEEEZZNS1_27merge_sort_block_merge_implIS3_PlPS5_mZN2at6native12_GLOBAL__N_124unique_dim_cuda_templateImEESt5tupleIJNSA_6TensorESF_SF_EERKSF_lbbbEUlllE_EE10hipError_tT0_T1_T2_jT3_P12ihipStream_tbPNSt15iterator_traitsISL_E10value_typeEPNSR_ISM_E10value_typeEPSN_NS1_7vsmem_tEENKUlT_SL_SM_SN_E_clIS8_S8_S9_S9_EESK_S10_SL_SM_SN_EUlS10_E_NS1_11comp_targetILNS1_3genE4ELNS1_11target_archE910ELNS1_3gpuE8ELNS1_3repE0EEENS1_48merge_mergepath_partition_config_static_selectorELNS0_4arch9wavefront6targetE0EEEvSM_, .Lfunc_end1615-_ZN7rocprim17ROCPRIM_400000_NS6detail17trampoline_kernelINS0_14default_configENS1_38merge_sort_block_merge_config_selectorIlNS0_10empty_typeEEEZZNS1_27merge_sort_block_merge_implIS3_PlPS5_mZN2at6native12_GLOBAL__N_124unique_dim_cuda_templateImEESt5tupleIJNSA_6TensorESF_SF_EERKSF_lbbbEUlllE_EE10hipError_tT0_T1_T2_jT3_P12ihipStream_tbPNSt15iterator_traitsISL_E10value_typeEPNSR_ISM_E10value_typeEPSN_NS1_7vsmem_tEENKUlT_SL_SM_SN_E_clIS8_S8_S9_S9_EESK_S10_SL_SM_SN_EUlS10_E_NS1_11comp_targetILNS1_3genE4ELNS1_11target_archE910ELNS1_3gpuE8ELNS1_3repE0EEENS1_48merge_mergepath_partition_config_static_selectorELNS0_4arch9wavefront6targetE0EEEvSM_
                                        ; -- End function
	.section	.AMDGPU.csdata,"",@progbits
; Kernel info:
; codeLenInByte = 0
; NumSgprs: 0
; NumVgprs: 0
; ScratchSize: 0
; MemoryBound: 0
; FloatMode: 240
; IeeeMode: 1
; LDSByteSize: 0 bytes/workgroup (compile time only)
; SGPRBlocks: 0
; VGPRBlocks: 0
; NumSGPRsForWavesPerEU: 1
; NumVGPRsForWavesPerEU: 1
; Occupancy: 16
; WaveLimiterHint : 0
; COMPUTE_PGM_RSRC2:SCRATCH_EN: 0
; COMPUTE_PGM_RSRC2:USER_SGPR: 15
; COMPUTE_PGM_RSRC2:TRAP_HANDLER: 0
; COMPUTE_PGM_RSRC2:TGID_X_EN: 1
; COMPUTE_PGM_RSRC2:TGID_Y_EN: 0
; COMPUTE_PGM_RSRC2:TGID_Z_EN: 0
; COMPUTE_PGM_RSRC2:TIDIG_COMP_CNT: 0
	.section	.text._ZN7rocprim17ROCPRIM_400000_NS6detail17trampoline_kernelINS0_14default_configENS1_38merge_sort_block_merge_config_selectorIlNS0_10empty_typeEEEZZNS1_27merge_sort_block_merge_implIS3_PlPS5_mZN2at6native12_GLOBAL__N_124unique_dim_cuda_templateImEESt5tupleIJNSA_6TensorESF_SF_EERKSF_lbbbEUlllE_EE10hipError_tT0_T1_T2_jT3_P12ihipStream_tbPNSt15iterator_traitsISL_E10value_typeEPNSR_ISM_E10value_typeEPSN_NS1_7vsmem_tEENKUlT_SL_SM_SN_E_clIS8_S8_S9_S9_EESK_S10_SL_SM_SN_EUlS10_E_NS1_11comp_targetILNS1_3genE3ELNS1_11target_archE908ELNS1_3gpuE7ELNS1_3repE0EEENS1_48merge_mergepath_partition_config_static_selectorELNS0_4arch9wavefront6targetE0EEEvSM_,"axG",@progbits,_ZN7rocprim17ROCPRIM_400000_NS6detail17trampoline_kernelINS0_14default_configENS1_38merge_sort_block_merge_config_selectorIlNS0_10empty_typeEEEZZNS1_27merge_sort_block_merge_implIS3_PlPS5_mZN2at6native12_GLOBAL__N_124unique_dim_cuda_templateImEESt5tupleIJNSA_6TensorESF_SF_EERKSF_lbbbEUlllE_EE10hipError_tT0_T1_T2_jT3_P12ihipStream_tbPNSt15iterator_traitsISL_E10value_typeEPNSR_ISM_E10value_typeEPSN_NS1_7vsmem_tEENKUlT_SL_SM_SN_E_clIS8_S8_S9_S9_EESK_S10_SL_SM_SN_EUlS10_E_NS1_11comp_targetILNS1_3genE3ELNS1_11target_archE908ELNS1_3gpuE7ELNS1_3repE0EEENS1_48merge_mergepath_partition_config_static_selectorELNS0_4arch9wavefront6targetE0EEEvSM_,comdat
	.globl	_ZN7rocprim17ROCPRIM_400000_NS6detail17trampoline_kernelINS0_14default_configENS1_38merge_sort_block_merge_config_selectorIlNS0_10empty_typeEEEZZNS1_27merge_sort_block_merge_implIS3_PlPS5_mZN2at6native12_GLOBAL__N_124unique_dim_cuda_templateImEESt5tupleIJNSA_6TensorESF_SF_EERKSF_lbbbEUlllE_EE10hipError_tT0_T1_T2_jT3_P12ihipStream_tbPNSt15iterator_traitsISL_E10value_typeEPNSR_ISM_E10value_typeEPSN_NS1_7vsmem_tEENKUlT_SL_SM_SN_E_clIS8_S8_S9_S9_EESK_S10_SL_SM_SN_EUlS10_E_NS1_11comp_targetILNS1_3genE3ELNS1_11target_archE908ELNS1_3gpuE7ELNS1_3repE0EEENS1_48merge_mergepath_partition_config_static_selectorELNS0_4arch9wavefront6targetE0EEEvSM_ ; -- Begin function _ZN7rocprim17ROCPRIM_400000_NS6detail17trampoline_kernelINS0_14default_configENS1_38merge_sort_block_merge_config_selectorIlNS0_10empty_typeEEEZZNS1_27merge_sort_block_merge_implIS3_PlPS5_mZN2at6native12_GLOBAL__N_124unique_dim_cuda_templateImEESt5tupleIJNSA_6TensorESF_SF_EERKSF_lbbbEUlllE_EE10hipError_tT0_T1_T2_jT3_P12ihipStream_tbPNSt15iterator_traitsISL_E10value_typeEPNSR_ISM_E10value_typeEPSN_NS1_7vsmem_tEENKUlT_SL_SM_SN_E_clIS8_S8_S9_S9_EESK_S10_SL_SM_SN_EUlS10_E_NS1_11comp_targetILNS1_3genE3ELNS1_11target_archE908ELNS1_3gpuE7ELNS1_3repE0EEENS1_48merge_mergepath_partition_config_static_selectorELNS0_4arch9wavefront6targetE0EEEvSM_
	.p2align	8
	.type	_ZN7rocprim17ROCPRIM_400000_NS6detail17trampoline_kernelINS0_14default_configENS1_38merge_sort_block_merge_config_selectorIlNS0_10empty_typeEEEZZNS1_27merge_sort_block_merge_implIS3_PlPS5_mZN2at6native12_GLOBAL__N_124unique_dim_cuda_templateImEESt5tupleIJNSA_6TensorESF_SF_EERKSF_lbbbEUlllE_EE10hipError_tT0_T1_T2_jT3_P12ihipStream_tbPNSt15iterator_traitsISL_E10value_typeEPNSR_ISM_E10value_typeEPSN_NS1_7vsmem_tEENKUlT_SL_SM_SN_E_clIS8_S8_S9_S9_EESK_S10_SL_SM_SN_EUlS10_E_NS1_11comp_targetILNS1_3genE3ELNS1_11target_archE908ELNS1_3gpuE7ELNS1_3repE0EEENS1_48merge_mergepath_partition_config_static_selectorELNS0_4arch9wavefront6targetE0EEEvSM_,@function
_ZN7rocprim17ROCPRIM_400000_NS6detail17trampoline_kernelINS0_14default_configENS1_38merge_sort_block_merge_config_selectorIlNS0_10empty_typeEEEZZNS1_27merge_sort_block_merge_implIS3_PlPS5_mZN2at6native12_GLOBAL__N_124unique_dim_cuda_templateImEESt5tupleIJNSA_6TensorESF_SF_EERKSF_lbbbEUlllE_EE10hipError_tT0_T1_T2_jT3_P12ihipStream_tbPNSt15iterator_traitsISL_E10value_typeEPNSR_ISM_E10value_typeEPSN_NS1_7vsmem_tEENKUlT_SL_SM_SN_E_clIS8_S8_S9_S9_EESK_S10_SL_SM_SN_EUlS10_E_NS1_11comp_targetILNS1_3genE3ELNS1_11target_archE908ELNS1_3gpuE7ELNS1_3repE0EEENS1_48merge_mergepath_partition_config_static_selectorELNS0_4arch9wavefront6targetE0EEEvSM_: ; @_ZN7rocprim17ROCPRIM_400000_NS6detail17trampoline_kernelINS0_14default_configENS1_38merge_sort_block_merge_config_selectorIlNS0_10empty_typeEEEZZNS1_27merge_sort_block_merge_implIS3_PlPS5_mZN2at6native12_GLOBAL__N_124unique_dim_cuda_templateImEESt5tupleIJNSA_6TensorESF_SF_EERKSF_lbbbEUlllE_EE10hipError_tT0_T1_T2_jT3_P12ihipStream_tbPNSt15iterator_traitsISL_E10value_typeEPNSR_ISM_E10value_typeEPSN_NS1_7vsmem_tEENKUlT_SL_SM_SN_E_clIS8_S8_S9_S9_EESK_S10_SL_SM_SN_EUlS10_E_NS1_11comp_targetILNS1_3genE3ELNS1_11target_archE908ELNS1_3gpuE7ELNS1_3repE0EEENS1_48merge_mergepath_partition_config_static_selectorELNS0_4arch9wavefront6targetE0EEEvSM_
; %bb.0:
	.section	.rodata,"a",@progbits
	.p2align	6, 0x0
	.amdhsa_kernel _ZN7rocprim17ROCPRIM_400000_NS6detail17trampoline_kernelINS0_14default_configENS1_38merge_sort_block_merge_config_selectorIlNS0_10empty_typeEEEZZNS1_27merge_sort_block_merge_implIS3_PlPS5_mZN2at6native12_GLOBAL__N_124unique_dim_cuda_templateImEESt5tupleIJNSA_6TensorESF_SF_EERKSF_lbbbEUlllE_EE10hipError_tT0_T1_T2_jT3_P12ihipStream_tbPNSt15iterator_traitsISL_E10value_typeEPNSR_ISM_E10value_typeEPSN_NS1_7vsmem_tEENKUlT_SL_SM_SN_E_clIS8_S8_S9_S9_EESK_S10_SL_SM_SN_EUlS10_E_NS1_11comp_targetILNS1_3genE3ELNS1_11target_archE908ELNS1_3gpuE7ELNS1_3repE0EEENS1_48merge_mergepath_partition_config_static_selectorELNS0_4arch9wavefront6targetE0EEEvSM_
		.amdhsa_group_segment_fixed_size 0
		.amdhsa_private_segment_fixed_size 0
		.amdhsa_kernarg_size 56
		.amdhsa_user_sgpr_count 15
		.amdhsa_user_sgpr_dispatch_ptr 0
		.amdhsa_user_sgpr_queue_ptr 0
		.amdhsa_user_sgpr_kernarg_segment_ptr 1
		.amdhsa_user_sgpr_dispatch_id 0
		.amdhsa_user_sgpr_private_segment_size 0
		.amdhsa_wavefront_size32 1
		.amdhsa_uses_dynamic_stack 0
		.amdhsa_enable_private_segment 0
		.amdhsa_system_sgpr_workgroup_id_x 1
		.amdhsa_system_sgpr_workgroup_id_y 0
		.amdhsa_system_sgpr_workgroup_id_z 0
		.amdhsa_system_sgpr_workgroup_info 0
		.amdhsa_system_vgpr_workitem_id 0
		.amdhsa_next_free_vgpr 1
		.amdhsa_next_free_sgpr 1
		.amdhsa_reserve_vcc 0
		.amdhsa_float_round_mode_32 0
		.amdhsa_float_round_mode_16_64 0
		.amdhsa_float_denorm_mode_32 3
		.amdhsa_float_denorm_mode_16_64 3
		.amdhsa_dx10_clamp 1
		.amdhsa_ieee_mode 1
		.amdhsa_fp16_overflow 0
		.amdhsa_workgroup_processor_mode 1
		.amdhsa_memory_ordered 1
		.amdhsa_forward_progress 0
		.amdhsa_shared_vgpr_count 0
		.amdhsa_exception_fp_ieee_invalid_op 0
		.amdhsa_exception_fp_denorm_src 0
		.amdhsa_exception_fp_ieee_div_zero 0
		.amdhsa_exception_fp_ieee_overflow 0
		.amdhsa_exception_fp_ieee_underflow 0
		.amdhsa_exception_fp_ieee_inexact 0
		.amdhsa_exception_int_div_zero 0
	.end_amdhsa_kernel
	.section	.text._ZN7rocprim17ROCPRIM_400000_NS6detail17trampoline_kernelINS0_14default_configENS1_38merge_sort_block_merge_config_selectorIlNS0_10empty_typeEEEZZNS1_27merge_sort_block_merge_implIS3_PlPS5_mZN2at6native12_GLOBAL__N_124unique_dim_cuda_templateImEESt5tupleIJNSA_6TensorESF_SF_EERKSF_lbbbEUlllE_EE10hipError_tT0_T1_T2_jT3_P12ihipStream_tbPNSt15iterator_traitsISL_E10value_typeEPNSR_ISM_E10value_typeEPSN_NS1_7vsmem_tEENKUlT_SL_SM_SN_E_clIS8_S8_S9_S9_EESK_S10_SL_SM_SN_EUlS10_E_NS1_11comp_targetILNS1_3genE3ELNS1_11target_archE908ELNS1_3gpuE7ELNS1_3repE0EEENS1_48merge_mergepath_partition_config_static_selectorELNS0_4arch9wavefront6targetE0EEEvSM_,"axG",@progbits,_ZN7rocprim17ROCPRIM_400000_NS6detail17trampoline_kernelINS0_14default_configENS1_38merge_sort_block_merge_config_selectorIlNS0_10empty_typeEEEZZNS1_27merge_sort_block_merge_implIS3_PlPS5_mZN2at6native12_GLOBAL__N_124unique_dim_cuda_templateImEESt5tupleIJNSA_6TensorESF_SF_EERKSF_lbbbEUlllE_EE10hipError_tT0_T1_T2_jT3_P12ihipStream_tbPNSt15iterator_traitsISL_E10value_typeEPNSR_ISM_E10value_typeEPSN_NS1_7vsmem_tEENKUlT_SL_SM_SN_E_clIS8_S8_S9_S9_EESK_S10_SL_SM_SN_EUlS10_E_NS1_11comp_targetILNS1_3genE3ELNS1_11target_archE908ELNS1_3gpuE7ELNS1_3repE0EEENS1_48merge_mergepath_partition_config_static_selectorELNS0_4arch9wavefront6targetE0EEEvSM_,comdat
.Lfunc_end1616:
	.size	_ZN7rocprim17ROCPRIM_400000_NS6detail17trampoline_kernelINS0_14default_configENS1_38merge_sort_block_merge_config_selectorIlNS0_10empty_typeEEEZZNS1_27merge_sort_block_merge_implIS3_PlPS5_mZN2at6native12_GLOBAL__N_124unique_dim_cuda_templateImEESt5tupleIJNSA_6TensorESF_SF_EERKSF_lbbbEUlllE_EE10hipError_tT0_T1_T2_jT3_P12ihipStream_tbPNSt15iterator_traitsISL_E10value_typeEPNSR_ISM_E10value_typeEPSN_NS1_7vsmem_tEENKUlT_SL_SM_SN_E_clIS8_S8_S9_S9_EESK_S10_SL_SM_SN_EUlS10_E_NS1_11comp_targetILNS1_3genE3ELNS1_11target_archE908ELNS1_3gpuE7ELNS1_3repE0EEENS1_48merge_mergepath_partition_config_static_selectorELNS0_4arch9wavefront6targetE0EEEvSM_, .Lfunc_end1616-_ZN7rocprim17ROCPRIM_400000_NS6detail17trampoline_kernelINS0_14default_configENS1_38merge_sort_block_merge_config_selectorIlNS0_10empty_typeEEEZZNS1_27merge_sort_block_merge_implIS3_PlPS5_mZN2at6native12_GLOBAL__N_124unique_dim_cuda_templateImEESt5tupleIJNSA_6TensorESF_SF_EERKSF_lbbbEUlllE_EE10hipError_tT0_T1_T2_jT3_P12ihipStream_tbPNSt15iterator_traitsISL_E10value_typeEPNSR_ISM_E10value_typeEPSN_NS1_7vsmem_tEENKUlT_SL_SM_SN_E_clIS8_S8_S9_S9_EESK_S10_SL_SM_SN_EUlS10_E_NS1_11comp_targetILNS1_3genE3ELNS1_11target_archE908ELNS1_3gpuE7ELNS1_3repE0EEENS1_48merge_mergepath_partition_config_static_selectorELNS0_4arch9wavefront6targetE0EEEvSM_
                                        ; -- End function
	.section	.AMDGPU.csdata,"",@progbits
; Kernel info:
; codeLenInByte = 0
; NumSgprs: 0
; NumVgprs: 0
; ScratchSize: 0
; MemoryBound: 0
; FloatMode: 240
; IeeeMode: 1
; LDSByteSize: 0 bytes/workgroup (compile time only)
; SGPRBlocks: 0
; VGPRBlocks: 0
; NumSGPRsForWavesPerEU: 1
; NumVGPRsForWavesPerEU: 1
; Occupancy: 16
; WaveLimiterHint : 0
; COMPUTE_PGM_RSRC2:SCRATCH_EN: 0
; COMPUTE_PGM_RSRC2:USER_SGPR: 15
; COMPUTE_PGM_RSRC2:TRAP_HANDLER: 0
; COMPUTE_PGM_RSRC2:TGID_X_EN: 1
; COMPUTE_PGM_RSRC2:TGID_Y_EN: 0
; COMPUTE_PGM_RSRC2:TGID_Z_EN: 0
; COMPUTE_PGM_RSRC2:TIDIG_COMP_CNT: 0
	.section	.text._ZN7rocprim17ROCPRIM_400000_NS6detail17trampoline_kernelINS0_14default_configENS1_38merge_sort_block_merge_config_selectorIlNS0_10empty_typeEEEZZNS1_27merge_sort_block_merge_implIS3_PlPS5_mZN2at6native12_GLOBAL__N_124unique_dim_cuda_templateImEESt5tupleIJNSA_6TensorESF_SF_EERKSF_lbbbEUlllE_EE10hipError_tT0_T1_T2_jT3_P12ihipStream_tbPNSt15iterator_traitsISL_E10value_typeEPNSR_ISM_E10value_typeEPSN_NS1_7vsmem_tEENKUlT_SL_SM_SN_E_clIS8_S8_S9_S9_EESK_S10_SL_SM_SN_EUlS10_E_NS1_11comp_targetILNS1_3genE2ELNS1_11target_archE906ELNS1_3gpuE6ELNS1_3repE0EEENS1_48merge_mergepath_partition_config_static_selectorELNS0_4arch9wavefront6targetE0EEEvSM_,"axG",@progbits,_ZN7rocprim17ROCPRIM_400000_NS6detail17trampoline_kernelINS0_14default_configENS1_38merge_sort_block_merge_config_selectorIlNS0_10empty_typeEEEZZNS1_27merge_sort_block_merge_implIS3_PlPS5_mZN2at6native12_GLOBAL__N_124unique_dim_cuda_templateImEESt5tupleIJNSA_6TensorESF_SF_EERKSF_lbbbEUlllE_EE10hipError_tT0_T1_T2_jT3_P12ihipStream_tbPNSt15iterator_traitsISL_E10value_typeEPNSR_ISM_E10value_typeEPSN_NS1_7vsmem_tEENKUlT_SL_SM_SN_E_clIS8_S8_S9_S9_EESK_S10_SL_SM_SN_EUlS10_E_NS1_11comp_targetILNS1_3genE2ELNS1_11target_archE906ELNS1_3gpuE6ELNS1_3repE0EEENS1_48merge_mergepath_partition_config_static_selectorELNS0_4arch9wavefront6targetE0EEEvSM_,comdat
	.globl	_ZN7rocprim17ROCPRIM_400000_NS6detail17trampoline_kernelINS0_14default_configENS1_38merge_sort_block_merge_config_selectorIlNS0_10empty_typeEEEZZNS1_27merge_sort_block_merge_implIS3_PlPS5_mZN2at6native12_GLOBAL__N_124unique_dim_cuda_templateImEESt5tupleIJNSA_6TensorESF_SF_EERKSF_lbbbEUlllE_EE10hipError_tT0_T1_T2_jT3_P12ihipStream_tbPNSt15iterator_traitsISL_E10value_typeEPNSR_ISM_E10value_typeEPSN_NS1_7vsmem_tEENKUlT_SL_SM_SN_E_clIS8_S8_S9_S9_EESK_S10_SL_SM_SN_EUlS10_E_NS1_11comp_targetILNS1_3genE2ELNS1_11target_archE906ELNS1_3gpuE6ELNS1_3repE0EEENS1_48merge_mergepath_partition_config_static_selectorELNS0_4arch9wavefront6targetE0EEEvSM_ ; -- Begin function _ZN7rocprim17ROCPRIM_400000_NS6detail17trampoline_kernelINS0_14default_configENS1_38merge_sort_block_merge_config_selectorIlNS0_10empty_typeEEEZZNS1_27merge_sort_block_merge_implIS3_PlPS5_mZN2at6native12_GLOBAL__N_124unique_dim_cuda_templateImEESt5tupleIJNSA_6TensorESF_SF_EERKSF_lbbbEUlllE_EE10hipError_tT0_T1_T2_jT3_P12ihipStream_tbPNSt15iterator_traitsISL_E10value_typeEPNSR_ISM_E10value_typeEPSN_NS1_7vsmem_tEENKUlT_SL_SM_SN_E_clIS8_S8_S9_S9_EESK_S10_SL_SM_SN_EUlS10_E_NS1_11comp_targetILNS1_3genE2ELNS1_11target_archE906ELNS1_3gpuE6ELNS1_3repE0EEENS1_48merge_mergepath_partition_config_static_selectorELNS0_4arch9wavefront6targetE0EEEvSM_
	.p2align	8
	.type	_ZN7rocprim17ROCPRIM_400000_NS6detail17trampoline_kernelINS0_14default_configENS1_38merge_sort_block_merge_config_selectorIlNS0_10empty_typeEEEZZNS1_27merge_sort_block_merge_implIS3_PlPS5_mZN2at6native12_GLOBAL__N_124unique_dim_cuda_templateImEESt5tupleIJNSA_6TensorESF_SF_EERKSF_lbbbEUlllE_EE10hipError_tT0_T1_T2_jT3_P12ihipStream_tbPNSt15iterator_traitsISL_E10value_typeEPNSR_ISM_E10value_typeEPSN_NS1_7vsmem_tEENKUlT_SL_SM_SN_E_clIS8_S8_S9_S9_EESK_S10_SL_SM_SN_EUlS10_E_NS1_11comp_targetILNS1_3genE2ELNS1_11target_archE906ELNS1_3gpuE6ELNS1_3repE0EEENS1_48merge_mergepath_partition_config_static_selectorELNS0_4arch9wavefront6targetE0EEEvSM_,@function
_ZN7rocprim17ROCPRIM_400000_NS6detail17trampoline_kernelINS0_14default_configENS1_38merge_sort_block_merge_config_selectorIlNS0_10empty_typeEEEZZNS1_27merge_sort_block_merge_implIS3_PlPS5_mZN2at6native12_GLOBAL__N_124unique_dim_cuda_templateImEESt5tupleIJNSA_6TensorESF_SF_EERKSF_lbbbEUlllE_EE10hipError_tT0_T1_T2_jT3_P12ihipStream_tbPNSt15iterator_traitsISL_E10value_typeEPNSR_ISM_E10value_typeEPSN_NS1_7vsmem_tEENKUlT_SL_SM_SN_E_clIS8_S8_S9_S9_EESK_S10_SL_SM_SN_EUlS10_E_NS1_11comp_targetILNS1_3genE2ELNS1_11target_archE906ELNS1_3gpuE6ELNS1_3repE0EEENS1_48merge_mergepath_partition_config_static_selectorELNS0_4arch9wavefront6targetE0EEEvSM_: ; @_ZN7rocprim17ROCPRIM_400000_NS6detail17trampoline_kernelINS0_14default_configENS1_38merge_sort_block_merge_config_selectorIlNS0_10empty_typeEEEZZNS1_27merge_sort_block_merge_implIS3_PlPS5_mZN2at6native12_GLOBAL__N_124unique_dim_cuda_templateImEESt5tupleIJNSA_6TensorESF_SF_EERKSF_lbbbEUlllE_EE10hipError_tT0_T1_T2_jT3_P12ihipStream_tbPNSt15iterator_traitsISL_E10value_typeEPNSR_ISM_E10value_typeEPSN_NS1_7vsmem_tEENKUlT_SL_SM_SN_E_clIS8_S8_S9_S9_EESK_S10_SL_SM_SN_EUlS10_E_NS1_11comp_targetILNS1_3genE2ELNS1_11target_archE906ELNS1_3gpuE6ELNS1_3repE0EEENS1_48merge_mergepath_partition_config_static_selectorELNS0_4arch9wavefront6targetE0EEEvSM_
; %bb.0:
	.section	.rodata,"a",@progbits
	.p2align	6, 0x0
	.amdhsa_kernel _ZN7rocprim17ROCPRIM_400000_NS6detail17trampoline_kernelINS0_14default_configENS1_38merge_sort_block_merge_config_selectorIlNS0_10empty_typeEEEZZNS1_27merge_sort_block_merge_implIS3_PlPS5_mZN2at6native12_GLOBAL__N_124unique_dim_cuda_templateImEESt5tupleIJNSA_6TensorESF_SF_EERKSF_lbbbEUlllE_EE10hipError_tT0_T1_T2_jT3_P12ihipStream_tbPNSt15iterator_traitsISL_E10value_typeEPNSR_ISM_E10value_typeEPSN_NS1_7vsmem_tEENKUlT_SL_SM_SN_E_clIS8_S8_S9_S9_EESK_S10_SL_SM_SN_EUlS10_E_NS1_11comp_targetILNS1_3genE2ELNS1_11target_archE906ELNS1_3gpuE6ELNS1_3repE0EEENS1_48merge_mergepath_partition_config_static_selectorELNS0_4arch9wavefront6targetE0EEEvSM_
		.amdhsa_group_segment_fixed_size 0
		.amdhsa_private_segment_fixed_size 0
		.amdhsa_kernarg_size 56
		.amdhsa_user_sgpr_count 15
		.amdhsa_user_sgpr_dispatch_ptr 0
		.amdhsa_user_sgpr_queue_ptr 0
		.amdhsa_user_sgpr_kernarg_segment_ptr 1
		.amdhsa_user_sgpr_dispatch_id 0
		.amdhsa_user_sgpr_private_segment_size 0
		.amdhsa_wavefront_size32 1
		.amdhsa_uses_dynamic_stack 0
		.amdhsa_enable_private_segment 0
		.amdhsa_system_sgpr_workgroup_id_x 1
		.amdhsa_system_sgpr_workgroup_id_y 0
		.amdhsa_system_sgpr_workgroup_id_z 0
		.amdhsa_system_sgpr_workgroup_info 0
		.amdhsa_system_vgpr_workitem_id 0
		.amdhsa_next_free_vgpr 1
		.amdhsa_next_free_sgpr 1
		.amdhsa_reserve_vcc 0
		.amdhsa_float_round_mode_32 0
		.amdhsa_float_round_mode_16_64 0
		.amdhsa_float_denorm_mode_32 3
		.amdhsa_float_denorm_mode_16_64 3
		.amdhsa_dx10_clamp 1
		.amdhsa_ieee_mode 1
		.amdhsa_fp16_overflow 0
		.amdhsa_workgroup_processor_mode 1
		.amdhsa_memory_ordered 1
		.amdhsa_forward_progress 0
		.amdhsa_shared_vgpr_count 0
		.amdhsa_exception_fp_ieee_invalid_op 0
		.amdhsa_exception_fp_denorm_src 0
		.amdhsa_exception_fp_ieee_div_zero 0
		.amdhsa_exception_fp_ieee_overflow 0
		.amdhsa_exception_fp_ieee_underflow 0
		.amdhsa_exception_fp_ieee_inexact 0
		.amdhsa_exception_int_div_zero 0
	.end_amdhsa_kernel
	.section	.text._ZN7rocprim17ROCPRIM_400000_NS6detail17trampoline_kernelINS0_14default_configENS1_38merge_sort_block_merge_config_selectorIlNS0_10empty_typeEEEZZNS1_27merge_sort_block_merge_implIS3_PlPS5_mZN2at6native12_GLOBAL__N_124unique_dim_cuda_templateImEESt5tupleIJNSA_6TensorESF_SF_EERKSF_lbbbEUlllE_EE10hipError_tT0_T1_T2_jT3_P12ihipStream_tbPNSt15iterator_traitsISL_E10value_typeEPNSR_ISM_E10value_typeEPSN_NS1_7vsmem_tEENKUlT_SL_SM_SN_E_clIS8_S8_S9_S9_EESK_S10_SL_SM_SN_EUlS10_E_NS1_11comp_targetILNS1_3genE2ELNS1_11target_archE906ELNS1_3gpuE6ELNS1_3repE0EEENS1_48merge_mergepath_partition_config_static_selectorELNS0_4arch9wavefront6targetE0EEEvSM_,"axG",@progbits,_ZN7rocprim17ROCPRIM_400000_NS6detail17trampoline_kernelINS0_14default_configENS1_38merge_sort_block_merge_config_selectorIlNS0_10empty_typeEEEZZNS1_27merge_sort_block_merge_implIS3_PlPS5_mZN2at6native12_GLOBAL__N_124unique_dim_cuda_templateImEESt5tupleIJNSA_6TensorESF_SF_EERKSF_lbbbEUlllE_EE10hipError_tT0_T1_T2_jT3_P12ihipStream_tbPNSt15iterator_traitsISL_E10value_typeEPNSR_ISM_E10value_typeEPSN_NS1_7vsmem_tEENKUlT_SL_SM_SN_E_clIS8_S8_S9_S9_EESK_S10_SL_SM_SN_EUlS10_E_NS1_11comp_targetILNS1_3genE2ELNS1_11target_archE906ELNS1_3gpuE6ELNS1_3repE0EEENS1_48merge_mergepath_partition_config_static_selectorELNS0_4arch9wavefront6targetE0EEEvSM_,comdat
.Lfunc_end1617:
	.size	_ZN7rocprim17ROCPRIM_400000_NS6detail17trampoline_kernelINS0_14default_configENS1_38merge_sort_block_merge_config_selectorIlNS0_10empty_typeEEEZZNS1_27merge_sort_block_merge_implIS3_PlPS5_mZN2at6native12_GLOBAL__N_124unique_dim_cuda_templateImEESt5tupleIJNSA_6TensorESF_SF_EERKSF_lbbbEUlllE_EE10hipError_tT0_T1_T2_jT3_P12ihipStream_tbPNSt15iterator_traitsISL_E10value_typeEPNSR_ISM_E10value_typeEPSN_NS1_7vsmem_tEENKUlT_SL_SM_SN_E_clIS8_S8_S9_S9_EESK_S10_SL_SM_SN_EUlS10_E_NS1_11comp_targetILNS1_3genE2ELNS1_11target_archE906ELNS1_3gpuE6ELNS1_3repE0EEENS1_48merge_mergepath_partition_config_static_selectorELNS0_4arch9wavefront6targetE0EEEvSM_, .Lfunc_end1617-_ZN7rocprim17ROCPRIM_400000_NS6detail17trampoline_kernelINS0_14default_configENS1_38merge_sort_block_merge_config_selectorIlNS0_10empty_typeEEEZZNS1_27merge_sort_block_merge_implIS3_PlPS5_mZN2at6native12_GLOBAL__N_124unique_dim_cuda_templateImEESt5tupleIJNSA_6TensorESF_SF_EERKSF_lbbbEUlllE_EE10hipError_tT0_T1_T2_jT3_P12ihipStream_tbPNSt15iterator_traitsISL_E10value_typeEPNSR_ISM_E10value_typeEPSN_NS1_7vsmem_tEENKUlT_SL_SM_SN_E_clIS8_S8_S9_S9_EESK_S10_SL_SM_SN_EUlS10_E_NS1_11comp_targetILNS1_3genE2ELNS1_11target_archE906ELNS1_3gpuE6ELNS1_3repE0EEENS1_48merge_mergepath_partition_config_static_selectorELNS0_4arch9wavefront6targetE0EEEvSM_
                                        ; -- End function
	.section	.AMDGPU.csdata,"",@progbits
; Kernel info:
; codeLenInByte = 0
; NumSgprs: 0
; NumVgprs: 0
; ScratchSize: 0
; MemoryBound: 0
; FloatMode: 240
; IeeeMode: 1
; LDSByteSize: 0 bytes/workgroup (compile time only)
; SGPRBlocks: 0
; VGPRBlocks: 0
; NumSGPRsForWavesPerEU: 1
; NumVGPRsForWavesPerEU: 1
; Occupancy: 16
; WaveLimiterHint : 0
; COMPUTE_PGM_RSRC2:SCRATCH_EN: 0
; COMPUTE_PGM_RSRC2:USER_SGPR: 15
; COMPUTE_PGM_RSRC2:TRAP_HANDLER: 0
; COMPUTE_PGM_RSRC2:TGID_X_EN: 1
; COMPUTE_PGM_RSRC2:TGID_Y_EN: 0
; COMPUTE_PGM_RSRC2:TGID_Z_EN: 0
; COMPUTE_PGM_RSRC2:TIDIG_COMP_CNT: 0
	.section	.text._ZN7rocprim17ROCPRIM_400000_NS6detail17trampoline_kernelINS0_14default_configENS1_38merge_sort_block_merge_config_selectorIlNS0_10empty_typeEEEZZNS1_27merge_sort_block_merge_implIS3_PlPS5_mZN2at6native12_GLOBAL__N_124unique_dim_cuda_templateImEESt5tupleIJNSA_6TensorESF_SF_EERKSF_lbbbEUlllE_EE10hipError_tT0_T1_T2_jT3_P12ihipStream_tbPNSt15iterator_traitsISL_E10value_typeEPNSR_ISM_E10value_typeEPSN_NS1_7vsmem_tEENKUlT_SL_SM_SN_E_clIS8_S8_S9_S9_EESK_S10_SL_SM_SN_EUlS10_E_NS1_11comp_targetILNS1_3genE9ELNS1_11target_archE1100ELNS1_3gpuE3ELNS1_3repE0EEENS1_48merge_mergepath_partition_config_static_selectorELNS0_4arch9wavefront6targetE0EEEvSM_,"axG",@progbits,_ZN7rocprim17ROCPRIM_400000_NS6detail17trampoline_kernelINS0_14default_configENS1_38merge_sort_block_merge_config_selectorIlNS0_10empty_typeEEEZZNS1_27merge_sort_block_merge_implIS3_PlPS5_mZN2at6native12_GLOBAL__N_124unique_dim_cuda_templateImEESt5tupleIJNSA_6TensorESF_SF_EERKSF_lbbbEUlllE_EE10hipError_tT0_T1_T2_jT3_P12ihipStream_tbPNSt15iterator_traitsISL_E10value_typeEPNSR_ISM_E10value_typeEPSN_NS1_7vsmem_tEENKUlT_SL_SM_SN_E_clIS8_S8_S9_S9_EESK_S10_SL_SM_SN_EUlS10_E_NS1_11comp_targetILNS1_3genE9ELNS1_11target_archE1100ELNS1_3gpuE3ELNS1_3repE0EEENS1_48merge_mergepath_partition_config_static_selectorELNS0_4arch9wavefront6targetE0EEEvSM_,comdat
	.globl	_ZN7rocprim17ROCPRIM_400000_NS6detail17trampoline_kernelINS0_14default_configENS1_38merge_sort_block_merge_config_selectorIlNS0_10empty_typeEEEZZNS1_27merge_sort_block_merge_implIS3_PlPS5_mZN2at6native12_GLOBAL__N_124unique_dim_cuda_templateImEESt5tupleIJNSA_6TensorESF_SF_EERKSF_lbbbEUlllE_EE10hipError_tT0_T1_T2_jT3_P12ihipStream_tbPNSt15iterator_traitsISL_E10value_typeEPNSR_ISM_E10value_typeEPSN_NS1_7vsmem_tEENKUlT_SL_SM_SN_E_clIS8_S8_S9_S9_EESK_S10_SL_SM_SN_EUlS10_E_NS1_11comp_targetILNS1_3genE9ELNS1_11target_archE1100ELNS1_3gpuE3ELNS1_3repE0EEENS1_48merge_mergepath_partition_config_static_selectorELNS0_4arch9wavefront6targetE0EEEvSM_ ; -- Begin function _ZN7rocprim17ROCPRIM_400000_NS6detail17trampoline_kernelINS0_14default_configENS1_38merge_sort_block_merge_config_selectorIlNS0_10empty_typeEEEZZNS1_27merge_sort_block_merge_implIS3_PlPS5_mZN2at6native12_GLOBAL__N_124unique_dim_cuda_templateImEESt5tupleIJNSA_6TensorESF_SF_EERKSF_lbbbEUlllE_EE10hipError_tT0_T1_T2_jT3_P12ihipStream_tbPNSt15iterator_traitsISL_E10value_typeEPNSR_ISM_E10value_typeEPSN_NS1_7vsmem_tEENKUlT_SL_SM_SN_E_clIS8_S8_S9_S9_EESK_S10_SL_SM_SN_EUlS10_E_NS1_11comp_targetILNS1_3genE9ELNS1_11target_archE1100ELNS1_3gpuE3ELNS1_3repE0EEENS1_48merge_mergepath_partition_config_static_selectorELNS0_4arch9wavefront6targetE0EEEvSM_
	.p2align	8
	.type	_ZN7rocprim17ROCPRIM_400000_NS6detail17trampoline_kernelINS0_14default_configENS1_38merge_sort_block_merge_config_selectorIlNS0_10empty_typeEEEZZNS1_27merge_sort_block_merge_implIS3_PlPS5_mZN2at6native12_GLOBAL__N_124unique_dim_cuda_templateImEESt5tupleIJNSA_6TensorESF_SF_EERKSF_lbbbEUlllE_EE10hipError_tT0_T1_T2_jT3_P12ihipStream_tbPNSt15iterator_traitsISL_E10value_typeEPNSR_ISM_E10value_typeEPSN_NS1_7vsmem_tEENKUlT_SL_SM_SN_E_clIS8_S8_S9_S9_EESK_S10_SL_SM_SN_EUlS10_E_NS1_11comp_targetILNS1_3genE9ELNS1_11target_archE1100ELNS1_3gpuE3ELNS1_3repE0EEENS1_48merge_mergepath_partition_config_static_selectorELNS0_4arch9wavefront6targetE0EEEvSM_,@function
_ZN7rocprim17ROCPRIM_400000_NS6detail17trampoline_kernelINS0_14default_configENS1_38merge_sort_block_merge_config_selectorIlNS0_10empty_typeEEEZZNS1_27merge_sort_block_merge_implIS3_PlPS5_mZN2at6native12_GLOBAL__N_124unique_dim_cuda_templateImEESt5tupleIJNSA_6TensorESF_SF_EERKSF_lbbbEUlllE_EE10hipError_tT0_T1_T2_jT3_P12ihipStream_tbPNSt15iterator_traitsISL_E10value_typeEPNSR_ISM_E10value_typeEPSN_NS1_7vsmem_tEENKUlT_SL_SM_SN_E_clIS8_S8_S9_S9_EESK_S10_SL_SM_SN_EUlS10_E_NS1_11comp_targetILNS1_3genE9ELNS1_11target_archE1100ELNS1_3gpuE3ELNS1_3repE0EEENS1_48merge_mergepath_partition_config_static_selectorELNS0_4arch9wavefront6targetE0EEEvSM_: ; @_ZN7rocprim17ROCPRIM_400000_NS6detail17trampoline_kernelINS0_14default_configENS1_38merge_sort_block_merge_config_selectorIlNS0_10empty_typeEEEZZNS1_27merge_sort_block_merge_implIS3_PlPS5_mZN2at6native12_GLOBAL__N_124unique_dim_cuda_templateImEESt5tupleIJNSA_6TensorESF_SF_EERKSF_lbbbEUlllE_EE10hipError_tT0_T1_T2_jT3_P12ihipStream_tbPNSt15iterator_traitsISL_E10value_typeEPNSR_ISM_E10value_typeEPSN_NS1_7vsmem_tEENKUlT_SL_SM_SN_E_clIS8_S8_S9_S9_EESK_S10_SL_SM_SN_EUlS10_E_NS1_11comp_targetILNS1_3genE9ELNS1_11target_archE1100ELNS1_3gpuE3ELNS1_3repE0EEENS1_48merge_mergepath_partition_config_static_selectorELNS0_4arch9wavefront6targetE0EEEvSM_
; %bb.0:
	s_load_b32 s2, s[0:1], 0x0
	v_lshl_or_b32 v0, s15, 7, v0
	s_waitcnt lgkmcnt(0)
	s_delay_alu instid0(VALU_DEP_1)
	v_cmp_gt_u32_e32 vcc_lo, s2, v0
	s_and_saveexec_b32 s2, vcc_lo
	s_cbranch_execz .LBB1618_13
; %bb.1:
	s_load_b128 s[4:7], s[0:1], 0x8
	s_mov_b32 s12, 0
	v_mov_b32_e32 v2, 0
	s_waitcnt lgkmcnt(0)
	v_alignbit_b32 v1, s5, s4, 9
	s_delay_alu instid0(VALU_DEP_1) | instskip(NEXT) | instid1(VALU_DEP_1)
	v_and_b32_e32 v3, -2, v1
	v_sub_nc_u32_e32 v1, 0, v3
	s_delay_alu instid0(VALU_DEP_1) | instskip(NEXT) | instid1(VALU_DEP_1)
	v_and_b32_e32 v1, v0, v1
	v_lshlrev_b64 v[4:5], 10, v[1:2]
	v_add_nc_u32_e32 v1, -1, v3
	s_delay_alu instid0(VALU_DEP_1) | instskip(NEXT) | instid1(VALU_DEP_3)
	v_dual_mov_b32 v11, v2 :: v_dual_and_b32 v10, v1, v0
	v_add_co_u32 v6, vcc_lo, v4, s4
	s_delay_alu instid0(VALU_DEP_4) | instskip(NEXT) | instid1(VALU_DEP_1)
	v_add_co_ci_u32_e32 v7, vcc_lo, s5, v5, vcc_lo
	v_cmp_lt_u64_e32 vcc_lo, s[6:7], v[6:7]
	v_cndmask_b32_e64 v8, v6, s6, vcc_lo
	v_cndmask_b32_e64 v9, v7, s7, vcc_lo
	s_delay_alu instid0(VALU_DEP_2) | instskip(NEXT) | instid1(VALU_DEP_2)
	v_add_co_u32 v6, vcc_lo, v8, s4
	v_add_co_ci_u32_e32 v7, vcc_lo, s5, v9, vcc_lo
	v_cmp_lt_u64_e32 vcc_lo, s[6:7], v[4:5]
	s_delay_alu instid0(VALU_DEP_2) | instskip(SKIP_3) | instid1(VALU_DEP_4)
	v_cmp_lt_u64_e64 s2, s[6:7], v[6:7]
	v_cndmask_b32_e64 v2, v4, s6, vcc_lo
	v_cndmask_b32_e64 v3, v5, s7, vcc_lo
	v_lshlrev_b64 v[4:5], 10, v[10:11]
	v_cndmask_b32_e64 v12, v6, s6, s2
	v_cndmask_b32_e64 v1, v7, s7, s2
	s_load_b256 s[4:11], s[0:1], 0x18
	s_mov_b32 s1, exec_lo
	s_delay_alu instid0(VALU_DEP_2) | instskip(NEXT) | instid1(VALU_DEP_2)
	v_sub_co_u32 v6, vcc_lo, v12, v2
	v_sub_co_ci_u32_e32 v7, vcc_lo, v1, v3, vcc_lo
	s_delay_alu instid0(VALU_DEP_1) | instskip(SKIP_3) | instid1(VALU_DEP_2)
	v_cmp_lt_u64_e32 vcc_lo, v[6:7], v[4:5]
	v_dual_cndmask_b32 v11, v5, v7 :: v_dual_cndmask_b32 v10, v4, v6
	v_sub_co_u32 v4, vcc_lo, v8, v12
	v_sub_co_ci_u32_e32 v1, vcc_lo, v9, v1, vcc_lo
	v_add_co_u32 v4, vcc_lo, v10, v4
	s_delay_alu instid0(VALU_DEP_2) | instskip(SKIP_2) | instid1(VALU_DEP_3)
	v_add_co_ci_u32_e32 v5, vcc_lo, v11, v1, vcc_lo
	v_sub_co_u32 v6, vcc_lo, v8, v2
	v_sub_co_ci_u32_e32 v7, vcc_lo, v9, v3, vcc_lo
	v_cmp_gt_u64_e32 vcc_lo, v[4:5], v[10:11]
	s_delay_alu instid0(VALU_DEP_2) | instskip(SKIP_2) | instid1(VALU_DEP_3)
	v_cmp_lt_u64_e64 s0, v[10:11], v[6:7]
	v_cndmask_b32_e64 v5, v5, 0, vcc_lo
	v_cndmask_b32_e64 v4, v4, 0, vcc_lo
	v_cndmask_b32_e64 v7, v7, v11, s0
	v_cndmask_b32_e64 v6, v6, v10, s0
	s_delay_alu instid0(VALU_DEP_1)
	v_cmpx_lt_u64_e64 v[4:5], v[6:7]
	s_cbranch_execz .LBB1618_12
; %bb.2:
	v_lshlrev_b64 v[8:9], 3, v[8:9]
	v_lshlrev_b64 v[12:13], 3, v[2:3]
	;; [unrolled: 1-line block ×3, first 2 shown]
	s_waitcnt lgkmcnt(0)
	v_cmp_gt_i64_e64 s13, s[6:7], 0
	s_lshl_b64 s[2:3], s[6:7], 3
	v_add_co_u32 v8, vcc_lo, s4, v8
	v_add_co_ci_u32_e32 v9, vcc_lo, s5, v9, vcc_lo
	v_add_co_u32 v1, vcc_lo, s4, v12
	v_add_co_ci_u32_e32 v14, vcc_lo, s5, v13, vcc_lo
	s_delay_alu instid0(VALU_DEP_4) | instskip(NEXT) | instid1(VALU_DEP_4)
	v_add_co_u32 v15, vcc_lo, v8, v10
	v_add_co_ci_u32_e32 v16, vcc_lo, v9, v11, vcc_lo
	s_branch .LBB1618_5
.LBB1618_3:                             ;   in Loop: Header=BB1618_5 Depth=1
	s_set_inst_prefetch_distance 0x2
	s_or_b32 exec_lo, exec_lo, s15
.LBB1618_4:                             ;   in Loop: Header=BB1618_5 Depth=1
	s_delay_alu instid0(VALU_DEP_1) | instskip(NEXT) | instid1(VALU_DEP_2)
	v_add_co_u32 v10, vcc_lo, v8, 1
	v_add_co_ci_u32_e32 v11, vcc_lo, 0, v9, vcc_lo
	v_cndmask_b32_e64 v7, v7, v9, s14
	v_cndmask_b32_e64 v6, v6, v8, s14
	s_delay_alu instid0(VALU_DEP_4) | instskip(NEXT) | instid1(VALU_DEP_4)
	v_cndmask_b32_e64 v4, v10, v4, s14
	v_cndmask_b32_e64 v5, v11, v5, s14
	s_delay_alu instid0(VALU_DEP_1) | instskip(SKIP_1) | instid1(SALU_CYCLE_1)
	v_cmp_ge_u64_e32 vcc_lo, v[4:5], v[6:7]
	s_or_b32 s12, vcc_lo, s12
	s_and_not1_b32 exec_lo, exec_lo, s12
	s_cbranch_execz .LBB1618_11
.LBB1618_5:                             ; =>This Loop Header: Depth=1
                                        ;     Child Loop BB1618_8 Depth 2
	v_add_co_u32 v8, vcc_lo, v6, v4
	v_add_co_ci_u32_e32 v9, vcc_lo, v7, v5, vcc_lo
	s_and_not1_b32 vcc_lo, exec_lo, s13
	s_delay_alu instid0(VALU_DEP_1)
	v_lshrrev_b64 v[8:9], 1, v[8:9]
	s_cbranch_vccnz .LBB1618_10
; %bb.6:                                ;   in Loop: Header=BB1618_5 Depth=1
	s_delay_alu instid0(VALU_DEP_1) | instskip(NEXT) | instid1(VALU_DEP_2)
	v_not_b32_e32 v11, v9
	v_not_b32_e32 v10, v8
	v_lshlrev_b64 v[12:13], 3, v[8:9]
	s_mov_b32 s15, 0
	s_mov_b64 s[4:5], s[6:7]
                                        ; implicit-def: $sgpr14
                                        ; implicit-def: $sgpr16
                                        ; implicit-def: $sgpr17
                                        ; implicit-def: $sgpr18
                                        ; implicit-def: $sgpr19
	s_delay_alu instid0(VALU_DEP_2) | instskip(NEXT) | instid1(VALU_DEP_1)
	v_lshlrev_b64 v[10:11], 3, v[10:11]
	v_add_co_u32 v10, vcc_lo, v15, v10
	s_delay_alu instid0(VALU_DEP_2)
	v_add_co_ci_u32_e32 v11, vcc_lo, v16, v11, vcc_lo
	v_add_co_u32 v12, vcc_lo, v1, v12
	v_add_co_ci_u32_e32 v13, vcc_lo, v14, v13, vcc_lo
	s_clause 0x1
	global_load_b64 v[17:18], v[10:11], off
	global_load_b64 v[19:20], v[12:13], off
	s_waitcnt vmcnt(1)
	v_mul_lo_u32 v18, s2, v18
	v_mul_lo_u32 v21, s3, v17
	v_mad_u64_u32 v[10:11], null, s2, v17, s[8:9]
	s_waitcnt vmcnt(0)
	v_mul_lo_u32 v17, s2, v20
	v_mul_lo_u32 v20, s3, v19
	v_mad_u64_u32 v[12:13], null, s2, v19, s[8:9]
	s_delay_alu instid0(VALU_DEP_4) | instskip(NEXT) | instid1(VALU_DEP_2)
	v_add3_u32 v11, v21, v11, v18
	v_add3_u32 v13, v20, v13, v17
	s_set_inst_prefetch_distance 0x1
	s_branch .LBB1618_8
	.p2align	6
.LBB1618_7:                             ;   in Loop: Header=BB1618_8 Depth=2
	s_or_b32 exec_lo, exec_lo, s0
	s_delay_alu instid0(SALU_CYCLE_1) | instskip(NEXT) | instid1(SALU_CYCLE_1)
	s_and_b32 s0, exec_lo, s16
	s_or_b32 s15, s0, s15
	s_and_not1_b32 s0, s19, exec_lo
	s_and_b32 s19, s17, exec_lo
	s_and_not1_b32 s14, s14, exec_lo
	s_and_b32 s20, s18, exec_lo
	s_or_b32 s19, s0, s19
	s_or_b32 s14, s14, s20
	s_and_not1_b32 exec_lo, exec_lo, s15
	s_cbranch_execz .LBB1618_3
.LBB1618_8:                             ;   Parent Loop BB1618_5 Depth=1
                                        ; =>  This Inner Loop Header: Depth=2
	global_load_b64 v[17:18], v[10:11], off
	global_load_b64 v[19:20], v[12:13], off
	s_and_not1_b32 s18, s18, exec_lo
	s_and_not1_b32 s17, s17, exec_lo
	s_or_b32 s16, s16, exec_lo
	s_waitcnt vmcnt(0)
	v_cmp_le_u64_e32 vcc_lo, v[17:18], v[19:20]
	v_cmp_lt_u64_e64 s0, v[17:18], v[19:20]
	s_and_b32 s20, vcc_lo, s19
	s_delay_alu instid0(VALU_DEP_1) | instid1(SALU_CYCLE_1)
	s_or_b32 s20, s0, s20
	s_delay_alu instid0(SALU_CYCLE_1) | instskip(NEXT) | instid1(SALU_CYCLE_1)
	s_and_b32 s0, s20, exec_lo
	s_or_b32 s18, s18, s0
	s_mov_b32 s0, exec_lo
	v_cmpx_eq_u64_e64 v[17:18], v[19:20]
	s_cbranch_execz .LBB1618_7
; %bb.9:                                ;   in Loop: Header=BB1618_8 Depth=2
	s_add_u32 s4, s4, -1
	s_addc_u32 s5, s5, -1
	v_add_co_u32 v10, vcc_lo, v10, 8
	s_cmp_eq_u64 s[4:5], 0
	v_add_co_ci_u32_e32 v11, vcc_lo, 0, v11, vcc_lo
	s_cselect_b32 s19, -1, 0
	v_add_co_u32 v12, vcc_lo, v12, 8
	s_and_not1_b32 s17, s17, exec_lo
	s_and_b32 s20, s20, exec_lo
	s_and_not1_b32 s16, s16, exec_lo
	s_and_b32 s19, s19, exec_lo
	v_add_co_ci_u32_e32 v13, vcc_lo, 0, v13, vcc_lo
	s_and_not1_b32 s18, s18, exec_lo
	s_or_b32 s17, s17, s20
	s_or_b32 s16, s16, s19
                                        ; implicit-def: $sgpr19
	s_branch .LBB1618_7
.LBB1618_10:                            ;   in Loop: Header=BB1618_5 Depth=1
	s_mov_b32 s14, 0
	s_branch .LBB1618_4
.LBB1618_11:
	s_or_b32 exec_lo, exec_lo, s12
.LBB1618_12:
	s_delay_alu instid0(SALU_CYCLE_1) | instskip(SKIP_3) | instid1(VALU_DEP_3)
	s_or_b32 exec_lo, exec_lo, s1
	v_mov_b32_e32 v1, 0
	v_add_co_u32 v2, vcc_lo, v4, v2
	v_add_co_ci_u32_e32 v3, vcc_lo, v5, v3, vcc_lo
	v_lshlrev_b64 v[0:1], 3, v[0:1]
	s_waitcnt lgkmcnt(0)
	s_delay_alu instid0(VALU_DEP_1) | instskip(NEXT) | instid1(VALU_DEP_2)
	v_add_co_u32 v0, vcc_lo, s10, v0
	v_add_co_ci_u32_e32 v1, vcc_lo, s11, v1, vcc_lo
	global_store_b64 v[0:1], v[2:3], off
.LBB1618_13:
	s_nop 0
	s_sendmsg sendmsg(MSG_DEALLOC_VGPRS)
	s_endpgm
	.section	.rodata,"a",@progbits
	.p2align	6, 0x0
	.amdhsa_kernel _ZN7rocprim17ROCPRIM_400000_NS6detail17trampoline_kernelINS0_14default_configENS1_38merge_sort_block_merge_config_selectorIlNS0_10empty_typeEEEZZNS1_27merge_sort_block_merge_implIS3_PlPS5_mZN2at6native12_GLOBAL__N_124unique_dim_cuda_templateImEESt5tupleIJNSA_6TensorESF_SF_EERKSF_lbbbEUlllE_EE10hipError_tT0_T1_T2_jT3_P12ihipStream_tbPNSt15iterator_traitsISL_E10value_typeEPNSR_ISM_E10value_typeEPSN_NS1_7vsmem_tEENKUlT_SL_SM_SN_E_clIS8_S8_S9_S9_EESK_S10_SL_SM_SN_EUlS10_E_NS1_11comp_targetILNS1_3genE9ELNS1_11target_archE1100ELNS1_3gpuE3ELNS1_3repE0EEENS1_48merge_mergepath_partition_config_static_selectorELNS0_4arch9wavefront6targetE0EEEvSM_
		.amdhsa_group_segment_fixed_size 0
		.amdhsa_private_segment_fixed_size 0
		.amdhsa_kernarg_size 56
		.amdhsa_user_sgpr_count 15
		.amdhsa_user_sgpr_dispatch_ptr 0
		.amdhsa_user_sgpr_queue_ptr 0
		.amdhsa_user_sgpr_kernarg_segment_ptr 1
		.amdhsa_user_sgpr_dispatch_id 0
		.amdhsa_user_sgpr_private_segment_size 0
		.amdhsa_wavefront_size32 1
		.amdhsa_uses_dynamic_stack 0
		.amdhsa_enable_private_segment 0
		.amdhsa_system_sgpr_workgroup_id_x 1
		.amdhsa_system_sgpr_workgroup_id_y 0
		.amdhsa_system_sgpr_workgroup_id_z 0
		.amdhsa_system_sgpr_workgroup_info 0
		.amdhsa_system_vgpr_workitem_id 0
		.amdhsa_next_free_vgpr 22
		.amdhsa_next_free_sgpr 21
		.amdhsa_reserve_vcc 1
		.amdhsa_float_round_mode_32 0
		.amdhsa_float_round_mode_16_64 0
		.amdhsa_float_denorm_mode_32 3
		.amdhsa_float_denorm_mode_16_64 3
		.amdhsa_dx10_clamp 1
		.amdhsa_ieee_mode 1
		.amdhsa_fp16_overflow 0
		.amdhsa_workgroup_processor_mode 1
		.amdhsa_memory_ordered 1
		.amdhsa_forward_progress 0
		.amdhsa_shared_vgpr_count 0
		.amdhsa_exception_fp_ieee_invalid_op 0
		.amdhsa_exception_fp_denorm_src 0
		.amdhsa_exception_fp_ieee_div_zero 0
		.amdhsa_exception_fp_ieee_overflow 0
		.amdhsa_exception_fp_ieee_underflow 0
		.amdhsa_exception_fp_ieee_inexact 0
		.amdhsa_exception_int_div_zero 0
	.end_amdhsa_kernel
	.section	.text._ZN7rocprim17ROCPRIM_400000_NS6detail17trampoline_kernelINS0_14default_configENS1_38merge_sort_block_merge_config_selectorIlNS0_10empty_typeEEEZZNS1_27merge_sort_block_merge_implIS3_PlPS5_mZN2at6native12_GLOBAL__N_124unique_dim_cuda_templateImEESt5tupleIJNSA_6TensorESF_SF_EERKSF_lbbbEUlllE_EE10hipError_tT0_T1_T2_jT3_P12ihipStream_tbPNSt15iterator_traitsISL_E10value_typeEPNSR_ISM_E10value_typeEPSN_NS1_7vsmem_tEENKUlT_SL_SM_SN_E_clIS8_S8_S9_S9_EESK_S10_SL_SM_SN_EUlS10_E_NS1_11comp_targetILNS1_3genE9ELNS1_11target_archE1100ELNS1_3gpuE3ELNS1_3repE0EEENS1_48merge_mergepath_partition_config_static_selectorELNS0_4arch9wavefront6targetE0EEEvSM_,"axG",@progbits,_ZN7rocprim17ROCPRIM_400000_NS6detail17trampoline_kernelINS0_14default_configENS1_38merge_sort_block_merge_config_selectorIlNS0_10empty_typeEEEZZNS1_27merge_sort_block_merge_implIS3_PlPS5_mZN2at6native12_GLOBAL__N_124unique_dim_cuda_templateImEESt5tupleIJNSA_6TensorESF_SF_EERKSF_lbbbEUlllE_EE10hipError_tT0_T1_T2_jT3_P12ihipStream_tbPNSt15iterator_traitsISL_E10value_typeEPNSR_ISM_E10value_typeEPSN_NS1_7vsmem_tEENKUlT_SL_SM_SN_E_clIS8_S8_S9_S9_EESK_S10_SL_SM_SN_EUlS10_E_NS1_11comp_targetILNS1_3genE9ELNS1_11target_archE1100ELNS1_3gpuE3ELNS1_3repE0EEENS1_48merge_mergepath_partition_config_static_selectorELNS0_4arch9wavefront6targetE0EEEvSM_,comdat
.Lfunc_end1618:
	.size	_ZN7rocprim17ROCPRIM_400000_NS6detail17trampoline_kernelINS0_14default_configENS1_38merge_sort_block_merge_config_selectorIlNS0_10empty_typeEEEZZNS1_27merge_sort_block_merge_implIS3_PlPS5_mZN2at6native12_GLOBAL__N_124unique_dim_cuda_templateImEESt5tupleIJNSA_6TensorESF_SF_EERKSF_lbbbEUlllE_EE10hipError_tT0_T1_T2_jT3_P12ihipStream_tbPNSt15iterator_traitsISL_E10value_typeEPNSR_ISM_E10value_typeEPSN_NS1_7vsmem_tEENKUlT_SL_SM_SN_E_clIS8_S8_S9_S9_EESK_S10_SL_SM_SN_EUlS10_E_NS1_11comp_targetILNS1_3genE9ELNS1_11target_archE1100ELNS1_3gpuE3ELNS1_3repE0EEENS1_48merge_mergepath_partition_config_static_selectorELNS0_4arch9wavefront6targetE0EEEvSM_, .Lfunc_end1618-_ZN7rocprim17ROCPRIM_400000_NS6detail17trampoline_kernelINS0_14default_configENS1_38merge_sort_block_merge_config_selectorIlNS0_10empty_typeEEEZZNS1_27merge_sort_block_merge_implIS3_PlPS5_mZN2at6native12_GLOBAL__N_124unique_dim_cuda_templateImEESt5tupleIJNSA_6TensorESF_SF_EERKSF_lbbbEUlllE_EE10hipError_tT0_T1_T2_jT3_P12ihipStream_tbPNSt15iterator_traitsISL_E10value_typeEPNSR_ISM_E10value_typeEPSN_NS1_7vsmem_tEENKUlT_SL_SM_SN_E_clIS8_S8_S9_S9_EESK_S10_SL_SM_SN_EUlS10_E_NS1_11comp_targetILNS1_3genE9ELNS1_11target_archE1100ELNS1_3gpuE3ELNS1_3repE0EEENS1_48merge_mergepath_partition_config_static_selectorELNS0_4arch9wavefront6targetE0EEEvSM_
                                        ; -- End function
	.section	.AMDGPU.csdata,"",@progbits
; Kernel info:
; codeLenInByte = 1020
; NumSgprs: 23
; NumVgprs: 22
; ScratchSize: 0
; MemoryBound: 0
; FloatMode: 240
; IeeeMode: 1
; LDSByteSize: 0 bytes/workgroup (compile time only)
; SGPRBlocks: 2
; VGPRBlocks: 2
; NumSGPRsForWavesPerEU: 23
; NumVGPRsForWavesPerEU: 22
; Occupancy: 16
; WaveLimiterHint : 0
; COMPUTE_PGM_RSRC2:SCRATCH_EN: 0
; COMPUTE_PGM_RSRC2:USER_SGPR: 15
; COMPUTE_PGM_RSRC2:TRAP_HANDLER: 0
; COMPUTE_PGM_RSRC2:TGID_X_EN: 1
; COMPUTE_PGM_RSRC2:TGID_Y_EN: 0
; COMPUTE_PGM_RSRC2:TGID_Z_EN: 0
; COMPUTE_PGM_RSRC2:TIDIG_COMP_CNT: 0
	.section	.text._ZN7rocprim17ROCPRIM_400000_NS6detail17trampoline_kernelINS0_14default_configENS1_38merge_sort_block_merge_config_selectorIlNS0_10empty_typeEEEZZNS1_27merge_sort_block_merge_implIS3_PlPS5_mZN2at6native12_GLOBAL__N_124unique_dim_cuda_templateImEESt5tupleIJNSA_6TensorESF_SF_EERKSF_lbbbEUlllE_EE10hipError_tT0_T1_T2_jT3_P12ihipStream_tbPNSt15iterator_traitsISL_E10value_typeEPNSR_ISM_E10value_typeEPSN_NS1_7vsmem_tEENKUlT_SL_SM_SN_E_clIS8_S8_S9_S9_EESK_S10_SL_SM_SN_EUlS10_E_NS1_11comp_targetILNS1_3genE8ELNS1_11target_archE1030ELNS1_3gpuE2ELNS1_3repE0EEENS1_48merge_mergepath_partition_config_static_selectorELNS0_4arch9wavefront6targetE0EEEvSM_,"axG",@progbits,_ZN7rocprim17ROCPRIM_400000_NS6detail17trampoline_kernelINS0_14default_configENS1_38merge_sort_block_merge_config_selectorIlNS0_10empty_typeEEEZZNS1_27merge_sort_block_merge_implIS3_PlPS5_mZN2at6native12_GLOBAL__N_124unique_dim_cuda_templateImEESt5tupleIJNSA_6TensorESF_SF_EERKSF_lbbbEUlllE_EE10hipError_tT0_T1_T2_jT3_P12ihipStream_tbPNSt15iterator_traitsISL_E10value_typeEPNSR_ISM_E10value_typeEPSN_NS1_7vsmem_tEENKUlT_SL_SM_SN_E_clIS8_S8_S9_S9_EESK_S10_SL_SM_SN_EUlS10_E_NS1_11comp_targetILNS1_3genE8ELNS1_11target_archE1030ELNS1_3gpuE2ELNS1_3repE0EEENS1_48merge_mergepath_partition_config_static_selectorELNS0_4arch9wavefront6targetE0EEEvSM_,comdat
	.globl	_ZN7rocprim17ROCPRIM_400000_NS6detail17trampoline_kernelINS0_14default_configENS1_38merge_sort_block_merge_config_selectorIlNS0_10empty_typeEEEZZNS1_27merge_sort_block_merge_implIS3_PlPS5_mZN2at6native12_GLOBAL__N_124unique_dim_cuda_templateImEESt5tupleIJNSA_6TensorESF_SF_EERKSF_lbbbEUlllE_EE10hipError_tT0_T1_T2_jT3_P12ihipStream_tbPNSt15iterator_traitsISL_E10value_typeEPNSR_ISM_E10value_typeEPSN_NS1_7vsmem_tEENKUlT_SL_SM_SN_E_clIS8_S8_S9_S9_EESK_S10_SL_SM_SN_EUlS10_E_NS1_11comp_targetILNS1_3genE8ELNS1_11target_archE1030ELNS1_3gpuE2ELNS1_3repE0EEENS1_48merge_mergepath_partition_config_static_selectorELNS0_4arch9wavefront6targetE0EEEvSM_ ; -- Begin function _ZN7rocprim17ROCPRIM_400000_NS6detail17trampoline_kernelINS0_14default_configENS1_38merge_sort_block_merge_config_selectorIlNS0_10empty_typeEEEZZNS1_27merge_sort_block_merge_implIS3_PlPS5_mZN2at6native12_GLOBAL__N_124unique_dim_cuda_templateImEESt5tupleIJNSA_6TensorESF_SF_EERKSF_lbbbEUlllE_EE10hipError_tT0_T1_T2_jT3_P12ihipStream_tbPNSt15iterator_traitsISL_E10value_typeEPNSR_ISM_E10value_typeEPSN_NS1_7vsmem_tEENKUlT_SL_SM_SN_E_clIS8_S8_S9_S9_EESK_S10_SL_SM_SN_EUlS10_E_NS1_11comp_targetILNS1_3genE8ELNS1_11target_archE1030ELNS1_3gpuE2ELNS1_3repE0EEENS1_48merge_mergepath_partition_config_static_selectorELNS0_4arch9wavefront6targetE0EEEvSM_
	.p2align	8
	.type	_ZN7rocprim17ROCPRIM_400000_NS6detail17trampoline_kernelINS0_14default_configENS1_38merge_sort_block_merge_config_selectorIlNS0_10empty_typeEEEZZNS1_27merge_sort_block_merge_implIS3_PlPS5_mZN2at6native12_GLOBAL__N_124unique_dim_cuda_templateImEESt5tupleIJNSA_6TensorESF_SF_EERKSF_lbbbEUlllE_EE10hipError_tT0_T1_T2_jT3_P12ihipStream_tbPNSt15iterator_traitsISL_E10value_typeEPNSR_ISM_E10value_typeEPSN_NS1_7vsmem_tEENKUlT_SL_SM_SN_E_clIS8_S8_S9_S9_EESK_S10_SL_SM_SN_EUlS10_E_NS1_11comp_targetILNS1_3genE8ELNS1_11target_archE1030ELNS1_3gpuE2ELNS1_3repE0EEENS1_48merge_mergepath_partition_config_static_selectorELNS0_4arch9wavefront6targetE0EEEvSM_,@function
_ZN7rocprim17ROCPRIM_400000_NS6detail17trampoline_kernelINS0_14default_configENS1_38merge_sort_block_merge_config_selectorIlNS0_10empty_typeEEEZZNS1_27merge_sort_block_merge_implIS3_PlPS5_mZN2at6native12_GLOBAL__N_124unique_dim_cuda_templateImEESt5tupleIJNSA_6TensorESF_SF_EERKSF_lbbbEUlllE_EE10hipError_tT0_T1_T2_jT3_P12ihipStream_tbPNSt15iterator_traitsISL_E10value_typeEPNSR_ISM_E10value_typeEPSN_NS1_7vsmem_tEENKUlT_SL_SM_SN_E_clIS8_S8_S9_S9_EESK_S10_SL_SM_SN_EUlS10_E_NS1_11comp_targetILNS1_3genE8ELNS1_11target_archE1030ELNS1_3gpuE2ELNS1_3repE0EEENS1_48merge_mergepath_partition_config_static_selectorELNS0_4arch9wavefront6targetE0EEEvSM_: ; @_ZN7rocprim17ROCPRIM_400000_NS6detail17trampoline_kernelINS0_14default_configENS1_38merge_sort_block_merge_config_selectorIlNS0_10empty_typeEEEZZNS1_27merge_sort_block_merge_implIS3_PlPS5_mZN2at6native12_GLOBAL__N_124unique_dim_cuda_templateImEESt5tupleIJNSA_6TensorESF_SF_EERKSF_lbbbEUlllE_EE10hipError_tT0_T1_T2_jT3_P12ihipStream_tbPNSt15iterator_traitsISL_E10value_typeEPNSR_ISM_E10value_typeEPSN_NS1_7vsmem_tEENKUlT_SL_SM_SN_E_clIS8_S8_S9_S9_EESK_S10_SL_SM_SN_EUlS10_E_NS1_11comp_targetILNS1_3genE8ELNS1_11target_archE1030ELNS1_3gpuE2ELNS1_3repE0EEENS1_48merge_mergepath_partition_config_static_selectorELNS0_4arch9wavefront6targetE0EEEvSM_
; %bb.0:
	.section	.rodata,"a",@progbits
	.p2align	6, 0x0
	.amdhsa_kernel _ZN7rocprim17ROCPRIM_400000_NS6detail17trampoline_kernelINS0_14default_configENS1_38merge_sort_block_merge_config_selectorIlNS0_10empty_typeEEEZZNS1_27merge_sort_block_merge_implIS3_PlPS5_mZN2at6native12_GLOBAL__N_124unique_dim_cuda_templateImEESt5tupleIJNSA_6TensorESF_SF_EERKSF_lbbbEUlllE_EE10hipError_tT0_T1_T2_jT3_P12ihipStream_tbPNSt15iterator_traitsISL_E10value_typeEPNSR_ISM_E10value_typeEPSN_NS1_7vsmem_tEENKUlT_SL_SM_SN_E_clIS8_S8_S9_S9_EESK_S10_SL_SM_SN_EUlS10_E_NS1_11comp_targetILNS1_3genE8ELNS1_11target_archE1030ELNS1_3gpuE2ELNS1_3repE0EEENS1_48merge_mergepath_partition_config_static_selectorELNS0_4arch9wavefront6targetE0EEEvSM_
		.amdhsa_group_segment_fixed_size 0
		.amdhsa_private_segment_fixed_size 0
		.amdhsa_kernarg_size 56
		.amdhsa_user_sgpr_count 15
		.amdhsa_user_sgpr_dispatch_ptr 0
		.amdhsa_user_sgpr_queue_ptr 0
		.amdhsa_user_sgpr_kernarg_segment_ptr 1
		.amdhsa_user_sgpr_dispatch_id 0
		.amdhsa_user_sgpr_private_segment_size 0
		.amdhsa_wavefront_size32 1
		.amdhsa_uses_dynamic_stack 0
		.amdhsa_enable_private_segment 0
		.amdhsa_system_sgpr_workgroup_id_x 1
		.amdhsa_system_sgpr_workgroup_id_y 0
		.amdhsa_system_sgpr_workgroup_id_z 0
		.amdhsa_system_sgpr_workgroup_info 0
		.amdhsa_system_vgpr_workitem_id 0
		.amdhsa_next_free_vgpr 1
		.amdhsa_next_free_sgpr 1
		.amdhsa_reserve_vcc 0
		.amdhsa_float_round_mode_32 0
		.amdhsa_float_round_mode_16_64 0
		.amdhsa_float_denorm_mode_32 3
		.amdhsa_float_denorm_mode_16_64 3
		.amdhsa_dx10_clamp 1
		.amdhsa_ieee_mode 1
		.amdhsa_fp16_overflow 0
		.amdhsa_workgroup_processor_mode 1
		.amdhsa_memory_ordered 1
		.amdhsa_forward_progress 0
		.amdhsa_shared_vgpr_count 0
		.amdhsa_exception_fp_ieee_invalid_op 0
		.amdhsa_exception_fp_denorm_src 0
		.amdhsa_exception_fp_ieee_div_zero 0
		.amdhsa_exception_fp_ieee_overflow 0
		.amdhsa_exception_fp_ieee_underflow 0
		.amdhsa_exception_fp_ieee_inexact 0
		.amdhsa_exception_int_div_zero 0
	.end_amdhsa_kernel
	.section	.text._ZN7rocprim17ROCPRIM_400000_NS6detail17trampoline_kernelINS0_14default_configENS1_38merge_sort_block_merge_config_selectorIlNS0_10empty_typeEEEZZNS1_27merge_sort_block_merge_implIS3_PlPS5_mZN2at6native12_GLOBAL__N_124unique_dim_cuda_templateImEESt5tupleIJNSA_6TensorESF_SF_EERKSF_lbbbEUlllE_EE10hipError_tT0_T1_T2_jT3_P12ihipStream_tbPNSt15iterator_traitsISL_E10value_typeEPNSR_ISM_E10value_typeEPSN_NS1_7vsmem_tEENKUlT_SL_SM_SN_E_clIS8_S8_S9_S9_EESK_S10_SL_SM_SN_EUlS10_E_NS1_11comp_targetILNS1_3genE8ELNS1_11target_archE1030ELNS1_3gpuE2ELNS1_3repE0EEENS1_48merge_mergepath_partition_config_static_selectorELNS0_4arch9wavefront6targetE0EEEvSM_,"axG",@progbits,_ZN7rocprim17ROCPRIM_400000_NS6detail17trampoline_kernelINS0_14default_configENS1_38merge_sort_block_merge_config_selectorIlNS0_10empty_typeEEEZZNS1_27merge_sort_block_merge_implIS3_PlPS5_mZN2at6native12_GLOBAL__N_124unique_dim_cuda_templateImEESt5tupleIJNSA_6TensorESF_SF_EERKSF_lbbbEUlllE_EE10hipError_tT0_T1_T2_jT3_P12ihipStream_tbPNSt15iterator_traitsISL_E10value_typeEPNSR_ISM_E10value_typeEPSN_NS1_7vsmem_tEENKUlT_SL_SM_SN_E_clIS8_S8_S9_S9_EESK_S10_SL_SM_SN_EUlS10_E_NS1_11comp_targetILNS1_3genE8ELNS1_11target_archE1030ELNS1_3gpuE2ELNS1_3repE0EEENS1_48merge_mergepath_partition_config_static_selectorELNS0_4arch9wavefront6targetE0EEEvSM_,comdat
.Lfunc_end1619:
	.size	_ZN7rocprim17ROCPRIM_400000_NS6detail17trampoline_kernelINS0_14default_configENS1_38merge_sort_block_merge_config_selectorIlNS0_10empty_typeEEEZZNS1_27merge_sort_block_merge_implIS3_PlPS5_mZN2at6native12_GLOBAL__N_124unique_dim_cuda_templateImEESt5tupleIJNSA_6TensorESF_SF_EERKSF_lbbbEUlllE_EE10hipError_tT0_T1_T2_jT3_P12ihipStream_tbPNSt15iterator_traitsISL_E10value_typeEPNSR_ISM_E10value_typeEPSN_NS1_7vsmem_tEENKUlT_SL_SM_SN_E_clIS8_S8_S9_S9_EESK_S10_SL_SM_SN_EUlS10_E_NS1_11comp_targetILNS1_3genE8ELNS1_11target_archE1030ELNS1_3gpuE2ELNS1_3repE0EEENS1_48merge_mergepath_partition_config_static_selectorELNS0_4arch9wavefront6targetE0EEEvSM_, .Lfunc_end1619-_ZN7rocprim17ROCPRIM_400000_NS6detail17trampoline_kernelINS0_14default_configENS1_38merge_sort_block_merge_config_selectorIlNS0_10empty_typeEEEZZNS1_27merge_sort_block_merge_implIS3_PlPS5_mZN2at6native12_GLOBAL__N_124unique_dim_cuda_templateImEESt5tupleIJNSA_6TensorESF_SF_EERKSF_lbbbEUlllE_EE10hipError_tT0_T1_T2_jT3_P12ihipStream_tbPNSt15iterator_traitsISL_E10value_typeEPNSR_ISM_E10value_typeEPSN_NS1_7vsmem_tEENKUlT_SL_SM_SN_E_clIS8_S8_S9_S9_EESK_S10_SL_SM_SN_EUlS10_E_NS1_11comp_targetILNS1_3genE8ELNS1_11target_archE1030ELNS1_3gpuE2ELNS1_3repE0EEENS1_48merge_mergepath_partition_config_static_selectorELNS0_4arch9wavefront6targetE0EEEvSM_
                                        ; -- End function
	.section	.AMDGPU.csdata,"",@progbits
; Kernel info:
; codeLenInByte = 0
; NumSgprs: 0
; NumVgprs: 0
; ScratchSize: 0
; MemoryBound: 0
; FloatMode: 240
; IeeeMode: 1
; LDSByteSize: 0 bytes/workgroup (compile time only)
; SGPRBlocks: 0
; VGPRBlocks: 0
; NumSGPRsForWavesPerEU: 1
; NumVGPRsForWavesPerEU: 1
; Occupancy: 16
; WaveLimiterHint : 0
; COMPUTE_PGM_RSRC2:SCRATCH_EN: 0
; COMPUTE_PGM_RSRC2:USER_SGPR: 15
; COMPUTE_PGM_RSRC2:TRAP_HANDLER: 0
; COMPUTE_PGM_RSRC2:TGID_X_EN: 1
; COMPUTE_PGM_RSRC2:TGID_Y_EN: 0
; COMPUTE_PGM_RSRC2:TGID_Z_EN: 0
; COMPUTE_PGM_RSRC2:TIDIG_COMP_CNT: 0
	.section	.text._ZN7rocprim17ROCPRIM_400000_NS6detail17trampoline_kernelINS0_14default_configENS1_38merge_sort_block_merge_config_selectorIlNS0_10empty_typeEEEZZNS1_27merge_sort_block_merge_implIS3_PlPS5_mZN2at6native12_GLOBAL__N_124unique_dim_cuda_templateImEESt5tupleIJNSA_6TensorESF_SF_EERKSF_lbbbEUlllE_EE10hipError_tT0_T1_T2_jT3_P12ihipStream_tbPNSt15iterator_traitsISL_E10value_typeEPNSR_ISM_E10value_typeEPSN_NS1_7vsmem_tEENKUlT_SL_SM_SN_E_clIS8_S8_S9_S9_EESK_S10_SL_SM_SN_EUlS10_E0_NS1_11comp_targetILNS1_3genE0ELNS1_11target_archE4294967295ELNS1_3gpuE0ELNS1_3repE0EEENS1_38merge_mergepath_config_static_selectorELNS0_4arch9wavefront6targetE0EEEvSM_,"axG",@progbits,_ZN7rocprim17ROCPRIM_400000_NS6detail17trampoline_kernelINS0_14default_configENS1_38merge_sort_block_merge_config_selectorIlNS0_10empty_typeEEEZZNS1_27merge_sort_block_merge_implIS3_PlPS5_mZN2at6native12_GLOBAL__N_124unique_dim_cuda_templateImEESt5tupleIJNSA_6TensorESF_SF_EERKSF_lbbbEUlllE_EE10hipError_tT0_T1_T2_jT3_P12ihipStream_tbPNSt15iterator_traitsISL_E10value_typeEPNSR_ISM_E10value_typeEPSN_NS1_7vsmem_tEENKUlT_SL_SM_SN_E_clIS8_S8_S9_S9_EESK_S10_SL_SM_SN_EUlS10_E0_NS1_11comp_targetILNS1_3genE0ELNS1_11target_archE4294967295ELNS1_3gpuE0ELNS1_3repE0EEENS1_38merge_mergepath_config_static_selectorELNS0_4arch9wavefront6targetE0EEEvSM_,comdat
	.globl	_ZN7rocprim17ROCPRIM_400000_NS6detail17trampoline_kernelINS0_14default_configENS1_38merge_sort_block_merge_config_selectorIlNS0_10empty_typeEEEZZNS1_27merge_sort_block_merge_implIS3_PlPS5_mZN2at6native12_GLOBAL__N_124unique_dim_cuda_templateImEESt5tupleIJNSA_6TensorESF_SF_EERKSF_lbbbEUlllE_EE10hipError_tT0_T1_T2_jT3_P12ihipStream_tbPNSt15iterator_traitsISL_E10value_typeEPNSR_ISM_E10value_typeEPSN_NS1_7vsmem_tEENKUlT_SL_SM_SN_E_clIS8_S8_S9_S9_EESK_S10_SL_SM_SN_EUlS10_E0_NS1_11comp_targetILNS1_3genE0ELNS1_11target_archE4294967295ELNS1_3gpuE0ELNS1_3repE0EEENS1_38merge_mergepath_config_static_selectorELNS0_4arch9wavefront6targetE0EEEvSM_ ; -- Begin function _ZN7rocprim17ROCPRIM_400000_NS6detail17trampoline_kernelINS0_14default_configENS1_38merge_sort_block_merge_config_selectorIlNS0_10empty_typeEEEZZNS1_27merge_sort_block_merge_implIS3_PlPS5_mZN2at6native12_GLOBAL__N_124unique_dim_cuda_templateImEESt5tupleIJNSA_6TensorESF_SF_EERKSF_lbbbEUlllE_EE10hipError_tT0_T1_T2_jT3_P12ihipStream_tbPNSt15iterator_traitsISL_E10value_typeEPNSR_ISM_E10value_typeEPSN_NS1_7vsmem_tEENKUlT_SL_SM_SN_E_clIS8_S8_S9_S9_EESK_S10_SL_SM_SN_EUlS10_E0_NS1_11comp_targetILNS1_3genE0ELNS1_11target_archE4294967295ELNS1_3gpuE0ELNS1_3repE0EEENS1_38merge_mergepath_config_static_selectorELNS0_4arch9wavefront6targetE0EEEvSM_
	.p2align	8
	.type	_ZN7rocprim17ROCPRIM_400000_NS6detail17trampoline_kernelINS0_14default_configENS1_38merge_sort_block_merge_config_selectorIlNS0_10empty_typeEEEZZNS1_27merge_sort_block_merge_implIS3_PlPS5_mZN2at6native12_GLOBAL__N_124unique_dim_cuda_templateImEESt5tupleIJNSA_6TensorESF_SF_EERKSF_lbbbEUlllE_EE10hipError_tT0_T1_T2_jT3_P12ihipStream_tbPNSt15iterator_traitsISL_E10value_typeEPNSR_ISM_E10value_typeEPSN_NS1_7vsmem_tEENKUlT_SL_SM_SN_E_clIS8_S8_S9_S9_EESK_S10_SL_SM_SN_EUlS10_E0_NS1_11comp_targetILNS1_3genE0ELNS1_11target_archE4294967295ELNS1_3gpuE0ELNS1_3repE0EEENS1_38merge_mergepath_config_static_selectorELNS0_4arch9wavefront6targetE0EEEvSM_,@function
_ZN7rocprim17ROCPRIM_400000_NS6detail17trampoline_kernelINS0_14default_configENS1_38merge_sort_block_merge_config_selectorIlNS0_10empty_typeEEEZZNS1_27merge_sort_block_merge_implIS3_PlPS5_mZN2at6native12_GLOBAL__N_124unique_dim_cuda_templateImEESt5tupleIJNSA_6TensorESF_SF_EERKSF_lbbbEUlllE_EE10hipError_tT0_T1_T2_jT3_P12ihipStream_tbPNSt15iterator_traitsISL_E10value_typeEPNSR_ISM_E10value_typeEPSN_NS1_7vsmem_tEENKUlT_SL_SM_SN_E_clIS8_S8_S9_S9_EESK_S10_SL_SM_SN_EUlS10_E0_NS1_11comp_targetILNS1_3genE0ELNS1_11target_archE4294967295ELNS1_3gpuE0ELNS1_3repE0EEENS1_38merge_mergepath_config_static_selectorELNS0_4arch9wavefront6targetE0EEEvSM_: ; @_ZN7rocprim17ROCPRIM_400000_NS6detail17trampoline_kernelINS0_14default_configENS1_38merge_sort_block_merge_config_selectorIlNS0_10empty_typeEEEZZNS1_27merge_sort_block_merge_implIS3_PlPS5_mZN2at6native12_GLOBAL__N_124unique_dim_cuda_templateImEESt5tupleIJNSA_6TensorESF_SF_EERKSF_lbbbEUlllE_EE10hipError_tT0_T1_T2_jT3_P12ihipStream_tbPNSt15iterator_traitsISL_E10value_typeEPNSR_ISM_E10value_typeEPSN_NS1_7vsmem_tEENKUlT_SL_SM_SN_E_clIS8_S8_S9_S9_EESK_S10_SL_SM_SN_EUlS10_E0_NS1_11comp_targetILNS1_3genE0ELNS1_11target_archE4294967295ELNS1_3gpuE0ELNS1_3repE0EEENS1_38merge_mergepath_config_static_selectorELNS0_4arch9wavefront6targetE0EEEvSM_
; %bb.0:
	.section	.rodata,"a",@progbits
	.p2align	6, 0x0
	.amdhsa_kernel _ZN7rocprim17ROCPRIM_400000_NS6detail17trampoline_kernelINS0_14default_configENS1_38merge_sort_block_merge_config_selectorIlNS0_10empty_typeEEEZZNS1_27merge_sort_block_merge_implIS3_PlPS5_mZN2at6native12_GLOBAL__N_124unique_dim_cuda_templateImEESt5tupleIJNSA_6TensorESF_SF_EERKSF_lbbbEUlllE_EE10hipError_tT0_T1_T2_jT3_P12ihipStream_tbPNSt15iterator_traitsISL_E10value_typeEPNSR_ISM_E10value_typeEPSN_NS1_7vsmem_tEENKUlT_SL_SM_SN_E_clIS8_S8_S9_S9_EESK_S10_SL_SM_SN_EUlS10_E0_NS1_11comp_targetILNS1_3genE0ELNS1_11target_archE4294967295ELNS1_3gpuE0ELNS1_3repE0EEENS1_38merge_mergepath_config_static_selectorELNS0_4arch9wavefront6targetE0EEEvSM_
		.amdhsa_group_segment_fixed_size 0
		.amdhsa_private_segment_fixed_size 0
		.amdhsa_kernarg_size 88
		.amdhsa_user_sgpr_count 15
		.amdhsa_user_sgpr_dispatch_ptr 0
		.amdhsa_user_sgpr_queue_ptr 0
		.amdhsa_user_sgpr_kernarg_segment_ptr 1
		.amdhsa_user_sgpr_dispatch_id 0
		.amdhsa_user_sgpr_private_segment_size 0
		.amdhsa_wavefront_size32 1
		.amdhsa_uses_dynamic_stack 0
		.amdhsa_enable_private_segment 0
		.amdhsa_system_sgpr_workgroup_id_x 1
		.amdhsa_system_sgpr_workgroup_id_y 0
		.amdhsa_system_sgpr_workgroup_id_z 0
		.amdhsa_system_sgpr_workgroup_info 0
		.amdhsa_system_vgpr_workitem_id 0
		.amdhsa_next_free_vgpr 1
		.amdhsa_next_free_sgpr 1
		.amdhsa_reserve_vcc 0
		.amdhsa_float_round_mode_32 0
		.amdhsa_float_round_mode_16_64 0
		.amdhsa_float_denorm_mode_32 3
		.amdhsa_float_denorm_mode_16_64 3
		.amdhsa_dx10_clamp 1
		.amdhsa_ieee_mode 1
		.amdhsa_fp16_overflow 0
		.amdhsa_workgroup_processor_mode 1
		.amdhsa_memory_ordered 1
		.amdhsa_forward_progress 0
		.amdhsa_shared_vgpr_count 0
		.amdhsa_exception_fp_ieee_invalid_op 0
		.amdhsa_exception_fp_denorm_src 0
		.amdhsa_exception_fp_ieee_div_zero 0
		.amdhsa_exception_fp_ieee_overflow 0
		.amdhsa_exception_fp_ieee_underflow 0
		.amdhsa_exception_fp_ieee_inexact 0
		.amdhsa_exception_int_div_zero 0
	.end_amdhsa_kernel
	.section	.text._ZN7rocprim17ROCPRIM_400000_NS6detail17trampoline_kernelINS0_14default_configENS1_38merge_sort_block_merge_config_selectorIlNS0_10empty_typeEEEZZNS1_27merge_sort_block_merge_implIS3_PlPS5_mZN2at6native12_GLOBAL__N_124unique_dim_cuda_templateImEESt5tupleIJNSA_6TensorESF_SF_EERKSF_lbbbEUlllE_EE10hipError_tT0_T1_T2_jT3_P12ihipStream_tbPNSt15iterator_traitsISL_E10value_typeEPNSR_ISM_E10value_typeEPSN_NS1_7vsmem_tEENKUlT_SL_SM_SN_E_clIS8_S8_S9_S9_EESK_S10_SL_SM_SN_EUlS10_E0_NS1_11comp_targetILNS1_3genE0ELNS1_11target_archE4294967295ELNS1_3gpuE0ELNS1_3repE0EEENS1_38merge_mergepath_config_static_selectorELNS0_4arch9wavefront6targetE0EEEvSM_,"axG",@progbits,_ZN7rocprim17ROCPRIM_400000_NS6detail17trampoline_kernelINS0_14default_configENS1_38merge_sort_block_merge_config_selectorIlNS0_10empty_typeEEEZZNS1_27merge_sort_block_merge_implIS3_PlPS5_mZN2at6native12_GLOBAL__N_124unique_dim_cuda_templateImEESt5tupleIJNSA_6TensorESF_SF_EERKSF_lbbbEUlllE_EE10hipError_tT0_T1_T2_jT3_P12ihipStream_tbPNSt15iterator_traitsISL_E10value_typeEPNSR_ISM_E10value_typeEPSN_NS1_7vsmem_tEENKUlT_SL_SM_SN_E_clIS8_S8_S9_S9_EESK_S10_SL_SM_SN_EUlS10_E0_NS1_11comp_targetILNS1_3genE0ELNS1_11target_archE4294967295ELNS1_3gpuE0ELNS1_3repE0EEENS1_38merge_mergepath_config_static_selectorELNS0_4arch9wavefront6targetE0EEEvSM_,comdat
.Lfunc_end1620:
	.size	_ZN7rocprim17ROCPRIM_400000_NS6detail17trampoline_kernelINS0_14default_configENS1_38merge_sort_block_merge_config_selectorIlNS0_10empty_typeEEEZZNS1_27merge_sort_block_merge_implIS3_PlPS5_mZN2at6native12_GLOBAL__N_124unique_dim_cuda_templateImEESt5tupleIJNSA_6TensorESF_SF_EERKSF_lbbbEUlllE_EE10hipError_tT0_T1_T2_jT3_P12ihipStream_tbPNSt15iterator_traitsISL_E10value_typeEPNSR_ISM_E10value_typeEPSN_NS1_7vsmem_tEENKUlT_SL_SM_SN_E_clIS8_S8_S9_S9_EESK_S10_SL_SM_SN_EUlS10_E0_NS1_11comp_targetILNS1_3genE0ELNS1_11target_archE4294967295ELNS1_3gpuE0ELNS1_3repE0EEENS1_38merge_mergepath_config_static_selectorELNS0_4arch9wavefront6targetE0EEEvSM_, .Lfunc_end1620-_ZN7rocprim17ROCPRIM_400000_NS6detail17trampoline_kernelINS0_14default_configENS1_38merge_sort_block_merge_config_selectorIlNS0_10empty_typeEEEZZNS1_27merge_sort_block_merge_implIS3_PlPS5_mZN2at6native12_GLOBAL__N_124unique_dim_cuda_templateImEESt5tupleIJNSA_6TensorESF_SF_EERKSF_lbbbEUlllE_EE10hipError_tT0_T1_T2_jT3_P12ihipStream_tbPNSt15iterator_traitsISL_E10value_typeEPNSR_ISM_E10value_typeEPSN_NS1_7vsmem_tEENKUlT_SL_SM_SN_E_clIS8_S8_S9_S9_EESK_S10_SL_SM_SN_EUlS10_E0_NS1_11comp_targetILNS1_3genE0ELNS1_11target_archE4294967295ELNS1_3gpuE0ELNS1_3repE0EEENS1_38merge_mergepath_config_static_selectorELNS0_4arch9wavefront6targetE0EEEvSM_
                                        ; -- End function
	.section	.AMDGPU.csdata,"",@progbits
; Kernel info:
; codeLenInByte = 0
; NumSgprs: 0
; NumVgprs: 0
; ScratchSize: 0
; MemoryBound: 0
; FloatMode: 240
; IeeeMode: 1
; LDSByteSize: 0 bytes/workgroup (compile time only)
; SGPRBlocks: 0
; VGPRBlocks: 0
; NumSGPRsForWavesPerEU: 1
; NumVGPRsForWavesPerEU: 1
; Occupancy: 16
; WaveLimiterHint : 0
; COMPUTE_PGM_RSRC2:SCRATCH_EN: 0
; COMPUTE_PGM_RSRC2:USER_SGPR: 15
; COMPUTE_PGM_RSRC2:TRAP_HANDLER: 0
; COMPUTE_PGM_RSRC2:TGID_X_EN: 1
; COMPUTE_PGM_RSRC2:TGID_Y_EN: 0
; COMPUTE_PGM_RSRC2:TGID_Z_EN: 0
; COMPUTE_PGM_RSRC2:TIDIG_COMP_CNT: 0
	.section	.text._ZN7rocprim17ROCPRIM_400000_NS6detail17trampoline_kernelINS0_14default_configENS1_38merge_sort_block_merge_config_selectorIlNS0_10empty_typeEEEZZNS1_27merge_sort_block_merge_implIS3_PlPS5_mZN2at6native12_GLOBAL__N_124unique_dim_cuda_templateImEESt5tupleIJNSA_6TensorESF_SF_EERKSF_lbbbEUlllE_EE10hipError_tT0_T1_T2_jT3_P12ihipStream_tbPNSt15iterator_traitsISL_E10value_typeEPNSR_ISM_E10value_typeEPSN_NS1_7vsmem_tEENKUlT_SL_SM_SN_E_clIS8_S8_S9_S9_EESK_S10_SL_SM_SN_EUlS10_E0_NS1_11comp_targetILNS1_3genE10ELNS1_11target_archE1201ELNS1_3gpuE5ELNS1_3repE0EEENS1_38merge_mergepath_config_static_selectorELNS0_4arch9wavefront6targetE0EEEvSM_,"axG",@progbits,_ZN7rocprim17ROCPRIM_400000_NS6detail17trampoline_kernelINS0_14default_configENS1_38merge_sort_block_merge_config_selectorIlNS0_10empty_typeEEEZZNS1_27merge_sort_block_merge_implIS3_PlPS5_mZN2at6native12_GLOBAL__N_124unique_dim_cuda_templateImEESt5tupleIJNSA_6TensorESF_SF_EERKSF_lbbbEUlllE_EE10hipError_tT0_T1_T2_jT3_P12ihipStream_tbPNSt15iterator_traitsISL_E10value_typeEPNSR_ISM_E10value_typeEPSN_NS1_7vsmem_tEENKUlT_SL_SM_SN_E_clIS8_S8_S9_S9_EESK_S10_SL_SM_SN_EUlS10_E0_NS1_11comp_targetILNS1_3genE10ELNS1_11target_archE1201ELNS1_3gpuE5ELNS1_3repE0EEENS1_38merge_mergepath_config_static_selectorELNS0_4arch9wavefront6targetE0EEEvSM_,comdat
	.globl	_ZN7rocprim17ROCPRIM_400000_NS6detail17trampoline_kernelINS0_14default_configENS1_38merge_sort_block_merge_config_selectorIlNS0_10empty_typeEEEZZNS1_27merge_sort_block_merge_implIS3_PlPS5_mZN2at6native12_GLOBAL__N_124unique_dim_cuda_templateImEESt5tupleIJNSA_6TensorESF_SF_EERKSF_lbbbEUlllE_EE10hipError_tT0_T1_T2_jT3_P12ihipStream_tbPNSt15iterator_traitsISL_E10value_typeEPNSR_ISM_E10value_typeEPSN_NS1_7vsmem_tEENKUlT_SL_SM_SN_E_clIS8_S8_S9_S9_EESK_S10_SL_SM_SN_EUlS10_E0_NS1_11comp_targetILNS1_3genE10ELNS1_11target_archE1201ELNS1_3gpuE5ELNS1_3repE0EEENS1_38merge_mergepath_config_static_selectorELNS0_4arch9wavefront6targetE0EEEvSM_ ; -- Begin function _ZN7rocprim17ROCPRIM_400000_NS6detail17trampoline_kernelINS0_14default_configENS1_38merge_sort_block_merge_config_selectorIlNS0_10empty_typeEEEZZNS1_27merge_sort_block_merge_implIS3_PlPS5_mZN2at6native12_GLOBAL__N_124unique_dim_cuda_templateImEESt5tupleIJNSA_6TensorESF_SF_EERKSF_lbbbEUlllE_EE10hipError_tT0_T1_T2_jT3_P12ihipStream_tbPNSt15iterator_traitsISL_E10value_typeEPNSR_ISM_E10value_typeEPSN_NS1_7vsmem_tEENKUlT_SL_SM_SN_E_clIS8_S8_S9_S9_EESK_S10_SL_SM_SN_EUlS10_E0_NS1_11comp_targetILNS1_3genE10ELNS1_11target_archE1201ELNS1_3gpuE5ELNS1_3repE0EEENS1_38merge_mergepath_config_static_selectorELNS0_4arch9wavefront6targetE0EEEvSM_
	.p2align	8
	.type	_ZN7rocprim17ROCPRIM_400000_NS6detail17trampoline_kernelINS0_14default_configENS1_38merge_sort_block_merge_config_selectorIlNS0_10empty_typeEEEZZNS1_27merge_sort_block_merge_implIS3_PlPS5_mZN2at6native12_GLOBAL__N_124unique_dim_cuda_templateImEESt5tupleIJNSA_6TensorESF_SF_EERKSF_lbbbEUlllE_EE10hipError_tT0_T1_T2_jT3_P12ihipStream_tbPNSt15iterator_traitsISL_E10value_typeEPNSR_ISM_E10value_typeEPSN_NS1_7vsmem_tEENKUlT_SL_SM_SN_E_clIS8_S8_S9_S9_EESK_S10_SL_SM_SN_EUlS10_E0_NS1_11comp_targetILNS1_3genE10ELNS1_11target_archE1201ELNS1_3gpuE5ELNS1_3repE0EEENS1_38merge_mergepath_config_static_selectorELNS0_4arch9wavefront6targetE0EEEvSM_,@function
_ZN7rocprim17ROCPRIM_400000_NS6detail17trampoline_kernelINS0_14default_configENS1_38merge_sort_block_merge_config_selectorIlNS0_10empty_typeEEEZZNS1_27merge_sort_block_merge_implIS3_PlPS5_mZN2at6native12_GLOBAL__N_124unique_dim_cuda_templateImEESt5tupleIJNSA_6TensorESF_SF_EERKSF_lbbbEUlllE_EE10hipError_tT0_T1_T2_jT3_P12ihipStream_tbPNSt15iterator_traitsISL_E10value_typeEPNSR_ISM_E10value_typeEPSN_NS1_7vsmem_tEENKUlT_SL_SM_SN_E_clIS8_S8_S9_S9_EESK_S10_SL_SM_SN_EUlS10_E0_NS1_11comp_targetILNS1_3genE10ELNS1_11target_archE1201ELNS1_3gpuE5ELNS1_3repE0EEENS1_38merge_mergepath_config_static_selectorELNS0_4arch9wavefront6targetE0EEEvSM_: ; @_ZN7rocprim17ROCPRIM_400000_NS6detail17trampoline_kernelINS0_14default_configENS1_38merge_sort_block_merge_config_selectorIlNS0_10empty_typeEEEZZNS1_27merge_sort_block_merge_implIS3_PlPS5_mZN2at6native12_GLOBAL__N_124unique_dim_cuda_templateImEESt5tupleIJNSA_6TensorESF_SF_EERKSF_lbbbEUlllE_EE10hipError_tT0_T1_T2_jT3_P12ihipStream_tbPNSt15iterator_traitsISL_E10value_typeEPNSR_ISM_E10value_typeEPSN_NS1_7vsmem_tEENKUlT_SL_SM_SN_E_clIS8_S8_S9_S9_EESK_S10_SL_SM_SN_EUlS10_E0_NS1_11comp_targetILNS1_3genE10ELNS1_11target_archE1201ELNS1_3gpuE5ELNS1_3repE0EEENS1_38merge_mergepath_config_static_selectorELNS0_4arch9wavefront6targetE0EEEvSM_
; %bb.0:
	.section	.rodata,"a",@progbits
	.p2align	6, 0x0
	.amdhsa_kernel _ZN7rocprim17ROCPRIM_400000_NS6detail17trampoline_kernelINS0_14default_configENS1_38merge_sort_block_merge_config_selectorIlNS0_10empty_typeEEEZZNS1_27merge_sort_block_merge_implIS3_PlPS5_mZN2at6native12_GLOBAL__N_124unique_dim_cuda_templateImEESt5tupleIJNSA_6TensorESF_SF_EERKSF_lbbbEUlllE_EE10hipError_tT0_T1_T2_jT3_P12ihipStream_tbPNSt15iterator_traitsISL_E10value_typeEPNSR_ISM_E10value_typeEPSN_NS1_7vsmem_tEENKUlT_SL_SM_SN_E_clIS8_S8_S9_S9_EESK_S10_SL_SM_SN_EUlS10_E0_NS1_11comp_targetILNS1_3genE10ELNS1_11target_archE1201ELNS1_3gpuE5ELNS1_3repE0EEENS1_38merge_mergepath_config_static_selectorELNS0_4arch9wavefront6targetE0EEEvSM_
		.amdhsa_group_segment_fixed_size 0
		.amdhsa_private_segment_fixed_size 0
		.amdhsa_kernarg_size 88
		.amdhsa_user_sgpr_count 15
		.amdhsa_user_sgpr_dispatch_ptr 0
		.amdhsa_user_sgpr_queue_ptr 0
		.amdhsa_user_sgpr_kernarg_segment_ptr 1
		.amdhsa_user_sgpr_dispatch_id 0
		.amdhsa_user_sgpr_private_segment_size 0
		.amdhsa_wavefront_size32 1
		.amdhsa_uses_dynamic_stack 0
		.amdhsa_enable_private_segment 0
		.amdhsa_system_sgpr_workgroup_id_x 1
		.amdhsa_system_sgpr_workgroup_id_y 0
		.amdhsa_system_sgpr_workgroup_id_z 0
		.amdhsa_system_sgpr_workgroup_info 0
		.amdhsa_system_vgpr_workitem_id 0
		.amdhsa_next_free_vgpr 1
		.amdhsa_next_free_sgpr 1
		.amdhsa_reserve_vcc 0
		.amdhsa_float_round_mode_32 0
		.amdhsa_float_round_mode_16_64 0
		.amdhsa_float_denorm_mode_32 3
		.amdhsa_float_denorm_mode_16_64 3
		.amdhsa_dx10_clamp 1
		.amdhsa_ieee_mode 1
		.amdhsa_fp16_overflow 0
		.amdhsa_workgroup_processor_mode 1
		.amdhsa_memory_ordered 1
		.amdhsa_forward_progress 0
		.amdhsa_shared_vgpr_count 0
		.amdhsa_exception_fp_ieee_invalid_op 0
		.amdhsa_exception_fp_denorm_src 0
		.amdhsa_exception_fp_ieee_div_zero 0
		.amdhsa_exception_fp_ieee_overflow 0
		.amdhsa_exception_fp_ieee_underflow 0
		.amdhsa_exception_fp_ieee_inexact 0
		.amdhsa_exception_int_div_zero 0
	.end_amdhsa_kernel
	.section	.text._ZN7rocprim17ROCPRIM_400000_NS6detail17trampoline_kernelINS0_14default_configENS1_38merge_sort_block_merge_config_selectorIlNS0_10empty_typeEEEZZNS1_27merge_sort_block_merge_implIS3_PlPS5_mZN2at6native12_GLOBAL__N_124unique_dim_cuda_templateImEESt5tupleIJNSA_6TensorESF_SF_EERKSF_lbbbEUlllE_EE10hipError_tT0_T1_T2_jT3_P12ihipStream_tbPNSt15iterator_traitsISL_E10value_typeEPNSR_ISM_E10value_typeEPSN_NS1_7vsmem_tEENKUlT_SL_SM_SN_E_clIS8_S8_S9_S9_EESK_S10_SL_SM_SN_EUlS10_E0_NS1_11comp_targetILNS1_3genE10ELNS1_11target_archE1201ELNS1_3gpuE5ELNS1_3repE0EEENS1_38merge_mergepath_config_static_selectorELNS0_4arch9wavefront6targetE0EEEvSM_,"axG",@progbits,_ZN7rocprim17ROCPRIM_400000_NS6detail17trampoline_kernelINS0_14default_configENS1_38merge_sort_block_merge_config_selectorIlNS0_10empty_typeEEEZZNS1_27merge_sort_block_merge_implIS3_PlPS5_mZN2at6native12_GLOBAL__N_124unique_dim_cuda_templateImEESt5tupleIJNSA_6TensorESF_SF_EERKSF_lbbbEUlllE_EE10hipError_tT0_T1_T2_jT3_P12ihipStream_tbPNSt15iterator_traitsISL_E10value_typeEPNSR_ISM_E10value_typeEPSN_NS1_7vsmem_tEENKUlT_SL_SM_SN_E_clIS8_S8_S9_S9_EESK_S10_SL_SM_SN_EUlS10_E0_NS1_11comp_targetILNS1_3genE10ELNS1_11target_archE1201ELNS1_3gpuE5ELNS1_3repE0EEENS1_38merge_mergepath_config_static_selectorELNS0_4arch9wavefront6targetE0EEEvSM_,comdat
.Lfunc_end1621:
	.size	_ZN7rocprim17ROCPRIM_400000_NS6detail17trampoline_kernelINS0_14default_configENS1_38merge_sort_block_merge_config_selectorIlNS0_10empty_typeEEEZZNS1_27merge_sort_block_merge_implIS3_PlPS5_mZN2at6native12_GLOBAL__N_124unique_dim_cuda_templateImEESt5tupleIJNSA_6TensorESF_SF_EERKSF_lbbbEUlllE_EE10hipError_tT0_T1_T2_jT3_P12ihipStream_tbPNSt15iterator_traitsISL_E10value_typeEPNSR_ISM_E10value_typeEPSN_NS1_7vsmem_tEENKUlT_SL_SM_SN_E_clIS8_S8_S9_S9_EESK_S10_SL_SM_SN_EUlS10_E0_NS1_11comp_targetILNS1_3genE10ELNS1_11target_archE1201ELNS1_3gpuE5ELNS1_3repE0EEENS1_38merge_mergepath_config_static_selectorELNS0_4arch9wavefront6targetE0EEEvSM_, .Lfunc_end1621-_ZN7rocprim17ROCPRIM_400000_NS6detail17trampoline_kernelINS0_14default_configENS1_38merge_sort_block_merge_config_selectorIlNS0_10empty_typeEEEZZNS1_27merge_sort_block_merge_implIS3_PlPS5_mZN2at6native12_GLOBAL__N_124unique_dim_cuda_templateImEESt5tupleIJNSA_6TensorESF_SF_EERKSF_lbbbEUlllE_EE10hipError_tT0_T1_T2_jT3_P12ihipStream_tbPNSt15iterator_traitsISL_E10value_typeEPNSR_ISM_E10value_typeEPSN_NS1_7vsmem_tEENKUlT_SL_SM_SN_E_clIS8_S8_S9_S9_EESK_S10_SL_SM_SN_EUlS10_E0_NS1_11comp_targetILNS1_3genE10ELNS1_11target_archE1201ELNS1_3gpuE5ELNS1_3repE0EEENS1_38merge_mergepath_config_static_selectorELNS0_4arch9wavefront6targetE0EEEvSM_
                                        ; -- End function
	.section	.AMDGPU.csdata,"",@progbits
; Kernel info:
; codeLenInByte = 0
; NumSgprs: 0
; NumVgprs: 0
; ScratchSize: 0
; MemoryBound: 0
; FloatMode: 240
; IeeeMode: 1
; LDSByteSize: 0 bytes/workgroup (compile time only)
; SGPRBlocks: 0
; VGPRBlocks: 0
; NumSGPRsForWavesPerEU: 1
; NumVGPRsForWavesPerEU: 1
; Occupancy: 16
; WaveLimiterHint : 0
; COMPUTE_PGM_RSRC2:SCRATCH_EN: 0
; COMPUTE_PGM_RSRC2:USER_SGPR: 15
; COMPUTE_PGM_RSRC2:TRAP_HANDLER: 0
; COMPUTE_PGM_RSRC2:TGID_X_EN: 1
; COMPUTE_PGM_RSRC2:TGID_Y_EN: 0
; COMPUTE_PGM_RSRC2:TGID_Z_EN: 0
; COMPUTE_PGM_RSRC2:TIDIG_COMP_CNT: 0
	.section	.text._ZN7rocprim17ROCPRIM_400000_NS6detail17trampoline_kernelINS0_14default_configENS1_38merge_sort_block_merge_config_selectorIlNS0_10empty_typeEEEZZNS1_27merge_sort_block_merge_implIS3_PlPS5_mZN2at6native12_GLOBAL__N_124unique_dim_cuda_templateImEESt5tupleIJNSA_6TensorESF_SF_EERKSF_lbbbEUlllE_EE10hipError_tT0_T1_T2_jT3_P12ihipStream_tbPNSt15iterator_traitsISL_E10value_typeEPNSR_ISM_E10value_typeEPSN_NS1_7vsmem_tEENKUlT_SL_SM_SN_E_clIS8_S8_S9_S9_EESK_S10_SL_SM_SN_EUlS10_E0_NS1_11comp_targetILNS1_3genE5ELNS1_11target_archE942ELNS1_3gpuE9ELNS1_3repE0EEENS1_38merge_mergepath_config_static_selectorELNS0_4arch9wavefront6targetE0EEEvSM_,"axG",@progbits,_ZN7rocprim17ROCPRIM_400000_NS6detail17trampoline_kernelINS0_14default_configENS1_38merge_sort_block_merge_config_selectorIlNS0_10empty_typeEEEZZNS1_27merge_sort_block_merge_implIS3_PlPS5_mZN2at6native12_GLOBAL__N_124unique_dim_cuda_templateImEESt5tupleIJNSA_6TensorESF_SF_EERKSF_lbbbEUlllE_EE10hipError_tT0_T1_T2_jT3_P12ihipStream_tbPNSt15iterator_traitsISL_E10value_typeEPNSR_ISM_E10value_typeEPSN_NS1_7vsmem_tEENKUlT_SL_SM_SN_E_clIS8_S8_S9_S9_EESK_S10_SL_SM_SN_EUlS10_E0_NS1_11comp_targetILNS1_3genE5ELNS1_11target_archE942ELNS1_3gpuE9ELNS1_3repE0EEENS1_38merge_mergepath_config_static_selectorELNS0_4arch9wavefront6targetE0EEEvSM_,comdat
	.globl	_ZN7rocprim17ROCPRIM_400000_NS6detail17trampoline_kernelINS0_14default_configENS1_38merge_sort_block_merge_config_selectorIlNS0_10empty_typeEEEZZNS1_27merge_sort_block_merge_implIS3_PlPS5_mZN2at6native12_GLOBAL__N_124unique_dim_cuda_templateImEESt5tupleIJNSA_6TensorESF_SF_EERKSF_lbbbEUlllE_EE10hipError_tT0_T1_T2_jT3_P12ihipStream_tbPNSt15iterator_traitsISL_E10value_typeEPNSR_ISM_E10value_typeEPSN_NS1_7vsmem_tEENKUlT_SL_SM_SN_E_clIS8_S8_S9_S9_EESK_S10_SL_SM_SN_EUlS10_E0_NS1_11comp_targetILNS1_3genE5ELNS1_11target_archE942ELNS1_3gpuE9ELNS1_3repE0EEENS1_38merge_mergepath_config_static_selectorELNS0_4arch9wavefront6targetE0EEEvSM_ ; -- Begin function _ZN7rocprim17ROCPRIM_400000_NS6detail17trampoline_kernelINS0_14default_configENS1_38merge_sort_block_merge_config_selectorIlNS0_10empty_typeEEEZZNS1_27merge_sort_block_merge_implIS3_PlPS5_mZN2at6native12_GLOBAL__N_124unique_dim_cuda_templateImEESt5tupleIJNSA_6TensorESF_SF_EERKSF_lbbbEUlllE_EE10hipError_tT0_T1_T2_jT3_P12ihipStream_tbPNSt15iterator_traitsISL_E10value_typeEPNSR_ISM_E10value_typeEPSN_NS1_7vsmem_tEENKUlT_SL_SM_SN_E_clIS8_S8_S9_S9_EESK_S10_SL_SM_SN_EUlS10_E0_NS1_11comp_targetILNS1_3genE5ELNS1_11target_archE942ELNS1_3gpuE9ELNS1_3repE0EEENS1_38merge_mergepath_config_static_selectorELNS0_4arch9wavefront6targetE0EEEvSM_
	.p2align	8
	.type	_ZN7rocprim17ROCPRIM_400000_NS6detail17trampoline_kernelINS0_14default_configENS1_38merge_sort_block_merge_config_selectorIlNS0_10empty_typeEEEZZNS1_27merge_sort_block_merge_implIS3_PlPS5_mZN2at6native12_GLOBAL__N_124unique_dim_cuda_templateImEESt5tupleIJNSA_6TensorESF_SF_EERKSF_lbbbEUlllE_EE10hipError_tT0_T1_T2_jT3_P12ihipStream_tbPNSt15iterator_traitsISL_E10value_typeEPNSR_ISM_E10value_typeEPSN_NS1_7vsmem_tEENKUlT_SL_SM_SN_E_clIS8_S8_S9_S9_EESK_S10_SL_SM_SN_EUlS10_E0_NS1_11comp_targetILNS1_3genE5ELNS1_11target_archE942ELNS1_3gpuE9ELNS1_3repE0EEENS1_38merge_mergepath_config_static_selectorELNS0_4arch9wavefront6targetE0EEEvSM_,@function
_ZN7rocprim17ROCPRIM_400000_NS6detail17trampoline_kernelINS0_14default_configENS1_38merge_sort_block_merge_config_selectorIlNS0_10empty_typeEEEZZNS1_27merge_sort_block_merge_implIS3_PlPS5_mZN2at6native12_GLOBAL__N_124unique_dim_cuda_templateImEESt5tupleIJNSA_6TensorESF_SF_EERKSF_lbbbEUlllE_EE10hipError_tT0_T1_T2_jT3_P12ihipStream_tbPNSt15iterator_traitsISL_E10value_typeEPNSR_ISM_E10value_typeEPSN_NS1_7vsmem_tEENKUlT_SL_SM_SN_E_clIS8_S8_S9_S9_EESK_S10_SL_SM_SN_EUlS10_E0_NS1_11comp_targetILNS1_3genE5ELNS1_11target_archE942ELNS1_3gpuE9ELNS1_3repE0EEENS1_38merge_mergepath_config_static_selectorELNS0_4arch9wavefront6targetE0EEEvSM_: ; @_ZN7rocprim17ROCPRIM_400000_NS6detail17trampoline_kernelINS0_14default_configENS1_38merge_sort_block_merge_config_selectorIlNS0_10empty_typeEEEZZNS1_27merge_sort_block_merge_implIS3_PlPS5_mZN2at6native12_GLOBAL__N_124unique_dim_cuda_templateImEESt5tupleIJNSA_6TensorESF_SF_EERKSF_lbbbEUlllE_EE10hipError_tT0_T1_T2_jT3_P12ihipStream_tbPNSt15iterator_traitsISL_E10value_typeEPNSR_ISM_E10value_typeEPSN_NS1_7vsmem_tEENKUlT_SL_SM_SN_E_clIS8_S8_S9_S9_EESK_S10_SL_SM_SN_EUlS10_E0_NS1_11comp_targetILNS1_3genE5ELNS1_11target_archE942ELNS1_3gpuE9ELNS1_3repE0EEENS1_38merge_mergepath_config_static_selectorELNS0_4arch9wavefront6targetE0EEEvSM_
; %bb.0:
	.section	.rodata,"a",@progbits
	.p2align	6, 0x0
	.amdhsa_kernel _ZN7rocprim17ROCPRIM_400000_NS6detail17trampoline_kernelINS0_14default_configENS1_38merge_sort_block_merge_config_selectorIlNS0_10empty_typeEEEZZNS1_27merge_sort_block_merge_implIS3_PlPS5_mZN2at6native12_GLOBAL__N_124unique_dim_cuda_templateImEESt5tupleIJNSA_6TensorESF_SF_EERKSF_lbbbEUlllE_EE10hipError_tT0_T1_T2_jT3_P12ihipStream_tbPNSt15iterator_traitsISL_E10value_typeEPNSR_ISM_E10value_typeEPSN_NS1_7vsmem_tEENKUlT_SL_SM_SN_E_clIS8_S8_S9_S9_EESK_S10_SL_SM_SN_EUlS10_E0_NS1_11comp_targetILNS1_3genE5ELNS1_11target_archE942ELNS1_3gpuE9ELNS1_3repE0EEENS1_38merge_mergepath_config_static_selectorELNS0_4arch9wavefront6targetE0EEEvSM_
		.amdhsa_group_segment_fixed_size 0
		.amdhsa_private_segment_fixed_size 0
		.amdhsa_kernarg_size 88
		.amdhsa_user_sgpr_count 15
		.amdhsa_user_sgpr_dispatch_ptr 0
		.amdhsa_user_sgpr_queue_ptr 0
		.amdhsa_user_sgpr_kernarg_segment_ptr 1
		.amdhsa_user_sgpr_dispatch_id 0
		.amdhsa_user_sgpr_private_segment_size 0
		.amdhsa_wavefront_size32 1
		.amdhsa_uses_dynamic_stack 0
		.amdhsa_enable_private_segment 0
		.amdhsa_system_sgpr_workgroup_id_x 1
		.amdhsa_system_sgpr_workgroup_id_y 0
		.amdhsa_system_sgpr_workgroup_id_z 0
		.amdhsa_system_sgpr_workgroup_info 0
		.amdhsa_system_vgpr_workitem_id 0
		.amdhsa_next_free_vgpr 1
		.amdhsa_next_free_sgpr 1
		.amdhsa_reserve_vcc 0
		.amdhsa_float_round_mode_32 0
		.amdhsa_float_round_mode_16_64 0
		.amdhsa_float_denorm_mode_32 3
		.amdhsa_float_denorm_mode_16_64 3
		.amdhsa_dx10_clamp 1
		.amdhsa_ieee_mode 1
		.amdhsa_fp16_overflow 0
		.amdhsa_workgroup_processor_mode 1
		.amdhsa_memory_ordered 1
		.amdhsa_forward_progress 0
		.amdhsa_shared_vgpr_count 0
		.amdhsa_exception_fp_ieee_invalid_op 0
		.amdhsa_exception_fp_denorm_src 0
		.amdhsa_exception_fp_ieee_div_zero 0
		.amdhsa_exception_fp_ieee_overflow 0
		.amdhsa_exception_fp_ieee_underflow 0
		.amdhsa_exception_fp_ieee_inexact 0
		.amdhsa_exception_int_div_zero 0
	.end_amdhsa_kernel
	.section	.text._ZN7rocprim17ROCPRIM_400000_NS6detail17trampoline_kernelINS0_14default_configENS1_38merge_sort_block_merge_config_selectorIlNS0_10empty_typeEEEZZNS1_27merge_sort_block_merge_implIS3_PlPS5_mZN2at6native12_GLOBAL__N_124unique_dim_cuda_templateImEESt5tupleIJNSA_6TensorESF_SF_EERKSF_lbbbEUlllE_EE10hipError_tT0_T1_T2_jT3_P12ihipStream_tbPNSt15iterator_traitsISL_E10value_typeEPNSR_ISM_E10value_typeEPSN_NS1_7vsmem_tEENKUlT_SL_SM_SN_E_clIS8_S8_S9_S9_EESK_S10_SL_SM_SN_EUlS10_E0_NS1_11comp_targetILNS1_3genE5ELNS1_11target_archE942ELNS1_3gpuE9ELNS1_3repE0EEENS1_38merge_mergepath_config_static_selectorELNS0_4arch9wavefront6targetE0EEEvSM_,"axG",@progbits,_ZN7rocprim17ROCPRIM_400000_NS6detail17trampoline_kernelINS0_14default_configENS1_38merge_sort_block_merge_config_selectorIlNS0_10empty_typeEEEZZNS1_27merge_sort_block_merge_implIS3_PlPS5_mZN2at6native12_GLOBAL__N_124unique_dim_cuda_templateImEESt5tupleIJNSA_6TensorESF_SF_EERKSF_lbbbEUlllE_EE10hipError_tT0_T1_T2_jT3_P12ihipStream_tbPNSt15iterator_traitsISL_E10value_typeEPNSR_ISM_E10value_typeEPSN_NS1_7vsmem_tEENKUlT_SL_SM_SN_E_clIS8_S8_S9_S9_EESK_S10_SL_SM_SN_EUlS10_E0_NS1_11comp_targetILNS1_3genE5ELNS1_11target_archE942ELNS1_3gpuE9ELNS1_3repE0EEENS1_38merge_mergepath_config_static_selectorELNS0_4arch9wavefront6targetE0EEEvSM_,comdat
.Lfunc_end1622:
	.size	_ZN7rocprim17ROCPRIM_400000_NS6detail17trampoline_kernelINS0_14default_configENS1_38merge_sort_block_merge_config_selectorIlNS0_10empty_typeEEEZZNS1_27merge_sort_block_merge_implIS3_PlPS5_mZN2at6native12_GLOBAL__N_124unique_dim_cuda_templateImEESt5tupleIJNSA_6TensorESF_SF_EERKSF_lbbbEUlllE_EE10hipError_tT0_T1_T2_jT3_P12ihipStream_tbPNSt15iterator_traitsISL_E10value_typeEPNSR_ISM_E10value_typeEPSN_NS1_7vsmem_tEENKUlT_SL_SM_SN_E_clIS8_S8_S9_S9_EESK_S10_SL_SM_SN_EUlS10_E0_NS1_11comp_targetILNS1_3genE5ELNS1_11target_archE942ELNS1_3gpuE9ELNS1_3repE0EEENS1_38merge_mergepath_config_static_selectorELNS0_4arch9wavefront6targetE0EEEvSM_, .Lfunc_end1622-_ZN7rocprim17ROCPRIM_400000_NS6detail17trampoline_kernelINS0_14default_configENS1_38merge_sort_block_merge_config_selectorIlNS0_10empty_typeEEEZZNS1_27merge_sort_block_merge_implIS3_PlPS5_mZN2at6native12_GLOBAL__N_124unique_dim_cuda_templateImEESt5tupleIJNSA_6TensorESF_SF_EERKSF_lbbbEUlllE_EE10hipError_tT0_T1_T2_jT3_P12ihipStream_tbPNSt15iterator_traitsISL_E10value_typeEPNSR_ISM_E10value_typeEPSN_NS1_7vsmem_tEENKUlT_SL_SM_SN_E_clIS8_S8_S9_S9_EESK_S10_SL_SM_SN_EUlS10_E0_NS1_11comp_targetILNS1_3genE5ELNS1_11target_archE942ELNS1_3gpuE9ELNS1_3repE0EEENS1_38merge_mergepath_config_static_selectorELNS0_4arch9wavefront6targetE0EEEvSM_
                                        ; -- End function
	.section	.AMDGPU.csdata,"",@progbits
; Kernel info:
; codeLenInByte = 0
; NumSgprs: 0
; NumVgprs: 0
; ScratchSize: 0
; MemoryBound: 0
; FloatMode: 240
; IeeeMode: 1
; LDSByteSize: 0 bytes/workgroup (compile time only)
; SGPRBlocks: 0
; VGPRBlocks: 0
; NumSGPRsForWavesPerEU: 1
; NumVGPRsForWavesPerEU: 1
; Occupancy: 16
; WaveLimiterHint : 0
; COMPUTE_PGM_RSRC2:SCRATCH_EN: 0
; COMPUTE_PGM_RSRC2:USER_SGPR: 15
; COMPUTE_PGM_RSRC2:TRAP_HANDLER: 0
; COMPUTE_PGM_RSRC2:TGID_X_EN: 1
; COMPUTE_PGM_RSRC2:TGID_Y_EN: 0
; COMPUTE_PGM_RSRC2:TGID_Z_EN: 0
; COMPUTE_PGM_RSRC2:TIDIG_COMP_CNT: 0
	.section	.text._ZN7rocprim17ROCPRIM_400000_NS6detail17trampoline_kernelINS0_14default_configENS1_38merge_sort_block_merge_config_selectorIlNS0_10empty_typeEEEZZNS1_27merge_sort_block_merge_implIS3_PlPS5_mZN2at6native12_GLOBAL__N_124unique_dim_cuda_templateImEESt5tupleIJNSA_6TensorESF_SF_EERKSF_lbbbEUlllE_EE10hipError_tT0_T1_T2_jT3_P12ihipStream_tbPNSt15iterator_traitsISL_E10value_typeEPNSR_ISM_E10value_typeEPSN_NS1_7vsmem_tEENKUlT_SL_SM_SN_E_clIS8_S8_S9_S9_EESK_S10_SL_SM_SN_EUlS10_E0_NS1_11comp_targetILNS1_3genE4ELNS1_11target_archE910ELNS1_3gpuE8ELNS1_3repE0EEENS1_38merge_mergepath_config_static_selectorELNS0_4arch9wavefront6targetE0EEEvSM_,"axG",@progbits,_ZN7rocprim17ROCPRIM_400000_NS6detail17trampoline_kernelINS0_14default_configENS1_38merge_sort_block_merge_config_selectorIlNS0_10empty_typeEEEZZNS1_27merge_sort_block_merge_implIS3_PlPS5_mZN2at6native12_GLOBAL__N_124unique_dim_cuda_templateImEESt5tupleIJNSA_6TensorESF_SF_EERKSF_lbbbEUlllE_EE10hipError_tT0_T1_T2_jT3_P12ihipStream_tbPNSt15iterator_traitsISL_E10value_typeEPNSR_ISM_E10value_typeEPSN_NS1_7vsmem_tEENKUlT_SL_SM_SN_E_clIS8_S8_S9_S9_EESK_S10_SL_SM_SN_EUlS10_E0_NS1_11comp_targetILNS1_3genE4ELNS1_11target_archE910ELNS1_3gpuE8ELNS1_3repE0EEENS1_38merge_mergepath_config_static_selectorELNS0_4arch9wavefront6targetE0EEEvSM_,comdat
	.globl	_ZN7rocprim17ROCPRIM_400000_NS6detail17trampoline_kernelINS0_14default_configENS1_38merge_sort_block_merge_config_selectorIlNS0_10empty_typeEEEZZNS1_27merge_sort_block_merge_implIS3_PlPS5_mZN2at6native12_GLOBAL__N_124unique_dim_cuda_templateImEESt5tupleIJNSA_6TensorESF_SF_EERKSF_lbbbEUlllE_EE10hipError_tT0_T1_T2_jT3_P12ihipStream_tbPNSt15iterator_traitsISL_E10value_typeEPNSR_ISM_E10value_typeEPSN_NS1_7vsmem_tEENKUlT_SL_SM_SN_E_clIS8_S8_S9_S9_EESK_S10_SL_SM_SN_EUlS10_E0_NS1_11comp_targetILNS1_3genE4ELNS1_11target_archE910ELNS1_3gpuE8ELNS1_3repE0EEENS1_38merge_mergepath_config_static_selectorELNS0_4arch9wavefront6targetE0EEEvSM_ ; -- Begin function _ZN7rocprim17ROCPRIM_400000_NS6detail17trampoline_kernelINS0_14default_configENS1_38merge_sort_block_merge_config_selectorIlNS0_10empty_typeEEEZZNS1_27merge_sort_block_merge_implIS3_PlPS5_mZN2at6native12_GLOBAL__N_124unique_dim_cuda_templateImEESt5tupleIJNSA_6TensorESF_SF_EERKSF_lbbbEUlllE_EE10hipError_tT0_T1_T2_jT3_P12ihipStream_tbPNSt15iterator_traitsISL_E10value_typeEPNSR_ISM_E10value_typeEPSN_NS1_7vsmem_tEENKUlT_SL_SM_SN_E_clIS8_S8_S9_S9_EESK_S10_SL_SM_SN_EUlS10_E0_NS1_11comp_targetILNS1_3genE4ELNS1_11target_archE910ELNS1_3gpuE8ELNS1_3repE0EEENS1_38merge_mergepath_config_static_selectorELNS0_4arch9wavefront6targetE0EEEvSM_
	.p2align	8
	.type	_ZN7rocprim17ROCPRIM_400000_NS6detail17trampoline_kernelINS0_14default_configENS1_38merge_sort_block_merge_config_selectorIlNS0_10empty_typeEEEZZNS1_27merge_sort_block_merge_implIS3_PlPS5_mZN2at6native12_GLOBAL__N_124unique_dim_cuda_templateImEESt5tupleIJNSA_6TensorESF_SF_EERKSF_lbbbEUlllE_EE10hipError_tT0_T1_T2_jT3_P12ihipStream_tbPNSt15iterator_traitsISL_E10value_typeEPNSR_ISM_E10value_typeEPSN_NS1_7vsmem_tEENKUlT_SL_SM_SN_E_clIS8_S8_S9_S9_EESK_S10_SL_SM_SN_EUlS10_E0_NS1_11comp_targetILNS1_3genE4ELNS1_11target_archE910ELNS1_3gpuE8ELNS1_3repE0EEENS1_38merge_mergepath_config_static_selectorELNS0_4arch9wavefront6targetE0EEEvSM_,@function
_ZN7rocprim17ROCPRIM_400000_NS6detail17trampoline_kernelINS0_14default_configENS1_38merge_sort_block_merge_config_selectorIlNS0_10empty_typeEEEZZNS1_27merge_sort_block_merge_implIS3_PlPS5_mZN2at6native12_GLOBAL__N_124unique_dim_cuda_templateImEESt5tupleIJNSA_6TensorESF_SF_EERKSF_lbbbEUlllE_EE10hipError_tT0_T1_T2_jT3_P12ihipStream_tbPNSt15iterator_traitsISL_E10value_typeEPNSR_ISM_E10value_typeEPSN_NS1_7vsmem_tEENKUlT_SL_SM_SN_E_clIS8_S8_S9_S9_EESK_S10_SL_SM_SN_EUlS10_E0_NS1_11comp_targetILNS1_3genE4ELNS1_11target_archE910ELNS1_3gpuE8ELNS1_3repE0EEENS1_38merge_mergepath_config_static_selectorELNS0_4arch9wavefront6targetE0EEEvSM_: ; @_ZN7rocprim17ROCPRIM_400000_NS6detail17trampoline_kernelINS0_14default_configENS1_38merge_sort_block_merge_config_selectorIlNS0_10empty_typeEEEZZNS1_27merge_sort_block_merge_implIS3_PlPS5_mZN2at6native12_GLOBAL__N_124unique_dim_cuda_templateImEESt5tupleIJNSA_6TensorESF_SF_EERKSF_lbbbEUlllE_EE10hipError_tT0_T1_T2_jT3_P12ihipStream_tbPNSt15iterator_traitsISL_E10value_typeEPNSR_ISM_E10value_typeEPSN_NS1_7vsmem_tEENKUlT_SL_SM_SN_E_clIS8_S8_S9_S9_EESK_S10_SL_SM_SN_EUlS10_E0_NS1_11comp_targetILNS1_3genE4ELNS1_11target_archE910ELNS1_3gpuE8ELNS1_3repE0EEENS1_38merge_mergepath_config_static_selectorELNS0_4arch9wavefront6targetE0EEEvSM_
; %bb.0:
	.section	.rodata,"a",@progbits
	.p2align	6, 0x0
	.amdhsa_kernel _ZN7rocprim17ROCPRIM_400000_NS6detail17trampoline_kernelINS0_14default_configENS1_38merge_sort_block_merge_config_selectorIlNS0_10empty_typeEEEZZNS1_27merge_sort_block_merge_implIS3_PlPS5_mZN2at6native12_GLOBAL__N_124unique_dim_cuda_templateImEESt5tupleIJNSA_6TensorESF_SF_EERKSF_lbbbEUlllE_EE10hipError_tT0_T1_T2_jT3_P12ihipStream_tbPNSt15iterator_traitsISL_E10value_typeEPNSR_ISM_E10value_typeEPSN_NS1_7vsmem_tEENKUlT_SL_SM_SN_E_clIS8_S8_S9_S9_EESK_S10_SL_SM_SN_EUlS10_E0_NS1_11comp_targetILNS1_3genE4ELNS1_11target_archE910ELNS1_3gpuE8ELNS1_3repE0EEENS1_38merge_mergepath_config_static_selectorELNS0_4arch9wavefront6targetE0EEEvSM_
		.amdhsa_group_segment_fixed_size 0
		.amdhsa_private_segment_fixed_size 0
		.amdhsa_kernarg_size 88
		.amdhsa_user_sgpr_count 15
		.amdhsa_user_sgpr_dispatch_ptr 0
		.amdhsa_user_sgpr_queue_ptr 0
		.amdhsa_user_sgpr_kernarg_segment_ptr 1
		.amdhsa_user_sgpr_dispatch_id 0
		.amdhsa_user_sgpr_private_segment_size 0
		.amdhsa_wavefront_size32 1
		.amdhsa_uses_dynamic_stack 0
		.amdhsa_enable_private_segment 0
		.amdhsa_system_sgpr_workgroup_id_x 1
		.amdhsa_system_sgpr_workgroup_id_y 0
		.amdhsa_system_sgpr_workgroup_id_z 0
		.amdhsa_system_sgpr_workgroup_info 0
		.amdhsa_system_vgpr_workitem_id 0
		.amdhsa_next_free_vgpr 1
		.amdhsa_next_free_sgpr 1
		.amdhsa_reserve_vcc 0
		.amdhsa_float_round_mode_32 0
		.amdhsa_float_round_mode_16_64 0
		.amdhsa_float_denorm_mode_32 3
		.amdhsa_float_denorm_mode_16_64 3
		.amdhsa_dx10_clamp 1
		.amdhsa_ieee_mode 1
		.amdhsa_fp16_overflow 0
		.amdhsa_workgroup_processor_mode 1
		.amdhsa_memory_ordered 1
		.amdhsa_forward_progress 0
		.amdhsa_shared_vgpr_count 0
		.amdhsa_exception_fp_ieee_invalid_op 0
		.amdhsa_exception_fp_denorm_src 0
		.amdhsa_exception_fp_ieee_div_zero 0
		.amdhsa_exception_fp_ieee_overflow 0
		.amdhsa_exception_fp_ieee_underflow 0
		.amdhsa_exception_fp_ieee_inexact 0
		.amdhsa_exception_int_div_zero 0
	.end_amdhsa_kernel
	.section	.text._ZN7rocprim17ROCPRIM_400000_NS6detail17trampoline_kernelINS0_14default_configENS1_38merge_sort_block_merge_config_selectorIlNS0_10empty_typeEEEZZNS1_27merge_sort_block_merge_implIS3_PlPS5_mZN2at6native12_GLOBAL__N_124unique_dim_cuda_templateImEESt5tupleIJNSA_6TensorESF_SF_EERKSF_lbbbEUlllE_EE10hipError_tT0_T1_T2_jT3_P12ihipStream_tbPNSt15iterator_traitsISL_E10value_typeEPNSR_ISM_E10value_typeEPSN_NS1_7vsmem_tEENKUlT_SL_SM_SN_E_clIS8_S8_S9_S9_EESK_S10_SL_SM_SN_EUlS10_E0_NS1_11comp_targetILNS1_3genE4ELNS1_11target_archE910ELNS1_3gpuE8ELNS1_3repE0EEENS1_38merge_mergepath_config_static_selectorELNS0_4arch9wavefront6targetE0EEEvSM_,"axG",@progbits,_ZN7rocprim17ROCPRIM_400000_NS6detail17trampoline_kernelINS0_14default_configENS1_38merge_sort_block_merge_config_selectorIlNS0_10empty_typeEEEZZNS1_27merge_sort_block_merge_implIS3_PlPS5_mZN2at6native12_GLOBAL__N_124unique_dim_cuda_templateImEESt5tupleIJNSA_6TensorESF_SF_EERKSF_lbbbEUlllE_EE10hipError_tT0_T1_T2_jT3_P12ihipStream_tbPNSt15iterator_traitsISL_E10value_typeEPNSR_ISM_E10value_typeEPSN_NS1_7vsmem_tEENKUlT_SL_SM_SN_E_clIS8_S8_S9_S9_EESK_S10_SL_SM_SN_EUlS10_E0_NS1_11comp_targetILNS1_3genE4ELNS1_11target_archE910ELNS1_3gpuE8ELNS1_3repE0EEENS1_38merge_mergepath_config_static_selectorELNS0_4arch9wavefront6targetE0EEEvSM_,comdat
.Lfunc_end1623:
	.size	_ZN7rocprim17ROCPRIM_400000_NS6detail17trampoline_kernelINS0_14default_configENS1_38merge_sort_block_merge_config_selectorIlNS0_10empty_typeEEEZZNS1_27merge_sort_block_merge_implIS3_PlPS5_mZN2at6native12_GLOBAL__N_124unique_dim_cuda_templateImEESt5tupleIJNSA_6TensorESF_SF_EERKSF_lbbbEUlllE_EE10hipError_tT0_T1_T2_jT3_P12ihipStream_tbPNSt15iterator_traitsISL_E10value_typeEPNSR_ISM_E10value_typeEPSN_NS1_7vsmem_tEENKUlT_SL_SM_SN_E_clIS8_S8_S9_S9_EESK_S10_SL_SM_SN_EUlS10_E0_NS1_11comp_targetILNS1_3genE4ELNS1_11target_archE910ELNS1_3gpuE8ELNS1_3repE0EEENS1_38merge_mergepath_config_static_selectorELNS0_4arch9wavefront6targetE0EEEvSM_, .Lfunc_end1623-_ZN7rocprim17ROCPRIM_400000_NS6detail17trampoline_kernelINS0_14default_configENS1_38merge_sort_block_merge_config_selectorIlNS0_10empty_typeEEEZZNS1_27merge_sort_block_merge_implIS3_PlPS5_mZN2at6native12_GLOBAL__N_124unique_dim_cuda_templateImEESt5tupleIJNSA_6TensorESF_SF_EERKSF_lbbbEUlllE_EE10hipError_tT0_T1_T2_jT3_P12ihipStream_tbPNSt15iterator_traitsISL_E10value_typeEPNSR_ISM_E10value_typeEPSN_NS1_7vsmem_tEENKUlT_SL_SM_SN_E_clIS8_S8_S9_S9_EESK_S10_SL_SM_SN_EUlS10_E0_NS1_11comp_targetILNS1_3genE4ELNS1_11target_archE910ELNS1_3gpuE8ELNS1_3repE0EEENS1_38merge_mergepath_config_static_selectorELNS0_4arch9wavefront6targetE0EEEvSM_
                                        ; -- End function
	.section	.AMDGPU.csdata,"",@progbits
; Kernel info:
; codeLenInByte = 0
; NumSgprs: 0
; NumVgprs: 0
; ScratchSize: 0
; MemoryBound: 0
; FloatMode: 240
; IeeeMode: 1
; LDSByteSize: 0 bytes/workgroup (compile time only)
; SGPRBlocks: 0
; VGPRBlocks: 0
; NumSGPRsForWavesPerEU: 1
; NumVGPRsForWavesPerEU: 1
; Occupancy: 16
; WaveLimiterHint : 0
; COMPUTE_PGM_RSRC2:SCRATCH_EN: 0
; COMPUTE_PGM_RSRC2:USER_SGPR: 15
; COMPUTE_PGM_RSRC2:TRAP_HANDLER: 0
; COMPUTE_PGM_RSRC2:TGID_X_EN: 1
; COMPUTE_PGM_RSRC2:TGID_Y_EN: 0
; COMPUTE_PGM_RSRC2:TGID_Z_EN: 0
; COMPUTE_PGM_RSRC2:TIDIG_COMP_CNT: 0
	.section	.text._ZN7rocprim17ROCPRIM_400000_NS6detail17trampoline_kernelINS0_14default_configENS1_38merge_sort_block_merge_config_selectorIlNS0_10empty_typeEEEZZNS1_27merge_sort_block_merge_implIS3_PlPS5_mZN2at6native12_GLOBAL__N_124unique_dim_cuda_templateImEESt5tupleIJNSA_6TensorESF_SF_EERKSF_lbbbEUlllE_EE10hipError_tT0_T1_T2_jT3_P12ihipStream_tbPNSt15iterator_traitsISL_E10value_typeEPNSR_ISM_E10value_typeEPSN_NS1_7vsmem_tEENKUlT_SL_SM_SN_E_clIS8_S8_S9_S9_EESK_S10_SL_SM_SN_EUlS10_E0_NS1_11comp_targetILNS1_3genE3ELNS1_11target_archE908ELNS1_3gpuE7ELNS1_3repE0EEENS1_38merge_mergepath_config_static_selectorELNS0_4arch9wavefront6targetE0EEEvSM_,"axG",@progbits,_ZN7rocprim17ROCPRIM_400000_NS6detail17trampoline_kernelINS0_14default_configENS1_38merge_sort_block_merge_config_selectorIlNS0_10empty_typeEEEZZNS1_27merge_sort_block_merge_implIS3_PlPS5_mZN2at6native12_GLOBAL__N_124unique_dim_cuda_templateImEESt5tupleIJNSA_6TensorESF_SF_EERKSF_lbbbEUlllE_EE10hipError_tT0_T1_T2_jT3_P12ihipStream_tbPNSt15iterator_traitsISL_E10value_typeEPNSR_ISM_E10value_typeEPSN_NS1_7vsmem_tEENKUlT_SL_SM_SN_E_clIS8_S8_S9_S9_EESK_S10_SL_SM_SN_EUlS10_E0_NS1_11comp_targetILNS1_3genE3ELNS1_11target_archE908ELNS1_3gpuE7ELNS1_3repE0EEENS1_38merge_mergepath_config_static_selectorELNS0_4arch9wavefront6targetE0EEEvSM_,comdat
	.globl	_ZN7rocprim17ROCPRIM_400000_NS6detail17trampoline_kernelINS0_14default_configENS1_38merge_sort_block_merge_config_selectorIlNS0_10empty_typeEEEZZNS1_27merge_sort_block_merge_implIS3_PlPS5_mZN2at6native12_GLOBAL__N_124unique_dim_cuda_templateImEESt5tupleIJNSA_6TensorESF_SF_EERKSF_lbbbEUlllE_EE10hipError_tT0_T1_T2_jT3_P12ihipStream_tbPNSt15iterator_traitsISL_E10value_typeEPNSR_ISM_E10value_typeEPSN_NS1_7vsmem_tEENKUlT_SL_SM_SN_E_clIS8_S8_S9_S9_EESK_S10_SL_SM_SN_EUlS10_E0_NS1_11comp_targetILNS1_3genE3ELNS1_11target_archE908ELNS1_3gpuE7ELNS1_3repE0EEENS1_38merge_mergepath_config_static_selectorELNS0_4arch9wavefront6targetE0EEEvSM_ ; -- Begin function _ZN7rocprim17ROCPRIM_400000_NS6detail17trampoline_kernelINS0_14default_configENS1_38merge_sort_block_merge_config_selectorIlNS0_10empty_typeEEEZZNS1_27merge_sort_block_merge_implIS3_PlPS5_mZN2at6native12_GLOBAL__N_124unique_dim_cuda_templateImEESt5tupleIJNSA_6TensorESF_SF_EERKSF_lbbbEUlllE_EE10hipError_tT0_T1_T2_jT3_P12ihipStream_tbPNSt15iterator_traitsISL_E10value_typeEPNSR_ISM_E10value_typeEPSN_NS1_7vsmem_tEENKUlT_SL_SM_SN_E_clIS8_S8_S9_S9_EESK_S10_SL_SM_SN_EUlS10_E0_NS1_11comp_targetILNS1_3genE3ELNS1_11target_archE908ELNS1_3gpuE7ELNS1_3repE0EEENS1_38merge_mergepath_config_static_selectorELNS0_4arch9wavefront6targetE0EEEvSM_
	.p2align	8
	.type	_ZN7rocprim17ROCPRIM_400000_NS6detail17trampoline_kernelINS0_14default_configENS1_38merge_sort_block_merge_config_selectorIlNS0_10empty_typeEEEZZNS1_27merge_sort_block_merge_implIS3_PlPS5_mZN2at6native12_GLOBAL__N_124unique_dim_cuda_templateImEESt5tupleIJNSA_6TensorESF_SF_EERKSF_lbbbEUlllE_EE10hipError_tT0_T1_T2_jT3_P12ihipStream_tbPNSt15iterator_traitsISL_E10value_typeEPNSR_ISM_E10value_typeEPSN_NS1_7vsmem_tEENKUlT_SL_SM_SN_E_clIS8_S8_S9_S9_EESK_S10_SL_SM_SN_EUlS10_E0_NS1_11comp_targetILNS1_3genE3ELNS1_11target_archE908ELNS1_3gpuE7ELNS1_3repE0EEENS1_38merge_mergepath_config_static_selectorELNS0_4arch9wavefront6targetE0EEEvSM_,@function
_ZN7rocprim17ROCPRIM_400000_NS6detail17trampoline_kernelINS0_14default_configENS1_38merge_sort_block_merge_config_selectorIlNS0_10empty_typeEEEZZNS1_27merge_sort_block_merge_implIS3_PlPS5_mZN2at6native12_GLOBAL__N_124unique_dim_cuda_templateImEESt5tupleIJNSA_6TensorESF_SF_EERKSF_lbbbEUlllE_EE10hipError_tT0_T1_T2_jT3_P12ihipStream_tbPNSt15iterator_traitsISL_E10value_typeEPNSR_ISM_E10value_typeEPSN_NS1_7vsmem_tEENKUlT_SL_SM_SN_E_clIS8_S8_S9_S9_EESK_S10_SL_SM_SN_EUlS10_E0_NS1_11comp_targetILNS1_3genE3ELNS1_11target_archE908ELNS1_3gpuE7ELNS1_3repE0EEENS1_38merge_mergepath_config_static_selectorELNS0_4arch9wavefront6targetE0EEEvSM_: ; @_ZN7rocprim17ROCPRIM_400000_NS6detail17trampoline_kernelINS0_14default_configENS1_38merge_sort_block_merge_config_selectorIlNS0_10empty_typeEEEZZNS1_27merge_sort_block_merge_implIS3_PlPS5_mZN2at6native12_GLOBAL__N_124unique_dim_cuda_templateImEESt5tupleIJNSA_6TensorESF_SF_EERKSF_lbbbEUlllE_EE10hipError_tT0_T1_T2_jT3_P12ihipStream_tbPNSt15iterator_traitsISL_E10value_typeEPNSR_ISM_E10value_typeEPSN_NS1_7vsmem_tEENKUlT_SL_SM_SN_E_clIS8_S8_S9_S9_EESK_S10_SL_SM_SN_EUlS10_E0_NS1_11comp_targetILNS1_3genE3ELNS1_11target_archE908ELNS1_3gpuE7ELNS1_3repE0EEENS1_38merge_mergepath_config_static_selectorELNS0_4arch9wavefront6targetE0EEEvSM_
; %bb.0:
	.section	.rodata,"a",@progbits
	.p2align	6, 0x0
	.amdhsa_kernel _ZN7rocprim17ROCPRIM_400000_NS6detail17trampoline_kernelINS0_14default_configENS1_38merge_sort_block_merge_config_selectorIlNS0_10empty_typeEEEZZNS1_27merge_sort_block_merge_implIS3_PlPS5_mZN2at6native12_GLOBAL__N_124unique_dim_cuda_templateImEESt5tupleIJNSA_6TensorESF_SF_EERKSF_lbbbEUlllE_EE10hipError_tT0_T1_T2_jT3_P12ihipStream_tbPNSt15iterator_traitsISL_E10value_typeEPNSR_ISM_E10value_typeEPSN_NS1_7vsmem_tEENKUlT_SL_SM_SN_E_clIS8_S8_S9_S9_EESK_S10_SL_SM_SN_EUlS10_E0_NS1_11comp_targetILNS1_3genE3ELNS1_11target_archE908ELNS1_3gpuE7ELNS1_3repE0EEENS1_38merge_mergepath_config_static_selectorELNS0_4arch9wavefront6targetE0EEEvSM_
		.amdhsa_group_segment_fixed_size 0
		.amdhsa_private_segment_fixed_size 0
		.amdhsa_kernarg_size 88
		.amdhsa_user_sgpr_count 15
		.amdhsa_user_sgpr_dispatch_ptr 0
		.amdhsa_user_sgpr_queue_ptr 0
		.amdhsa_user_sgpr_kernarg_segment_ptr 1
		.amdhsa_user_sgpr_dispatch_id 0
		.amdhsa_user_sgpr_private_segment_size 0
		.amdhsa_wavefront_size32 1
		.amdhsa_uses_dynamic_stack 0
		.amdhsa_enable_private_segment 0
		.amdhsa_system_sgpr_workgroup_id_x 1
		.amdhsa_system_sgpr_workgroup_id_y 0
		.amdhsa_system_sgpr_workgroup_id_z 0
		.amdhsa_system_sgpr_workgroup_info 0
		.amdhsa_system_vgpr_workitem_id 0
		.amdhsa_next_free_vgpr 1
		.amdhsa_next_free_sgpr 1
		.amdhsa_reserve_vcc 0
		.amdhsa_float_round_mode_32 0
		.amdhsa_float_round_mode_16_64 0
		.amdhsa_float_denorm_mode_32 3
		.amdhsa_float_denorm_mode_16_64 3
		.amdhsa_dx10_clamp 1
		.amdhsa_ieee_mode 1
		.amdhsa_fp16_overflow 0
		.amdhsa_workgroup_processor_mode 1
		.amdhsa_memory_ordered 1
		.amdhsa_forward_progress 0
		.amdhsa_shared_vgpr_count 0
		.amdhsa_exception_fp_ieee_invalid_op 0
		.amdhsa_exception_fp_denorm_src 0
		.amdhsa_exception_fp_ieee_div_zero 0
		.amdhsa_exception_fp_ieee_overflow 0
		.amdhsa_exception_fp_ieee_underflow 0
		.amdhsa_exception_fp_ieee_inexact 0
		.amdhsa_exception_int_div_zero 0
	.end_amdhsa_kernel
	.section	.text._ZN7rocprim17ROCPRIM_400000_NS6detail17trampoline_kernelINS0_14default_configENS1_38merge_sort_block_merge_config_selectorIlNS0_10empty_typeEEEZZNS1_27merge_sort_block_merge_implIS3_PlPS5_mZN2at6native12_GLOBAL__N_124unique_dim_cuda_templateImEESt5tupleIJNSA_6TensorESF_SF_EERKSF_lbbbEUlllE_EE10hipError_tT0_T1_T2_jT3_P12ihipStream_tbPNSt15iterator_traitsISL_E10value_typeEPNSR_ISM_E10value_typeEPSN_NS1_7vsmem_tEENKUlT_SL_SM_SN_E_clIS8_S8_S9_S9_EESK_S10_SL_SM_SN_EUlS10_E0_NS1_11comp_targetILNS1_3genE3ELNS1_11target_archE908ELNS1_3gpuE7ELNS1_3repE0EEENS1_38merge_mergepath_config_static_selectorELNS0_4arch9wavefront6targetE0EEEvSM_,"axG",@progbits,_ZN7rocprim17ROCPRIM_400000_NS6detail17trampoline_kernelINS0_14default_configENS1_38merge_sort_block_merge_config_selectorIlNS0_10empty_typeEEEZZNS1_27merge_sort_block_merge_implIS3_PlPS5_mZN2at6native12_GLOBAL__N_124unique_dim_cuda_templateImEESt5tupleIJNSA_6TensorESF_SF_EERKSF_lbbbEUlllE_EE10hipError_tT0_T1_T2_jT3_P12ihipStream_tbPNSt15iterator_traitsISL_E10value_typeEPNSR_ISM_E10value_typeEPSN_NS1_7vsmem_tEENKUlT_SL_SM_SN_E_clIS8_S8_S9_S9_EESK_S10_SL_SM_SN_EUlS10_E0_NS1_11comp_targetILNS1_3genE3ELNS1_11target_archE908ELNS1_3gpuE7ELNS1_3repE0EEENS1_38merge_mergepath_config_static_selectorELNS0_4arch9wavefront6targetE0EEEvSM_,comdat
.Lfunc_end1624:
	.size	_ZN7rocprim17ROCPRIM_400000_NS6detail17trampoline_kernelINS0_14default_configENS1_38merge_sort_block_merge_config_selectorIlNS0_10empty_typeEEEZZNS1_27merge_sort_block_merge_implIS3_PlPS5_mZN2at6native12_GLOBAL__N_124unique_dim_cuda_templateImEESt5tupleIJNSA_6TensorESF_SF_EERKSF_lbbbEUlllE_EE10hipError_tT0_T1_T2_jT3_P12ihipStream_tbPNSt15iterator_traitsISL_E10value_typeEPNSR_ISM_E10value_typeEPSN_NS1_7vsmem_tEENKUlT_SL_SM_SN_E_clIS8_S8_S9_S9_EESK_S10_SL_SM_SN_EUlS10_E0_NS1_11comp_targetILNS1_3genE3ELNS1_11target_archE908ELNS1_3gpuE7ELNS1_3repE0EEENS1_38merge_mergepath_config_static_selectorELNS0_4arch9wavefront6targetE0EEEvSM_, .Lfunc_end1624-_ZN7rocprim17ROCPRIM_400000_NS6detail17trampoline_kernelINS0_14default_configENS1_38merge_sort_block_merge_config_selectorIlNS0_10empty_typeEEEZZNS1_27merge_sort_block_merge_implIS3_PlPS5_mZN2at6native12_GLOBAL__N_124unique_dim_cuda_templateImEESt5tupleIJNSA_6TensorESF_SF_EERKSF_lbbbEUlllE_EE10hipError_tT0_T1_T2_jT3_P12ihipStream_tbPNSt15iterator_traitsISL_E10value_typeEPNSR_ISM_E10value_typeEPSN_NS1_7vsmem_tEENKUlT_SL_SM_SN_E_clIS8_S8_S9_S9_EESK_S10_SL_SM_SN_EUlS10_E0_NS1_11comp_targetILNS1_3genE3ELNS1_11target_archE908ELNS1_3gpuE7ELNS1_3repE0EEENS1_38merge_mergepath_config_static_selectorELNS0_4arch9wavefront6targetE0EEEvSM_
                                        ; -- End function
	.section	.AMDGPU.csdata,"",@progbits
; Kernel info:
; codeLenInByte = 0
; NumSgprs: 0
; NumVgprs: 0
; ScratchSize: 0
; MemoryBound: 0
; FloatMode: 240
; IeeeMode: 1
; LDSByteSize: 0 bytes/workgroup (compile time only)
; SGPRBlocks: 0
; VGPRBlocks: 0
; NumSGPRsForWavesPerEU: 1
; NumVGPRsForWavesPerEU: 1
; Occupancy: 16
; WaveLimiterHint : 0
; COMPUTE_PGM_RSRC2:SCRATCH_EN: 0
; COMPUTE_PGM_RSRC2:USER_SGPR: 15
; COMPUTE_PGM_RSRC2:TRAP_HANDLER: 0
; COMPUTE_PGM_RSRC2:TGID_X_EN: 1
; COMPUTE_PGM_RSRC2:TGID_Y_EN: 0
; COMPUTE_PGM_RSRC2:TGID_Z_EN: 0
; COMPUTE_PGM_RSRC2:TIDIG_COMP_CNT: 0
	.section	.text._ZN7rocprim17ROCPRIM_400000_NS6detail17trampoline_kernelINS0_14default_configENS1_38merge_sort_block_merge_config_selectorIlNS0_10empty_typeEEEZZNS1_27merge_sort_block_merge_implIS3_PlPS5_mZN2at6native12_GLOBAL__N_124unique_dim_cuda_templateImEESt5tupleIJNSA_6TensorESF_SF_EERKSF_lbbbEUlllE_EE10hipError_tT0_T1_T2_jT3_P12ihipStream_tbPNSt15iterator_traitsISL_E10value_typeEPNSR_ISM_E10value_typeEPSN_NS1_7vsmem_tEENKUlT_SL_SM_SN_E_clIS8_S8_S9_S9_EESK_S10_SL_SM_SN_EUlS10_E0_NS1_11comp_targetILNS1_3genE2ELNS1_11target_archE906ELNS1_3gpuE6ELNS1_3repE0EEENS1_38merge_mergepath_config_static_selectorELNS0_4arch9wavefront6targetE0EEEvSM_,"axG",@progbits,_ZN7rocprim17ROCPRIM_400000_NS6detail17trampoline_kernelINS0_14default_configENS1_38merge_sort_block_merge_config_selectorIlNS0_10empty_typeEEEZZNS1_27merge_sort_block_merge_implIS3_PlPS5_mZN2at6native12_GLOBAL__N_124unique_dim_cuda_templateImEESt5tupleIJNSA_6TensorESF_SF_EERKSF_lbbbEUlllE_EE10hipError_tT0_T1_T2_jT3_P12ihipStream_tbPNSt15iterator_traitsISL_E10value_typeEPNSR_ISM_E10value_typeEPSN_NS1_7vsmem_tEENKUlT_SL_SM_SN_E_clIS8_S8_S9_S9_EESK_S10_SL_SM_SN_EUlS10_E0_NS1_11comp_targetILNS1_3genE2ELNS1_11target_archE906ELNS1_3gpuE6ELNS1_3repE0EEENS1_38merge_mergepath_config_static_selectorELNS0_4arch9wavefront6targetE0EEEvSM_,comdat
	.globl	_ZN7rocprim17ROCPRIM_400000_NS6detail17trampoline_kernelINS0_14default_configENS1_38merge_sort_block_merge_config_selectorIlNS0_10empty_typeEEEZZNS1_27merge_sort_block_merge_implIS3_PlPS5_mZN2at6native12_GLOBAL__N_124unique_dim_cuda_templateImEESt5tupleIJNSA_6TensorESF_SF_EERKSF_lbbbEUlllE_EE10hipError_tT0_T1_T2_jT3_P12ihipStream_tbPNSt15iterator_traitsISL_E10value_typeEPNSR_ISM_E10value_typeEPSN_NS1_7vsmem_tEENKUlT_SL_SM_SN_E_clIS8_S8_S9_S9_EESK_S10_SL_SM_SN_EUlS10_E0_NS1_11comp_targetILNS1_3genE2ELNS1_11target_archE906ELNS1_3gpuE6ELNS1_3repE0EEENS1_38merge_mergepath_config_static_selectorELNS0_4arch9wavefront6targetE0EEEvSM_ ; -- Begin function _ZN7rocprim17ROCPRIM_400000_NS6detail17trampoline_kernelINS0_14default_configENS1_38merge_sort_block_merge_config_selectorIlNS0_10empty_typeEEEZZNS1_27merge_sort_block_merge_implIS3_PlPS5_mZN2at6native12_GLOBAL__N_124unique_dim_cuda_templateImEESt5tupleIJNSA_6TensorESF_SF_EERKSF_lbbbEUlllE_EE10hipError_tT0_T1_T2_jT3_P12ihipStream_tbPNSt15iterator_traitsISL_E10value_typeEPNSR_ISM_E10value_typeEPSN_NS1_7vsmem_tEENKUlT_SL_SM_SN_E_clIS8_S8_S9_S9_EESK_S10_SL_SM_SN_EUlS10_E0_NS1_11comp_targetILNS1_3genE2ELNS1_11target_archE906ELNS1_3gpuE6ELNS1_3repE0EEENS1_38merge_mergepath_config_static_selectorELNS0_4arch9wavefront6targetE0EEEvSM_
	.p2align	8
	.type	_ZN7rocprim17ROCPRIM_400000_NS6detail17trampoline_kernelINS0_14default_configENS1_38merge_sort_block_merge_config_selectorIlNS0_10empty_typeEEEZZNS1_27merge_sort_block_merge_implIS3_PlPS5_mZN2at6native12_GLOBAL__N_124unique_dim_cuda_templateImEESt5tupleIJNSA_6TensorESF_SF_EERKSF_lbbbEUlllE_EE10hipError_tT0_T1_T2_jT3_P12ihipStream_tbPNSt15iterator_traitsISL_E10value_typeEPNSR_ISM_E10value_typeEPSN_NS1_7vsmem_tEENKUlT_SL_SM_SN_E_clIS8_S8_S9_S9_EESK_S10_SL_SM_SN_EUlS10_E0_NS1_11comp_targetILNS1_3genE2ELNS1_11target_archE906ELNS1_3gpuE6ELNS1_3repE0EEENS1_38merge_mergepath_config_static_selectorELNS0_4arch9wavefront6targetE0EEEvSM_,@function
_ZN7rocprim17ROCPRIM_400000_NS6detail17trampoline_kernelINS0_14default_configENS1_38merge_sort_block_merge_config_selectorIlNS0_10empty_typeEEEZZNS1_27merge_sort_block_merge_implIS3_PlPS5_mZN2at6native12_GLOBAL__N_124unique_dim_cuda_templateImEESt5tupleIJNSA_6TensorESF_SF_EERKSF_lbbbEUlllE_EE10hipError_tT0_T1_T2_jT3_P12ihipStream_tbPNSt15iterator_traitsISL_E10value_typeEPNSR_ISM_E10value_typeEPSN_NS1_7vsmem_tEENKUlT_SL_SM_SN_E_clIS8_S8_S9_S9_EESK_S10_SL_SM_SN_EUlS10_E0_NS1_11comp_targetILNS1_3genE2ELNS1_11target_archE906ELNS1_3gpuE6ELNS1_3repE0EEENS1_38merge_mergepath_config_static_selectorELNS0_4arch9wavefront6targetE0EEEvSM_: ; @_ZN7rocprim17ROCPRIM_400000_NS6detail17trampoline_kernelINS0_14default_configENS1_38merge_sort_block_merge_config_selectorIlNS0_10empty_typeEEEZZNS1_27merge_sort_block_merge_implIS3_PlPS5_mZN2at6native12_GLOBAL__N_124unique_dim_cuda_templateImEESt5tupleIJNSA_6TensorESF_SF_EERKSF_lbbbEUlllE_EE10hipError_tT0_T1_T2_jT3_P12ihipStream_tbPNSt15iterator_traitsISL_E10value_typeEPNSR_ISM_E10value_typeEPSN_NS1_7vsmem_tEENKUlT_SL_SM_SN_E_clIS8_S8_S9_S9_EESK_S10_SL_SM_SN_EUlS10_E0_NS1_11comp_targetILNS1_3genE2ELNS1_11target_archE906ELNS1_3gpuE6ELNS1_3repE0EEENS1_38merge_mergepath_config_static_selectorELNS0_4arch9wavefront6targetE0EEEvSM_
; %bb.0:
	.section	.rodata,"a",@progbits
	.p2align	6, 0x0
	.amdhsa_kernel _ZN7rocprim17ROCPRIM_400000_NS6detail17trampoline_kernelINS0_14default_configENS1_38merge_sort_block_merge_config_selectorIlNS0_10empty_typeEEEZZNS1_27merge_sort_block_merge_implIS3_PlPS5_mZN2at6native12_GLOBAL__N_124unique_dim_cuda_templateImEESt5tupleIJNSA_6TensorESF_SF_EERKSF_lbbbEUlllE_EE10hipError_tT0_T1_T2_jT3_P12ihipStream_tbPNSt15iterator_traitsISL_E10value_typeEPNSR_ISM_E10value_typeEPSN_NS1_7vsmem_tEENKUlT_SL_SM_SN_E_clIS8_S8_S9_S9_EESK_S10_SL_SM_SN_EUlS10_E0_NS1_11comp_targetILNS1_3genE2ELNS1_11target_archE906ELNS1_3gpuE6ELNS1_3repE0EEENS1_38merge_mergepath_config_static_selectorELNS0_4arch9wavefront6targetE0EEEvSM_
		.amdhsa_group_segment_fixed_size 0
		.amdhsa_private_segment_fixed_size 0
		.amdhsa_kernarg_size 88
		.amdhsa_user_sgpr_count 15
		.amdhsa_user_sgpr_dispatch_ptr 0
		.amdhsa_user_sgpr_queue_ptr 0
		.amdhsa_user_sgpr_kernarg_segment_ptr 1
		.amdhsa_user_sgpr_dispatch_id 0
		.amdhsa_user_sgpr_private_segment_size 0
		.amdhsa_wavefront_size32 1
		.amdhsa_uses_dynamic_stack 0
		.amdhsa_enable_private_segment 0
		.amdhsa_system_sgpr_workgroup_id_x 1
		.amdhsa_system_sgpr_workgroup_id_y 0
		.amdhsa_system_sgpr_workgroup_id_z 0
		.amdhsa_system_sgpr_workgroup_info 0
		.amdhsa_system_vgpr_workitem_id 0
		.amdhsa_next_free_vgpr 1
		.amdhsa_next_free_sgpr 1
		.amdhsa_reserve_vcc 0
		.amdhsa_float_round_mode_32 0
		.amdhsa_float_round_mode_16_64 0
		.amdhsa_float_denorm_mode_32 3
		.amdhsa_float_denorm_mode_16_64 3
		.amdhsa_dx10_clamp 1
		.amdhsa_ieee_mode 1
		.amdhsa_fp16_overflow 0
		.amdhsa_workgroup_processor_mode 1
		.amdhsa_memory_ordered 1
		.amdhsa_forward_progress 0
		.amdhsa_shared_vgpr_count 0
		.amdhsa_exception_fp_ieee_invalid_op 0
		.amdhsa_exception_fp_denorm_src 0
		.amdhsa_exception_fp_ieee_div_zero 0
		.amdhsa_exception_fp_ieee_overflow 0
		.amdhsa_exception_fp_ieee_underflow 0
		.amdhsa_exception_fp_ieee_inexact 0
		.amdhsa_exception_int_div_zero 0
	.end_amdhsa_kernel
	.section	.text._ZN7rocprim17ROCPRIM_400000_NS6detail17trampoline_kernelINS0_14default_configENS1_38merge_sort_block_merge_config_selectorIlNS0_10empty_typeEEEZZNS1_27merge_sort_block_merge_implIS3_PlPS5_mZN2at6native12_GLOBAL__N_124unique_dim_cuda_templateImEESt5tupleIJNSA_6TensorESF_SF_EERKSF_lbbbEUlllE_EE10hipError_tT0_T1_T2_jT3_P12ihipStream_tbPNSt15iterator_traitsISL_E10value_typeEPNSR_ISM_E10value_typeEPSN_NS1_7vsmem_tEENKUlT_SL_SM_SN_E_clIS8_S8_S9_S9_EESK_S10_SL_SM_SN_EUlS10_E0_NS1_11comp_targetILNS1_3genE2ELNS1_11target_archE906ELNS1_3gpuE6ELNS1_3repE0EEENS1_38merge_mergepath_config_static_selectorELNS0_4arch9wavefront6targetE0EEEvSM_,"axG",@progbits,_ZN7rocprim17ROCPRIM_400000_NS6detail17trampoline_kernelINS0_14default_configENS1_38merge_sort_block_merge_config_selectorIlNS0_10empty_typeEEEZZNS1_27merge_sort_block_merge_implIS3_PlPS5_mZN2at6native12_GLOBAL__N_124unique_dim_cuda_templateImEESt5tupleIJNSA_6TensorESF_SF_EERKSF_lbbbEUlllE_EE10hipError_tT0_T1_T2_jT3_P12ihipStream_tbPNSt15iterator_traitsISL_E10value_typeEPNSR_ISM_E10value_typeEPSN_NS1_7vsmem_tEENKUlT_SL_SM_SN_E_clIS8_S8_S9_S9_EESK_S10_SL_SM_SN_EUlS10_E0_NS1_11comp_targetILNS1_3genE2ELNS1_11target_archE906ELNS1_3gpuE6ELNS1_3repE0EEENS1_38merge_mergepath_config_static_selectorELNS0_4arch9wavefront6targetE0EEEvSM_,comdat
.Lfunc_end1625:
	.size	_ZN7rocprim17ROCPRIM_400000_NS6detail17trampoline_kernelINS0_14default_configENS1_38merge_sort_block_merge_config_selectorIlNS0_10empty_typeEEEZZNS1_27merge_sort_block_merge_implIS3_PlPS5_mZN2at6native12_GLOBAL__N_124unique_dim_cuda_templateImEESt5tupleIJNSA_6TensorESF_SF_EERKSF_lbbbEUlllE_EE10hipError_tT0_T1_T2_jT3_P12ihipStream_tbPNSt15iterator_traitsISL_E10value_typeEPNSR_ISM_E10value_typeEPSN_NS1_7vsmem_tEENKUlT_SL_SM_SN_E_clIS8_S8_S9_S9_EESK_S10_SL_SM_SN_EUlS10_E0_NS1_11comp_targetILNS1_3genE2ELNS1_11target_archE906ELNS1_3gpuE6ELNS1_3repE0EEENS1_38merge_mergepath_config_static_selectorELNS0_4arch9wavefront6targetE0EEEvSM_, .Lfunc_end1625-_ZN7rocprim17ROCPRIM_400000_NS6detail17trampoline_kernelINS0_14default_configENS1_38merge_sort_block_merge_config_selectorIlNS0_10empty_typeEEEZZNS1_27merge_sort_block_merge_implIS3_PlPS5_mZN2at6native12_GLOBAL__N_124unique_dim_cuda_templateImEESt5tupleIJNSA_6TensorESF_SF_EERKSF_lbbbEUlllE_EE10hipError_tT0_T1_T2_jT3_P12ihipStream_tbPNSt15iterator_traitsISL_E10value_typeEPNSR_ISM_E10value_typeEPSN_NS1_7vsmem_tEENKUlT_SL_SM_SN_E_clIS8_S8_S9_S9_EESK_S10_SL_SM_SN_EUlS10_E0_NS1_11comp_targetILNS1_3genE2ELNS1_11target_archE906ELNS1_3gpuE6ELNS1_3repE0EEENS1_38merge_mergepath_config_static_selectorELNS0_4arch9wavefront6targetE0EEEvSM_
                                        ; -- End function
	.section	.AMDGPU.csdata,"",@progbits
; Kernel info:
; codeLenInByte = 0
; NumSgprs: 0
; NumVgprs: 0
; ScratchSize: 0
; MemoryBound: 0
; FloatMode: 240
; IeeeMode: 1
; LDSByteSize: 0 bytes/workgroup (compile time only)
; SGPRBlocks: 0
; VGPRBlocks: 0
; NumSGPRsForWavesPerEU: 1
; NumVGPRsForWavesPerEU: 1
; Occupancy: 16
; WaveLimiterHint : 0
; COMPUTE_PGM_RSRC2:SCRATCH_EN: 0
; COMPUTE_PGM_RSRC2:USER_SGPR: 15
; COMPUTE_PGM_RSRC2:TRAP_HANDLER: 0
; COMPUTE_PGM_RSRC2:TGID_X_EN: 1
; COMPUTE_PGM_RSRC2:TGID_Y_EN: 0
; COMPUTE_PGM_RSRC2:TGID_Z_EN: 0
; COMPUTE_PGM_RSRC2:TIDIG_COMP_CNT: 0
	.section	.text._ZN7rocprim17ROCPRIM_400000_NS6detail17trampoline_kernelINS0_14default_configENS1_38merge_sort_block_merge_config_selectorIlNS0_10empty_typeEEEZZNS1_27merge_sort_block_merge_implIS3_PlPS5_mZN2at6native12_GLOBAL__N_124unique_dim_cuda_templateImEESt5tupleIJNSA_6TensorESF_SF_EERKSF_lbbbEUlllE_EE10hipError_tT0_T1_T2_jT3_P12ihipStream_tbPNSt15iterator_traitsISL_E10value_typeEPNSR_ISM_E10value_typeEPSN_NS1_7vsmem_tEENKUlT_SL_SM_SN_E_clIS8_S8_S9_S9_EESK_S10_SL_SM_SN_EUlS10_E0_NS1_11comp_targetILNS1_3genE9ELNS1_11target_archE1100ELNS1_3gpuE3ELNS1_3repE0EEENS1_38merge_mergepath_config_static_selectorELNS0_4arch9wavefront6targetE0EEEvSM_,"axG",@progbits,_ZN7rocprim17ROCPRIM_400000_NS6detail17trampoline_kernelINS0_14default_configENS1_38merge_sort_block_merge_config_selectorIlNS0_10empty_typeEEEZZNS1_27merge_sort_block_merge_implIS3_PlPS5_mZN2at6native12_GLOBAL__N_124unique_dim_cuda_templateImEESt5tupleIJNSA_6TensorESF_SF_EERKSF_lbbbEUlllE_EE10hipError_tT0_T1_T2_jT3_P12ihipStream_tbPNSt15iterator_traitsISL_E10value_typeEPNSR_ISM_E10value_typeEPSN_NS1_7vsmem_tEENKUlT_SL_SM_SN_E_clIS8_S8_S9_S9_EESK_S10_SL_SM_SN_EUlS10_E0_NS1_11comp_targetILNS1_3genE9ELNS1_11target_archE1100ELNS1_3gpuE3ELNS1_3repE0EEENS1_38merge_mergepath_config_static_selectorELNS0_4arch9wavefront6targetE0EEEvSM_,comdat
	.globl	_ZN7rocprim17ROCPRIM_400000_NS6detail17trampoline_kernelINS0_14default_configENS1_38merge_sort_block_merge_config_selectorIlNS0_10empty_typeEEEZZNS1_27merge_sort_block_merge_implIS3_PlPS5_mZN2at6native12_GLOBAL__N_124unique_dim_cuda_templateImEESt5tupleIJNSA_6TensorESF_SF_EERKSF_lbbbEUlllE_EE10hipError_tT0_T1_T2_jT3_P12ihipStream_tbPNSt15iterator_traitsISL_E10value_typeEPNSR_ISM_E10value_typeEPSN_NS1_7vsmem_tEENKUlT_SL_SM_SN_E_clIS8_S8_S9_S9_EESK_S10_SL_SM_SN_EUlS10_E0_NS1_11comp_targetILNS1_3genE9ELNS1_11target_archE1100ELNS1_3gpuE3ELNS1_3repE0EEENS1_38merge_mergepath_config_static_selectorELNS0_4arch9wavefront6targetE0EEEvSM_ ; -- Begin function _ZN7rocprim17ROCPRIM_400000_NS6detail17trampoline_kernelINS0_14default_configENS1_38merge_sort_block_merge_config_selectorIlNS0_10empty_typeEEEZZNS1_27merge_sort_block_merge_implIS3_PlPS5_mZN2at6native12_GLOBAL__N_124unique_dim_cuda_templateImEESt5tupleIJNSA_6TensorESF_SF_EERKSF_lbbbEUlllE_EE10hipError_tT0_T1_T2_jT3_P12ihipStream_tbPNSt15iterator_traitsISL_E10value_typeEPNSR_ISM_E10value_typeEPSN_NS1_7vsmem_tEENKUlT_SL_SM_SN_E_clIS8_S8_S9_S9_EESK_S10_SL_SM_SN_EUlS10_E0_NS1_11comp_targetILNS1_3genE9ELNS1_11target_archE1100ELNS1_3gpuE3ELNS1_3repE0EEENS1_38merge_mergepath_config_static_selectorELNS0_4arch9wavefront6targetE0EEEvSM_
	.p2align	8
	.type	_ZN7rocprim17ROCPRIM_400000_NS6detail17trampoline_kernelINS0_14default_configENS1_38merge_sort_block_merge_config_selectorIlNS0_10empty_typeEEEZZNS1_27merge_sort_block_merge_implIS3_PlPS5_mZN2at6native12_GLOBAL__N_124unique_dim_cuda_templateImEESt5tupleIJNSA_6TensorESF_SF_EERKSF_lbbbEUlllE_EE10hipError_tT0_T1_T2_jT3_P12ihipStream_tbPNSt15iterator_traitsISL_E10value_typeEPNSR_ISM_E10value_typeEPSN_NS1_7vsmem_tEENKUlT_SL_SM_SN_E_clIS8_S8_S9_S9_EESK_S10_SL_SM_SN_EUlS10_E0_NS1_11comp_targetILNS1_3genE9ELNS1_11target_archE1100ELNS1_3gpuE3ELNS1_3repE0EEENS1_38merge_mergepath_config_static_selectorELNS0_4arch9wavefront6targetE0EEEvSM_,@function
_ZN7rocprim17ROCPRIM_400000_NS6detail17trampoline_kernelINS0_14default_configENS1_38merge_sort_block_merge_config_selectorIlNS0_10empty_typeEEEZZNS1_27merge_sort_block_merge_implIS3_PlPS5_mZN2at6native12_GLOBAL__N_124unique_dim_cuda_templateImEESt5tupleIJNSA_6TensorESF_SF_EERKSF_lbbbEUlllE_EE10hipError_tT0_T1_T2_jT3_P12ihipStream_tbPNSt15iterator_traitsISL_E10value_typeEPNSR_ISM_E10value_typeEPSN_NS1_7vsmem_tEENKUlT_SL_SM_SN_E_clIS8_S8_S9_S9_EESK_S10_SL_SM_SN_EUlS10_E0_NS1_11comp_targetILNS1_3genE9ELNS1_11target_archE1100ELNS1_3gpuE3ELNS1_3repE0EEENS1_38merge_mergepath_config_static_selectorELNS0_4arch9wavefront6targetE0EEEvSM_: ; @_ZN7rocprim17ROCPRIM_400000_NS6detail17trampoline_kernelINS0_14default_configENS1_38merge_sort_block_merge_config_selectorIlNS0_10empty_typeEEEZZNS1_27merge_sort_block_merge_implIS3_PlPS5_mZN2at6native12_GLOBAL__N_124unique_dim_cuda_templateImEESt5tupleIJNSA_6TensorESF_SF_EERKSF_lbbbEUlllE_EE10hipError_tT0_T1_T2_jT3_P12ihipStream_tbPNSt15iterator_traitsISL_E10value_typeEPNSR_ISM_E10value_typeEPSN_NS1_7vsmem_tEENKUlT_SL_SM_SN_E_clIS8_S8_S9_S9_EESK_S10_SL_SM_SN_EUlS10_E0_NS1_11comp_targetILNS1_3genE9ELNS1_11target_archE1100ELNS1_3gpuE3ELNS1_3repE0EEENS1_38merge_mergepath_config_static_selectorELNS0_4arch9wavefront6targetE0EEEvSM_
; %bb.0:
	s_clause 0x1
	s_load_b64 s[24:25], s[0:1], 0x58
	s_load_b32 s3, s[0:1], 0x38
	s_add_u32 s22, s0, 0x58
	s_addc_u32 s23, s1, 0
	s_waitcnt lgkmcnt(0)
	s_mul_i32 s2, s25, s15
	s_delay_alu instid0(SALU_CYCLE_1) | instskip(NEXT) | instid1(SALU_CYCLE_1)
	s_add_i32 s2, s2, s14
	s_mul_i32 s2, s2, s24
	s_delay_alu instid0(SALU_CYCLE_1) | instskip(NEXT) | instid1(SALU_CYCLE_1)
	s_add_i32 s2, s2, s13
	s_cmp_ge_u32 s2, s3
	s_cbranch_scc1 .LBB1626_53
; %bb.1:
	s_clause 0x1
	s_load_b128 s[4:7], s[0:1], 0x28
	s_load_b64 s[8:9], s[0:1], 0x50
	s_mov_b32 s3, 0
	s_delay_alu instid0(SALU_CYCLE_1)
	s_lshl_b64 s[10:11], s[2:3], 3
	s_waitcnt lgkmcnt(0)
	v_alignbit_b32 v1, s7, s6, 9
	s_add_u32 s8, s8, s10
	s_addc_u32 s9, s9, s11
	s_lshl_b64 s[20:21], s[2:3], 10
	s_load_b128 s[16:19], s[8:9], 0x0
	v_readfirstlane_b32 s10, v1
	s_mov_b32 s9, s3
	s_delay_alu instid0(VALU_DEP_1) | instskip(NEXT) | instid1(SALU_CYCLE_1)
	s_and_b32 s8, s10, -2
	s_sub_i32 s25, 0, s8
	s_delay_alu instid0(SALU_CYCLE_1) | instskip(NEXT) | instid1(SALU_CYCLE_1)
	s_and_b32 s8, s2, s25
	s_lshl_b64 s[14:15], s[8:9], 10
	s_delay_alu instid0(SALU_CYCLE_1)
	s_sub_u32 s12, s20, s14
	s_subb_u32 s30, s21, s15
	s_lshl_b64 s[26:27], s[8:9], 11
	s_load_b128 s[8:11], s[0:1], 0x8
	s_add_u32 s28, s26, s6
	s_addc_u32 s29, s27, s7
	s_add_u32 s12, s28, s12
	s_addc_u32 s26, s29, s30
	s_waitcnt lgkmcnt(0)
	s_sub_u32 s27, s12, s18
	s_subb_u32 s19, s26, s19
	s_add_u32 s30, s27, 0x400
	s_addc_u32 s31, s19, 0
	s_delay_alu instid0(SALU_CYCLE_1) | instskip(NEXT) | instid1(VALU_DEP_1)
	v_cmp_lt_u64_e64 s19, s[4:5], s[30:31]
	s_and_b32 s19, s19, exec_lo
	s_cselect_b32 s27, s4, s30
	s_or_b32 s19, s2, s25
	s_mov_b32 s25, -1
	s_cmp_lg_u32 s19, -1
	s_cbranch_scc1 .LBB1626_3
; %bb.2:
	s_sub_u32 s14, s28, s14
	s_subb_u32 s15, s29, s15
	s_delay_alu instid0(SALU_CYCLE_1) | instskip(NEXT) | instid1(VALU_DEP_1)
	v_cmp_lt_u64_e64 s18, s[4:5], s[14:15]
	s_and_b32 s18, s18, exec_lo
	s_cselect_b32 s18, s4, s14
	s_add_u32 s6, s14, s6
	s_addc_u32 s7, s15, s7
	s_delay_alu instid0(SALU_CYCLE_1) | instskip(NEXT) | instid1(VALU_DEP_1)
	v_cmp_lt_u64_e64 s7, s[4:5], s[6:7]
	s_and_b32 s7, s7, exec_lo
	s_cselect_b32 s27, s4, s6
.LBB1626_3:
	s_lshr_b64 s[28:29], s[4:5], 10
	v_mov_b32_e32 v2, 0
	s_cmp_lg_u64 s[28:29], s[2:3]
	v_lshlrev_b32_e32 v11, 3, v0
	s_cselect_b32 s19, -1, 0
	s_sub_u32 s6, s12, s16
	s_subb_u32 s7, s26, s17
	global_load_b32 v1, v2, s[22:23] offset:14
	v_cmp_lt_u64_e64 s12, s[4:5], s[6:7]
	s_delay_alu instid0(VALU_DEP_1)
	s_and_b32 s12, s12, exec_lo
	s_cselect_b32 s30, s4, s6
	s_cselect_b32 s31, s5, s7
	s_lshl_b64 s[14:15], s[16:17], 3
	s_sub_i32 s5, s18, s16
	s_sub_i32 s6, s27, s30
	s_add_u32 s12, s8, s14
	s_addc_u32 s14, s9, s15
	s_lshl_b64 s[16:17], s[30:31], 3
	s_delay_alu instid0(SALU_CYCLE_1) | instskip(SKIP_3) | instid1(SALU_CYCLE_1)
	s_add_u32 s7, s8, s16
	s_addc_u32 s9, s9, s17
	s_cmp_lt_u32 s13, s24
	s_cselect_b32 s8, 12, 18
	s_add_u32 s16, s22, s8
	s_addc_u32 s17, s23, 0
	s_cmp_eq_u64 s[28:29], s[2:3]
	global_load_u16 v3, v2, s[16:17]
	s_waitcnt vmcnt(1)
	v_lshrrev_b32_e32 v4, 16, v1
	v_and_b32_e32 v1, 0xffff, v1
	s_delay_alu instid0(VALU_DEP_1) | instskip(SKIP_1) | instid1(VALU_DEP_1)
	v_mul_lo_u32 v1, v1, v4
	s_waitcnt vmcnt(0)
	v_mul_lo_u32 v7, v1, v3
	s_cbranch_scc1 .LBB1626_5
; %bb.4:
	v_subrev_nc_u32_e32 v1, s5, v0
	v_add_co_u32 v8, s2, s12, v11
	s_delay_alu instid0(VALU_DEP_1) | instskip(NEXT) | instid1(VALU_DEP_3)
	v_add_co_ci_u32_e64 v9, null, s14, 0, s2
	v_lshlrev_b64 v[3:4], 3, v[1:2]
	v_add_nc_u32_e32 v1, v7, v0
	s_add_i32 s8, s5, s6
	s_delay_alu instid0(VALU_DEP_1) | instskip(NEXT) | instid1(VALU_DEP_3)
	v_lshlrev_b64 v[5:6], 3, v[1:2]
	v_add_co_u32 v3, s2, s7, v3
	s_delay_alu instid0(VALU_DEP_1) | instskip(SKIP_1) | instid1(VALU_DEP_4)
	v_add_co_ci_u32_e64 v4, s2, s9, v4, s2
	v_cmp_gt_u32_e64 s2, s5, v0
	v_add_co_u32 v5, vcc_lo, s12, v5
	v_add_co_ci_u32_e32 v6, vcc_lo, s14, v6, vcc_lo
	v_cmp_gt_u32_e32 vcc_lo, s5, v1
	v_subrev_nc_u32_e32 v1, s5, v1
	s_delay_alu instid0(VALU_DEP_1) | instskip(NEXT) | instid1(VALU_DEP_1)
	v_lshlrev_b64 v[1:2], 3, v[1:2]
	v_add_co_u32 v10, s3, s7, v1
	s_delay_alu instid0(VALU_DEP_1) | instskip(SKIP_2) | instid1(VALU_DEP_3)
	v_add_co_ci_u32_e64 v12, s3, s9, v2, s3
	v_cndmask_b32_e64 v2, v4, v9, s2
	v_cndmask_b32_e64 v1, v3, v8, s2
	v_dual_cndmask_b32 v3, v10, v5 :: v_dual_cndmask_b32 v4, v12, v6
	global_load_b64 v[1:2], v[1:2], off
	global_load_b64 v[5:6], v[3:4], off
	s_cbranch_execz .LBB1626_6
	s_branch .LBB1626_11
.LBB1626_5:
                                        ; implicit-def: $vgpr5_vgpr6
                                        ; implicit-def: $sgpr8
                                        ; implicit-def: $vgpr1_vgpr2_vgpr3_vgpr4
	s_and_not1_b32 vcc_lo, exec_lo, s25
	s_cbranch_vccnz .LBB1626_11
.LBB1626_6:
	s_add_i32 s8, s5, s6
	s_mov_b32 s2, exec_lo
                                        ; implicit-def: $vgpr1_vgpr2
	v_cmpx_gt_u32_e64 s8, v0
	s_cbranch_execz .LBB1626_8
; %bb.7:
	s_waitcnt vmcnt(1)
	v_subrev_nc_u32_e32 v1, s5, v0
	v_add_co_u32 v3, s3, s12, v11
	v_mov_b32_e32 v2, 0
	v_add_co_ci_u32_e64 v4, null, s14, 0, s3
	s_delay_alu instid0(VALU_DEP_2) | instskip(NEXT) | instid1(VALU_DEP_1)
	v_lshlrev_b64 v[1:2], 3, v[1:2]
	v_add_co_u32 v1, vcc_lo, s7, v1
	s_delay_alu instid0(VALU_DEP_2) | instskip(SKIP_1) | instid1(VALU_DEP_2)
	v_add_co_ci_u32_e32 v2, vcc_lo, s9, v2, vcc_lo
	v_cmp_gt_u32_e32 vcc_lo, s5, v0
	v_dual_cndmask_b32 v1, v1, v3 :: v_dual_cndmask_b32 v2, v2, v4
	global_load_b64 v[1:2], v[1:2], off
.LBB1626_8:
	s_or_b32 exec_lo, exec_lo, s2
	v_add_nc_u32_e32 v7, v7, v0
	s_mov_b32 s3, exec_lo
	s_delay_alu instid0(VALU_DEP_1)
	v_cmpx_gt_u32_e64 s8, v7
                                        ; implicit-def: $vgpr3_vgpr4_vgpr5_vgpr6
	s_cbranch_execz .LBB1626_10
; %bb.9:
	v_mov_b32_e32 v8, 0
	s_delay_alu instid0(VALU_DEP_1) | instskip(SKIP_1) | instid1(VALU_DEP_1)
	v_lshlrev_b64 v[3:4], 3, v[7:8]
	s_waitcnt vmcnt(0)
	v_add_co_u32 v5, vcc_lo, s12, v3
	s_delay_alu instid0(VALU_DEP_2) | instskip(SKIP_2) | instid1(VALU_DEP_1)
	v_add_co_ci_u32_e32 v6, vcc_lo, s14, v4, vcc_lo
	v_cmp_gt_u32_e32 vcc_lo, s5, v7
	v_subrev_nc_u32_e32 v7, s5, v7
	v_lshlrev_b64 v[3:4], 3, v[7:8]
	s_delay_alu instid0(VALU_DEP_1) | instskip(NEXT) | instid1(VALU_DEP_1)
	v_add_co_u32 v3, s2, s7, v3
	v_add_co_ci_u32_e64 v4, s2, s9, v4, s2
	s_delay_alu instid0(VALU_DEP_1)
	v_dual_cndmask_b32 v3, v3, v5 :: v_dual_cndmask_b32 v4, v4, v6
	global_load_b64 v[5:6], v[3:4], off
.LBB1626_10:
	s_or_b32 exec_lo, exec_lo, s3
.LBB1626_11:
	s_load_b128 s[12:15], s[0:1], 0x40
	v_lshlrev_b32_e32 v12, 1, v0
	s_mov_b32 s1, exec_lo
	s_waitcnt vmcnt(0)
	ds_store_2addr_stride64_b64 v11, v[1:2], v[5:6] offset1:8
	s_waitcnt lgkmcnt(0)
	s_barrier
	v_min_u32_e32 v9, s8, v12
	buffer_gl0_inv
	v_sub_nc_u32_e64 v13, v9, s6 clamp
	v_min_u32_e32 v10, s5, v9
	s_delay_alu instid0(VALU_DEP_1)
	v_cmpx_lt_u32_e64 v13, v10
	s_cbranch_execz .LBB1626_21
; %bb.12:
	v_lshlrev_b32_e32 v3, 3, v9
	v_cmp_gt_i64_e64 s9, s[12:13], 0
	s_lshl_b64 s[2:3], s[12:13], 3
	s_mov_b32 s16, 0
	s_delay_alu instid0(VALU_DEP_2)
	v_lshl_add_u32 v14, s5, 3, v3
	s_branch .LBB1626_15
.LBB1626_13:                            ;   in Loop: Header=BB1626_15 Depth=1
	s_set_inst_prefetch_distance 0x2
	s_or_b32 exec_lo, exec_lo, s17
.LBB1626_14:                            ;   in Loop: Header=BB1626_15 Depth=1
	s_delay_alu instid0(VALU_DEP_1) | instskip(SKIP_1) | instid1(VALU_DEP_2)
	v_add_nc_u32_e32 v3, 1, v15
	v_cndmask_b32_e64 v10, v10, v15, s18
	v_cndmask_b32_e64 v13, v3, v13, s18
	s_delay_alu instid0(VALU_DEP_1) | instskip(SKIP_1) | instid1(SALU_CYCLE_1)
	v_cmp_ge_u32_e32 vcc_lo, v13, v10
	s_or_b32 s16, vcc_lo, s16
	s_and_not1_b32 exec_lo, exec_lo, s16
	s_cbranch_execz .LBB1626_20
.LBB1626_15:                            ; =>This Loop Header: Depth=1
                                        ;     Child Loop BB1626_18 Depth 2
	v_add_nc_u32_e32 v3, v10, v13
	s_and_not1_b32 vcc_lo, exec_lo, s9
	s_mov_b32 s18, 0
	s_delay_alu instid0(VALU_DEP_1)
	v_lshrrev_b32_e32 v15, 1, v3
	s_cbranch_vccnz .LBB1626_14
; %bb.16:                               ;   in Loop: Header=BB1626_15 Depth=1
	s_delay_alu instid0(VALU_DEP_1) | instskip(SKIP_3) | instid1(VALU_DEP_2)
	v_not_b32_e32 v3, v15
	v_lshlrev_b32_e32 v4, 3, v15
	s_mov_b32 s17, 0
	s_mov_b64 s[6:7], s[12:13]
                                        ; implicit-def: $sgpr18
                                        ; implicit-def: $sgpr22
                                        ; implicit-def: $sgpr23
                                        ; implicit-def: $sgpr24
                                        ; implicit-def: $sgpr25
	v_lshl_add_u32 v3, v3, 3, v14
	ds_load_b64 v[7:8], v3
	ds_load_b64 v[16:17], v4
	s_waitcnt lgkmcnt(1)
	v_mul_lo_u32 v18, s2, v8
	v_mul_lo_u32 v19, s3, v7
	v_mad_u64_u32 v[3:4], null, s2, v7, s[14:15]
	s_waitcnt lgkmcnt(0)
	v_mul_lo_u32 v17, s2, v17
	v_mul_lo_u32 v20, s3, v16
	v_mad_u64_u32 v[7:8], null, s2, v16, s[14:15]
	s_delay_alu instid0(VALU_DEP_4) | instskip(NEXT) | instid1(VALU_DEP_2)
	v_add3_u32 v4, v19, v4, v18
	v_add3_u32 v8, v20, v8, v17
	s_set_inst_prefetch_distance 0x1
	s_branch .LBB1626_18
	.p2align	6
.LBB1626_17:                            ;   in Loop: Header=BB1626_18 Depth=2
	s_or_b32 exec_lo, exec_lo, s0
	s_delay_alu instid0(SALU_CYCLE_1) | instskip(NEXT) | instid1(SALU_CYCLE_1)
	s_and_b32 s0, exec_lo, s22
	s_or_b32 s17, s0, s17
	s_and_not1_b32 s0, s25, exec_lo
	s_and_b32 s25, s23, exec_lo
	s_and_not1_b32 s18, s18, exec_lo
	s_and_b32 s26, s24, exec_lo
	s_or_b32 s25, s0, s25
	s_or_b32 s18, s18, s26
	s_and_not1_b32 exec_lo, exec_lo, s17
	s_cbranch_execz .LBB1626_13
.LBB1626_18:                            ;   Parent Loop BB1626_15 Depth=1
                                        ; =>  This Inner Loop Header: Depth=2
	global_load_b64 v[16:17], v[3:4], off
	global_load_b64 v[18:19], v[7:8], off
	s_and_not1_b32 s24, s24, exec_lo
	s_and_not1_b32 s23, s23, exec_lo
	s_or_b32 s22, s22, exec_lo
	s_waitcnt vmcnt(0)
	v_cmp_le_u64_e32 vcc_lo, v[16:17], v[18:19]
	v_cmp_lt_u64_e64 s0, v[16:17], v[18:19]
	s_and_b32 s26, vcc_lo, s25
	s_delay_alu instid0(VALU_DEP_1) | instid1(SALU_CYCLE_1)
	s_or_b32 s26, s0, s26
	s_delay_alu instid0(SALU_CYCLE_1) | instskip(NEXT) | instid1(SALU_CYCLE_1)
	s_and_b32 s0, s26, exec_lo
	s_or_b32 s24, s24, s0
	s_mov_b32 s0, exec_lo
	v_cmpx_eq_u64_e64 v[16:17], v[18:19]
	s_cbranch_execz .LBB1626_17
; %bb.19:                               ;   in Loop: Header=BB1626_18 Depth=2
	s_add_u32 s6, s6, -1
	s_addc_u32 s7, s7, -1
	v_add_co_u32 v3, vcc_lo, v3, 8
	v_add_co_ci_u32_e32 v4, vcc_lo, 0, v4, vcc_lo
	s_cmp_eq_u64 s[6:7], 0
	v_add_co_u32 v7, vcc_lo, v7, 8
	s_cselect_b32 s25, -1, 0
	v_add_co_ci_u32_e32 v8, vcc_lo, 0, v8, vcc_lo
	s_and_not1_b32 s23, s23, exec_lo
	s_and_b32 s26, s26, exec_lo
	s_and_not1_b32 s22, s22, exec_lo
	s_and_b32 s25, s25, exec_lo
	s_and_not1_b32 s24, s24, exec_lo
	s_or_b32 s23, s23, s26
	s_or_b32 s22, s22, s25
                                        ; implicit-def: $sgpr25
	s_branch .LBB1626_17
.LBB1626_20:
	s_or_b32 exec_lo, exec_lo, s16
.LBB1626_21:
	s_delay_alu instid0(SALU_CYCLE_1) | instskip(SKIP_2) | instid1(VALU_DEP_2)
	s_or_b32 exec_lo, exec_lo, s1
	v_sub_nc_u32_e32 v3, v9, v13
	v_cmp_ge_u32_e32 vcc_lo, s5, v13
	v_add_nc_u32_e32 v14, s5, v3
	s_delay_alu instid0(VALU_DEP_1) | instskip(NEXT) | instid1(VALU_DEP_1)
	v_cmp_ge_u32_e64 s0, s8, v14
	s_or_b32 s0, vcc_lo, s0
	s_delay_alu instid0(SALU_CYCLE_1)
	s_and_saveexec_b32 s1, s0
	s_cbranch_execz .LBB1626_45
; %bb.22:
	v_cmp_le_u32_e32 vcc_lo, s5, v13
	s_mov_b32 s2, exec_lo
                                        ; implicit-def: $vgpr3_vgpr4
	v_cmpx_gt_u32_e64 s5, v13
	s_cbranch_execz .LBB1626_24
; %bb.23:
	v_lshlrev_b32_e32 v1, 3, v13
	ds_load_b64 v[3:4], v1
.LBB1626_24:
	s_or_b32 exec_lo, exec_lo, s2
	v_cmp_le_u32_e64 s6, s8, v14
	s_mov_b32 s2, exec_lo
                                        ; implicit-def: $vgpr7_vgpr8
	v_cmpx_gt_u32_e64 s8, v14
	s_cbranch_execz .LBB1626_26
; %bb.25:
	v_lshlrev_b32_e32 v1, 3, v14
	ds_load_b64 v[7:8], v1
.LBB1626_26:
	s_or_b32 exec_lo, exec_lo, s2
	v_cmp_gt_i64_e64 s7, s[12:13], 0
	s_or_b32 s2, vcc_lo, s6
	s_mov_b32 s0, -1
	s_xor_b32 s2, s2, -1
	s_delay_alu instid0(SALU_CYCLE_1)
	s_and_saveexec_b32 s9, s2
	s_cbranch_execz .LBB1626_34
; %bb.27:
	s_and_not1_b32 vcc_lo, exec_lo, s7
	s_cbranch_vccnz .LBB1626_33
; %bb.28:
	s_waitcnt lgkmcnt(0)
	v_mul_lo_u32 v9, v8, s12
	v_mul_lo_u32 v10, v7, s13
	v_mad_u64_u32 v[1:2], null, v7, s12, 0
	v_mul_lo_u32 v15, v4, s12
	v_mul_lo_u32 v16, v3, s13
	v_mad_u64_u32 v[5:6], null, v3, s12, 0
	s_mov_b32 s16, 0
	s_mov_b64 s[2:3], s[12:13]
	s_delay_alu instid0(VALU_DEP_4) | instskip(NEXT) | instid1(VALU_DEP_2)
	v_add3_u32 v2, v2, v10, v9
                                        ; implicit-def: $sgpr17
                                        ; implicit-def: $sgpr18
                                        ; implicit-def: $sgpr22
                                        ; implicit-def: $sgpr23
                                        ; implicit-def: $sgpr24
	v_add3_u32 v6, v6, v16, v15
	s_delay_alu instid0(VALU_DEP_2) | instskip(NEXT) | instid1(VALU_DEP_2)
	v_lshlrev_b64 v[1:2], 3, v[1:2]
	v_lshlrev_b64 v[5:6], 3, v[5:6]
	s_delay_alu instid0(VALU_DEP_2) | instskip(NEXT) | instid1(VALU_DEP_3)
	v_add_co_u32 v1, vcc_lo, s14, v1
	v_add_co_ci_u32_e32 v2, vcc_lo, s15, v2, vcc_lo
	s_delay_alu instid0(VALU_DEP_3) | instskip(NEXT) | instid1(VALU_DEP_4)
	v_add_co_u32 v5, vcc_lo, s14, v5
	v_add_co_ci_u32_e32 v6, vcc_lo, s15, v6, vcc_lo
	s_set_inst_prefetch_distance 0x1
	s_branch .LBB1626_30
	.p2align	6
.LBB1626_29:                            ;   in Loop: Header=BB1626_30 Depth=1
	s_or_b32 exec_lo, exec_lo, s0
	s_delay_alu instid0(SALU_CYCLE_1) | instskip(NEXT) | instid1(SALU_CYCLE_1)
	s_and_b32 s0, exec_lo, s18
	s_or_b32 s16, s0, s16
	s_and_not1_b32 s0, s24, exec_lo
	s_and_b32 s24, s23, exec_lo
	s_and_not1_b32 s17, s17, exec_lo
	s_and_b32 s25, s22, exec_lo
	s_or_b32 s24, s0, s24
	s_or_b32 s17, s17, s25
	s_and_not1_b32 exec_lo, exec_lo, s16
	s_cbranch_execz .LBB1626_32
.LBB1626_30:                            ; =>This Inner Loop Header: Depth=1
	global_load_b64 v[9:10], v[1:2], off
	global_load_b64 v[15:16], v[5:6], off
	s_and_not1_b32 s22, s22, exec_lo
	s_and_not1_b32 s23, s23, exec_lo
	s_or_b32 s18, s18, exec_lo
	s_waitcnt vmcnt(0)
	v_cmp_le_u64_e32 vcc_lo, v[9:10], v[15:16]
	v_cmp_lt_u64_e64 s0, v[9:10], v[15:16]
	s_and_b32 s25, vcc_lo, s24
	s_delay_alu instid0(VALU_DEP_1) | instid1(SALU_CYCLE_1)
	s_or_b32 s25, s0, s25
	s_delay_alu instid0(SALU_CYCLE_1) | instskip(NEXT) | instid1(SALU_CYCLE_1)
	s_and_b32 s0, s25, exec_lo
	s_or_b32 s22, s22, s0
	s_mov_b32 s0, exec_lo
	v_cmpx_eq_u64_e64 v[9:10], v[15:16]
	s_cbranch_execz .LBB1626_29
; %bb.31:                               ;   in Loop: Header=BB1626_30 Depth=1
	s_add_u32 s2, s2, -1
	s_addc_u32 s3, s3, -1
	v_add_co_u32 v1, vcc_lo, v1, 8
	s_cmp_eq_u64 s[2:3], 0
	v_add_co_ci_u32_e32 v2, vcc_lo, 0, v2, vcc_lo
	v_add_co_u32 v5, vcc_lo, v5, 8
	s_cselect_b32 s24, -1, 0
	v_add_co_ci_u32_e32 v6, vcc_lo, 0, v6, vcc_lo
	s_and_not1_b32 s23, s23, exec_lo
	s_and_b32 s25, s25, exec_lo
	s_and_not1_b32 s18, s18, exec_lo
	s_and_b32 s24, s24, exec_lo
	s_or_b32 s23, s23, s25
	s_and_not1_b32 s22, s22, exec_lo
	s_or_b32 s18, s18, s24
                                        ; implicit-def: $sgpr24
	s_branch .LBB1626_29
.LBB1626_32:
	s_set_inst_prefetch_distance 0x2
	s_or_b32 exec_lo, exec_lo, s16
	s_xor_b32 s0, s17, -1
.LBB1626_33:
	s_and_not1_b32 s2, s6, exec_lo
	s_and_b32 s0, s0, exec_lo
	s_delay_alu instid0(SALU_CYCLE_1)
	s_or_b32 s6, s2, s0
.LBB1626_34:
	s_or_b32 exec_lo, exec_lo, s9
	v_mov_b32_e32 v1, s5
	v_cndmask_b32_e64 v2, v14, v13, s6
	s_mov_b32 s2, exec_lo
	s_delay_alu instid0(VALU_DEP_2) | instskip(NEXT) | instid1(VALU_DEP_2)
	v_cndmask_b32_e64 v1, s8, v1, s6
	v_add_nc_u32_e32 v15, 1, v2
	s_waitcnt lgkmcnt(0)
	v_cndmask_b32_e64 v2, v8, v4, s6
	s_delay_alu instid0(VALU_DEP_3) | instskip(NEXT) | instid1(VALU_DEP_3)
	v_add_nc_u32_e32 v1, -1, v1
	v_cndmask_b32_e64 v14, v15, v14, s6
	s_delay_alu instid0(VALU_DEP_2) | instskip(NEXT) | instid1(VALU_DEP_1)
	v_min_u32_e32 v1, v15, v1
	v_lshlrev_b32_e32 v1, 3, v1
	ds_load_b64 v[9:10], v1
	v_cndmask_b32_e64 v1, v7, v3, s6
	s_waitcnt lgkmcnt(0)
	v_cndmask_b32_e64 v6, v4, v10, s6
	v_cndmask_b32_e64 v5, v3, v9, s6
	v_cmpx_gt_u32_e64 s8, v14
	s_cbranch_execz .LBB1626_44
; %bb.35:
	v_cndmask_b32_e64 v13, v13, v15, s6
	v_cndmask_b32_e64 v4, v10, v8, s6
	;; [unrolled: 1-line block ×3, first 2 shown]
	s_mov_b32 s3, exec_lo
	s_delay_alu instid0(VALU_DEP_3)
	v_cmpx_gt_u32_e64 s5, v13
	s_cbranch_execz .LBB1626_43
; %bb.36:
	s_and_not1_b32 vcc_lo, exec_lo, s7
	s_cbranch_vccnz .LBB1626_42
; %bb.37:
	v_mul_lo_u32 v13, v4, s12
	v_mul_lo_u32 v14, v3, s13
	v_mad_u64_u32 v[7:8], null, v3, s12, 0
	v_mul_lo_u32 v15, v6, s12
	v_mul_lo_u32 v16, v5, s13
	v_mad_u64_u32 v[9:10], null, v5, s12, 0
	s_mov_b32 s5, 0
                                        ; implicit-def: $sgpr6
                                        ; implicit-def: $sgpr7
                                        ; implicit-def: $sgpr8
                                        ; implicit-def: $sgpr9
	s_delay_alu instid0(VALU_DEP_4) | instskip(NEXT) | instid1(VALU_DEP_2)
	v_add3_u32 v8, v8, v14, v13
	v_add3_u32 v10, v10, v16, v15
	s_delay_alu instid0(VALU_DEP_2) | instskip(NEXT) | instid1(VALU_DEP_2)
	v_lshlrev_b64 v[7:8], 3, v[7:8]
	v_lshlrev_b64 v[9:10], 3, v[9:10]
	s_delay_alu instid0(VALU_DEP_2) | instskip(NEXT) | instid1(VALU_DEP_3)
	v_add_co_u32 v7, vcc_lo, s14, v7
	v_add_co_ci_u32_e32 v8, vcc_lo, s15, v8, vcc_lo
	s_delay_alu instid0(VALU_DEP_3) | instskip(NEXT) | instid1(VALU_DEP_4)
	v_add_co_u32 v9, vcc_lo, s14, v9
	v_add_co_ci_u32_e32 v10, vcc_lo, s15, v10, vcc_lo
                                        ; implicit-def: $sgpr14
	s_set_inst_prefetch_distance 0x1
	s_branch .LBB1626_39
	.p2align	6
.LBB1626_38:                            ;   in Loop: Header=BB1626_39 Depth=1
	s_or_b32 exec_lo, exec_lo, s0
	s_delay_alu instid0(SALU_CYCLE_1) | instskip(NEXT) | instid1(SALU_CYCLE_1)
	s_and_b32 s0, exec_lo, s7
	s_or_b32 s5, s0, s5
	s_and_not1_b32 s0, s14, exec_lo
	s_and_b32 s14, s9, exec_lo
	s_and_not1_b32 s6, s6, exec_lo
	s_and_b32 s15, s8, exec_lo
	s_or_b32 s14, s0, s14
	s_or_b32 s6, s6, s15
	s_and_not1_b32 exec_lo, exec_lo, s5
	s_cbranch_execz .LBB1626_41
.LBB1626_39:                            ; =>This Inner Loop Header: Depth=1
	global_load_b64 v[13:14], v[7:8], off
	global_load_b64 v[15:16], v[9:10], off
	s_and_not1_b32 s8, s8, exec_lo
	s_and_not1_b32 s9, s9, exec_lo
	s_or_b32 s7, s7, exec_lo
	s_waitcnt vmcnt(0)
	v_cmp_le_u64_e32 vcc_lo, v[13:14], v[15:16]
	v_cmp_lt_u64_e64 s0, v[13:14], v[15:16]
	s_and_b32 s15, vcc_lo, s14
	s_delay_alu instid0(VALU_DEP_1) | instid1(SALU_CYCLE_1)
	s_or_b32 s15, s0, s15
	s_delay_alu instid0(SALU_CYCLE_1) | instskip(NEXT) | instid1(SALU_CYCLE_1)
	s_and_b32 s0, s15, exec_lo
	s_or_b32 s8, s8, s0
	s_mov_b32 s0, exec_lo
	v_cmpx_eq_u64_e64 v[13:14], v[15:16]
	s_cbranch_execz .LBB1626_38
; %bb.40:                               ;   in Loop: Header=BB1626_39 Depth=1
	s_add_u32 s12, s12, -1
	s_addc_u32 s13, s13, -1
	v_add_co_u32 v7, vcc_lo, v7, 8
	s_cmp_eq_u64 s[12:13], 0
	v_add_co_ci_u32_e32 v8, vcc_lo, 0, v8, vcc_lo
	v_add_co_u32 v9, vcc_lo, v9, 8
	s_cselect_b32 s14, -1, 0
	v_add_co_ci_u32_e32 v10, vcc_lo, 0, v10, vcc_lo
	s_and_not1_b32 s9, s9, exec_lo
	s_and_b32 s15, s15, exec_lo
	s_and_not1_b32 s7, s7, exec_lo
	s_and_b32 s14, s14, exec_lo
	s_or_b32 s9, s9, s15
	s_and_not1_b32 s8, s8, exec_lo
	s_or_b32 s7, s7, s14
                                        ; implicit-def: $sgpr14
	s_branch .LBB1626_38
.LBB1626_41:
	s_set_inst_prefetch_distance 0x2
	s_or_b32 exec_lo, exec_lo, s5
	v_cndmask_b32_e64 v6, v6, v4, s6
	v_cndmask_b32_e64 v5, v5, v3, s6
.LBB1626_42:
	s_delay_alu instid0(VALU_DEP_1)
	v_dual_mov_b32 v3, v5 :: v_dual_mov_b32 v4, v6
.LBB1626_43:
	s_or_b32 exec_lo, exec_lo, s3
	s_delay_alu instid0(VALU_DEP_1)
	v_dual_mov_b32 v6, v4 :: v_dual_mov_b32 v5, v3
.LBB1626_44:
	s_or_b32 exec_lo, exec_lo, s2
.LBB1626_45:
	s_delay_alu instid0(SALU_CYCLE_1) | instskip(SKIP_4) | instid1(VALU_DEP_3)
	s_or_b32 exec_lo, exec_lo, s1
	v_lshrrev_b32_e32 v3, 1, v0
	v_or_b32_e32 v7, 0x200, v0
	v_lshrrev_b32_e32 v4, 2, v0
	s_lshl_b64 s[0:1], s[20:21], 3
	v_and_b32_e32 v3, 0xf8, v3
	s_delay_alu instid0(VALU_DEP_3) | instskip(NEXT) | instid1(VALU_DEP_3)
	v_lshrrev_b32_e32 v8, 2, v7
	v_and_b32_e32 v4, 0x78, v4
	s_add_u32 s0, s10, s0
	s_barrier
	v_lshl_add_u32 v3, v12, 3, v3
	v_and_b32_e32 v8, 0xf8, v8
	buffer_gl0_inv
	s_barrier
	buffer_gl0_inv
	s_addc_u32 s1, s11, s1
	ds_store_2addr_b64 v3, v[1:2], v[5:6] offset1:1
	v_add_co_u32 v1, s0, s0, v11
	v_add_nc_u32_e32 v5, v11, v4
	v_add_nc_u32_e32 v6, v11, v8
	v_add_co_ci_u32_e64 v2, null, s1, 0, s0
	s_and_b32 vcc_lo, exec_lo, s19
	s_mov_b32 s0, 0
	s_waitcnt lgkmcnt(0)
	s_cbranch_vccz .LBB1626_47
; %bb.46:
	s_barrier
	buffer_gl0_inv
	ds_load_b64 v[8:9], v5
	ds_load_b64 v[3:4], v6 offset:4096
	s_mov_b32 s0, -1
	s_waitcnt lgkmcnt(1)
	global_store_b64 v[1:2], v[8:9], off
	s_cbranch_execz .LBB1626_48
	s_branch .LBB1626_51
.LBB1626_47:
                                        ; implicit-def: $vgpr3_vgpr4
.LBB1626_48:
	s_waitcnt lgkmcnt(0)
	s_waitcnt_vscnt null, 0x0
	s_barrier
	buffer_gl0_inv
	ds_load_b64 v[3:4], v6 offset:4096
	s_sub_i32 s0, s4, s20
	s_mov_b32 s1, exec_lo
	v_cmpx_gt_u32_e64 s0, v0
	s_cbranch_execz .LBB1626_50
; %bb.49:
	ds_load_b64 v[5:6], v5
	s_waitcnt lgkmcnt(0)
	global_store_b64 v[1:2], v[5:6], off
.LBB1626_50:
	s_or_b32 exec_lo, exec_lo, s1
	v_cmp_gt_u32_e64 s0, s0, v7
.LBB1626_51:
	s_delay_alu instid0(VALU_DEP_1)
	s_and_saveexec_b32 s1, s0
	s_cbranch_execz .LBB1626_53
; %bb.52:
	v_add_co_u32 v0, vcc_lo, 0x1000, v1
	v_add_co_ci_u32_e32 v1, vcc_lo, 0, v2, vcc_lo
	s_waitcnt lgkmcnt(0)
	global_store_b64 v[0:1], v[3:4], off
.LBB1626_53:
	s_nop 0
	s_sendmsg sendmsg(MSG_DEALLOC_VGPRS)
	s_endpgm
	.section	.rodata,"a",@progbits
	.p2align	6, 0x0
	.amdhsa_kernel _ZN7rocprim17ROCPRIM_400000_NS6detail17trampoline_kernelINS0_14default_configENS1_38merge_sort_block_merge_config_selectorIlNS0_10empty_typeEEEZZNS1_27merge_sort_block_merge_implIS3_PlPS5_mZN2at6native12_GLOBAL__N_124unique_dim_cuda_templateImEESt5tupleIJNSA_6TensorESF_SF_EERKSF_lbbbEUlllE_EE10hipError_tT0_T1_T2_jT3_P12ihipStream_tbPNSt15iterator_traitsISL_E10value_typeEPNSR_ISM_E10value_typeEPSN_NS1_7vsmem_tEENKUlT_SL_SM_SN_E_clIS8_S8_S9_S9_EESK_S10_SL_SM_SN_EUlS10_E0_NS1_11comp_targetILNS1_3genE9ELNS1_11target_archE1100ELNS1_3gpuE3ELNS1_3repE0EEENS1_38merge_mergepath_config_static_selectorELNS0_4arch9wavefront6targetE0EEEvSM_
		.amdhsa_group_segment_fixed_size 8448
		.amdhsa_private_segment_fixed_size 0
		.amdhsa_kernarg_size 344
		.amdhsa_user_sgpr_count 13
		.amdhsa_user_sgpr_dispatch_ptr 0
		.amdhsa_user_sgpr_queue_ptr 0
		.amdhsa_user_sgpr_kernarg_segment_ptr 1
		.amdhsa_user_sgpr_dispatch_id 0
		.amdhsa_user_sgpr_private_segment_size 0
		.amdhsa_wavefront_size32 1
		.amdhsa_uses_dynamic_stack 0
		.amdhsa_enable_private_segment 0
		.amdhsa_system_sgpr_workgroup_id_x 1
		.amdhsa_system_sgpr_workgroup_id_y 1
		.amdhsa_system_sgpr_workgroup_id_z 1
		.amdhsa_system_sgpr_workgroup_info 0
		.amdhsa_system_vgpr_workitem_id 0
		.amdhsa_next_free_vgpr 21
		.amdhsa_next_free_sgpr 32
		.amdhsa_reserve_vcc 1
		.amdhsa_float_round_mode_32 0
		.amdhsa_float_round_mode_16_64 0
		.amdhsa_float_denorm_mode_32 3
		.amdhsa_float_denorm_mode_16_64 3
		.amdhsa_dx10_clamp 1
		.amdhsa_ieee_mode 1
		.amdhsa_fp16_overflow 0
		.amdhsa_workgroup_processor_mode 1
		.amdhsa_memory_ordered 1
		.amdhsa_forward_progress 0
		.amdhsa_shared_vgpr_count 0
		.amdhsa_exception_fp_ieee_invalid_op 0
		.amdhsa_exception_fp_denorm_src 0
		.amdhsa_exception_fp_ieee_div_zero 0
		.amdhsa_exception_fp_ieee_overflow 0
		.amdhsa_exception_fp_ieee_underflow 0
		.amdhsa_exception_fp_ieee_inexact 0
		.amdhsa_exception_int_div_zero 0
	.end_amdhsa_kernel
	.section	.text._ZN7rocprim17ROCPRIM_400000_NS6detail17trampoline_kernelINS0_14default_configENS1_38merge_sort_block_merge_config_selectorIlNS0_10empty_typeEEEZZNS1_27merge_sort_block_merge_implIS3_PlPS5_mZN2at6native12_GLOBAL__N_124unique_dim_cuda_templateImEESt5tupleIJNSA_6TensorESF_SF_EERKSF_lbbbEUlllE_EE10hipError_tT0_T1_T2_jT3_P12ihipStream_tbPNSt15iterator_traitsISL_E10value_typeEPNSR_ISM_E10value_typeEPSN_NS1_7vsmem_tEENKUlT_SL_SM_SN_E_clIS8_S8_S9_S9_EESK_S10_SL_SM_SN_EUlS10_E0_NS1_11comp_targetILNS1_3genE9ELNS1_11target_archE1100ELNS1_3gpuE3ELNS1_3repE0EEENS1_38merge_mergepath_config_static_selectorELNS0_4arch9wavefront6targetE0EEEvSM_,"axG",@progbits,_ZN7rocprim17ROCPRIM_400000_NS6detail17trampoline_kernelINS0_14default_configENS1_38merge_sort_block_merge_config_selectorIlNS0_10empty_typeEEEZZNS1_27merge_sort_block_merge_implIS3_PlPS5_mZN2at6native12_GLOBAL__N_124unique_dim_cuda_templateImEESt5tupleIJNSA_6TensorESF_SF_EERKSF_lbbbEUlllE_EE10hipError_tT0_T1_T2_jT3_P12ihipStream_tbPNSt15iterator_traitsISL_E10value_typeEPNSR_ISM_E10value_typeEPSN_NS1_7vsmem_tEENKUlT_SL_SM_SN_E_clIS8_S8_S9_S9_EESK_S10_SL_SM_SN_EUlS10_E0_NS1_11comp_targetILNS1_3genE9ELNS1_11target_archE1100ELNS1_3gpuE3ELNS1_3repE0EEENS1_38merge_mergepath_config_static_selectorELNS0_4arch9wavefront6targetE0EEEvSM_,comdat
.Lfunc_end1626:
	.size	_ZN7rocprim17ROCPRIM_400000_NS6detail17trampoline_kernelINS0_14default_configENS1_38merge_sort_block_merge_config_selectorIlNS0_10empty_typeEEEZZNS1_27merge_sort_block_merge_implIS3_PlPS5_mZN2at6native12_GLOBAL__N_124unique_dim_cuda_templateImEESt5tupleIJNSA_6TensorESF_SF_EERKSF_lbbbEUlllE_EE10hipError_tT0_T1_T2_jT3_P12ihipStream_tbPNSt15iterator_traitsISL_E10value_typeEPNSR_ISM_E10value_typeEPSN_NS1_7vsmem_tEENKUlT_SL_SM_SN_E_clIS8_S8_S9_S9_EESK_S10_SL_SM_SN_EUlS10_E0_NS1_11comp_targetILNS1_3genE9ELNS1_11target_archE1100ELNS1_3gpuE3ELNS1_3repE0EEENS1_38merge_mergepath_config_static_selectorELNS0_4arch9wavefront6targetE0EEEvSM_, .Lfunc_end1626-_ZN7rocprim17ROCPRIM_400000_NS6detail17trampoline_kernelINS0_14default_configENS1_38merge_sort_block_merge_config_selectorIlNS0_10empty_typeEEEZZNS1_27merge_sort_block_merge_implIS3_PlPS5_mZN2at6native12_GLOBAL__N_124unique_dim_cuda_templateImEESt5tupleIJNSA_6TensorESF_SF_EERKSF_lbbbEUlllE_EE10hipError_tT0_T1_T2_jT3_P12ihipStream_tbPNSt15iterator_traitsISL_E10value_typeEPNSR_ISM_E10value_typeEPSN_NS1_7vsmem_tEENKUlT_SL_SM_SN_E_clIS8_S8_S9_S9_EESK_S10_SL_SM_SN_EUlS10_E0_NS1_11comp_targetILNS1_3genE9ELNS1_11target_archE1100ELNS1_3gpuE3ELNS1_3repE0EEENS1_38merge_mergepath_config_static_selectorELNS0_4arch9wavefront6targetE0EEEvSM_
                                        ; -- End function
	.section	.AMDGPU.csdata,"",@progbits
; Kernel info:
; codeLenInByte = 2856
; NumSgprs: 34
; NumVgprs: 21
; ScratchSize: 0
; MemoryBound: 0
; FloatMode: 240
; IeeeMode: 1
; LDSByteSize: 8448 bytes/workgroup (compile time only)
; SGPRBlocks: 4
; VGPRBlocks: 2
; NumSGPRsForWavesPerEU: 34
; NumVGPRsForWavesPerEU: 21
; Occupancy: 16
; WaveLimiterHint : 1
; COMPUTE_PGM_RSRC2:SCRATCH_EN: 0
; COMPUTE_PGM_RSRC2:USER_SGPR: 13
; COMPUTE_PGM_RSRC2:TRAP_HANDLER: 0
; COMPUTE_PGM_RSRC2:TGID_X_EN: 1
; COMPUTE_PGM_RSRC2:TGID_Y_EN: 1
; COMPUTE_PGM_RSRC2:TGID_Z_EN: 1
; COMPUTE_PGM_RSRC2:TIDIG_COMP_CNT: 0
	.section	.text._ZN7rocprim17ROCPRIM_400000_NS6detail17trampoline_kernelINS0_14default_configENS1_38merge_sort_block_merge_config_selectorIlNS0_10empty_typeEEEZZNS1_27merge_sort_block_merge_implIS3_PlPS5_mZN2at6native12_GLOBAL__N_124unique_dim_cuda_templateImEESt5tupleIJNSA_6TensorESF_SF_EERKSF_lbbbEUlllE_EE10hipError_tT0_T1_T2_jT3_P12ihipStream_tbPNSt15iterator_traitsISL_E10value_typeEPNSR_ISM_E10value_typeEPSN_NS1_7vsmem_tEENKUlT_SL_SM_SN_E_clIS8_S8_S9_S9_EESK_S10_SL_SM_SN_EUlS10_E0_NS1_11comp_targetILNS1_3genE8ELNS1_11target_archE1030ELNS1_3gpuE2ELNS1_3repE0EEENS1_38merge_mergepath_config_static_selectorELNS0_4arch9wavefront6targetE0EEEvSM_,"axG",@progbits,_ZN7rocprim17ROCPRIM_400000_NS6detail17trampoline_kernelINS0_14default_configENS1_38merge_sort_block_merge_config_selectorIlNS0_10empty_typeEEEZZNS1_27merge_sort_block_merge_implIS3_PlPS5_mZN2at6native12_GLOBAL__N_124unique_dim_cuda_templateImEESt5tupleIJNSA_6TensorESF_SF_EERKSF_lbbbEUlllE_EE10hipError_tT0_T1_T2_jT3_P12ihipStream_tbPNSt15iterator_traitsISL_E10value_typeEPNSR_ISM_E10value_typeEPSN_NS1_7vsmem_tEENKUlT_SL_SM_SN_E_clIS8_S8_S9_S9_EESK_S10_SL_SM_SN_EUlS10_E0_NS1_11comp_targetILNS1_3genE8ELNS1_11target_archE1030ELNS1_3gpuE2ELNS1_3repE0EEENS1_38merge_mergepath_config_static_selectorELNS0_4arch9wavefront6targetE0EEEvSM_,comdat
	.globl	_ZN7rocprim17ROCPRIM_400000_NS6detail17trampoline_kernelINS0_14default_configENS1_38merge_sort_block_merge_config_selectorIlNS0_10empty_typeEEEZZNS1_27merge_sort_block_merge_implIS3_PlPS5_mZN2at6native12_GLOBAL__N_124unique_dim_cuda_templateImEESt5tupleIJNSA_6TensorESF_SF_EERKSF_lbbbEUlllE_EE10hipError_tT0_T1_T2_jT3_P12ihipStream_tbPNSt15iterator_traitsISL_E10value_typeEPNSR_ISM_E10value_typeEPSN_NS1_7vsmem_tEENKUlT_SL_SM_SN_E_clIS8_S8_S9_S9_EESK_S10_SL_SM_SN_EUlS10_E0_NS1_11comp_targetILNS1_3genE8ELNS1_11target_archE1030ELNS1_3gpuE2ELNS1_3repE0EEENS1_38merge_mergepath_config_static_selectorELNS0_4arch9wavefront6targetE0EEEvSM_ ; -- Begin function _ZN7rocprim17ROCPRIM_400000_NS6detail17trampoline_kernelINS0_14default_configENS1_38merge_sort_block_merge_config_selectorIlNS0_10empty_typeEEEZZNS1_27merge_sort_block_merge_implIS3_PlPS5_mZN2at6native12_GLOBAL__N_124unique_dim_cuda_templateImEESt5tupleIJNSA_6TensorESF_SF_EERKSF_lbbbEUlllE_EE10hipError_tT0_T1_T2_jT3_P12ihipStream_tbPNSt15iterator_traitsISL_E10value_typeEPNSR_ISM_E10value_typeEPSN_NS1_7vsmem_tEENKUlT_SL_SM_SN_E_clIS8_S8_S9_S9_EESK_S10_SL_SM_SN_EUlS10_E0_NS1_11comp_targetILNS1_3genE8ELNS1_11target_archE1030ELNS1_3gpuE2ELNS1_3repE0EEENS1_38merge_mergepath_config_static_selectorELNS0_4arch9wavefront6targetE0EEEvSM_
	.p2align	8
	.type	_ZN7rocprim17ROCPRIM_400000_NS6detail17trampoline_kernelINS0_14default_configENS1_38merge_sort_block_merge_config_selectorIlNS0_10empty_typeEEEZZNS1_27merge_sort_block_merge_implIS3_PlPS5_mZN2at6native12_GLOBAL__N_124unique_dim_cuda_templateImEESt5tupleIJNSA_6TensorESF_SF_EERKSF_lbbbEUlllE_EE10hipError_tT0_T1_T2_jT3_P12ihipStream_tbPNSt15iterator_traitsISL_E10value_typeEPNSR_ISM_E10value_typeEPSN_NS1_7vsmem_tEENKUlT_SL_SM_SN_E_clIS8_S8_S9_S9_EESK_S10_SL_SM_SN_EUlS10_E0_NS1_11comp_targetILNS1_3genE8ELNS1_11target_archE1030ELNS1_3gpuE2ELNS1_3repE0EEENS1_38merge_mergepath_config_static_selectorELNS0_4arch9wavefront6targetE0EEEvSM_,@function
_ZN7rocprim17ROCPRIM_400000_NS6detail17trampoline_kernelINS0_14default_configENS1_38merge_sort_block_merge_config_selectorIlNS0_10empty_typeEEEZZNS1_27merge_sort_block_merge_implIS3_PlPS5_mZN2at6native12_GLOBAL__N_124unique_dim_cuda_templateImEESt5tupleIJNSA_6TensorESF_SF_EERKSF_lbbbEUlllE_EE10hipError_tT0_T1_T2_jT3_P12ihipStream_tbPNSt15iterator_traitsISL_E10value_typeEPNSR_ISM_E10value_typeEPSN_NS1_7vsmem_tEENKUlT_SL_SM_SN_E_clIS8_S8_S9_S9_EESK_S10_SL_SM_SN_EUlS10_E0_NS1_11comp_targetILNS1_3genE8ELNS1_11target_archE1030ELNS1_3gpuE2ELNS1_3repE0EEENS1_38merge_mergepath_config_static_selectorELNS0_4arch9wavefront6targetE0EEEvSM_: ; @_ZN7rocprim17ROCPRIM_400000_NS6detail17trampoline_kernelINS0_14default_configENS1_38merge_sort_block_merge_config_selectorIlNS0_10empty_typeEEEZZNS1_27merge_sort_block_merge_implIS3_PlPS5_mZN2at6native12_GLOBAL__N_124unique_dim_cuda_templateImEESt5tupleIJNSA_6TensorESF_SF_EERKSF_lbbbEUlllE_EE10hipError_tT0_T1_T2_jT3_P12ihipStream_tbPNSt15iterator_traitsISL_E10value_typeEPNSR_ISM_E10value_typeEPSN_NS1_7vsmem_tEENKUlT_SL_SM_SN_E_clIS8_S8_S9_S9_EESK_S10_SL_SM_SN_EUlS10_E0_NS1_11comp_targetILNS1_3genE8ELNS1_11target_archE1030ELNS1_3gpuE2ELNS1_3repE0EEENS1_38merge_mergepath_config_static_selectorELNS0_4arch9wavefront6targetE0EEEvSM_
; %bb.0:
	.section	.rodata,"a",@progbits
	.p2align	6, 0x0
	.amdhsa_kernel _ZN7rocprim17ROCPRIM_400000_NS6detail17trampoline_kernelINS0_14default_configENS1_38merge_sort_block_merge_config_selectorIlNS0_10empty_typeEEEZZNS1_27merge_sort_block_merge_implIS3_PlPS5_mZN2at6native12_GLOBAL__N_124unique_dim_cuda_templateImEESt5tupleIJNSA_6TensorESF_SF_EERKSF_lbbbEUlllE_EE10hipError_tT0_T1_T2_jT3_P12ihipStream_tbPNSt15iterator_traitsISL_E10value_typeEPNSR_ISM_E10value_typeEPSN_NS1_7vsmem_tEENKUlT_SL_SM_SN_E_clIS8_S8_S9_S9_EESK_S10_SL_SM_SN_EUlS10_E0_NS1_11comp_targetILNS1_3genE8ELNS1_11target_archE1030ELNS1_3gpuE2ELNS1_3repE0EEENS1_38merge_mergepath_config_static_selectorELNS0_4arch9wavefront6targetE0EEEvSM_
		.amdhsa_group_segment_fixed_size 0
		.amdhsa_private_segment_fixed_size 0
		.amdhsa_kernarg_size 88
		.amdhsa_user_sgpr_count 15
		.amdhsa_user_sgpr_dispatch_ptr 0
		.amdhsa_user_sgpr_queue_ptr 0
		.amdhsa_user_sgpr_kernarg_segment_ptr 1
		.amdhsa_user_sgpr_dispatch_id 0
		.amdhsa_user_sgpr_private_segment_size 0
		.amdhsa_wavefront_size32 1
		.amdhsa_uses_dynamic_stack 0
		.amdhsa_enable_private_segment 0
		.amdhsa_system_sgpr_workgroup_id_x 1
		.amdhsa_system_sgpr_workgroup_id_y 0
		.amdhsa_system_sgpr_workgroup_id_z 0
		.amdhsa_system_sgpr_workgroup_info 0
		.amdhsa_system_vgpr_workitem_id 0
		.amdhsa_next_free_vgpr 1
		.amdhsa_next_free_sgpr 1
		.amdhsa_reserve_vcc 0
		.amdhsa_float_round_mode_32 0
		.amdhsa_float_round_mode_16_64 0
		.amdhsa_float_denorm_mode_32 3
		.amdhsa_float_denorm_mode_16_64 3
		.amdhsa_dx10_clamp 1
		.amdhsa_ieee_mode 1
		.amdhsa_fp16_overflow 0
		.amdhsa_workgroup_processor_mode 1
		.amdhsa_memory_ordered 1
		.amdhsa_forward_progress 0
		.amdhsa_shared_vgpr_count 0
		.amdhsa_exception_fp_ieee_invalid_op 0
		.amdhsa_exception_fp_denorm_src 0
		.amdhsa_exception_fp_ieee_div_zero 0
		.amdhsa_exception_fp_ieee_overflow 0
		.amdhsa_exception_fp_ieee_underflow 0
		.amdhsa_exception_fp_ieee_inexact 0
		.amdhsa_exception_int_div_zero 0
	.end_amdhsa_kernel
	.section	.text._ZN7rocprim17ROCPRIM_400000_NS6detail17trampoline_kernelINS0_14default_configENS1_38merge_sort_block_merge_config_selectorIlNS0_10empty_typeEEEZZNS1_27merge_sort_block_merge_implIS3_PlPS5_mZN2at6native12_GLOBAL__N_124unique_dim_cuda_templateImEESt5tupleIJNSA_6TensorESF_SF_EERKSF_lbbbEUlllE_EE10hipError_tT0_T1_T2_jT3_P12ihipStream_tbPNSt15iterator_traitsISL_E10value_typeEPNSR_ISM_E10value_typeEPSN_NS1_7vsmem_tEENKUlT_SL_SM_SN_E_clIS8_S8_S9_S9_EESK_S10_SL_SM_SN_EUlS10_E0_NS1_11comp_targetILNS1_3genE8ELNS1_11target_archE1030ELNS1_3gpuE2ELNS1_3repE0EEENS1_38merge_mergepath_config_static_selectorELNS0_4arch9wavefront6targetE0EEEvSM_,"axG",@progbits,_ZN7rocprim17ROCPRIM_400000_NS6detail17trampoline_kernelINS0_14default_configENS1_38merge_sort_block_merge_config_selectorIlNS0_10empty_typeEEEZZNS1_27merge_sort_block_merge_implIS3_PlPS5_mZN2at6native12_GLOBAL__N_124unique_dim_cuda_templateImEESt5tupleIJNSA_6TensorESF_SF_EERKSF_lbbbEUlllE_EE10hipError_tT0_T1_T2_jT3_P12ihipStream_tbPNSt15iterator_traitsISL_E10value_typeEPNSR_ISM_E10value_typeEPSN_NS1_7vsmem_tEENKUlT_SL_SM_SN_E_clIS8_S8_S9_S9_EESK_S10_SL_SM_SN_EUlS10_E0_NS1_11comp_targetILNS1_3genE8ELNS1_11target_archE1030ELNS1_3gpuE2ELNS1_3repE0EEENS1_38merge_mergepath_config_static_selectorELNS0_4arch9wavefront6targetE0EEEvSM_,comdat
.Lfunc_end1627:
	.size	_ZN7rocprim17ROCPRIM_400000_NS6detail17trampoline_kernelINS0_14default_configENS1_38merge_sort_block_merge_config_selectorIlNS0_10empty_typeEEEZZNS1_27merge_sort_block_merge_implIS3_PlPS5_mZN2at6native12_GLOBAL__N_124unique_dim_cuda_templateImEESt5tupleIJNSA_6TensorESF_SF_EERKSF_lbbbEUlllE_EE10hipError_tT0_T1_T2_jT3_P12ihipStream_tbPNSt15iterator_traitsISL_E10value_typeEPNSR_ISM_E10value_typeEPSN_NS1_7vsmem_tEENKUlT_SL_SM_SN_E_clIS8_S8_S9_S9_EESK_S10_SL_SM_SN_EUlS10_E0_NS1_11comp_targetILNS1_3genE8ELNS1_11target_archE1030ELNS1_3gpuE2ELNS1_3repE0EEENS1_38merge_mergepath_config_static_selectorELNS0_4arch9wavefront6targetE0EEEvSM_, .Lfunc_end1627-_ZN7rocprim17ROCPRIM_400000_NS6detail17trampoline_kernelINS0_14default_configENS1_38merge_sort_block_merge_config_selectorIlNS0_10empty_typeEEEZZNS1_27merge_sort_block_merge_implIS3_PlPS5_mZN2at6native12_GLOBAL__N_124unique_dim_cuda_templateImEESt5tupleIJNSA_6TensorESF_SF_EERKSF_lbbbEUlllE_EE10hipError_tT0_T1_T2_jT3_P12ihipStream_tbPNSt15iterator_traitsISL_E10value_typeEPNSR_ISM_E10value_typeEPSN_NS1_7vsmem_tEENKUlT_SL_SM_SN_E_clIS8_S8_S9_S9_EESK_S10_SL_SM_SN_EUlS10_E0_NS1_11comp_targetILNS1_3genE8ELNS1_11target_archE1030ELNS1_3gpuE2ELNS1_3repE0EEENS1_38merge_mergepath_config_static_selectorELNS0_4arch9wavefront6targetE0EEEvSM_
                                        ; -- End function
	.section	.AMDGPU.csdata,"",@progbits
; Kernel info:
; codeLenInByte = 0
; NumSgprs: 0
; NumVgprs: 0
; ScratchSize: 0
; MemoryBound: 0
; FloatMode: 240
; IeeeMode: 1
; LDSByteSize: 0 bytes/workgroup (compile time only)
; SGPRBlocks: 0
; VGPRBlocks: 0
; NumSGPRsForWavesPerEU: 1
; NumVGPRsForWavesPerEU: 1
; Occupancy: 16
; WaveLimiterHint : 0
; COMPUTE_PGM_RSRC2:SCRATCH_EN: 0
; COMPUTE_PGM_RSRC2:USER_SGPR: 15
; COMPUTE_PGM_RSRC2:TRAP_HANDLER: 0
; COMPUTE_PGM_RSRC2:TGID_X_EN: 1
; COMPUTE_PGM_RSRC2:TGID_Y_EN: 0
; COMPUTE_PGM_RSRC2:TGID_Z_EN: 0
; COMPUTE_PGM_RSRC2:TIDIG_COMP_CNT: 0
	.section	.text._ZN7rocprim17ROCPRIM_400000_NS6detail17trampoline_kernelINS0_14default_configENS1_38merge_sort_block_merge_config_selectorIlNS0_10empty_typeEEEZZNS1_27merge_sort_block_merge_implIS3_PlPS5_mZN2at6native12_GLOBAL__N_124unique_dim_cuda_templateImEESt5tupleIJNSA_6TensorESF_SF_EERKSF_lbbbEUlllE_EE10hipError_tT0_T1_T2_jT3_P12ihipStream_tbPNSt15iterator_traitsISL_E10value_typeEPNSR_ISM_E10value_typeEPSN_NS1_7vsmem_tEENKUlT_SL_SM_SN_E_clIS8_S8_S9_S9_EESK_S10_SL_SM_SN_EUlS10_E1_NS1_11comp_targetILNS1_3genE0ELNS1_11target_archE4294967295ELNS1_3gpuE0ELNS1_3repE0EEENS1_36merge_oddeven_config_static_selectorELNS0_4arch9wavefront6targetE0EEEvSM_,"axG",@progbits,_ZN7rocprim17ROCPRIM_400000_NS6detail17trampoline_kernelINS0_14default_configENS1_38merge_sort_block_merge_config_selectorIlNS0_10empty_typeEEEZZNS1_27merge_sort_block_merge_implIS3_PlPS5_mZN2at6native12_GLOBAL__N_124unique_dim_cuda_templateImEESt5tupleIJNSA_6TensorESF_SF_EERKSF_lbbbEUlllE_EE10hipError_tT0_T1_T2_jT3_P12ihipStream_tbPNSt15iterator_traitsISL_E10value_typeEPNSR_ISM_E10value_typeEPSN_NS1_7vsmem_tEENKUlT_SL_SM_SN_E_clIS8_S8_S9_S9_EESK_S10_SL_SM_SN_EUlS10_E1_NS1_11comp_targetILNS1_3genE0ELNS1_11target_archE4294967295ELNS1_3gpuE0ELNS1_3repE0EEENS1_36merge_oddeven_config_static_selectorELNS0_4arch9wavefront6targetE0EEEvSM_,comdat
	.globl	_ZN7rocprim17ROCPRIM_400000_NS6detail17trampoline_kernelINS0_14default_configENS1_38merge_sort_block_merge_config_selectorIlNS0_10empty_typeEEEZZNS1_27merge_sort_block_merge_implIS3_PlPS5_mZN2at6native12_GLOBAL__N_124unique_dim_cuda_templateImEESt5tupleIJNSA_6TensorESF_SF_EERKSF_lbbbEUlllE_EE10hipError_tT0_T1_T2_jT3_P12ihipStream_tbPNSt15iterator_traitsISL_E10value_typeEPNSR_ISM_E10value_typeEPSN_NS1_7vsmem_tEENKUlT_SL_SM_SN_E_clIS8_S8_S9_S9_EESK_S10_SL_SM_SN_EUlS10_E1_NS1_11comp_targetILNS1_3genE0ELNS1_11target_archE4294967295ELNS1_3gpuE0ELNS1_3repE0EEENS1_36merge_oddeven_config_static_selectorELNS0_4arch9wavefront6targetE0EEEvSM_ ; -- Begin function _ZN7rocprim17ROCPRIM_400000_NS6detail17trampoline_kernelINS0_14default_configENS1_38merge_sort_block_merge_config_selectorIlNS0_10empty_typeEEEZZNS1_27merge_sort_block_merge_implIS3_PlPS5_mZN2at6native12_GLOBAL__N_124unique_dim_cuda_templateImEESt5tupleIJNSA_6TensorESF_SF_EERKSF_lbbbEUlllE_EE10hipError_tT0_T1_T2_jT3_P12ihipStream_tbPNSt15iterator_traitsISL_E10value_typeEPNSR_ISM_E10value_typeEPSN_NS1_7vsmem_tEENKUlT_SL_SM_SN_E_clIS8_S8_S9_S9_EESK_S10_SL_SM_SN_EUlS10_E1_NS1_11comp_targetILNS1_3genE0ELNS1_11target_archE4294967295ELNS1_3gpuE0ELNS1_3repE0EEENS1_36merge_oddeven_config_static_selectorELNS0_4arch9wavefront6targetE0EEEvSM_
	.p2align	8
	.type	_ZN7rocprim17ROCPRIM_400000_NS6detail17trampoline_kernelINS0_14default_configENS1_38merge_sort_block_merge_config_selectorIlNS0_10empty_typeEEEZZNS1_27merge_sort_block_merge_implIS3_PlPS5_mZN2at6native12_GLOBAL__N_124unique_dim_cuda_templateImEESt5tupleIJNSA_6TensorESF_SF_EERKSF_lbbbEUlllE_EE10hipError_tT0_T1_T2_jT3_P12ihipStream_tbPNSt15iterator_traitsISL_E10value_typeEPNSR_ISM_E10value_typeEPSN_NS1_7vsmem_tEENKUlT_SL_SM_SN_E_clIS8_S8_S9_S9_EESK_S10_SL_SM_SN_EUlS10_E1_NS1_11comp_targetILNS1_3genE0ELNS1_11target_archE4294967295ELNS1_3gpuE0ELNS1_3repE0EEENS1_36merge_oddeven_config_static_selectorELNS0_4arch9wavefront6targetE0EEEvSM_,@function
_ZN7rocprim17ROCPRIM_400000_NS6detail17trampoline_kernelINS0_14default_configENS1_38merge_sort_block_merge_config_selectorIlNS0_10empty_typeEEEZZNS1_27merge_sort_block_merge_implIS3_PlPS5_mZN2at6native12_GLOBAL__N_124unique_dim_cuda_templateImEESt5tupleIJNSA_6TensorESF_SF_EERKSF_lbbbEUlllE_EE10hipError_tT0_T1_T2_jT3_P12ihipStream_tbPNSt15iterator_traitsISL_E10value_typeEPNSR_ISM_E10value_typeEPSN_NS1_7vsmem_tEENKUlT_SL_SM_SN_E_clIS8_S8_S9_S9_EESK_S10_SL_SM_SN_EUlS10_E1_NS1_11comp_targetILNS1_3genE0ELNS1_11target_archE4294967295ELNS1_3gpuE0ELNS1_3repE0EEENS1_36merge_oddeven_config_static_selectorELNS0_4arch9wavefront6targetE0EEEvSM_: ; @_ZN7rocprim17ROCPRIM_400000_NS6detail17trampoline_kernelINS0_14default_configENS1_38merge_sort_block_merge_config_selectorIlNS0_10empty_typeEEEZZNS1_27merge_sort_block_merge_implIS3_PlPS5_mZN2at6native12_GLOBAL__N_124unique_dim_cuda_templateImEESt5tupleIJNSA_6TensorESF_SF_EERKSF_lbbbEUlllE_EE10hipError_tT0_T1_T2_jT3_P12ihipStream_tbPNSt15iterator_traitsISL_E10value_typeEPNSR_ISM_E10value_typeEPSN_NS1_7vsmem_tEENKUlT_SL_SM_SN_E_clIS8_S8_S9_S9_EESK_S10_SL_SM_SN_EUlS10_E1_NS1_11comp_targetILNS1_3genE0ELNS1_11target_archE4294967295ELNS1_3gpuE0ELNS1_3repE0EEENS1_36merge_oddeven_config_static_selectorELNS0_4arch9wavefront6targetE0EEEvSM_
; %bb.0:
	.section	.rodata,"a",@progbits
	.p2align	6, 0x0
	.amdhsa_kernel _ZN7rocprim17ROCPRIM_400000_NS6detail17trampoline_kernelINS0_14default_configENS1_38merge_sort_block_merge_config_selectorIlNS0_10empty_typeEEEZZNS1_27merge_sort_block_merge_implIS3_PlPS5_mZN2at6native12_GLOBAL__N_124unique_dim_cuda_templateImEESt5tupleIJNSA_6TensorESF_SF_EERKSF_lbbbEUlllE_EE10hipError_tT0_T1_T2_jT3_P12ihipStream_tbPNSt15iterator_traitsISL_E10value_typeEPNSR_ISM_E10value_typeEPSN_NS1_7vsmem_tEENKUlT_SL_SM_SN_E_clIS8_S8_S9_S9_EESK_S10_SL_SM_SN_EUlS10_E1_NS1_11comp_targetILNS1_3genE0ELNS1_11target_archE4294967295ELNS1_3gpuE0ELNS1_3repE0EEENS1_36merge_oddeven_config_static_selectorELNS0_4arch9wavefront6targetE0EEEvSM_
		.amdhsa_group_segment_fixed_size 0
		.amdhsa_private_segment_fixed_size 0
		.amdhsa_kernarg_size 64
		.amdhsa_user_sgpr_count 15
		.amdhsa_user_sgpr_dispatch_ptr 0
		.amdhsa_user_sgpr_queue_ptr 0
		.amdhsa_user_sgpr_kernarg_segment_ptr 1
		.amdhsa_user_sgpr_dispatch_id 0
		.amdhsa_user_sgpr_private_segment_size 0
		.amdhsa_wavefront_size32 1
		.amdhsa_uses_dynamic_stack 0
		.amdhsa_enable_private_segment 0
		.amdhsa_system_sgpr_workgroup_id_x 1
		.amdhsa_system_sgpr_workgroup_id_y 0
		.amdhsa_system_sgpr_workgroup_id_z 0
		.amdhsa_system_sgpr_workgroup_info 0
		.amdhsa_system_vgpr_workitem_id 0
		.amdhsa_next_free_vgpr 1
		.amdhsa_next_free_sgpr 1
		.amdhsa_reserve_vcc 0
		.amdhsa_float_round_mode_32 0
		.amdhsa_float_round_mode_16_64 0
		.amdhsa_float_denorm_mode_32 3
		.amdhsa_float_denorm_mode_16_64 3
		.amdhsa_dx10_clamp 1
		.amdhsa_ieee_mode 1
		.amdhsa_fp16_overflow 0
		.amdhsa_workgroup_processor_mode 1
		.amdhsa_memory_ordered 1
		.amdhsa_forward_progress 0
		.amdhsa_shared_vgpr_count 0
		.amdhsa_exception_fp_ieee_invalid_op 0
		.amdhsa_exception_fp_denorm_src 0
		.amdhsa_exception_fp_ieee_div_zero 0
		.amdhsa_exception_fp_ieee_overflow 0
		.amdhsa_exception_fp_ieee_underflow 0
		.amdhsa_exception_fp_ieee_inexact 0
		.amdhsa_exception_int_div_zero 0
	.end_amdhsa_kernel
	.section	.text._ZN7rocprim17ROCPRIM_400000_NS6detail17trampoline_kernelINS0_14default_configENS1_38merge_sort_block_merge_config_selectorIlNS0_10empty_typeEEEZZNS1_27merge_sort_block_merge_implIS3_PlPS5_mZN2at6native12_GLOBAL__N_124unique_dim_cuda_templateImEESt5tupleIJNSA_6TensorESF_SF_EERKSF_lbbbEUlllE_EE10hipError_tT0_T1_T2_jT3_P12ihipStream_tbPNSt15iterator_traitsISL_E10value_typeEPNSR_ISM_E10value_typeEPSN_NS1_7vsmem_tEENKUlT_SL_SM_SN_E_clIS8_S8_S9_S9_EESK_S10_SL_SM_SN_EUlS10_E1_NS1_11comp_targetILNS1_3genE0ELNS1_11target_archE4294967295ELNS1_3gpuE0ELNS1_3repE0EEENS1_36merge_oddeven_config_static_selectorELNS0_4arch9wavefront6targetE0EEEvSM_,"axG",@progbits,_ZN7rocprim17ROCPRIM_400000_NS6detail17trampoline_kernelINS0_14default_configENS1_38merge_sort_block_merge_config_selectorIlNS0_10empty_typeEEEZZNS1_27merge_sort_block_merge_implIS3_PlPS5_mZN2at6native12_GLOBAL__N_124unique_dim_cuda_templateImEESt5tupleIJNSA_6TensorESF_SF_EERKSF_lbbbEUlllE_EE10hipError_tT0_T1_T2_jT3_P12ihipStream_tbPNSt15iterator_traitsISL_E10value_typeEPNSR_ISM_E10value_typeEPSN_NS1_7vsmem_tEENKUlT_SL_SM_SN_E_clIS8_S8_S9_S9_EESK_S10_SL_SM_SN_EUlS10_E1_NS1_11comp_targetILNS1_3genE0ELNS1_11target_archE4294967295ELNS1_3gpuE0ELNS1_3repE0EEENS1_36merge_oddeven_config_static_selectorELNS0_4arch9wavefront6targetE0EEEvSM_,comdat
.Lfunc_end1628:
	.size	_ZN7rocprim17ROCPRIM_400000_NS6detail17trampoline_kernelINS0_14default_configENS1_38merge_sort_block_merge_config_selectorIlNS0_10empty_typeEEEZZNS1_27merge_sort_block_merge_implIS3_PlPS5_mZN2at6native12_GLOBAL__N_124unique_dim_cuda_templateImEESt5tupleIJNSA_6TensorESF_SF_EERKSF_lbbbEUlllE_EE10hipError_tT0_T1_T2_jT3_P12ihipStream_tbPNSt15iterator_traitsISL_E10value_typeEPNSR_ISM_E10value_typeEPSN_NS1_7vsmem_tEENKUlT_SL_SM_SN_E_clIS8_S8_S9_S9_EESK_S10_SL_SM_SN_EUlS10_E1_NS1_11comp_targetILNS1_3genE0ELNS1_11target_archE4294967295ELNS1_3gpuE0ELNS1_3repE0EEENS1_36merge_oddeven_config_static_selectorELNS0_4arch9wavefront6targetE0EEEvSM_, .Lfunc_end1628-_ZN7rocprim17ROCPRIM_400000_NS6detail17trampoline_kernelINS0_14default_configENS1_38merge_sort_block_merge_config_selectorIlNS0_10empty_typeEEEZZNS1_27merge_sort_block_merge_implIS3_PlPS5_mZN2at6native12_GLOBAL__N_124unique_dim_cuda_templateImEESt5tupleIJNSA_6TensorESF_SF_EERKSF_lbbbEUlllE_EE10hipError_tT0_T1_T2_jT3_P12ihipStream_tbPNSt15iterator_traitsISL_E10value_typeEPNSR_ISM_E10value_typeEPSN_NS1_7vsmem_tEENKUlT_SL_SM_SN_E_clIS8_S8_S9_S9_EESK_S10_SL_SM_SN_EUlS10_E1_NS1_11comp_targetILNS1_3genE0ELNS1_11target_archE4294967295ELNS1_3gpuE0ELNS1_3repE0EEENS1_36merge_oddeven_config_static_selectorELNS0_4arch9wavefront6targetE0EEEvSM_
                                        ; -- End function
	.section	.AMDGPU.csdata,"",@progbits
; Kernel info:
; codeLenInByte = 0
; NumSgprs: 0
; NumVgprs: 0
; ScratchSize: 0
; MemoryBound: 0
; FloatMode: 240
; IeeeMode: 1
; LDSByteSize: 0 bytes/workgroup (compile time only)
; SGPRBlocks: 0
; VGPRBlocks: 0
; NumSGPRsForWavesPerEU: 1
; NumVGPRsForWavesPerEU: 1
; Occupancy: 16
; WaveLimiterHint : 0
; COMPUTE_PGM_RSRC2:SCRATCH_EN: 0
; COMPUTE_PGM_RSRC2:USER_SGPR: 15
; COMPUTE_PGM_RSRC2:TRAP_HANDLER: 0
; COMPUTE_PGM_RSRC2:TGID_X_EN: 1
; COMPUTE_PGM_RSRC2:TGID_Y_EN: 0
; COMPUTE_PGM_RSRC2:TGID_Z_EN: 0
; COMPUTE_PGM_RSRC2:TIDIG_COMP_CNT: 0
	.section	.text._ZN7rocprim17ROCPRIM_400000_NS6detail17trampoline_kernelINS0_14default_configENS1_38merge_sort_block_merge_config_selectorIlNS0_10empty_typeEEEZZNS1_27merge_sort_block_merge_implIS3_PlPS5_mZN2at6native12_GLOBAL__N_124unique_dim_cuda_templateImEESt5tupleIJNSA_6TensorESF_SF_EERKSF_lbbbEUlllE_EE10hipError_tT0_T1_T2_jT3_P12ihipStream_tbPNSt15iterator_traitsISL_E10value_typeEPNSR_ISM_E10value_typeEPSN_NS1_7vsmem_tEENKUlT_SL_SM_SN_E_clIS8_S8_S9_S9_EESK_S10_SL_SM_SN_EUlS10_E1_NS1_11comp_targetILNS1_3genE10ELNS1_11target_archE1201ELNS1_3gpuE5ELNS1_3repE0EEENS1_36merge_oddeven_config_static_selectorELNS0_4arch9wavefront6targetE0EEEvSM_,"axG",@progbits,_ZN7rocprim17ROCPRIM_400000_NS6detail17trampoline_kernelINS0_14default_configENS1_38merge_sort_block_merge_config_selectorIlNS0_10empty_typeEEEZZNS1_27merge_sort_block_merge_implIS3_PlPS5_mZN2at6native12_GLOBAL__N_124unique_dim_cuda_templateImEESt5tupleIJNSA_6TensorESF_SF_EERKSF_lbbbEUlllE_EE10hipError_tT0_T1_T2_jT3_P12ihipStream_tbPNSt15iterator_traitsISL_E10value_typeEPNSR_ISM_E10value_typeEPSN_NS1_7vsmem_tEENKUlT_SL_SM_SN_E_clIS8_S8_S9_S9_EESK_S10_SL_SM_SN_EUlS10_E1_NS1_11comp_targetILNS1_3genE10ELNS1_11target_archE1201ELNS1_3gpuE5ELNS1_3repE0EEENS1_36merge_oddeven_config_static_selectorELNS0_4arch9wavefront6targetE0EEEvSM_,comdat
	.globl	_ZN7rocprim17ROCPRIM_400000_NS6detail17trampoline_kernelINS0_14default_configENS1_38merge_sort_block_merge_config_selectorIlNS0_10empty_typeEEEZZNS1_27merge_sort_block_merge_implIS3_PlPS5_mZN2at6native12_GLOBAL__N_124unique_dim_cuda_templateImEESt5tupleIJNSA_6TensorESF_SF_EERKSF_lbbbEUlllE_EE10hipError_tT0_T1_T2_jT3_P12ihipStream_tbPNSt15iterator_traitsISL_E10value_typeEPNSR_ISM_E10value_typeEPSN_NS1_7vsmem_tEENKUlT_SL_SM_SN_E_clIS8_S8_S9_S9_EESK_S10_SL_SM_SN_EUlS10_E1_NS1_11comp_targetILNS1_3genE10ELNS1_11target_archE1201ELNS1_3gpuE5ELNS1_3repE0EEENS1_36merge_oddeven_config_static_selectorELNS0_4arch9wavefront6targetE0EEEvSM_ ; -- Begin function _ZN7rocprim17ROCPRIM_400000_NS6detail17trampoline_kernelINS0_14default_configENS1_38merge_sort_block_merge_config_selectorIlNS0_10empty_typeEEEZZNS1_27merge_sort_block_merge_implIS3_PlPS5_mZN2at6native12_GLOBAL__N_124unique_dim_cuda_templateImEESt5tupleIJNSA_6TensorESF_SF_EERKSF_lbbbEUlllE_EE10hipError_tT0_T1_T2_jT3_P12ihipStream_tbPNSt15iterator_traitsISL_E10value_typeEPNSR_ISM_E10value_typeEPSN_NS1_7vsmem_tEENKUlT_SL_SM_SN_E_clIS8_S8_S9_S9_EESK_S10_SL_SM_SN_EUlS10_E1_NS1_11comp_targetILNS1_3genE10ELNS1_11target_archE1201ELNS1_3gpuE5ELNS1_3repE0EEENS1_36merge_oddeven_config_static_selectorELNS0_4arch9wavefront6targetE0EEEvSM_
	.p2align	8
	.type	_ZN7rocprim17ROCPRIM_400000_NS6detail17trampoline_kernelINS0_14default_configENS1_38merge_sort_block_merge_config_selectorIlNS0_10empty_typeEEEZZNS1_27merge_sort_block_merge_implIS3_PlPS5_mZN2at6native12_GLOBAL__N_124unique_dim_cuda_templateImEESt5tupleIJNSA_6TensorESF_SF_EERKSF_lbbbEUlllE_EE10hipError_tT0_T1_T2_jT3_P12ihipStream_tbPNSt15iterator_traitsISL_E10value_typeEPNSR_ISM_E10value_typeEPSN_NS1_7vsmem_tEENKUlT_SL_SM_SN_E_clIS8_S8_S9_S9_EESK_S10_SL_SM_SN_EUlS10_E1_NS1_11comp_targetILNS1_3genE10ELNS1_11target_archE1201ELNS1_3gpuE5ELNS1_3repE0EEENS1_36merge_oddeven_config_static_selectorELNS0_4arch9wavefront6targetE0EEEvSM_,@function
_ZN7rocprim17ROCPRIM_400000_NS6detail17trampoline_kernelINS0_14default_configENS1_38merge_sort_block_merge_config_selectorIlNS0_10empty_typeEEEZZNS1_27merge_sort_block_merge_implIS3_PlPS5_mZN2at6native12_GLOBAL__N_124unique_dim_cuda_templateImEESt5tupleIJNSA_6TensorESF_SF_EERKSF_lbbbEUlllE_EE10hipError_tT0_T1_T2_jT3_P12ihipStream_tbPNSt15iterator_traitsISL_E10value_typeEPNSR_ISM_E10value_typeEPSN_NS1_7vsmem_tEENKUlT_SL_SM_SN_E_clIS8_S8_S9_S9_EESK_S10_SL_SM_SN_EUlS10_E1_NS1_11comp_targetILNS1_3genE10ELNS1_11target_archE1201ELNS1_3gpuE5ELNS1_3repE0EEENS1_36merge_oddeven_config_static_selectorELNS0_4arch9wavefront6targetE0EEEvSM_: ; @_ZN7rocprim17ROCPRIM_400000_NS6detail17trampoline_kernelINS0_14default_configENS1_38merge_sort_block_merge_config_selectorIlNS0_10empty_typeEEEZZNS1_27merge_sort_block_merge_implIS3_PlPS5_mZN2at6native12_GLOBAL__N_124unique_dim_cuda_templateImEESt5tupleIJNSA_6TensorESF_SF_EERKSF_lbbbEUlllE_EE10hipError_tT0_T1_T2_jT3_P12ihipStream_tbPNSt15iterator_traitsISL_E10value_typeEPNSR_ISM_E10value_typeEPSN_NS1_7vsmem_tEENKUlT_SL_SM_SN_E_clIS8_S8_S9_S9_EESK_S10_SL_SM_SN_EUlS10_E1_NS1_11comp_targetILNS1_3genE10ELNS1_11target_archE1201ELNS1_3gpuE5ELNS1_3repE0EEENS1_36merge_oddeven_config_static_selectorELNS0_4arch9wavefront6targetE0EEEvSM_
; %bb.0:
	.section	.rodata,"a",@progbits
	.p2align	6, 0x0
	.amdhsa_kernel _ZN7rocprim17ROCPRIM_400000_NS6detail17trampoline_kernelINS0_14default_configENS1_38merge_sort_block_merge_config_selectorIlNS0_10empty_typeEEEZZNS1_27merge_sort_block_merge_implIS3_PlPS5_mZN2at6native12_GLOBAL__N_124unique_dim_cuda_templateImEESt5tupleIJNSA_6TensorESF_SF_EERKSF_lbbbEUlllE_EE10hipError_tT0_T1_T2_jT3_P12ihipStream_tbPNSt15iterator_traitsISL_E10value_typeEPNSR_ISM_E10value_typeEPSN_NS1_7vsmem_tEENKUlT_SL_SM_SN_E_clIS8_S8_S9_S9_EESK_S10_SL_SM_SN_EUlS10_E1_NS1_11comp_targetILNS1_3genE10ELNS1_11target_archE1201ELNS1_3gpuE5ELNS1_3repE0EEENS1_36merge_oddeven_config_static_selectorELNS0_4arch9wavefront6targetE0EEEvSM_
		.amdhsa_group_segment_fixed_size 0
		.amdhsa_private_segment_fixed_size 0
		.amdhsa_kernarg_size 64
		.amdhsa_user_sgpr_count 15
		.amdhsa_user_sgpr_dispatch_ptr 0
		.amdhsa_user_sgpr_queue_ptr 0
		.amdhsa_user_sgpr_kernarg_segment_ptr 1
		.amdhsa_user_sgpr_dispatch_id 0
		.amdhsa_user_sgpr_private_segment_size 0
		.amdhsa_wavefront_size32 1
		.amdhsa_uses_dynamic_stack 0
		.amdhsa_enable_private_segment 0
		.amdhsa_system_sgpr_workgroup_id_x 1
		.amdhsa_system_sgpr_workgroup_id_y 0
		.amdhsa_system_sgpr_workgroup_id_z 0
		.amdhsa_system_sgpr_workgroup_info 0
		.amdhsa_system_vgpr_workitem_id 0
		.amdhsa_next_free_vgpr 1
		.amdhsa_next_free_sgpr 1
		.amdhsa_reserve_vcc 0
		.amdhsa_float_round_mode_32 0
		.amdhsa_float_round_mode_16_64 0
		.amdhsa_float_denorm_mode_32 3
		.amdhsa_float_denorm_mode_16_64 3
		.amdhsa_dx10_clamp 1
		.amdhsa_ieee_mode 1
		.amdhsa_fp16_overflow 0
		.amdhsa_workgroup_processor_mode 1
		.amdhsa_memory_ordered 1
		.amdhsa_forward_progress 0
		.amdhsa_shared_vgpr_count 0
		.amdhsa_exception_fp_ieee_invalid_op 0
		.amdhsa_exception_fp_denorm_src 0
		.amdhsa_exception_fp_ieee_div_zero 0
		.amdhsa_exception_fp_ieee_overflow 0
		.amdhsa_exception_fp_ieee_underflow 0
		.amdhsa_exception_fp_ieee_inexact 0
		.amdhsa_exception_int_div_zero 0
	.end_amdhsa_kernel
	.section	.text._ZN7rocprim17ROCPRIM_400000_NS6detail17trampoline_kernelINS0_14default_configENS1_38merge_sort_block_merge_config_selectorIlNS0_10empty_typeEEEZZNS1_27merge_sort_block_merge_implIS3_PlPS5_mZN2at6native12_GLOBAL__N_124unique_dim_cuda_templateImEESt5tupleIJNSA_6TensorESF_SF_EERKSF_lbbbEUlllE_EE10hipError_tT0_T1_T2_jT3_P12ihipStream_tbPNSt15iterator_traitsISL_E10value_typeEPNSR_ISM_E10value_typeEPSN_NS1_7vsmem_tEENKUlT_SL_SM_SN_E_clIS8_S8_S9_S9_EESK_S10_SL_SM_SN_EUlS10_E1_NS1_11comp_targetILNS1_3genE10ELNS1_11target_archE1201ELNS1_3gpuE5ELNS1_3repE0EEENS1_36merge_oddeven_config_static_selectorELNS0_4arch9wavefront6targetE0EEEvSM_,"axG",@progbits,_ZN7rocprim17ROCPRIM_400000_NS6detail17trampoline_kernelINS0_14default_configENS1_38merge_sort_block_merge_config_selectorIlNS0_10empty_typeEEEZZNS1_27merge_sort_block_merge_implIS3_PlPS5_mZN2at6native12_GLOBAL__N_124unique_dim_cuda_templateImEESt5tupleIJNSA_6TensorESF_SF_EERKSF_lbbbEUlllE_EE10hipError_tT0_T1_T2_jT3_P12ihipStream_tbPNSt15iterator_traitsISL_E10value_typeEPNSR_ISM_E10value_typeEPSN_NS1_7vsmem_tEENKUlT_SL_SM_SN_E_clIS8_S8_S9_S9_EESK_S10_SL_SM_SN_EUlS10_E1_NS1_11comp_targetILNS1_3genE10ELNS1_11target_archE1201ELNS1_3gpuE5ELNS1_3repE0EEENS1_36merge_oddeven_config_static_selectorELNS0_4arch9wavefront6targetE0EEEvSM_,comdat
.Lfunc_end1629:
	.size	_ZN7rocprim17ROCPRIM_400000_NS6detail17trampoline_kernelINS0_14default_configENS1_38merge_sort_block_merge_config_selectorIlNS0_10empty_typeEEEZZNS1_27merge_sort_block_merge_implIS3_PlPS5_mZN2at6native12_GLOBAL__N_124unique_dim_cuda_templateImEESt5tupleIJNSA_6TensorESF_SF_EERKSF_lbbbEUlllE_EE10hipError_tT0_T1_T2_jT3_P12ihipStream_tbPNSt15iterator_traitsISL_E10value_typeEPNSR_ISM_E10value_typeEPSN_NS1_7vsmem_tEENKUlT_SL_SM_SN_E_clIS8_S8_S9_S9_EESK_S10_SL_SM_SN_EUlS10_E1_NS1_11comp_targetILNS1_3genE10ELNS1_11target_archE1201ELNS1_3gpuE5ELNS1_3repE0EEENS1_36merge_oddeven_config_static_selectorELNS0_4arch9wavefront6targetE0EEEvSM_, .Lfunc_end1629-_ZN7rocprim17ROCPRIM_400000_NS6detail17trampoline_kernelINS0_14default_configENS1_38merge_sort_block_merge_config_selectorIlNS0_10empty_typeEEEZZNS1_27merge_sort_block_merge_implIS3_PlPS5_mZN2at6native12_GLOBAL__N_124unique_dim_cuda_templateImEESt5tupleIJNSA_6TensorESF_SF_EERKSF_lbbbEUlllE_EE10hipError_tT0_T1_T2_jT3_P12ihipStream_tbPNSt15iterator_traitsISL_E10value_typeEPNSR_ISM_E10value_typeEPSN_NS1_7vsmem_tEENKUlT_SL_SM_SN_E_clIS8_S8_S9_S9_EESK_S10_SL_SM_SN_EUlS10_E1_NS1_11comp_targetILNS1_3genE10ELNS1_11target_archE1201ELNS1_3gpuE5ELNS1_3repE0EEENS1_36merge_oddeven_config_static_selectorELNS0_4arch9wavefront6targetE0EEEvSM_
                                        ; -- End function
	.section	.AMDGPU.csdata,"",@progbits
; Kernel info:
; codeLenInByte = 0
; NumSgprs: 0
; NumVgprs: 0
; ScratchSize: 0
; MemoryBound: 0
; FloatMode: 240
; IeeeMode: 1
; LDSByteSize: 0 bytes/workgroup (compile time only)
; SGPRBlocks: 0
; VGPRBlocks: 0
; NumSGPRsForWavesPerEU: 1
; NumVGPRsForWavesPerEU: 1
; Occupancy: 16
; WaveLimiterHint : 0
; COMPUTE_PGM_RSRC2:SCRATCH_EN: 0
; COMPUTE_PGM_RSRC2:USER_SGPR: 15
; COMPUTE_PGM_RSRC2:TRAP_HANDLER: 0
; COMPUTE_PGM_RSRC2:TGID_X_EN: 1
; COMPUTE_PGM_RSRC2:TGID_Y_EN: 0
; COMPUTE_PGM_RSRC2:TGID_Z_EN: 0
; COMPUTE_PGM_RSRC2:TIDIG_COMP_CNT: 0
	.section	.text._ZN7rocprim17ROCPRIM_400000_NS6detail17trampoline_kernelINS0_14default_configENS1_38merge_sort_block_merge_config_selectorIlNS0_10empty_typeEEEZZNS1_27merge_sort_block_merge_implIS3_PlPS5_mZN2at6native12_GLOBAL__N_124unique_dim_cuda_templateImEESt5tupleIJNSA_6TensorESF_SF_EERKSF_lbbbEUlllE_EE10hipError_tT0_T1_T2_jT3_P12ihipStream_tbPNSt15iterator_traitsISL_E10value_typeEPNSR_ISM_E10value_typeEPSN_NS1_7vsmem_tEENKUlT_SL_SM_SN_E_clIS8_S8_S9_S9_EESK_S10_SL_SM_SN_EUlS10_E1_NS1_11comp_targetILNS1_3genE5ELNS1_11target_archE942ELNS1_3gpuE9ELNS1_3repE0EEENS1_36merge_oddeven_config_static_selectorELNS0_4arch9wavefront6targetE0EEEvSM_,"axG",@progbits,_ZN7rocprim17ROCPRIM_400000_NS6detail17trampoline_kernelINS0_14default_configENS1_38merge_sort_block_merge_config_selectorIlNS0_10empty_typeEEEZZNS1_27merge_sort_block_merge_implIS3_PlPS5_mZN2at6native12_GLOBAL__N_124unique_dim_cuda_templateImEESt5tupleIJNSA_6TensorESF_SF_EERKSF_lbbbEUlllE_EE10hipError_tT0_T1_T2_jT3_P12ihipStream_tbPNSt15iterator_traitsISL_E10value_typeEPNSR_ISM_E10value_typeEPSN_NS1_7vsmem_tEENKUlT_SL_SM_SN_E_clIS8_S8_S9_S9_EESK_S10_SL_SM_SN_EUlS10_E1_NS1_11comp_targetILNS1_3genE5ELNS1_11target_archE942ELNS1_3gpuE9ELNS1_3repE0EEENS1_36merge_oddeven_config_static_selectorELNS0_4arch9wavefront6targetE0EEEvSM_,comdat
	.globl	_ZN7rocprim17ROCPRIM_400000_NS6detail17trampoline_kernelINS0_14default_configENS1_38merge_sort_block_merge_config_selectorIlNS0_10empty_typeEEEZZNS1_27merge_sort_block_merge_implIS3_PlPS5_mZN2at6native12_GLOBAL__N_124unique_dim_cuda_templateImEESt5tupleIJNSA_6TensorESF_SF_EERKSF_lbbbEUlllE_EE10hipError_tT0_T1_T2_jT3_P12ihipStream_tbPNSt15iterator_traitsISL_E10value_typeEPNSR_ISM_E10value_typeEPSN_NS1_7vsmem_tEENKUlT_SL_SM_SN_E_clIS8_S8_S9_S9_EESK_S10_SL_SM_SN_EUlS10_E1_NS1_11comp_targetILNS1_3genE5ELNS1_11target_archE942ELNS1_3gpuE9ELNS1_3repE0EEENS1_36merge_oddeven_config_static_selectorELNS0_4arch9wavefront6targetE0EEEvSM_ ; -- Begin function _ZN7rocprim17ROCPRIM_400000_NS6detail17trampoline_kernelINS0_14default_configENS1_38merge_sort_block_merge_config_selectorIlNS0_10empty_typeEEEZZNS1_27merge_sort_block_merge_implIS3_PlPS5_mZN2at6native12_GLOBAL__N_124unique_dim_cuda_templateImEESt5tupleIJNSA_6TensorESF_SF_EERKSF_lbbbEUlllE_EE10hipError_tT0_T1_T2_jT3_P12ihipStream_tbPNSt15iterator_traitsISL_E10value_typeEPNSR_ISM_E10value_typeEPSN_NS1_7vsmem_tEENKUlT_SL_SM_SN_E_clIS8_S8_S9_S9_EESK_S10_SL_SM_SN_EUlS10_E1_NS1_11comp_targetILNS1_3genE5ELNS1_11target_archE942ELNS1_3gpuE9ELNS1_3repE0EEENS1_36merge_oddeven_config_static_selectorELNS0_4arch9wavefront6targetE0EEEvSM_
	.p2align	8
	.type	_ZN7rocprim17ROCPRIM_400000_NS6detail17trampoline_kernelINS0_14default_configENS1_38merge_sort_block_merge_config_selectorIlNS0_10empty_typeEEEZZNS1_27merge_sort_block_merge_implIS3_PlPS5_mZN2at6native12_GLOBAL__N_124unique_dim_cuda_templateImEESt5tupleIJNSA_6TensorESF_SF_EERKSF_lbbbEUlllE_EE10hipError_tT0_T1_T2_jT3_P12ihipStream_tbPNSt15iterator_traitsISL_E10value_typeEPNSR_ISM_E10value_typeEPSN_NS1_7vsmem_tEENKUlT_SL_SM_SN_E_clIS8_S8_S9_S9_EESK_S10_SL_SM_SN_EUlS10_E1_NS1_11comp_targetILNS1_3genE5ELNS1_11target_archE942ELNS1_3gpuE9ELNS1_3repE0EEENS1_36merge_oddeven_config_static_selectorELNS0_4arch9wavefront6targetE0EEEvSM_,@function
_ZN7rocprim17ROCPRIM_400000_NS6detail17trampoline_kernelINS0_14default_configENS1_38merge_sort_block_merge_config_selectorIlNS0_10empty_typeEEEZZNS1_27merge_sort_block_merge_implIS3_PlPS5_mZN2at6native12_GLOBAL__N_124unique_dim_cuda_templateImEESt5tupleIJNSA_6TensorESF_SF_EERKSF_lbbbEUlllE_EE10hipError_tT0_T1_T2_jT3_P12ihipStream_tbPNSt15iterator_traitsISL_E10value_typeEPNSR_ISM_E10value_typeEPSN_NS1_7vsmem_tEENKUlT_SL_SM_SN_E_clIS8_S8_S9_S9_EESK_S10_SL_SM_SN_EUlS10_E1_NS1_11comp_targetILNS1_3genE5ELNS1_11target_archE942ELNS1_3gpuE9ELNS1_3repE0EEENS1_36merge_oddeven_config_static_selectorELNS0_4arch9wavefront6targetE0EEEvSM_: ; @_ZN7rocprim17ROCPRIM_400000_NS6detail17trampoline_kernelINS0_14default_configENS1_38merge_sort_block_merge_config_selectorIlNS0_10empty_typeEEEZZNS1_27merge_sort_block_merge_implIS3_PlPS5_mZN2at6native12_GLOBAL__N_124unique_dim_cuda_templateImEESt5tupleIJNSA_6TensorESF_SF_EERKSF_lbbbEUlllE_EE10hipError_tT0_T1_T2_jT3_P12ihipStream_tbPNSt15iterator_traitsISL_E10value_typeEPNSR_ISM_E10value_typeEPSN_NS1_7vsmem_tEENKUlT_SL_SM_SN_E_clIS8_S8_S9_S9_EESK_S10_SL_SM_SN_EUlS10_E1_NS1_11comp_targetILNS1_3genE5ELNS1_11target_archE942ELNS1_3gpuE9ELNS1_3repE0EEENS1_36merge_oddeven_config_static_selectorELNS0_4arch9wavefront6targetE0EEEvSM_
; %bb.0:
	.section	.rodata,"a",@progbits
	.p2align	6, 0x0
	.amdhsa_kernel _ZN7rocprim17ROCPRIM_400000_NS6detail17trampoline_kernelINS0_14default_configENS1_38merge_sort_block_merge_config_selectorIlNS0_10empty_typeEEEZZNS1_27merge_sort_block_merge_implIS3_PlPS5_mZN2at6native12_GLOBAL__N_124unique_dim_cuda_templateImEESt5tupleIJNSA_6TensorESF_SF_EERKSF_lbbbEUlllE_EE10hipError_tT0_T1_T2_jT3_P12ihipStream_tbPNSt15iterator_traitsISL_E10value_typeEPNSR_ISM_E10value_typeEPSN_NS1_7vsmem_tEENKUlT_SL_SM_SN_E_clIS8_S8_S9_S9_EESK_S10_SL_SM_SN_EUlS10_E1_NS1_11comp_targetILNS1_3genE5ELNS1_11target_archE942ELNS1_3gpuE9ELNS1_3repE0EEENS1_36merge_oddeven_config_static_selectorELNS0_4arch9wavefront6targetE0EEEvSM_
		.amdhsa_group_segment_fixed_size 0
		.amdhsa_private_segment_fixed_size 0
		.amdhsa_kernarg_size 64
		.amdhsa_user_sgpr_count 15
		.amdhsa_user_sgpr_dispatch_ptr 0
		.amdhsa_user_sgpr_queue_ptr 0
		.amdhsa_user_sgpr_kernarg_segment_ptr 1
		.amdhsa_user_sgpr_dispatch_id 0
		.amdhsa_user_sgpr_private_segment_size 0
		.amdhsa_wavefront_size32 1
		.amdhsa_uses_dynamic_stack 0
		.amdhsa_enable_private_segment 0
		.amdhsa_system_sgpr_workgroup_id_x 1
		.amdhsa_system_sgpr_workgroup_id_y 0
		.amdhsa_system_sgpr_workgroup_id_z 0
		.amdhsa_system_sgpr_workgroup_info 0
		.amdhsa_system_vgpr_workitem_id 0
		.amdhsa_next_free_vgpr 1
		.amdhsa_next_free_sgpr 1
		.amdhsa_reserve_vcc 0
		.amdhsa_float_round_mode_32 0
		.amdhsa_float_round_mode_16_64 0
		.amdhsa_float_denorm_mode_32 3
		.amdhsa_float_denorm_mode_16_64 3
		.amdhsa_dx10_clamp 1
		.amdhsa_ieee_mode 1
		.amdhsa_fp16_overflow 0
		.amdhsa_workgroup_processor_mode 1
		.amdhsa_memory_ordered 1
		.amdhsa_forward_progress 0
		.amdhsa_shared_vgpr_count 0
		.amdhsa_exception_fp_ieee_invalid_op 0
		.amdhsa_exception_fp_denorm_src 0
		.amdhsa_exception_fp_ieee_div_zero 0
		.amdhsa_exception_fp_ieee_overflow 0
		.amdhsa_exception_fp_ieee_underflow 0
		.amdhsa_exception_fp_ieee_inexact 0
		.amdhsa_exception_int_div_zero 0
	.end_amdhsa_kernel
	.section	.text._ZN7rocprim17ROCPRIM_400000_NS6detail17trampoline_kernelINS0_14default_configENS1_38merge_sort_block_merge_config_selectorIlNS0_10empty_typeEEEZZNS1_27merge_sort_block_merge_implIS3_PlPS5_mZN2at6native12_GLOBAL__N_124unique_dim_cuda_templateImEESt5tupleIJNSA_6TensorESF_SF_EERKSF_lbbbEUlllE_EE10hipError_tT0_T1_T2_jT3_P12ihipStream_tbPNSt15iterator_traitsISL_E10value_typeEPNSR_ISM_E10value_typeEPSN_NS1_7vsmem_tEENKUlT_SL_SM_SN_E_clIS8_S8_S9_S9_EESK_S10_SL_SM_SN_EUlS10_E1_NS1_11comp_targetILNS1_3genE5ELNS1_11target_archE942ELNS1_3gpuE9ELNS1_3repE0EEENS1_36merge_oddeven_config_static_selectorELNS0_4arch9wavefront6targetE0EEEvSM_,"axG",@progbits,_ZN7rocprim17ROCPRIM_400000_NS6detail17trampoline_kernelINS0_14default_configENS1_38merge_sort_block_merge_config_selectorIlNS0_10empty_typeEEEZZNS1_27merge_sort_block_merge_implIS3_PlPS5_mZN2at6native12_GLOBAL__N_124unique_dim_cuda_templateImEESt5tupleIJNSA_6TensorESF_SF_EERKSF_lbbbEUlllE_EE10hipError_tT0_T1_T2_jT3_P12ihipStream_tbPNSt15iterator_traitsISL_E10value_typeEPNSR_ISM_E10value_typeEPSN_NS1_7vsmem_tEENKUlT_SL_SM_SN_E_clIS8_S8_S9_S9_EESK_S10_SL_SM_SN_EUlS10_E1_NS1_11comp_targetILNS1_3genE5ELNS1_11target_archE942ELNS1_3gpuE9ELNS1_3repE0EEENS1_36merge_oddeven_config_static_selectorELNS0_4arch9wavefront6targetE0EEEvSM_,comdat
.Lfunc_end1630:
	.size	_ZN7rocprim17ROCPRIM_400000_NS6detail17trampoline_kernelINS0_14default_configENS1_38merge_sort_block_merge_config_selectorIlNS0_10empty_typeEEEZZNS1_27merge_sort_block_merge_implIS3_PlPS5_mZN2at6native12_GLOBAL__N_124unique_dim_cuda_templateImEESt5tupleIJNSA_6TensorESF_SF_EERKSF_lbbbEUlllE_EE10hipError_tT0_T1_T2_jT3_P12ihipStream_tbPNSt15iterator_traitsISL_E10value_typeEPNSR_ISM_E10value_typeEPSN_NS1_7vsmem_tEENKUlT_SL_SM_SN_E_clIS8_S8_S9_S9_EESK_S10_SL_SM_SN_EUlS10_E1_NS1_11comp_targetILNS1_3genE5ELNS1_11target_archE942ELNS1_3gpuE9ELNS1_3repE0EEENS1_36merge_oddeven_config_static_selectorELNS0_4arch9wavefront6targetE0EEEvSM_, .Lfunc_end1630-_ZN7rocprim17ROCPRIM_400000_NS6detail17trampoline_kernelINS0_14default_configENS1_38merge_sort_block_merge_config_selectorIlNS0_10empty_typeEEEZZNS1_27merge_sort_block_merge_implIS3_PlPS5_mZN2at6native12_GLOBAL__N_124unique_dim_cuda_templateImEESt5tupleIJNSA_6TensorESF_SF_EERKSF_lbbbEUlllE_EE10hipError_tT0_T1_T2_jT3_P12ihipStream_tbPNSt15iterator_traitsISL_E10value_typeEPNSR_ISM_E10value_typeEPSN_NS1_7vsmem_tEENKUlT_SL_SM_SN_E_clIS8_S8_S9_S9_EESK_S10_SL_SM_SN_EUlS10_E1_NS1_11comp_targetILNS1_3genE5ELNS1_11target_archE942ELNS1_3gpuE9ELNS1_3repE0EEENS1_36merge_oddeven_config_static_selectorELNS0_4arch9wavefront6targetE0EEEvSM_
                                        ; -- End function
	.section	.AMDGPU.csdata,"",@progbits
; Kernel info:
; codeLenInByte = 0
; NumSgprs: 0
; NumVgprs: 0
; ScratchSize: 0
; MemoryBound: 0
; FloatMode: 240
; IeeeMode: 1
; LDSByteSize: 0 bytes/workgroup (compile time only)
; SGPRBlocks: 0
; VGPRBlocks: 0
; NumSGPRsForWavesPerEU: 1
; NumVGPRsForWavesPerEU: 1
; Occupancy: 16
; WaveLimiterHint : 0
; COMPUTE_PGM_RSRC2:SCRATCH_EN: 0
; COMPUTE_PGM_RSRC2:USER_SGPR: 15
; COMPUTE_PGM_RSRC2:TRAP_HANDLER: 0
; COMPUTE_PGM_RSRC2:TGID_X_EN: 1
; COMPUTE_PGM_RSRC2:TGID_Y_EN: 0
; COMPUTE_PGM_RSRC2:TGID_Z_EN: 0
; COMPUTE_PGM_RSRC2:TIDIG_COMP_CNT: 0
	.section	.text._ZN7rocprim17ROCPRIM_400000_NS6detail17trampoline_kernelINS0_14default_configENS1_38merge_sort_block_merge_config_selectorIlNS0_10empty_typeEEEZZNS1_27merge_sort_block_merge_implIS3_PlPS5_mZN2at6native12_GLOBAL__N_124unique_dim_cuda_templateImEESt5tupleIJNSA_6TensorESF_SF_EERKSF_lbbbEUlllE_EE10hipError_tT0_T1_T2_jT3_P12ihipStream_tbPNSt15iterator_traitsISL_E10value_typeEPNSR_ISM_E10value_typeEPSN_NS1_7vsmem_tEENKUlT_SL_SM_SN_E_clIS8_S8_S9_S9_EESK_S10_SL_SM_SN_EUlS10_E1_NS1_11comp_targetILNS1_3genE4ELNS1_11target_archE910ELNS1_3gpuE8ELNS1_3repE0EEENS1_36merge_oddeven_config_static_selectorELNS0_4arch9wavefront6targetE0EEEvSM_,"axG",@progbits,_ZN7rocprim17ROCPRIM_400000_NS6detail17trampoline_kernelINS0_14default_configENS1_38merge_sort_block_merge_config_selectorIlNS0_10empty_typeEEEZZNS1_27merge_sort_block_merge_implIS3_PlPS5_mZN2at6native12_GLOBAL__N_124unique_dim_cuda_templateImEESt5tupleIJNSA_6TensorESF_SF_EERKSF_lbbbEUlllE_EE10hipError_tT0_T1_T2_jT3_P12ihipStream_tbPNSt15iterator_traitsISL_E10value_typeEPNSR_ISM_E10value_typeEPSN_NS1_7vsmem_tEENKUlT_SL_SM_SN_E_clIS8_S8_S9_S9_EESK_S10_SL_SM_SN_EUlS10_E1_NS1_11comp_targetILNS1_3genE4ELNS1_11target_archE910ELNS1_3gpuE8ELNS1_3repE0EEENS1_36merge_oddeven_config_static_selectorELNS0_4arch9wavefront6targetE0EEEvSM_,comdat
	.globl	_ZN7rocprim17ROCPRIM_400000_NS6detail17trampoline_kernelINS0_14default_configENS1_38merge_sort_block_merge_config_selectorIlNS0_10empty_typeEEEZZNS1_27merge_sort_block_merge_implIS3_PlPS5_mZN2at6native12_GLOBAL__N_124unique_dim_cuda_templateImEESt5tupleIJNSA_6TensorESF_SF_EERKSF_lbbbEUlllE_EE10hipError_tT0_T1_T2_jT3_P12ihipStream_tbPNSt15iterator_traitsISL_E10value_typeEPNSR_ISM_E10value_typeEPSN_NS1_7vsmem_tEENKUlT_SL_SM_SN_E_clIS8_S8_S9_S9_EESK_S10_SL_SM_SN_EUlS10_E1_NS1_11comp_targetILNS1_3genE4ELNS1_11target_archE910ELNS1_3gpuE8ELNS1_3repE0EEENS1_36merge_oddeven_config_static_selectorELNS0_4arch9wavefront6targetE0EEEvSM_ ; -- Begin function _ZN7rocprim17ROCPRIM_400000_NS6detail17trampoline_kernelINS0_14default_configENS1_38merge_sort_block_merge_config_selectorIlNS0_10empty_typeEEEZZNS1_27merge_sort_block_merge_implIS3_PlPS5_mZN2at6native12_GLOBAL__N_124unique_dim_cuda_templateImEESt5tupleIJNSA_6TensorESF_SF_EERKSF_lbbbEUlllE_EE10hipError_tT0_T1_T2_jT3_P12ihipStream_tbPNSt15iterator_traitsISL_E10value_typeEPNSR_ISM_E10value_typeEPSN_NS1_7vsmem_tEENKUlT_SL_SM_SN_E_clIS8_S8_S9_S9_EESK_S10_SL_SM_SN_EUlS10_E1_NS1_11comp_targetILNS1_3genE4ELNS1_11target_archE910ELNS1_3gpuE8ELNS1_3repE0EEENS1_36merge_oddeven_config_static_selectorELNS0_4arch9wavefront6targetE0EEEvSM_
	.p2align	8
	.type	_ZN7rocprim17ROCPRIM_400000_NS6detail17trampoline_kernelINS0_14default_configENS1_38merge_sort_block_merge_config_selectorIlNS0_10empty_typeEEEZZNS1_27merge_sort_block_merge_implIS3_PlPS5_mZN2at6native12_GLOBAL__N_124unique_dim_cuda_templateImEESt5tupleIJNSA_6TensorESF_SF_EERKSF_lbbbEUlllE_EE10hipError_tT0_T1_T2_jT3_P12ihipStream_tbPNSt15iterator_traitsISL_E10value_typeEPNSR_ISM_E10value_typeEPSN_NS1_7vsmem_tEENKUlT_SL_SM_SN_E_clIS8_S8_S9_S9_EESK_S10_SL_SM_SN_EUlS10_E1_NS1_11comp_targetILNS1_3genE4ELNS1_11target_archE910ELNS1_3gpuE8ELNS1_3repE0EEENS1_36merge_oddeven_config_static_selectorELNS0_4arch9wavefront6targetE0EEEvSM_,@function
_ZN7rocprim17ROCPRIM_400000_NS6detail17trampoline_kernelINS0_14default_configENS1_38merge_sort_block_merge_config_selectorIlNS0_10empty_typeEEEZZNS1_27merge_sort_block_merge_implIS3_PlPS5_mZN2at6native12_GLOBAL__N_124unique_dim_cuda_templateImEESt5tupleIJNSA_6TensorESF_SF_EERKSF_lbbbEUlllE_EE10hipError_tT0_T1_T2_jT3_P12ihipStream_tbPNSt15iterator_traitsISL_E10value_typeEPNSR_ISM_E10value_typeEPSN_NS1_7vsmem_tEENKUlT_SL_SM_SN_E_clIS8_S8_S9_S9_EESK_S10_SL_SM_SN_EUlS10_E1_NS1_11comp_targetILNS1_3genE4ELNS1_11target_archE910ELNS1_3gpuE8ELNS1_3repE0EEENS1_36merge_oddeven_config_static_selectorELNS0_4arch9wavefront6targetE0EEEvSM_: ; @_ZN7rocprim17ROCPRIM_400000_NS6detail17trampoline_kernelINS0_14default_configENS1_38merge_sort_block_merge_config_selectorIlNS0_10empty_typeEEEZZNS1_27merge_sort_block_merge_implIS3_PlPS5_mZN2at6native12_GLOBAL__N_124unique_dim_cuda_templateImEESt5tupleIJNSA_6TensorESF_SF_EERKSF_lbbbEUlllE_EE10hipError_tT0_T1_T2_jT3_P12ihipStream_tbPNSt15iterator_traitsISL_E10value_typeEPNSR_ISM_E10value_typeEPSN_NS1_7vsmem_tEENKUlT_SL_SM_SN_E_clIS8_S8_S9_S9_EESK_S10_SL_SM_SN_EUlS10_E1_NS1_11comp_targetILNS1_3genE4ELNS1_11target_archE910ELNS1_3gpuE8ELNS1_3repE0EEENS1_36merge_oddeven_config_static_selectorELNS0_4arch9wavefront6targetE0EEEvSM_
; %bb.0:
	.section	.rodata,"a",@progbits
	.p2align	6, 0x0
	.amdhsa_kernel _ZN7rocprim17ROCPRIM_400000_NS6detail17trampoline_kernelINS0_14default_configENS1_38merge_sort_block_merge_config_selectorIlNS0_10empty_typeEEEZZNS1_27merge_sort_block_merge_implIS3_PlPS5_mZN2at6native12_GLOBAL__N_124unique_dim_cuda_templateImEESt5tupleIJNSA_6TensorESF_SF_EERKSF_lbbbEUlllE_EE10hipError_tT0_T1_T2_jT3_P12ihipStream_tbPNSt15iterator_traitsISL_E10value_typeEPNSR_ISM_E10value_typeEPSN_NS1_7vsmem_tEENKUlT_SL_SM_SN_E_clIS8_S8_S9_S9_EESK_S10_SL_SM_SN_EUlS10_E1_NS1_11comp_targetILNS1_3genE4ELNS1_11target_archE910ELNS1_3gpuE8ELNS1_3repE0EEENS1_36merge_oddeven_config_static_selectorELNS0_4arch9wavefront6targetE0EEEvSM_
		.amdhsa_group_segment_fixed_size 0
		.amdhsa_private_segment_fixed_size 0
		.amdhsa_kernarg_size 64
		.amdhsa_user_sgpr_count 15
		.amdhsa_user_sgpr_dispatch_ptr 0
		.amdhsa_user_sgpr_queue_ptr 0
		.amdhsa_user_sgpr_kernarg_segment_ptr 1
		.amdhsa_user_sgpr_dispatch_id 0
		.amdhsa_user_sgpr_private_segment_size 0
		.amdhsa_wavefront_size32 1
		.amdhsa_uses_dynamic_stack 0
		.amdhsa_enable_private_segment 0
		.amdhsa_system_sgpr_workgroup_id_x 1
		.amdhsa_system_sgpr_workgroup_id_y 0
		.amdhsa_system_sgpr_workgroup_id_z 0
		.amdhsa_system_sgpr_workgroup_info 0
		.amdhsa_system_vgpr_workitem_id 0
		.amdhsa_next_free_vgpr 1
		.amdhsa_next_free_sgpr 1
		.amdhsa_reserve_vcc 0
		.amdhsa_float_round_mode_32 0
		.amdhsa_float_round_mode_16_64 0
		.amdhsa_float_denorm_mode_32 3
		.amdhsa_float_denorm_mode_16_64 3
		.amdhsa_dx10_clamp 1
		.amdhsa_ieee_mode 1
		.amdhsa_fp16_overflow 0
		.amdhsa_workgroup_processor_mode 1
		.amdhsa_memory_ordered 1
		.amdhsa_forward_progress 0
		.amdhsa_shared_vgpr_count 0
		.amdhsa_exception_fp_ieee_invalid_op 0
		.amdhsa_exception_fp_denorm_src 0
		.amdhsa_exception_fp_ieee_div_zero 0
		.amdhsa_exception_fp_ieee_overflow 0
		.amdhsa_exception_fp_ieee_underflow 0
		.amdhsa_exception_fp_ieee_inexact 0
		.amdhsa_exception_int_div_zero 0
	.end_amdhsa_kernel
	.section	.text._ZN7rocprim17ROCPRIM_400000_NS6detail17trampoline_kernelINS0_14default_configENS1_38merge_sort_block_merge_config_selectorIlNS0_10empty_typeEEEZZNS1_27merge_sort_block_merge_implIS3_PlPS5_mZN2at6native12_GLOBAL__N_124unique_dim_cuda_templateImEESt5tupleIJNSA_6TensorESF_SF_EERKSF_lbbbEUlllE_EE10hipError_tT0_T1_T2_jT3_P12ihipStream_tbPNSt15iterator_traitsISL_E10value_typeEPNSR_ISM_E10value_typeEPSN_NS1_7vsmem_tEENKUlT_SL_SM_SN_E_clIS8_S8_S9_S9_EESK_S10_SL_SM_SN_EUlS10_E1_NS1_11comp_targetILNS1_3genE4ELNS1_11target_archE910ELNS1_3gpuE8ELNS1_3repE0EEENS1_36merge_oddeven_config_static_selectorELNS0_4arch9wavefront6targetE0EEEvSM_,"axG",@progbits,_ZN7rocprim17ROCPRIM_400000_NS6detail17trampoline_kernelINS0_14default_configENS1_38merge_sort_block_merge_config_selectorIlNS0_10empty_typeEEEZZNS1_27merge_sort_block_merge_implIS3_PlPS5_mZN2at6native12_GLOBAL__N_124unique_dim_cuda_templateImEESt5tupleIJNSA_6TensorESF_SF_EERKSF_lbbbEUlllE_EE10hipError_tT0_T1_T2_jT3_P12ihipStream_tbPNSt15iterator_traitsISL_E10value_typeEPNSR_ISM_E10value_typeEPSN_NS1_7vsmem_tEENKUlT_SL_SM_SN_E_clIS8_S8_S9_S9_EESK_S10_SL_SM_SN_EUlS10_E1_NS1_11comp_targetILNS1_3genE4ELNS1_11target_archE910ELNS1_3gpuE8ELNS1_3repE0EEENS1_36merge_oddeven_config_static_selectorELNS0_4arch9wavefront6targetE0EEEvSM_,comdat
.Lfunc_end1631:
	.size	_ZN7rocprim17ROCPRIM_400000_NS6detail17trampoline_kernelINS0_14default_configENS1_38merge_sort_block_merge_config_selectorIlNS0_10empty_typeEEEZZNS1_27merge_sort_block_merge_implIS3_PlPS5_mZN2at6native12_GLOBAL__N_124unique_dim_cuda_templateImEESt5tupleIJNSA_6TensorESF_SF_EERKSF_lbbbEUlllE_EE10hipError_tT0_T1_T2_jT3_P12ihipStream_tbPNSt15iterator_traitsISL_E10value_typeEPNSR_ISM_E10value_typeEPSN_NS1_7vsmem_tEENKUlT_SL_SM_SN_E_clIS8_S8_S9_S9_EESK_S10_SL_SM_SN_EUlS10_E1_NS1_11comp_targetILNS1_3genE4ELNS1_11target_archE910ELNS1_3gpuE8ELNS1_3repE0EEENS1_36merge_oddeven_config_static_selectorELNS0_4arch9wavefront6targetE0EEEvSM_, .Lfunc_end1631-_ZN7rocprim17ROCPRIM_400000_NS6detail17trampoline_kernelINS0_14default_configENS1_38merge_sort_block_merge_config_selectorIlNS0_10empty_typeEEEZZNS1_27merge_sort_block_merge_implIS3_PlPS5_mZN2at6native12_GLOBAL__N_124unique_dim_cuda_templateImEESt5tupleIJNSA_6TensorESF_SF_EERKSF_lbbbEUlllE_EE10hipError_tT0_T1_T2_jT3_P12ihipStream_tbPNSt15iterator_traitsISL_E10value_typeEPNSR_ISM_E10value_typeEPSN_NS1_7vsmem_tEENKUlT_SL_SM_SN_E_clIS8_S8_S9_S9_EESK_S10_SL_SM_SN_EUlS10_E1_NS1_11comp_targetILNS1_3genE4ELNS1_11target_archE910ELNS1_3gpuE8ELNS1_3repE0EEENS1_36merge_oddeven_config_static_selectorELNS0_4arch9wavefront6targetE0EEEvSM_
                                        ; -- End function
	.section	.AMDGPU.csdata,"",@progbits
; Kernel info:
; codeLenInByte = 0
; NumSgprs: 0
; NumVgprs: 0
; ScratchSize: 0
; MemoryBound: 0
; FloatMode: 240
; IeeeMode: 1
; LDSByteSize: 0 bytes/workgroup (compile time only)
; SGPRBlocks: 0
; VGPRBlocks: 0
; NumSGPRsForWavesPerEU: 1
; NumVGPRsForWavesPerEU: 1
; Occupancy: 16
; WaveLimiterHint : 0
; COMPUTE_PGM_RSRC2:SCRATCH_EN: 0
; COMPUTE_PGM_RSRC2:USER_SGPR: 15
; COMPUTE_PGM_RSRC2:TRAP_HANDLER: 0
; COMPUTE_PGM_RSRC2:TGID_X_EN: 1
; COMPUTE_PGM_RSRC2:TGID_Y_EN: 0
; COMPUTE_PGM_RSRC2:TGID_Z_EN: 0
; COMPUTE_PGM_RSRC2:TIDIG_COMP_CNT: 0
	.section	.text._ZN7rocprim17ROCPRIM_400000_NS6detail17trampoline_kernelINS0_14default_configENS1_38merge_sort_block_merge_config_selectorIlNS0_10empty_typeEEEZZNS1_27merge_sort_block_merge_implIS3_PlPS5_mZN2at6native12_GLOBAL__N_124unique_dim_cuda_templateImEESt5tupleIJNSA_6TensorESF_SF_EERKSF_lbbbEUlllE_EE10hipError_tT0_T1_T2_jT3_P12ihipStream_tbPNSt15iterator_traitsISL_E10value_typeEPNSR_ISM_E10value_typeEPSN_NS1_7vsmem_tEENKUlT_SL_SM_SN_E_clIS8_S8_S9_S9_EESK_S10_SL_SM_SN_EUlS10_E1_NS1_11comp_targetILNS1_3genE3ELNS1_11target_archE908ELNS1_3gpuE7ELNS1_3repE0EEENS1_36merge_oddeven_config_static_selectorELNS0_4arch9wavefront6targetE0EEEvSM_,"axG",@progbits,_ZN7rocprim17ROCPRIM_400000_NS6detail17trampoline_kernelINS0_14default_configENS1_38merge_sort_block_merge_config_selectorIlNS0_10empty_typeEEEZZNS1_27merge_sort_block_merge_implIS3_PlPS5_mZN2at6native12_GLOBAL__N_124unique_dim_cuda_templateImEESt5tupleIJNSA_6TensorESF_SF_EERKSF_lbbbEUlllE_EE10hipError_tT0_T1_T2_jT3_P12ihipStream_tbPNSt15iterator_traitsISL_E10value_typeEPNSR_ISM_E10value_typeEPSN_NS1_7vsmem_tEENKUlT_SL_SM_SN_E_clIS8_S8_S9_S9_EESK_S10_SL_SM_SN_EUlS10_E1_NS1_11comp_targetILNS1_3genE3ELNS1_11target_archE908ELNS1_3gpuE7ELNS1_3repE0EEENS1_36merge_oddeven_config_static_selectorELNS0_4arch9wavefront6targetE0EEEvSM_,comdat
	.globl	_ZN7rocprim17ROCPRIM_400000_NS6detail17trampoline_kernelINS0_14default_configENS1_38merge_sort_block_merge_config_selectorIlNS0_10empty_typeEEEZZNS1_27merge_sort_block_merge_implIS3_PlPS5_mZN2at6native12_GLOBAL__N_124unique_dim_cuda_templateImEESt5tupleIJNSA_6TensorESF_SF_EERKSF_lbbbEUlllE_EE10hipError_tT0_T1_T2_jT3_P12ihipStream_tbPNSt15iterator_traitsISL_E10value_typeEPNSR_ISM_E10value_typeEPSN_NS1_7vsmem_tEENKUlT_SL_SM_SN_E_clIS8_S8_S9_S9_EESK_S10_SL_SM_SN_EUlS10_E1_NS1_11comp_targetILNS1_3genE3ELNS1_11target_archE908ELNS1_3gpuE7ELNS1_3repE0EEENS1_36merge_oddeven_config_static_selectorELNS0_4arch9wavefront6targetE0EEEvSM_ ; -- Begin function _ZN7rocprim17ROCPRIM_400000_NS6detail17trampoline_kernelINS0_14default_configENS1_38merge_sort_block_merge_config_selectorIlNS0_10empty_typeEEEZZNS1_27merge_sort_block_merge_implIS3_PlPS5_mZN2at6native12_GLOBAL__N_124unique_dim_cuda_templateImEESt5tupleIJNSA_6TensorESF_SF_EERKSF_lbbbEUlllE_EE10hipError_tT0_T1_T2_jT3_P12ihipStream_tbPNSt15iterator_traitsISL_E10value_typeEPNSR_ISM_E10value_typeEPSN_NS1_7vsmem_tEENKUlT_SL_SM_SN_E_clIS8_S8_S9_S9_EESK_S10_SL_SM_SN_EUlS10_E1_NS1_11comp_targetILNS1_3genE3ELNS1_11target_archE908ELNS1_3gpuE7ELNS1_3repE0EEENS1_36merge_oddeven_config_static_selectorELNS0_4arch9wavefront6targetE0EEEvSM_
	.p2align	8
	.type	_ZN7rocprim17ROCPRIM_400000_NS6detail17trampoline_kernelINS0_14default_configENS1_38merge_sort_block_merge_config_selectorIlNS0_10empty_typeEEEZZNS1_27merge_sort_block_merge_implIS3_PlPS5_mZN2at6native12_GLOBAL__N_124unique_dim_cuda_templateImEESt5tupleIJNSA_6TensorESF_SF_EERKSF_lbbbEUlllE_EE10hipError_tT0_T1_T2_jT3_P12ihipStream_tbPNSt15iterator_traitsISL_E10value_typeEPNSR_ISM_E10value_typeEPSN_NS1_7vsmem_tEENKUlT_SL_SM_SN_E_clIS8_S8_S9_S9_EESK_S10_SL_SM_SN_EUlS10_E1_NS1_11comp_targetILNS1_3genE3ELNS1_11target_archE908ELNS1_3gpuE7ELNS1_3repE0EEENS1_36merge_oddeven_config_static_selectorELNS0_4arch9wavefront6targetE0EEEvSM_,@function
_ZN7rocprim17ROCPRIM_400000_NS6detail17trampoline_kernelINS0_14default_configENS1_38merge_sort_block_merge_config_selectorIlNS0_10empty_typeEEEZZNS1_27merge_sort_block_merge_implIS3_PlPS5_mZN2at6native12_GLOBAL__N_124unique_dim_cuda_templateImEESt5tupleIJNSA_6TensorESF_SF_EERKSF_lbbbEUlllE_EE10hipError_tT0_T1_T2_jT3_P12ihipStream_tbPNSt15iterator_traitsISL_E10value_typeEPNSR_ISM_E10value_typeEPSN_NS1_7vsmem_tEENKUlT_SL_SM_SN_E_clIS8_S8_S9_S9_EESK_S10_SL_SM_SN_EUlS10_E1_NS1_11comp_targetILNS1_3genE3ELNS1_11target_archE908ELNS1_3gpuE7ELNS1_3repE0EEENS1_36merge_oddeven_config_static_selectorELNS0_4arch9wavefront6targetE0EEEvSM_: ; @_ZN7rocprim17ROCPRIM_400000_NS6detail17trampoline_kernelINS0_14default_configENS1_38merge_sort_block_merge_config_selectorIlNS0_10empty_typeEEEZZNS1_27merge_sort_block_merge_implIS3_PlPS5_mZN2at6native12_GLOBAL__N_124unique_dim_cuda_templateImEESt5tupleIJNSA_6TensorESF_SF_EERKSF_lbbbEUlllE_EE10hipError_tT0_T1_T2_jT3_P12ihipStream_tbPNSt15iterator_traitsISL_E10value_typeEPNSR_ISM_E10value_typeEPSN_NS1_7vsmem_tEENKUlT_SL_SM_SN_E_clIS8_S8_S9_S9_EESK_S10_SL_SM_SN_EUlS10_E1_NS1_11comp_targetILNS1_3genE3ELNS1_11target_archE908ELNS1_3gpuE7ELNS1_3repE0EEENS1_36merge_oddeven_config_static_selectorELNS0_4arch9wavefront6targetE0EEEvSM_
; %bb.0:
	.section	.rodata,"a",@progbits
	.p2align	6, 0x0
	.amdhsa_kernel _ZN7rocprim17ROCPRIM_400000_NS6detail17trampoline_kernelINS0_14default_configENS1_38merge_sort_block_merge_config_selectorIlNS0_10empty_typeEEEZZNS1_27merge_sort_block_merge_implIS3_PlPS5_mZN2at6native12_GLOBAL__N_124unique_dim_cuda_templateImEESt5tupleIJNSA_6TensorESF_SF_EERKSF_lbbbEUlllE_EE10hipError_tT0_T1_T2_jT3_P12ihipStream_tbPNSt15iterator_traitsISL_E10value_typeEPNSR_ISM_E10value_typeEPSN_NS1_7vsmem_tEENKUlT_SL_SM_SN_E_clIS8_S8_S9_S9_EESK_S10_SL_SM_SN_EUlS10_E1_NS1_11comp_targetILNS1_3genE3ELNS1_11target_archE908ELNS1_3gpuE7ELNS1_3repE0EEENS1_36merge_oddeven_config_static_selectorELNS0_4arch9wavefront6targetE0EEEvSM_
		.amdhsa_group_segment_fixed_size 0
		.amdhsa_private_segment_fixed_size 0
		.amdhsa_kernarg_size 64
		.amdhsa_user_sgpr_count 15
		.amdhsa_user_sgpr_dispatch_ptr 0
		.amdhsa_user_sgpr_queue_ptr 0
		.amdhsa_user_sgpr_kernarg_segment_ptr 1
		.amdhsa_user_sgpr_dispatch_id 0
		.amdhsa_user_sgpr_private_segment_size 0
		.amdhsa_wavefront_size32 1
		.amdhsa_uses_dynamic_stack 0
		.amdhsa_enable_private_segment 0
		.amdhsa_system_sgpr_workgroup_id_x 1
		.amdhsa_system_sgpr_workgroup_id_y 0
		.amdhsa_system_sgpr_workgroup_id_z 0
		.amdhsa_system_sgpr_workgroup_info 0
		.amdhsa_system_vgpr_workitem_id 0
		.amdhsa_next_free_vgpr 1
		.amdhsa_next_free_sgpr 1
		.amdhsa_reserve_vcc 0
		.amdhsa_float_round_mode_32 0
		.amdhsa_float_round_mode_16_64 0
		.amdhsa_float_denorm_mode_32 3
		.amdhsa_float_denorm_mode_16_64 3
		.amdhsa_dx10_clamp 1
		.amdhsa_ieee_mode 1
		.amdhsa_fp16_overflow 0
		.amdhsa_workgroup_processor_mode 1
		.amdhsa_memory_ordered 1
		.amdhsa_forward_progress 0
		.amdhsa_shared_vgpr_count 0
		.amdhsa_exception_fp_ieee_invalid_op 0
		.amdhsa_exception_fp_denorm_src 0
		.amdhsa_exception_fp_ieee_div_zero 0
		.amdhsa_exception_fp_ieee_overflow 0
		.amdhsa_exception_fp_ieee_underflow 0
		.amdhsa_exception_fp_ieee_inexact 0
		.amdhsa_exception_int_div_zero 0
	.end_amdhsa_kernel
	.section	.text._ZN7rocprim17ROCPRIM_400000_NS6detail17trampoline_kernelINS0_14default_configENS1_38merge_sort_block_merge_config_selectorIlNS0_10empty_typeEEEZZNS1_27merge_sort_block_merge_implIS3_PlPS5_mZN2at6native12_GLOBAL__N_124unique_dim_cuda_templateImEESt5tupleIJNSA_6TensorESF_SF_EERKSF_lbbbEUlllE_EE10hipError_tT0_T1_T2_jT3_P12ihipStream_tbPNSt15iterator_traitsISL_E10value_typeEPNSR_ISM_E10value_typeEPSN_NS1_7vsmem_tEENKUlT_SL_SM_SN_E_clIS8_S8_S9_S9_EESK_S10_SL_SM_SN_EUlS10_E1_NS1_11comp_targetILNS1_3genE3ELNS1_11target_archE908ELNS1_3gpuE7ELNS1_3repE0EEENS1_36merge_oddeven_config_static_selectorELNS0_4arch9wavefront6targetE0EEEvSM_,"axG",@progbits,_ZN7rocprim17ROCPRIM_400000_NS6detail17trampoline_kernelINS0_14default_configENS1_38merge_sort_block_merge_config_selectorIlNS0_10empty_typeEEEZZNS1_27merge_sort_block_merge_implIS3_PlPS5_mZN2at6native12_GLOBAL__N_124unique_dim_cuda_templateImEESt5tupleIJNSA_6TensorESF_SF_EERKSF_lbbbEUlllE_EE10hipError_tT0_T1_T2_jT3_P12ihipStream_tbPNSt15iterator_traitsISL_E10value_typeEPNSR_ISM_E10value_typeEPSN_NS1_7vsmem_tEENKUlT_SL_SM_SN_E_clIS8_S8_S9_S9_EESK_S10_SL_SM_SN_EUlS10_E1_NS1_11comp_targetILNS1_3genE3ELNS1_11target_archE908ELNS1_3gpuE7ELNS1_3repE0EEENS1_36merge_oddeven_config_static_selectorELNS0_4arch9wavefront6targetE0EEEvSM_,comdat
.Lfunc_end1632:
	.size	_ZN7rocprim17ROCPRIM_400000_NS6detail17trampoline_kernelINS0_14default_configENS1_38merge_sort_block_merge_config_selectorIlNS0_10empty_typeEEEZZNS1_27merge_sort_block_merge_implIS3_PlPS5_mZN2at6native12_GLOBAL__N_124unique_dim_cuda_templateImEESt5tupleIJNSA_6TensorESF_SF_EERKSF_lbbbEUlllE_EE10hipError_tT0_T1_T2_jT3_P12ihipStream_tbPNSt15iterator_traitsISL_E10value_typeEPNSR_ISM_E10value_typeEPSN_NS1_7vsmem_tEENKUlT_SL_SM_SN_E_clIS8_S8_S9_S9_EESK_S10_SL_SM_SN_EUlS10_E1_NS1_11comp_targetILNS1_3genE3ELNS1_11target_archE908ELNS1_3gpuE7ELNS1_3repE0EEENS1_36merge_oddeven_config_static_selectorELNS0_4arch9wavefront6targetE0EEEvSM_, .Lfunc_end1632-_ZN7rocprim17ROCPRIM_400000_NS6detail17trampoline_kernelINS0_14default_configENS1_38merge_sort_block_merge_config_selectorIlNS0_10empty_typeEEEZZNS1_27merge_sort_block_merge_implIS3_PlPS5_mZN2at6native12_GLOBAL__N_124unique_dim_cuda_templateImEESt5tupleIJNSA_6TensorESF_SF_EERKSF_lbbbEUlllE_EE10hipError_tT0_T1_T2_jT3_P12ihipStream_tbPNSt15iterator_traitsISL_E10value_typeEPNSR_ISM_E10value_typeEPSN_NS1_7vsmem_tEENKUlT_SL_SM_SN_E_clIS8_S8_S9_S9_EESK_S10_SL_SM_SN_EUlS10_E1_NS1_11comp_targetILNS1_3genE3ELNS1_11target_archE908ELNS1_3gpuE7ELNS1_3repE0EEENS1_36merge_oddeven_config_static_selectorELNS0_4arch9wavefront6targetE0EEEvSM_
                                        ; -- End function
	.section	.AMDGPU.csdata,"",@progbits
; Kernel info:
; codeLenInByte = 0
; NumSgprs: 0
; NumVgprs: 0
; ScratchSize: 0
; MemoryBound: 0
; FloatMode: 240
; IeeeMode: 1
; LDSByteSize: 0 bytes/workgroup (compile time only)
; SGPRBlocks: 0
; VGPRBlocks: 0
; NumSGPRsForWavesPerEU: 1
; NumVGPRsForWavesPerEU: 1
; Occupancy: 16
; WaveLimiterHint : 0
; COMPUTE_PGM_RSRC2:SCRATCH_EN: 0
; COMPUTE_PGM_RSRC2:USER_SGPR: 15
; COMPUTE_PGM_RSRC2:TRAP_HANDLER: 0
; COMPUTE_PGM_RSRC2:TGID_X_EN: 1
; COMPUTE_PGM_RSRC2:TGID_Y_EN: 0
; COMPUTE_PGM_RSRC2:TGID_Z_EN: 0
; COMPUTE_PGM_RSRC2:TIDIG_COMP_CNT: 0
	.section	.text._ZN7rocprim17ROCPRIM_400000_NS6detail17trampoline_kernelINS0_14default_configENS1_38merge_sort_block_merge_config_selectorIlNS0_10empty_typeEEEZZNS1_27merge_sort_block_merge_implIS3_PlPS5_mZN2at6native12_GLOBAL__N_124unique_dim_cuda_templateImEESt5tupleIJNSA_6TensorESF_SF_EERKSF_lbbbEUlllE_EE10hipError_tT0_T1_T2_jT3_P12ihipStream_tbPNSt15iterator_traitsISL_E10value_typeEPNSR_ISM_E10value_typeEPSN_NS1_7vsmem_tEENKUlT_SL_SM_SN_E_clIS8_S8_S9_S9_EESK_S10_SL_SM_SN_EUlS10_E1_NS1_11comp_targetILNS1_3genE2ELNS1_11target_archE906ELNS1_3gpuE6ELNS1_3repE0EEENS1_36merge_oddeven_config_static_selectorELNS0_4arch9wavefront6targetE0EEEvSM_,"axG",@progbits,_ZN7rocprim17ROCPRIM_400000_NS6detail17trampoline_kernelINS0_14default_configENS1_38merge_sort_block_merge_config_selectorIlNS0_10empty_typeEEEZZNS1_27merge_sort_block_merge_implIS3_PlPS5_mZN2at6native12_GLOBAL__N_124unique_dim_cuda_templateImEESt5tupleIJNSA_6TensorESF_SF_EERKSF_lbbbEUlllE_EE10hipError_tT0_T1_T2_jT3_P12ihipStream_tbPNSt15iterator_traitsISL_E10value_typeEPNSR_ISM_E10value_typeEPSN_NS1_7vsmem_tEENKUlT_SL_SM_SN_E_clIS8_S8_S9_S9_EESK_S10_SL_SM_SN_EUlS10_E1_NS1_11comp_targetILNS1_3genE2ELNS1_11target_archE906ELNS1_3gpuE6ELNS1_3repE0EEENS1_36merge_oddeven_config_static_selectorELNS0_4arch9wavefront6targetE0EEEvSM_,comdat
	.globl	_ZN7rocprim17ROCPRIM_400000_NS6detail17trampoline_kernelINS0_14default_configENS1_38merge_sort_block_merge_config_selectorIlNS0_10empty_typeEEEZZNS1_27merge_sort_block_merge_implIS3_PlPS5_mZN2at6native12_GLOBAL__N_124unique_dim_cuda_templateImEESt5tupleIJNSA_6TensorESF_SF_EERKSF_lbbbEUlllE_EE10hipError_tT0_T1_T2_jT3_P12ihipStream_tbPNSt15iterator_traitsISL_E10value_typeEPNSR_ISM_E10value_typeEPSN_NS1_7vsmem_tEENKUlT_SL_SM_SN_E_clIS8_S8_S9_S9_EESK_S10_SL_SM_SN_EUlS10_E1_NS1_11comp_targetILNS1_3genE2ELNS1_11target_archE906ELNS1_3gpuE6ELNS1_3repE0EEENS1_36merge_oddeven_config_static_selectorELNS0_4arch9wavefront6targetE0EEEvSM_ ; -- Begin function _ZN7rocprim17ROCPRIM_400000_NS6detail17trampoline_kernelINS0_14default_configENS1_38merge_sort_block_merge_config_selectorIlNS0_10empty_typeEEEZZNS1_27merge_sort_block_merge_implIS3_PlPS5_mZN2at6native12_GLOBAL__N_124unique_dim_cuda_templateImEESt5tupleIJNSA_6TensorESF_SF_EERKSF_lbbbEUlllE_EE10hipError_tT0_T1_T2_jT3_P12ihipStream_tbPNSt15iterator_traitsISL_E10value_typeEPNSR_ISM_E10value_typeEPSN_NS1_7vsmem_tEENKUlT_SL_SM_SN_E_clIS8_S8_S9_S9_EESK_S10_SL_SM_SN_EUlS10_E1_NS1_11comp_targetILNS1_3genE2ELNS1_11target_archE906ELNS1_3gpuE6ELNS1_3repE0EEENS1_36merge_oddeven_config_static_selectorELNS0_4arch9wavefront6targetE0EEEvSM_
	.p2align	8
	.type	_ZN7rocprim17ROCPRIM_400000_NS6detail17trampoline_kernelINS0_14default_configENS1_38merge_sort_block_merge_config_selectorIlNS0_10empty_typeEEEZZNS1_27merge_sort_block_merge_implIS3_PlPS5_mZN2at6native12_GLOBAL__N_124unique_dim_cuda_templateImEESt5tupleIJNSA_6TensorESF_SF_EERKSF_lbbbEUlllE_EE10hipError_tT0_T1_T2_jT3_P12ihipStream_tbPNSt15iterator_traitsISL_E10value_typeEPNSR_ISM_E10value_typeEPSN_NS1_7vsmem_tEENKUlT_SL_SM_SN_E_clIS8_S8_S9_S9_EESK_S10_SL_SM_SN_EUlS10_E1_NS1_11comp_targetILNS1_3genE2ELNS1_11target_archE906ELNS1_3gpuE6ELNS1_3repE0EEENS1_36merge_oddeven_config_static_selectorELNS0_4arch9wavefront6targetE0EEEvSM_,@function
_ZN7rocprim17ROCPRIM_400000_NS6detail17trampoline_kernelINS0_14default_configENS1_38merge_sort_block_merge_config_selectorIlNS0_10empty_typeEEEZZNS1_27merge_sort_block_merge_implIS3_PlPS5_mZN2at6native12_GLOBAL__N_124unique_dim_cuda_templateImEESt5tupleIJNSA_6TensorESF_SF_EERKSF_lbbbEUlllE_EE10hipError_tT0_T1_T2_jT3_P12ihipStream_tbPNSt15iterator_traitsISL_E10value_typeEPNSR_ISM_E10value_typeEPSN_NS1_7vsmem_tEENKUlT_SL_SM_SN_E_clIS8_S8_S9_S9_EESK_S10_SL_SM_SN_EUlS10_E1_NS1_11comp_targetILNS1_3genE2ELNS1_11target_archE906ELNS1_3gpuE6ELNS1_3repE0EEENS1_36merge_oddeven_config_static_selectorELNS0_4arch9wavefront6targetE0EEEvSM_: ; @_ZN7rocprim17ROCPRIM_400000_NS6detail17trampoline_kernelINS0_14default_configENS1_38merge_sort_block_merge_config_selectorIlNS0_10empty_typeEEEZZNS1_27merge_sort_block_merge_implIS3_PlPS5_mZN2at6native12_GLOBAL__N_124unique_dim_cuda_templateImEESt5tupleIJNSA_6TensorESF_SF_EERKSF_lbbbEUlllE_EE10hipError_tT0_T1_T2_jT3_P12ihipStream_tbPNSt15iterator_traitsISL_E10value_typeEPNSR_ISM_E10value_typeEPSN_NS1_7vsmem_tEENKUlT_SL_SM_SN_E_clIS8_S8_S9_S9_EESK_S10_SL_SM_SN_EUlS10_E1_NS1_11comp_targetILNS1_3genE2ELNS1_11target_archE906ELNS1_3gpuE6ELNS1_3repE0EEENS1_36merge_oddeven_config_static_selectorELNS0_4arch9wavefront6targetE0EEEvSM_
; %bb.0:
	.section	.rodata,"a",@progbits
	.p2align	6, 0x0
	.amdhsa_kernel _ZN7rocprim17ROCPRIM_400000_NS6detail17trampoline_kernelINS0_14default_configENS1_38merge_sort_block_merge_config_selectorIlNS0_10empty_typeEEEZZNS1_27merge_sort_block_merge_implIS3_PlPS5_mZN2at6native12_GLOBAL__N_124unique_dim_cuda_templateImEESt5tupleIJNSA_6TensorESF_SF_EERKSF_lbbbEUlllE_EE10hipError_tT0_T1_T2_jT3_P12ihipStream_tbPNSt15iterator_traitsISL_E10value_typeEPNSR_ISM_E10value_typeEPSN_NS1_7vsmem_tEENKUlT_SL_SM_SN_E_clIS8_S8_S9_S9_EESK_S10_SL_SM_SN_EUlS10_E1_NS1_11comp_targetILNS1_3genE2ELNS1_11target_archE906ELNS1_3gpuE6ELNS1_3repE0EEENS1_36merge_oddeven_config_static_selectorELNS0_4arch9wavefront6targetE0EEEvSM_
		.amdhsa_group_segment_fixed_size 0
		.amdhsa_private_segment_fixed_size 0
		.amdhsa_kernarg_size 64
		.amdhsa_user_sgpr_count 15
		.amdhsa_user_sgpr_dispatch_ptr 0
		.amdhsa_user_sgpr_queue_ptr 0
		.amdhsa_user_sgpr_kernarg_segment_ptr 1
		.amdhsa_user_sgpr_dispatch_id 0
		.amdhsa_user_sgpr_private_segment_size 0
		.amdhsa_wavefront_size32 1
		.amdhsa_uses_dynamic_stack 0
		.amdhsa_enable_private_segment 0
		.amdhsa_system_sgpr_workgroup_id_x 1
		.amdhsa_system_sgpr_workgroup_id_y 0
		.amdhsa_system_sgpr_workgroup_id_z 0
		.amdhsa_system_sgpr_workgroup_info 0
		.amdhsa_system_vgpr_workitem_id 0
		.amdhsa_next_free_vgpr 1
		.amdhsa_next_free_sgpr 1
		.amdhsa_reserve_vcc 0
		.amdhsa_float_round_mode_32 0
		.amdhsa_float_round_mode_16_64 0
		.amdhsa_float_denorm_mode_32 3
		.amdhsa_float_denorm_mode_16_64 3
		.amdhsa_dx10_clamp 1
		.amdhsa_ieee_mode 1
		.amdhsa_fp16_overflow 0
		.amdhsa_workgroup_processor_mode 1
		.amdhsa_memory_ordered 1
		.amdhsa_forward_progress 0
		.amdhsa_shared_vgpr_count 0
		.amdhsa_exception_fp_ieee_invalid_op 0
		.amdhsa_exception_fp_denorm_src 0
		.amdhsa_exception_fp_ieee_div_zero 0
		.amdhsa_exception_fp_ieee_overflow 0
		.amdhsa_exception_fp_ieee_underflow 0
		.amdhsa_exception_fp_ieee_inexact 0
		.amdhsa_exception_int_div_zero 0
	.end_amdhsa_kernel
	.section	.text._ZN7rocprim17ROCPRIM_400000_NS6detail17trampoline_kernelINS0_14default_configENS1_38merge_sort_block_merge_config_selectorIlNS0_10empty_typeEEEZZNS1_27merge_sort_block_merge_implIS3_PlPS5_mZN2at6native12_GLOBAL__N_124unique_dim_cuda_templateImEESt5tupleIJNSA_6TensorESF_SF_EERKSF_lbbbEUlllE_EE10hipError_tT0_T1_T2_jT3_P12ihipStream_tbPNSt15iterator_traitsISL_E10value_typeEPNSR_ISM_E10value_typeEPSN_NS1_7vsmem_tEENKUlT_SL_SM_SN_E_clIS8_S8_S9_S9_EESK_S10_SL_SM_SN_EUlS10_E1_NS1_11comp_targetILNS1_3genE2ELNS1_11target_archE906ELNS1_3gpuE6ELNS1_3repE0EEENS1_36merge_oddeven_config_static_selectorELNS0_4arch9wavefront6targetE0EEEvSM_,"axG",@progbits,_ZN7rocprim17ROCPRIM_400000_NS6detail17trampoline_kernelINS0_14default_configENS1_38merge_sort_block_merge_config_selectorIlNS0_10empty_typeEEEZZNS1_27merge_sort_block_merge_implIS3_PlPS5_mZN2at6native12_GLOBAL__N_124unique_dim_cuda_templateImEESt5tupleIJNSA_6TensorESF_SF_EERKSF_lbbbEUlllE_EE10hipError_tT0_T1_T2_jT3_P12ihipStream_tbPNSt15iterator_traitsISL_E10value_typeEPNSR_ISM_E10value_typeEPSN_NS1_7vsmem_tEENKUlT_SL_SM_SN_E_clIS8_S8_S9_S9_EESK_S10_SL_SM_SN_EUlS10_E1_NS1_11comp_targetILNS1_3genE2ELNS1_11target_archE906ELNS1_3gpuE6ELNS1_3repE0EEENS1_36merge_oddeven_config_static_selectorELNS0_4arch9wavefront6targetE0EEEvSM_,comdat
.Lfunc_end1633:
	.size	_ZN7rocprim17ROCPRIM_400000_NS6detail17trampoline_kernelINS0_14default_configENS1_38merge_sort_block_merge_config_selectorIlNS0_10empty_typeEEEZZNS1_27merge_sort_block_merge_implIS3_PlPS5_mZN2at6native12_GLOBAL__N_124unique_dim_cuda_templateImEESt5tupleIJNSA_6TensorESF_SF_EERKSF_lbbbEUlllE_EE10hipError_tT0_T1_T2_jT3_P12ihipStream_tbPNSt15iterator_traitsISL_E10value_typeEPNSR_ISM_E10value_typeEPSN_NS1_7vsmem_tEENKUlT_SL_SM_SN_E_clIS8_S8_S9_S9_EESK_S10_SL_SM_SN_EUlS10_E1_NS1_11comp_targetILNS1_3genE2ELNS1_11target_archE906ELNS1_3gpuE6ELNS1_3repE0EEENS1_36merge_oddeven_config_static_selectorELNS0_4arch9wavefront6targetE0EEEvSM_, .Lfunc_end1633-_ZN7rocprim17ROCPRIM_400000_NS6detail17trampoline_kernelINS0_14default_configENS1_38merge_sort_block_merge_config_selectorIlNS0_10empty_typeEEEZZNS1_27merge_sort_block_merge_implIS3_PlPS5_mZN2at6native12_GLOBAL__N_124unique_dim_cuda_templateImEESt5tupleIJNSA_6TensorESF_SF_EERKSF_lbbbEUlllE_EE10hipError_tT0_T1_T2_jT3_P12ihipStream_tbPNSt15iterator_traitsISL_E10value_typeEPNSR_ISM_E10value_typeEPSN_NS1_7vsmem_tEENKUlT_SL_SM_SN_E_clIS8_S8_S9_S9_EESK_S10_SL_SM_SN_EUlS10_E1_NS1_11comp_targetILNS1_3genE2ELNS1_11target_archE906ELNS1_3gpuE6ELNS1_3repE0EEENS1_36merge_oddeven_config_static_selectorELNS0_4arch9wavefront6targetE0EEEvSM_
                                        ; -- End function
	.section	.AMDGPU.csdata,"",@progbits
; Kernel info:
; codeLenInByte = 0
; NumSgprs: 0
; NumVgprs: 0
; ScratchSize: 0
; MemoryBound: 0
; FloatMode: 240
; IeeeMode: 1
; LDSByteSize: 0 bytes/workgroup (compile time only)
; SGPRBlocks: 0
; VGPRBlocks: 0
; NumSGPRsForWavesPerEU: 1
; NumVGPRsForWavesPerEU: 1
; Occupancy: 16
; WaveLimiterHint : 0
; COMPUTE_PGM_RSRC2:SCRATCH_EN: 0
; COMPUTE_PGM_RSRC2:USER_SGPR: 15
; COMPUTE_PGM_RSRC2:TRAP_HANDLER: 0
; COMPUTE_PGM_RSRC2:TGID_X_EN: 1
; COMPUTE_PGM_RSRC2:TGID_Y_EN: 0
; COMPUTE_PGM_RSRC2:TGID_Z_EN: 0
; COMPUTE_PGM_RSRC2:TIDIG_COMP_CNT: 0
	.section	.text._ZN7rocprim17ROCPRIM_400000_NS6detail17trampoline_kernelINS0_14default_configENS1_38merge_sort_block_merge_config_selectorIlNS0_10empty_typeEEEZZNS1_27merge_sort_block_merge_implIS3_PlPS5_mZN2at6native12_GLOBAL__N_124unique_dim_cuda_templateImEESt5tupleIJNSA_6TensorESF_SF_EERKSF_lbbbEUlllE_EE10hipError_tT0_T1_T2_jT3_P12ihipStream_tbPNSt15iterator_traitsISL_E10value_typeEPNSR_ISM_E10value_typeEPSN_NS1_7vsmem_tEENKUlT_SL_SM_SN_E_clIS8_S8_S9_S9_EESK_S10_SL_SM_SN_EUlS10_E1_NS1_11comp_targetILNS1_3genE9ELNS1_11target_archE1100ELNS1_3gpuE3ELNS1_3repE0EEENS1_36merge_oddeven_config_static_selectorELNS0_4arch9wavefront6targetE0EEEvSM_,"axG",@progbits,_ZN7rocprim17ROCPRIM_400000_NS6detail17trampoline_kernelINS0_14default_configENS1_38merge_sort_block_merge_config_selectorIlNS0_10empty_typeEEEZZNS1_27merge_sort_block_merge_implIS3_PlPS5_mZN2at6native12_GLOBAL__N_124unique_dim_cuda_templateImEESt5tupleIJNSA_6TensorESF_SF_EERKSF_lbbbEUlllE_EE10hipError_tT0_T1_T2_jT3_P12ihipStream_tbPNSt15iterator_traitsISL_E10value_typeEPNSR_ISM_E10value_typeEPSN_NS1_7vsmem_tEENKUlT_SL_SM_SN_E_clIS8_S8_S9_S9_EESK_S10_SL_SM_SN_EUlS10_E1_NS1_11comp_targetILNS1_3genE9ELNS1_11target_archE1100ELNS1_3gpuE3ELNS1_3repE0EEENS1_36merge_oddeven_config_static_selectorELNS0_4arch9wavefront6targetE0EEEvSM_,comdat
	.globl	_ZN7rocprim17ROCPRIM_400000_NS6detail17trampoline_kernelINS0_14default_configENS1_38merge_sort_block_merge_config_selectorIlNS0_10empty_typeEEEZZNS1_27merge_sort_block_merge_implIS3_PlPS5_mZN2at6native12_GLOBAL__N_124unique_dim_cuda_templateImEESt5tupleIJNSA_6TensorESF_SF_EERKSF_lbbbEUlllE_EE10hipError_tT0_T1_T2_jT3_P12ihipStream_tbPNSt15iterator_traitsISL_E10value_typeEPNSR_ISM_E10value_typeEPSN_NS1_7vsmem_tEENKUlT_SL_SM_SN_E_clIS8_S8_S9_S9_EESK_S10_SL_SM_SN_EUlS10_E1_NS1_11comp_targetILNS1_3genE9ELNS1_11target_archE1100ELNS1_3gpuE3ELNS1_3repE0EEENS1_36merge_oddeven_config_static_selectorELNS0_4arch9wavefront6targetE0EEEvSM_ ; -- Begin function _ZN7rocprim17ROCPRIM_400000_NS6detail17trampoline_kernelINS0_14default_configENS1_38merge_sort_block_merge_config_selectorIlNS0_10empty_typeEEEZZNS1_27merge_sort_block_merge_implIS3_PlPS5_mZN2at6native12_GLOBAL__N_124unique_dim_cuda_templateImEESt5tupleIJNSA_6TensorESF_SF_EERKSF_lbbbEUlllE_EE10hipError_tT0_T1_T2_jT3_P12ihipStream_tbPNSt15iterator_traitsISL_E10value_typeEPNSR_ISM_E10value_typeEPSN_NS1_7vsmem_tEENKUlT_SL_SM_SN_E_clIS8_S8_S9_S9_EESK_S10_SL_SM_SN_EUlS10_E1_NS1_11comp_targetILNS1_3genE9ELNS1_11target_archE1100ELNS1_3gpuE3ELNS1_3repE0EEENS1_36merge_oddeven_config_static_selectorELNS0_4arch9wavefront6targetE0EEEvSM_
	.p2align	8
	.type	_ZN7rocprim17ROCPRIM_400000_NS6detail17trampoline_kernelINS0_14default_configENS1_38merge_sort_block_merge_config_selectorIlNS0_10empty_typeEEEZZNS1_27merge_sort_block_merge_implIS3_PlPS5_mZN2at6native12_GLOBAL__N_124unique_dim_cuda_templateImEESt5tupleIJNSA_6TensorESF_SF_EERKSF_lbbbEUlllE_EE10hipError_tT0_T1_T2_jT3_P12ihipStream_tbPNSt15iterator_traitsISL_E10value_typeEPNSR_ISM_E10value_typeEPSN_NS1_7vsmem_tEENKUlT_SL_SM_SN_E_clIS8_S8_S9_S9_EESK_S10_SL_SM_SN_EUlS10_E1_NS1_11comp_targetILNS1_3genE9ELNS1_11target_archE1100ELNS1_3gpuE3ELNS1_3repE0EEENS1_36merge_oddeven_config_static_selectorELNS0_4arch9wavefront6targetE0EEEvSM_,@function
_ZN7rocprim17ROCPRIM_400000_NS6detail17trampoline_kernelINS0_14default_configENS1_38merge_sort_block_merge_config_selectorIlNS0_10empty_typeEEEZZNS1_27merge_sort_block_merge_implIS3_PlPS5_mZN2at6native12_GLOBAL__N_124unique_dim_cuda_templateImEESt5tupleIJNSA_6TensorESF_SF_EERKSF_lbbbEUlllE_EE10hipError_tT0_T1_T2_jT3_P12ihipStream_tbPNSt15iterator_traitsISL_E10value_typeEPNSR_ISM_E10value_typeEPSN_NS1_7vsmem_tEENKUlT_SL_SM_SN_E_clIS8_S8_S9_S9_EESK_S10_SL_SM_SN_EUlS10_E1_NS1_11comp_targetILNS1_3genE9ELNS1_11target_archE1100ELNS1_3gpuE3ELNS1_3repE0EEENS1_36merge_oddeven_config_static_selectorELNS0_4arch9wavefront6targetE0EEEvSM_: ; @_ZN7rocprim17ROCPRIM_400000_NS6detail17trampoline_kernelINS0_14default_configENS1_38merge_sort_block_merge_config_selectorIlNS0_10empty_typeEEEZZNS1_27merge_sort_block_merge_implIS3_PlPS5_mZN2at6native12_GLOBAL__N_124unique_dim_cuda_templateImEESt5tupleIJNSA_6TensorESF_SF_EERKSF_lbbbEUlllE_EE10hipError_tT0_T1_T2_jT3_P12ihipStream_tbPNSt15iterator_traitsISL_E10value_typeEPNSR_ISM_E10value_typeEPSN_NS1_7vsmem_tEENKUlT_SL_SM_SN_E_clIS8_S8_S9_S9_EESK_S10_SL_SM_SN_EUlS10_E1_NS1_11comp_targetILNS1_3genE9ELNS1_11target_archE1100ELNS1_3gpuE3ELNS1_3repE0EEENS1_36merge_oddeven_config_static_selectorELNS0_4arch9wavefront6targetE0EEEvSM_
; %bb.0:
	s_load_b32 s3, s[0:1], 0x20
	s_waitcnt lgkmcnt(0)
	s_lshr_b32 s2, s3, 8
	s_delay_alu instid0(SALU_CYCLE_1) | instskip(SKIP_4) | instid1(SALU_CYCLE_1)
	s_cmp_lg_u32 s15, s2
	s_cselect_b32 s8, -1, 0
	s_cmp_eq_u32 s15, s2
	s_cselect_b32 s14, -1, 0
	s_lshl_b32 s12, s15, 8
	s_sub_i32 s2, s3, s12
	s_delay_alu instid0(SALU_CYCLE_1) | instskip(NEXT) | instid1(VALU_DEP_1)
	v_cmp_gt_u32_e64 s2, s2, v0
	s_or_b32 s4, s8, s2
	s_delay_alu instid0(SALU_CYCLE_1)
	s_and_saveexec_b32 s5, s4
	s_cbranch_execz .LBB1634_54
; %bb.1:
	s_clause 0x1
	s_load_b128 s[4:7], s[0:1], 0x0
	s_load_b32 s18, s[0:1], 0x28
	s_mov_b32 s13, 0
	v_lshlrev_b32_e32 v1, 3, v0
	s_lshl_b64 s[10:11], s[12:13], 3
	s_waitcnt lgkmcnt(0)
	s_add_u32 s10, s4, s10
	s_addc_u32 s11, s5, s11
	s_lshr_b32 s9, s18, 8
	global_load_b64 v[1:2], v1, s[10:11]
	s_sub_i32 s10, 0, s9
	s_delay_alu instid0(SALU_CYCLE_1) | instskip(NEXT) | instid1(SALU_CYCLE_1)
	s_and_b32 s10, s15, s10
	s_and_b32 s9, s10, s9
	s_delay_alu instid0(SALU_CYCLE_1)
	s_cmp_lg_u32 s9, 0
	s_cselect_b32 s16, -1, 0
	s_lshl_b32 s15, s10, 8
	s_sub_i32 s10, 0, s18
	s_cmp_eq_u32 s9, 0
	s_cselect_b32 s17, s18, s10
	s_delay_alu instid0(SALU_CYCLE_1) | instskip(NEXT) | instid1(SALU_CYCLE_1)
	s_add_i32 s17, s17, s15
	s_cmp_lt_u32 s17, s3
	s_cbranch_scc1 .LBB1634_3
; %bb.2:
	v_add_nc_u32_e32 v3, s12, v0
	s_delay_alu instid0(VALU_DEP_1) | instskip(SKIP_1) | instid1(SALU_CYCLE_1)
	v_cmp_gt_u32_e32 vcc_lo, s3, v3
	s_or_b32 s9, vcc_lo, s8
	s_and_b32 s13, s9, exec_lo
	s_cbranch_execz .LBB1634_4
	s_branch .LBB1634_52
.LBB1634_3:
                                        ; implicit-def: $vgpr3
.LBB1634_4:
	s_load_b128 s[8:11], s[0:1], 0x30
	v_add_nc_u32_e32 v0, s12, v0
	s_min_u32 s1, s17, s3
	s_and_b32 vcc_lo, exec_lo, s14
	s_add_i32 s0, s15, s1
	s_add_i32 s12, s1, s18
	v_subrev_nc_u32_e32 v0, s0, v0
	s_min_u32 s0, s15, s1
	s_min_u32 s12, s12, s3
	s_delay_alu instid0(VALU_DEP_1)
	v_add_nc_u32_e32 v0, s0, v0
	s_cbranch_vccz .LBB1634_26
; %bb.5:
                                        ; implicit-def: $vgpr3
	s_and_saveexec_b32 s18, s2
	s_cbranch_execz .LBB1634_29
; %bb.6:
	v_mov_b32_e32 v13, s1
	s_cmp_ge_u32 s17, s12
	s_cbranch_scc1 .LBB1634_28
; %bb.7:
	s_waitcnt vmcnt(0) lgkmcnt(0)
	v_mul_lo_u32 v5, v2, s8
	v_mul_lo_u32 v6, v1, s9
	v_mad_u64_u32 v[3:4], null, v1, s8, 0
	v_cmp_gt_i64_e64 s19, s[8:9], 0
	v_dual_mov_b32 v14, s12 :: v_dual_mov_b32 v13, s1
	s_lshl_b64 s[2:3], s[8:9], 3
	s_mov_b32 s20, 0
	s_delay_alu instid0(VALU_DEP_3) | instskip(NEXT) | instid1(VALU_DEP_1)
	v_add3_u32 v4, v4, v6, v5
	v_lshlrev_b64 v[5:6], 3, v[3:4]
	v_mov_b32_e32 v4, 0
	s_delay_alu instid0(VALU_DEP_2) | instskip(NEXT) | instid1(VALU_DEP_3)
	v_add_co_u32 v5, vcc_lo, s10, v5
	v_add_co_ci_u32_e32 v6, vcc_lo, s11, v6, vcc_lo
	s_branch .LBB1634_10
.LBB1634_8:                             ;   in Loop: Header=BB1634_10 Depth=1
	s_set_inst_prefetch_distance 0x2
	s_or_b32 exec_lo, exec_lo, s22
.LBB1634_9:                             ;   in Loop: Header=BB1634_10 Depth=1
	s_waitcnt vmcnt(0)
	v_add_nc_u32_e32 v7, 1, v3
	v_cndmask_b32_e64 v14, v3, v14, s21
	s_delay_alu instid0(VALU_DEP_2) | instskip(NEXT) | instid1(VALU_DEP_1)
	v_cndmask_b32_e64 v13, v13, v7, s21
	v_cmp_ge_u32_e32 vcc_lo, v13, v14
	s_or_b32 s20, vcc_lo, s20
	s_delay_alu instid0(SALU_CYCLE_1)
	s_and_not1_b32 exec_lo, exec_lo, s20
	s_cbranch_execz .LBB1634_27
.LBB1634_10:                            ; =>This Loop Header: Depth=1
                                        ;     Child Loop BB1634_14 Depth 2
                                        ;     Child Loop BB1634_23 Depth 2
	v_add_nc_u32_e32 v3, v13, v14
	s_mov_b32 s0, -1
                                        ; implicit-def: $sgpr21
	s_delay_alu instid0(VALU_DEP_1) | instskip(NEXT) | instid1(VALU_DEP_1)
	v_lshrrev_b32_e32 v3, 1, v3
	v_lshlrev_b64 v[7:8], 3, v[3:4]
	s_delay_alu instid0(VALU_DEP_1) | instskip(NEXT) | instid1(VALU_DEP_2)
	v_add_co_u32 v7, vcc_lo, s4, v7
	v_add_co_ci_u32_e32 v8, vcc_lo, s5, v8, vcc_lo
	s_and_not1_b32 vcc_lo, exec_lo, s16
	global_load_b64 v[7:8], v[7:8], off
	s_cbranch_vccnz .LBB1634_19
; %bb.11:                               ;   in Loop: Header=BB1634_10 Depth=1
	s_and_not1_b32 vcc_lo, exec_lo, s19
	s_cbranch_vccnz .LBB1634_17
; %bb.12:                               ;   in Loop: Header=BB1634_10 Depth=1
	s_waitcnt vmcnt(0)
	v_mad_u64_u32 v[9:10], null, s2, v7, s[10:11]
	v_mul_lo_u32 v11, s2, v8
	v_mul_lo_u32 v12, s3, v7
	s_mov_b32 s22, 0
	s_mov_b64 s[14:15], s[8:9]
                                        ; implicit-def: $sgpr21
                                        ; implicit-def: $sgpr23
                                        ; implicit-def: $sgpr24
                                        ; implicit-def: $sgpr25
                                        ; implicit-def: $sgpr26
	s_delay_alu instid0(VALU_DEP_1)
	v_add3_u32 v10, v12, v10, v11
	v_dual_mov_b32 v12, v6 :: v_dual_mov_b32 v11, v5
	s_set_inst_prefetch_distance 0x1
	s_branch .LBB1634_14
	.p2align	6
.LBB1634_13:                            ;   in Loop: Header=BB1634_14 Depth=2
	s_or_b32 exec_lo, exec_lo, s0
	s_delay_alu instid0(SALU_CYCLE_1) | instskip(NEXT) | instid1(SALU_CYCLE_1)
	s_and_b32 s0, exec_lo, s23
	s_or_b32 s22, s0, s22
	s_and_not1_b32 s0, s26, exec_lo
	s_and_b32 s26, s24, exec_lo
	s_and_not1_b32 s21, s21, exec_lo
	s_and_b32 s27, s25, exec_lo
	s_or_b32 s26, s0, s26
	s_or_b32 s21, s21, s27
	s_and_not1_b32 exec_lo, exec_lo, s22
	s_cbranch_execz .LBB1634_16
.LBB1634_14:                            ;   Parent Loop BB1634_10 Depth=1
                                        ; =>  This Inner Loop Header: Depth=2
	global_load_b64 v[15:16], v[11:12], off
	global_load_b64 v[17:18], v[9:10], off
	s_and_not1_b32 s25, s25, exec_lo
	s_and_not1_b32 s24, s24, exec_lo
	s_or_b32 s23, s23, exec_lo
	s_waitcnt vmcnt(0)
	v_cmp_le_u64_e32 vcc_lo, v[15:16], v[17:18]
	v_cmp_lt_u64_e64 s0, v[15:16], v[17:18]
	s_and_b32 s27, vcc_lo, s26
	s_delay_alu instid0(VALU_DEP_1) | instid1(SALU_CYCLE_1)
	s_or_b32 s27, s0, s27
	s_delay_alu instid0(SALU_CYCLE_1) | instskip(NEXT) | instid1(SALU_CYCLE_1)
	s_and_b32 s0, s27, exec_lo
	s_or_b32 s25, s25, s0
	s_mov_b32 s0, exec_lo
	v_cmpx_eq_u64_e64 v[15:16], v[17:18]
	s_cbranch_execz .LBB1634_13
; %bb.15:                               ;   in Loop: Header=BB1634_14 Depth=2
	s_add_u32 s14, s14, -1
	s_addc_u32 s15, s15, -1
	v_add_co_u32 v11, vcc_lo, v11, 8
	s_cmp_eq_u64 s[14:15], 0
	v_add_co_ci_u32_e32 v12, vcc_lo, 0, v12, vcc_lo
	s_cselect_b32 s26, -1, 0
	v_add_co_u32 v9, vcc_lo, v9, 8
	s_and_not1_b32 s24, s24, exec_lo
	s_and_b32 s27, s27, exec_lo
	s_and_not1_b32 s23, s23, exec_lo
	s_and_b32 s26, s26, exec_lo
	v_add_co_ci_u32_e32 v10, vcc_lo, 0, v10, vcc_lo
	s_and_not1_b32 s25, s25, exec_lo
	s_or_b32 s24, s24, s27
	s_or_b32 s23, s23, s26
                                        ; implicit-def: $sgpr26
	s_branch .LBB1634_13
.LBB1634_16:                            ;   in Loop: Header=BB1634_10 Depth=1
	s_set_inst_prefetch_distance 0x2
	s_or_b32 exec_lo, exec_lo, s22
	s_branch .LBB1634_18
.LBB1634_17:                            ;   in Loop: Header=BB1634_10 Depth=1
	s_mov_b32 s21, 0
.LBB1634_18:                            ;   in Loop: Header=BB1634_10 Depth=1
	s_delay_alu instid0(SALU_CYCLE_1)
	s_xor_b32 s21, s21, -1
	s_mov_b32 s0, 0
.LBB1634_19:                            ;   in Loop: Header=BB1634_10 Depth=1
	s_delay_alu instid0(SALU_CYCLE_1)
	s_and_b32 vcc_lo, exec_lo, s0
	s_cbranch_vccz .LBB1634_9
; %bb.20:                               ;   in Loop: Header=BB1634_10 Depth=1
	s_and_not1_b32 vcc_lo, exec_lo, s19
	s_cbranch_vccnz .LBB1634_25
; %bb.21:                               ;   in Loop: Header=BB1634_10 Depth=1
	s_waitcnt vmcnt(0)
	v_mad_u64_u32 v[9:10], null, s2, v7, s[10:11]
	v_mul_lo_u32 v8, s2, v8
	v_mul_lo_u32 v7, s3, v7
	s_mov_b32 s22, 0
	s_mov_b64 s[14:15], s[8:9]
                                        ; implicit-def: $sgpr21
                                        ; implicit-def: $sgpr23
                                        ; implicit-def: $sgpr24
                                        ; implicit-def: $sgpr25
                                        ; implicit-def: $sgpr26
	s_delay_alu instid0(VALU_DEP_1)
	v_add3_u32 v10, v7, v10, v8
	v_dual_mov_b32 v8, v6 :: v_dual_mov_b32 v7, v5
	s_set_inst_prefetch_distance 0x1
	s_branch .LBB1634_23
	.p2align	6
.LBB1634_22:                            ;   in Loop: Header=BB1634_23 Depth=2
	s_or_b32 exec_lo, exec_lo, s0
	s_delay_alu instid0(SALU_CYCLE_1) | instskip(NEXT) | instid1(SALU_CYCLE_1)
	s_and_b32 s0, exec_lo, s23
	s_or_b32 s22, s0, s22
	s_and_not1_b32 s0, s26, exec_lo
	s_and_b32 s26, s24, exec_lo
	s_and_not1_b32 s21, s21, exec_lo
	s_and_b32 s27, s25, exec_lo
	s_or_b32 s26, s0, s26
	s_or_b32 s21, s21, s27
	s_and_not1_b32 exec_lo, exec_lo, s22
	s_cbranch_execz .LBB1634_8
.LBB1634_23:                            ;   Parent Loop BB1634_10 Depth=1
                                        ; =>  This Inner Loop Header: Depth=2
	global_load_b64 v[11:12], v[9:10], off
	global_load_b64 v[15:16], v[7:8], off
	s_and_not1_b32 s25, s25, exec_lo
	s_and_not1_b32 s24, s24, exec_lo
	s_or_b32 s23, s23, exec_lo
	s_waitcnt vmcnt(0)
	v_cmp_le_u64_e32 vcc_lo, v[11:12], v[15:16]
	v_cmp_lt_u64_e64 s0, v[11:12], v[15:16]
	s_and_b32 s27, vcc_lo, s26
	s_delay_alu instid0(VALU_DEP_1) | instid1(SALU_CYCLE_1)
	s_or_b32 s27, s0, s27
	s_delay_alu instid0(SALU_CYCLE_1) | instskip(NEXT) | instid1(SALU_CYCLE_1)
	s_and_b32 s0, s27, exec_lo
	s_or_b32 s25, s25, s0
	s_mov_b32 s0, exec_lo
	v_cmpx_eq_u64_e64 v[11:12], v[15:16]
	s_cbranch_execz .LBB1634_22
; %bb.24:                               ;   in Loop: Header=BB1634_23 Depth=2
	s_add_u32 s14, s14, -1
	s_addc_u32 s15, s15, -1
	v_add_co_u32 v9, vcc_lo, v9, 8
	s_cmp_eq_u64 s[14:15], 0
	v_add_co_ci_u32_e32 v10, vcc_lo, 0, v10, vcc_lo
	s_cselect_b32 s26, -1, 0
	v_add_co_u32 v7, vcc_lo, v7, 8
	s_and_not1_b32 s24, s24, exec_lo
	s_and_b32 s27, s27, exec_lo
	s_and_not1_b32 s23, s23, exec_lo
	s_and_b32 s26, s26, exec_lo
	v_add_co_ci_u32_e32 v8, vcc_lo, 0, v8, vcc_lo
	s_and_not1_b32 s25, s25, exec_lo
	s_or_b32 s24, s24, s27
	s_or_b32 s23, s23, s26
                                        ; implicit-def: $sgpr26
	s_branch .LBB1634_22
.LBB1634_25:                            ;   in Loop: Header=BB1634_10 Depth=1
	s_mov_b32 s21, 0
	s_branch .LBB1634_9
.LBB1634_26:
                                        ; implicit-def: $vgpr3
	s_cbranch_execnz .LBB1634_30
	s_branch .LBB1634_52
.LBB1634_27:
	s_or_b32 exec_lo, exec_lo, s20
.LBB1634_28:
	s_delay_alu instid0(VALU_DEP_1)
	v_add_nc_u32_e32 v3, v13, v0
	s_or_b32 s13, s13, exec_lo
.LBB1634_29:
	s_or_b32 exec_lo, exec_lo, s18
	s_branch .LBB1634_52
.LBB1634_30:
	v_mov_b32_e32 v13, s1
	s_cmp_ge_u32 s17, s12
	s_cbranch_scc1 .LBB1634_51
; %bb.31:
	s_waitcnt vmcnt(0) lgkmcnt(0)
	v_mul_lo_u32 v5, v2, s8
	v_mul_lo_u32 v6, v1, s9
	v_mad_u64_u32 v[3:4], null, v1, s8, 0
	v_dual_mov_b32 v14, s12 :: v_dual_mov_b32 v13, s1
	v_cmp_gt_i64_e64 s1, s[8:9], 0
	s_lshl_b64 s[2:3], s[8:9], 3
	s_mov_b32 s14, 0
	s_delay_alu instid0(VALU_DEP_3) | instskip(NEXT) | instid1(VALU_DEP_2)
	v_add3_u32 v4, v4, v6, v5
	v_cndmask_b32_e64 v15, 0, 1, s1
	s_delay_alu instid0(VALU_DEP_2) | instskip(SKIP_1) | instid1(VALU_DEP_2)
	v_lshlrev_b64 v[5:6], 3, v[3:4]
	v_mov_b32_e32 v4, 0
	v_add_co_u32 v5, vcc_lo, s10, v5
	s_delay_alu instid0(VALU_DEP_3)
	v_add_co_ci_u32_e32 v6, vcc_lo, s11, v6, vcc_lo
	s_branch .LBB1634_34
.LBB1634_32:                            ;   in Loop: Header=BB1634_34 Depth=1
	s_set_inst_prefetch_distance 0x2
	s_or_b32 exec_lo, exec_lo, s17
.LBB1634_33:                            ;   in Loop: Header=BB1634_34 Depth=1
	s_waitcnt vmcnt(0)
	v_add_nc_u32_e32 v7, 1, v3
	v_cndmask_b32_e64 v14, v3, v14, s15
	s_delay_alu instid0(VALU_DEP_2) | instskip(NEXT) | instid1(VALU_DEP_1)
	v_cndmask_b32_e64 v13, v13, v7, s15
	v_cmp_ge_u32_e32 vcc_lo, v13, v14
	s_or_b32 s14, vcc_lo, s14
	s_delay_alu instid0(SALU_CYCLE_1)
	s_and_not1_b32 exec_lo, exec_lo, s14
	s_cbranch_execz .LBB1634_50
.LBB1634_34:                            ; =>This Loop Header: Depth=1
                                        ;     Child Loop BB1634_38 Depth 2
                                        ;     Child Loop BB1634_47 Depth 2
	v_add_nc_u32_e32 v3, v13, v14
	v_cmp_ne_u32_e64 s0, 1, v15
	s_mov_b32 s12, -1
                                        ; implicit-def: $sgpr15
	s_delay_alu instid0(VALU_DEP_2) | instskip(NEXT) | instid1(VALU_DEP_1)
	v_lshrrev_b32_e32 v3, 1, v3
	v_lshlrev_b64 v[7:8], 3, v[3:4]
	s_delay_alu instid0(VALU_DEP_1) | instskip(NEXT) | instid1(VALU_DEP_2)
	v_add_co_u32 v7, vcc_lo, s4, v7
	v_add_co_ci_u32_e32 v8, vcc_lo, s5, v8, vcc_lo
	s_and_not1_b32 vcc_lo, exec_lo, s16
	global_load_b64 v[7:8], v[7:8], off
	s_cbranch_vccnz .LBB1634_43
; %bb.35:                               ;   in Loop: Header=BB1634_34 Depth=1
	s_and_b32 vcc_lo, exec_lo, s0
	s_cbranch_vccnz .LBB1634_41
; %bb.36:                               ;   in Loop: Header=BB1634_34 Depth=1
	s_waitcnt vmcnt(0)
	v_mad_u64_u32 v[9:10], null, s2, v7, s[10:11]
	v_mul_lo_u32 v11, s2, v8
	v_mul_lo_u32 v12, s3, v7
	s_mov_b32 s17, 0
	s_mov_b64 s[12:13], s[8:9]
                                        ; implicit-def: $sgpr15
                                        ; implicit-def: $sgpr18
                                        ; implicit-def: $sgpr19
                                        ; implicit-def: $sgpr20
                                        ; implicit-def: $sgpr21
	s_delay_alu instid0(VALU_DEP_1)
	v_add3_u32 v10, v12, v10, v11
	v_dual_mov_b32 v12, v6 :: v_dual_mov_b32 v11, v5
	s_set_inst_prefetch_distance 0x1
	s_branch .LBB1634_38
	.p2align	6
.LBB1634_37:                            ;   in Loop: Header=BB1634_38 Depth=2
	s_or_b32 exec_lo, exec_lo, s0
	s_delay_alu instid0(SALU_CYCLE_1) | instskip(NEXT) | instid1(SALU_CYCLE_1)
	s_and_b32 s0, exec_lo, s18
	s_or_b32 s17, s0, s17
	s_and_not1_b32 s0, s21, exec_lo
	s_and_b32 s21, s19, exec_lo
	s_and_not1_b32 s15, s15, exec_lo
	s_and_b32 s22, s20, exec_lo
	s_or_b32 s21, s0, s21
	s_or_b32 s15, s15, s22
	s_and_not1_b32 exec_lo, exec_lo, s17
	s_cbranch_execz .LBB1634_40
.LBB1634_38:                            ;   Parent Loop BB1634_34 Depth=1
                                        ; =>  This Inner Loop Header: Depth=2
	global_load_b64 v[16:17], v[11:12], off
	global_load_b64 v[18:19], v[9:10], off
	s_and_not1_b32 s20, s20, exec_lo
	s_and_not1_b32 s19, s19, exec_lo
	s_or_b32 s18, s18, exec_lo
	s_waitcnt vmcnt(0)
	v_cmp_le_u64_e32 vcc_lo, v[16:17], v[18:19]
	v_cmp_lt_u64_e64 s0, v[16:17], v[18:19]
	s_and_b32 s22, vcc_lo, s21
	s_delay_alu instid0(VALU_DEP_1) | instid1(SALU_CYCLE_1)
	s_or_b32 s22, s0, s22
	s_delay_alu instid0(SALU_CYCLE_1) | instskip(NEXT) | instid1(SALU_CYCLE_1)
	s_and_b32 s0, s22, exec_lo
	s_or_b32 s20, s20, s0
	s_mov_b32 s0, exec_lo
	v_cmpx_eq_u64_e64 v[16:17], v[18:19]
	s_cbranch_execz .LBB1634_37
; %bb.39:                               ;   in Loop: Header=BB1634_38 Depth=2
	s_add_u32 s12, s12, -1
	s_addc_u32 s13, s13, -1
	v_add_co_u32 v11, vcc_lo, v11, 8
	s_cmp_eq_u64 s[12:13], 0
	v_add_co_ci_u32_e32 v12, vcc_lo, 0, v12, vcc_lo
	s_cselect_b32 s21, -1, 0
	v_add_co_u32 v9, vcc_lo, v9, 8
	s_and_not1_b32 s19, s19, exec_lo
	s_and_b32 s22, s22, exec_lo
	s_and_not1_b32 s18, s18, exec_lo
	s_and_b32 s21, s21, exec_lo
	v_add_co_ci_u32_e32 v10, vcc_lo, 0, v10, vcc_lo
	s_and_not1_b32 s20, s20, exec_lo
	s_or_b32 s19, s19, s22
	s_or_b32 s18, s18, s21
                                        ; implicit-def: $sgpr21
	s_branch .LBB1634_37
.LBB1634_40:                            ;   in Loop: Header=BB1634_34 Depth=1
	s_set_inst_prefetch_distance 0x2
	s_or_b32 exec_lo, exec_lo, s17
	s_branch .LBB1634_42
.LBB1634_41:                            ;   in Loop: Header=BB1634_34 Depth=1
	s_mov_b32 s15, 0
.LBB1634_42:                            ;   in Loop: Header=BB1634_34 Depth=1
	s_delay_alu instid0(SALU_CYCLE_1)
	s_xor_b32 s15, s15, -1
	s_mov_b32 s12, 0
.LBB1634_43:                            ;   in Loop: Header=BB1634_34 Depth=1
	s_delay_alu instid0(SALU_CYCLE_1)
	s_and_b32 vcc_lo, exec_lo, s12
	s_cbranch_vccz .LBB1634_33
; %bb.44:                               ;   in Loop: Header=BB1634_34 Depth=1
	s_and_not1_b32 vcc_lo, exec_lo, s1
	s_cbranch_vccnz .LBB1634_49
; %bb.45:                               ;   in Loop: Header=BB1634_34 Depth=1
	s_waitcnt vmcnt(0)
	v_mad_u64_u32 v[9:10], null, s2, v7, s[10:11]
	v_mul_lo_u32 v8, s2, v8
	v_mul_lo_u32 v7, s3, v7
	s_mov_b32 s17, 0
	s_mov_b64 s[12:13], s[8:9]
                                        ; implicit-def: $sgpr15
                                        ; implicit-def: $sgpr18
                                        ; implicit-def: $sgpr19
                                        ; implicit-def: $sgpr20
                                        ; implicit-def: $sgpr21
	s_delay_alu instid0(VALU_DEP_1)
	v_add3_u32 v10, v7, v10, v8
	v_dual_mov_b32 v8, v6 :: v_dual_mov_b32 v7, v5
	s_set_inst_prefetch_distance 0x1
	s_branch .LBB1634_47
	.p2align	6
.LBB1634_46:                            ;   in Loop: Header=BB1634_47 Depth=2
	s_or_b32 exec_lo, exec_lo, s0
	s_delay_alu instid0(SALU_CYCLE_1) | instskip(NEXT) | instid1(SALU_CYCLE_1)
	s_and_b32 s0, exec_lo, s18
	s_or_b32 s17, s0, s17
	s_and_not1_b32 s0, s21, exec_lo
	s_and_b32 s21, s19, exec_lo
	s_and_not1_b32 s15, s15, exec_lo
	s_and_b32 s22, s20, exec_lo
	s_or_b32 s21, s0, s21
	s_or_b32 s15, s15, s22
	s_and_not1_b32 exec_lo, exec_lo, s17
	s_cbranch_execz .LBB1634_32
.LBB1634_47:                            ;   Parent Loop BB1634_34 Depth=1
                                        ; =>  This Inner Loop Header: Depth=2
	global_load_b64 v[11:12], v[9:10], off
	global_load_b64 v[16:17], v[7:8], off
	s_and_not1_b32 s20, s20, exec_lo
	s_and_not1_b32 s19, s19, exec_lo
	s_or_b32 s18, s18, exec_lo
	s_waitcnt vmcnt(0)
	v_cmp_le_u64_e32 vcc_lo, v[11:12], v[16:17]
	v_cmp_lt_u64_e64 s0, v[11:12], v[16:17]
	s_and_b32 s22, vcc_lo, s21
	s_delay_alu instid0(VALU_DEP_1) | instid1(SALU_CYCLE_1)
	s_or_b32 s22, s0, s22
	s_delay_alu instid0(SALU_CYCLE_1) | instskip(NEXT) | instid1(SALU_CYCLE_1)
	s_and_b32 s0, s22, exec_lo
	s_or_b32 s20, s20, s0
	s_mov_b32 s0, exec_lo
	v_cmpx_eq_u64_e64 v[11:12], v[16:17]
	s_cbranch_execz .LBB1634_46
; %bb.48:                               ;   in Loop: Header=BB1634_47 Depth=2
	s_add_u32 s12, s12, -1
	s_addc_u32 s13, s13, -1
	v_add_co_u32 v9, vcc_lo, v9, 8
	s_cmp_eq_u64 s[12:13], 0
	v_add_co_ci_u32_e32 v10, vcc_lo, 0, v10, vcc_lo
	s_cselect_b32 s21, -1, 0
	v_add_co_u32 v7, vcc_lo, v7, 8
	s_and_not1_b32 s19, s19, exec_lo
	s_and_b32 s22, s22, exec_lo
	s_and_not1_b32 s18, s18, exec_lo
	s_and_b32 s21, s21, exec_lo
	v_add_co_ci_u32_e32 v8, vcc_lo, 0, v8, vcc_lo
	s_and_not1_b32 s20, s20, exec_lo
	s_or_b32 s19, s19, s22
	s_or_b32 s18, s18, s21
                                        ; implicit-def: $sgpr21
	s_branch .LBB1634_46
.LBB1634_49:                            ;   in Loop: Header=BB1634_34 Depth=1
	s_mov_b32 s15, 0
	s_branch .LBB1634_33
.LBB1634_50:
	s_or_b32 exec_lo, exec_lo, s14
.LBB1634_51:
	s_delay_alu instid0(VALU_DEP_1)
	v_add_nc_u32_e32 v3, v13, v0
	s_mov_b32 s13, -1
.LBB1634_52:
	s_delay_alu instid0(SALU_CYCLE_1)
	s_and_b32 exec_lo, exec_lo, s13
	s_cbranch_execz .LBB1634_54
; %bb.53:
	v_mov_b32_e32 v4, 0
	s_delay_alu instid0(VALU_DEP_1) | instskip(NEXT) | instid1(VALU_DEP_1)
	v_lshlrev_b64 v[3:4], 3, v[3:4]
	v_add_co_u32 v3, vcc_lo, s6, v3
	s_delay_alu instid0(VALU_DEP_2)
	v_add_co_ci_u32_e32 v4, vcc_lo, s7, v4, vcc_lo
	s_waitcnt vmcnt(0)
	global_store_b64 v[3:4], v[1:2], off
.LBB1634_54:
	s_nop 0
	s_sendmsg sendmsg(MSG_DEALLOC_VGPRS)
	s_endpgm
	.section	.rodata,"a",@progbits
	.p2align	6, 0x0
	.amdhsa_kernel _ZN7rocprim17ROCPRIM_400000_NS6detail17trampoline_kernelINS0_14default_configENS1_38merge_sort_block_merge_config_selectorIlNS0_10empty_typeEEEZZNS1_27merge_sort_block_merge_implIS3_PlPS5_mZN2at6native12_GLOBAL__N_124unique_dim_cuda_templateImEESt5tupleIJNSA_6TensorESF_SF_EERKSF_lbbbEUlllE_EE10hipError_tT0_T1_T2_jT3_P12ihipStream_tbPNSt15iterator_traitsISL_E10value_typeEPNSR_ISM_E10value_typeEPSN_NS1_7vsmem_tEENKUlT_SL_SM_SN_E_clIS8_S8_S9_S9_EESK_S10_SL_SM_SN_EUlS10_E1_NS1_11comp_targetILNS1_3genE9ELNS1_11target_archE1100ELNS1_3gpuE3ELNS1_3repE0EEENS1_36merge_oddeven_config_static_selectorELNS0_4arch9wavefront6targetE0EEEvSM_
		.amdhsa_group_segment_fixed_size 0
		.amdhsa_private_segment_fixed_size 0
		.amdhsa_kernarg_size 64
		.amdhsa_user_sgpr_count 15
		.amdhsa_user_sgpr_dispatch_ptr 0
		.amdhsa_user_sgpr_queue_ptr 0
		.amdhsa_user_sgpr_kernarg_segment_ptr 1
		.amdhsa_user_sgpr_dispatch_id 0
		.amdhsa_user_sgpr_private_segment_size 0
		.amdhsa_wavefront_size32 1
		.amdhsa_uses_dynamic_stack 0
		.amdhsa_enable_private_segment 0
		.amdhsa_system_sgpr_workgroup_id_x 1
		.amdhsa_system_sgpr_workgroup_id_y 0
		.amdhsa_system_sgpr_workgroup_id_z 0
		.amdhsa_system_sgpr_workgroup_info 0
		.amdhsa_system_vgpr_workitem_id 0
		.amdhsa_next_free_vgpr 20
		.amdhsa_next_free_sgpr 28
		.amdhsa_reserve_vcc 1
		.amdhsa_float_round_mode_32 0
		.amdhsa_float_round_mode_16_64 0
		.amdhsa_float_denorm_mode_32 3
		.amdhsa_float_denorm_mode_16_64 3
		.amdhsa_dx10_clamp 1
		.amdhsa_ieee_mode 1
		.amdhsa_fp16_overflow 0
		.amdhsa_workgroup_processor_mode 1
		.amdhsa_memory_ordered 1
		.amdhsa_forward_progress 0
		.amdhsa_shared_vgpr_count 0
		.amdhsa_exception_fp_ieee_invalid_op 0
		.amdhsa_exception_fp_denorm_src 0
		.amdhsa_exception_fp_ieee_div_zero 0
		.amdhsa_exception_fp_ieee_overflow 0
		.amdhsa_exception_fp_ieee_underflow 0
		.amdhsa_exception_fp_ieee_inexact 0
		.amdhsa_exception_int_div_zero 0
	.end_amdhsa_kernel
	.section	.text._ZN7rocprim17ROCPRIM_400000_NS6detail17trampoline_kernelINS0_14default_configENS1_38merge_sort_block_merge_config_selectorIlNS0_10empty_typeEEEZZNS1_27merge_sort_block_merge_implIS3_PlPS5_mZN2at6native12_GLOBAL__N_124unique_dim_cuda_templateImEESt5tupleIJNSA_6TensorESF_SF_EERKSF_lbbbEUlllE_EE10hipError_tT0_T1_T2_jT3_P12ihipStream_tbPNSt15iterator_traitsISL_E10value_typeEPNSR_ISM_E10value_typeEPSN_NS1_7vsmem_tEENKUlT_SL_SM_SN_E_clIS8_S8_S9_S9_EESK_S10_SL_SM_SN_EUlS10_E1_NS1_11comp_targetILNS1_3genE9ELNS1_11target_archE1100ELNS1_3gpuE3ELNS1_3repE0EEENS1_36merge_oddeven_config_static_selectorELNS0_4arch9wavefront6targetE0EEEvSM_,"axG",@progbits,_ZN7rocprim17ROCPRIM_400000_NS6detail17trampoline_kernelINS0_14default_configENS1_38merge_sort_block_merge_config_selectorIlNS0_10empty_typeEEEZZNS1_27merge_sort_block_merge_implIS3_PlPS5_mZN2at6native12_GLOBAL__N_124unique_dim_cuda_templateImEESt5tupleIJNSA_6TensorESF_SF_EERKSF_lbbbEUlllE_EE10hipError_tT0_T1_T2_jT3_P12ihipStream_tbPNSt15iterator_traitsISL_E10value_typeEPNSR_ISM_E10value_typeEPSN_NS1_7vsmem_tEENKUlT_SL_SM_SN_E_clIS8_S8_S9_S9_EESK_S10_SL_SM_SN_EUlS10_E1_NS1_11comp_targetILNS1_3genE9ELNS1_11target_archE1100ELNS1_3gpuE3ELNS1_3repE0EEENS1_36merge_oddeven_config_static_selectorELNS0_4arch9wavefront6targetE0EEEvSM_,comdat
.Lfunc_end1634:
	.size	_ZN7rocprim17ROCPRIM_400000_NS6detail17trampoline_kernelINS0_14default_configENS1_38merge_sort_block_merge_config_selectorIlNS0_10empty_typeEEEZZNS1_27merge_sort_block_merge_implIS3_PlPS5_mZN2at6native12_GLOBAL__N_124unique_dim_cuda_templateImEESt5tupleIJNSA_6TensorESF_SF_EERKSF_lbbbEUlllE_EE10hipError_tT0_T1_T2_jT3_P12ihipStream_tbPNSt15iterator_traitsISL_E10value_typeEPNSR_ISM_E10value_typeEPSN_NS1_7vsmem_tEENKUlT_SL_SM_SN_E_clIS8_S8_S9_S9_EESK_S10_SL_SM_SN_EUlS10_E1_NS1_11comp_targetILNS1_3genE9ELNS1_11target_archE1100ELNS1_3gpuE3ELNS1_3repE0EEENS1_36merge_oddeven_config_static_selectorELNS0_4arch9wavefront6targetE0EEEvSM_, .Lfunc_end1634-_ZN7rocprim17ROCPRIM_400000_NS6detail17trampoline_kernelINS0_14default_configENS1_38merge_sort_block_merge_config_selectorIlNS0_10empty_typeEEEZZNS1_27merge_sort_block_merge_implIS3_PlPS5_mZN2at6native12_GLOBAL__N_124unique_dim_cuda_templateImEESt5tupleIJNSA_6TensorESF_SF_EERKSF_lbbbEUlllE_EE10hipError_tT0_T1_T2_jT3_P12ihipStream_tbPNSt15iterator_traitsISL_E10value_typeEPNSR_ISM_E10value_typeEPSN_NS1_7vsmem_tEENKUlT_SL_SM_SN_E_clIS8_S8_S9_S9_EESK_S10_SL_SM_SN_EUlS10_E1_NS1_11comp_targetILNS1_3genE9ELNS1_11target_archE1100ELNS1_3gpuE3ELNS1_3repE0EEENS1_36merge_oddeven_config_static_selectorELNS0_4arch9wavefront6targetE0EEEvSM_
                                        ; -- End function
	.section	.AMDGPU.csdata,"",@progbits
; Kernel info:
; codeLenInByte = 2052
; NumSgprs: 30
; NumVgprs: 20
; ScratchSize: 0
; MemoryBound: 0
; FloatMode: 240
; IeeeMode: 1
; LDSByteSize: 0 bytes/workgroup (compile time only)
; SGPRBlocks: 3
; VGPRBlocks: 2
; NumSGPRsForWavesPerEU: 30
; NumVGPRsForWavesPerEU: 20
; Occupancy: 16
; WaveLimiterHint : 0
; COMPUTE_PGM_RSRC2:SCRATCH_EN: 0
; COMPUTE_PGM_RSRC2:USER_SGPR: 15
; COMPUTE_PGM_RSRC2:TRAP_HANDLER: 0
; COMPUTE_PGM_RSRC2:TGID_X_EN: 1
; COMPUTE_PGM_RSRC2:TGID_Y_EN: 0
; COMPUTE_PGM_RSRC2:TGID_Z_EN: 0
; COMPUTE_PGM_RSRC2:TIDIG_COMP_CNT: 0
	.section	.text._ZN7rocprim17ROCPRIM_400000_NS6detail17trampoline_kernelINS0_14default_configENS1_38merge_sort_block_merge_config_selectorIlNS0_10empty_typeEEEZZNS1_27merge_sort_block_merge_implIS3_PlPS5_mZN2at6native12_GLOBAL__N_124unique_dim_cuda_templateImEESt5tupleIJNSA_6TensorESF_SF_EERKSF_lbbbEUlllE_EE10hipError_tT0_T1_T2_jT3_P12ihipStream_tbPNSt15iterator_traitsISL_E10value_typeEPNSR_ISM_E10value_typeEPSN_NS1_7vsmem_tEENKUlT_SL_SM_SN_E_clIS8_S8_S9_S9_EESK_S10_SL_SM_SN_EUlS10_E1_NS1_11comp_targetILNS1_3genE8ELNS1_11target_archE1030ELNS1_3gpuE2ELNS1_3repE0EEENS1_36merge_oddeven_config_static_selectorELNS0_4arch9wavefront6targetE0EEEvSM_,"axG",@progbits,_ZN7rocprim17ROCPRIM_400000_NS6detail17trampoline_kernelINS0_14default_configENS1_38merge_sort_block_merge_config_selectorIlNS0_10empty_typeEEEZZNS1_27merge_sort_block_merge_implIS3_PlPS5_mZN2at6native12_GLOBAL__N_124unique_dim_cuda_templateImEESt5tupleIJNSA_6TensorESF_SF_EERKSF_lbbbEUlllE_EE10hipError_tT0_T1_T2_jT3_P12ihipStream_tbPNSt15iterator_traitsISL_E10value_typeEPNSR_ISM_E10value_typeEPSN_NS1_7vsmem_tEENKUlT_SL_SM_SN_E_clIS8_S8_S9_S9_EESK_S10_SL_SM_SN_EUlS10_E1_NS1_11comp_targetILNS1_3genE8ELNS1_11target_archE1030ELNS1_3gpuE2ELNS1_3repE0EEENS1_36merge_oddeven_config_static_selectorELNS0_4arch9wavefront6targetE0EEEvSM_,comdat
	.globl	_ZN7rocprim17ROCPRIM_400000_NS6detail17trampoline_kernelINS0_14default_configENS1_38merge_sort_block_merge_config_selectorIlNS0_10empty_typeEEEZZNS1_27merge_sort_block_merge_implIS3_PlPS5_mZN2at6native12_GLOBAL__N_124unique_dim_cuda_templateImEESt5tupleIJNSA_6TensorESF_SF_EERKSF_lbbbEUlllE_EE10hipError_tT0_T1_T2_jT3_P12ihipStream_tbPNSt15iterator_traitsISL_E10value_typeEPNSR_ISM_E10value_typeEPSN_NS1_7vsmem_tEENKUlT_SL_SM_SN_E_clIS8_S8_S9_S9_EESK_S10_SL_SM_SN_EUlS10_E1_NS1_11comp_targetILNS1_3genE8ELNS1_11target_archE1030ELNS1_3gpuE2ELNS1_3repE0EEENS1_36merge_oddeven_config_static_selectorELNS0_4arch9wavefront6targetE0EEEvSM_ ; -- Begin function _ZN7rocprim17ROCPRIM_400000_NS6detail17trampoline_kernelINS0_14default_configENS1_38merge_sort_block_merge_config_selectorIlNS0_10empty_typeEEEZZNS1_27merge_sort_block_merge_implIS3_PlPS5_mZN2at6native12_GLOBAL__N_124unique_dim_cuda_templateImEESt5tupleIJNSA_6TensorESF_SF_EERKSF_lbbbEUlllE_EE10hipError_tT0_T1_T2_jT3_P12ihipStream_tbPNSt15iterator_traitsISL_E10value_typeEPNSR_ISM_E10value_typeEPSN_NS1_7vsmem_tEENKUlT_SL_SM_SN_E_clIS8_S8_S9_S9_EESK_S10_SL_SM_SN_EUlS10_E1_NS1_11comp_targetILNS1_3genE8ELNS1_11target_archE1030ELNS1_3gpuE2ELNS1_3repE0EEENS1_36merge_oddeven_config_static_selectorELNS0_4arch9wavefront6targetE0EEEvSM_
	.p2align	8
	.type	_ZN7rocprim17ROCPRIM_400000_NS6detail17trampoline_kernelINS0_14default_configENS1_38merge_sort_block_merge_config_selectorIlNS0_10empty_typeEEEZZNS1_27merge_sort_block_merge_implIS3_PlPS5_mZN2at6native12_GLOBAL__N_124unique_dim_cuda_templateImEESt5tupleIJNSA_6TensorESF_SF_EERKSF_lbbbEUlllE_EE10hipError_tT0_T1_T2_jT3_P12ihipStream_tbPNSt15iterator_traitsISL_E10value_typeEPNSR_ISM_E10value_typeEPSN_NS1_7vsmem_tEENKUlT_SL_SM_SN_E_clIS8_S8_S9_S9_EESK_S10_SL_SM_SN_EUlS10_E1_NS1_11comp_targetILNS1_3genE8ELNS1_11target_archE1030ELNS1_3gpuE2ELNS1_3repE0EEENS1_36merge_oddeven_config_static_selectorELNS0_4arch9wavefront6targetE0EEEvSM_,@function
_ZN7rocprim17ROCPRIM_400000_NS6detail17trampoline_kernelINS0_14default_configENS1_38merge_sort_block_merge_config_selectorIlNS0_10empty_typeEEEZZNS1_27merge_sort_block_merge_implIS3_PlPS5_mZN2at6native12_GLOBAL__N_124unique_dim_cuda_templateImEESt5tupleIJNSA_6TensorESF_SF_EERKSF_lbbbEUlllE_EE10hipError_tT0_T1_T2_jT3_P12ihipStream_tbPNSt15iterator_traitsISL_E10value_typeEPNSR_ISM_E10value_typeEPSN_NS1_7vsmem_tEENKUlT_SL_SM_SN_E_clIS8_S8_S9_S9_EESK_S10_SL_SM_SN_EUlS10_E1_NS1_11comp_targetILNS1_3genE8ELNS1_11target_archE1030ELNS1_3gpuE2ELNS1_3repE0EEENS1_36merge_oddeven_config_static_selectorELNS0_4arch9wavefront6targetE0EEEvSM_: ; @_ZN7rocprim17ROCPRIM_400000_NS6detail17trampoline_kernelINS0_14default_configENS1_38merge_sort_block_merge_config_selectorIlNS0_10empty_typeEEEZZNS1_27merge_sort_block_merge_implIS3_PlPS5_mZN2at6native12_GLOBAL__N_124unique_dim_cuda_templateImEESt5tupleIJNSA_6TensorESF_SF_EERKSF_lbbbEUlllE_EE10hipError_tT0_T1_T2_jT3_P12ihipStream_tbPNSt15iterator_traitsISL_E10value_typeEPNSR_ISM_E10value_typeEPSN_NS1_7vsmem_tEENKUlT_SL_SM_SN_E_clIS8_S8_S9_S9_EESK_S10_SL_SM_SN_EUlS10_E1_NS1_11comp_targetILNS1_3genE8ELNS1_11target_archE1030ELNS1_3gpuE2ELNS1_3repE0EEENS1_36merge_oddeven_config_static_selectorELNS0_4arch9wavefront6targetE0EEEvSM_
; %bb.0:
	.section	.rodata,"a",@progbits
	.p2align	6, 0x0
	.amdhsa_kernel _ZN7rocprim17ROCPRIM_400000_NS6detail17trampoline_kernelINS0_14default_configENS1_38merge_sort_block_merge_config_selectorIlNS0_10empty_typeEEEZZNS1_27merge_sort_block_merge_implIS3_PlPS5_mZN2at6native12_GLOBAL__N_124unique_dim_cuda_templateImEESt5tupleIJNSA_6TensorESF_SF_EERKSF_lbbbEUlllE_EE10hipError_tT0_T1_T2_jT3_P12ihipStream_tbPNSt15iterator_traitsISL_E10value_typeEPNSR_ISM_E10value_typeEPSN_NS1_7vsmem_tEENKUlT_SL_SM_SN_E_clIS8_S8_S9_S9_EESK_S10_SL_SM_SN_EUlS10_E1_NS1_11comp_targetILNS1_3genE8ELNS1_11target_archE1030ELNS1_3gpuE2ELNS1_3repE0EEENS1_36merge_oddeven_config_static_selectorELNS0_4arch9wavefront6targetE0EEEvSM_
		.amdhsa_group_segment_fixed_size 0
		.amdhsa_private_segment_fixed_size 0
		.amdhsa_kernarg_size 64
		.amdhsa_user_sgpr_count 15
		.amdhsa_user_sgpr_dispatch_ptr 0
		.amdhsa_user_sgpr_queue_ptr 0
		.amdhsa_user_sgpr_kernarg_segment_ptr 1
		.amdhsa_user_sgpr_dispatch_id 0
		.amdhsa_user_sgpr_private_segment_size 0
		.amdhsa_wavefront_size32 1
		.amdhsa_uses_dynamic_stack 0
		.amdhsa_enable_private_segment 0
		.amdhsa_system_sgpr_workgroup_id_x 1
		.amdhsa_system_sgpr_workgroup_id_y 0
		.amdhsa_system_sgpr_workgroup_id_z 0
		.amdhsa_system_sgpr_workgroup_info 0
		.amdhsa_system_vgpr_workitem_id 0
		.amdhsa_next_free_vgpr 1
		.amdhsa_next_free_sgpr 1
		.amdhsa_reserve_vcc 0
		.amdhsa_float_round_mode_32 0
		.amdhsa_float_round_mode_16_64 0
		.amdhsa_float_denorm_mode_32 3
		.amdhsa_float_denorm_mode_16_64 3
		.amdhsa_dx10_clamp 1
		.amdhsa_ieee_mode 1
		.amdhsa_fp16_overflow 0
		.amdhsa_workgroup_processor_mode 1
		.amdhsa_memory_ordered 1
		.amdhsa_forward_progress 0
		.amdhsa_shared_vgpr_count 0
		.amdhsa_exception_fp_ieee_invalid_op 0
		.amdhsa_exception_fp_denorm_src 0
		.amdhsa_exception_fp_ieee_div_zero 0
		.amdhsa_exception_fp_ieee_overflow 0
		.amdhsa_exception_fp_ieee_underflow 0
		.amdhsa_exception_fp_ieee_inexact 0
		.amdhsa_exception_int_div_zero 0
	.end_amdhsa_kernel
	.section	.text._ZN7rocprim17ROCPRIM_400000_NS6detail17trampoline_kernelINS0_14default_configENS1_38merge_sort_block_merge_config_selectorIlNS0_10empty_typeEEEZZNS1_27merge_sort_block_merge_implIS3_PlPS5_mZN2at6native12_GLOBAL__N_124unique_dim_cuda_templateImEESt5tupleIJNSA_6TensorESF_SF_EERKSF_lbbbEUlllE_EE10hipError_tT0_T1_T2_jT3_P12ihipStream_tbPNSt15iterator_traitsISL_E10value_typeEPNSR_ISM_E10value_typeEPSN_NS1_7vsmem_tEENKUlT_SL_SM_SN_E_clIS8_S8_S9_S9_EESK_S10_SL_SM_SN_EUlS10_E1_NS1_11comp_targetILNS1_3genE8ELNS1_11target_archE1030ELNS1_3gpuE2ELNS1_3repE0EEENS1_36merge_oddeven_config_static_selectorELNS0_4arch9wavefront6targetE0EEEvSM_,"axG",@progbits,_ZN7rocprim17ROCPRIM_400000_NS6detail17trampoline_kernelINS0_14default_configENS1_38merge_sort_block_merge_config_selectorIlNS0_10empty_typeEEEZZNS1_27merge_sort_block_merge_implIS3_PlPS5_mZN2at6native12_GLOBAL__N_124unique_dim_cuda_templateImEESt5tupleIJNSA_6TensorESF_SF_EERKSF_lbbbEUlllE_EE10hipError_tT0_T1_T2_jT3_P12ihipStream_tbPNSt15iterator_traitsISL_E10value_typeEPNSR_ISM_E10value_typeEPSN_NS1_7vsmem_tEENKUlT_SL_SM_SN_E_clIS8_S8_S9_S9_EESK_S10_SL_SM_SN_EUlS10_E1_NS1_11comp_targetILNS1_3genE8ELNS1_11target_archE1030ELNS1_3gpuE2ELNS1_3repE0EEENS1_36merge_oddeven_config_static_selectorELNS0_4arch9wavefront6targetE0EEEvSM_,comdat
.Lfunc_end1635:
	.size	_ZN7rocprim17ROCPRIM_400000_NS6detail17trampoline_kernelINS0_14default_configENS1_38merge_sort_block_merge_config_selectorIlNS0_10empty_typeEEEZZNS1_27merge_sort_block_merge_implIS3_PlPS5_mZN2at6native12_GLOBAL__N_124unique_dim_cuda_templateImEESt5tupleIJNSA_6TensorESF_SF_EERKSF_lbbbEUlllE_EE10hipError_tT0_T1_T2_jT3_P12ihipStream_tbPNSt15iterator_traitsISL_E10value_typeEPNSR_ISM_E10value_typeEPSN_NS1_7vsmem_tEENKUlT_SL_SM_SN_E_clIS8_S8_S9_S9_EESK_S10_SL_SM_SN_EUlS10_E1_NS1_11comp_targetILNS1_3genE8ELNS1_11target_archE1030ELNS1_3gpuE2ELNS1_3repE0EEENS1_36merge_oddeven_config_static_selectorELNS0_4arch9wavefront6targetE0EEEvSM_, .Lfunc_end1635-_ZN7rocprim17ROCPRIM_400000_NS6detail17trampoline_kernelINS0_14default_configENS1_38merge_sort_block_merge_config_selectorIlNS0_10empty_typeEEEZZNS1_27merge_sort_block_merge_implIS3_PlPS5_mZN2at6native12_GLOBAL__N_124unique_dim_cuda_templateImEESt5tupleIJNSA_6TensorESF_SF_EERKSF_lbbbEUlllE_EE10hipError_tT0_T1_T2_jT3_P12ihipStream_tbPNSt15iterator_traitsISL_E10value_typeEPNSR_ISM_E10value_typeEPSN_NS1_7vsmem_tEENKUlT_SL_SM_SN_E_clIS8_S8_S9_S9_EESK_S10_SL_SM_SN_EUlS10_E1_NS1_11comp_targetILNS1_3genE8ELNS1_11target_archE1030ELNS1_3gpuE2ELNS1_3repE0EEENS1_36merge_oddeven_config_static_selectorELNS0_4arch9wavefront6targetE0EEEvSM_
                                        ; -- End function
	.section	.AMDGPU.csdata,"",@progbits
; Kernel info:
; codeLenInByte = 0
; NumSgprs: 0
; NumVgprs: 0
; ScratchSize: 0
; MemoryBound: 0
; FloatMode: 240
; IeeeMode: 1
; LDSByteSize: 0 bytes/workgroup (compile time only)
; SGPRBlocks: 0
; VGPRBlocks: 0
; NumSGPRsForWavesPerEU: 1
; NumVGPRsForWavesPerEU: 1
; Occupancy: 16
; WaveLimiterHint : 0
; COMPUTE_PGM_RSRC2:SCRATCH_EN: 0
; COMPUTE_PGM_RSRC2:USER_SGPR: 15
; COMPUTE_PGM_RSRC2:TRAP_HANDLER: 0
; COMPUTE_PGM_RSRC2:TGID_X_EN: 1
; COMPUTE_PGM_RSRC2:TGID_Y_EN: 0
; COMPUTE_PGM_RSRC2:TGID_Z_EN: 0
; COMPUTE_PGM_RSRC2:TIDIG_COMP_CNT: 0
	.section	.text._ZN7rocprim17ROCPRIM_400000_NS6detail17trampoline_kernelINS0_14default_configENS1_35adjacent_difference_config_selectorILb0ElEEZNS1_24adjacent_difference_implIS3_Lb0ELb0EPlS7_ZN2at6native12_GLOBAL__N_124unique_dim_cuda_templateImEESt5tupleIJNS8_6TensorESD_SD_EERKSD_lbbbEUlllE1_EE10hipError_tPvRmT2_T3_mT4_P12ihipStream_tbEUlT_E_NS1_11comp_targetILNS1_3genE0ELNS1_11target_archE4294967295ELNS1_3gpuE0ELNS1_3repE0EEENS1_30default_config_static_selectorELNS0_4arch9wavefront6targetE0EEEvT1_,"axG",@progbits,_ZN7rocprim17ROCPRIM_400000_NS6detail17trampoline_kernelINS0_14default_configENS1_35adjacent_difference_config_selectorILb0ElEEZNS1_24adjacent_difference_implIS3_Lb0ELb0EPlS7_ZN2at6native12_GLOBAL__N_124unique_dim_cuda_templateImEESt5tupleIJNS8_6TensorESD_SD_EERKSD_lbbbEUlllE1_EE10hipError_tPvRmT2_T3_mT4_P12ihipStream_tbEUlT_E_NS1_11comp_targetILNS1_3genE0ELNS1_11target_archE4294967295ELNS1_3gpuE0ELNS1_3repE0EEENS1_30default_config_static_selectorELNS0_4arch9wavefront6targetE0EEEvT1_,comdat
	.globl	_ZN7rocprim17ROCPRIM_400000_NS6detail17trampoline_kernelINS0_14default_configENS1_35adjacent_difference_config_selectorILb0ElEEZNS1_24adjacent_difference_implIS3_Lb0ELb0EPlS7_ZN2at6native12_GLOBAL__N_124unique_dim_cuda_templateImEESt5tupleIJNS8_6TensorESD_SD_EERKSD_lbbbEUlllE1_EE10hipError_tPvRmT2_T3_mT4_P12ihipStream_tbEUlT_E_NS1_11comp_targetILNS1_3genE0ELNS1_11target_archE4294967295ELNS1_3gpuE0ELNS1_3repE0EEENS1_30default_config_static_selectorELNS0_4arch9wavefront6targetE0EEEvT1_ ; -- Begin function _ZN7rocprim17ROCPRIM_400000_NS6detail17trampoline_kernelINS0_14default_configENS1_35adjacent_difference_config_selectorILb0ElEEZNS1_24adjacent_difference_implIS3_Lb0ELb0EPlS7_ZN2at6native12_GLOBAL__N_124unique_dim_cuda_templateImEESt5tupleIJNS8_6TensorESD_SD_EERKSD_lbbbEUlllE1_EE10hipError_tPvRmT2_T3_mT4_P12ihipStream_tbEUlT_E_NS1_11comp_targetILNS1_3genE0ELNS1_11target_archE4294967295ELNS1_3gpuE0ELNS1_3repE0EEENS1_30default_config_static_selectorELNS0_4arch9wavefront6targetE0EEEvT1_
	.p2align	8
	.type	_ZN7rocprim17ROCPRIM_400000_NS6detail17trampoline_kernelINS0_14default_configENS1_35adjacent_difference_config_selectorILb0ElEEZNS1_24adjacent_difference_implIS3_Lb0ELb0EPlS7_ZN2at6native12_GLOBAL__N_124unique_dim_cuda_templateImEESt5tupleIJNS8_6TensorESD_SD_EERKSD_lbbbEUlllE1_EE10hipError_tPvRmT2_T3_mT4_P12ihipStream_tbEUlT_E_NS1_11comp_targetILNS1_3genE0ELNS1_11target_archE4294967295ELNS1_3gpuE0ELNS1_3repE0EEENS1_30default_config_static_selectorELNS0_4arch9wavefront6targetE0EEEvT1_,@function
_ZN7rocprim17ROCPRIM_400000_NS6detail17trampoline_kernelINS0_14default_configENS1_35adjacent_difference_config_selectorILb0ElEEZNS1_24adjacent_difference_implIS3_Lb0ELb0EPlS7_ZN2at6native12_GLOBAL__N_124unique_dim_cuda_templateImEESt5tupleIJNS8_6TensorESD_SD_EERKSD_lbbbEUlllE1_EE10hipError_tPvRmT2_T3_mT4_P12ihipStream_tbEUlT_E_NS1_11comp_targetILNS1_3genE0ELNS1_11target_archE4294967295ELNS1_3gpuE0ELNS1_3repE0EEENS1_30default_config_static_selectorELNS0_4arch9wavefront6targetE0EEEvT1_: ; @_ZN7rocprim17ROCPRIM_400000_NS6detail17trampoline_kernelINS0_14default_configENS1_35adjacent_difference_config_selectorILb0ElEEZNS1_24adjacent_difference_implIS3_Lb0ELb0EPlS7_ZN2at6native12_GLOBAL__N_124unique_dim_cuda_templateImEESt5tupleIJNS8_6TensorESD_SD_EERKSD_lbbbEUlllE1_EE10hipError_tPvRmT2_T3_mT4_P12ihipStream_tbEUlT_E_NS1_11comp_targetILNS1_3genE0ELNS1_11target_archE4294967295ELNS1_3gpuE0ELNS1_3repE0EEENS1_30default_config_static_selectorELNS0_4arch9wavefront6targetE0EEEvT1_
; %bb.0:
	.section	.rodata,"a",@progbits
	.p2align	6, 0x0
	.amdhsa_kernel _ZN7rocprim17ROCPRIM_400000_NS6detail17trampoline_kernelINS0_14default_configENS1_35adjacent_difference_config_selectorILb0ElEEZNS1_24adjacent_difference_implIS3_Lb0ELb0EPlS7_ZN2at6native12_GLOBAL__N_124unique_dim_cuda_templateImEESt5tupleIJNS8_6TensorESD_SD_EERKSD_lbbbEUlllE1_EE10hipError_tPvRmT2_T3_mT4_P12ihipStream_tbEUlT_E_NS1_11comp_targetILNS1_3genE0ELNS1_11target_archE4294967295ELNS1_3gpuE0ELNS1_3repE0EEENS1_30default_config_static_selectorELNS0_4arch9wavefront6targetE0EEEvT1_
		.amdhsa_group_segment_fixed_size 0
		.amdhsa_private_segment_fixed_size 0
		.amdhsa_kernarg_size 64
		.amdhsa_user_sgpr_count 15
		.amdhsa_user_sgpr_dispatch_ptr 0
		.amdhsa_user_sgpr_queue_ptr 0
		.amdhsa_user_sgpr_kernarg_segment_ptr 1
		.amdhsa_user_sgpr_dispatch_id 0
		.amdhsa_user_sgpr_private_segment_size 0
		.amdhsa_wavefront_size32 1
		.amdhsa_uses_dynamic_stack 0
		.amdhsa_enable_private_segment 0
		.amdhsa_system_sgpr_workgroup_id_x 1
		.amdhsa_system_sgpr_workgroup_id_y 0
		.amdhsa_system_sgpr_workgroup_id_z 0
		.amdhsa_system_sgpr_workgroup_info 0
		.amdhsa_system_vgpr_workitem_id 0
		.amdhsa_next_free_vgpr 1
		.amdhsa_next_free_sgpr 1
		.amdhsa_reserve_vcc 0
		.amdhsa_float_round_mode_32 0
		.amdhsa_float_round_mode_16_64 0
		.amdhsa_float_denorm_mode_32 3
		.amdhsa_float_denorm_mode_16_64 3
		.amdhsa_dx10_clamp 1
		.amdhsa_ieee_mode 1
		.amdhsa_fp16_overflow 0
		.amdhsa_workgroup_processor_mode 1
		.amdhsa_memory_ordered 1
		.amdhsa_forward_progress 0
		.amdhsa_shared_vgpr_count 0
		.amdhsa_exception_fp_ieee_invalid_op 0
		.amdhsa_exception_fp_denorm_src 0
		.amdhsa_exception_fp_ieee_div_zero 0
		.amdhsa_exception_fp_ieee_overflow 0
		.amdhsa_exception_fp_ieee_underflow 0
		.amdhsa_exception_fp_ieee_inexact 0
		.amdhsa_exception_int_div_zero 0
	.end_amdhsa_kernel
	.section	.text._ZN7rocprim17ROCPRIM_400000_NS6detail17trampoline_kernelINS0_14default_configENS1_35adjacent_difference_config_selectorILb0ElEEZNS1_24adjacent_difference_implIS3_Lb0ELb0EPlS7_ZN2at6native12_GLOBAL__N_124unique_dim_cuda_templateImEESt5tupleIJNS8_6TensorESD_SD_EERKSD_lbbbEUlllE1_EE10hipError_tPvRmT2_T3_mT4_P12ihipStream_tbEUlT_E_NS1_11comp_targetILNS1_3genE0ELNS1_11target_archE4294967295ELNS1_3gpuE0ELNS1_3repE0EEENS1_30default_config_static_selectorELNS0_4arch9wavefront6targetE0EEEvT1_,"axG",@progbits,_ZN7rocprim17ROCPRIM_400000_NS6detail17trampoline_kernelINS0_14default_configENS1_35adjacent_difference_config_selectorILb0ElEEZNS1_24adjacent_difference_implIS3_Lb0ELb0EPlS7_ZN2at6native12_GLOBAL__N_124unique_dim_cuda_templateImEESt5tupleIJNS8_6TensorESD_SD_EERKSD_lbbbEUlllE1_EE10hipError_tPvRmT2_T3_mT4_P12ihipStream_tbEUlT_E_NS1_11comp_targetILNS1_3genE0ELNS1_11target_archE4294967295ELNS1_3gpuE0ELNS1_3repE0EEENS1_30default_config_static_selectorELNS0_4arch9wavefront6targetE0EEEvT1_,comdat
.Lfunc_end1636:
	.size	_ZN7rocprim17ROCPRIM_400000_NS6detail17trampoline_kernelINS0_14default_configENS1_35adjacent_difference_config_selectorILb0ElEEZNS1_24adjacent_difference_implIS3_Lb0ELb0EPlS7_ZN2at6native12_GLOBAL__N_124unique_dim_cuda_templateImEESt5tupleIJNS8_6TensorESD_SD_EERKSD_lbbbEUlllE1_EE10hipError_tPvRmT2_T3_mT4_P12ihipStream_tbEUlT_E_NS1_11comp_targetILNS1_3genE0ELNS1_11target_archE4294967295ELNS1_3gpuE0ELNS1_3repE0EEENS1_30default_config_static_selectorELNS0_4arch9wavefront6targetE0EEEvT1_, .Lfunc_end1636-_ZN7rocprim17ROCPRIM_400000_NS6detail17trampoline_kernelINS0_14default_configENS1_35adjacent_difference_config_selectorILb0ElEEZNS1_24adjacent_difference_implIS3_Lb0ELb0EPlS7_ZN2at6native12_GLOBAL__N_124unique_dim_cuda_templateImEESt5tupleIJNS8_6TensorESD_SD_EERKSD_lbbbEUlllE1_EE10hipError_tPvRmT2_T3_mT4_P12ihipStream_tbEUlT_E_NS1_11comp_targetILNS1_3genE0ELNS1_11target_archE4294967295ELNS1_3gpuE0ELNS1_3repE0EEENS1_30default_config_static_selectorELNS0_4arch9wavefront6targetE0EEEvT1_
                                        ; -- End function
	.section	.AMDGPU.csdata,"",@progbits
; Kernel info:
; codeLenInByte = 0
; NumSgprs: 0
; NumVgprs: 0
; ScratchSize: 0
; MemoryBound: 0
; FloatMode: 240
; IeeeMode: 1
; LDSByteSize: 0 bytes/workgroup (compile time only)
; SGPRBlocks: 0
; VGPRBlocks: 0
; NumSGPRsForWavesPerEU: 1
; NumVGPRsForWavesPerEU: 1
; Occupancy: 16
; WaveLimiterHint : 0
; COMPUTE_PGM_RSRC2:SCRATCH_EN: 0
; COMPUTE_PGM_RSRC2:USER_SGPR: 15
; COMPUTE_PGM_RSRC2:TRAP_HANDLER: 0
; COMPUTE_PGM_RSRC2:TGID_X_EN: 1
; COMPUTE_PGM_RSRC2:TGID_Y_EN: 0
; COMPUTE_PGM_RSRC2:TGID_Z_EN: 0
; COMPUTE_PGM_RSRC2:TIDIG_COMP_CNT: 0
	.section	.text._ZN7rocprim17ROCPRIM_400000_NS6detail17trampoline_kernelINS0_14default_configENS1_35adjacent_difference_config_selectorILb0ElEEZNS1_24adjacent_difference_implIS3_Lb0ELb0EPlS7_ZN2at6native12_GLOBAL__N_124unique_dim_cuda_templateImEESt5tupleIJNS8_6TensorESD_SD_EERKSD_lbbbEUlllE1_EE10hipError_tPvRmT2_T3_mT4_P12ihipStream_tbEUlT_E_NS1_11comp_targetILNS1_3genE10ELNS1_11target_archE1201ELNS1_3gpuE5ELNS1_3repE0EEENS1_30default_config_static_selectorELNS0_4arch9wavefront6targetE0EEEvT1_,"axG",@progbits,_ZN7rocprim17ROCPRIM_400000_NS6detail17trampoline_kernelINS0_14default_configENS1_35adjacent_difference_config_selectorILb0ElEEZNS1_24adjacent_difference_implIS3_Lb0ELb0EPlS7_ZN2at6native12_GLOBAL__N_124unique_dim_cuda_templateImEESt5tupleIJNS8_6TensorESD_SD_EERKSD_lbbbEUlllE1_EE10hipError_tPvRmT2_T3_mT4_P12ihipStream_tbEUlT_E_NS1_11comp_targetILNS1_3genE10ELNS1_11target_archE1201ELNS1_3gpuE5ELNS1_3repE0EEENS1_30default_config_static_selectorELNS0_4arch9wavefront6targetE0EEEvT1_,comdat
	.globl	_ZN7rocprim17ROCPRIM_400000_NS6detail17trampoline_kernelINS0_14default_configENS1_35adjacent_difference_config_selectorILb0ElEEZNS1_24adjacent_difference_implIS3_Lb0ELb0EPlS7_ZN2at6native12_GLOBAL__N_124unique_dim_cuda_templateImEESt5tupleIJNS8_6TensorESD_SD_EERKSD_lbbbEUlllE1_EE10hipError_tPvRmT2_T3_mT4_P12ihipStream_tbEUlT_E_NS1_11comp_targetILNS1_3genE10ELNS1_11target_archE1201ELNS1_3gpuE5ELNS1_3repE0EEENS1_30default_config_static_selectorELNS0_4arch9wavefront6targetE0EEEvT1_ ; -- Begin function _ZN7rocprim17ROCPRIM_400000_NS6detail17trampoline_kernelINS0_14default_configENS1_35adjacent_difference_config_selectorILb0ElEEZNS1_24adjacent_difference_implIS3_Lb0ELb0EPlS7_ZN2at6native12_GLOBAL__N_124unique_dim_cuda_templateImEESt5tupleIJNS8_6TensorESD_SD_EERKSD_lbbbEUlllE1_EE10hipError_tPvRmT2_T3_mT4_P12ihipStream_tbEUlT_E_NS1_11comp_targetILNS1_3genE10ELNS1_11target_archE1201ELNS1_3gpuE5ELNS1_3repE0EEENS1_30default_config_static_selectorELNS0_4arch9wavefront6targetE0EEEvT1_
	.p2align	8
	.type	_ZN7rocprim17ROCPRIM_400000_NS6detail17trampoline_kernelINS0_14default_configENS1_35adjacent_difference_config_selectorILb0ElEEZNS1_24adjacent_difference_implIS3_Lb0ELb0EPlS7_ZN2at6native12_GLOBAL__N_124unique_dim_cuda_templateImEESt5tupleIJNS8_6TensorESD_SD_EERKSD_lbbbEUlllE1_EE10hipError_tPvRmT2_T3_mT4_P12ihipStream_tbEUlT_E_NS1_11comp_targetILNS1_3genE10ELNS1_11target_archE1201ELNS1_3gpuE5ELNS1_3repE0EEENS1_30default_config_static_selectorELNS0_4arch9wavefront6targetE0EEEvT1_,@function
_ZN7rocprim17ROCPRIM_400000_NS6detail17trampoline_kernelINS0_14default_configENS1_35adjacent_difference_config_selectorILb0ElEEZNS1_24adjacent_difference_implIS3_Lb0ELb0EPlS7_ZN2at6native12_GLOBAL__N_124unique_dim_cuda_templateImEESt5tupleIJNS8_6TensorESD_SD_EERKSD_lbbbEUlllE1_EE10hipError_tPvRmT2_T3_mT4_P12ihipStream_tbEUlT_E_NS1_11comp_targetILNS1_3genE10ELNS1_11target_archE1201ELNS1_3gpuE5ELNS1_3repE0EEENS1_30default_config_static_selectorELNS0_4arch9wavefront6targetE0EEEvT1_: ; @_ZN7rocprim17ROCPRIM_400000_NS6detail17trampoline_kernelINS0_14default_configENS1_35adjacent_difference_config_selectorILb0ElEEZNS1_24adjacent_difference_implIS3_Lb0ELb0EPlS7_ZN2at6native12_GLOBAL__N_124unique_dim_cuda_templateImEESt5tupleIJNS8_6TensorESD_SD_EERKSD_lbbbEUlllE1_EE10hipError_tPvRmT2_T3_mT4_P12ihipStream_tbEUlT_E_NS1_11comp_targetILNS1_3genE10ELNS1_11target_archE1201ELNS1_3gpuE5ELNS1_3repE0EEENS1_30default_config_static_selectorELNS0_4arch9wavefront6targetE0EEEvT1_
; %bb.0:
	.section	.rodata,"a",@progbits
	.p2align	6, 0x0
	.amdhsa_kernel _ZN7rocprim17ROCPRIM_400000_NS6detail17trampoline_kernelINS0_14default_configENS1_35adjacent_difference_config_selectorILb0ElEEZNS1_24adjacent_difference_implIS3_Lb0ELb0EPlS7_ZN2at6native12_GLOBAL__N_124unique_dim_cuda_templateImEESt5tupleIJNS8_6TensorESD_SD_EERKSD_lbbbEUlllE1_EE10hipError_tPvRmT2_T3_mT4_P12ihipStream_tbEUlT_E_NS1_11comp_targetILNS1_3genE10ELNS1_11target_archE1201ELNS1_3gpuE5ELNS1_3repE0EEENS1_30default_config_static_selectorELNS0_4arch9wavefront6targetE0EEEvT1_
		.amdhsa_group_segment_fixed_size 0
		.amdhsa_private_segment_fixed_size 0
		.amdhsa_kernarg_size 64
		.amdhsa_user_sgpr_count 15
		.amdhsa_user_sgpr_dispatch_ptr 0
		.amdhsa_user_sgpr_queue_ptr 0
		.amdhsa_user_sgpr_kernarg_segment_ptr 1
		.amdhsa_user_sgpr_dispatch_id 0
		.amdhsa_user_sgpr_private_segment_size 0
		.amdhsa_wavefront_size32 1
		.amdhsa_uses_dynamic_stack 0
		.amdhsa_enable_private_segment 0
		.amdhsa_system_sgpr_workgroup_id_x 1
		.amdhsa_system_sgpr_workgroup_id_y 0
		.amdhsa_system_sgpr_workgroup_id_z 0
		.amdhsa_system_sgpr_workgroup_info 0
		.amdhsa_system_vgpr_workitem_id 0
		.amdhsa_next_free_vgpr 1
		.amdhsa_next_free_sgpr 1
		.amdhsa_reserve_vcc 0
		.amdhsa_float_round_mode_32 0
		.amdhsa_float_round_mode_16_64 0
		.amdhsa_float_denorm_mode_32 3
		.amdhsa_float_denorm_mode_16_64 3
		.amdhsa_dx10_clamp 1
		.amdhsa_ieee_mode 1
		.amdhsa_fp16_overflow 0
		.amdhsa_workgroup_processor_mode 1
		.amdhsa_memory_ordered 1
		.amdhsa_forward_progress 0
		.amdhsa_shared_vgpr_count 0
		.amdhsa_exception_fp_ieee_invalid_op 0
		.amdhsa_exception_fp_denorm_src 0
		.amdhsa_exception_fp_ieee_div_zero 0
		.amdhsa_exception_fp_ieee_overflow 0
		.amdhsa_exception_fp_ieee_underflow 0
		.amdhsa_exception_fp_ieee_inexact 0
		.amdhsa_exception_int_div_zero 0
	.end_amdhsa_kernel
	.section	.text._ZN7rocprim17ROCPRIM_400000_NS6detail17trampoline_kernelINS0_14default_configENS1_35adjacent_difference_config_selectorILb0ElEEZNS1_24adjacent_difference_implIS3_Lb0ELb0EPlS7_ZN2at6native12_GLOBAL__N_124unique_dim_cuda_templateImEESt5tupleIJNS8_6TensorESD_SD_EERKSD_lbbbEUlllE1_EE10hipError_tPvRmT2_T3_mT4_P12ihipStream_tbEUlT_E_NS1_11comp_targetILNS1_3genE10ELNS1_11target_archE1201ELNS1_3gpuE5ELNS1_3repE0EEENS1_30default_config_static_selectorELNS0_4arch9wavefront6targetE0EEEvT1_,"axG",@progbits,_ZN7rocprim17ROCPRIM_400000_NS6detail17trampoline_kernelINS0_14default_configENS1_35adjacent_difference_config_selectorILb0ElEEZNS1_24adjacent_difference_implIS3_Lb0ELb0EPlS7_ZN2at6native12_GLOBAL__N_124unique_dim_cuda_templateImEESt5tupleIJNS8_6TensorESD_SD_EERKSD_lbbbEUlllE1_EE10hipError_tPvRmT2_T3_mT4_P12ihipStream_tbEUlT_E_NS1_11comp_targetILNS1_3genE10ELNS1_11target_archE1201ELNS1_3gpuE5ELNS1_3repE0EEENS1_30default_config_static_selectorELNS0_4arch9wavefront6targetE0EEEvT1_,comdat
.Lfunc_end1637:
	.size	_ZN7rocprim17ROCPRIM_400000_NS6detail17trampoline_kernelINS0_14default_configENS1_35adjacent_difference_config_selectorILb0ElEEZNS1_24adjacent_difference_implIS3_Lb0ELb0EPlS7_ZN2at6native12_GLOBAL__N_124unique_dim_cuda_templateImEESt5tupleIJNS8_6TensorESD_SD_EERKSD_lbbbEUlllE1_EE10hipError_tPvRmT2_T3_mT4_P12ihipStream_tbEUlT_E_NS1_11comp_targetILNS1_3genE10ELNS1_11target_archE1201ELNS1_3gpuE5ELNS1_3repE0EEENS1_30default_config_static_selectorELNS0_4arch9wavefront6targetE0EEEvT1_, .Lfunc_end1637-_ZN7rocprim17ROCPRIM_400000_NS6detail17trampoline_kernelINS0_14default_configENS1_35adjacent_difference_config_selectorILb0ElEEZNS1_24adjacent_difference_implIS3_Lb0ELb0EPlS7_ZN2at6native12_GLOBAL__N_124unique_dim_cuda_templateImEESt5tupleIJNS8_6TensorESD_SD_EERKSD_lbbbEUlllE1_EE10hipError_tPvRmT2_T3_mT4_P12ihipStream_tbEUlT_E_NS1_11comp_targetILNS1_3genE10ELNS1_11target_archE1201ELNS1_3gpuE5ELNS1_3repE0EEENS1_30default_config_static_selectorELNS0_4arch9wavefront6targetE0EEEvT1_
                                        ; -- End function
	.section	.AMDGPU.csdata,"",@progbits
; Kernel info:
; codeLenInByte = 0
; NumSgprs: 0
; NumVgprs: 0
; ScratchSize: 0
; MemoryBound: 0
; FloatMode: 240
; IeeeMode: 1
; LDSByteSize: 0 bytes/workgroup (compile time only)
; SGPRBlocks: 0
; VGPRBlocks: 0
; NumSGPRsForWavesPerEU: 1
; NumVGPRsForWavesPerEU: 1
; Occupancy: 16
; WaveLimiterHint : 0
; COMPUTE_PGM_RSRC2:SCRATCH_EN: 0
; COMPUTE_PGM_RSRC2:USER_SGPR: 15
; COMPUTE_PGM_RSRC2:TRAP_HANDLER: 0
; COMPUTE_PGM_RSRC2:TGID_X_EN: 1
; COMPUTE_PGM_RSRC2:TGID_Y_EN: 0
; COMPUTE_PGM_RSRC2:TGID_Z_EN: 0
; COMPUTE_PGM_RSRC2:TIDIG_COMP_CNT: 0
	.section	.text._ZN7rocprim17ROCPRIM_400000_NS6detail17trampoline_kernelINS0_14default_configENS1_35adjacent_difference_config_selectorILb0ElEEZNS1_24adjacent_difference_implIS3_Lb0ELb0EPlS7_ZN2at6native12_GLOBAL__N_124unique_dim_cuda_templateImEESt5tupleIJNS8_6TensorESD_SD_EERKSD_lbbbEUlllE1_EE10hipError_tPvRmT2_T3_mT4_P12ihipStream_tbEUlT_E_NS1_11comp_targetILNS1_3genE5ELNS1_11target_archE942ELNS1_3gpuE9ELNS1_3repE0EEENS1_30default_config_static_selectorELNS0_4arch9wavefront6targetE0EEEvT1_,"axG",@progbits,_ZN7rocprim17ROCPRIM_400000_NS6detail17trampoline_kernelINS0_14default_configENS1_35adjacent_difference_config_selectorILb0ElEEZNS1_24adjacent_difference_implIS3_Lb0ELb0EPlS7_ZN2at6native12_GLOBAL__N_124unique_dim_cuda_templateImEESt5tupleIJNS8_6TensorESD_SD_EERKSD_lbbbEUlllE1_EE10hipError_tPvRmT2_T3_mT4_P12ihipStream_tbEUlT_E_NS1_11comp_targetILNS1_3genE5ELNS1_11target_archE942ELNS1_3gpuE9ELNS1_3repE0EEENS1_30default_config_static_selectorELNS0_4arch9wavefront6targetE0EEEvT1_,comdat
	.globl	_ZN7rocprim17ROCPRIM_400000_NS6detail17trampoline_kernelINS0_14default_configENS1_35adjacent_difference_config_selectorILb0ElEEZNS1_24adjacent_difference_implIS3_Lb0ELb0EPlS7_ZN2at6native12_GLOBAL__N_124unique_dim_cuda_templateImEESt5tupleIJNS8_6TensorESD_SD_EERKSD_lbbbEUlllE1_EE10hipError_tPvRmT2_T3_mT4_P12ihipStream_tbEUlT_E_NS1_11comp_targetILNS1_3genE5ELNS1_11target_archE942ELNS1_3gpuE9ELNS1_3repE0EEENS1_30default_config_static_selectorELNS0_4arch9wavefront6targetE0EEEvT1_ ; -- Begin function _ZN7rocprim17ROCPRIM_400000_NS6detail17trampoline_kernelINS0_14default_configENS1_35adjacent_difference_config_selectorILb0ElEEZNS1_24adjacent_difference_implIS3_Lb0ELb0EPlS7_ZN2at6native12_GLOBAL__N_124unique_dim_cuda_templateImEESt5tupleIJNS8_6TensorESD_SD_EERKSD_lbbbEUlllE1_EE10hipError_tPvRmT2_T3_mT4_P12ihipStream_tbEUlT_E_NS1_11comp_targetILNS1_3genE5ELNS1_11target_archE942ELNS1_3gpuE9ELNS1_3repE0EEENS1_30default_config_static_selectorELNS0_4arch9wavefront6targetE0EEEvT1_
	.p2align	8
	.type	_ZN7rocprim17ROCPRIM_400000_NS6detail17trampoline_kernelINS0_14default_configENS1_35adjacent_difference_config_selectorILb0ElEEZNS1_24adjacent_difference_implIS3_Lb0ELb0EPlS7_ZN2at6native12_GLOBAL__N_124unique_dim_cuda_templateImEESt5tupleIJNS8_6TensorESD_SD_EERKSD_lbbbEUlllE1_EE10hipError_tPvRmT2_T3_mT4_P12ihipStream_tbEUlT_E_NS1_11comp_targetILNS1_3genE5ELNS1_11target_archE942ELNS1_3gpuE9ELNS1_3repE0EEENS1_30default_config_static_selectorELNS0_4arch9wavefront6targetE0EEEvT1_,@function
_ZN7rocprim17ROCPRIM_400000_NS6detail17trampoline_kernelINS0_14default_configENS1_35adjacent_difference_config_selectorILb0ElEEZNS1_24adjacent_difference_implIS3_Lb0ELb0EPlS7_ZN2at6native12_GLOBAL__N_124unique_dim_cuda_templateImEESt5tupleIJNS8_6TensorESD_SD_EERKSD_lbbbEUlllE1_EE10hipError_tPvRmT2_T3_mT4_P12ihipStream_tbEUlT_E_NS1_11comp_targetILNS1_3genE5ELNS1_11target_archE942ELNS1_3gpuE9ELNS1_3repE0EEENS1_30default_config_static_selectorELNS0_4arch9wavefront6targetE0EEEvT1_: ; @_ZN7rocprim17ROCPRIM_400000_NS6detail17trampoline_kernelINS0_14default_configENS1_35adjacent_difference_config_selectorILb0ElEEZNS1_24adjacent_difference_implIS3_Lb0ELb0EPlS7_ZN2at6native12_GLOBAL__N_124unique_dim_cuda_templateImEESt5tupleIJNS8_6TensorESD_SD_EERKSD_lbbbEUlllE1_EE10hipError_tPvRmT2_T3_mT4_P12ihipStream_tbEUlT_E_NS1_11comp_targetILNS1_3genE5ELNS1_11target_archE942ELNS1_3gpuE9ELNS1_3repE0EEENS1_30default_config_static_selectorELNS0_4arch9wavefront6targetE0EEEvT1_
; %bb.0:
	.section	.rodata,"a",@progbits
	.p2align	6, 0x0
	.amdhsa_kernel _ZN7rocprim17ROCPRIM_400000_NS6detail17trampoline_kernelINS0_14default_configENS1_35adjacent_difference_config_selectorILb0ElEEZNS1_24adjacent_difference_implIS3_Lb0ELb0EPlS7_ZN2at6native12_GLOBAL__N_124unique_dim_cuda_templateImEESt5tupleIJNS8_6TensorESD_SD_EERKSD_lbbbEUlllE1_EE10hipError_tPvRmT2_T3_mT4_P12ihipStream_tbEUlT_E_NS1_11comp_targetILNS1_3genE5ELNS1_11target_archE942ELNS1_3gpuE9ELNS1_3repE0EEENS1_30default_config_static_selectorELNS0_4arch9wavefront6targetE0EEEvT1_
		.amdhsa_group_segment_fixed_size 0
		.amdhsa_private_segment_fixed_size 0
		.amdhsa_kernarg_size 64
		.amdhsa_user_sgpr_count 15
		.amdhsa_user_sgpr_dispatch_ptr 0
		.amdhsa_user_sgpr_queue_ptr 0
		.amdhsa_user_sgpr_kernarg_segment_ptr 1
		.amdhsa_user_sgpr_dispatch_id 0
		.amdhsa_user_sgpr_private_segment_size 0
		.amdhsa_wavefront_size32 1
		.amdhsa_uses_dynamic_stack 0
		.amdhsa_enable_private_segment 0
		.amdhsa_system_sgpr_workgroup_id_x 1
		.amdhsa_system_sgpr_workgroup_id_y 0
		.amdhsa_system_sgpr_workgroup_id_z 0
		.amdhsa_system_sgpr_workgroup_info 0
		.amdhsa_system_vgpr_workitem_id 0
		.amdhsa_next_free_vgpr 1
		.amdhsa_next_free_sgpr 1
		.amdhsa_reserve_vcc 0
		.amdhsa_float_round_mode_32 0
		.amdhsa_float_round_mode_16_64 0
		.amdhsa_float_denorm_mode_32 3
		.amdhsa_float_denorm_mode_16_64 3
		.amdhsa_dx10_clamp 1
		.amdhsa_ieee_mode 1
		.amdhsa_fp16_overflow 0
		.amdhsa_workgroup_processor_mode 1
		.amdhsa_memory_ordered 1
		.amdhsa_forward_progress 0
		.amdhsa_shared_vgpr_count 0
		.amdhsa_exception_fp_ieee_invalid_op 0
		.amdhsa_exception_fp_denorm_src 0
		.amdhsa_exception_fp_ieee_div_zero 0
		.amdhsa_exception_fp_ieee_overflow 0
		.amdhsa_exception_fp_ieee_underflow 0
		.amdhsa_exception_fp_ieee_inexact 0
		.amdhsa_exception_int_div_zero 0
	.end_amdhsa_kernel
	.section	.text._ZN7rocprim17ROCPRIM_400000_NS6detail17trampoline_kernelINS0_14default_configENS1_35adjacent_difference_config_selectorILb0ElEEZNS1_24adjacent_difference_implIS3_Lb0ELb0EPlS7_ZN2at6native12_GLOBAL__N_124unique_dim_cuda_templateImEESt5tupleIJNS8_6TensorESD_SD_EERKSD_lbbbEUlllE1_EE10hipError_tPvRmT2_T3_mT4_P12ihipStream_tbEUlT_E_NS1_11comp_targetILNS1_3genE5ELNS1_11target_archE942ELNS1_3gpuE9ELNS1_3repE0EEENS1_30default_config_static_selectorELNS0_4arch9wavefront6targetE0EEEvT1_,"axG",@progbits,_ZN7rocprim17ROCPRIM_400000_NS6detail17trampoline_kernelINS0_14default_configENS1_35adjacent_difference_config_selectorILb0ElEEZNS1_24adjacent_difference_implIS3_Lb0ELb0EPlS7_ZN2at6native12_GLOBAL__N_124unique_dim_cuda_templateImEESt5tupleIJNS8_6TensorESD_SD_EERKSD_lbbbEUlllE1_EE10hipError_tPvRmT2_T3_mT4_P12ihipStream_tbEUlT_E_NS1_11comp_targetILNS1_3genE5ELNS1_11target_archE942ELNS1_3gpuE9ELNS1_3repE0EEENS1_30default_config_static_selectorELNS0_4arch9wavefront6targetE0EEEvT1_,comdat
.Lfunc_end1638:
	.size	_ZN7rocprim17ROCPRIM_400000_NS6detail17trampoline_kernelINS0_14default_configENS1_35adjacent_difference_config_selectorILb0ElEEZNS1_24adjacent_difference_implIS3_Lb0ELb0EPlS7_ZN2at6native12_GLOBAL__N_124unique_dim_cuda_templateImEESt5tupleIJNS8_6TensorESD_SD_EERKSD_lbbbEUlllE1_EE10hipError_tPvRmT2_T3_mT4_P12ihipStream_tbEUlT_E_NS1_11comp_targetILNS1_3genE5ELNS1_11target_archE942ELNS1_3gpuE9ELNS1_3repE0EEENS1_30default_config_static_selectorELNS0_4arch9wavefront6targetE0EEEvT1_, .Lfunc_end1638-_ZN7rocprim17ROCPRIM_400000_NS6detail17trampoline_kernelINS0_14default_configENS1_35adjacent_difference_config_selectorILb0ElEEZNS1_24adjacent_difference_implIS3_Lb0ELb0EPlS7_ZN2at6native12_GLOBAL__N_124unique_dim_cuda_templateImEESt5tupleIJNS8_6TensorESD_SD_EERKSD_lbbbEUlllE1_EE10hipError_tPvRmT2_T3_mT4_P12ihipStream_tbEUlT_E_NS1_11comp_targetILNS1_3genE5ELNS1_11target_archE942ELNS1_3gpuE9ELNS1_3repE0EEENS1_30default_config_static_selectorELNS0_4arch9wavefront6targetE0EEEvT1_
                                        ; -- End function
	.section	.AMDGPU.csdata,"",@progbits
; Kernel info:
; codeLenInByte = 0
; NumSgprs: 0
; NumVgprs: 0
; ScratchSize: 0
; MemoryBound: 0
; FloatMode: 240
; IeeeMode: 1
; LDSByteSize: 0 bytes/workgroup (compile time only)
; SGPRBlocks: 0
; VGPRBlocks: 0
; NumSGPRsForWavesPerEU: 1
; NumVGPRsForWavesPerEU: 1
; Occupancy: 16
; WaveLimiterHint : 0
; COMPUTE_PGM_RSRC2:SCRATCH_EN: 0
; COMPUTE_PGM_RSRC2:USER_SGPR: 15
; COMPUTE_PGM_RSRC2:TRAP_HANDLER: 0
; COMPUTE_PGM_RSRC2:TGID_X_EN: 1
; COMPUTE_PGM_RSRC2:TGID_Y_EN: 0
; COMPUTE_PGM_RSRC2:TGID_Z_EN: 0
; COMPUTE_PGM_RSRC2:TIDIG_COMP_CNT: 0
	.section	.text._ZN7rocprim17ROCPRIM_400000_NS6detail17trampoline_kernelINS0_14default_configENS1_35adjacent_difference_config_selectorILb0ElEEZNS1_24adjacent_difference_implIS3_Lb0ELb0EPlS7_ZN2at6native12_GLOBAL__N_124unique_dim_cuda_templateImEESt5tupleIJNS8_6TensorESD_SD_EERKSD_lbbbEUlllE1_EE10hipError_tPvRmT2_T3_mT4_P12ihipStream_tbEUlT_E_NS1_11comp_targetILNS1_3genE4ELNS1_11target_archE910ELNS1_3gpuE8ELNS1_3repE0EEENS1_30default_config_static_selectorELNS0_4arch9wavefront6targetE0EEEvT1_,"axG",@progbits,_ZN7rocprim17ROCPRIM_400000_NS6detail17trampoline_kernelINS0_14default_configENS1_35adjacent_difference_config_selectorILb0ElEEZNS1_24adjacent_difference_implIS3_Lb0ELb0EPlS7_ZN2at6native12_GLOBAL__N_124unique_dim_cuda_templateImEESt5tupleIJNS8_6TensorESD_SD_EERKSD_lbbbEUlllE1_EE10hipError_tPvRmT2_T3_mT4_P12ihipStream_tbEUlT_E_NS1_11comp_targetILNS1_3genE4ELNS1_11target_archE910ELNS1_3gpuE8ELNS1_3repE0EEENS1_30default_config_static_selectorELNS0_4arch9wavefront6targetE0EEEvT1_,comdat
	.globl	_ZN7rocprim17ROCPRIM_400000_NS6detail17trampoline_kernelINS0_14default_configENS1_35adjacent_difference_config_selectorILb0ElEEZNS1_24adjacent_difference_implIS3_Lb0ELb0EPlS7_ZN2at6native12_GLOBAL__N_124unique_dim_cuda_templateImEESt5tupleIJNS8_6TensorESD_SD_EERKSD_lbbbEUlllE1_EE10hipError_tPvRmT2_T3_mT4_P12ihipStream_tbEUlT_E_NS1_11comp_targetILNS1_3genE4ELNS1_11target_archE910ELNS1_3gpuE8ELNS1_3repE0EEENS1_30default_config_static_selectorELNS0_4arch9wavefront6targetE0EEEvT1_ ; -- Begin function _ZN7rocprim17ROCPRIM_400000_NS6detail17trampoline_kernelINS0_14default_configENS1_35adjacent_difference_config_selectorILb0ElEEZNS1_24adjacent_difference_implIS3_Lb0ELb0EPlS7_ZN2at6native12_GLOBAL__N_124unique_dim_cuda_templateImEESt5tupleIJNS8_6TensorESD_SD_EERKSD_lbbbEUlllE1_EE10hipError_tPvRmT2_T3_mT4_P12ihipStream_tbEUlT_E_NS1_11comp_targetILNS1_3genE4ELNS1_11target_archE910ELNS1_3gpuE8ELNS1_3repE0EEENS1_30default_config_static_selectorELNS0_4arch9wavefront6targetE0EEEvT1_
	.p2align	8
	.type	_ZN7rocprim17ROCPRIM_400000_NS6detail17trampoline_kernelINS0_14default_configENS1_35adjacent_difference_config_selectorILb0ElEEZNS1_24adjacent_difference_implIS3_Lb0ELb0EPlS7_ZN2at6native12_GLOBAL__N_124unique_dim_cuda_templateImEESt5tupleIJNS8_6TensorESD_SD_EERKSD_lbbbEUlllE1_EE10hipError_tPvRmT2_T3_mT4_P12ihipStream_tbEUlT_E_NS1_11comp_targetILNS1_3genE4ELNS1_11target_archE910ELNS1_3gpuE8ELNS1_3repE0EEENS1_30default_config_static_selectorELNS0_4arch9wavefront6targetE0EEEvT1_,@function
_ZN7rocprim17ROCPRIM_400000_NS6detail17trampoline_kernelINS0_14default_configENS1_35adjacent_difference_config_selectorILb0ElEEZNS1_24adjacent_difference_implIS3_Lb0ELb0EPlS7_ZN2at6native12_GLOBAL__N_124unique_dim_cuda_templateImEESt5tupleIJNS8_6TensorESD_SD_EERKSD_lbbbEUlllE1_EE10hipError_tPvRmT2_T3_mT4_P12ihipStream_tbEUlT_E_NS1_11comp_targetILNS1_3genE4ELNS1_11target_archE910ELNS1_3gpuE8ELNS1_3repE0EEENS1_30default_config_static_selectorELNS0_4arch9wavefront6targetE0EEEvT1_: ; @_ZN7rocprim17ROCPRIM_400000_NS6detail17trampoline_kernelINS0_14default_configENS1_35adjacent_difference_config_selectorILb0ElEEZNS1_24adjacent_difference_implIS3_Lb0ELb0EPlS7_ZN2at6native12_GLOBAL__N_124unique_dim_cuda_templateImEESt5tupleIJNS8_6TensorESD_SD_EERKSD_lbbbEUlllE1_EE10hipError_tPvRmT2_T3_mT4_P12ihipStream_tbEUlT_E_NS1_11comp_targetILNS1_3genE4ELNS1_11target_archE910ELNS1_3gpuE8ELNS1_3repE0EEENS1_30default_config_static_selectorELNS0_4arch9wavefront6targetE0EEEvT1_
; %bb.0:
	.section	.rodata,"a",@progbits
	.p2align	6, 0x0
	.amdhsa_kernel _ZN7rocprim17ROCPRIM_400000_NS6detail17trampoline_kernelINS0_14default_configENS1_35adjacent_difference_config_selectorILb0ElEEZNS1_24adjacent_difference_implIS3_Lb0ELb0EPlS7_ZN2at6native12_GLOBAL__N_124unique_dim_cuda_templateImEESt5tupleIJNS8_6TensorESD_SD_EERKSD_lbbbEUlllE1_EE10hipError_tPvRmT2_T3_mT4_P12ihipStream_tbEUlT_E_NS1_11comp_targetILNS1_3genE4ELNS1_11target_archE910ELNS1_3gpuE8ELNS1_3repE0EEENS1_30default_config_static_selectorELNS0_4arch9wavefront6targetE0EEEvT1_
		.amdhsa_group_segment_fixed_size 0
		.amdhsa_private_segment_fixed_size 0
		.amdhsa_kernarg_size 64
		.amdhsa_user_sgpr_count 15
		.amdhsa_user_sgpr_dispatch_ptr 0
		.amdhsa_user_sgpr_queue_ptr 0
		.amdhsa_user_sgpr_kernarg_segment_ptr 1
		.amdhsa_user_sgpr_dispatch_id 0
		.amdhsa_user_sgpr_private_segment_size 0
		.amdhsa_wavefront_size32 1
		.amdhsa_uses_dynamic_stack 0
		.amdhsa_enable_private_segment 0
		.amdhsa_system_sgpr_workgroup_id_x 1
		.amdhsa_system_sgpr_workgroup_id_y 0
		.amdhsa_system_sgpr_workgroup_id_z 0
		.amdhsa_system_sgpr_workgroup_info 0
		.amdhsa_system_vgpr_workitem_id 0
		.amdhsa_next_free_vgpr 1
		.amdhsa_next_free_sgpr 1
		.amdhsa_reserve_vcc 0
		.amdhsa_float_round_mode_32 0
		.amdhsa_float_round_mode_16_64 0
		.amdhsa_float_denorm_mode_32 3
		.amdhsa_float_denorm_mode_16_64 3
		.amdhsa_dx10_clamp 1
		.amdhsa_ieee_mode 1
		.amdhsa_fp16_overflow 0
		.amdhsa_workgroup_processor_mode 1
		.amdhsa_memory_ordered 1
		.amdhsa_forward_progress 0
		.amdhsa_shared_vgpr_count 0
		.amdhsa_exception_fp_ieee_invalid_op 0
		.amdhsa_exception_fp_denorm_src 0
		.amdhsa_exception_fp_ieee_div_zero 0
		.amdhsa_exception_fp_ieee_overflow 0
		.amdhsa_exception_fp_ieee_underflow 0
		.amdhsa_exception_fp_ieee_inexact 0
		.amdhsa_exception_int_div_zero 0
	.end_amdhsa_kernel
	.section	.text._ZN7rocprim17ROCPRIM_400000_NS6detail17trampoline_kernelINS0_14default_configENS1_35adjacent_difference_config_selectorILb0ElEEZNS1_24adjacent_difference_implIS3_Lb0ELb0EPlS7_ZN2at6native12_GLOBAL__N_124unique_dim_cuda_templateImEESt5tupleIJNS8_6TensorESD_SD_EERKSD_lbbbEUlllE1_EE10hipError_tPvRmT2_T3_mT4_P12ihipStream_tbEUlT_E_NS1_11comp_targetILNS1_3genE4ELNS1_11target_archE910ELNS1_3gpuE8ELNS1_3repE0EEENS1_30default_config_static_selectorELNS0_4arch9wavefront6targetE0EEEvT1_,"axG",@progbits,_ZN7rocprim17ROCPRIM_400000_NS6detail17trampoline_kernelINS0_14default_configENS1_35adjacent_difference_config_selectorILb0ElEEZNS1_24adjacent_difference_implIS3_Lb0ELb0EPlS7_ZN2at6native12_GLOBAL__N_124unique_dim_cuda_templateImEESt5tupleIJNS8_6TensorESD_SD_EERKSD_lbbbEUlllE1_EE10hipError_tPvRmT2_T3_mT4_P12ihipStream_tbEUlT_E_NS1_11comp_targetILNS1_3genE4ELNS1_11target_archE910ELNS1_3gpuE8ELNS1_3repE0EEENS1_30default_config_static_selectorELNS0_4arch9wavefront6targetE0EEEvT1_,comdat
.Lfunc_end1639:
	.size	_ZN7rocprim17ROCPRIM_400000_NS6detail17trampoline_kernelINS0_14default_configENS1_35adjacent_difference_config_selectorILb0ElEEZNS1_24adjacent_difference_implIS3_Lb0ELb0EPlS7_ZN2at6native12_GLOBAL__N_124unique_dim_cuda_templateImEESt5tupleIJNS8_6TensorESD_SD_EERKSD_lbbbEUlllE1_EE10hipError_tPvRmT2_T3_mT4_P12ihipStream_tbEUlT_E_NS1_11comp_targetILNS1_3genE4ELNS1_11target_archE910ELNS1_3gpuE8ELNS1_3repE0EEENS1_30default_config_static_selectorELNS0_4arch9wavefront6targetE0EEEvT1_, .Lfunc_end1639-_ZN7rocprim17ROCPRIM_400000_NS6detail17trampoline_kernelINS0_14default_configENS1_35adjacent_difference_config_selectorILb0ElEEZNS1_24adjacent_difference_implIS3_Lb0ELb0EPlS7_ZN2at6native12_GLOBAL__N_124unique_dim_cuda_templateImEESt5tupleIJNS8_6TensorESD_SD_EERKSD_lbbbEUlllE1_EE10hipError_tPvRmT2_T3_mT4_P12ihipStream_tbEUlT_E_NS1_11comp_targetILNS1_3genE4ELNS1_11target_archE910ELNS1_3gpuE8ELNS1_3repE0EEENS1_30default_config_static_selectorELNS0_4arch9wavefront6targetE0EEEvT1_
                                        ; -- End function
	.section	.AMDGPU.csdata,"",@progbits
; Kernel info:
; codeLenInByte = 0
; NumSgprs: 0
; NumVgprs: 0
; ScratchSize: 0
; MemoryBound: 0
; FloatMode: 240
; IeeeMode: 1
; LDSByteSize: 0 bytes/workgroup (compile time only)
; SGPRBlocks: 0
; VGPRBlocks: 0
; NumSGPRsForWavesPerEU: 1
; NumVGPRsForWavesPerEU: 1
; Occupancy: 16
; WaveLimiterHint : 0
; COMPUTE_PGM_RSRC2:SCRATCH_EN: 0
; COMPUTE_PGM_RSRC2:USER_SGPR: 15
; COMPUTE_PGM_RSRC2:TRAP_HANDLER: 0
; COMPUTE_PGM_RSRC2:TGID_X_EN: 1
; COMPUTE_PGM_RSRC2:TGID_Y_EN: 0
; COMPUTE_PGM_RSRC2:TGID_Z_EN: 0
; COMPUTE_PGM_RSRC2:TIDIG_COMP_CNT: 0
	.section	.text._ZN7rocprim17ROCPRIM_400000_NS6detail17trampoline_kernelINS0_14default_configENS1_35adjacent_difference_config_selectorILb0ElEEZNS1_24adjacent_difference_implIS3_Lb0ELb0EPlS7_ZN2at6native12_GLOBAL__N_124unique_dim_cuda_templateImEESt5tupleIJNS8_6TensorESD_SD_EERKSD_lbbbEUlllE1_EE10hipError_tPvRmT2_T3_mT4_P12ihipStream_tbEUlT_E_NS1_11comp_targetILNS1_3genE3ELNS1_11target_archE908ELNS1_3gpuE7ELNS1_3repE0EEENS1_30default_config_static_selectorELNS0_4arch9wavefront6targetE0EEEvT1_,"axG",@progbits,_ZN7rocprim17ROCPRIM_400000_NS6detail17trampoline_kernelINS0_14default_configENS1_35adjacent_difference_config_selectorILb0ElEEZNS1_24adjacent_difference_implIS3_Lb0ELb0EPlS7_ZN2at6native12_GLOBAL__N_124unique_dim_cuda_templateImEESt5tupleIJNS8_6TensorESD_SD_EERKSD_lbbbEUlllE1_EE10hipError_tPvRmT2_T3_mT4_P12ihipStream_tbEUlT_E_NS1_11comp_targetILNS1_3genE3ELNS1_11target_archE908ELNS1_3gpuE7ELNS1_3repE0EEENS1_30default_config_static_selectorELNS0_4arch9wavefront6targetE0EEEvT1_,comdat
	.globl	_ZN7rocprim17ROCPRIM_400000_NS6detail17trampoline_kernelINS0_14default_configENS1_35adjacent_difference_config_selectorILb0ElEEZNS1_24adjacent_difference_implIS3_Lb0ELb0EPlS7_ZN2at6native12_GLOBAL__N_124unique_dim_cuda_templateImEESt5tupleIJNS8_6TensorESD_SD_EERKSD_lbbbEUlllE1_EE10hipError_tPvRmT2_T3_mT4_P12ihipStream_tbEUlT_E_NS1_11comp_targetILNS1_3genE3ELNS1_11target_archE908ELNS1_3gpuE7ELNS1_3repE0EEENS1_30default_config_static_selectorELNS0_4arch9wavefront6targetE0EEEvT1_ ; -- Begin function _ZN7rocprim17ROCPRIM_400000_NS6detail17trampoline_kernelINS0_14default_configENS1_35adjacent_difference_config_selectorILb0ElEEZNS1_24adjacent_difference_implIS3_Lb0ELb0EPlS7_ZN2at6native12_GLOBAL__N_124unique_dim_cuda_templateImEESt5tupleIJNS8_6TensorESD_SD_EERKSD_lbbbEUlllE1_EE10hipError_tPvRmT2_T3_mT4_P12ihipStream_tbEUlT_E_NS1_11comp_targetILNS1_3genE3ELNS1_11target_archE908ELNS1_3gpuE7ELNS1_3repE0EEENS1_30default_config_static_selectorELNS0_4arch9wavefront6targetE0EEEvT1_
	.p2align	8
	.type	_ZN7rocprim17ROCPRIM_400000_NS6detail17trampoline_kernelINS0_14default_configENS1_35adjacent_difference_config_selectorILb0ElEEZNS1_24adjacent_difference_implIS3_Lb0ELb0EPlS7_ZN2at6native12_GLOBAL__N_124unique_dim_cuda_templateImEESt5tupleIJNS8_6TensorESD_SD_EERKSD_lbbbEUlllE1_EE10hipError_tPvRmT2_T3_mT4_P12ihipStream_tbEUlT_E_NS1_11comp_targetILNS1_3genE3ELNS1_11target_archE908ELNS1_3gpuE7ELNS1_3repE0EEENS1_30default_config_static_selectorELNS0_4arch9wavefront6targetE0EEEvT1_,@function
_ZN7rocprim17ROCPRIM_400000_NS6detail17trampoline_kernelINS0_14default_configENS1_35adjacent_difference_config_selectorILb0ElEEZNS1_24adjacent_difference_implIS3_Lb0ELb0EPlS7_ZN2at6native12_GLOBAL__N_124unique_dim_cuda_templateImEESt5tupleIJNS8_6TensorESD_SD_EERKSD_lbbbEUlllE1_EE10hipError_tPvRmT2_T3_mT4_P12ihipStream_tbEUlT_E_NS1_11comp_targetILNS1_3genE3ELNS1_11target_archE908ELNS1_3gpuE7ELNS1_3repE0EEENS1_30default_config_static_selectorELNS0_4arch9wavefront6targetE0EEEvT1_: ; @_ZN7rocprim17ROCPRIM_400000_NS6detail17trampoline_kernelINS0_14default_configENS1_35adjacent_difference_config_selectorILb0ElEEZNS1_24adjacent_difference_implIS3_Lb0ELb0EPlS7_ZN2at6native12_GLOBAL__N_124unique_dim_cuda_templateImEESt5tupleIJNS8_6TensorESD_SD_EERKSD_lbbbEUlllE1_EE10hipError_tPvRmT2_T3_mT4_P12ihipStream_tbEUlT_E_NS1_11comp_targetILNS1_3genE3ELNS1_11target_archE908ELNS1_3gpuE7ELNS1_3repE0EEENS1_30default_config_static_selectorELNS0_4arch9wavefront6targetE0EEEvT1_
; %bb.0:
	.section	.rodata,"a",@progbits
	.p2align	6, 0x0
	.amdhsa_kernel _ZN7rocprim17ROCPRIM_400000_NS6detail17trampoline_kernelINS0_14default_configENS1_35adjacent_difference_config_selectorILb0ElEEZNS1_24adjacent_difference_implIS3_Lb0ELb0EPlS7_ZN2at6native12_GLOBAL__N_124unique_dim_cuda_templateImEESt5tupleIJNS8_6TensorESD_SD_EERKSD_lbbbEUlllE1_EE10hipError_tPvRmT2_T3_mT4_P12ihipStream_tbEUlT_E_NS1_11comp_targetILNS1_3genE3ELNS1_11target_archE908ELNS1_3gpuE7ELNS1_3repE0EEENS1_30default_config_static_selectorELNS0_4arch9wavefront6targetE0EEEvT1_
		.amdhsa_group_segment_fixed_size 0
		.amdhsa_private_segment_fixed_size 0
		.amdhsa_kernarg_size 64
		.amdhsa_user_sgpr_count 15
		.amdhsa_user_sgpr_dispatch_ptr 0
		.amdhsa_user_sgpr_queue_ptr 0
		.amdhsa_user_sgpr_kernarg_segment_ptr 1
		.amdhsa_user_sgpr_dispatch_id 0
		.amdhsa_user_sgpr_private_segment_size 0
		.amdhsa_wavefront_size32 1
		.amdhsa_uses_dynamic_stack 0
		.amdhsa_enable_private_segment 0
		.amdhsa_system_sgpr_workgroup_id_x 1
		.amdhsa_system_sgpr_workgroup_id_y 0
		.amdhsa_system_sgpr_workgroup_id_z 0
		.amdhsa_system_sgpr_workgroup_info 0
		.amdhsa_system_vgpr_workitem_id 0
		.amdhsa_next_free_vgpr 1
		.amdhsa_next_free_sgpr 1
		.amdhsa_reserve_vcc 0
		.amdhsa_float_round_mode_32 0
		.amdhsa_float_round_mode_16_64 0
		.amdhsa_float_denorm_mode_32 3
		.amdhsa_float_denorm_mode_16_64 3
		.amdhsa_dx10_clamp 1
		.amdhsa_ieee_mode 1
		.amdhsa_fp16_overflow 0
		.amdhsa_workgroup_processor_mode 1
		.amdhsa_memory_ordered 1
		.amdhsa_forward_progress 0
		.amdhsa_shared_vgpr_count 0
		.amdhsa_exception_fp_ieee_invalid_op 0
		.amdhsa_exception_fp_denorm_src 0
		.amdhsa_exception_fp_ieee_div_zero 0
		.amdhsa_exception_fp_ieee_overflow 0
		.amdhsa_exception_fp_ieee_underflow 0
		.amdhsa_exception_fp_ieee_inexact 0
		.amdhsa_exception_int_div_zero 0
	.end_amdhsa_kernel
	.section	.text._ZN7rocprim17ROCPRIM_400000_NS6detail17trampoline_kernelINS0_14default_configENS1_35adjacent_difference_config_selectorILb0ElEEZNS1_24adjacent_difference_implIS3_Lb0ELb0EPlS7_ZN2at6native12_GLOBAL__N_124unique_dim_cuda_templateImEESt5tupleIJNS8_6TensorESD_SD_EERKSD_lbbbEUlllE1_EE10hipError_tPvRmT2_T3_mT4_P12ihipStream_tbEUlT_E_NS1_11comp_targetILNS1_3genE3ELNS1_11target_archE908ELNS1_3gpuE7ELNS1_3repE0EEENS1_30default_config_static_selectorELNS0_4arch9wavefront6targetE0EEEvT1_,"axG",@progbits,_ZN7rocprim17ROCPRIM_400000_NS6detail17trampoline_kernelINS0_14default_configENS1_35adjacent_difference_config_selectorILb0ElEEZNS1_24adjacent_difference_implIS3_Lb0ELb0EPlS7_ZN2at6native12_GLOBAL__N_124unique_dim_cuda_templateImEESt5tupleIJNS8_6TensorESD_SD_EERKSD_lbbbEUlllE1_EE10hipError_tPvRmT2_T3_mT4_P12ihipStream_tbEUlT_E_NS1_11comp_targetILNS1_3genE3ELNS1_11target_archE908ELNS1_3gpuE7ELNS1_3repE0EEENS1_30default_config_static_selectorELNS0_4arch9wavefront6targetE0EEEvT1_,comdat
.Lfunc_end1640:
	.size	_ZN7rocprim17ROCPRIM_400000_NS6detail17trampoline_kernelINS0_14default_configENS1_35adjacent_difference_config_selectorILb0ElEEZNS1_24adjacent_difference_implIS3_Lb0ELb0EPlS7_ZN2at6native12_GLOBAL__N_124unique_dim_cuda_templateImEESt5tupleIJNS8_6TensorESD_SD_EERKSD_lbbbEUlllE1_EE10hipError_tPvRmT2_T3_mT4_P12ihipStream_tbEUlT_E_NS1_11comp_targetILNS1_3genE3ELNS1_11target_archE908ELNS1_3gpuE7ELNS1_3repE0EEENS1_30default_config_static_selectorELNS0_4arch9wavefront6targetE0EEEvT1_, .Lfunc_end1640-_ZN7rocprim17ROCPRIM_400000_NS6detail17trampoline_kernelINS0_14default_configENS1_35adjacent_difference_config_selectorILb0ElEEZNS1_24adjacent_difference_implIS3_Lb0ELb0EPlS7_ZN2at6native12_GLOBAL__N_124unique_dim_cuda_templateImEESt5tupleIJNS8_6TensorESD_SD_EERKSD_lbbbEUlllE1_EE10hipError_tPvRmT2_T3_mT4_P12ihipStream_tbEUlT_E_NS1_11comp_targetILNS1_3genE3ELNS1_11target_archE908ELNS1_3gpuE7ELNS1_3repE0EEENS1_30default_config_static_selectorELNS0_4arch9wavefront6targetE0EEEvT1_
                                        ; -- End function
	.section	.AMDGPU.csdata,"",@progbits
; Kernel info:
; codeLenInByte = 0
; NumSgprs: 0
; NumVgprs: 0
; ScratchSize: 0
; MemoryBound: 0
; FloatMode: 240
; IeeeMode: 1
; LDSByteSize: 0 bytes/workgroup (compile time only)
; SGPRBlocks: 0
; VGPRBlocks: 0
; NumSGPRsForWavesPerEU: 1
; NumVGPRsForWavesPerEU: 1
; Occupancy: 16
; WaveLimiterHint : 0
; COMPUTE_PGM_RSRC2:SCRATCH_EN: 0
; COMPUTE_PGM_RSRC2:USER_SGPR: 15
; COMPUTE_PGM_RSRC2:TRAP_HANDLER: 0
; COMPUTE_PGM_RSRC2:TGID_X_EN: 1
; COMPUTE_PGM_RSRC2:TGID_Y_EN: 0
; COMPUTE_PGM_RSRC2:TGID_Z_EN: 0
; COMPUTE_PGM_RSRC2:TIDIG_COMP_CNT: 0
	.section	.text._ZN7rocprim17ROCPRIM_400000_NS6detail17trampoline_kernelINS0_14default_configENS1_35adjacent_difference_config_selectorILb0ElEEZNS1_24adjacent_difference_implIS3_Lb0ELb0EPlS7_ZN2at6native12_GLOBAL__N_124unique_dim_cuda_templateImEESt5tupleIJNS8_6TensorESD_SD_EERKSD_lbbbEUlllE1_EE10hipError_tPvRmT2_T3_mT4_P12ihipStream_tbEUlT_E_NS1_11comp_targetILNS1_3genE2ELNS1_11target_archE906ELNS1_3gpuE6ELNS1_3repE0EEENS1_30default_config_static_selectorELNS0_4arch9wavefront6targetE0EEEvT1_,"axG",@progbits,_ZN7rocprim17ROCPRIM_400000_NS6detail17trampoline_kernelINS0_14default_configENS1_35adjacent_difference_config_selectorILb0ElEEZNS1_24adjacent_difference_implIS3_Lb0ELb0EPlS7_ZN2at6native12_GLOBAL__N_124unique_dim_cuda_templateImEESt5tupleIJNS8_6TensorESD_SD_EERKSD_lbbbEUlllE1_EE10hipError_tPvRmT2_T3_mT4_P12ihipStream_tbEUlT_E_NS1_11comp_targetILNS1_3genE2ELNS1_11target_archE906ELNS1_3gpuE6ELNS1_3repE0EEENS1_30default_config_static_selectorELNS0_4arch9wavefront6targetE0EEEvT1_,comdat
	.globl	_ZN7rocprim17ROCPRIM_400000_NS6detail17trampoline_kernelINS0_14default_configENS1_35adjacent_difference_config_selectorILb0ElEEZNS1_24adjacent_difference_implIS3_Lb0ELb0EPlS7_ZN2at6native12_GLOBAL__N_124unique_dim_cuda_templateImEESt5tupleIJNS8_6TensorESD_SD_EERKSD_lbbbEUlllE1_EE10hipError_tPvRmT2_T3_mT4_P12ihipStream_tbEUlT_E_NS1_11comp_targetILNS1_3genE2ELNS1_11target_archE906ELNS1_3gpuE6ELNS1_3repE0EEENS1_30default_config_static_selectorELNS0_4arch9wavefront6targetE0EEEvT1_ ; -- Begin function _ZN7rocprim17ROCPRIM_400000_NS6detail17trampoline_kernelINS0_14default_configENS1_35adjacent_difference_config_selectorILb0ElEEZNS1_24adjacent_difference_implIS3_Lb0ELb0EPlS7_ZN2at6native12_GLOBAL__N_124unique_dim_cuda_templateImEESt5tupleIJNS8_6TensorESD_SD_EERKSD_lbbbEUlllE1_EE10hipError_tPvRmT2_T3_mT4_P12ihipStream_tbEUlT_E_NS1_11comp_targetILNS1_3genE2ELNS1_11target_archE906ELNS1_3gpuE6ELNS1_3repE0EEENS1_30default_config_static_selectorELNS0_4arch9wavefront6targetE0EEEvT1_
	.p2align	8
	.type	_ZN7rocprim17ROCPRIM_400000_NS6detail17trampoline_kernelINS0_14default_configENS1_35adjacent_difference_config_selectorILb0ElEEZNS1_24adjacent_difference_implIS3_Lb0ELb0EPlS7_ZN2at6native12_GLOBAL__N_124unique_dim_cuda_templateImEESt5tupleIJNS8_6TensorESD_SD_EERKSD_lbbbEUlllE1_EE10hipError_tPvRmT2_T3_mT4_P12ihipStream_tbEUlT_E_NS1_11comp_targetILNS1_3genE2ELNS1_11target_archE906ELNS1_3gpuE6ELNS1_3repE0EEENS1_30default_config_static_selectorELNS0_4arch9wavefront6targetE0EEEvT1_,@function
_ZN7rocprim17ROCPRIM_400000_NS6detail17trampoline_kernelINS0_14default_configENS1_35adjacent_difference_config_selectorILb0ElEEZNS1_24adjacent_difference_implIS3_Lb0ELb0EPlS7_ZN2at6native12_GLOBAL__N_124unique_dim_cuda_templateImEESt5tupleIJNS8_6TensorESD_SD_EERKSD_lbbbEUlllE1_EE10hipError_tPvRmT2_T3_mT4_P12ihipStream_tbEUlT_E_NS1_11comp_targetILNS1_3genE2ELNS1_11target_archE906ELNS1_3gpuE6ELNS1_3repE0EEENS1_30default_config_static_selectorELNS0_4arch9wavefront6targetE0EEEvT1_: ; @_ZN7rocprim17ROCPRIM_400000_NS6detail17trampoline_kernelINS0_14default_configENS1_35adjacent_difference_config_selectorILb0ElEEZNS1_24adjacent_difference_implIS3_Lb0ELb0EPlS7_ZN2at6native12_GLOBAL__N_124unique_dim_cuda_templateImEESt5tupleIJNS8_6TensorESD_SD_EERKSD_lbbbEUlllE1_EE10hipError_tPvRmT2_T3_mT4_P12ihipStream_tbEUlT_E_NS1_11comp_targetILNS1_3genE2ELNS1_11target_archE906ELNS1_3gpuE6ELNS1_3repE0EEENS1_30default_config_static_selectorELNS0_4arch9wavefront6targetE0EEEvT1_
; %bb.0:
	.section	.rodata,"a",@progbits
	.p2align	6, 0x0
	.amdhsa_kernel _ZN7rocprim17ROCPRIM_400000_NS6detail17trampoline_kernelINS0_14default_configENS1_35adjacent_difference_config_selectorILb0ElEEZNS1_24adjacent_difference_implIS3_Lb0ELb0EPlS7_ZN2at6native12_GLOBAL__N_124unique_dim_cuda_templateImEESt5tupleIJNS8_6TensorESD_SD_EERKSD_lbbbEUlllE1_EE10hipError_tPvRmT2_T3_mT4_P12ihipStream_tbEUlT_E_NS1_11comp_targetILNS1_3genE2ELNS1_11target_archE906ELNS1_3gpuE6ELNS1_3repE0EEENS1_30default_config_static_selectorELNS0_4arch9wavefront6targetE0EEEvT1_
		.amdhsa_group_segment_fixed_size 0
		.amdhsa_private_segment_fixed_size 0
		.amdhsa_kernarg_size 64
		.amdhsa_user_sgpr_count 15
		.amdhsa_user_sgpr_dispatch_ptr 0
		.amdhsa_user_sgpr_queue_ptr 0
		.amdhsa_user_sgpr_kernarg_segment_ptr 1
		.amdhsa_user_sgpr_dispatch_id 0
		.amdhsa_user_sgpr_private_segment_size 0
		.amdhsa_wavefront_size32 1
		.amdhsa_uses_dynamic_stack 0
		.amdhsa_enable_private_segment 0
		.amdhsa_system_sgpr_workgroup_id_x 1
		.amdhsa_system_sgpr_workgroup_id_y 0
		.amdhsa_system_sgpr_workgroup_id_z 0
		.amdhsa_system_sgpr_workgroup_info 0
		.amdhsa_system_vgpr_workitem_id 0
		.amdhsa_next_free_vgpr 1
		.amdhsa_next_free_sgpr 1
		.amdhsa_reserve_vcc 0
		.amdhsa_float_round_mode_32 0
		.amdhsa_float_round_mode_16_64 0
		.amdhsa_float_denorm_mode_32 3
		.amdhsa_float_denorm_mode_16_64 3
		.amdhsa_dx10_clamp 1
		.amdhsa_ieee_mode 1
		.amdhsa_fp16_overflow 0
		.amdhsa_workgroup_processor_mode 1
		.amdhsa_memory_ordered 1
		.amdhsa_forward_progress 0
		.amdhsa_shared_vgpr_count 0
		.amdhsa_exception_fp_ieee_invalid_op 0
		.amdhsa_exception_fp_denorm_src 0
		.amdhsa_exception_fp_ieee_div_zero 0
		.amdhsa_exception_fp_ieee_overflow 0
		.amdhsa_exception_fp_ieee_underflow 0
		.amdhsa_exception_fp_ieee_inexact 0
		.amdhsa_exception_int_div_zero 0
	.end_amdhsa_kernel
	.section	.text._ZN7rocprim17ROCPRIM_400000_NS6detail17trampoline_kernelINS0_14default_configENS1_35adjacent_difference_config_selectorILb0ElEEZNS1_24adjacent_difference_implIS3_Lb0ELb0EPlS7_ZN2at6native12_GLOBAL__N_124unique_dim_cuda_templateImEESt5tupleIJNS8_6TensorESD_SD_EERKSD_lbbbEUlllE1_EE10hipError_tPvRmT2_T3_mT4_P12ihipStream_tbEUlT_E_NS1_11comp_targetILNS1_3genE2ELNS1_11target_archE906ELNS1_3gpuE6ELNS1_3repE0EEENS1_30default_config_static_selectorELNS0_4arch9wavefront6targetE0EEEvT1_,"axG",@progbits,_ZN7rocprim17ROCPRIM_400000_NS6detail17trampoline_kernelINS0_14default_configENS1_35adjacent_difference_config_selectorILb0ElEEZNS1_24adjacent_difference_implIS3_Lb0ELb0EPlS7_ZN2at6native12_GLOBAL__N_124unique_dim_cuda_templateImEESt5tupleIJNS8_6TensorESD_SD_EERKSD_lbbbEUlllE1_EE10hipError_tPvRmT2_T3_mT4_P12ihipStream_tbEUlT_E_NS1_11comp_targetILNS1_3genE2ELNS1_11target_archE906ELNS1_3gpuE6ELNS1_3repE0EEENS1_30default_config_static_selectorELNS0_4arch9wavefront6targetE0EEEvT1_,comdat
.Lfunc_end1641:
	.size	_ZN7rocprim17ROCPRIM_400000_NS6detail17trampoline_kernelINS0_14default_configENS1_35adjacent_difference_config_selectorILb0ElEEZNS1_24adjacent_difference_implIS3_Lb0ELb0EPlS7_ZN2at6native12_GLOBAL__N_124unique_dim_cuda_templateImEESt5tupleIJNS8_6TensorESD_SD_EERKSD_lbbbEUlllE1_EE10hipError_tPvRmT2_T3_mT4_P12ihipStream_tbEUlT_E_NS1_11comp_targetILNS1_3genE2ELNS1_11target_archE906ELNS1_3gpuE6ELNS1_3repE0EEENS1_30default_config_static_selectorELNS0_4arch9wavefront6targetE0EEEvT1_, .Lfunc_end1641-_ZN7rocprim17ROCPRIM_400000_NS6detail17trampoline_kernelINS0_14default_configENS1_35adjacent_difference_config_selectorILb0ElEEZNS1_24adjacent_difference_implIS3_Lb0ELb0EPlS7_ZN2at6native12_GLOBAL__N_124unique_dim_cuda_templateImEESt5tupleIJNS8_6TensorESD_SD_EERKSD_lbbbEUlllE1_EE10hipError_tPvRmT2_T3_mT4_P12ihipStream_tbEUlT_E_NS1_11comp_targetILNS1_3genE2ELNS1_11target_archE906ELNS1_3gpuE6ELNS1_3repE0EEENS1_30default_config_static_selectorELNS0_4arch9wavefront6targetE0EEEvT1_
                                        ; -- End function
	.section	.AMDGPU.csdata,"",@progbits
; Kernel info:
; codeLenInByte = 0
; NumSgprs: 0
; NumVgprs: 0
; ScratchSize: 0
; MemoryBound: 0
; FloatMode: 240
; IeeeMode: 1
; LDSByteSize: 0 bytes/workgroup (compile time only)
; SGPRBlocks: 0
; VGPRBlocks: 0
; NumSGPRsForWavesPerEU: 1
; NumVGPRsForWavesPerEU: 1
; Occupancy: 16
; WaveLimiterHint : 0
; COMPUTE_PGM_RSRC2:SCRATCH_EN: 0
; COMPUTE_PGM_RSRC2:USER_SGPR: 15
; COMPUTE_PGM_RSRC2:TRAP_HANDLER: 0
; COMPUTE_PGM_RSRC2:TGID_X_EN: 1
; COMPUTE_PGM_RSRC2:TGID_Y_EN: 0
; COMPUTE_PGM_RSRC2:TGID_Z_EN: 0
; COMPUTE_PGM_RSRC2:TIDIG_COMP_CNT: 0
	.section	.text._ZN7rocprim17ROCPRIM_400000_NS6detail17trampoline_kernelINS0_14default_configENS1_35adjacent_difference_config_selectorILb0ElEEZNS1_24adjacent_difference_implIS3_Lb0ELb0EPlS7_ZN2at6native12_GLOBAL__N_124unique_dim_cuda_templateImEESt5tupleIJNS8_6TensorESD_SD_EERKSD_lbbbEUlllE1_EE10hipError_tPvRmT2_T3_mT4_P12ihipStream_tbEUlT_E_NS1_11comp_targetILNS1_3genE9ELNS1_11target_archE1100ELNS1_3gpuE3ELNS1_3repE0EEENS1_30default_config_static_selectorELNS0_4arch9wavefront6targetE0EEEvT1_,"axG",@progbits,_ZN7rocprim17ROCPRIM_400000_NS6detail17trampoline_kernelINS0_14default_configENS1_35adjacent_difference_config_selectorILb0ElEEZNS1_24adjacent_difference_implIS3_Lb0ELb0EPlS7_ZN2at6native12_GLOBAL__N_124unique_dim_cuda_templateImEESt5tupleIJNS8_6TensorESD_SD_EERKSD_lbbbEUlllE1_EE10hipError_tPvRmT2_T3_mT4_P12ihipStream_tbEUlT_E_NS1_11comp_targetILNS1_3genE9ELNS1_11target_archE1100ELNS1_3gpuE3ELNS1_3repE0EEENS1_30default_config_static_selectorELNS0_4arch9wavefront6targetE0EEEvT1_,comdat
	.globl	_ZN7rocprim17ROCPRIM_400000_NS6detail17trampoline_kernelINS0_14default_configENS1_35adjacent_difference_config_selectorILb0ElEEZNS1_24adjacent_difference_implIS3_Lb0ELb0EPlS7_ZN2at6native12_GLOBAL__N_124unique_dim_cuda_templateImEESt5tupleIJNS8_6TensorESD_SD_EERKSD_lbbbEUlllE1_EE10hipError_tPvRmT2_T3_mT4_P12ihipStream_tbEUlT_E_NS1_11comp_targetILNS1_3genE9ELNS1_11target_archE1100ELNS1_3gpuE3ELNS1_3repE0EEENS1_30default_config_static_selectorELNS0_4arch9wavefront6targetE0EEEvT1_ ; -- Begin function _ZN7rocprim17ROCPRIM_400000_NS6detail17trampoline_kernelINS0_14default_configENS1_35adjacent_difference_config_selectorILb0ElEEZNS1_24adjacent_difference_implIS3_Lb0ELb0EPlS7_ZN2at6native12_GLOBAL__N_124unique_dim_cuda_templateImEESt5tupleIJNS8_6TensorESD_SD_EERKSD_lbbbEUlllE1_EE10hipError_tPvRmT2_T3_mT4_P12ihipStream_tbEUlT_E_NS1_11comp_targetILNS1_3genE9ELNS1_11target_archE1100ELNS1_3gpuE3ELNS1_3repE0EEENS1_30default_config_static_selectorELNS0_4arch9wavefront6targetE0EEEvT1_
	.p2align	8
	.type	_ZN7rocprim17ROCPRIM_400000_NS6detail17trampoline_kernelINS0_14default_configENS1_35adjacent_difference_config_selectorILb0ElEEZNS1_24adjacent_difference_implIS3_Lb0ELb0EPlS7_ZN2at6native12_GLOBAL__N_124unique_dim_cuda_templateImEESt5tupleIJNS8_6TensorESD_SD_EERKSD_lbbbEUlllE1_EE10hipError_tPvRmT2_T3_mT4_P12ihipStream_tbEUlT_E_NS1_11comp_targetILNS1_3genE9ELNS1_11target_archE1100ELNS1_3gpuE3ELNS1_3repE0EEENS1_30default_config_static_selectorELNS0_4arch9wavefront6targetE0EEEvT1_,@function
_ZN7rocprim17ROCPRIM_400000_NS6detail17trampoline_kernelINS0_14default_configENS1_35adjacent_difference_config_selectorILb0ElEEZNS1_24adjacent_difference_implIS3_Lb0ELb0EPlS7_ZN2at6native12_GLOBAL__N_124unique_dim_cuda_templateImEESt5tupleIJNS8_6TensorESD_SD_EERKSD_lbbbEUlllE1_EE10hipError_tPvRmT2_T3_mT4_P12ihipStream_tbEUlT_E_NS1_11comp_targetILNS1_3genE9ELNS1_11target_archE1100ELNS1_3gpuE3ELNS1_3repE0EEENS1_30default_config_static_selectorELNS0_4arch9wavefront6targetE0EEEvT1_: ; @_ZN7rocprim17ROCPRIM_400000_NS6detail17trampoline_kernelINS0_14default_configENS1_35adjacent_difference_config_selectorILb0ElEEZNS1_24adjacent_difference_implIS3_Lb0ELb0EPlS7_ZN2at6native12_GLOBAL__N_124unique_dim_cuda_templateImEESt5tupleIJNS8_6TensorESD_SD_EERKSD_lbbbEUlllE1_EE10hipError_tPvRmT2_T3_mT4_P12ihipStream_tbEUlT_E_NS1_11comp_targetILNS1_3genE9ELNS1_11target_archE1100ELNS1_3gpuE3ELNS1_3repE0EEENS1_30default_config_static_selectorELNS0_4arch9wavefront6targetE0EEEvT1_
; %bb.0:
	s_clause 0x1
	s_load_b256 s[4:11], s[0:1], 0x0
	s_load_b64 s[18:19], s[0:1], 0x38
	s_mov_b32 s17, 0
	s_waitcnt lgkmcnt(0)
	s_lshl_b64 s[12:13], s[6:7], 3
	s_delay_alu instid0(SALU_CYCLE_1)
	s_add_u32 s20, s4, s12
	s_addc_u32 s21, s5, s13
	s_load_b128 s[4:7], s[0:1], 0x20
	s_and_b32 s16, s10, 0x1ff
	s_lshl_b32 s2, s15, 9
	s_lshr_b64 s[22:23], s[10:11], 9
	s_cmp_lg_u64 s[16:17], 0
	s_cselect_b32 s3, -1, 0
	s_delay_alu instid0(SALU_CYCLE_1) | instskip(NEXT) | instid1(VALU_DEP_1)
	v_cndmask_b32_e64 v1, 0, 1, s3
	v_readfirstlane_b32 s3, v1
	s_delay_alu instid0(VALU_DEP_1)
	s_add_u32 s16, s22, s3
	s_addc_u32 s17, s23, 0
	s_add_u32 s18, s18, s15
	s_addc_u32 s19, s19, 0
	s_add_u32 s14, s16, -1
	s_addc_u32 s15, s17, -1
	s_delay_alu instid0(SALU_CYCLE_1) | instskip(NEXT) | instid1(VALU_DEP_1)
	v_cmp_ge_u64_e64 s1, s[18:19], s[14:15]
	s_and_b32 vcc_lo, exec_lo, s1
	s_cbranch_vccz .LBB1642_4
; %bb.1:
	s_lshl_b32 s0, s14, 9
                                        ; implicit-def: $vgpr1_vgpr2
	s_delay_alu instid0(SALU_CYCLE_1) | instskip(NEXT) | instid1(SALU_CYCLE_1)
	s_sub_i32 s0, s10, s0
	v_cmp_gt_u32_e32 vcc_lo, s0, v0
	s_and_saveexec_b32 s0, vcc_lo
	s_cbranch_execz .LBB1642_3
; %bb.2:
	s_mov_b32 s3, 0
	v_lshlrev_b32_e32 v1, 3, v0
	s_lshl_b64 s[22:23], s[2:3], 3
	s_delay_alu instid0(SALU_CYCLE_1)
	s_add_u32 s22, s20, s22
	s_addc_u32 s23, s21, s23
	global_load_b64 v[1:2], v1, s[22:23]
.LBB1642_3:
	s_or_b32 exec_lo, exec_lo, s0
	v_lshlrev_b32_e32 v3, 3, v0
	s_waitcnt vmcnt(0)
	ds_store_b64 v3, v[1:2]
	s_waitcnt lgkmcnt(0)
	s_barrier
	v_lshlrev_b32_e32 v9, 3, v0
	s_branch .LBB1642_6
.LBB1642_4:
                                        ; implicit-def: $vgpr3
	v_lshlrev_b32_e32 v9, 3, v0
	s_cbranch_execz .LBB1642_6
; %bb.5:
	s_mov_b32 s3, 0
	s_delay_alu instid0(VALU_DEP_1) | instskip(SKIP_1) | instid1(SALU_CYCLE_1)
	v_mov_b32_e32 v3, v9
	s_lshl_b64 s[22:23], s[2:3], 3
	s_add_u32 s22, s20, s22
	s_addc_u32 s23, s21, s23
	global_load_b64 v[1:2], v9, s[22:23]
	s_waitcnt vmcnt(0)
	ds_store_b64 v9, v[1:2]
	s_waitcnt lgkmcnt(0)
	s_barrier
.LBB1642_6:
	s_waitcnt lgkmcnt(0)
	buffer_gl0_inv
	ds_load_b64 v[1:2], v3
	s_cmp_eq_u64 s[18:19], 0
	s_waitcnt lgkmcnt(0)
	s_barrier
	buffer_gl0_inv
	s_cbranch_scc1 .LBB1642_17
; %bb.7:
	s_mov_b32 s3, 0
	s_delay_alu instid0(SALU_CYCLE_1) | instskip(NEXT) | instid1(SALU_CYCLE_1)
	s_lshl_b64 s[22:23], s[2:3], 3
	s_add_u32 s0, s20, s22
	s_addc_u32 s11, s21, s23
	s_add_u32 s20, s0, -8
	s_addc_u32 s21, s11, -1
	s_cmp_lg_u64 s[18:19], s[14:15]
	s_load_b64 s[20:21], s[20:21], 0x0
	s_cbranch_scc0 .LBB1642_18
; %bb.8:
	s_waitcnt lgkmcnt(0)
	v_dual_mov_b32 v3, s20 :: v_dual_mov_b32 v4, s21
	s_mov_b32 s0, 0
	s_mov_b32 s3, exec_lo
	ds_store_b64 v9, v[1:2]
	s_waitcnt lgkmcnt(0)
	s_barrier
	buffer_gl0_inv
	v_cmpx_ne_u32_e32 0, v0
	s_cbranch_execz .LBB1642_10
; %bb.9:
	v_add_nc_u32_e32 v3, -8, v9
	ds_load_b64 v[3:4], v3
.LBB1642_10:
	s_or_b32 exec_lo, exec_lo, s3
	v_cmp_lt_i64_e64 s3, s[4:5], 1
	s_delay_alu instid0(VALU_DEP_1)
	s_and_b32 vcc_lo, exec_lo, s3
	s_cbranch_vccnz .LBB1642_21
; %bb.11:
	v_mul_lo_u32 v10, v2, s4
	v_mul_lo_u32 v11, v1, s5
	v_mad_u64_u32 v[5:6], null, v1, s4, 0
	s_waitcnt lgkmcnt(0)
	v_mul_lo_u32 v4, v4, s4
	v_mul_lo_u32 v12, v3, s5
	v_mad_u64_u32 v[7:8], null, v3, s4, 0
	s_mov_b32 s0, -1
	s_mov_b32 s3, exec_lo
	s_delay_alu instid0(VALU_DEP_4) | instskip(NEXT) | instid1(VALU_DEP_2)
	v_add3_u32 v6, v6, v11, v10
	v_add3_u32 v8, v8, v12, v4
	s_delay_alu instid0(VALU_DEP_2) | instskip(NEXT) | instid1(VALU_DEP_2)
	v_lshlrev_b64 v[3:4], 3, v[5:6]
	v_lshlrev_b64 v[7:8], 3, v[7:8]
	s_delay_alu instid0(VALU_DEP_2) | instskip(NEXT) | instid1(VALU_DEP_3)
	v_add_co_u32 v5, vcc_lo, s6, v3
	v_add_co_ci_u32_e32 v6, vcc_lo, s7, v4, vcc_lo
	s_delay_alu instid0(VALU_DEP_3) | instskip(NEXT) | instid1(VALU_DEP_4)
	v_add_co_u32 v3, vcc_lo, s6, v7
	v_add_co_ci_u32_e32 v4, vcc_lo, s7, v8, vcc_lo
	s_clause 0x1
	global_load_b64 v[7:8], v[5:6], off
	global_load_b64 v[10:11], v[3:4], off
	s_waitcnt vmcnt(0)
	v_cmpx_eq_u64_e64 v[7:8], v[10:11]
	s_cbranch_execz .LBB1642_20
; %bb.12:
	v_add_co_u32 v3, vcc_lo, v3, 8
	v_add_co_ci_u32_e32 v4, vcc_lo, 0, v4, vcc_lo
	v_add_co_u32 v5, vcc_lo, v5, 8
	v_add_co_ci_u32_e32 v6, vcc_lo, 0, v6, vcc_lo
	s_add_u32 s22, s4, -1
	s_addc_u32 s23, s5, -1
	s_mov_b64 s[24:25], 0
	s_mov_b32 s11, 0
                                        ; implicit-def: $sgpr15
	s_set_inst_prefetch_distance 0x1
	s_branch .LBB1642_15
	.p2align	6
.LBB1642_13:                            ;   in Loop: Header=BB1642_15 Depth=1
	global_load_b64 v[7:8], v[5:6], off
	global_load_b64 v[10:11], v[3:4], off
	v_add_co_u32 v3, vcc_lo, v3, 8
	v_add_co_ci_u32_e32 v4, vcc_lo, 0, v4, vcc_lo
	v_add_co_u32 v5, s0, v5, 8
	s_delay_alu instid0(VALU_DEP_1)
	v_add_co_ci_u32_e64 v6, s0, 0, v6, s0
	s_add_u32 s24, s24, 1
	s_addc_u32 s25, s25, 0
	s_and_not1_b32 s0, s15, exec_lo
	s_waitcnt vmcnt(0)
	v_cmp_ne_u64_e32 vcc_lo, v[7:8], v[10:11]
	s_and_b32 s15, vcc_lo, exec_lo
	s_delay_alu instid0(SALU_CYCLE_1)
	s_or_b32 s15, s0, s15
.LBB1642_14:                            ;   in Loop: Header=BB1642_15 Depth=1
	v_dual_mov_b32 v7, s24 :: v_dual_mov_b32 v8, s25
	s_and_b32 s0, exec_lo, s15
	s_delay_alu instid0(SALU_CYCLE_1) | instskip(NEXT) | instid1(SALU_CYCLE_1)
	s_or_b32 s11, s0, s11
	s_and_not1_b32 exec_lo, exec_lo, s11
	s_cbranch_execz .LBB1642_19
.LBB1642_15:                            ; =>This Inner Loop Header: Depth=1
	s_or_b32 s15, s15, exec_lo
	s_cmp_eq_u64 s[22:23], s[24:25]
	s_cbranch_scc0 .LBB1642_13
; %bb.16:                               ;   in Loop: Header=BB1642_15 Depth=1
	s_mov_b64 s[24:25], s[4:5]
                                        ; implicit-def: $vgpr3_vgpr4
                                        ; implicit-def: $vgpr5_vgpr6
	s_branch .LBB1642_14
.LBB1642_17:
	s_mov_b32 s3, 0
                                        ; implicit-def: $sgpr0
	s_cbranch_execnz .LBB1642_38
	s_branch .LBB1642_65
.LBB1642_18:
                                        ; implicit-def: $sgpr0
	s_cbranch_execnz .LBB1642_22
	s_branch .LBB1642_37
.LBB1642_19:
	s_set_inst_prefetch_distance 0x2
	s_or_b32 exec_lo, exec_lo, s11
	v_cmp_gt_i64_e32 vcc_lo, s[4:5], v[7:8]
	s_or_not1_b32 s0, vcc_lo, exec_lo
.LBB1642_20:
	s_or_b32 exec_lo, exec_lo, s3
.LBB1642_21:
	s_mov_b32 s3, -1
	s_branch .LBB1642_37
.LBB1642_22:
	s_waitcnt lgkmcnt(0)
	v_dual_mov_b32 v3, s20 :: v_dual_mov_b32 v4, s21
	s_mov_b32 s0, exec_lo
	ds_store_b64 v9, v[1:2]
	s_waitcnt lgkmcnt(0)
	s_barrier
	buffer_gl0_inv
	v_cmpx_ne_u32_e32 0, v0
	s_cbranch_execz .LBB1642_24
; %bb.23:
	v_add_nc_u32_e32 v3, -8, v9
	ds_load_b64 v[3:4], v3
.LBB1642_24:
	s_or_b32 exec_lo, exec_lo, s0
	s_lshl_b32 s0, s18, 9
	s_delay_alu instid0(SALU_CYCLE_1) | instskip(NEXT) | instid1(SALU_CYCLE_1)
	s_sub_i32 s0, s10, s0
	v_cmp_gt_u32_e32 vcc_lo, s0, v0
                                        ; implicit-def: $sgpr0
	s_and_saveexec_b32 s11, vcc_lo
	s_cbranch_execz .LBB1642_36
; %bb.25:
	v_cmp_lt_i64_e64 s0, s[4:5], 1
	s_delay_alu instid0(VALU_DEP_1)
	s_and_b32 vcc_lo, exec_lo, s0
	s_cbranch_vccnz .LBB1642_32
; %bb.26:
	v_mul_lo_u32 v10, v2, s4
	v_mul_lo_u32 v11, v1, s5
	v_mad_u64_u32 v[5:6], null, v1, s4, 0
	s_waitcnt lgkmcnt(0)
	v_mul_lo_u32 v4, v4, s4
	v_mul_lo_u32 v12, v3, s5
	v_mad_u64_u32 v[7:8], null, v3, s4, 0
	s_mov_b32 s0, -1
	s_mov_b32 s15, exec_lo
	s_delay_alu instid0(VALU_DEP_4) | instskip(NEXT) | instid1(VALU_DEP_2)
	v_add3_u32 v6, v6, v11, v10
	v_add3_u32 v8, v8, v12, v4
	s_delay_alu instid0(VALU_DEP_2) | instskip(NEXT) | instid1(VALU_DEP_2)
	v_lshlrev_b64 v[3:4], 3, v[5:6]
	v_lshlrev_b64 v[7:8], 3, v[7:8]
	s_delay_alu instid0(VALU_DEP_2) | instskip(NEXT) | instid1(VALU_DEP_3)
	v_add_co_u32 v5, vcc_lo, s6, v3
	v_add_co_ci_u32_e32 v6, vcc_lo, s7, v4, vcc_lo
	s_delay_alu instid0(VALU_DEP_3) | instskip(NEXT) | instid1(VALU_DEP_4)
	v_add_co_u32 v3, vcc_lo, s6, v7
	v_add_co_ci_u32_e32 v4, vcc_lo, s7, v8, vcc_lo
	s_clause 0x1
	global_load_b64 v[7:8], v[5:6], off
	global_load_b64 v[10:11], v[3:4], off
	s_waitcnt vmcnt(0)
	v_cmpx_eq_u64_e64 v[7:8], v[10:11]
	s_cbranch_execz .LBB1642_34
; %bb.27:
	v_add_co_u32 v3, vcc_lo, v3, 8
	v_add_co_ci_u32_e32 v4, vcc_lo, 0, v4, vcc_lo
	v_add_co_u32 v5, vcc_lo, v5, 8
	v_add_co_ci_u32_e32 v6, vcc_lo, 0, v6, vcc_lo
	s_add_u32 s18, s4, -1
	s_addc_u32 s19, s5, -1
	s_mov_b64 s[20:21], 0
	s_mov_b32 s22, 0
                                        ; implicit-def: $sgpr23
	s_set_inst_prefetch_distance 0x1
	s_branch .LBB1642_30
	.p2align	6
.LBB1642_28:                            ;   in Loop: Header=BB1642_30 Depth=1
	global_load_b64 v[7:8], v[5:6], off
	global_load_b64 v[10:11], v[3:4], off
	v_add_co_u32 v3, vcc_lo, v3, 8
	v_add_co_ci_u32_e32 v4, vcc_lo, 0, v4, vcc_lo
	v_add_co_u32 v5, s0, v5, 8
	s_delay_alu instid0(VALU_DEP_1)
	v_add_co_ci_u32_e64 v6, s0, 0, v6, s0
	s_add_u32 s20, s20, 1
	s_addc_u32 s21, s21, 0
	s_and_not1_b32 s0, s23, exec_lo
	s_waitcnt vmcnt(0)
	v_cmp_ne_u64_e32 vcc_lo, v[7:8], v[10:11]
	s_and_b32 s23, vcc_lo, exec_lo
	s_delay_alu instid0(SALU_CYCLE_1)
	s_or_b32 s23, s0, s23
.LBB1642_29:                            ;   in Loop: Header=BB1642_30 Depth=1
	v_dual_mov_b32 v7, s20 :: v_dual_mov_b32 v8, s21
	s_and_b32 s0, exec_lo, s23
	s_delay_alu instid0(SALU_CYCLE_1) | instskip(NEXT) | instid1(SALU_CYCLE_1)
	s_or_b32 s22, s0, s22
	s_and_not1_b32 exec_lo, exec_lo, s22
	s_cbranch_execz .LBB1642_33
.LBB1642_30:                            ; =>This Inner Loop Header: Depth=1
	s_or_b32 s23, s23, exec_lo
	s_cmp_eq_u64 s[18:19], s[20:21]
	s_cbranch_scc0 .LBB1642_28
; %bb.31:                               ;   in Loop: Header=BB1642_30 Depth=1
	s_mov_b64 s[20:21], s[4:5]
                                        ; implicit-def: $vgpr3_vgpr4
                                        ; implicit-def: $vgpr5_vgpr6
	s_branch .LBB1642_29
.LBB1642_32:
	s_mov_b32 s0, 0
	s_branch .LBB1642_35
.LBB1642_33:
	s_set_inst_prefetch_distance 0x2
	s_or_b32 exec_lo, exec_lo, s22
	v_cmp_gt_i64_e32 vcc_lo, s[4:5], v[7:8]
	s_or_not1_b32 s0, vcc_lo, exec_lo
.LBB1642_34:
	s_or_b32 exec_lo, exec_lo, s15
.LBB1642_35:
	s_delay_alu instid0(SALU_CYCLE_1)
	s_and_b32 s0, s0, exec_lo
	s_or_b32 s3, s3, exec_lo
.LBB1642_36:
	s_or_b32 exec_lo, exec_lo, s11
.LBB1642_37:
	s_branch .LBB1642_65
.LBB1642_38:
	s_cmp_lg_u64 s[16:17], 1
	s_cbranch_scc0 .LBB1642_47
; %bb.39:
	s_mov_b32 s11, 0
	s_mov_b32 s15, exec_lo
	ds_store_b64 v9, v[1:2]
	s_waitcnt lgkmcnt(0)
	s_barrier
	buffer_gl0_inv
                                        ; implicit-def: $sgpr0
	v_cmpx_ne_u32_e32 0, v0
	s_cbranch_execz .LBB1642_48
; %bb.40:
	v_cmp_lt_i64_e64 s0, s[4:5], 1
	s_delay_alu instid0(VALU_DEP_1)
	s_and_b32 vcc_lo, exec_lo, s0
	s_cbranch_vccnz .LBB1642_49
; %bb.41:
	v_add_nc_u32_e32 v3, -8, v9
	v_mul_lo_u32 v10, v2, s4
	v_mul_lo_u32 v11, v1, s5
	v_mad_u64_u32 v[5:6], null, v1, s4, 0
	ds_load_b64 v[3:4], v3
	s_mov_b32 s0, -1
	s_mov_b32 s20, exec_lo
	v_add3_u32 v6, v6, v11, v10
	s_waitcnt lgkmcnt(0)
	v_mul_lo_u32 v4, v4, s4
	v_mul_lo_u32 v12, v3, s5
	v_mad_u64_u32 v[7:8], null, v3, s4, 0
	s_delay_alu instid0(VALU_DEP_1) | instskip(SKIP_1) | instid1(VALU_DEP_2)
	v_add3_u32 v8, v8, v12, v4
	v_lshlrev_b64 v[3:4], 3, v[5:6]
	v_lshlrev_b64 v[7:8], 3, v[7:8]
	s_delay_alu instid0(VALU_DEP_2) | instskip(NEXT) | instid1(VALU_DEP_3)
	v_add_co_u32 v5, vcc_lo, s6, v3
	v_add_co_ci_u32_e32 v6, vcc_lo, s7, v4, vcc_lo
	s_delay_alu instid0(VALU_DEP_3) | instskip(NEXT) | instid1(VALU_DEP_4)
	v_add_co_u32 v3, vcc_lo, s6, v7
	v_add_co_ci_u32_e32 v4, vcc_lo, s7, v8, vcc_lo
	s_clause 0x1
	global_load_b64 v[7:8], v[5:6], off
	global_load_b64 v[10:11], v[3:4], off
	s_waitcnt vmcnt(0)
	v_cmpx_eq_u64_e64 v[7:8], v[10:11]
	s_cbranch_execz .LBB1642_51
; %bb.42:
	v_add_co_u32 v3, vcc_lo, v3, 8
	v_add_co_ci_u32_e32 v4, vcc_lo, 0, v4, vcc_lo
	v_add_co_u32 v5, vcc_lo, v5, 8
	v_add_co_ci_u32_e32 v6, vcc_lo, 0, v6, vcc_lo
	s_add_u32 s16, s4, -1
	s_addc_u32 s17, s5, -1
	s_mov_b64 s[18:19], 0
	s_mov_b32 s21, 0
                                        ; implicit-def: $sgpr22
	s_set_inst_prefetch_distance 0x1
	s_branch .LBB1642_45
	.p2align	6
.LBB1642_43:                            ;   in Loop: Header=BB1642_45 Depth=1
	global_load_b64 v[7:8], v[5:6], off
	global_load_b64 v[10:11], v[3:4], off
	v_add_co_u32 v3, vcc_lo, v3, 8
	v_add_co_ci_u32_e32 v4, vcc_lo, 0, v4, vcc_lo
	v_add_co_u32 v5, s0, v5, 8
	s_delay_alu instid0(VALU_DEP_1)
	v_add_co_ci_u32_e64 v6, s0, 0, v6, s0
	s_add_u32 s18, s18, 1
	s_addc_u32 s19, s19, 0
	s_and_not1_b32 s0, s22, exec_lo
	s_waitcnt vmcnt(0)
	v_cmp_ne_u64_e32 vcc_lo, v[7:8], v[10:11]
	s_and_b32 s22, vcc_lo, exec_lo
	s_delay_alu instid0(SALU_CYCLE_1)
	s_or_b32 s22, s0, s22
.LBB1642_44:                            ;   in Loop: Header=BB1642_45 Depth=1
	v_dual_mov_b32 v7, s18 :: v_dual_mov_b32 v8, s19
	s_and_b32 s0, exec_lo, s22
	s_delay_alu instid0(SALU_CYCLE_1) | instskip(NEXT) | instid1(SALU_CYCLE_1)
	s_or_b32 s21, s0, s21
	s_and_not1_b32 exec_lo, exec_lo, s21
	s_cbranch_execz .LBB1642_50
.LBB1642_45:                            ; =>This Inner Loop Header: Depth=1
	s_or_b32 s22, s22, exec_lo
	s_cmp_eq_u64 s[16:17], s[18:19]
	s_cbranch_scc0 .LBB1642_43
; %bb.46:                               ;   in Loop: Header=BB1642_45 Depth=1
	s_mov_b64 s[18:19], s[4:5]
                                        ; implicit-def: $vgpr3_vgpr4
                                        ; implicit-def: $vgpr5_vgpr6
	s_branch .LBB1642_44
.LBB1642_47:
                                        ; implicit-def: $sgpr0
	s_cbranch_execnz .LBB1642_53
	s_branch .LBB1642_65
.LBB1642_48:
	s_or_b32 exec_lo, exec_lo, s15
	s_delay_alu instid0(SALU_CYCLE_1)
	s_and_b32 vcc_lo, exec_lo, s11
	s_cbranch_vccnz .LBB1642_53
	s_branch .LBB1642_65
.LBB1642_49:
	s_mov_b32 s0, 0
	s_branch .LBB1642_52
.LBB1642_50:
	s_set_inst_prefetch_distance 0x2
	s_or_b32 exec_lo, exec_lo, s21
	v_cmp_gt_i64_e32 vcc_lo, s[4:5], v[7:8]
	s_or_not1_b32 s0, vcc_lo, exec_lo
.LBB1642_51:
	s_or_b32 exec_lo, exec_lo, s20
.LBB1642_52:
	s_delay_alu instid0(SALU_CYCLE_1) | instskip(SKIP_2) | instid1(SALU_CYCLE_1)
	s_and_b32 s0, s0, exec_lo
	s_or_b32 s3, s3, exec_lo
	s_or_b32 exec_lo, exec_lo, s15
	s_and_b32 vcc_lo, exec_lo, s11
	s_cbranch_vccz .LBB1642_65
.LBB1642_53:
	v_cmp_ne_u32_e32 vcc_lo, 0, v0
	v_cmp_gt_u32_e64 s0, s10, v0
	s_mov_b32 s16, 0
	ds_store_b64 v9, v[1:2]
	s_waitcnt lgkmcnt(0)
	s_barrier
	s_and_b32 s15, vcc_lo, s0
	buffer_gl0_inv
                                        ; implicit-def: $sgpr0
	s_and_saveexec_b32 s11, s15
	s_cbranch_execz .LBB1642_64
; %bb.54:
	v_cmp_lt_i64_e64 s0, s[4:5], 1
	s_delay_alu instid0(VALU_DEP_1)
	s_and_b32 vcc_lo, exec_lo, s0
	s_cbranch_vccnz .LBB1642_63
; %bb.55:
	v_add_nc_u32_e32 v3, -8, v9
	v_mul_lo_u32 v7, v2, s4
	v_mul_lo_u32 v8, v1, s5
	v_mad_u64_u32 v[5:6], null, v1, s4, 0
	ds_load_b64 v[3:4], v3
	s_mov_b32 s16, -1
	s_mov_b32 s15, exec_lo
	v_add3_u32 v6, v6, v8, v7
	s_waitcnt lgkmcnt(0)
	v_mul_lo_u32 v4, v4, s4
	v_mul_lo_u32 v10, v3, s5
	v_mad_u64_u32 v[1:2], null, v3, s4, 0
	s_delay_alu instid0(VALU_DEP_1) | instskip(SKIP_1) | instid1(VALU_DEP_2)
	v_add3_u32 v2, v2, v10, v4
	v_lshlrev_b64 v[3:4], 3, v[5:6]
	v_lshlrev_b64 v[1:2], 3, v[1:2]
	s_delay_alu instid0(VALU_DEP_2) | instskip(NEXT) | instid1(VALU_DEP_3)
	v_add_co_u32 v3, vcc_lo, s6, v3
	v_add_co_ci_u32_e32 v4, vcc_lo, s7, v4, vcc_lo
	s_delay_alu instid0(VALU_DEP_3) | instskip(NEXT) | instid1(VALU_DEP_4)
	v_add_co_u32 v1, vcc_lo, s6, v1
	v_add_co_ci_u32_e32 v2, vcc_lo, s7, v2, vcc_lo
	s_clause 0x1
	global_load_b64 v[5:6], v[3:4], off
	global_load_b64 v[7:8], v[1:2], off
	s_waitcnt vmcnt(0)
	v_cmpx_eq_u64_e64 v[5:6], v[7:8]
	s_cbranch_execz .LBB1642_62
; %bb.56:
	v_add_co_u32 v1, vcc_lo, v1, 8
	v_add_co_ci_u32_e32 v2, vcc_lo, 0, v2, vcc_lo
	v_add_co_u32 v3, vcc_lo, v3, 8
	v_add_co_ci_u32_e32 v4, vcc_lo, 0, v4, vcc_lo
	s_add_u32 s6, s4, -1
	s_addc_u32 s7, s5, -1
	s_mov_b64 s[16:17], 0
	s_mov_b32 s18, 0
                                        ; implicit-def: $sgpr19
	s_set_inst_prefetch_distance 0x1
	s_branch .LBB1642_59
	.p2align	6
.LBB1642_57:                            ;   in Loop: Header=BB1642_59 Depth=1
	global_load_b64 v[5:6], v[3:4], off
	global_load_b64 v[7:8], v[1:2], off
	v_add_co_u32 v1, vcc_lo, v1, 8
	v_add_co_ci_u32_e32 v2, vcc_lo, 0, v2, vcc_lo
	v_add_co_u32 v3, s0, v3, 8
	s_delay_alu instid0(VALU_DEP_1)
	v_add_co_ci_u32_e64 v4, s0, 0, v4, s0
	s_add_u32 s16, s16, 1
	s_addc_u32 s17, s17, 0
	s_and_not1_b32 s0, s19, exec_lo
	s_waitcnt vmcnt(0)
	v_cmp_ne_u64_e32 vcc_lo, v[5:6], v[7:8]
	s_and_b32 s19, vcc_lo, exec_lo
	s_delay_alu instid0(SALU_CYCLE_1)
	s_or_b32 s19, s0, s19
.LBB1642_58:                            ;   in Loop: Header=BB1642_59 Depth=1
	v_dual_mov_b32 v5, s16 :: v_dual_mov_b32 v6, s17
	s_and_b32 s0, exec_lo, s19
	s_delay_alu instid0(SALU_CYCLE_1) | instskip(NEXT) | instid1(SALU_CYCLE_1)
	s_or_b32 s18, s0, s18
	s_and_not1_b32 exec_lo, exec_lo, s18
	s_cbranch_execz .LBB1642_61
.LBB1642_59:                            ; =>This Inner Loop Header: Depth=1
	s_or_b32 s19, s19, exec_lo
	s_cmp_eq_u64 s[6:7], s[16:17]
	s_cbranch_scc0 .LBB1642_57
; %bb.60:                               ;   in Loop: Header=BB1642_59 Depth=1
	s_mov_b64 s[16:17], s[4:5]
                                        ; implicit-def: $vgpr1_vgpr2
                                        ; implicit-def: $vgpr3_vgpr4
	s_branch .LBB1642_58
.LBB1642_61:
	s_set_inst_prefetch_distance 0x2
	s_or_b32 exec_lo, exec_lo, s18
	v_cmp_gt_i64_e32 vcc_lo, s[4:5], v[5:6]
	s_or_not1_b32 s16, vcc_lo, exec_lo
.LBB1642_62:
	s_or_b32 exec_lo, exec_lo, s15
.LBB1642_63:
	s_delay_alu instid0(SALU_CYCLE_1)
	s_and_b32 s0, s16, exec_lo
	s_or_b32 s3, s3, exec_lo
                                        ; implicit-def: $vgpr1_vgpr2
.LBB1642_64:
	s_or_b32 exec_lo, exec_lo, s11
.LBB1642_65:
	s_and_saveexec_b32 s4, s3
; %bb.66:
	s_mov_b32 s3, 0
	v_cndmask_b32_e64 v1, 0, 1, s0
	v_mov_b32_e32 v2, s3
; %bb.67:
	s_or_b32 exec_lo, exec_lo, s4
	s_add_u32 s0, s8, s12
	s_addc_u32 s4, s9, s13
	s_and_b32 vcc_lo, exec_lo, s1
	s_mov_b32 s1, -1
	s_waitcnt lgkmcnt(0)
	s_barrier
	buffer_gl0_inv
	s_cbranch_vccnz .LBB1642_70
; %bb.68:
	s_and_not1_b32 vcc_lo, exec_lo, s1
	s_cbranch_vccz .LBB1642_73
.LBB1642_69:
	s_nop 0
	s_sendmsg sendmsg(MSG_DEALLOC_VGPRS)
	s_endpgm
.LBB1642_70:
	s_lshl_b32 s1, s14, 9
	ds_store_b64 v9, v[1:2]
	s_sub_i32 s1, s10, s1
	s_waitcnt lgkmcnt(0)
	v_cmp_gt_u32_e32 vcc_lo, s1, v0
	s_barrier
	buffer_gl0_inv
	s_and_saveexec_b32 s1, vcc_lo
	s_cbranch_execz .LBB1642_72
; %bb.71:
	ds_load_b64 v[3:4], v9
	s_mov_b32 s3, 0
	s_delay_alu instid0(SALU_CYCLE_1) | instskip(NEXT) | instid1(SALU_CYCLE_1)
	s_lshl_b64 s[6:7], s[2:3], 3
	s_add_u32 s6, s0, s6
	s_addc_u32 s7, s4, s7
	s_waitcnt lgkmcnt(0)
	global_store_b64 v9, v[3:4], s[6:7]
.LBB1642_72:
	s_or_b32 exec_lo, exec_lo, s1
	s_cbranch_execnz .LBB1642_69
.LBB1642_73:
	ds_store_b64 v9, v[1:2]
	s_waitcnt lgkmcnt(0)
	s_waitcnt_vscnt null, 0x0
	s_barrier
	buffer_gl0_inv
	ds_load_b64 v[0:1], v9
	s_mov_b32 s3, 0
	s_delay_alu instid0(SALU_CYCLE_1) | instskip(NEXT) | instid1(SALU_CYCLE_1)
	s_lshl_b64 s[2:3], s[2:3], 3
	s_add_u32 s0, s0, s2
	s_addc_u32 s1, s4, s3
	s_waitcnt lgkmcnt(0)
	global_store_b64 v9, v[0:1], s[0:1]
	s_nop 0
	s_sendmsg sendmsg(MSG_DEALLOC_VGPRS)
	s_endpgm
	.section	.rodata,"a",@progbits
	.p2align	6, 0x0
	.amdhsa_kernel _ZN7rocprim17ROCPRIM_400000_NS6detail17trampoline_kernelINS0_14default_configENS1_35adjacent_difference_config_selectorILb0ElEEZNS1_24adjacent_difference_implIS3_Lb0ELb0EPlS7_ZN2at6native12_GLOBAL__N_124unique_dim_cuda_templateImEESt5tupleIJNS8_6TensorESD_SD_EERKSD_lbbbEUlllE1_EE10hipError_tPvRmT2_T3_mT4_P12ihipStream_tbEUlT_E_NS1_11comp_targetILNS1_3genE9ELNS1_11target_archE1100ELNS1_3gpuE3ELNS1_3repE0EEENS1_30default_config_static_selectorELNS0_4arch9wavefront6targetE0EEEvT1_
		.amdhsa_group_segment_fixed_size 8192
		.amdhsa_private_segment_fixed_size 0
		.amdhsa_kernarg_size 64
		.amdhsa_user_sgpr_count 15
		.amdhsa_user_sgpr_dispatch_ptr 0
		.amdhsa_user_sgpr_queue_ptr 0
		.amdhsa_user_sgpr_kernarg_segment_ptr 1
		.amdhsa_user_sgpr_dispatch_id 0
		.amdhsa_user_sgpr_private_segment_size 0
		.amdhsa_wavefront_size32 1
		.amdhsa_uses_dynamic_stack 0
		.amdhsa_enable_private_segment 0
		.amdhsa_system_sgpr_workgroup_id_x 1
		.amdhsa_system_sgpr_workgroup_id_y 0
		.amdhsa_system_sgpr_workgroup_id_z 0
		.amdhsa_system_sgpr_workgroup_info 0
		.amdhsa_system_vgpr_workitem_id 0
		.amdhsa_next_free_vgpr 13
		.amdhsa_next_free_sgpr 26
		.amdhsa_reserve_vcc 1
		.amdhsa_float_round_mode_32 0
		.amdhsa_float_round_mode_16_64 0
		.amdhsa_float_denorm_mode_32 3
		.amdhsa_float_denorm_mode_16_64 3
		.amdhsa_dx10_clamp 1
		.amdhsa_ieee_mode 1
		.amdhsa_fp16_overflow 0
		.amdhsa_workgroup_processor_mode 1
		.amdhsa_memory_ordered 1
		.amdhsa_forward_progress 0
		.amdhsa_shared_vgpr_count 0
		.amdhsa_exception_fp_ieee_invalid_op 0
		.amdhsa_exception_fp_denorm_src 0
		.amdhsa_exception_fp_ieee_div_zero 0
		.amdhsa_exception_fp_ieee_overflow 0
		.amdhsa_exception_fp_ieee_underflow 0
		.amdhsa_exception_fp_ieee_inexact 0
		.amdhsa_exception_int_div_zero 0
	.end_amdhsa_kernel
	.section	.text._ZN7rocprim17ROCPRIM_400000_NS6detail17trampoline_kernelINS0_14default_configENS1_35adjacent_difference_config_selectorILb0ElEEZNS1_24adjacent_difference_implIS3_Lb0ELb0EPlS7_ZN2at6native12_GLOBAL__N_124unique_dim_cuda_templateImEESt5tupleIJNS8_6TensorESD_SD_EERKSD_lbbbEUlllE1_EE10hipError_tPvRmT2_T3_mT4_P12ihipStream_tbEUlT_E_NS1_11comp_targetILNS1_3genE9ELNS1_11target_archE1100ELNS1_3gpuE3ELNS1_3repE0EEENS1_30default_config_static_selectorELNS0_4arch9wavefront6targetE0EEEvT1_,"axG",@progbits,_ZN7rocprim17ROCPRIM_400000_NS6detail17trampoline_kernelINS0_14default_configENS1_35adjacent_difference_config_selectorILb0ElEEZNS1_24adjacent_difference_implIS3_Lb0ELb0EPlS7_ZN2at6native12_GLOBAL__N_124unique_dim_cuda_templateImEESt5tupleIJNS8_6TensorESD_SD_EERKSD_lbbbEUlllE1_EE10hipError_tPvRmT2_T3_mT4_P12ihipStream_tbEUlT_E_NS1_11comp_targetILNS1_3genE9ELNS1_11target_archE1100ELNS1_3gpuE3ELNS1_3repE0EEENS1_30default_config_static_selectorELNS0_4arch9wavefront6targetE0EEEvT1_,comdat
.Lfunc_end1642:
	.size	_ZN7rocprim17ROCPRIM_400000_NS6detail17trampoline_kernelINS0_14default_configENS1_35adjacent_difference_config_selectorILb0ElEEZNS1_24adjacent_difference_implIS3_Lb0ELb0EPlS7_ZN2at6native12_GLOBAL__N_124unique_dim_cuda_templateImEESt5tupleIJNS8_6TensorESD_SD_EERKSD_lbbbEUlllE1_EE10hipError_tPvRmT2_T3_mT4_P12ihipStream_tbEUlT_E_NS1_11comp_targetILNS1_3genE9ELNS1_11target_archE1100ELNS1_3gpuE3ELNS1_3repE0EEENS1_30default_config_static_selectorELNS0_4arch9wavefront6targetE0EEEvT1_, .Lfunc_end1642-_ZN7rocprim17ROCPRIM_400000_NS6detail17trampoline_kernelINS0_14default_configENS1_35adjacent_difference_config_selectorILb0ElEEZNS1_24adjacent_difference_implIS3_Lb0ELb0EPlS7_ZN2at6native12_GLOBAL__N_124unique_dim_cuda_templateImEESt5tupleIJNS8_6TensorESD_SD_EERKSD_lbbbEUlllE1_EE10hipError_tPvRmT2_T3_mT4_P12ihipStream_tbEUlT_E_NS1_11comp_targetILNS1_3genE9ELNS1_11target_archE1100ELNS1_3gpuE3ELNS1_3repE0EEENS1_30default_config_static_selectorELNS0_4arch9wavefront6targetE0EEEvT1_
                                        ; -- End function
	.section	.AMDGPU.csdata,"",@progbits
; Kernel info:
; codeLenInByte = 2572
; NumSgprs: 28
; NumVgprs: 13
; ScratchSize: 0
; MemoryBound: 1
; FloatMode: 240
; IeeeMode: 1
; LDSByteSize: 8192 bytes/workgroup (compile time only)
; SGPRBlocks: 3
; VGPRBlocks: 1
; NumSGPRsForWavesPerEU: 28
; NumVGPRsForWavesPerEU: 13
; Occupancy: 16
; WaveLimiterHint : 0
; COMPUTE_PGM_RSRC2:SCRATCH_EN: 0
; COMPUTE_PGM_RSRC2:USER_SGPR: 15
; COMPUTE_PGM_RSRC2:TRAP_HANDLER: 0
; COMPUTE_PGM_RSRC2:TGID_X_EN: 1
; COMPUTE_PGM_RSRC2:TGID_Y_EN: 0
; COMPUTE_PGM_RSRC2:TGID_Z_EN: 0
; COMPUTE_PGM_RSRC2:TIDIG_COMP_CNT: 0
	.section	.text._ZN7rocprim17ROCPRIM_400000_NS6detail17trampoline_kernelINS0_14default_configENS1_35adjacent_difference_config_selectorILb0ElEEZNS1_24adjacent_difference_implIS3_Lb0ELb0EPlS7_ZN2at6native12_GLOBAL__N_124unique_dim_cuda_templateImEESt5tupleIJNS8_6TensorESD_SD_EERKSD_lbbbEUlllE1_EE10hipError_tPvRmT2_T3_mT4_P12ihipStream_tbEUlT_E_NS1_11comp_targetILNS1_3genE8ELNS1_11target_archE1030ELNS1_3gpuE2ELNS1_3repE0EEENS1_30default_config_static_selectorELNS0_4arch9wavefront6targetE0EEEvT1_,"axG",@progbits,_ZN7rocprim17ROCPRIM_400000_NS6detail17trampoline_kernelINS0_14default_configENS1_35adjacent_difference_config_selectorILb0ElEEZNS1_24adjacent_difference_implIS3_Lb0ELb0EPlS7_ZN2at6native12_GLOBAL__N_124unique_dim_cuda_templateImEESt5tupleIJNS8_6TensorESD_SD_EERKSD_lbbbEUlllE1_EE10hipError_tPvRmT2_T3_mT4_P12ihipStream_tbEUlT_E_NS1_11comp_targetILNS1_3genE8ELNS1_11target_archE1030ELNS1_3gpuE2ELNS1_3repE0EEENS1_30default_config_static_selectorELNS0_4arch9wavefront6targetE0EEEvT1_,comdat
	.globl	_ZN7rocprim17ROCPRIM_400000_NS6detail17trampoline_kernelINS0_14default_configENS1_35adjacent_difference_config_selectorILb0ElEEZNS1_24adjacent_difference_implIS3_Lb0ELb0EPlS7_ZN2at6native12_GLOBAL__N_124unique_dim_cuda_templateImEESt5tupleIJNS8_6TensorESD_SD_EERKSD_lbbbEUlllE1_EE10hipError_tPvRmT2_T3_mT4_P12ihipStream_tbEUlT_E_NS1_11comp_targetILNS1_3genE8ELNS1_11target_archE1030ELNS1_3gpuE2ELNS1_3repE0EEENS1_30default_config_static_selectorELNS0_4arch9wavefront6targetE0EEEvT1_ ; -- Begin function _ZN7rocprim17ROCPRIM_400000_NS6detail17trampoline_kernelINS0_14default_configENS1_35adjacent_difference_config_selectorILb0ElEEZNS1_24adjacent_difference_implIS3_Lb0ELb0EPlS7_ZN2at6native12_GLOBAL__N_124unique_dim_cuda_templateImEESt5tupleIJNS8_6TensorESD_SD_EERKSD_lbbbEUlllE1_EE10hipError_tPvRmT2_T3_mT4_P12ihipStream_tbEUlT_E_NS1_11comp_targetILNS1_3genE8ELNS1_11target_archE1030ELNS1_3gpuE2ELNS1_3repE0EEENS1_30default_config_static_selectorELNS0_4arch9wavefront6targetE0EEEvT1_
	.p2align	8
	.type	_ZN7rocprim17ROCPRIM_400000_NS6detail17trampoline_kernelINS0_14default_configENS1_35adjacent_difference_config_selectorILb0ElEEZNS1_24adjacent_difference_implIS3_Lb0ELb0EPlS7_ZN2at6native12_GLOBAL__N_124unique_dim_cuda_templateImEESt5tupleIJNS8_6TensorESD_SD_EERKSD_lbbbEUlllE1_EE10hipError_tPvRmT2_T3_mT4_P12ihipStream_tbEUlT_E_NS1_11comp_targetILNS1_3genE8ELNS1_11target_archE1030ELNS1_3gpuE2ELNS1_3repE0EEENS1_30default_config_static_selectorELNS0_4arch9wavefront6targetE0EEEvT1_,@function
_ZN7rocprim17ROCPRIM_400000_NS6detail17trampoline_kernelINS0_14default_configENS1_35adjacent_difference_config_selectorILb0ElEEZNS1_24adjacent_difference_implIS3_Lb0ELb0EPlS7_ZN2at6native12_GLOBAL__N_124unique_dim_cuda_templateImEESt5tupleIJNS8_6TensorESD_SD_EERKSD_lbbbEUlllE1_EE10hipError_tPvRmT2_T3_mT4_P12ihipStream_tbEUlT_E_NS1_11comp_targetILNS1_3genE8ELNS1_11target_archE1030ELNS1_3gpuE2ELNS1_3repE0EEENS1_30default_config_static_selectorELNS0_4arch9wavefront6targetE0EEEvT1_: ; @_ZN7rocprim17ROCPRIM_400000_NS6detail17trampoline_kernelINS0_14default_configENS1_35adjacent_difference_config_selectorILb0ElEEZNS1_24adjacent_difference_implIS3_Lb0ELb0EPlS7_ZN2at6native12_GLOBAL__N_124unique_dim_cuda_templateImEESt5tupleIJNS8_6TensorESD_SD_EERKSD_lbbbEUlllE1_EE10hipError_tPvRmT2_T3_mT4_P12ihipStream_tbEUlT_E_NS1_11comp_targetILNS1_3genE8ELNS1_11target_archE1030ELNS1_3gpuE2ELNS1_3repE0EEENS1_30default_config_static_selectorELNS0_4arch9wavefront6targetE0EEEvT1_
; %bb.0:
	.section	.rodata,"a",@progbits
	.p2align	6, 0x0
	.amdhsa_kernel _ZN7rocprim17ROCPRIM_400000_NS6detail17trampoline_kernelINS0_14default_configENS1_35adjacent_difference_config_selectorILb0ElEEZNS1_24adjacent_difference_implIS3_Lb0ELb0EPlS7_ZN2at6native12_GLOBAL__N_124unique_dim_cuda_templateImEESt5tupleIJNS8_6TensorESD_SD_EERKSD_lbbbEUlllE1_EE10hipError_tPvRmT2_T3_mT4_P12ihipStream_tbEUlT_E_NS1_11comp_targetILNS1_3genE8ELNS1_11target_archE1030ELNS1_3gpuE2ELNS1_3repE0EEENS1_30default_config_static_selectorELNS0_4arch9wavefront6targetE0EEEvT1_
		.amdhsa_group_segment_fixed_size 0
		.amdhsa_private_segment_fixed_size 0
		.amdhsa_kernarg_size 64
		.amdhsa_user_sgpr_count 15
		.amdhsa_user_sgpr_dispatch_ptr 0
		.amdhsa_user_sgpr_queue_ptr 0
		.amdhsa_user_sgpr_kernarg_segment_ptr 1
		.amdhsa_user_sgpr_dispatch_id 0
		.amdhsa_user_sgpr_private_segment_size 0
		.amdhsa_wavefront_size32 1
		.amdhsa_uses_dynamic_stack 0
		.amdhsa_enable_private_segment 0
		.amdhsa_system_sgpr_workgroup_id_x 1
		.amdhsa_system_sgpr_workgroup_id_y 0
		.amdhsa_system_sgpr_workgroup_id_z 0
		.amdhsa_system_sgpr_workgroup_info 0
		.amdhsa_system_vgpr_workitem_id 0
		.amdhsa_next_free_vgpr 1
		.amdhsa_next_free_sgpr 1
		.amdhsa_reserve_vcc 0
		.amdhsa_float_round_mode_32 0
		.amdhsa_float_round_mode_16_64 0
		.amdhsa_float_denorm_mode_32 3
		.amdhsa_float_denorm_mode_16_64 3
		.amdhsa_dx10_clamp 1
		.amdhsa_ieee_mode 1
		.amdhsa_fp16_overflow 0
		.amdhsa_workgroup_processor_mode 1
		.amdhsa_memory_ordered 1
		.amdhsa_forward_progress 0
		.amdhsa_shared_vgpr_count 0
		.amdhsa_exception_fp_ieee_invalid_op 0
		.amdhsa_exception_fp_denorm_src 0
		.amdhsa_exception_fp_ieee_div_zero 0
		.amdhsa_exception_fp_ieee_overflow 0
		.amdhsa_exception_fp_ieee_underflow 0
		.amdhsa_exception_fp_ieee_inexact 0
		.amdhsa_exception_int_div_zero 0
	.end_amdhsa_kernel
	.section	.text._ZN7rocprim17ROCPRIM_400000_NS6detail17trampoline_kernelINS0_14default_configENS1_35adjacent_difference_config_selectorILb0ElEEZNS1_24adjacent_difference_implIS3_Lb0ELb0EPlS7_ZN2at6native12_GLOBAL__N_124unique_dim_cuda_templateImEESt5tupleIJNS8_6TensorESD_SD_EERKSD_lbbbEUlllE1_EE10hipError_tPvRmT2_T3_mT4_P12ihipStream_tbEUlT_E_NS1_11comp_targetILNS1_3genE8ELNS1_11target_archE1030ELNS1_3gpuE2ELNS1_3repE0EEENS1_30default_config_static_selectorELNS0_4arch9wavefront6targetE0EEEvT1_,"axG",@progbits,_ZN7rocprim17ROCPRIM_400000_NS6detail17trampoline_kernelINS0_14default_configENS1_35adjacent_difference_config_selectorILb0ElEEZNS1_24adjacent_difference_implIS3_Lb0ELb0EPlS7_ZN2at6native12_GLOBAL__N_124unique_dim_cuda_templateImEESt5tupleIJNS8_6TensorESD_SD_EERKSD_lbbbEUlllE1_EE10hipError_tPvRmT2_T3_mT4_P12ihipStream_tbEUlT_E_NS1_11comp_targetILNS1_3genE8ELNS1_11target_archE1030ELNS1_3gpuE2ELNS1_3repE0EEENS1_30default_config_static_selectorELNS0_4arch9wavefront6targetE0EEEvT1_,comdat
.Lfunc_end1643:
	.size	_ZN7rocprim17ROCPRIM_400000_NS6detail17trampoline_kernelINS0_14default_configENS1_35adjacent_difference_config_selectorILb0ElEEZNS1_24adjacent_difference_implIS3_Lb0ELb0EPlS7_ZN2at6native12_GLOBAL__N_124unique_dim_cuda_templateImEESt5tupleIJNS8_6TensorESD_SD_EERKSD_lbbbEUlllE1_EE10hipError_tPvRmT2_T3_mT4_P12ihipStream_tbEUlT_E_NS1_11comp_targetILNS1_3genE8ELNS1_11target_archE1030ELNS1_3gpuE2ELNS1_3repE0EEENS1_30default_config_static_selectorELNS0_4arch9wavefront6targetE0EEEvT1_, .Lfunc_end1643-_ZN7rocprim17ROCPRIM_400000_NS6detail17trampoline_kernelINS0_14default_configENS1_35adjacent_difference_config_selectorILb0ElEEZNS1_24adjacent_difference_implIS3_Lb0ELb0EPlS7_ZN2at6native12_GLOBAL__N_124unique_dim_cuda_templateImEESt5tupleIJNS8_6TensorESD_SD_EERKSD_lbbbEUlllE1_EE10hipError_tPvRmT2_T3_mT4_P12ihipStream_tbEUlT_E_NS1_11comp_targetILNS1_3genE8ELNS1_11target_archE1030ELNS1_3gpuE2ELNS1_3repE0EEENS1_30default_config_static_selectorELNS0_4arch9wavefront6targetE0EEEvT1_
                                        ; -- End function
	.section	.AMDGPU.csdata,"",@progbits
; Kernel info:
; codeLenInByte = 0
; NumSgprs: 0
; NumVgprs: 0
; ScratchSize: 0
; MemoryBound: 0
; FloatMode: 240
; IeeeMode: 1
; LDSByteSize: 0 bytes/workgroup (compile time only)
; SGPRBlocks: 0
; VGPRBlocks: 0
; NumSGPRsForWavesPerEU: 1
; NumVGPRsForWavesPerEU: 1
; Occupancy: 16
; WaveLimiterHint : 0
; COMPUTE_PGM_RSRC2:SCRATCH_EN: 0
; COMPUTE_PGM_RSRC2:USER_SGPR: 15
; COMPUTE_PGM_RSRC2:TRAP_HANDLER: 0
; COMPUTE_PGM_RSRC2:TGID_X_EN: 1
; COMPUTE_PGM_RSRC2:TGID_Y_EN: 0
; COMPUTE_PGM_RSRC2:TGID_Z_EN: 0
; COMPUTE_PGM_RSRC2:TIDIG_COMP_CNT: 0
	.section	.text._ZN7rocprim17ROCPRIM_400000_NS6detail17trampoline_kernelINS0_14default_configENS1_25transform_config_selectorIlLb0EEEZNS1_14transform_implILb0ES3_S5_NS0_18transform_iteratorINS0_17counting_iteratorImlEEZNS1_24adjacent_difference_implIS3_Lb1ELb0EPlSB_ZN2at6native12_GLOBAL__N_124unique_dim_cuda_templateImEESt5tupleIJNSC_6TensorESH_SH_EERKSH_lbbbEUlllE1_EE10hipError_tPvRmT2_T3_mT4_P12ihipStream_tbEUlmE_lEESB_NS0_8identityIvEEEESM_SP_SQ_mSR_ST_bEUlT_E_NS1_11comp_targetILNS1_3genE0ELNS1_11target_archE4294967295ELNS1_3gpuE0ELNS1_3repE0EEENS1_30default_config_static_selectorELNS0_4arch9wavefront6targetE0EEEvT1_,"axG",@progbits,_ZN7rocprim17ROCPRIM_400000_NS6detail17trampoline_kernelINS0_14default_configENS1_25transform_config_selectorIlLb0EEEZNS1_14transform_implILb0ES3_S5_NS0_18transform_iteratorINS0_17counting_iteratorImlEEZNS1_24adjacent_difference_implIS3_Lb1ELb0EPlSB_ZN2at6native12_GLOBAL__N_124unique_dim_cuda_templateImEESt5tupleIJNSC_6TensorESH_SH_EERKSH_lbbbEUlllE1_EE10hipError_tPvRmT2_T3_mT4_P12ihipStream_tbEUlmE_lEESB_NS0_8identityIvEEEESM_SP_SQ_mSR_ST_bEUlT_E_NS1_11comp_targetILNS1_3genE0ELNS1_11target_archE4294967295ELNS1_3gpuE0ELNS1_3repE0EEENS1_30default_config_static_selectorELNS0_4arch9wavefront6targetE0EEEvT1_,comdat
	.globl	_ZN7rocprim17ROCPRIM_400000_NS6detail17trampoline_kernelINS0_14default_configENS1_25transform_config_selectorIlLb0EEEZNS1_14transform_implILb0ES3_S5_NS0_18transform_iteratorINS0_17counting_iteratorImlEEZNS1_24adjacent_difference_implIS3_Lb1ELb0EPlSB_ZN2at6native12_GLOBAL__N_124unique_dim_cuda_templateImEESt5tupleIJNSC_6TensorESH_SH_EERKSH_lbbbEUlllE1_EE10hipError_tPvRmT2_T3_mT4_P12ihipStream_tbEUlmE_lEESB_NS0_8identityIvEEEESM_SP_SQ_mSR_ST_bEUlT_E_NS1_11comp_targetILNS1_3genE0ELNS1_11target_archE4294967295ELNS1_3gpuE0ELNS1_3repE0EEENS1_30default_config_static_selectorELNS0_4arch9wavefront6targetE0EEEvT1_ ; -- Begin function _ZN7rocprim17ROCPRIM_400000_NS6detail17trampoline_kernelINS0_14default_configENS1_25transform_config_selectorIlLb0EEEZNS1_14transform_implILb0ES3_S5_NS0_18transform_iteratorINS0_17counting_iteratorImlEEZNS1_24adjacent_difference_implIS3_Lb1ELb0EPlSB_ZN2at6native12_GLOBAL__N_124unique_dim_cuda_templateImEESt5tupleIJNSC_6TensorESH_SH_EERKSH_lbbbEUlllE1_EE10hipError_tPvRmT2_T3_mT4_P12ihipStream_tbEUlmE_lEESB_NS0_8identityIvEEEESM_SP_SQ_mSR_ST_bEUlT_E_NS1_11comp_targetILNS1_3genE0ELNS1_11target_archE4294967295ELNS1_3gpuE0ELNS1_3repE0EEENS1_30default_config_static_selectorELNS0_4arch9wavefront6targetE0EEEvT1_
	.p2align	8
	.type	_ZN7rocprim17ROCPRIM_400000_NS6detail17trampoline_kernelINS0_14default_configENS1_25transform_config_selectorIlLb0EEEZNS1_14transform_implILb0ES3_S5_NS0_18transform_iteratorINS0_17counting_iteratorImlEEZNS1_24adjacent_difference_implIS3_Lb1ELb0EPlSB_ZN2at6native12_GLOBAL__N_124unique_dim_cuda_templateImEESt5tupleIJNSC_6TensorESH_SH_EERKSH_lbbbEUlllE1_EE10hipError_tPvRmT2_T3_mT4_P12ihipStream_tbEUlmE_lEESB_NS0_8identityIvEEEESM_SP_SQ_mSR_ST_bEUlT_E_NS1_11comp_targetILNS1_3genE0ELNS1_11target_archE4294967295ELNS1_3gpuE0ELNS1_3repE0EEENS1_30default_config_static_selectorELNS0_4arch9wavefront6targetE0EEEvT1_,@function
_ZN7rocprim17ROCPRIM_400000_NS6detail17trampoline_kernelINS0_14default_configENS1_25transform_config_selectorIlLb0EEEZNS1_14transform_implILb0ES3_S5_NS0_18transform_iteratorINS0_17counting_iteratorImlEEZNS1_24adjacent_difference_implIS3_Lb1ELb0EPlSB_ZN2at6native12_GLOBAL__N_124unique_dim_cuda_templateImEESt5tupleIJNSC_6TensorESH_SH_EERKSH_lbbbEUlllE1_EE10hipError_tPvRmT2_T3_mT4_P12ihipStream_tbEUlmE_lEESB_NS0_8identityIvEEEESM_SP_SQ_mSR_ST_bEUlT_E_NS1_11comp_targetILNS1_3genE0ELNS1_11target_archE4294967295ELNS1_3gpuE0ELNS1_3repE0EEENS1_30default_config_static_selectorELNS0_4arch9wavefront6targetE0EEEvT1_: ; @_ZN7rocprim17ROCPRIM_400000_NS6detail17trampoline_kernelINS0_14default_configENS1_25transform_config_selectorIlLb0EEEZNS1_14transform_implILb0ES3_S5_NS0_18transform_iteratorINS0_17counting_iteratorImlEEZNS1_24adjacent_difference_implIS3_Lb1ELb0EPlSB_ZN2at6native12_GLOBAL__N_124unique_dim_cuda_templateImEESt5tupleIJNSC_6TensorESH_SH_EERKSH_lbbbEUlllE1_EE10hipError_tPvRmT2_T3_mT4_P12ihipStream_tbEUlmE_lEESB_NS0_8identityIvEEEESM_SP_SQ_mSR_ST_bEUlT_E_NS1_11comp_targetILNS1_3genE0ELNS1_11target_archE4294967295ELNS1_3gpuE0ELNS1_3repE0EEENS1_30default_config_static_selectorELNS0_4arch9wavefront6targetE0EEEvT1_
; %bb.0:
	.section	.rodata,"a",@progbits
	.p2align	6, 0x0
	.amdhsa_kernel _ZN7rocprim17ROCPRIM_400000_NS6detail17trampoline_kernelINS0_14default_configENS1_25transform_config_selectorIlLb0EEEZNS1_14transform_implILb0ES3_S5_NS0_18transform_iteratorINS0_17counting_iteratorImlEEZNS1_24adjacent_difference_implIS3_Lb1ELb0EPlSB_ZN2at6native12_GLOBAL__N_124unique_dim_cuda_templateImEESt5tupleIJNSC_6TensorESH_SH_EERKSH_lbbbEUlllE1_EE10hipError_tPvRmT2_T3_mT4_P12ihipStream_tbEUlmE_lEESB_NS0_8identityIvEEEESM_SP_SQ_mSR_ST_bEUlT_E_NS1_11comp_targetILNS1_3genE0ELNS1_11target_archE4294967295ELNS1_3gpuE0ELNS1_3repE0EEENS1_30default_config_static_selectorELNS0_4arch9wavefront6targetE0EEEvT1_
		.amdhsa_group_segment_fixed_size 0
		.amdhsa_private_segment_fixed_size 0
		.amdhsa_kernarg_size 56
		.amdhsa_user_sgpr_count 15
		.amdhsa_user_sgpr_dispatch_ptr 0
		.amdhsa_user_sgpr_queue_ptr 0
		.amdhsa_user_sgpr_kernarg_segment_ptr 1
		.amdhsa_user_sgpr_dispatch_id 0
		.amdhsa_user_sgpr_private_segment_size 0
		.amdhsa_wavefront_size32 1
		.amdhsa_uses_dynamic_stack 0
		.amdhsa_enable_private_segment 0
		.amdhsa_system_sgpr_workgroup_id_x 1
		.amdhsa_system_sgpr_workgroup_id_y 0
		.amdhsa_system_sgpr_workgroup_id_z 0
		.amdhsa_system_sgpr_workgroup_info 0
		.amdhsa_system_vgpr_workitem_id 0
		.amdhsa_next_free_vgpr 1
		.amdhsa_next_free_sgpr 1
		.amdhsa_reserve_vcc 0
		.amdhsa_float_round_mode_32 0
		.amdhsa_float_round_mode_16_64 0
		.amdhsa_float_denorm_mode_32 3
		.amdhsa_float_denorm_mode_16_64 3
		.amdhsa_dx10_clamp 1
		.amdhsa_ieee_mode 1
		.amdhsa_fp16_overflow 0
		.amdhsa_workgroup_processor_mode 1
		.amdhsa_memory_ordered 1
		.amdhsa_forward_progress 0
		.amdhsa_shared_vgpr_count 0
		.amdhsa_exception_fp_ieee_invalid_op 0
		.amdhsa_exception_fp_denorm_src 0
		.amdhsa_exception_fp_ieee_div_zero 0
		.amdhsa_exception_fp_ieee_overflow 0
		.amdhsa_exception_fp_ieee_underflow 0
		.amdhsa_exception_fp_ieee_inexact 0
		.amdhsa_exception_int_div_zero 0
	.end_amdhsa_kernel
	.section	.text._ZN7rocprim17ROCPRIM_400000_NS6detail17trampoline_kernelINS0_14default_configENS1_25transform_config_selectorIlLb0EEEZNS1_14transform_implILb0ES3_S5_NS0_18transform_iteratorINS0_17counting_iteratorImlEEZNS1_24adjacent_difference_implIS3_Lb1ELb0EPlSB_ZN2at6native12_GLOBAL__N_124unique_dim_cuda_templateImEESt5tupleIJNSC_6TensorESH_SH_EERKSH_lbbbEUlllE1_EE10hipError_tPvRmT2_T3_mT4_P12ihipStream_tbEUlmE_lEESB_NS0_8identityIvEEEESM_SP_SQ_mSR_ST_bEUlT_E_NS1_11comp_targetILNS1_3genE0ELNS1_11target_archE4294967295ELNS1_3gpuE0ELNS1_3repE0EEENS1_30default_config_static_selectorELNS0_4arch9wavefront6targetE0EEEvT1_,"axG",@progbits,_ZN7rocprim17ROCPRIM_400000_NS6detail17trampoline_kernelINS0_14default_configENS1_25transform_config_selectorIlLb0EEEZNS1_14transform_implILb0ES3_S5_NS0_18transform_iteratorINS0_17counting_iteratorImlEEZNS1_24adjacent_difference_implIS3_Lb1ELb0EPlSB_ZN2at6native12_GLOBAL__N_124unique_dim_cuda_templateImEESt5tupleIJNSC_6TensorESH_SH_EERKSH_lbbbEUlllE1_EE10hipError_tPvRmT2_T3_mT4_P12ihipStream_tbEUlmE_lEESB_NS0_8identityIvEEEESM_SP_SQ_mSR_ST_bEUlT_E_NS1_11comp_targetILNS1_3genE0ELNS1_11target_archE4294967295ELNS1_3gpuE0ELNS1_3repE0EEENS1_30default_config_static_selectorELNS0_4arch9wavefront6targetE0EEEvT1_,comdat
.Lfunc_end1644:
	.size	_ZN7rocprim17ROCPRIM_400000_NS6detail17trampoline_kernelINS0_14default_configENS1_25transform_config_selectorIlLb0EEEZNS1_14transform_implILb0ES3_S5_NS0_18transform_iteratorINS0_17counting_iteratorImlEEZNS1_24adjacent_difference_implIS3_Lb1ELb0EPlSB_ZN2at6native12_GLOBAL__N_124unique_dim_cuda_templateImEESt5tupleIJNSC_6TensorESH_SH_EERKSH_lbbbEUlllE1_EE10hipError_tPvRmT2_T3_mT4_P12ihipStream_tbEUlmE_lEESB_NS0_8identityIvEEEESM_SP_SQ_mSR_ST_bEUlT_E_NS1_11comp_targetILNS1_3genE0ELNS1_11target_archE4294967295ELNS1_3gpuE0ELNS1_3repE0EEENS1_30default_config_static_selectorELNS0_4arch9wavefront6targetE0EEEvT1_, .Lfunc_end1644-_ZN7rocprim17ROCPRIM_400000_NS6detail17trampoline_kernelINS0_14default_configENS1_25transform_config_selectorIlLb0EEEZNS1_14transform_implILb0ES3_S5_NS0_18transform_iteratorINS0_17counting_iteratorImlEEZNS1_24adjacent_difference_implIS3_Lb1ELb0EPlSB_ZN2at6native12_GLOBAL__N_124unique_dim_cuda_templateImEESt5tupleIJNSC_6TensorESH_SH_EERKSH_lbbbEUlllE1_EE10hipError_tPvRmT2_T3_mT4_P12ihipStream_tbEUlmE_lEESB_NS0_8identityIvEEEESM_SP_SQ_mSR_ST_bEUlT_E_NS1_11comp_targetILNS1_3genE0ELNS1_11target_archE4294967295ELNS1_3gpuE0ELNS1_3repE0EEENS1_30default_config_static_selectorELNS0_4arch9wavefront6targetE0EEEvT1_
                                        ; -- End function
	.section	.AMDGPU.csdata,"",@progbits
; Kernel info:
; codeLenInByte = 0
; NumSgprs: 0
; NumVgprs: 0
; ScratchSize: 0
; MemoryBound: 0
; FloatMode: 240
; IeeeMode: 1
; LDSByteSize: 0 bytes/workgroup (compile time only)
; SGPRBlocks: 0
; VGPRBlocks: 0
; NumSGPRsForWavesPerEU: 1
; NumVGPRsForWavesPerEU: 1
; Occupancy: 16
; WaveLimiterHint : 0
; COMPUTE_PGM_RSRC2:SCRATCH_EN: 0
; COMPUTE_PGM_RSRC2:USER_SGPR: 15
; COMPUTE_PGM_RSRC2:TRAP_HANDLER: 0
; COMPUTE_PGM_RSRC2:TGID_X_EN: 1
; COMPUTE_PGM_RSRC2:TGID_Y_EN: 0
; COMPUTE_PGM_RSRC2:TGID_Z_EN: 0
; COMPUTE_PGM_RSRC2:TIDIG_COMP_CNT: 0
	.section	.text._ZN7rocprim17ROCPRIM_400000_NS6detail17trampoline_kernelINS0_14default_configENS1_25transform_config_selectorIlLb0EEEZNS1_14transform_implILb0ES3_S5_NS0_18transform_iteratorINS0_17counting_iteratorImlEEZNS1_24adjacent_difference_implIS3_Lb1ELb0EPlSB_ZN2at6native12_GLOBAL__N_124unique_dim_cuda_templateImEESt5tupleIJNSC_6TensorESH_SH_EERKSH_lbbbEUlllE1_EE10hipError_tPvRmT2_T3_mT4_P12ihipStream_tbEUlmE_lEESB_NS0_8identityIvEEEESM_SP_SQ_mSR_ST_bEUlT_E_NS1_11comp_targetILNS1_3genE5ELNS1_11target_archE942ELNS1_3gpuE9ELNS1_3repE0EEENS1_30default_config_static_selectorELNS0_4arch9wavefront6targetE0EEEvT1_,"axG",@progbits,_ZN7rocprim17ROCPRIM_400000_NS6detail17trampoline_kernelINS0_14default_configENS1_25transform_config_selectorIlLb0EEEZNS1_14transform_implILb0ES3_S5_NS0_18transform_iteratorINS0_17counting_iteratorImlEEZNS1_24adjacent_difference_implIS3_Lb1ELb0EPlSB_ZN2at6native12_GLOBAL__N_124unique_dim_cuda_templateImEESt5tupleIJNSC_6TensorESH_SH_EERKSH_lbbbEUlllE1_EE10hipError_tPvRmT2_T3_mT4_P12ihipStream_tbEUlmE_lEESB_NS0_8identityIvEEEESM_SP_SQ_mSR_ST_bEUlT_E_NS1_11comp_targetILNS1_3genE5ELNS1_11target_archE942ELNS1_3gpuE9ELNS1_3repE0EEENS1_30default_config_static_selectorELNS0_4arch9wavefront6targetE0EEEvT1_,comdat
	.globl	_ZN7rocprim17ROCPRIM_400000_NS6detail17trampoline_kernelINS0_14default_configENS1_25transform_config_selectorIlLb0EEEZNS1_14transform_implILb0ES3_S5_NS0_18transform_iteratorINS0_17counting_iteratorImlEEZNS1_24adjacent_difference_implIS3_Lb1ELb0EPlSB_ZN2at6native12_GLOBAL__N_124unique_dim_cuda_templateImEESt5tupleIJNSC_6TensorESH_SH_EERKSH_lbbbEUlllE1_EE10hipError_tPvRmT2_T3_mT4_P12ihipStream_tbEUlmE_lEESB_NS0_8identityIvEEEESM_SP_SQ_mSR_ST_bEUlT_E_NS1_11comp_targetILNS1_3genE5ELNS1_11target_archE942ELNS1_3gpuE9ELNS1_3repE0EEENS1_30default_config_static_selectorELNS0_4arch9wavefront6targetE0EEEvT1_ ; -- Begin function _ZN7rocprim17ROCPRIM_400000_NS6detail17trampoline_kernelINS0_14default_configENS1_25transform_config_selectorIlLb0EEEZNS1_14transform_implILb0ES3_S5_NS0_18transform_iteratorINS0_17counting_iteratorImlEEZNS1_24adjacent_difference_implIS3_Lb1ELb0EPlSB_ZN2at6native12_GLOBAL__N_124unique_dim_cuda_templateImEESt5tupleIJNSC_6TensorESH_SH_EERKSH_lbbbEUlllE1_EE10hipError_tPvRmT2_T3_mT4_P12ihipStream_tbEUlmE_lEESB_NS0_8identityIvEEEESM_SP_SQ_mSR_ST_bEUlT_E_NS1_11comp_targetILNS1_3genE5ELNS1_11target_archE942ELNS1_3gpuE9ELNS1_3repE0EEENS1_30default_config_static_selectorELNS0_4arch9wavefront6targetE0EEEvT1_
	.p2align	8
	.type	_ZN7rocprim17ROCPRIM_400000_NS6detail17trampoline_kernelINS0_14default_configENS1_25transform_config_selectorIlLb0EEEZNS1_14transform_implILb0ES3_S5_NS0_18transform_iteratorINS0_17counting_iteratorImlEEZNS1_24adjacent_difference_implIS3_Lb1ELb0EPlSB_ZN2at6native12_GLOBAL__N_124unique_dim_cuda_templateImEESt5tupleIJNSC_6TensorESH_SH_EERKSH_lbbbEUlllE1_EE10hipError_tPvRmT2_T3_mT4_P12ihipStream_tbEUlmE_lEESB_NS0_8identityIvEEEESM_SP_SQ_mSR_ST_bEUlT_E_NS1_11comp_targetILNS1_3genE5ELNS1_11target_archE942ELNS1_3gpuE9ELNS1_3repE0EEENS1_30default_config_static_selectorELNS0_4arch9wavefront6targetE0EEEvT1_,@function
_ZN7rocprim17ROCPRIM_400000_NS6detail17trampoline_kernelINS0_14default_configENS1_25transform_config_selectorIlLb0EEEZNS1_14transform_implILb0ES3_S5_NS0_18transform_iteratorINS0_17counting_iteratorImlEEZNS1_24adjacent_difference_implIS3_Lb1ELb0EPlSB_ZN2at6native12_GLOBAL__N_124unique_dim_cuda_templateImEESt5tupleIJNSC_6TensorESH_SH_EERKSH_lbbbEUlllE1_EE10hipError_tPvRmT2_T3_mT4_P12ihipStream_tbEUlmE_lEESB_NS0_8identityIvEEEESM_SP_SQ_mSR_ST_bEUlT_E_NS1_11comp_targetILNS1_3genE5ELNS1_11target_archE942ELNS1_3gpuE9ELNS1_3repE0EEENS1_30default_config_static_selectorELNS0_4arch9wavefront6targetE0EEEvT1_: ; @_ZN7rocprim17ROCPRIM_400000_NS6detail17trampoline_kernelINS0_14default_configENS1_25transform_config_selectorIlLb0EEEZNS1_14transform_implILb0ES3_S5_NS0_18transform_iteratorINS0_17counting_iteratorImlEEZNS1_24adjacent_difference_implIS3_Lb1ELb0EPlSB_ZN2at6native12_GLOBAL__N_124unique_dim_cuda_templateImEESt5tupleIJNSC_6TensorESH_SH_EERKSH_lbbbEUlllE1_EE10hipError_tPvRmT2_T3_mT4_P12ihipStream_tbEUlmE_lEESB_NS0_8identityIvEEEESM_SP_SQ_mSR_ST_bEUlT_E_NS1_11comp_targetILNS1_3genE5ELNS1_11target_archE942ELNS1_3gpuE9ELNS1_3repE0EEENS1_30default_config_static_selectorELNS0_4arch9wavefront6targetE0EEEvT1_
; %bb.0:
	.section	.rodata,"a",@progbits
	.p2align	6, 0x0
	.amdhsa_kernel _ZN7rocprim17ROCPRIM_400000_NS6detail17trampoline_kernelINS0_14default_configENS1_25transform_config_selectorIlLb0EEEZNS1_14transform_implILb0ES3_S5_NS0_18transform_iteratorINS0_17counting_iteratorImlEEZNS1_24adjacent_difference_implIS3_Lb1ELb0EPlSB_ZN2at6native12_GLOBAL__N_124unique_dim_cuda_templateImEESt5tupleIJNSC_6TensorESH_SH_EERKSH_lbbbEUlllE1_EE10hipError_tPvRmT2_T3_mT4_P12ihipStream_tbEUlmE_lEESB_NS0_8identityIvEEEESM_SP_SQ_mSR_ST_bEUlT_E_NS1_11comp_targetILNS1_3genE5ELNS1_11target_archE942ELNS1_3gpuE9ELNS1_3repE0EEENS1_30default_config_static_selectorELNS0_4arch9wavefront6targetE0EEEvT1_
		.amdhsa_group_segment_fixed_size 0
		.amdhsa_private_segment_fixed_size 0
		.amdhsa_kernarg_size 56
		.amdhsa_user_sgpr_count 15
		.amdhsa_user_sgpr_dispatch_ptr 0
		.amdhsa_user_sgpr_queue_ptr 0
		.amdhsa_user_sgpr_kernarg_segment_ptr 1
		.amdhsa_user_sgpr_dispatch_id 0
		.amdhsa_user_sgpr_private_segment_size 0
		.amdhsa_wavefront_size32 1
		.amdhsa_uses_dynamic_stack 0
		.amdhsa_enable_private_segment 0
		.amdhsa_system_sgpr_workgroup_id_x 1
		.amdhsa_system_sgpr_workgroup_id_y 0
		.amdhsa_system_sgpr_workgroup_id_z 0
		.amdhsa_system_sgpr_workgroup_info 0
		.amdhsa_system_vgpr_workitem_id 0
		.amdhsa_next_free_vgpr 1
		.amdhsa_next_free_sgpr 1
		.amdhsa_reserve_vcc 0
		.amdhsa_float_round_mode_32 0
		.amdhsa_float_round_mode_16_64 0
		.amdhsa_float_denorm_mode_32 3
		.amdhsa_float_denorm_mode_16_64 3
		.amdhsa_dx10_clamp 1
		.amdhsa_ieee_mode 1
		.amdhsa_fp16_overflow 0
		.amdhsa_workgroup_processor_mode 1
		.amdhsa_memory_ordered 1
		.amdhsa_forward_progress 0
		.amdhsa_shared_vgpr_count 0
		.amdhsa_exception_fp_ieee_invalid_op 0
		.amdhsa_exception_fp_denorm_src 0
		.amdhsa_exception_fp_ieee_div_zero 0
		.amdhsa_exception_fp_ieee_overflow 0
		.amdhsa_exception_fp_ieee_underflow 0
		.amdhsa_exception_fp_ieee_inexact 0
		.amdhsa_exception_int_div_zero 0
	.end_amdhsa_kernel
	.section	.text._ZN7rocprim17ROCPRIM_400000_NS6detail17trampoline_kernelINS0_14default_configENS1_25transform_config_selectorIlLb0EEEZNS1_14transform_implILb0ES3_S5_NS0_18transform_iteratorINS0_17counting_iteratorImlEEZNS1_24adjacent_difference_implIS3_Lb1ELb0EPlSB_ZN2at6native12_GLOBAL__N_124unique_dim_cuda_templateImEESt5tupleIJNSC_6TensorESH_SH_EERKSH_lbbbEUlllE1_EE10hipError_tPvRmT2_T3_mT4_P12ihipStream_tbEUlmE_lEESB_NS0_8identityIvEEEESM_SP_SQ_mSR_ST_bEUlT_E_NS1_11comp_targetILNS1_3genE5ELNS1_11target_archE942ELNS1_3gpuE9ELNS1_3repE0EEENS1_30default_config_static_selectorELNS0_4arch9wavefront6targetE0EEEvT1_,"axG",@progbits,_ZN7rocprim17ROCPRIM_400000_NS6detail17trampoline_kernelINS0_14default_configENS1_25transform_config_selectorIlLb0EEEZNS1_14transform_implILb0ES3_S5_NS0_18transform_iteratorINS0_17counting_iteratorImlEEZNS1_24adjacent_difference_implIS3_Lb1ELb0EPlSB_ZN2at6native12_GLOBAL__N_124unique_dim_cuda_templateImEESt5tupleIJNSC_6TensorESH_SH_EERKSH_lbbbEUlllE1_EE10hipError_tPvRmT2_T3_mT4_P12ihipStream_tbEUlmE_lEESB_NS0_8identityIvEEEESM_SP_SQ_mSR_ST_bEUlT_E_NS1_11comp_targetILNS1_3genE5ELNS1_11target_archE942ELNS1_3gpuE9ELNS1_3repE0EEENS1_30default_config_static_selectorELNS0_4arch9wavefront6targetE0EEEvT1_,comdat
.Lfunc_end1645:
	.size	_ZN7rocprim17ROCPRIM_400000_NS6detail17trampoline_kernelINS0_14default_configENS1_25transform_config_selectorIlLb0EEEZNS1_14transform_implILb0ES3_S5_NS0_18transform_iteratorINS0_17counting_iteratorImlEEZNS1_24adjacent_difference_implIS3_Lb1ELb0EPlSB_ZN2at6native12_GLOBAL__N_124unique_dim_cuda_templateImEESt5tupleIJNSC_6TensorESH_SH_EERKSH_lbbbEUlllE1_EE10hipError_tPvRmT2_T3_mT4_P12ihipStream_tbEUlmE_lEESB_NS0_8identityIvEEEESM_SP_SQ_mSR_ST_bEUlT_E_NS1_11comp_targetILNS1_3genE5ELNS1_11target_archE942ELNS1_3gpuE9ELNS1_3repE0EEENS1_30default_config_static_selectorELNS0_4arch9wavefront6targetE0EEEvT1_, .Lfunc_end1645-_ZN7rocprim17ROCPRIM_400000_NS6detail17trampoline_kernelINS0_14default_configENS1_25transform_config_selectorIlLb0EEEZNS1_14transform_implILb0ES3_S5_NS0_18transform_iteratorINS0_17counting_iteratorImlEEZNS1_24adjacent_difference_implIS3_Lb1ELb0EPlSB_ZN2at6native12_GLOBAL__N_124unique_dim_cuda_templateImEESt5tupleIJNSC_6TensorESH_SH_EERKSH_lbbbEUlllE1_EE10hipError_tPvRmT2_T3_mT4_P12ihipStream_tbEUlmE_lEESB_NS0_8identityIvEEEESM_SP_SQ_mSR_ST_bEUlT_E_NS1_11comp_targetILNS1_3genE5ELNS1_11target_archE942ELNS1_3gpuE9ELNS1_3repE0EEENS1_30default_config_static_selectorELNS0_4arch9wavefront6targetE0EEEvT1_
                                        ; -- End function
	.section	.AMDGPU.csdata,"",@progbits
; Kernel info:
; codeLenInByte = 0
; NumSgprs: 0
; NumVgprs: 0
; ScratchSize: 0
; MemoryBound: 0
; FloatMode: 240
; IeeeMode: 1
; LDSByteSize: 0 bytes/workgroup (compile time only)
; SGPRBlocks: 0
; VGPRBlocks: 0
; NumSGPRsForWavesPerEU: 1
; NumVGPRsForWavesPerEU: 1
; Occupancy: 16
; WaveLimiterHint : 0
; COMPUTE_PGM_RSRC2:SCRATCH_EN: 0
; COMPUTE_PGM_RSRC2:USER_SGPR: 15
; COMPUTE_PGM_RSRC2:TRAP_HANDLER: 0
; COMPUTE_PGM_RSRC2:TGID_X_EN: 1
; COMPUTE_PGM_RSRC2:TGID_Y_EN: 0
; COMPUTE_PGM_RSRC2:TGID_Z_EN: 0
; COMPUTE_PGM_RSRC2:TIDIG_COMP_CNT: 0
	.section	.text._ZN7rocprim17ROCPRIM_400000_NS6detail17trampoline_kernelINS0_14default_configENS1_25transform_config_selectorIlLb0EEEZNS1_14transform_implILb0ES3_S5_NS0_18transform_iteratorINS0_17counting_iteratorImlEEZNS1_24adjacent_difference_implIS3_Lb1ELb0EPlSB_ZN2at6native12_GLOBAL__N_124unique_dim_cuda_templateImEESt5tupleIJNSC_6TensorESH_SH_EERKSH_lbbbEUlllE1_EE10hipError_tPvRmT2_T3_mT4_P12ihipStream_tbEUlmE_lEESB_NS0_8identityIvEEEESM_SP_SQ_mSR_ST_bEUlT_E_NS1_11comp_targetILNS1_3genE4ELNS1_11target_archE910ELNS1_3gpuE8ELNS1_3repE0EEENS1_30default_config_static_selectorELNS0_4arch9wavefront6targetE0EEEvT1_,"axG",@progbits,_ZN7rocprim17ROCPRIM_400000_NS6detail17trampoline_kernelINS0_14default_configENS1_25transform_config_selectorIlLb0EEEZNS1_14transform_implILb0ES3_S5_NS0_18transform_iteratorINS0_17counting_iteratorImlEEZNS1_24adjacent_difference_implIS3_Lb1ELb0EPlSB_ZN2at6native12_GLOBAL__N_124unique_dim_cuda_templateImEESt5tupleIJNSC_6TensorESH_SH_EERKSH_lbbbEUlllE1_EE10hipError_tPvRmT2_T3_mT4_P12ihipStream_tbEUlmE_lEESB_NS0_8identityIvEEEESM_SP_SQ_mSR_ST_bEUlT_E_NS1_11comp_targetILNS1_3genE4ELNS1_11target_archE910ELNS1_3gpuE8ELNS1_3repE0EEENS1_30default_config_static_selectorELNS0_4arch9wavefront6targetE0EEEvT1_,comdat
	.globl	_ZN7rocprim17ROCPRIM_400000_NS6detail17trampoline_kernelINS0_14default_configENS1_25transform_config_selectorIlLb0EEEZNS1_14transform_implILb0ES3_S5_NS0_18transform_iteratorINS0_17counting_iteratorImlEEZNS1_24adjacent_difference_implIS3_Lb1ELb0EPlSB_ZN2at6native12_GLOBAL__N_124unique_dim_cuda_templateImEESt5tupleIJNSC_6TensorESH_SH_EERKSH_lbbbEUlllE1_EE10hipError_tPvRmT2_T3_mT4_P12ihipStream_tbEUlmE_lEESB_NS0_8identityIvEEEESM_SP_SQ_mSR_ST_bEUlT_E_NS1_11comp_targetILNS1_3genE4ELNS1_11target_archE910ELNS1_3gpuE8ELNS1_3repE0EEENS1_30default_config_static_selectorELNS0_4arch9wavefront6targetE0EEEvT1_ ; -- Begin function _ZN7rocprim17ROCPRIM_400000_NS6detail17trampoline_kernelINS0_14default_configENS1_25transform_config_selectorIlLb0EEEZNS1_14transform_implILb0ES3_S5_NS0_18transform_iteratorINS0_17counting_iteratorImlEEZNS1_24adjacent_difference_implIS3_Lb1ELb0EPlSB_ZN2at6native12_GLOBAL__N_124unique_dim_cuda_templateImEESt5tupleIJNSC_6TensorESH_SH_EERKSH_lbbbEUlllE1_EE10hipError_tPvRmT2_T3_mT4_P12ihipStream_tbEUlmE_lEESB_NS0_8identityIvEEEESM_SP_SQ_mSR_ST_bEUlT_E_NS1_11comp_targetILNS1_3genE4ELNS1_11target_archE910ELNS1_3gpuE8ELNS1_3repE0EEENS1_30default_config_static_selectorELNS0_4arch9wavefront6targetE0EEEvT1_
	.p2align	8
	.type	_ZN7rocprim17ROCPRIM_400000_NS6detail17trampoline_kernelINS0_14default_configENS1_25transform_config_selectorIlLb0EEEZNS1_14transform_implILb0ES3_S5_NS0_18transform_iteratorINS0_17counting_iteratorImlEEZNS1_24adjacent_difference_implIS3_Lb1ELb0EPlSB_ZN2at6native12_GLOBAL__N_124unique_dim_cuda_templateImEESt5tupleIJNSC_6TensorESH_SH_EERKSH_lbbbEUlllE1_EE10hipError_tPvRmT2_T3_mT4_P12ihipStream_tbEUlmE_lEESB_NS0_8identityIvEEEESM_SP_SQ_mSR_ST_bEUlT_E_NS1_11comp_targetILNS1_3genE4ELNS1_11target_archE910ELNS1_3gpuE8ELNS1_3repE0EEENS1_30default_config_static_selectorELNS0_4arch9wavefront6targetE0EEEvT1_,@function
_ZN7rocprim17ROCPRIM_400000_NS6detail17trampoline_kernelINS0_14default_configENS1_25transform_config_selectorIlLb0EEEZNS1_14transform_implILb0ES3_S5_NS0_18transform_iteratorINS0_17counting_iteratorImlEEZNS1_24adjacent_difference_implIS3_Lb1ELb0EPlSB_ZN2at6native12_GLOBAL__N_124unique_dim_cuda_templateImEESt5tupleIJNSC_6TensorESH_SH_EERKSH_lbbbEUlllE1_EE10hipError_tPvRmT2_T3_mT4_P12ihipStream_tbEUlmE_lEESB_NS0_8identityIvEEEESM_SP_SQ_mSR_ST_bEUlT_E_NS1_11comp_targetILNS1_3genE4ELNS1_11target_archE910ELNS1_3gpuE8ELNS1_3repE0EEENS1_30default_config_static_selectorELNS0_4arch9wavefront6targetE0EEEvT1_: ; @_ZN7rocprim17ROCPRIM_400000_NS6detail17trampoline_kernelINS0_14default_configENS1_25transform_config_selectorIlLb0EEEZNS1_14transform_implILb0ES3_S5_NS0_18transform_iteratorINS0_17counting_iteratorImlEEZNS1_24adjacent_difference_implIS3_Lb1ELb0EPlSB_ZN2at6native12_GLOBAL__N_124unique_dim_cuda_templateImEESt5tupleIJNSC_6TensorESH_SH_EERKSH_lbbbEUlllE1_EE10hipError_tPvRmT2_T3_mT4_P12ihipStream_tbEUlmE_lEESB_NS0_8identityIvEEEESM_SP_SQ_mSR_ST_bEUlT_E_NS1_11comp_targetILNS1_3genE4ELNS1_11target_archE910ELNS1_3gpuE8ELNS1_3repE0EEENS1_30default_config_static_selectorELNS0_4arch9wavefront6targetE0EEEvT1_
; %bb.0:
	.section	.rodata,"a",@progbits
	.p2align	6, 0x0
	.amdhsa_kernel _ZN7rocprim17ROCPRIM_400000_NS6detail17trampoline_kernelINS0_14default_configENS1_25transform_config_selectorIlLb0EEEZNS1_14transform_implILb0ES3_S5_NS0_18transform_iteratorINS0_17counting_iteratorImlEEZNS1_24adjacent_difference_implIS3_Lb1ELb0EPlSB_ZN2at6native12_GLOBAL__N_124unique_dim_cuda_templateImEESt5tupleIJNSC_6TensorESH_SH_EERKSH_lbbbEUlllE1_EE10hipError_tPvRmT2_T3_mT4_P12ihipStream_tbEUlmE_lEESB_NS0_8identityIvEEEESM_SP_SQ_mSR_ST_bEUlT_E_NS1_11comp_targetILNS1_3genE4ELNS1_11target_archE910ELNS1_3gpuE8ELNS1_3repE0EEENS1_30default_config_static_selectorELNS0_4arch9wavefront6targetE0EEEvT1_
		.amdhsa_group_segment_fixed_size 0
		.amdhsa_private_segment_fixed_size 0
		.amdhsa_kernarg_size 56
		.amdhsa_user_sgpr_count 15
		.amdhsa_user_sgpr_dispatch_ptr 0
		.amdhsa_user_sgpr_queue_ptr 0
		.amdhsa_user_sgpr_kernarg_segment_ptr 1
		.amdhsa_user_sgpr_dispatch_id 0
		.amdhsa_user_sgpr_private_segment_size 0
		.amdhsa_wavefront_size32 1
		.amdhsa_uses_dynamic_stack 0
		.amdhsa_enable_private_segment 0
		.amdhsa_system_sgpr_workgroup_id_x 1
		.amdhsa_system_sgpr_workgroup_id_y 0
		.amdhsa_system_sgpr_workgroup_id_z 0
		.amdhsa_system_sgpr_workgroup_info 0
		.amdhsa_system_vgpr_workitem_id 0
		.amdhsa_next_free_vgpr 1
		.amdhsa_next_free_sgpr 1
		.amdhsa_reserve_vcc 0
		.amdhsa_float_round_mode_32 0
		.amdhsa_float_round_mode_16_64 0
		.amdhsa_float_denorm_mode_32 3
		.amdhsa_float_denorm_mode_16_64 3
		.amdhsa_dx10_clamp 1
		.amdhsa_ieee_mode 1
		.amdhsa_fp16_overflow 0
		.amdhsa_workgroup_processor_mode 1
		.amdhsa_memory_ordered 1
		.amdhsa_forward_progress 0
		.amdhsa_shared_vgpr_count 0
		.amdhsa_exception_fp_ieee_invalid_op 0
		.amdhsa_exception_fp_denorm_src 0
		.amdhsa_exception_fp_ieee_div_zero 0
		.amdhsa_exception_fp_ieee_overflow 0
		.amdhsa_exception_fp_ieee_underflow 0
		.amdhsa_exception_fp_ieee_inexact 0
		.amdhsa_exception_int_div_zero 0
	.end_amdhsa_kernel
	.section	.text._ZN7rocprim17ROCPRIM_400000_NS6detail17trampoline_kernelINS0_14default_configENS1_25transform_config_selectorIlLb0EEEZNS1_14transform_implILb0ES3_S5_NS0_18transform_iteratorINS0_17counting_iteratorImlEEZNS1_24adjacent_difference_implIS3_Lb1ELb0EPlSB_ZN2at6native12_GLOBAL__N_124unique_dim_cuda_templateImEESt5tupleIJNSC_6TensorESH_SH_EERKSH_lbbbEUlllE1_EE10hipError_tPvRmT2_T3_mT4_P12ihipStream_tbEUlmE_lEESB_NS0_8identityIvEEEESM_SP_SQ_mSR_ST_bEUlT_E_NS1_11comp_targetILNS1_3genE4ELNS1_11target_archE910ELNS1_3gpuE8ELNS1_3repE0EEENS1_30default_config_static_selectorELNS0_4arch9wavefront6targetE0EEEvT1_,"axG",@progbits,_ZN7rocprim17ROCPRIM_400000_NS6detail17trampoline_kernelINS0_14default_configENS1_25transform_config_selectorIlLb0EEEZNS1_14transform_implILb0ES3_S5_NS0_18transform_iteratorINS0_17counting_iteratorImlEEZNS1_24adjacent_difference_implIS3_Lb1ELb0EPlSB_ZN2at6native12_GLOBAL__N_124unique_dim_cuda_templateImEESt5tupleIJNSC_6TensorESH_SH_EERKSH_lbbbEUlllE1_EE10hipError_tPvRmT2_T3_mT4_P12ihipStream_tbEUlmE_lEESB_NS0_8identityIvEEEESM_SP_SQ_mSR_ST_bEUlT_E_NS1_11comp_targetILNS1_3genE4ELNS1_11target_archE910ELNS1_3gpuE8ELNS1_3repE0EEENS1_30default_config_static_selectorELNS0_4arch9wavefront6targetE0EEEvT1_,comdat
.Lfunc_end1646:
	.size	_ZN7rocprim17ROCPRIM_400000_NS6detail17trampoline_kernelINS0_14default_configENS1_25transform_config_selectorIlLb0EEEZNS1_14transform_implILb0ES3_S5_NS0_18transform_iteratorINS0_17counting_iteratorImlEEZNS1_24adjacent_difference_implIS3_Lb1ELb0EPlSB_ZN2at6native12_GLOBAL__N_124unique_dim_cuda_templateImEESt5tupleIJNSC_6TensorESH_SH_EERKSH_lbbbEUlllE1_EE10hipError_tPvRmT2_T3_mT4_P12ihipStream_tbEUlmE_lEESB_NS0_8identityIvEEEESM_SP_SQ_mSR_ST_bEUlT_E_NS1_11comp_targetILNS1_3genE4ELNS1_11target_archE910ELNS1_3gpuE8ELNS1_3repE0EEENS1_30default_config_static_selectorELNS0_4arch9wavefront6targetE0EEEvT1_, .Lfunc_end1646-_ZN7rocprim17ROCPRIM_400000_NS6detail17trampoline_kernelINS0_14default_configENS1_25transform_config_selectorIlLb0EEEZNS1_14transform_implILb0ES3_S5_NS0_18transform_iteratorINS0_17counting_iteratorImlEEZNS1_24adjacent_difference_implIS3_Lb1ELb0EPlSB_ZN2at6native12_GLOBAL__N_124unique_dim_cuda_templateImEESt5tupleIJNSC_6TensorESH_SH_EERKSH_lbbbEUlllE1_EE10hipError_tPvRmT2_T3_mT4_P12ihipStream_tbEUlmE_lEESB_NS0_8identityIvEEEESM_SP_SQ_mSR_ST_bEUlT_E_NS1_11comp_targetILNS1_3genE4ELNS1_11target_archE910ELNS1_3gpuE8ELNS1_3repE0EEENS1_30default_config_static_selectorELNS0_4arch9wavefront6targetE0EEEvT1_
                                        ; -- End function
	.section	.AMDGPU.csdata,"",@progbits
; Kernel info:
; codeLenInByte = 0
; NumSgprs: 0
; NumVgprs: 0
; ScratchSize: 0
; MemoryBound: 0
; FloatMode: 240
; IeeeMode: 1
; LDSByteSize: 0 bytes/workgroup (compile time only)
; SGPRBlocks: 0
; VGPRBlocks: 0
; NumSGPRsForWavesPerEU: 1
; NumVGPRsForWavesPerEU: 1
; Occupancy: 16
; WaveLimiterHint : 0
; COMPUTE_PGM_RSRC2:SCRATCH_EN: 0
; COMPUTE_PGM_RSRC2:USER_SGPR: 15
; COMPUTE_PGM_RSRC2:TRAP_HANDLER: 0
; COMPUTE_PGM_RSRC2:TGID_X_EN: 1
; COMPUTE_PGM_RSRC2:TGID_Y_EN: 0
; COMPUTE_PGM_RSRC2:TGID_Z_EN: 0
; COMPUTE_PGM_RSRC2:TIDIG_COMP_CNT: 0
	.section	.text._ZN7rocprim17ROCPRIM_400000_NS6detail17trampoline_kernelINS0_14default_configENS1_25transform_config_selectorIlLb0EEEZNS1_14transform_implILb0ES3_S5_NS0_18transform_iteratorINS0_17counting_iteratorImlEEZNS1_24adjacent_difference_implIS3_Lb1ELb0EPlSB_ZN2at6native12_GLOBAL__N_124unique_dim_cuda_templateImEESt5tupleIJNSC_6TensorESH_SH_EERKSH_lbbbEUlllE1_EE10hipError_tPvRmT2_T3_mT4_P12ihipStream_tbEUlmE_lEESB_NS0_8identityIvEEEESM_SP_SQ_mSR_ST_bEUlT_E_NS1_11comp_targetILNS1_3genE3ELNS1_11target_archE908ELNS1_3gpuE7ELNS1_3repE0EEENS1_30default_config_static_selectorELNS0_4arch9wavefront6targetE0EEEvT1_,"axG",@progbits,_ZN7rocprim17ROCPRIM_400000_NS6detail17trampoline_kernelINS0_14default_configENS1_25transform_config_selectorIlLb0EEEZNS1_14transform_implILb0ES3_S5_NS0_18transform_iteratorINS0_17counting_iteratorImlEEZNS1_24adjacent_difference_implIS3_Lb1ELb0EPlSB_ZN2at6native12_GLOBAL__N_124unique_dim_cuda_templateImEESt5tupleIJNSC_6TensorESH_SH_EERKSH_lbbbEUlllE1_EE10hipError_tPvRmT2_T3_mT4_P12ihipStream_tbEUlmE_lEESB_NS0_8identityIvEEEESM_SP_SQ_mSR_ST_bEUlT_E_NS1_11comp_targetILNS1_3genE3ELNS1_11target_archE908ELNS1_3gpuE7ELNS1_3repE0EEENS1_30default_config_static_selectorELNS0_4arch9wavefront6targetE0EEEvT1_,comdat
	.globl	_ZN7rocprim17ROCPRIM_400000_NS6detail17trampoline_kernelINS0_14default_configENS1_25transform_config_selectorIlLb0EEEZNS1_14transform_implILb0ES3_S5_NS0_18transform_iteratorINS0_17counting_iteratorImlEEZNS1_24adjacent_difference_implIS3_Lb1ELb0EPlSB_ZN2at6native12_GLOBAL__N_124unique_dim_cuda_templateImEESt5tupleIJNSC_6TensorESH_SH_EERKSH_lbbbEUlllE1_EE10hipError_tPvRmT2_T3_mT4_P12ihipStream_tbEUlmE_lEESB_NS0_8identityIvEEEESM_SP_SQ_mSR_ST_bEUlT_E_NS1_11comp_targetILNS1_3genE3ELNS1_11target_archE908ELNS1_3gpuE7ELNS1_3repE0EEENS1_30default_config_static_selectorELNS0_4arch9wavefront6targetE0EEEvT1_ ; -- Begin function _ZN7rocprim17ROCPRIM_400000_NS6detail17trampoline_kernelINS0_14default_configENS1_25transform_config_selectorIlLb0EEEZNS1_14transform_implILb0ES3_S5_NS0_18transform_iteratorINS0_17counting_iteratorImlEEZNS1_24adjacent_difference_implIS3_Lb1ELb0EPlSB_ZN2at6native12_GLOBAL__N_124unique_dim_cuda_templateImEESt5tupleIJNSC_6TensorESH_SH_EERKSH_lbbbEUlllE1_EE10hipError_tPvRmT2_T3_mT4_P12ihipStream_tbEUlmE_lEESB_NS0_8identityIvEEEESM_SP_SQ_mSR_ST_bEUlT_E_NS1_11comp_targetILNS1_3genE3ELNS1_11target_archE908ELNS1_3gpuE7ELNS1_3repE0EEENS1_30default_config_static_selectorELNS0_4arch9wavefront6targetE0EEEvT1_
	.p2align	8
	.type	_ZN7rocprim17ROCPRIM_400000_NS6detail17trampoline_kernelINS0_14default_configENS1_25transform_config_selectorIlLb0EEEZNS1_14transform_implILb0ES3_S5_NS0_18transform_iteratorINS0_17counting_iteratorImlEEZNS1_24adjacent_difference_implIS3_Lb1ELb0EPlSB_ZN2at6native12_GLOBAL__N_124unique_dim_cuda_templateImEESt5tupleIJNSC_6TensorESH_SH_EERKSH_lbbbEUlllE1_EE10hipError_tPvRmT2_T3_mT4_P12ihipStream_tbEUlmE_lEESB_NS0_8identityIvEEEESM_SP_SQ_mSR_ST_bEUlT_E_NS1_11comp_targetILNS1_3genE3ELNS1_11target_archE908ELNS1_3gpuE7ELNS1_3repE0EEENS1_30default_config_static_selectorELNS0_4arch9wavefront6targetE0EEEvT1_,@function
_ZN7rocprim17ROCPRIM_400000_NS6detail17trampoline_kernelINS0_14default_configENS1_25transform_config_selectorIlLb0EEEZNS1_14transform_implILb0ES3_S5_NS0_18transform_iteratorINS0_17counting_iteratorImlEEZNS1_24adjacent_difference_implIS3_Lb1ELb0EPlSB_ZN2at6native12_GLOBAL__N_124unique_dim_cuda_templateImEESt5tupleIJNSC_6TensorESH_SH_EERKSH_lbbbEUlllE1_EE10hipError_tPvRmT2_T3_mT4_P12ihipStream_tbEUlmE_lEESB_NS0_8identityIvEEEESM_SP_SQ_mSR_ST_bEUlT_E_NS1_11comp_targetILNS1_3genE3ELNS1_11target_archE908ELNS1_3gpuE7ELNS1_3repE0EEENS1_30default_config_static_selectorELNS0_4arch9wavefront6targetE0EEEvT1_: ; @_ZN7rocprim17ROCPRIM_400000_NS6detail17trampoline_kernelINS0_14default_configENS1_25transform_config_selectorIlLb0EEEZNS1_14transform_implILb0ES3_S5_NS0_18transform_iteratorINS0_17counting_iteratorImlEEZNS1_24adjacent_difference_implIS3_Lb1ELb0EPlSB_ZN2at6native12_GLOBAL__N_124unique_dim_cuda_templateImEESt5tupleIJNSC_6TensorESH_SH_EERKSH_lbbbEUlllE1_EE10hipError_tPvRmT2_T3_mT4_P12ihipStream_tbEUlmE_lEESB_NS0_8identityIvEEEESM_SP_SQ_mSR_ST_bEUlT_E_NS1_11comp_targetILNS1_3genE3ELNS1_11target_archE908ELNS1_3gpuE7ELNS1_3repE0EEENS1_30default_config_static_selectorELNS0_4arch9wavefront6targetE0EEEvT1_
; %bb.0:
	.section	.rodata,"a",@progbits
	.p2align	6, 0x0
	.amdhsa_kernel _ZN7rocprim17ROCPRIM_400000_NS6detail17trampoline_kernelINS0_14default_configENS1_25transform_config_selectorIlLb0EEEZNS1_14transform_implILb0ES3_S5_NS0_18transform_iteratorINS0_17counting_iteratorImlEEZNS1_24adjacent_difference_implIS3_Lb1ELb0EPlSB_ZN2at6native12_GLOBAL__N_124unique_dim_cuda_templateImEESt5tupleIJNSC_6TensorESH_SH_EERKSH_lbbbEUlllE1_EE10hipError_tPvRmT2_T3_mT4_P12ihipStream_tbEUlmE_lEESB_NS0_8identityIvEEEESM_SP_SQ_mSR_ST_bEUlT_E_NS1_11comp_targetILNS1_3genE3ELNS1_11target_archE908ELNS1_3gpuE7ELNS1_3repE0EEENS1_30default_config_static_selectorELNS0_4arch9wavefront6targetE0EEEvT1_
		.amdhsa_group_segment_fixed_size 0
		.amdhsa_private_segment_fixed_size 0
		.amdhsa_kernarg_size 56
		.amdhsa_user_sgpr_count 15
		.amdhsa_user_sgpr_dispatch_ptr 0
		.amdhsa_user_sgpr_queue_ptr 0
		.amdhsa_user_sgpr_kernarg_segment_ptr 1
		.amdhsa_user_sgpr_dispatch_id 0
		.amdhsa_user_sgpr_private_segment_size 0
		.amdhsa_wavefront_size32 1
		.amdhsa_uses_dynamic_stack 0
		.amdhsa_enable_private_segment 0
		.amdhsa_system_sgpr_workgroup_id_x 1
		.amdhsa_system_sgpr_workgroup_id_y 0
		.amdhsa_system_sgpr_workgroup_id_z 0
		.amdhsa_system_sgpr_workgroup_info 0
		.amdhsa_system_vgpr_workitem_id 0
		.amdhsa_next_free_vgpr 1
		.amdhsa_next_free_sgpr 1
		.amdhsa_reserve_vcc 0
		.amdhsa_float_round_mode_32 0
		.amdhsa_float_round_mode_16_64 0
		.amdhsa_float_denorm_mode_32 3
		.amdhsa_float_denorm_mode_16_64 3
		.amdhsa_dx10_clamp 1
		.amdhsa_ieee_mode 1
		.amdhsa_fp16_overflow 0
		.amdhsa_workgroup_processor_mode 1
		.amdhsa_memory_ordered 1
		.amdhsa_forward_progress 0
		.amdhsa_shared_vgpr_count 0
		.amdhsa_exception_fp_ieee_invalid_op 0
		.amdhsa_exception_fp_denorm_src 0
		.amdhsa_exception_fp_ieee_div_zero 0
		.amdhsa_exception_fp_ieee_overflow 0
		.amdhsa_exception_fp_ieee_underflow 0
		.amdhsa_exception_fp_ieee_inexact 0
		.amdhsa_exception_int_div_zero 0
	.end_amdhsa_kernel
	.section	.text._ZN7rocprim17ROCPRIM_400000_NS6detail17trampoline_kernelINS0_14default_configENS1_25transform_config_selectorIlLb0EEEZNS1_14transform_implILb0ES3_S5_NS0_18transform_iteratorINS0_17counting_iteratorImlEEZNS1_24adjacent_difference_implIS3_Lb1ELb0EPlSB_ZN2at6native12_GLOBAL__N_124unique_dim_cuda_templateImEESt5tupleIJNSC_6TensorESH_SH_EERKSH_lbbbEUlllE1_EE10hipError_tPvRmT2_T3_mT4_P12ihipStream_tbEUlmE_lEESB_NS0_8identityIvEEEESM_SP_SQ_mSR_ST_bEUlT_E_NS1_11comp_targetILNS1_3genE3ELNS1_11target_archE908ELNS1_3gpuE7ELNS1_3repE0EEENS1_30default_config_static_selectorELNS0_4arch9wavefront6targetE0EEEvT1_,"axG",@progbits,_ZN7rocprim17ROCPRIM_400000_NS6detail17trampoline_kernelINS0_14default_configENS1_25transform_config_selectorIlLb0EEEZNS1_14transform_implILb0ES3_S5_NS0_18transform_iteratorINS0_17counting_iteratorImlEEZNS1_24adjacent_difference_implIS3_Lb1ELb0EPlSB_ZN2at6native12_GLOBAL__N_124unique_dim_cuda_templateImEESt5tupleIJNSC_6TensorESH_SH_EERKSH_lbbbEUlllE1_EE10hipError_tPvRmT2_T3_mT4_P12ihipStream_tbEUlmE_lEESB_NS0_8identityIvEEEESM_SP_SQ_mSR_ST_bEUlT_E_NS1_11comp_targetILNS1_3genE3ELNS1_11target_archE908ELNS1_3gpuE7ELNS1_3repE0EEENS1_30default_config_static_selectorELNS0_4arch9wavefront6targetE0EEEvT1_,comdat
.Lfunc_end1647:
	.size	_ZN7rocprim17ROCPRIM_400000_NS6detail17trampoline_kernelINS0_14default_configENS1_25transform_config_selectorIlLb0EEEZNS1_14transform_implILb0ES3_S5_NS0_18transform_iteratorINS0_17counting_iteratorImlEEZNS1_24adjacent_difference_implIS3_Lb1ELb0EPlSB_ZN2at6native12_GLOBAL__N_124unique_dim_cuda_templateImEESt5tupleIJNSC_6TensorESH_SH_EERKSH_lbbbEUlllE1_EE10hipError_tPvRmT2_T3_mT4_P12ihipStream_tbEUlmE_lEESB_NS0_8identityIvEEEESM_SP_SQ_mSR_ST_bEUlT_E_NS1_11comp_targetILNS1_3genE3ELNS1_11target_archE908ELNS1_3gpuE7ELNS1_3repE0EEENS1_30default_config_static_selectorELNS0_4arch9wavefront6targetE0EEEvT1_, .Lfunc_end1647-_ZN7rocprim17ROCPRIM_400000_NS6detail17trampoline_kernelINS0_14default_configENS1_25transform_config_selectorIlLb0EEEZNS1_14transform_implILb0ES3_S5_NS0_18transform_iteratorINS0_17counting_iteratorImlEEZNS1_24adjacent_difference_implIS3_Lb1ELb0EPlSB_ZN2at6native12_GLOBAL__N_124unique_dim_cuda_templateImEESt5tupleIJNSC_6TensorESH_SH_EERKSH_lbbbEUlllE1_EE10hipError_tPvRmT2_T3_mT4_P12ihipStream_tbEUlmE_lEESB_NS0_8identityIvEEEESM_SP_SQ_mSR_ST_bEUlT_E_NS1_11comp_targetILNS1_3genE3ELNS1_11target_archE908ELNS1_3gpuE7ELNS1_3repE0EEENS1_30default_config_static_selectorELNS0_4arch9wavefront6targetE0EEEvT1_
                                        ; -- End function
	.section	.AMDGPU.csdata,"",@progbits
; Kernel info:
; codeLenInByte = 0
; NumSgprs: 0
; NumVgprs: 0
; ScratchSize: 0
; MemoryBound: 0
; FloatMode: 240
; IeeeMode: 1
; LDSByteSize: 0 bytes/workgroup (compile time only)
; SGPRBlocks: 0
; VGPRBlocks: 0
; NumSGPRsForWavesPerEU: 1
; NumVGPRsForWavesPerEU: 1
; Occupancy: 16
; WaveLimiterHint : 0
; COMPUTE_PGM_RSRC2:SCRATCH_EN: 0
; COMPUTE_PGM_RSRC2:USER_SGPR: 15
; COMPUTE_PGM_RSRC2:TRAP_HANDLER: 0
; COMPUTE_PGM_RSRC2:TGID_X_EN: 1
; COMPUTE_PGM_RSRC2:TGID_Y_EN: 0
; COMPUTE_PGM_RSRC2:TGID_Z_EN: 0
; COMPUTE_PGM_RSRC2:TIDIG_COMP_CNT: 0
	.section	.text._ZN7rocprim17ROCPRIM_400000_NS6detail17trampoline_kernelINS0_14default_configENS1_25transform_config_selectorIlLb0EEEZNS1_14transform_implILb0ES3_S5_NS0_18transform_iteratorINS0_17counting_iteratorImlEEZNS1_24adjacent_difference_implIS3_Lb1ELb0EPlSB_ZN2at6native12_GLOBAL__N_124unique_dim_cuda_templateImEESt5tupleIJNSC_6TensorESH_SH_EERKSH_lbbbEUlllE1_EE10hipError_tPvRmT2_T3_mT4_P12ihipStream_tbEUlmE_lEESB_NS0_8identityIvEEEESM_SP_SQ_mSR_ST_bEUlT_E_NS1_11comp_targetILNS1_3genE2ELNS1_11target_archE906ELNS1_3gpuE6ELNS1_3repE0EEENS1_30default_config_static_selectorELNS0_4arch9wavefront6targetE0EEEvT1_,"axG",@progbits,_ZN7rocprim17ROCPRIM_400000_NS6detail17trampoline_kernelINS0_14default_configENS1_25transform_config_selectorIlLb0EEEZNS1_14transform_implILb0ES3_S5_NS0_18transform_iteratorINS0_17counting_iteratorImlEEZNS1_24adjacent_difference_implIS3_Lb1ELb0EPlSB_ZN2at6native12_GLOBAL__N_124unique_dim_cuda_templateImEESt5tupleIJNSC_6TensorESH_SH_EERKSH_lbbbEUlllE1_EE10hipError_tPvRmT2_T3_mT4_P12ihipStream_tbEUlmE_lEESB_NS0_8identityIvEEEESM_SP_SQ_mSR_ST_bEUlT_E_NS1_11comp_targetILNS1_3genE2ELNS1_11target_archE906ELNS1_3gpuE6ELNS1_3repE0EEENS1_30default_config_static_selectorELNS0_4arch9wavefront6targetE0EEEvT1_,comdat
	.globl	_ZN7rocprim17ROCPRIM_400000_NS6detail17trampoline_kernelINS0_14default_configENS1_25transform_config_selectorIlLb0EEEZNS1_14transform_implILb0ES3_S5_NS0_18transform_iteratorINS0_17counting_iteratorImlEEZNS1_24adjacent_difference_implIS3_Lb1ELb0EPlSB_ZN2at6native12_GLOBAL__N_124unique_dim_cuda_templateImEESt5tupleIJNSC_6TensorESH_SH_EERKSH_lbbbEUlllE1_EE10hipError_tPvRmT2_T3_mT4_P12ihipStream_tbEUlmE_lEESB_NS0_8identityIvEEEESM_SP_SQ_mSR_ST_bEUlT_E_NS1_11comp_targetILNS1_3genE2ELNS1_11target_archE906ELNS1_3gpuE6ELNS1_3repE0EEENS1_30default_config_static_selectorELNS0_4arch9wavefront6targetE0EEEvT1_ ; -- Begin function _ZN7rocprim17ROCPRIM_400000_NS6detail17trampoline_kernelINS0_14default_configENS1_25transform_config_selectorIlLb0EEEZNS1_14transform_implILb0ES3_S5_NS0_18transform_iteratorINS0_17counting_iteratorImlEEZNS1_24adjacent_difference_implIS3_Lb1ELb0EPlSB_ZN2at6native12_GLOBAL__N_124unique_dim_cuda_templateImEESt5tupleIJNSC_6TensorESH_SH_EERKSH_lbbbEUlllE1_EE10hipError_tPvRmT2_T3_mT4_P12ihipStream_tbEUlmE_lEESB_NS0_8identityIvEEEESM_SP_SQ_mSR_ST_bEUlT_E_NS1_11comp_targetILNS1_3genE2ELNS1_11target_archE906ELNS1_3gpuE6ELNS1_3repE0EEENS1_30default_config_static_selectorELNS0_4arch9wavefront6targetE0EEEvT1_
	.p2align	8
	.type	_ZN7rocprim17ROCPRIM_400000_NS6detail17trampoline_kernelINS0_14default_configENS1_25transform_config_selectorIlLb0EEEZNS1_14transform_implILb0ES3_S5_NS0_18transform_iteratorINS0_17counting_iteratorImlEEZNS1_24adjacent_difference_implIS3_Lb1ELb0EPlSB_ZN2at6native12_GLOBAL__N_124unique_dim_cuda_templateImEESt5tupleIJNSC_6TensorESH_SH_EERKSH_lbbbEUlllE1_EE10hipError_tPvRmT2_T3_mT4_P12ihipStream_tbEUlmE_lEESB_NS0_8identityIvEEEESM_SP_SQ_mSR_ST_bEUlT_E_NS1_11comp_targetILNS1_3genE2ELNS1_11target_archE906ELNS1_3gpuE6ELNS1_3repE0EEENS1_30default_config_static_selectorELNS0_4arch9wavefront6targetE0EEEvT1_,@function
_ZN7rocprim17ROCPRIM_400000_NS6detail17trampoline_kernelINS0_14default_configENS1_25transform_config_selectorIlLb0EEEZNS1_14transform_implILb0ES3_S5_NS0_18transform_iteratorINS0_17counting_iteratorImlEEZNS1_24adjacent_difference_implIS3_Lb1ELb0EPlSB_ZN2at6native12_GLOBAL__N_124unique_dim_cuda_templateImEESt5tupleIJNSC_6TensorESH_SH_EERKSH_lbbbEUlllE1_EE10hipError_tPvRmT2_T3_mT4_P12ihipStream_tbEUlmE_lEESB_NS0_8identityIvEEEESM_SP_SQ_mSR_ST_bEUlT_E_NS1_11comp_targetILNS1_3genE2ELNS1_11target_archE906ELNS1_3gpuE6ELNS1_3repE0EEENS1_30default_config_static_selectorELNS0_4arch9wavefront6targetE0EEEvT1_: ; @_ZN7rocprim17ROCPRIM_400000_NS6detail17trampoline_kernelINS0_14default_configENS1_25transform_config_selectorIlLb0EEEZNS1_14transform_implILb0ES3_S5_NS0_18transform_iteratorINS0_17counting_iteratorImlEEZNS1_24adjacent_difference_implIS3_Lb1ELb0EPlSB_ZN2at6native12_GLOBAL__N_124unique_dim_cuda_templateImEESt5tupleIJNSC_6TensorESH_SH_EERKSH_lbbbEUlllE1_EE10hipError_tPvRmT2_T3_mT4_P12ihipStream_tbEUlmE_lEESB_NS0_8identityIvEEEESM_SP_SQ_mSR_ST_bEUlT_E_NS1_11comp_targetILNS1_3genE2ELNS1_11target_archE906ELNS1_3gpuE6ELNS1_3repE0EEENS1_30default_config_static_selectorELNS0_4arch9wavefront6targetE0EEEvT1_
; %bb.0:
	.section	.rodata,"a",@progbits
	.p2align	6, 0x0
	.amdhsa_kernel _ZN7rocprim17ROCPRIM_400000_NS6detail17trampoline_kernelINS0_14default_configENS1_25transform_config_selectorIlLb0EEEZNS1_14transform_implILb0ES3_S5_NS0_18transform_iteratorINS0_17counting_iteratorImlEEZNS1_24adjacent_difference_implIS3_Lb1ELb0EPlSB_ZN2at6native12_GLOBAL__N_124unique_dim_cuda_templateImEESt5tupleIJNSC_6TensorESH_SH_EERKSH_lbbbEUlllE1_EE10hipError_tPvRmT2_T3_mT4_P12ihipStream_tbEUlmE_lEESB_NS0_8identityIvEEEESM_SP_SQ_mSR_ST_bEUlT_E_NS1_11comp_targetILNS1_3genE2ELNS1_11target_archE906ELNS1_3gpuE6ELNS1_3repE0EEENS1_30default_config_static_selectorELNS0_4arch9wavefront6targetE0EEEvT1_
		.amdhsa_group_segment_fixed_size 0
		.amdhsa_private_segment_fixed_size 0
		.amdhsa_kernarg_size 56
		.amdhsa_user_sgpr_count 15
		.amdhsa_user_sgpr_dispatch_ptr 0
		.amdhsa_user_sgpr_queue_ptr 0
		.amdhsa_user_sgpr_kernarg_segment_ptr 1
		.amdhsa_user_sgpr_dispatch_id 0
		.amdhsa_user_sgpr_private_segment_size 0
		.amdhsa_wavefront_size32 1
		.amdhsa_uses_dynamic_stack 0
		.amdhsa_enable_private_segment 0
		.amdhsa_system_sgpr_workgroup_id_x 1
		.amdhsa_system_sgpr_workgroup_id_y 0
		.amdhsa_system_sgpr_workgroup_id_z 0
		.amdhsa_system_sgpr_workgroup_info 0
		.amdhsa_system_vgpr_workitem_id 0
		.amdhsa_next_free_vgpr 1
		.amdhsa_next_free_sgpr 1
		.amdhsa_reserve_vcc 0
		.amdhsa_float_round_mode_32 0
		.amdhsa_float_round_mode_16_64 0
		.amdhsa_float_denorm_mode_32 3
		.amdhsa_float_denorm_mode_16_64 3
		.amdhsa_dx10_clamp 1
		.amdhsa_ieee_mode 1
		.amdhsa_fp16_overflow 0
		.amdhsa_workgroup_processor_mode 1
		.amdhsa_memory_ordered 1
		.amdhsa_forward_progress 0
		.amdhsa_shared_vgpr_count 0
		.amdhsa_exception_fp_ieee_invalid_op 0
		.amdhsa_exception_fp_denorm_src 0
		.amdhsa_exception_fp_ieee_div_zero 0
		.amdhsa_exception_fp_ieee_overflow 0
		.amdhsa_exception_fp_ieee_underflow 0
		.amdhsa_exception_fp_ieee_inexact 0
		.amdhsa_exception_int_div_zero 0
	.end_amdhsa_kernel
	.section	.text._ZN7rocprim17ROCPRIM_400000_NS6detail17trampoline_kernelINS0_14default_configENS1_25transform_config_selectorIlLb0EEEZNS1_14transform_implILb0ES3_S5_NS0_18transform_iteratorINS0_17counting_iteratorImlEEZNS1_24adjacent_difference_implIS3_Lb1ELb0EPlSB_ZN2at6native12_GLOBAL__N_124unique_dim_cuda_templateImEESt5tupleIJNSC_6TensorESH_SH_EERKSH_lbbbEUlllE1_EE10hipError_tPvRmT2_T3_mT4_P12ihipStream_tbEUlmE_lEESB_NS0_8identityIvEEEESM_SP_SQ_mSR_ST_bEUlT_E_NS1_11comp_targetILNS1_3genE2ELNS1_11target_archE906ELNS1_3gpuE6ELNS1_3repE0EEENS1_30default_config_static_selectorELNS0_4arch9wavefront6targetE0EEEvT1_,"axG",@progbits,_ZN7rocprim17ROCPRIM_400000_NS6detail17trampoline_kernelINS0_14default_configENS1_25transform_config_selectorIlLb0EEEZNS1_14transform_implILb0ES3_S5_NS0_18transform_iteratorINS0_17counting_iteratorImlEEZNS1_24adjacent_difference_implIS3_Lb1ELb0EPlSB_ZN2at6native12_GLOBAL__N_124unique_dim_cuda_templateImEESt5tupleIJNSC_6TensorESH_SH_EERKSH_lbbbEUlllE1_EE10hipError_tPvRmT2_T3_mT4_P12ihipStream_tbEUlmE_lEESB_NS0_8identityIvEEEESM_SP_SQ_mSR_ST_bEUlT_E_NS1_11comp_targetILNS1_3genE2ELNS1_11target_archE906ELNS1_3gpuE6ELNS1_3repE0EEENS1_30default_config_static_selectorELNS0_4arch9wavefront6targetE0EEEvT1_,comdat
.Lfunc_end1648:
	.size	_ZN7rocprim17ROCPRIM_400000_NS6detail17trampoline_kernelINS0_14default_configENS1_25transform_config_selectorIlLb0EEEZNS1_14transform_implILb0ES3_S5_NS0_18transform_iteratorINS0_17counting_iteratorImlEEZNS1_24adjacent_difference_implIS3_Lb1ELb0EPlSB_ZN2at6native12_GLOBAL__N_124unique_dim_cuda_templateImEESt5tupleIJNSC_6TensorESH_SH_EERKSH_lbbbEUlllE1_EE10hipError_tPvRmT2_T3_mT4_P12ihipStream_tbEUlmE_lEESB_NS0_8identityIvEEEESM_SP_SQ_mSR_ST_bEUlT_E_NS1_11comp_targetILNS1_3genE2ELNS1_11target_archE906ELNS1_3gpuE6ELNS1_3repE0EEENS1_30default_config_static_selectorELNS0_4arch9wavefront6targetE0EEEvT1_, .Lfunc_end1648-_ZN7rocprim17ROCPRIM_400000_NS6detail17trampoline_kernelINS0_14default_configENS1_25transform_config_selectorIlLb0EEEZNS1_14transform_implILb0ES3_S5_NS0_18transform_iteratorINS0_17counting_iteratorImlEEZNS1_24adjacent_difference_implIS3_Lb1ELb0EPlSB_ZN2at6native12_GLOBAL__N_124unique_dim_cuda_templateImEESt5tupleIJNSC_6TensorESH_SH_EERKSH_lbbbEUlllE1_EE10hipError_tPvRmT2_T3_mT4_P12ihipStream_tbEUlmE_lEESB_NS0_8identityIvEEEESM_SP_SQ_mSR_ST_bEUlT_E_NS1_11comp_targetILNS1_3genE2ELNS1_11target_archE906ELNS1_3gpuE6ELNS1_3repE0EEENS1_30default_config_static_selectorELNS0_4arch9wavefront6targetE0EEEvT1_
                                        ; -- End function
	.section	.AMDGPU.csdata,"",@progbits
; Kernel info:
; codeLenInByte = 0
; NumSgprs: 0
; NumVgprs: 0
; ScratchSize: 0
; MemoryBound: 0
; FloatMode: 240
; IeeeMode: 1
; LDSByteSize: 0 bytes/workgroup (compile time only)
; SGPRBlocks: 0
; VGPRBlocks: 0
; NumSGPRsForWavesPerEU: 1
; NumVGPRsForWavesPerEU: 1
; Occupancy: 16
; WaveLimiterHint : 0
; COMPUTE_PGM_RSRC2:SCRATCH_EN: 0
; COMPUTE_PGM_RSRC2:USER_SGPR: 15
; COMPUTE_PGM_RSRC2:TRAP_HANDLER: 0
; COMPUTE_PGM_RSRC2:TGID_X_EN: 1
; COMPUTE_PGM_RSRC2:TGID_Y_EN: 0
; COMPUTE_PGM_RSRC2:TGID_Z_EN: 0
; COMPUTE_PGM_RSRC2:TIDIG_COMP_CNT: 0
	.section	.text._ZN7rocprim17ROCPRIM_400000_NS6detail17trampoline_kernelINS0_14default_configENS1_25transform_config_selectorIlLb0EEEZNS1_14transform_implILb0ES3_S5_NS0_18transform_iteratorINS0_17counting_iteratorImlEEZNS1_24adjacent_difference_implIS3_Lb1ELb0EPlSB_ZN2at6native12_GLOBAL__N_124unique_dim_cuda_templateImEESt5tupleIJNSC_6TensorESH_SH_EERKSH_lbbbEUlllE1_EE10hipError_tPvRmT2_T3_mT4_P12ihipStream_tbEUlmE_lEESB_NS0_8identityIvEEEESM_SP_SQ_mSR_ST_bEUlT_E_NS1_11comp_targetILNS1_3genE10ELNS1_11target_archE1201ELNS1_3gpuE5ELNS1_3repE0EEENS1_30default_config_static_selectorELNS0_4arch9wavefront6targetE0EEEvT1_,"axG",@progbits,_ZN7rocprim17ROCPRIM_400000_NS6detail17trampoline_kernelINS0_14default_configENS1_25transform_config_selectorIlLb0EEEZNS1_14transform_implILb0ES3_S5_NS0_18transform_iteratorINS0_17counting_iteratorImlEEZNS1_24adjacent_difference_implIS3_Lb1ELb0EPlSB_ZN2at6native12_GLOBAL__N_124unique_dim_cuda_templateImEESt5tupleIJNSC_6TensorESH_SH_EERKSH_lbbbEUlllE1_EE10hipError_tPvRmT2_T3_mT4_P12ihipStream_tbEUlmE_lEESB_NS0_8identityIvEEEESM_SP_SQ_mSR_ST_bEUlT_E_NS1_11comp_targetILNS1_3genE10ELNS1_11target_archE1201ELNS1_3gpuE5ELNS1_3repE0EEENS1_30default_config_static_selectorELNS0_4arch9wavefront6targetE0EEEvT1_,comdat
	.globl	_ZN7rocprim17ROCPRIM_400000_NS6detail17trampoline_kernelINS0_14default_configENS1_25transform_config_selectorIlLb0EEEZNS1_14transform_implILb0ES3_S5_NS0_18transform_iteratorINS0_17counting_iteratorImlEEZNS1_24adjacent_difference_implIS3_Lb1ELb0EPlSB_ZN2at6native12_GLOBAL__N_124unique_dim_cuda_templateImEESt5tupleIJNSC_6TensorESH_SH_EERKSH_lbbbEUlllE1_EE10hipError_tPvRmT2_T3_mT4_P12ihipStream_tbEUlmE_lEESB_NS0_8identityIvEEEESM_SP_SQ_mSR_ST_bEUlT_E_NS1_11comp_targetILNS1_3genE10ELNS1_11target_archE1201ELNS1_3gpuE5ELNS1_3repE0EEENS1_30default_config_static_selectorELNS0_4arch9wavefront6targetE0EEEvT1_ ; -- Begin function _ZN7rocprim17ROCPRIM_400000_NS6detail17trampoline_kernelINS0_14default_configENS1_25transform_config_selectorIlLb0EEEZNS1_14transform_implILb0ES3_S5_NS0_18transform_iteratorINS0_17counting_iteratorImlEEZNS1_24adjacent_difference_implIS3_Lb1ELb0EPlSB_ZN2at6native12_GLOBAL__N_124unique_dim_cuda_templateImEESt5tupleIJNSC_6TensorESH_SH_EERKSH_lbbbEUlllE1_EE10hipError_tPvRmT2_T3_mT4_P12ihipStream_tbEUlmE_lEESB_NS0_8identityIvEEEESM_SP_SQ_mSR_ST_bEUlT_E_NS1_11comp_targetILNS1_3genE10ELNS1_11target_archE1201ELNS1_3gpuE5ELNS1_3repE0EEENS1_30default_config_static_selectorELNS0_4arch9wavefront6targetE0EEEvT1_
	.p2align	8
	.type	_ZN7rocprim17ROCPRIM_400000_NS6detail17trampoline_kernelINS0_14default_configENS1_25transform_config_selectorIlLb0EEEZNS1_14transform_implILb0ES3_S5_NS0_18transform_iteratorINS0_17counting_iteratorImlEEZNS1_24adjacent_difference_implIS3_Lb1ELb0EPlSB_ZN2at6native12_GLOBAL__N_124unique_dim_cuda_templateImEESt5tupleIJNSC_6TensorESH_SH_EERKSH_lbbbEUlllE1_EE10hipError_tPvRmT2_T3_mT4_P12ihipStream_tbEUlmE_lEESB_NS0_8identityIvEEEESM_SP_SQ_mSR_ST_bEUlT_E_NS1_11comp_targetILNS1_3genE10ELNS1_11target_archE1201ELNS1_3gpuE5ELNS1_3repE0EEENS1_30default_config_static_selectorELNS0_4arch9wavefront6targetE0EEEvT1_,@function
_ZN7rocprim17ROCPRIM_400000_NS6detail17trampoline_kernelINS0_14default_configENS1_25transform_config_selectorIlLb0EEEZNS1_14transform_implILb0ES3_S5_NS0_18transform_iteratorINS0_17counting_iteratorImlEEZNS1_24adjacent_difference_implIS3_Lb1ELb0EPlSB_ZN2at6native12_GLOBAL__N_124unique_dim_cuda_templateImEESt5tupleIJNSC_6TensorESH_SH_EERKSH_lbbbEUlllE1_EE10hipError_tPvRmT2_T3_mT4_P12ihipStream_tbEUlmE_lEESB_NS0_8identityIvEEEESM_SP_SQ_mSR_ST_bEUlT_E_NS1_11comp_targetILNS1_3genE10ELNS1_11target_archE1201ELNS1_3gpuE5ELNS1_3repE0EEENS1_30default_config_static_selectorELNS0_4arch9wavefront6targetE0EEEvT1_: ; @_ZN7rocprim17ROCPRIM_400000_NS6detail17trampoline_kernelINS0_14default_configENS1_25transform_config_selectorIlLb0EEEZNS1_14transform_implILb0ES3_S5_NS0_18transform_iteratorINS0_17counting_iteratorImlEEZNS1_24adjacent_difference_implIS3_Lb1ELb0EPlSB_ZN2at6native12_GLOBAL__N_124unique_dim_cuda_templateImEESt5tupleIJNSC_6TensorESH_SH_EERKSH_lbbbEUlllE1_EE10hipError_tPvRmT2_T3_mT4_P12ihipStream_tbEUlmE_lEESB_NS0_8identityIvEEEESM_SP_SQ_mSR_ST_bEUlT_E_NS1_11comp_targetILNS1_3genE10ELNS1_11target_archE1201ELNS1_3gpuE5ELNS1_3repE0EEENS1_30default_config_static_selectorELNS0_4arch9wavefront6targetE0EEEvT1_
; %bb.0:
	.section	.rodata,"a",@progbits
	.p2align	6, 0x0
	.amdhsa_kernel _ZN7rocprim17ROCPRIM_400000_NS6detail17trampoline_kernelINS0_14default_configENS1_25transform_config_selectorIlLb0EEEZNS1_14transform_implILb0ES3_S5_NS0_18transform_iteratorINS0_17counting_iteratorImlEEZNS1_24adjacent_difference_implIS3_Lb1ELb0EPlSB_ZN2at6native12_GLOBAL__N_124unique_dim_cuda_templateImEESt5tupleIJNSC_6TensorESH_SH_EERKSH_lbbbEUlllE1_EE10hipError_tPvRmT2_T3_mT4_P12ihipStream_tbEUlmE_lEESB_NS0_8identityIvEEEESM_SP_SQ_mSR_ST_bEUlT_E_NS1_11comp_targetILNS1_3genE10ELNS1_11target_archE1201ELNS1_3gpuE5ELNS1_3repE0EEENS1_30default_config_static_selectorELNS0_4arch9wavefront6targetE0EEEvT1_
		.amdhsa_group_segment_fixed_size 0
		.amdhsa_private_segment_fixed_size 0
		.amdhsa_kernarg_size 56
		.amdhsa_user_sgpr_count 15
		.amdhsa_user_sgpr_dispatch_ptr 0
		.amdhsa_user_sgpr_queue_ptr 0
		.amdhsa_user_sgpr_kernarg_segment_ptr 1
		.amdhsa_user_sgpr_dispatch_id 0
		.amdhsa_user_sgpr_private_segment_size 0
		.amdhsa_wavefront_size32 1
		.amdhsa_uses_dynamic_stack 0
		.amdhsa_enable_private_segment 0
		.amdhsa_system_sgpr_workgroup_id_x 1
		.amdhsa_system_sgpr_workgroup_id_y 0
		.amdhsa_system_sgpr_workgroup_id_z 0
		.amdhsa_system_sgpr_workgroup_info 0
		.amdhsa_system_vgpr_workitem_id 0
		.amdhsa_next_free_vgpr 1
		.amdhsa_next_free_sgpr 1
		.amdhsa_reserve_vcc 0
		.amdhsa_float_round_mode_32 0
		.amdhsa_float_round_mode_16_64 0
		.amdhsa_float_denorm_mode_32 3
		.amdhsa_float_denorm_mode_16_64 3
		.amdhsa_dx10_clamp 1
		.amdhsa_ieee_mode 1
		.amdhsa_fp16_overflow 0
		.amdhsa_workgroup_processor_mode 1
		.amdhsa_memory_ordered 1
		.amdhsa_forward_progress 0
		.amdhsa_shared_vgpr_count 0
		.amdhsa_exception_fp_ieee_invalid_op 0
		.amdhsa_exception_fp_denorm_src 0
		.amdhsa_exception_fp_ieee_div_zero 0
		.amdhsa_exception_fp_ieee_overflow 0
		.amdhsa_exception_fp_ieee_underflow 0
		.amdhsa_exception_fp_ieee_inexact 0
		.amdhsa_exception_int_div_zero 0
	.end_amdhsa_kernel
	.section	.text._ZN7rocprim17ROCPRIM_400000_NS6detail17trampoline_kernelINS0_14default_configENS1_25transform_config_selectorIlLb0EEEZNS1_14transform_implILb0ES3_S5_NS0_18transform_iteratorINS0_17counting_iteratorImlEEZNS1_24adjacent_difference_implIS3_Lb1ELb0EPlSB_ZN2at6native12_GLOBAL__N_124unique_dim_cuda_templateImEESt5tupleIJNSC_6TensorESH_SH_EERKSH_lbbbEUlllE1_EE10hipError_tPvRmT2_T3_mT4_P12ihipStream_tbEUlmE_lEESB_NS0_8identityIvEEEESM_SP_SQ_mSR_ST_bEUlT_E_NS1_11comp_targetILNS1_3genE10ELNS1_11target_archE1201ELNS1_3gpuE5ELNS1_3repE0EEENS1_30default_config_static_selectorELNS0_4arch9wavefront6targetE0EEEvT1_,"axG",@progbits,_ZN7rocprim17ROCPRIM_400000_NS6detail17trampoline_kernelINS0_14default_configENS1_25transform_config_selectorIlLb0EEEZNS1_14transform_implILb0ES3_S5_NS0_18transform_iteratorINS0_17counting_iteratorImlEEZNS1_24adjacent_difference_implIS3_Lb1ELb0EPlSB_ZN2at6native12_GLOBAL__N_124unique_dim_cuda_templateImEESt5tupleIJNSC_6TensorESH_SH_EERKSH_lbbbEUlllE1_EE10hipError_tPvRmT2_T3_mT4_P12ihipStream_tbEUlmE_lEESB_NS0_8identityIvEEEESM_SP_SQ_mSR_ST_bEUlT_E_NS1_11comp_targetILNS1_3genE10ELNS1_11target_archE1201ELNS1_3gpuE5ELNS1_3repE0EEENS1_30default_config_static_selectorELNS0_4arch9wavefront6targetE0EEEvT1_,comdat
.Lfunc_end1649:
	.size	_ZN7rocprim17ROCPRIM_400000_NS6detail17trampoline_kernelINS0_14default_configENS1_25transform_config_selectorIlLb0EEEZNS1_14transform_implILb0ES3_S5_NS0_18transform_iteratorINS0_17counting_iteratorImlEEZNS1_24adjacent_difference_implIS3_Lb1ELb0EPlSB_ZN2at6native12_GLOBAL__N_124unique_dim_cuda_templateImEESt5tupleIJNSC_6TensorESH_SH_EERKSH_lbbbEUlllE1_EE10hipError_tPvRmT2_T3_mT4_P12ihipStream_tbEUlmE_lEESB_NS0_8identityIvEEEESM_SP_SQ_mSR_ST_bEUlT_E_NS1_11comp_targetILNS1_3genE10ELNS1_11target_archE1201ELNS1_3gpuE5ELNS1_3repE0EEENS1_30default_config_static_selectorELNS0_4arch9wavefront6targetE0EEEvT1_, .Lfunc_end1649-_ZN7rocprim17ROCPRIM_400000_NS6detail17trampoline_kernelINS0_14default_configENS1_25transform_config_selectorIlLb0EEEZNS1_14transform_implILb0ES3_S5_NS0_18transform_iteratorINS0_17counting_iteratorImlEEZNS1_24adjacent_difference_implIS3_Lb1ELb0EPlSB_ZN2at6native12_GLOBAL__N_124unique_dim_cuda_templateImEESt5tupleIJNSC_6TensorESH_SH_EERKSH_lbbbEUlllE1_EE10hipError_tPvRmT2_T3_mT4_P12ihipStream_tbEUlmE_lEESB_NS0_8identityIvEEEESM_SP_SQ_mSR_ST_bEUlT_E_NS1_11comp_targetILNS1_3genE10ELNS1_11target_archE1201ELNS1_3gpuE5ELNS1_3repE0EEENS1_30default_config_static_selectorELNS0_4arch9wavefront6targetE0EEEvT1_
                                        ; -- End function
	.section	.AMDGPU.csdata,"",@progbits
; Kernel info:
; codeLenInByte = 0
; NumSgprs: 0
; NumVgprs: 0
; ScratchSize: 0
; MemoryBound: 0
; FloatMode: 240
; IeeeMode: 1
; LDSByteSize: 0 bytes/workgroup (compile time only)
; SGPRBlocks: 0
; VGPRBlocks: 0
; NumSGPRsForWavesPerEU: 1
; NumVGPRsForWavesPerEU: 1
; Occupancy: 16
; WaveLimiterHint : 0
; COMPUTE_PGM_RSRC2:SCRATCH_EN: 0
; COMPUTE_PGM_RSRC2:USER_SGPR: 15
; COMPUTE_PGM_RSRC2:TRAP_HANDLER: 0
; COMPUTE_PGM_RSRC2:TGID_X_EN: 1
; COMPUTE_PGM_RSRC2:TGID_Y_EN: 0
; COMPUTE_PGM_RSRC2:TGID_Z_EN: 0
; COMPUTE_PGM_RSRC2:TIDIG_COMP_CNT: 0
	.section	.text._ZN7rocprim17ROCPRIM_400000_NS6detail17trampoline_kernelINS0_14default_configENS1_25transform_config_selectorIlLb0EEEZNS1_14transform_implILb0ES3_S5_NS0_18transform_iteratorINS0_17counting_iteratorImlEEZNS1_24adjacent_difference_implIS3_Lb1ELb0EPlSB_ZN2at6native12_GLOBAL__N_124unique_dim_cuda_templateImEESt5tupleIJNSC_6TensorESH_SH_EERKSH_lbbbEUlllE1_EE10hipError_tPvRmT2_T3_mT4_P12ihipStream_tbEUlmE_lEESB_NS0_8identityIvEEEESM_SP_SQ_mSR_ST_bEUlT_E_NS1_11comp_targetILNS1_3genE10ELNS1_11target_archE1200ELNS1_3gpuE4ELNS1_3repE0EEENS1_30default_config_static_selectorELNS0_4arch9wavefront6targetE0EEEvT1_,"axG",@progbits,_ZN7rocprim17ROCPRIM_400000_NS6detail17trampoline_kernelINS0_14default_configENS1_25transform_config_selectorIlLb0EEEZNS1_14transform_implILb0ES3_S5_NS0_18transform_iteratorINS0_17counting_iteratorImlEEZNS1_24adjacent_difference_implIS3_Lb1ELb0EPlSB_ZN2at6native12_GLOBAL__N_124unique_dim_cuda_templateImEESt5tupleIJNSC_6TensorESH_SH_EERKSH_lbbbEUlllE1_EE10hipError_tPvRmT2_T3_mT4_P12ihipStream_tbEUlmE_lEESB_NS0_8identityIvEEEESM_SP_SQ_mSR_ST_bEUlT_E_NS1_11comp_targetILNS1_3genE10ELNS1_11target_archE1200ELNS1_3gpuE4ELNS1_3repE0EEENS1_30default_config_static_selectorELNS0_4arch9wavefront6targetE0EEEvT1_,comdat
	.globl	_ZN7rocprim17ROCPRIM_400000_NS6detail17trampoline_kernelINS0_14default_configENS1_25transform_config_selectorIlLb0EEEZNS1_14transform_implILb0ES3_S5_NS0_18transform_iteratorINS0_17counting_iteratorImlEEZNS1_24adjacent_difference_implIS3_Lb1ELb0EPlSB_ZN2at6native12_GLOBAL__N_124unique_dim_cuda_templateImEESt5tupleIJNSC_6TensorESH_SH_EERKSH_lbbbEUlllE1_EE10hipError_tPvRmT2_T3_mT4_P12ihipStream_tbEUlmE_lEESB_NS0_8identityIvEEEESM_SP_SQ_mSR_ST_bEUlT_E_NS1_11comp_targetILNS1_3genE10ELNS1_11target_archE1200ELNS1_3gpuE4ELNS1_3repE0EEENS1_30default_config_static_selectorELNS0_4arch9wavefront6targetE0EEEvT1_ ; -- Begin function _ZN7rocprim17ROCPRIM_400000_NS6detail17trampoline_kernelINS0_14default_configENS1_25transform_config_selectorIlLb0EEEZNS1_14transform_implILb0ES3_S5_NS0_18transform_iteratorINS0_17counting_iteratorImlEEZNS1_24adjacent_difference_implIS3_Lb1ELb0EPlSB_ZN2at6native12_GLOBAL__N_124unique_dim_cuda_templateImEESt5tupleIJNSC_6TensorESH_SH_EERKSH_lbbbEUlllE1_EE10hipError_tPvRmT2_T3_mT4_P12ihipStream_tbEUlmE_lEESB_NS0_8identityIvEEEESM_SP_SQ_mSR_ST_bEUlT_E_NS1_11comp_targetILNS1_3genE10ELNS1_11target_archE1200ELNS1_3gpuE4ELNS1_3repE0EEENS1_30default_config_static_selectorELNS0_4arch9wavefront6targetE0EEEvT1_
	.p2align	8
	.type	_ZN7rocprim17ROCPRIM_400000_NS6detail17trampoline_kernelINS0_14default_configENS1_25transform_config_selectorIlLb0EEEZNS1_14transform_implILb0ES3_S5_NS0_18transform_iteratorINS0_17counting_iteratorImlEEZNS1_24adjacent_difference_implIS3_Lb1ELb0EPlSB_ZN2at6native12_GLOBAL__N_124unique_dim_cuda_templateImEESt5tupleIJNSC_6TensorESH_SH_EERKSH_lbbbEUlllE1_EE10hipError_tPvRmT2_T3_mT4_P12ihipStream_tbEUlmE_lEESB_NS0_8identityIvEEEESM_SP_SQ_mSR_ST_bEUlT_E_NS1_11comp_targetILNS1_3genE10ELNS1_11target_archE1200ELNS1_3gpuE4ELNS1_3repE0EEENS1_30default_config_static_selectorELNS0_4arch9wavefront6targetE0EEEvT1_,@function
_ZN7rocprim17ROCPRIM_400000_NS6detail17trampoline_kernelINS0_14default_configENS1_25transform_config_selectorIlLb0EEEZNS1_14transform_implILb0ES3_S5_NS0_18transform_iteratorINS0_17counting_iteratorImlEEZNS1_24adjacent_difference_implIS3_Lb1ELb0EPlSB_ZN2at6native12_GLOBAL__N_124unique_dim_cuda_templateImEESt5tupleIJNSC_6TensorESH_SH_EERKSH_lbbbEUlllE1_EE10hipError_tPvRmT2_T3_mT4_P12ihipStream_tbEUlmE_lEESB_NS0_8identityIvEEEESM_SP_SQ_mSR_ST_bEUlT_E_NS1_11comp_targetILNS1_3genE10ELNS1_11target_archE1200ELNS1_3gpuE4ELNS1_3repE0EEENS1_30default_config_static_selectorELNS0_4arch9wavefront6targetE0EEEvT1_: ; @_ZN7rocprim17ROCPRIM_400000_NS6detail17trampoline_kernelINS0_14default_configENS1_25transform_config_selectorIlLb0EEEZNS1_14transform_implILb0ES3_S5_NS0_18transform_iteratorINS0_17counting_iteratorImlEEZNS1_24adjacent_difference_implIS3_Lb1ELb0EPlSB_ZN2at6native12_GLOBAL__N_124unique_dim_cuda_templateImEESt5tupleIJNSC_6TensorESH_SH_EERKSH_lbbbEUlllE1_EE10hipError_tPvRmT2_T3_mT4_P12ihipStream_tbEUlmE_lEESB_NS0_8identityIvEEEESM_SP_SQ_mSR_ST_bEUlT_E_NS1_11comp_targetILNS1_3genE10ELNS1_11target_archE1200ELNS1_3gpuE4ELNS1_3repE0EEENS1_30default_config_static_selectorELNS0_4arch9wavefront6targetE0EEEvT1_
; %bb.0:
	.section	.rodata,"a",@progbits
	.p2align	6, 0x0
	.amdhsa_kernel _ZN7rocprim17ROCPRIM_400000_NS6detail17trampoline_kernelINS0_14default_configENS1_25transform_config_selectorIlLb0EEEZNS1_14transform_implILb0ES3_S5_NS0_18transform_iteratorINS0_17counting_iteratorImlEEZNS1_24adjacent_difference_implIS3_Lb1ELb0EPlSB_ZN2at6native12_GLOBAL__N_124unique_dim_cuda_templateImEESt5tupleIJNSC_6TensorESH_SH_EERKSH_lbbbEUlllE1_EE10hipError_tPvRmT2_T3_mT4_P12ihipStream_tbEUlmE_lEESB_NS0_8identityIvEEEESM_SP_SQ_mSR_ST_bEUlT_E_NS1_11comp_targetILNS1_3genE10ELNS1_11target_archE1200ELNS1_3gpuE4ELNS1_3repE0EEENS1_30default_config_static_selectorELNS0_4arch9wavefront6targetE0EEEvT1_
		.amdhsa_group_segment_fixed_size 0
		.amdhsa_private_segment_fixed_size 0
		.amdhsa_kernarg_size 56
		.amdhsa_user_sgpr_count 15
		.amdhsa_user_sgpr_dispatch_ptr 0
		.amdhsa_user_sgpr_queue_ptr 0
		.amdhsa_user_sgpr_kernarg_segment_ptr 1
		.amdhsa_user_sgpr_dispatch_id 0
		.amdhsa_user_sgpr_private_segment_size 0
		.amdhsa_wavefront_size32 1
		.amdhsa_uses_dynamic_stack 0
		.amdhsa_enable_private_segment 0
		.amdhsa_system_sgpr_workgroup_id_x 1
		.amdhsa_system_sgpr_workgroup_id_y 0
		.amdhsa_system_sgpr_workgroup_id_z 0
		.amdhsa_system_sgpr_workgroup_info 0
		.amdhsa_system_vgpr_workitem_id 0
		.amdhsa_next_free_vgpr 1
		.amdhsa_next_free_sgpr 1
		.amdhsa_reserve_vcc 0
		.amdhsa_float_round_mode_32 0
		.amdhsa_float_round_mode_16_64 0
		.amdhsa_float_denorm_mode_32 3
		.amdhsa_float_denorm_mode_16_64 3
		.amdhsa_dx10_clamp 1
		.amdhsa_ieee_mode 1
		.amdhsa_fp16_overflow 0
		.amdhsa_workgroup_processor_mode 1
		.amdhsa_memory_ordered 1
		.amdhsa_forward_progress 0
		.amdhsa_shared_vgpr_count 0
		.amdhsa_exception_fp_ieee_invalid_op 0
		.amdhsa_exception_fp_denorm_src 0
		.amdhsa_exception_fp_ieee_div_zero 0
		.amdhsa_exception_fp_ieee_overflow 0
		.amdhsa_exception_fp_ieee_underflow 0
		.amdhsa_exception_fp_ieee_inexact 0
		.amdhsa_exception_int_div_zero 0
	.end_amdhsa_kernel
	.section	.text._ZN7rocprim17ROCPRIM_400000_NS6detail17trampoline_kernelINS0_14default_configENS1_25transform_config_selectorIlLb0EEEZNS1_14transform_implILb0ES3_S5_NS0_18transform_iteratorINS0_17counting_iteratorImlEEZNS1_24adjacent_difference_implIS3_Lb1ELb0EPlSB_ZN2at6native12_GLOBAL__N_124unique_dim_cuda_templateImEESt5tupleIJNSC_6TensorESH_SH_EERKSH_lbbbEUlllE1_EE10hipError_tPvRmT2_T3_mT4_P12ihipStream_tbEUlmE_lEESB_NS0_8identityIvEEEESM_SP_SQ_mSR_ST_bEUlT_E_NS1_11comp_targetILNS1_3genE10ELNS1_11target_archE1200ELNS1_3gpuE4ELNS1_3repE0EEENS1_30default_config_static_selectorELNS0_4arch9wavefront6targetE0EEEvT1_,"axG",@progbits,_ZN7rocprim17ROCPRIM_400000_NS6detail17trampoline_kernelINS0_14default_configENS1_25transform_config_selectorIlLb0EEEZNS1_14transform_implILb0ES3_S5_NS0_18transform_iteratorINS0_17counting_iteratorImlEEZNS1_24adjacent_difference_implIS3_Lb1ELb0EPlSB_ZN2at6native12_GLOBAL__N_124unique_dim_cuda_templateImEESt5tupleIJNSC_6TensorESH_SH_EERKSH_lbbbEUlllE1_EE10hipError_tPvRmT2_T3_mT4_P12ihipStream_tbEUlmE_lEESB_NS0_8identityIvEEEESM_SP_SQ_mSR_ST_bEUlT_E_NS1_11comp_targetILNS1_3genE10ELNS1_11target_archE1200ELNS1_3gpuE4ELNS1_3repE0EEENS1_30default_config_static_selectorELNS0_4arch9wavefront6targetE0EEEvT1_,comdat
.Lfunc_end1650:
	.size	_ZN7rocprim17ROCPRIM_400000_NS6detail17trampoline_kernelINS0_14default_configENS1_25transform_config_selectorIlLb0EEEZNS1_14transform_implILb0ES3_S5_NS0_18transform_iteratorINS0_17counting_iteratorImlEEZNS1_24adjacent_difference_implIS3_Lb1ELb0EPlSB_ZN2at6native12_GLOBAL__N_124unique_dim_cuda_templateImEESt5tupleIJNSC_6TensorESH_SH_EERKSH_lbbbEUlllE1_EE10hipError_tPvRmT2_T3_mT4_P12ihipStream_tbEUlmE_lEESB_NS0_8identityIvEEEESM_SP_SQ_mSR_ST_bEUlT_E_NS1_11comp_targetILNS1_3genE10ELNS1_11target_archE1200ELNS1_3gpuE4ELNS1_3repE0EEENS1_30default_config_static_selectorELNS0_4arch9wavefront6targetE0EEEvT1_, .Lfunc_end1650-_ZN7rocprim17ROCPRIM_400000_NS6detail17trampoline_kernelINS0_14default_configENS1_25transform_config_selectorIlLb0EEEZNS1_14transform_implILb0ES3_S5_NS0_18transform_iteratorINS0_17counting_iteratorImlEEZNS1_24adjacent_difference_implIS3_Lb1ELb0EPlSB_ZN2at6native12_GLOBAL__N_124unique_dim_cuda_templateImEESt5tupleIJNSC_6TensorESH_SH_EERKSH_lbbbEUlllE1_EE10hipError_tPvRmT2_T3_mT4_P12ihipStream_tbEUlmE_lEESB_NS0_8identityIvEEEESM_SP_SQ_mSR_ST_bEUlT_E_NS1_11comp_targetILNS1_3genE10ELNS1_11target_archE1200ELNS1_3gpuE4ELNS1_3repE0EEENS1_30default_config_static_selectorELNS0_4arch9wavefront6targetE0EEEvT1_
                                        ; -- End function
	.section	.AMDGPU.csdata,"",@progbits
; Kernel info:
; codeLenInByte = 0
; NumSgprs: 0
; NumVgprs: 0
; ScratchSize: 0
; MemoryBound: 0
; FloatMode: 240
; IeeeMode: 1
; LDSByteSize: 0 bytes/workgroup (compile time only)
; SGPRBlocks: 0
; VGPRBlocks: 0
; NumSGPRsForWavesPerEU: 1
; NumVGPRsForWavesPerEU: 1
; Occupancy: 16
; WaveLimiterHint : 0
; COMPUTE_PGM_RSRC2:SCRATCH_EN: 0
; COMPUTE_PGM_RSRC2:USER_SGPR: 15
; COMPUTE_PGM_RSRC2:TRAP_HANDLER: 0
; COMPUTE_PGM_RSRC2:TGID_X_EN: 1
; COMPUTE_PGM_RSRC2:TGID_Y_EN: 0
; COMPUTE_PGM_RSRC2:TGID_Z_EN: 0
; COMPUTE_PGM_RSRC2:TIDIG_COMP_CNT: 0
	.section	.text._ZN7rocprim17ROCPRIM_400000_NS6detail17trampoline_kernelINS0_14default_configENS1_25transform_config_selectorIlLb0EEEZNS1_14transform_implILb0ES3_S5_NS0_18transform_iteratorINS0_17counting_iteratorImlEEZNS1_24adjacent_difference_implIS3_Lb1ELb0EPlSB_ZN2at6native12_GLOBAL__N_124unique_dim_cuda_templateImEESt5tupleIJNSC_6TensorESH_SH_EERKSH_lbbbEUlllE1_EE10hipError_tPvRmT2_T3_mT4_P12ihipStream_tbEUlmE_lEESB_NS0_8identityIvEEEESM_SP_SQ_mSR_ST_bEUlT_E_NS1_11comp_targetILNS1_3genE9ELNS1_11target_archE1100ELNS1_3gpuE3ELNS1_3repE0EEENS1_30default_config_static_selectorELNS0_4arch9wavefront6targetE0EEEvT1_,"axG",@progbits,_ZN7rocprim17ROCPRIM_400000_NS6detail17trampoline_kernelINS0_14default_configENS1_25transform_config_selectorIlLb0EEEZNS1_14transform_implILb0ES3_S5_NS0_18transform_iteratorINS0_17counting_iteratorImlEEZNS1_24adjacent_difference_implIS3_Lb1ELb0EPlSB_ZN2at6native12_GLOBAL__N_124unique_dim_cuda_templateImEESt5tupleIJNSC_6TensorESH_SH_EERKSH_lbbbEUlllE1_EE10hipError_tPvRmT2_T3_mT4_P12ihipStream_tbEUlmE_lEESB_NS0_8identityIvEEEESM_SP_SQ_mSR_ST_bEUlT_E_NS1_11comp_targetILNS1_3genE9ELNS1_11target_archE1100ELNS1_3gpuE3ELNS1_3repE0EEENS1_30default_config_static_selectorELNS0_4arch9wavefront6targetE0EEEvT1_,comdat
	.globl	_ZN7rocprim17ROCPRIM_400000_NS6detail17trampoline_kernelINS0_14default_configENS1_25transform_config_selectorIlLb0EEEZNS1_14transform_implILb0ES3_S5_NS0_18transform_iteratorINS0_17counting_iteratorImlEEZNS1_24adjacent_difference_implIS3_Lb1ELb0EPlSB_ZN2at6native12_GLOBAL__N_124unique_dim_cuda_templateImEESt5tupleIJNSC_6TensorESH_SH_EERKSH_lbbbEUlllE1_EE10hipError_tPvRmT2_T3_mT4_P12ihipStream_tbEUlmE_lEESB_NS0_8identityIvEEEESM_SP_SQ_mSR_ST_bEUlT_E_NS1_11comp_targetILNS1_3genE9ELNS1_11target_archE1100ELNS1_3gpuE3ELNS1_3repE0EEENS1_30default_config_static_selectorELNS0_4arch9wavefront6targetE0EEEvT1_ ; -- Begin function _ZN7rocprim17ROCPRIM_400000_NS6detail17trampoline_kernelINS0_14default_configENS1_25transform_config_selectorIlLb0EEEZNS1_14transform_implILb0ES3_S5_NS0_18transform_iteratorINS0_17counting_iteratorImlEEZNS1_24adjacent_difference_implIS3_Lb1ELb0EPlSB_ZN2at6native12_GLOBAL__N_124unique_dim_cuda_templateImEESt5tupleIJNSC_6TensorESH_SH_EERKSH_lbbbEUlllE1_EE10hipError_tPvRmT2_T3_mT4_P12ihipStream_tbEUlmE_lEESB_NS0_8identityIvEEEESM_SP_SQ_mSR_ST_bEUlT_E_NS1_11comp_targetILNS1_3genE9ELNS1_11target_archE1100ELNS1_3gpuE3ELNS1_3repE0EEENS1_30default_config_static_selectorELNS0_4arch9wavefront6targetE0EEEvT1_
	.p2align	8
	.type	_ZN7rocprim17ROCPRIM_400000_NS6detail17trampoline_kernelINS0_14default_configENS1_25transform_config_selectorIlLb0EEEZNS1_14transform_implILb0ES3_S5_NS0_18transform_iteratorINS0_17counting_iteratorImlEEZNS1_24adjacent_difference_implIS3_Lb1ELb0EPlSB_ZN2at6native12_GLOBAL__N_124unique_dim_cuda_templateImEESt5tupleIJNSC_6TensorESH_SH_EERKSH_lbbbEUlllE1_EE10hipError_tPvRmT2_T3_mT4_P12ihipStream_tbEUlmE_lEESB_NS0_8identityIvEEEESM_SP_SQ_mSR_ST_bEUlT_E_NS1_11comp_targetILNS1_3genE9ELNS1_11target_archE1100ELNS1_3gpuE3ELNS1_3repE0EEENS1_30default_config_static_selectorELNS0_4arch9wavefront6targetE0EEEvT1_,@function
_ZN7rocprim17ROCPRIM_400000_NS6detail17trampoline_kernelINS0_14default_configENS1_25transform_config_selectorIlLb0EEEZNS1_14transform_implILb0ES3_S5_NS0_18transform_iteratorINS0_17counting_iteratorImlEEZNS1_24adjacent_difference_implIS3_Lb1ELb0EPlSB_ZN2at6native12_GLOBAL__N_124unique_dim_cuda_templateImEESt5tupleIJNSC_6TensorESH_SH_EERKSH_lbbbEUlllE1_EE10hipError_tPvRmT2_T3_mT4_P12ihipStream_tbEUlmE_lEESB_NS0_8identityIvEEEESM_SP_SQ_mSR_ST_bEUlT_E_NS1_11comp_targetILNS1_3genE9ELNS1_11target_archE1100ELNS1_3gpuE3ELNS1_3repE0EEENS1_30default_config_static_selectorELNS0_4arch9wavefront6targetE0EEEvT1_: ; @_ZN7rocprim17ROCPRIM_400000_NS6detail17trampoline_kernelINS0_14default_configENS1_25transform_config_selectorIlLb0EEEZNS1_14transform_implILb0ES3_S5_NS0_18transform_iteratorINS0_17counting_iteratorImlEEZNS1_24adjacent_difference_implIS3_Lb1ELb0EPlSB_ZN2at6native12_GLOBAL__N_124unique_dim_cuda_templateImEESt5tupleIJNSC_6TensorESH_SH_EERKSH_lbbbEUlllE1_EE10hipError_tPvRmT2_T3_mT4_P12ihipStream_tbEUlmE_lEESB_NS0_8identityIvEEEESM_SP_SQ_mSR_ST_bEUlT_E_NS1_11comp_targetILNS1_3genE9ELNS1_11target_archE1100ELNS1_3gpuE3ELNS1_3repE0EEENS1_30default_config_static_selectorELNS0_4arch9wavefront6targetE0EEEvT1_
; %bb.0:
	s_clause 0x4
	s_load_b128 s[4:7], s[0:1], 0x0
	s_load_b64 s[2:3], s[0:1], 0x18
	s_load_b64 s[12:13], s[0:1], 0x28
	s_load_b32 s11, s[0:1], 0x38
	s_load_b32 s8, s[0:1], 0x10
	s_waitcnt lgkmcnt(0)
	s_add_u32 s9, s2, s4
	s_addc_u32 s10, s3, s5
	s_lshl_b64 s[2:3], s[2:3], 3
	s_delay_alu instid0(SALU_CYCLE_1)
	s_add_u32 s4, s12, s2
	s_addc_u32 s5, s13, s3
	s_add_i32 s11, s11, -1
	s_lshl_b32 s2, s15, 9
	s_mov_b32 s3, 0
	s_cmp_lg_u32 s15, s11
	s_mov_b32 s11, -1
	s_cbranch_scc0 .LBB1651_2
; %bb.1:
	s_add_u32 s11, s9, s2
	s_addc_u32 s12, s10, 0
	v_add_co_u32 v3, s11, s11, v0
	s_delay_alu instid0(VALU_DEP_1) | instskip(SKIP_1) | instid1(VALU_DEP_2)
	v_add_co_ci_u32_e64 v5, null, s12, 0, s11
	s_lshl_b64 s[12:13], s[2:3], 3
	v_mad_u64_u32 v[1:2], null, v3, s8, 0
	s_add_u32 s12, s4, s12
	s_addc_u32 s13, s5, s13
	s_mov_b32 s11, s3
	s_delay_alu instid0(VALU_DEP_1) | instskip(NEXT) | instid1(VALU_DEP_1)
	v_mad_u64_u32 v[3:4], null, v5, s8, v[2:3]
	v_dual_mov_b32 v2, v3 :: v_dual_lshlrev_b32 v3, 3, v0
	s_delay_alu instid0(VALU_DEP_1) | instskip(NEXT) | instid1(VALU_DEP_1)
	v_lshlrev_b64 v[1:2], 3, v[1:2]
	v_add_co_u32 v1, vcc_lo, s6, v1
	s_delay_alu instid0(VALU_DEP_2)
	v_add_co_ci_u32_e32 v2, vcc_lo, s7, v2, vcc_lo
	global_load_b64 v[1:2], v[1:2], off
	s_waitcnt vmcnt(0)
	global_store_b64 v3, v[1:2], s[12:13]
.LBB1651_2:
	s_and_not1_b32 vcc_lo, exec_lo, s11
	s_cbranch_vccnz .LBB1651_7
; %bb.3:
	s_load_b32 s0, s[0:1], 0x20
                                        ; implicit-def: $vgpr1_vgpr2
	s_waitcnt lgkmcnt(0)
	s_sub_i32 s0, s0, s2
	s_delay_alu instid0(SALU_CYCLE_1)
	v_cmp_gt_u32_e32 vcc_lo, s0, v0
	s_and_saveexec_b32 s1, vcc_lo
	s_cbranch_execz .LBB1651_5
; %bb.4:
	s_add_u32 s0, s9, s2
	s_addc_u32 s9, s10, 0
	v_add_co_u32 v3, s0, s0, v0
	s_delay_alu instid0(VALU_DEP_1) | instskip(NEXT) | instid1(VALU_DEP_2)
	v_add_co_ci_u32_e64 v5, null, s9, 0, s0
	v_mad_u64_u32 v[1:2], null, v3, s8, 0
	s_delay_alu instid0(VALU_DEP_1) | instskip(NEXT) | instid1(VALU_DEP_1)
	v_mad_u64_u32 v[3:4], null, v5, s8, v[2:3]
	v_mov_b32_e32 v2, v3
	s_delay_alu instid0(VALU_DEP_1) | instskip(NEXT) | instid1(VALU_DEP_1)
	v_lshlrev_b64 v[1:2], 3, v[1:2]
	v_add_co_u32 v1, s0, s6, v1
	s_delay_alu instid0(VALU_DEP_1)
	v_add_co_ci_u32_e64 v2, s0, s7, v2, s0
	global_load_b64 v[1:2], v[1:2], off
.LBB1651_5:
	s_or_b32 exec_lo, exec_lo, s1
	s_and_saveexec_b32 s0, vcc_lo
	s_cbranch_execz .LBB1651_7
; %bb.6:
	s_lshl_b64 s[0:1], s[2:3], 3
	v_lshlrev_b32_e32 v0, 3, v0
	s_add_u32 s0, s4, s0
	s_addc_u32 s1, s5, s1
	s_waitcnt vmcnt(0)
	global_store_b64 v0, v[1:2], s[0:1]
.LBB1651_7:
	s_nop 0
	s_sendmsg sendmsg(MSG_DEALLOC_VGPRS)
	s_endpgm
	.section	.rodata,"a",@progbits
	.p2align	6, 0x0
	.amdhsa_kernel _ZN7rocprim17ROCPRIM_400000_NS6detail17trampoline_kernelINS0_14default_configENS1_25transform_config_selectorIlLb0EEEZNS1_14transform_implILb0ES3_S5_NS0_18transform_iteratorINS0_17counting_iteratorImlEEZNS1_24adjacent_difference_implIS3_Lb1ELb0EPlSB_ZN2at6native12_GLOBAL__N_124unique_dim_cuda_templateImEESt5tupleIJNSC_6TensorESH_SH_EERKSH_lbbbEUlllE1_EE10hipError_tPvRmT2_T3_mT4_P12ihipStream_tbEUlmE_lEESB_NS0_8identityIvEEEESM_SP_SQ_mSR_ST_bEUlT_E_NS1_11comp_targetILNS1_3genE9ELNS1_11target_archE1100ELNS1_3gpuE3ELNS1_3repE0EEENS1_30default_config_static_selectorELNS0_4arch9wavefront6targetE0EEEvT1_
		.amdhsa_group_segment_fixed_size 0
		.amdhsa_private_segment_fixed_size 0
		.amdhsa_kernarg_size 312
		.amdhsa_user_sgpr_count 15
		.amdhsa_user_sgpr_dispatch_ptr 0
		.amdhsa_user_sgpr_queue_ptr 0
		.amdhsa_user_sgpr_kernarg_segment_ptr 1
		.amdhsa_user_sgpr_dispatch_id 0
		.amdhsa_user_sgpr_private_segment_size 0
		.amdhsa_wavefront_size32 1
		.amdhsa_uses_dynamic_stack 0
		.amdhsa_enable_private_segment 0
		.amdhsa_system_sgpr_workgroup_id_x 1
		.amdhsa_system_sgpr_workgroup_id_y 0
		.amdhsa_system_sgpr_workgroup_id_z 0
		.amdhsa_system_sgpr_workgroup_info 0
		.amdhsa_system_vgpr_workitem_id 0
		.amdhsa_next_free_vgpr 6
		.amdhsa_next_free_sgpr 16
		.amdhsa_reserve_vcc 1
		.amdhsa_float_round_mode_32 0
		.amdhsa_float_round_mode_16_64 0
		.amdhsa_float_denorm_mode_32 3
		.amdhsa_float_denorm_mode_16_64 3
		.amdhsa_dx10_clamp 1
		.amdhsa_ieee_mode 1
		.amdhsa_fp16_overflow 0
		.amdhsa_workgroup_processor_mode 1
		.amdhsa_memory_ordered 1
		.amdhsa_forward_progress 0
		.amdhsa_shared_vgpr_count 0
		.amdhsa_exception_fp_ieee_invalid_op 0
		.amdhsa_exception_fp_denorm_src 0
		.amdhsa_exception_fp_ieee_div_zero 0
		.amdhsa_exception_fp_ieee_overflow 0
		.amdhsa_exception_fp_ieee_underflow 0
		.amdhsa_exception_fp_ieee_inexact 0
		.amdhsa_exception_int_div_zero 0
	.end_amdhsa_kernel
	.section	.text._ZN7rocprim17ROCPRIM_400000_NS6detail17trampoline_kernelINS0_14default_configENS1_25transform_config_selectorIlLb0EEEZNS1_14transform_implILb0ES3_S5_NS0_18transform_iteratorINS0_17counting_iteratorImlEEZNS1_24adjacent_difference_implIS3_Lb1ELb0EPlSB_ZN2at6native12_GLOBAL__N_124unique_dim_cuda_templateImEESt5tupleIJNSC_6TensorESH_SH_EERKSH_lbbbEUlllE1_EE10hipError_tPvRmT2_T3_mT4_P12ihipStream_tbEUlmE_lEESB_NS0_8identityIvEEEESM_SP_SQ_mSR_ST_bEUlT_E_NS1_11comp_targetILNS1_3genE9ELNS1_11target_archE1100ELNS1_3gpuE3ELNS1_3repE0EEENS1_30default_config_static_selectorELNS0_4arch9wavefront6targetE0EEEvT1_,"axG",@progbits,_ZN7rocprim17ROCPRIM_400000_NS6detail17trampoline_kernelINS0_14default_configENS1_25transform_config_selectorIlLb0EEEZNS1_14transform_implILb0ES3_S5_NS0_18transform_iteratorINS0_17counting_iteratorImlEEZNS1_24adjacent_difference_implIS3_Lb1ELb0EPlSB_ZN2at6native12_GLOBAL__N_124unique_dim_cuda_templateImEESt5tupleIJNSC_6TensorESH_SH_EERKSH_lbbbEUlllE1_EE10hipError_tPvRmT2_T3_mT4_P12ihipStream_tbEUlmE_lEESB_NS0_8identityIvEEEESM_SP_SQ_mSR_ST_bEUlT_E_NS1_11comp_targetILNS1_3genE9ELNS1_11target_archE1100ELNS1_3gpuE3ELNS1_3repE0EEENS1_30default_config_static_selectorELNS0_4arch9wavefront6targetE0EEEvT1_,comdat
.Lfunc_end1651:
	.size	_ZN7rocprim17ROCPRIM_400000_NS6detail17trampoline_kernelINS0_14default_configENS1_25transform_config_selectorIlLb0EEEZNS1_14transform_implILb0ES3_S5_NS0_18transform_iteratorINS0_17counting_iteratorImlEEZNS1_24adjacent_difference_implIS3_Lb1ELb0EPlSB_ZN2at6native12_GLOBAL__N_124unique_dim_cuda_templateImEESt5tupleIJNSC_6TensorESH_SH_EERKSH_lbbbEUlllE1_EE10hipError_tPvRmT2_T3_mT4_P12ihipStream_tbEUlmE_lEESB_NS0_8identityIvEEEESM_SP_SQ_mSR_ST_bEUlT_E_NS1_11comp_targetILNS1_3genE9ELNS1_11target_archE1100ELNS1_3gpuE3ELNS1_3repE0EEENS1_30default_config_static_selectorELNS0_4arch9wavefront6targetE0EEEvT1_, .Lfunc_end1651-_ZN7rocprim17ROCPRIM_400000_NS6detail17trampoline_kernelINS0_14default_configENS1_25transform_config_selectorIlLb0EEEZNS1_14transform_implILb0ES3_S5_NS0_18transform_iteratorINS0_17counting_iteratorImlEEZNS1_24adjacent_difference_implIS3_Lb1ELb0EPlSB_ZN2at6native12_GLOBAL__N_124unique_dim_cuda_templateImEESt5tupleIJNSC_6TensorESH_SH_EERKSH_lbbbEUlllE1_EE10hipError_tPvRmT2_T3_mT4_P12ihipStream_tbEUlmE_lEESB_NS0_8identityIvEEEESM_SP_SQ_mSR_ST_bEUlT_E_NS1_11comp_targetILNS1_3genE9ELNS1_11target_archE1100ELNS1_3gpuE3ELNS1_3repE0EEENS1_30default_config_static_selectorELNS0_4arch9wavefront6targetE0EEEvT1_
                                        ; -- End function
	.section	.AMDGPU.csdata,"",@progbits
; Kernel info:
; codeLenInByte = 400
; NumSgprs: 18
; NumVgprs: 6
; ScratchSize: 0
; MemoryBound: 0
; FloatMode: 240
; IeeeMode: 1
; LDSByteSize: 0 bytes/workgroup (compile time only)
; SGPRBlocks: 2
; VGPRBlocks: 0
; NumSGPRsForWavesPerEU: 18
; NumVGPRsForWavesPerEU: 6
; Occupancy: 16
; WaveLimiterHint : 0
; COMPUTE_PGM_RSRC2:SCRATCH_EN: 0
; COMPUTE_PGM_RSRC2:USER_SGPR: 15
; COMPUTE_PGM_RSRC2:TRAP_HANDLER: 0
; COMPUTE_PGM_RSRC2:TGID_X_EN: 1
; COMPUTE_PGM_RSRC2:TGID_Y_EN: 0
; COMPUTE_PGM_RSRC2:TGID_Z_EN: 0
; COMPUTE_PGM_RSRC2:TIDIG_COMP_CNT: 0
	.section	.text._ZN7rocprim17ROCPRIM_400000_NS6detail17trampoline_kernelINS0_14default_configENS1_25transform_config_selectorIlLb0EEEZNS1_14transform_implILb0ES3_S5_NS0_18transform_iteratorINS0_17counting_iteratorImlEEZNS1_24adjacent_difference_implIS3_Lb1ELb0EPlSB_ZN2at6native12_GLOBAL__N_124unique_dim_cuda_templateImEESt5tupleIJNSC_6TensorESH_SH_EERKSH_lbbbEUlllE1_EE10hipError_tPvRmT2_T3_mT4_P12ihipStream_tbEUlmE_lEESB_NS0_8identityIvEEEESM_SP_SQ_mSR_ST_bEUlT_E_NS1_11comp_targetILNS1_3genE8ELNS1_11target_archE1030ELNS1_3gpuE2ELNS1_3repE0EEENS1_30default_config_static_selectorELNS0_4arch9wavefront6targetE0EEEvT1_,"axG",@progbits,_ZN7rocprim17ROCPRIM_400000_NS6detail17trampoline_kernelINS0_14default_configENS1_25transform_config_selectorIlLb0EEEZNS1_14transform_implILb0ES3_S5_NS0_18transform_iteratorINS0_17counting_iteratorImlEEZNS1_24adjacent_difference_implIS3_Lb1ELb0EPlSB_ZN2at6native12_GLOBAL__N_124unique_dim_cuda_templateImEESt5tupleIJNSC_6TensorESH_SH_EERKSH_lbbbEUlllE1_EE10hipError_tPvRmT2_T3_mT4_P12ihipStream_tbEUlmE_lEESB_NS0_8identityIvEEEESM_SP_SQ_mSR_ST_bEUlT_E_NS1_11comp_targetILNS1_3genE8ELNS1_11target_archE1030ELNS1_3gpuE2ELNS1_3repE0EEENS1_30default_config_static_selectorELNS0_4arch9wavefront6targetE0EEEvT1_,comdat
	.globl	_ZN7rocprim17ROCPRIM_400000_NS6detail17trampoline_kernelINS0_14default_configENS1_25transform_config_selectorIlLb0EEEZNS1_14transform_implILb0ES3_S5_NS0_18transform_iteratorINS0_17counting_iteratorImlEEZNS1_24adjacent_difference_implIS3_Lb1ELb0EPlSB_ZN2at6native12_GLOBAL__N_124unique_dim_cuda_templateImEESt5tupleIJNSC_6TensorESH_SH_EERKSH_lbbbEUlllE1_EE10hipError_tPvRmT2_T3_mT4_P12ihipStream_tbEUlmE_lEESB_NS0_8identityIvEEEESM_SP_SQ_mSR_ST_bEUlT_E_NS1_11comp_targetILNS1_3genE8ELNS1_11target_archE1030ELNS1_3gpuE2ELNS1_3repE0EEENS1_30default_config_static_selectorELNS0_4arch9wavefront6targetE0EEEvT1_ ; -- Begin function _ZN7rocprim17ROCPRIM_400000_NS6detail17trampoline_kernelINS0_14default_configENS1_25transform_config_selectorIlLb0EEEZNS1_14transform_implILb0ES3_S5_NS0_18transform_iteratorINS0_17counting_iteratorImlEEZNS1_24adjacent_difference_implIS3_Lb1ELb0EPlSB_ZN2at6native12_GLOBAL__N_124unique_dim_cuda_templateImEESt5tupleIJNSC_6TensorESH_SH_EERKSH_lbbbEUlllE1_EE10hipError_tPvRmT2_T3_mT4_P12ihipStream_tbEUlmE_lEESB_NS0_8identityIvEEEESM_SP_SQ_mSR_ST_bEUlT_E_NS1_11comp_targetILNS1_3genE8ELNS1_11target_archE1030ELNS1_3gpuE2ELNS1_3repE0EEENS1_30default_config_static_selectorELNS0_4arch9wavefront6targetE0EEEvT1_
	.p2align	8
	.type	_ZN7rocprim17ROCPRIM_400000_NS6detail17trampoline_kernelINS0_14default_configENS1_25transform_config_selectorIlLb0EEEZNS1_14transform_implILb0ES3_S5_NS0_18transform_iteratorINS0_17counting_iteratorImlEEZNS1_24adjacent_difference_implIS3_Lb1ELb0EPlSB_ZN2at6native12_GLOBAL__N_124unique_dim_cuda_templateImEESt5tupleIJNSC_6TensorESH_SH_EERKSH_lbbbEUlllE1_EE10hipError_tPvRmT2_T3_mT4_P12ihipStream_tbEUlmE_lEESB_NS0_8identityIvEEEESM_SP_SQ_mSR_ST_bEUlT_E_NS1_11comp_targetILNS1_3genE8ELNS1_11target_archE1030ELNS1_3gpuE2ELNS1_3repE0EEENS1_30default_config_static_selectorELNS0_4arch9wavefront6targetE0EEEvT1_,@function
_ZN7rocprim17ROCPRIM_400000_NS6detail17trampoline_kernelINS0_14default_configENS1_25transform_config_selectorIlLb0EEEZNS1_14transform_implILb0ES3_S5_NS0_18transform_iteratorINS0_17counting_iteratorImlEEZNS1_24adjacent_difference_implIS3_Lb1ELb0EPlSB_ZN2at6native12_GLOBAL__N_124unique_dim_cuda_templateImEESt5tupleIJNSC_6TensorESH_SH_EERKSH_lbbbEUlllE1_EE10hipError_tPvRmT2_T3_mT4_P12ihipStream_tbEUlmE_lEESB_NS0_8identityIvEEEESM_SP_SQ_mSR_ST_bEUlT_E_NS1_11comp_targetILNS1_3genE8ELNS1_11target_archE1030ELNS1_3gpuE2ELNS1_3repE0EEENS1_30default_config_static_selectorELNS0_4arch9wavefront6targetE0EEEvT1_: ; @_ZN7rocprim17ROCPRIM_400000_NS6detail17trampoline_kernelINS0_14default_configENS1_25transform_config_selectorIlLb0EEEZNS1_14transform_implILb0ES3_S5_NS0_18transform_iteratorINS0_17counting_iteratorImlEEZNS1_24adjacent_difference_implIS3_Lb1ELb0EPlSB_ZN2at6native12_GLOBAL__N_124unique_dim_cuda_templateImEESt5tupleIJNSC_6TensorESH_SH_EERKSH_lbbbEUlllE1_EE10hipError_tPvRmT2_T3_mT4_P12ihipStream_tbEUlmE_lEESB_NS0_8identityIvEEEESM_SP_SQ_mSR_ST_bEUlT_E_NS1_11comp_targetILNS1_3genE8ELNS1_11target_archE1030ELNS1_3gpuE2ELNS1_3repE0EEENS1_30default_config_static_selectorELNS0_4arch9wavefront6targetE0EEEvT1_
; %bb.0:
	.section	.rodata,"a",@progbits
	.p2align	6, 0x0
	.amdhsa_kernel _ZN7rocprim17ROCPRIM_400000_NS6detail17trampoline_kernelINS0_14default_configENS1_25transform_config_selectorIlLb0EEEZNS1_14transform_implILb0ES3_S5_NS0_18transform_iteratorINS0_17counting_iteratorImlEEZNS1_24adjacent_difference_implIS3_Lb1ELb0EPlSB_ZN2at6native12_GLOBAL__N_124unique_dim_cuda_templateImEESt5tupleIJNSC_6TensorESH_SH_EERKSH_lbbbEUlllE1_EE10hipError_tPvRmT2_T3_mT4_P12ihipStream_tbEUlmE_lEESB_NS0_8identityIvEEEESM_SP_SQ_mSR_ST_bEUlT_E_NS1_11comp_targetILNS1_3genE8ELNS1_11target_archE1030ELNS1_3gpuE2ELNS1_3repE0EEENS1_30default_config_static_selectorELNS0_4arch9wavefront6targetE0EEEvT1_
		.amdhsa_group_segment_fixed_size 0
		.amdhsa_private_segment_fixed_size 0
		.amdhsa_kernarg_size 56
		.amdhsa_user_sgpr_count 15
		.amdhsa_user_sgpr_dispatch_ptr 0
		.amdhsa_user_sgpr_queue_ptr 0
		.amdhsa_user_sgpr_kernarg_segment_ptr 1
		.amdhsa_user_sgpr_dispatch_id 0
		.amdhsa_user_sgpr_private_segment_size 0
		.amdhsa_wavefront_size32 1
		.amdhsa_uses_dynamic_stack 0
		.amdhsa_enable_private_segment 0
		.amdhsa_system_sgpr_workgroup_id_x 1
		.amdhsa_system_sgpr_workgroup_id_y 0
		.amdhsa_system_sgpr_workgroup_id_z 0
		.amdhsa_system_sgpr_workgroup_info 0
		.amdhsa_system_vgpr_workitem_id 0
		.amdhsa_next_free_vgpr 1
		.amdhsa_next_free_sgpr 1
		.amdhsa_reserve_vcc 0
		.amdhsa_float_round_mode_32 0
		.amdhsa_float_round_mode_16_64 0
		.amdhsa_float_denorm_mode_32 3
		.amdhsa_float_denorm_mode_16_64 3
		.amdhsa_dx10_clamp 1
		.amdhsa_ieee_mode 1
		.amdhsa_fp16_overflow 0
		.amdhsa_workgroup_processor_mode 1
		.amdhsa_memory_ordered 1
		.amdhsa_forward_progress 0
		.amdhsa_shared_vgpr_count 0
		.amdhsa_exception_fp_ieee_invalid_op 0
		.amdhsa_exception_fp_denorm_src 0
		.amdhsa_exception_fp_ieee_div_zero 0
		.amdhsa_exception_fp_ieee_overflow 0
		.amdhsa_exception_fp_ieee_underflow 0
		.amdhsa_exception_fp_ieee_inexact 0
		.amdhsa_exception_int_div_zero 0
	.end_amdhsa_kernel
	.section	.text._ZN7rocprim17ROCPRIM_400000_NS6detail17trampoline_kernelINS0_14default_configENS1_25transform_config_selectorIlLb0EEEZNS1_14transform_implILb0ES3_S5_NS0_18transform_iteratorINS0_17counting_iteratorImlEEZNS1_24adjacent_difference_implIS3_Lb1ELb0EPlSB_ZN2at6native12_GLOBAL__N_124unique_dim_cuda_templateImEESt5tupleIJNSC_6TensorESH_SH_EERKSH_lbbbEUlllE1_EE10hipError_tPvRmT2_T3_mT4_P12ihipStream_tbEUlmE_lEESB_NS0_8identityIvEEEESM_SP_SQ_mSR_ST_bEUlT_E_NS1_11comp_targetILNS1_3genE8ELNS1_11target_archE1030ELNS1_3gpuE2ELNS1_3repE0EEENS1_30default_config_static_selectorELNS0_4arch9wavefront6targetE0EEEvT1_,"axG",@progbits,_ZN7rocprim17ROCPRIM_400000_NS6detail17trampoline_kernelINS0_14default_configENS1_25transform_config_selectorIlLb0EEEZNS1_14transform_implILb0ES3_S5_NS0_18transform_iteratorINS0_17counting_iteratorImlEEZNS1_24adjacent_difference_implIS3_Lb1ELb0EPlSB_ZN2at6native12_GLOBAL__N_124unique_dim_cuda_templateImEESt5tupleIJNSC_6TensorESH_SH_EERKSH_lbbbEUlllE1_EE10hipError_tPvRmT2_T3_mT4_P12ihipStream_tbEUlmE_lEESB_NS0_8identityIvEEEESM_SP_SQ_mSR_ST_bEUlT_E_NS1_11comp_targetILNS1_3genE8ELNS1_11target_archE1030ELNS1_3gpuE2ELNS1_3repE0EEENS1_30default_config_static_selectorELNS0_4arch9wavefront6targetE0EEEvT1_,comdat
.Lfunc_end1652:
	.size	_ZN7rocprim17ROCPRIM_400000_NS6detail17trampoline_kernelINS0_14default_configENS1_25transform_config_selectorIlLb0EEEZNS1_14transform_implILb0ES3_S5_NS0_18transform_iteratorINS0_17counting_iteratorImlEEZNS1_24adjacent_difference_implIS3_Lb1ELb0EPlSB_ZN2at6native12_GLOBAL__N_124unique_dim_cuda_templateImEESt5tupleIJNSC_6TensorESH_SH_EERKSH_lbbbEUlllE1_EE10hipError_tPvRmT2_T3_mT4_P12ihipStream_tbEUlmE_lEESB_NS0_8identityIvEEEESM_SP_SQ_mSR_ST_bEUlT_E_NS1_11comp_targetILNS1_3genE8ELNS1_11target_archE1030ELNS1_3gpuE2ELNS1_3repE0EEENS1_30default_config_static_selectorELNS0_4arch9wavefront6targetE0EEEvT1_, .Lfunc_end1652-_ZN7rocprim17ROCPRIM_400000_NS6detail17trampoline_kernelINS0_14default_configENS1_25transform_config_selectorIlLb0EEEZNS1_14transform_implILb0ES3_S5_NS0_18transform_iteratorINS0_17counting_iteratorImlEEZNS1_24adjacent_difference_implIS3_Lb1ELb0EPlSB_ZN2at6native12_GLOBAL__N_124unique_dim_cuda_templateImEESt5tupleIJNSC_6TensorESH_SH_EERKSH_lbbbEUlllE1_EE10hipError_tPvRmT2_T3_mT4_P12ihipStream_tbEUlmE_lEESB_NS0_8identityIvEEEESM_SP_SQ_mSR_ST_bEUlT_E_NS1_11comp_targetILNS1_3genE8ELNS1_11target_archE1030ELNS1_3gpuE2ELNS1_3repE0EEENS1_30default_config_static_selectorELNS0_4arch9wavefront6targetE0EEEvT1_
                                        ; -- End function
	.section	.AMDGPU.csdata,"",@progbits
; Kernel info:
; codeLenInByte = 0
; NumSgprs: 0
; NumVgprs: 0
; ScratchSize: 0
; MemoryBound: 0
; FloatMode: 240
; IeeeMode: 1
; LDSByteSize: 0 bytes/workgroup (compile time only)
; SGPRBlocks: 0
; VGPRBlocks: 0
; NumSGPRsForWavesPerEU: 1
; NumVGPRsForWavesPerEU: 1
; Occupancy: 16
; WaveLimiterHint : 0
; COMPUTE_PGM_RSRC2:SCRATCH_EN: 0
; COMPUTE_PGM_RSRC2:USER_SGPR: 15
; COMPUTE_PGM_RSRC2:TRAP_HANDLER: 0
; COMPUTE_PGM_RSRC2:TGID_X_EN: 1
; COMPUTE_PGM_RSRC2:TGID_Y_EN: 0
; COMPUTE_PGM_RSRC2:TGID_Z_EN: 0
; COMPUTE_PGM_RSRC2:TIDIG_COMP_CNT: 0
	.section	.text._ZN7rocprim17ROCPRIM_400000_NS6detail17trampoline_kernelINS0_14default_configENS1_35adjacent_difference_config_selectorILb1ElEEZNS1_24adjacent_difference_implIS3_Lb1ELb0EPlS7_ZN2at6native12_GLOBAL__N_124unique_dim_cuda_templateImEESt5tupleIJNS8_6TensorESD_SD_EERKSD_lbbbEUlllE1_EE10hipError_tPvRmT2_T3_mT4_P12ihipStream_tbEUlT_E_NS1_11comp_targetILNS1_3genE0ELNS1_11target_archE4294967295ELNS1_3gpuE0ELNS1_3repE0EEENS1_30default_config_static_selectorELNS0_4arch9wavefront6targetE0EEEvT1_,"axG",@progbits,_ZN7rocprim17ROCPRIM_400000_NS6detail17trampoline_kernelINS0_14default_configENS1_35adjacent_difference_config_selectorILb1ElEEZNS1_24adjacent_difference_implIS3_Lb1ELb0EPlS7_ZN2at6native12_GLOBAL__N_124unique_dim_cuda_templateImEESt5tupleIJNS8_6TensorESD_SD_EERKSD_lbbbEUlllE1_EE10hipError_tPvRmT2_T3_mT4_P12ihipStream_tbEUlT_E_NS1_11comp_targetILNS1_3genE0ELNS1_11target_archE4294967295ELNS1_3gpuE0ELNS1_3repE0EEENS1_30default_config_static_selectorELNS0_4arch9wavefront6targetE0EEEvT1_,comdat
	.globl	_ZN7rocprim17ROCPRIM_400000_NS6detail17trampoline_kernelINS0_14default_configENS1_35adjacent_difference_config_selectorILb1ElEEZNS1_24adjacent_difference_implIS3_Lb1ELb0EPlS7_ZN2at6native12_GLOBAL__N_124unique_dim_cuda_templateImEESt5tupleIJNS8_6TensorESD_SD_EERKSD_lbbbEUlllE1_EE10hipError_tPvRmT2_T3_mT4_P12ihipStream_tbEUlT_E_NS1_11comp_targetILNS1_3genE0ELNS1_11target_archE4294967295ELNS1_3gpuE0ELNS1_3repE0EEENS1_30default_config_static_selectorELNS0_4arch9wavefront6targetE0EEEvT1_ ; -- Begin function _ZN7rocprim17ROCPRIM_400000_NS6detail17trampoline_kernelINS0_14default_configENS1_35adjacent_difference_config_selectorILb1ElEEZNS1_24adjacent_difference_implIS3_Lb1ELb0EPlS7_ZN2at6native12_GLOBAL__N_124unique_dim_cuda_templateImEESt5tupleIJNS8_6TensorESD_SD_EERKSD_lbbbEUlllE1_EE10hipError_tPvRmT2_T3_mT4_P12ihipStream_tbEUlT_E_NS1_11comp_targetILNS1_3genE0ELNS1_11target_archE4294967295ELNS1_3gpuE0ELNS1_3repE0EEENS1_30default_config_static_selectorELNS0_4arch9wavefront6targetE0EEEvT1_
	.p2align	8
	.type	_ZN7rocprim17ROCPRIM_400000_NS6detail17trampoline_kernelINS0_14default_configENS1_35adjacent_difference_config_selectorILb1ElEEZNS1_24adjacent_difference_implIS3_Lb1ELb0EPlS7_ZN2at6native12_GLOBAL__N_124unique_dim_cuda_templateImEESt5tupleIJNS8_6TensorESD_SD_EERKSD_lbbbEUlllE1_EE10hipError_tPvRmT2_T3_mT4_P12ihipStream_tbEUlT_E_NS1_11comp_targetILNS1_3genE0ELNS1_11target_archE4294967295ELNS1_3gpuE0ELNS1_3repE0EEENS1_30default_config_static_selectorELNS0_4arch9wavefront6targetE0EEEvT1_,@function
_ZN7rocprim17ROCPRIM_400000_NS6detail17trampoline_kernelINS0_14default_configENS1_35adjacent_difference_config_selectorILb1ElEEZNS1_24adjacent_difference_implIS3_Lb1ELb0EPlS7_ZN2at6native12_GLOBAL__N_124unique_dim_cuda_templateImEESt5tupleIJNS8_6TensorESD_SD_EERKSD_lbbbEUlllE1_EE10hipError_tPvRmT2_T3_mT4_P12ihipStream_tbEUlT_E_NS1_11comp_targetILNS1_3genE0ELNS1_11target_archE4294967295ELNS1_3gpuE0ELNS1_3repE0EEENS1_30default_config_static_selectorELNS0_4arch9wavefront6targetE0EEEvT1_: ; @_ZN7rocprim17ROCPRIM_400000_NS6detail17trampoline_kernelINS0_14default_configENS1_35adjacent_difference_config_selectorILb1ElEEZNS1_24adjacent_difference_implIS3_Lb1ELb0EPlS7_ZN2at6native12_GLOBAL__N_124unique_dim_cuda_templateImEESt5tupleIJNS8_6TensorESD_SD_EERKSD_lbbbEUlllE1_EE10hipError_tPvRmT2_T3_mT4_P12ihipStream_tbEUlT_E_NS1_11comp_targetILNS1_3genE0ELNS1_11target_archE4294967295ELNS1_3gpuE0ELNS1_3repE0EEENS1_30default_config_static_selectorELNS0_4arch9wavefront6targetE0EEEvT1_
; %bb.0:
	.section	.rodata,"a",@progbits
	.p2align	6, 0x0
	.amdhsa_kernel _ZN7rocprim17ROCPRIM_400000_NS6detail17trampoline_kernelINS0_14default_configENS1_35adjacent_difference_config_selectorILb1ElEEZNS1_24adjacent_difference_implIS3_Lb1ELb0EPlS7_ZN2at6native12_GLOBAL__N_124unique_dim_cuda_templateImEESt5tupleIJNS8_6TensorESD_SD_EERKSD_lbbbEUlllE1_EE10hipError_tPvRmT2_T3_mT4_P12ihipStream_tbEUlT_E_NS1_11comp_targetILNS1_3genE0ELNS1_11target_archE4294967295ELNS1_3gpuE0ELNS1_3repE0EEENS1_30default_config_static_selectorELNS0_4arch9wavefront6targetE0EEEvT1_
		.amdhsa_group_segment_fixed_size 0
		.amdhsa_private_segment_fixed_size 0
		.amdhsa_kernarg_size 64
		.amdhsa_user_sgpr_count 15
		.amdhsa_user_sgpr_dispatch_ptr 0
		.amdhsa_user_sgpr_queue_ptr 0
		.amdhsa_user_sgpr_kernarg_segment_ptr 1
		.amdhsa_user_sgpr_dispatch_id 0
		.amdhsa_user_sgpr_private_segment_size 0
		.amdhsa_wavefront_size32 1
		.amdhsa_uses_dynamic_stack 0
		.amdhsa_enable_private_segment 0
		.amdhsa_system_sgpr_workgroup_id_x 1
		.amdhsa_system_sgpr_workgroup_id_y 0
		.amdhsa_system_sgpr_workgroup_id_z 0
		.amdhsa_system_sgpr_workgroup_info 0
		.amdhsa_system_vgpr_workitem_id 0
		.amdhsa_next_free_vgpr 1
		.amdhsa_next_free_sgpr 1
		.amdhsa_reserve_vcc 0
		.amdhsa_float_round_mode_32 0
		.amdhsa_float_round_mode_16_64 0
		.amdhsa_float_denorm_mode_32 3
		.amdhsa_float_denorm_mode_16_64 3
		.amdhsa_dx10_clamp 1
		.amdhsa_ieee_mode 1
		.amdhsa_fp16_overflow 0
		.amdhsa_workgroup_processor_mode 1
		.amdhsa_memory_ordered 1
		.amdhsa_forward_progress 0
		.amdhsa_shared_vgpr_count 0
		.amdhsa_exception_fp_ieee_invalid_op 0
		.amdhsa_exception_fp_denorm_src 0
		.amdhsa_exception_fp_ieee_div_zero 0
		.amdhsa_exception_fp_ieee_overflow 0
		.amdhsa_exception_fp_ieee_underflow 0
		.amdhsa_exception_fp_ieee_inexact 0
		.amdhsa_exception_int_div_zero 0
	.end_amdhsa_kernel
	.section	.text._ZN7rocprim17ROCPRIM_400000_NS6detail17trampoline_kernelINS0_14default_configENS1_35adjacent_difference_config_selectorILb1ElEEZNS1_24adjacent_difference_implIS3_Lb1ELb0EPlS7_ZN2at6native12_GLOBAL__N_124unique_dim_cuda_templateImEESt5tupleIJNS8_6TensorESD_SD_EERKSD_lbbbEUlllE1_EE10hipError_tPvRmT2_T3_mT4_P12ihipStream_tbEUlT_E_NS1_11comp_targetILNS1_3genE0ELNS1_11target_archE4294967295ELNS1_3gpuE0ELNS1_3repE0EEENS1_30default_config_static_selectorELNS0_4arch9wavefront6targetE0EEEvT1_,"axG",@progbits,_ZN7rocprim17ROCPRIM_400000_NS6detail17trampoline_kernelINS0_14default_configENS1_35adjacent_difference_config_selectorILb1ElEEZNS1_24adjacent_difference_implIS3_Lb1ELb0EPlS7_ZN2at6native12_GLOBAL__N_124unique_dim_cuda_templateImEESt5tupleIJNS8_6TensorESD_SD_EERKSD_lbbbEUlllE1_EE10hipError_tPvRmT2_T3_mT4_P12ihipStream_tbEUlT_E_NS1_11comp_targetILNS1_3genE0ELNS1_11target_archE4294967295ELNS1_3gpuE0ELNS1_3repE0EEENS1_30default_config_static_selectorELNS0_4arch9wavefront6targetE0EEEvT1_,comdat
.Lfunc_end1653:
	.size	_ZN7rocprim17ROCPRIM_400000_NS6detail17trampoline_kernelINS0_14default_configENS1_35adjacent_difference_config_selectorILb1ElEEZNS1_24adjacent_difference_implIS3_Lb1ELb0EPlS7_ZN2at6native12_GLOBAL__N_124unique_dim_cuda_templateImEESt5tupleIJNS8_6TensorESD_SD_EERKSD_lbbbEUlllE1_EE10hipError_tPvRmT2_T3_mT4_P12ihipStream_tbEUlT_E_NS1_11comp_targetILNS1_3genE0ELNS1_11target_archE4294967295ELNS1_3gpuE0ELNS1_3repE0EEENS1_30default_config_static_selectorELNS0_4arch9wavefront6targetE0EEEvT1_, .Lfunc_end1653-_ZN7rocprim17ROCPRIM_400000_NS6detail17trampoline_kernelINS0_14default_configENS1_35adjacent_difference_config_selectorILb1ElEEZNS1_24adjacent_difference_implIS3_Lb1ELb0EPlS7_ZN2at6native12_GLOBAL__N_124unique_dim_cuda_templateImEESt5tupleIJNS8_6TensorESD_SD_EERKSD_lbbbEUlllE1_EE10hipError_tPvRmT2_T3_mT4_P12ihipStream_tbEUlT_E_NS1_11comp_targetILNS1_3genE0ELNS1_11target_archE4294967295ELNS1_3gpuE0ELNS1_3repE0EEENS1_30default_config_static_selectorELNS0_4arch9wavefront6targetE0EEEvT1_
                                        ; -- End function
	.section	.AMDGPU.csdata,"",@progbits
; Kernel info:
; codeLenInByte = 0
; NumSgprs: 0
; NumVgprs: 0
; ScratchSize: 0
; MemoryBound: 0
; FloatMode: 240
; IeeeMode: 1
; LDSByteSize: 0 bytes/workgroup (compile time only)
; SGPRBlocks: 0
; VGPRBlocks: 0
; NumSGPRsForWavesPerEU: 1
; NumVGPRsForWavesPerEU: 1
; Occupancy: 16
; WaveLimiterHint : 0
; COMPUTE_PGM_RSRC2:SCRATCH_EN: 0
; COMPUTE_PGM_RSRC2:USER_SGPR: 15
; COMPUTE_PGM_RSRC2:TRAP_HANDLER: 0
; COMPUTE_PGM_RSRC2:TGID_X_EN: 1
; COMPUTE_PGM_RSRC2:TGID_Y_EN: 0
; COMPUTE_PGM_RSRC2:TGID_Z_EN: 0
; COMPUTE_PGM_RSRC2:TIDIG_COMP_CNT: 0
	.section	.text._ZN7rocprim17ROCPRIM_400000_NS6detail17trampoline_kernelINS0_14default_configENS1_35adjacent_difference_config_selectorILb1ElEEZNS1_24adjacent_difference_implIS3_Lb1ELb0EPlS7_ZN2at6native12_GLOBAL__N_124unique_dim_cuda_templateImEESt5tupleIJNS8_6TensorESD_SD_EERKSD_lbbbEUlllE1_EE10hipError_tPvRmT2_T3_mT4_P12ihipStream_tbEUlT_E_NS1_11comp_targetILNS1_3genE10ELNS1_11target_archE1201ELNS1_3gpuE5ELNS1_3repE0EEENS1_30default_config_static_selectorELNS0_4arch9wavefront6targetE0EEEvT1_,"axG",@progbits,_ZN7rocprim17ROCPRIM_400000_NS6detail17trampoline_kernelINS0_14default_configENS1_35adjacent_difference_config_selectorILb1ElEEZNS1_24adjacent_difference_implIS3_Lb1ELb0EPlS7_ZN2at6native12_GLOBAL__N_124unique_dim_cuda_templateImEESt5tupleIJNS8_6TensorESD_SD_EERKSD_lbbbEUlllE1_EE10hipError_tPvRmT2_T3_mT4_P12ihipStream_tbEUlT_E_NS1_11comp_targetILNS1_3genE10ELNS1_11target_archE1201ELNS1_3gpuE5ELNS1_3repE0EEENS1_30default_config_static_selectorELNS0_4arch9wavefront6targetE0EEEvT1_,comdat
	.globl	_ZN7rocprim17ROCPRIM_400000_NS6detail17trampoline_kernelINS0_14default_configENS1_35adjacent_difference_config_selectorILb1ElEEZNS1_24adjacent_difference_implIS3_Lb1ELb0EPlS7_ZN2at6native12_GLOBAL__N_124unique_dim_cuda_templateImEESt5tupleIJNS8_6TensorESD_SD_EERKSD_lbbbEUlllE1_EE10hipError_tPvRmT2_T3_mT4_P12ihipStream_tbEUlT_E_NS1_11comp_targetILNS1_3genE10ELNS1_11target_archE1201ELNS1_3gpuE5ELNS1_3repE0EEENS1_30default_config_static_selectorELNS0_4arch9wavefront6targetE0EEEvT1_ ; -- Begin function _ZN7rocprim17ROCPRIM_400000_NS6detail17trampoline_kernelINS0_14default_configENS1_35adjacent_difference_config_selectorILb1ElEEZNS1_24adjacent_difference_implIS3_Lb1ELb0EPlS7_ZN2at6native12_GLOBAL__N_124unique_dim_cuda_templateImEESt5tupleIJNS8_6TensorESD_SD_EERKSD_lbbbEUlllE1_EE10hipError_tPvRmT2_T3_mT4_P12ihipStream_tbEUlT_E_NS1_11comp_targetILNS1_3genE10ELNS1_11target_archE1201ELNS1_3gpuE5ELNS1_3repE0EEENS1_30default_config_static_selectorELNS0_4arch9wavefront6targetE0EEEvT1_
	.p2align	8
	.type	_ZN7rocprim17ROCPRIM_400000_NS6detail17trampoline_kernelINS0_14default_configENS1_35adjacent_difference_config_selectorILb1ElEEZNS1_24adjacent_difference_implIS3_Lb1ELb0EPlS7_ZN2at6native12_GLOBAL__N_124unique_dim_cuda_templateImEESt5tupleIJNS8_6TensorESD_SD_EERKSD_lbbbEUlllE1_EE10hipError_tPvRmT2_T3_mT4_P12ihipStream_tbEUlT_E_NS1_11comp_targetILNS1_3genE10ELNS1_11target_archE1201ELNS1_3gpuE5ELNS1_3repE0EEENS1_30default_config_static_selectorELNS0_4arch9wavefront6targetE0EEEvT1_,@function
_ZN7rocprim17ROCPRIM_400000_NS6detail17trampoline_kernelINS0_14default_configENS1_35adjacent_difference_config_selectorILb1ElEEZNS1_24adjacent_difference_implIS3_Lb1ELb0EPlS7_ZN2at6native12_GLOBAL__N_124unique_dim_cuda_templateImEESt5tupleIJNS8_6TensorESD_SD_EERKSD_lbbbEUlllE1_EE10hipError_tPvRmT2_T3_mT4_P12ihipStream_tbEUlT_E_NS1_11comp_targetILNS1_3genE10ELNS1_11target_archE1201ELNS1_3gpuE5ELNS1_3repE0EEENS1_30default_config_static_selectorELNS0_4arch9wavefront6targetE0EEEvT1_: ; @_ZN7rocprim17ROCPRIM_400000_NS6detail17trampoline_kernelINS0_14default_configENS1_35adjacent_difference_config_selectorILb1ElEEZNS1_24adjacent_difference_implIS3_Lb1ELb0EPlS7_ZN2at6native12_GLOBAL__N_124unique_dim_cuda_templateImEESt5tupleIJNS8_6TensorESD_SD_EERKSD_lbbbEUlllE1_EE10hipError_tPvRmT2_T3_mT4_P12ihipStream_tbEUlT_E_NS1_11comp_targetILNS1_3genE10ELNS1_11target_archE1201ELNS1_3gpuE5ELNS1_3repE0EEENS1_30default_config_static_selectorELNS0_4arch9wavefront6targetE0EEEvT1_
; %bb.0:
	.section	.rodata,"a",@progbits
	.p2align	6, 0x0
	.amdhsa_kernel _ZN7rocprim17ROCPRIM_400000_NS6detail17trampoline_kernelINS0_14default_configENS1_35adjacent_difference_config_selectorILb1ElEEZNS1_24adjacent_difference_implIS3_Lb1ELb0EPlS7_ZN2at6native12_GLOBAL__N_124unique_dim_cuda_templateImEESt5tupleIJNS8_6TensorESD_SD_EERKSD_lbbbEUlllE1_EE10hipError_tPvRmT2_T3_mT4_P12ihipStream_tbEUlT_E_NS1_11comp_targetILNS1_3genE10ELNS1_11target_archE1201ELNS1_3gpuE5ELNS1_3repE0EEENS1_30default_config_static_selectorELNS0_4arch9wavefront6targetE0EEEvT1_
		.amdhsa_group_segment_fixed_size 0
		.amdhsa_private_segment_fixed_size 0
		.amdhsa_kernarg_size 64
		.amdhsa_user_sgpr_count 15
		.amdhsa_user_sgpr_dispatch_ptr 0
		.amdhsa_user_sgpr_queue_ptr 0
		.amdhsa_user_sgpr_kernarg_segment_ptr 1
		.amdhsa_user_sgpr_dispatch_id 0
		.amdhsa_user_sgpr_private_segment_size 0
		.amdhsa_wavefront_size32 1
		.amdhsa_uses_dynamic_stack 0
		.amdhsa_enable_private_segment 0
		.amdhsa_system_sgpr_workgroup_id_x 1
		.amdhsa_system_sgpr_workgroup_id_y 0
		.amdhsa_system_sgpr_workgroup_id_z 0
		.amdhsa_system_sgpr_workgroup_info 0
		.amdhsa_system_vgpr_workitem_id 0
		.amdhsa_next_free_vgpr 1
		.amdhsa_next_free_sgpr 1
		.amdhsa_reserve_vcc 0
		.amdhsa_float_round_mode_32 0
		.amdhsa_float_round_mode_16_64 0
		.amdhsa_float_denorm_mode_32 3
		.amdhsa_float_denorm_mode_16_64 3
		.amdhsa_dx10_clamp 1
		.amdhsa_ieee_mode 1
		.amdhsa_fp16_overflow 0
		.amdhsa_workgroup_processor_mode 1
		.amdhsa_memory_ordered 1
		.amdhsa_forward_progress 0
		.amdhsa_shared_vgpr_count 0
		.amdhsa_exception_fp_ieee_invalid_op 0
		.amdhsa_exception_fp_denorm_src 0
		.amdhsa_exception_fp_ieee_div_zero 0
		.amdhsa_exception_fp_ieee_overflow 0
		.amdhsa_exception_fp_ieee_underflow 0
		.amdhsa_exception_fp_ieee_inexact 0
		.amdhsa_exception_int_div_zero 0
	.end_amdhsa_kernel
	.section	.text._ZN7rocprim17ROCPRIM_400000_NS6detail17trampoline_kernelINS0_14default_configENS1_35adjacent_difference_config_selectorILb1ElEEZNS1_24adjacent_difference_implIS3_Lb1ELb0EPlS7_ZN2at6native12_GLOBAL__N_124unique_dim_cuda_templateImEESt5tupleIJNS8_6TensorESD_SD_EERKSD_lbbbEUlllE1_EE10hipError_tPvRmT2_T3_mT4_P12ihipStream_tbEUlT_E_NS1_11comp_targetILNS1_3genE10ELNS1_11target_archE1201ELNS1_3gpuE5ELNS1_3repE0EEENS1_30default_config_static_selectorELNS0_4arch9wavefront6targetE0EEEvT1_,"axG",@progbits,_ZN7rocprim17ROCPRIM_400000_NS6detail17trampoline_kernelINS0_14default_configENS1_35adjacent_difference_config_selectorILb1ElEEZNS1_24adjacent_difference_implIS3_Lb1ELb0EPlS7_ZN2at6native12_GLOBAL__N_124unique_dim_cuda_templateImEESt5tupleIJNS8_6TensorESD_SD_EERKSD_lbbbEUlllE1_EE10hipError_tPvRmT2_T3_mT4_P12ihipStream_tbEUlT_E_NS1_11comp_targetILNS1_3genE10ELNS1_11target_archE1201ELNS1_3gpuE5ELNS1_3repE0EEENS1_30default_config_static_selectorELNS0_4arch9wavefront6targetE0EEEvT1_,comdat
.Lfunc_end1654:
	.size	_ZN7rocprim17ROCPRIM_400000_NS6detail17trampoline_kernelINS0_14default_configENS1_35adjacent_difference_config_selectorILb1ElEEZNS1_24adjacent_difference_implIS3_Lb1ELb0EPlS7_ZN2at6native12_GLOBAL__N_124unique_dim_cuda_templateImEESt5tupleIJNS8_6TensorESD_SD_EERKSD_lbbbEUlllE1_EE10hipError_tPvRmT2_T3_mT4_P12ihipStream_tbEUlT_E_NS1_11comp_targetILNS1_3genE10ELNS1_11target_archE1201ELNS1_3gpuE5ELNS1_3repE0EEENS1_30default_config_static_selectorELNS0_4arch9wavefront6targetE0EEEvT1_, .Lfunc_end1654-_ZN7rocprim17ROCPRIM_400000_NS6detail17trampoline_kernelINS0_14default_configENS1_35adjacent_difference_config_selectorILb1ElEEZNS1_24adjacent_difference_implIS3_Lb1ELb0EPlS7_ZN2at6native12_GLOBAL__N_124unique_dim_cuda_templateImEESt5tupleIJNS8_6TensorESD_SD_EERKSD_lbbbEUlllE1_EE10hipError_tPvRmT2_T3_mT4_P12ihipStream_tbEUlT_E_NS1_11comp_targetILNS1_3genE10ELNS1_11target_archE1201ELNS1_3gpuE5ELNS1_3repE0EEENS1_30default_config_static_selectorELNS0_4arch9wavefront6targetE0EEEvT1_
                                        ; -- End function
	.section	.AMDGPU.csdata,"",@progbits
; Kernel info:
; codeLenInByte = 0
; NumSgprs: 0
; NumVgprs: 0
; ScratchSize: 0
; MemoryBound: 0
; FloatMode: 240
; IeeeMode: 1
; LDSByteSize: 0 bytes/workgroup (compile time only)
; SGPRBlocks: 0
; VGPRBlocks: 0
; NumSGPRsForWavesPerEU: 1
; NumVGPRsForWavesPerEU: 1
; Occupancy: 16
; WaveLimiterHint : 0
; COMPUTE_PGM_RSRC2:SCRATCH_EN: 0
; COMPUTE_PGM_RSRC2:USER_SGPR: 15
; COMPUTE_PGM_RSRC2:TRAP_HANDLER: 0
; COMPUTE_PGM_RSRC2:TGID_X_EN: 1
; COMPUTE_PGM_RSRC2:TGID_Y_EN: 0
; COMPUTE_PGM_RSRC2:TGID_Z_EN: 0
; COMPUTE_PGM_RSRC2:TIDIG_COMP_CNT: 0
	.section	.text._ZN7rocprim17ROCPRIM_400000_NS6detail17trampoline_kernelINS0_14default_configENS1_35adjacent_difference_config_selectorILb1ElEEZNS1_24adjacent_difference_implIS3_Lb1ELb0EPlS7_ZN2at6native12_GLOBAL__N_124unique_dim_cuda_templateImEESt5tupleIJNS8_6TensorESD_SD_EERKSD_lbbbEUlllE1_EE10hipError_tPvRmT2_T3_mT4_P12ihipStream_tbEUlT_E_NS1_11comp_targetILNS1_3genE5ELNS1_11target_archE942ELNS1_3gpuE9ELNS1_3repE0EEENS1_30default_config_static_selectorELNS0_4arch9wavefront6targetE0EEEvT1_,"axG",@progbits,_ZN7rocprim17ROCPRIM_400000_NS6detail17trampoline_kernelINS0_14default_configENS1_35adjacent_difference_config_selectorILb1ElEEZNS1_24adjacent_difference_implIS3_Lb1ELb0EPlS7_ZN2at6native12_GLOBAL__N_124unique_dim_cuda_templateImEESt5tupleIJNS8_6TensorESD_SD_EERKSD_lbbbEUlllE1_EE10hipError_tPvRmT2_T3_mT4_P12ihipStream_tbEUlT_E_NS1_11comp_targetILNS1_3genE5ELNS1_11target_archE942ELNS1_3gpuE9ELNS1_3repE0EEENS1_30default_config_static_selectorELNS0_4arch9wavefront6targetE0EEEvT1_,comdat
	.globl	_ZN7rocprim17ROCPRIM_400000_NS6detail17trampoline_kernelINS0_14default_configENS1_35adjacent_difference_config_selectorILb1ElEEZNS1_24adjacent_difference_implIS3_Lb1ELb0EPlS7_ZN2at6native12_GLOBAL__N_124unique_dim_cuda_templateImEESt5tupleIJNS8_6TensorESD_SD_EERKSD_lbbbEUlllE1_EE10hipError_tPvRmT2_T3_mT4_P12ihipStream_tbEUlT_E_NS1_11comp_targetILNS1_3genE5ELNS1_11target_archE942ELNS1_3gpuE9ELNS1_3repE0EEENS1_30default_config_static_selectorELNS0_4arch9wavefront6targetE0EEEvT1_ ; -- Begin function _ZN7rocprim17ROCPRIM_400000_NS6detail17trampoline_kernelINS0_14default_configENS1_35adjacent_difference_config_selectorILb1ElEEZNS1_24adjacent_difference_implIS3_Lb1ELb0EPlS7_ZN2at6native12_GLOBAL__N_124unique_dim_cuda_templateImEESt5tupleIJNS8_6TensorESD_SD_EERKSD_lbbbEUlllE1_EE10hipError_tPvRmT2_T3_mT4_P12ihipStream_tbEUlT_E_NS1_11comp_targetILNS1_3genE5ELNS1_11target_archE942ELNS1_3gpuE9ELNS1_3repE0EEENS1_30default_config_static_selectorELNS0_4arch9wavefront6targetE0EEEvT1_
	.p2align	8
	.type	_ZN7rocprim17ROCPRIM_400000_NS6detail17trampoline_kernelINS0_14default_configENS1_35adjacent_difference_config_selectorILb1ElEEZNS1_24adjacent_difference_implIS3_Lb1ELb0EPlS7_ZN2at6native12_GLOBAL__N_124unique_dim_cuda_templateImEESt5tupleIJNS8_6TensorESD_SD_EERKSD_lbbbEUlllE1_EE10hipError_tPvRmT2_T3_mT4_P12ihipStream_tbEUlT_E_NS1_11comp_targetILNS1_3genE5ELNS1_11target_archE942ELNS1_3gpuE9ELNS1_3repE0EEENS1_30default_config_static_selectorELNS0_4arch9wavefront6targetE0EEEvT1_,@function
_ZN7rocprim17ROCPRIM_400000_NS6detail17trampoline_kernelINS0_14default_configENS1_35adjacent_difference_config_selectorILb1ElEEZNS1_24adjacent_difference_implIS3_Lb1ELb0EPlS7_ZN2at6native12_GLOBAL__N_124unique_dim_cuda_templateImEESt5tupleIJNS8_6TensorESD_SD_EERKSD_lbbbEUlllE1_EE10hipError_tPvRmT2_T3_mT4_P12ihipStream_tbEUlT_E_NS1_11comp_targetILNS1_3genE5ELNS1_11target_archE942ELNS1_3gpuE9ELNS1_3repE0EEENS1_30default_config_static_selectorELNS0_4arch9wavefront6targetE0EEEvT1_: ; @_ZN7rocprim17ROCPRIM_400000_NS6detail17trampoline_kernelINS0_14default_configENS1_35adjacent_difference_config_selectorILb1ElEEZNS1_24adjacent_difference_implIS3_Lb1ELb0EPlS7_ZN2at6native12_GLOBAL__N_124unique_dim_cuda_templateImEESt5tupleIJNS8_6TensorESD_SD_EERKSD_lbbbEUlllE1_EE10hipError_tPvRmT2_T3_mT4_P12ihipStream_tbEUlT_E_NS1_11comp_targetILNS1_3genE5ELNS1_11target_archE942ELNS1_3gpuE9ELNS1_3repE0EEENS1_30default_config_static_selectorELNS0_4arch9wavefront6targetE0EEEvT1_
; %bb.0:
	.section	.rodata,"a",@progbits
	.p2align	6, 0x0
	.amdhsa_kernel _ZN7rocprim17ROCPRIM_400000_NS6detail17trampoline_kernelINS0_14default_configENS1_35adjacent_difference_config_selectorILb1ElEEZNS1_24adjacent_difference_implIS3_Lb1ELb0EPlS7_ZN2at6native12_GLOBAL__N_124unique_dim_cuda_templateImEESt5tupleIJNS8_6TensorESD_SD_EERKSD_lbbbEUlllE1_EE10hipError_tPvRmT2_T3_mT4_P12ihipStream_tbEUlT_E_NS1_11comp_targetILNS1_3genE5ELNS1_11target_archE942ELNS1_3gpuE9ELNS1_3repE0EEENS1_30default_config_static_selectorELNS0_4arch9wavefront6targetE0EEEvT1_
		.amdhsa_group_segment_fixed_size 0
		.amdhsa_private_segment_fixed_size 0
		.amdhsa_kernarg_size 64
		.amdhsa_user_sgpr_count 15
		.amdhsa_user_sgpr_dispatch_ptr 0
		.amdhsa_user_sgpr_queue_ptr 0
		.amdhsa_user_sgpr_kernarg_segment_ptr 1
		.amdhsa_user_sgpr_dispatch_id 0
		.amdhsa_user_sgpr_private_segment_size 0
		.amdhsa_wavefront_size32 1
		.amdhsa_uses_dynamic_stack 0
		.amdhsa_enable_private_segment 0
		.amdhsa_system_sgpr_workgroup_id_x 1
		.amdhsa_system_sgpr_workgroup_id_y 0
		.amdhsa_system_sgpr_workgroup_id_z 0
		.amdhsa_system_sgpr_workgroup_info 0
		.amdhsa_system_vgpr_workitem_id 0
		.amdhsa_next_free_vgpr 1
		.amdhsa_next_free_sgpr 1
		.amdhsa_reserve_vcc 0
		.amdhsa_float_round_mode_32 0
		.amdhsa_float_round_mode_16_64 0
		.amdhsa_float_denorm_mode_32 3
		.amdhsa_float_denorm_mode_16_64 3
		.amdhsa_dx10_clamp 1
		.amdhsa_ieee_mode 1
		.amdhsa_fp16_overflow 0
		.amdhsa_workgroup_processor_mode 1
		.amdhsa_memory_ordered 1
		.amdhsa_forward_progress 0
		.amdhsa_shared_vgpr_count 0
		.amdhsa_exception_fp_ieee_invalid_op 0
		.amdhsa_exception_fp_denorm_src 0
		.amdhsa_exception_fp_ieee_div_zero 0
		.amdhsa_exception_fp_ieee_overflow 0
		.amdhsa_exception_fp_ieee_underflow 0
		.amdhsa_exception_fp_ieee_inexact 0
		.amdhsa_exception_int_div_zero 0
	.end_amdhsa_kernel
	.section	.text._ZN7rocprim17ROCPRIM_400000_NS6detail17trampoline_kernelINS0_14default_configENS1_35adjacent_difference_config_selectorILb1ElEEZNS1_24adjacent_difference_implIS3_Lb1ELb0EPlS7_ZN2at6native12_GLOBAL__N_124unique_dim_cuda_templateImEESt5tupleIJNS8_6TensorESD_SD_EERKSD_lbbbEUlllE1_EE10hipError_tPvRmT2_T3_mT4_P12ihipStream_tbEUlT_E_NS1_11comp_targetILNS1_3genE5ELNS1_11target_archE942ELNS1_3gpuE9ELNS1_3repE0EEENS1_30default_config_static_selectorELNS0_4arch9wavefront6targetE0EEEvT1_,"axG",@progbits,_ZN7rocprim17ROCPRIM_400000_NS6detail17trampoline_kernelINS0_14default_configENS1_35adjacent_difference_config_selectorILb1ElEEZNS1_24adjacent_difference_implIS3_Lb1ELb0EPlS7_ZN2at6native12_GLOBAL__N_124unique_dim_cuda_templateImEESt5tupleIJNS8_6TensorESD_SD_EERKSD_lbbbEUlllE1_EE10hipError_tPvRmT2_T3_mT4_P12ihipStream_tbEUlT_E_NS1_11comp_targetILNS1_3genE5ELNS1_11target_archE942ELNS1_3gpuE9ELNS1_3repE0EEENS1_30default_config_static_selectorELNS0_4arch9wavefront6targetE0EEEvT1_,comdat
.Lfunc_end1655:
	.size	_ZN7rocprim17ROCPRIM_400000_NS6detail17trampoline_kernelINS0_14default_configENS1_35adjacent_difference_config_selectorILb1ElEEZNS1_24adjacent_difference_implIS3_Lb1ELb0EPlS7_ZN2at6native12_GLOBAL__N_124unique_dim_cuda_templateImEESt5tupleIJNS8_6TensorESD_SD_EERKSD_lbbbEUlllE1_EE10hipError_tPvRmT2_T3_mT4_P12ihipStream_tbEUlT_E_NS1_11comp_targetILNS1_3genE5ELNS1_11target_archE942ELNS1_3gpuE9ELNS1_3repE0EEENS1_30default_config_static_selectorELNS0_4arch9wavefront6targetE0EEEvT1_, .Lfunc_end1655-_ZN7rocprim17ROCPRIM_400000_NS6detail17trampoline_kernelINS0_14default_configENS1_35adjacent_difference_config_selectorILb1ElEEZNS1_24adjacent_difference_implIS3_Lb1ELb0EPlS7_ZN2at6native12_GLOBAL__N_124unique_dim_cuda_templateImEESt5tupleIJNS8_6TensorESD_SD_EERKSD_lbbbEUlllE1_EE10hipError_tPvRmT2_T3_mT4_P12ihipStream_tbEUlT_E_NS1_11comp_targetILNS1_3genE5ELNS1_11target_archE942ELNS1_3gpuE9ELNS1_3repE0EEENS1_30default_config_static_selectorELNS0_4arch9wavefront6targetE0EEEvT1_
                                        ; -- End function
	.section	.AMDGPU.csdata,"",@progbits
; Kernel info:
; codeLenInByte = 0
; NumSgprs: 0
; NumVgprs: 0
; ScratchSize: 0
; MemoryBound: 0
; FloatMode: 240
; IeeeMode: 1
; LDSByteSize: 0 bytes/workgroup (compile time only)
; SGPRBlocks: 0
; VGPRBlocks: 0
; NumSGPRsForWavesPerEU: 1
; NumVGPRsForWavesPerEU: 1
; Occupancy: 16
; WaveLimiterHint : 0
; COMPUTE_PGM_RSRC2:SCRATCH_EN: 0
; COMPUTE_PGM_RSRC2:USER_SGPR: 15
; COMPUTE_PGM_RSRC2:TRAP_HANDLER: 0
; COMPUTE_PGM_RSRC2:TGID_X_EN: 1
; COMPUTE_PGM_RSRC2:TGID_Y_EN: 0
; COMPUTE_PGM_RSRC2:TGID_Z_EN: 0
; COMPUTE_PGM_RSRC2:TIDIG_COMP_CNT: 0
	.section	.text._ZN7rocprim17ROCPRIM_400000_NS6detail17trampoline_kernelINS0_14default_configENS1_35adjacent_difference_config_selectorILb1ElEEZNS1_24adjacent_difference_implIS3_Lb1ELb0EPlS7_ZN2at6native12_GLOBAL__N_124unique_dim_cuda_templateImEESt5tupleIJNS8_6TensorESD_SD_EERKSD_lbbbEUlllE1_EE10hipError_tPvRmT2_T3_mT4_P12ihipStream_tbEUlT_E_NS1_11comp_targetILNS1_3genE4ELNS1_11target_archE910ELNS1_3gpuE8ELNS1_3repE0EEENS1_30default_config_static_selectorELNS0_4arch9wavefront6targetE0EEEvT1_,"axG",@progbits,_ZN7rocprim17ROCPRIM_400000_NS6detail17trampoline_kernelINS0_14default_configENS1_35adjacent_difference_config_selectorILb1ElEEZNS1_24adjacent_difference_implIS3_Lb1ELb0EPlS7_ZN2at6native12_GLOBAL__N_124unique_dim_cuda_templateImEESt5tupleIJNS8_6TensorESD_SD_EERKSD_lbbbEUlllE1_EE10hipError_tPvRmT2_T3_mT4_P12ihipStream_tbEUlT_E_NS1_11comp_targetILNS1_3genE4ELNS1_11target_archE910ELNS1_3gpuE8ELNS1_3repE0EEENS1_30default_config_static_selectorELNS0_4arch9wavefront6targetE0EEEvT1_,comdat
	.globl	_ZN7rocprim17ROCPRIM_400000_NS6detail17trampoline_kernelINS0_14default_configENS1_35adjacent_difference_config_selectorILb1ElEEZNS1_24adjacent_difference_implIS3_Lb1ELb0EPlS7_ZN2at6native12_GLOBAL__N_124unique_dim_cuda_templateImEESt5tupleIJNS8_6TensorESD_SD_EERKSD_lbbbEUlllE1_EE10hipError_tPvRmT2_T3_mT4_P12ihipStream_tbEUlT_E_NS1_11comp_targetILNS1_3genE4ELNS1_11target_archE910ELNS1_3gpuE8ELNS1_3repE0EEENS1_30default_config_static_selectorELNS0_4arch9wavefront6targetE0EEEvT1_ ; -- Begin function _ZN7rocprim17ROCPRIM_400000_NS6detail17trampoline_kernelINS0_14default_configENS1_35adjacent_difference_config_selectorILb1ElEEZNS1_24adjacent_difference_implIS3_Lb1ELb0EPlS7_ZN2at6native12_GLOBAL__N_124unique_dim_cuda_templateImEESt5tupleIJNS8_6TensorESD_SD_EERKSD_lbbbEUlllE1_EE10hipError_tPvRmT2_T3_mT4_P12ihipStream_tbEUlT_E_NS1_11comp_targetILNS1_3genE4ELNS1_11target_archE910ELNS1_3gpuE8ELNS1_3repE0EEENS1_30default_config_static_selectorELNS0_4arch9wavefront6targetE0EEEvT1_
	.p2align	8
	.type	_ZN7rocprim17ROCPRIM_400000_NS6detail17trampoline_kernelINS0_14default_configENS1_35adjacent_difference_config_selectorILb1ElEEZNS1_24adjacent_difference_implIS3_Lb1ELb0EPlS7_ZN2at6native12_GLOBAL__N_124unique_dim_cuda_templateImEESt5tupleIJNS8_6TensorESD_SD_EERKSD_lbbbEUlllE1_EE10hipError_tPvRmT2_T3_mT4_P12ihipStream_tbEUlT_E_NS1_11comp_targetILNS1_3genE4ELNS1_11target_archE910ELNS1_3gpuE8ELNS1_3repE0EEENS1_30default_config_static_selectorELNS0_4arch9wavefront6targetE0EEEvT1_,@function
_ZN7rocprim17ROCPRIM_400000_NS6detail17trampoline_kernelINS0_14default_configENS1_35adjacent_difference_config_selectorILb1ElEEZNS1_24adjacent_difference_implIS3_Lb1ELb0EPlS7_ZN2at6native12_GLOBAL__N_124unique_dim_cuda_templateImEESt5tupleIJNS8_6TensorESD_SD_EERKSD_lbbbEUlllE1_EE10hipError_tPvRmT2_T3_mT4_P12ihipStream_tbEUlT_E_NS1_11comp_targetILNS1_3genE4ELNS1_11target_archE910ELNS1_3gpuE8ELNS1_3repE0EEENS1_30default_config_static_selectorELNS0_4arch9wavefront6targetE0EEEvT1_: ; @_ZN7rocprim17ROCPRIM_400000_NS6detail17trampoline_kernelINS0_14default_configENS1_35adjacent_difference_config_selectorILb1ElEEZNS1_24adjacent_difference_implIS3_Lb1ELb0EPlS7_ZN2at6native12_GLOBAL__N_124unique_dim_cuda_templateImEESt5tupleIJNS8_6TensorESD_SD_EERKSD_lbbbEUlllE1_EE10hipError_tPvRmT2_T3_mT4_P12ihipStream_tbEUlT_E_NS1_11comp_targetILNS1_3genE4ELNS1_11target_archE910ELNS1_3gpuE8ELNS1_3repE0EEENS1_30default_config_static_selectorELNS0_4arch9wavefront6targetE0EEEvT1_
; %bb.0:
	.section	.rodata,"a",@progbits
	.p2align	6, 0x0
	.amdhsa_kernel _ZN7rocprim17ROCPRIM_400000_NS6detail17trampoline_kernelINS0_14default_configENS1_35adjacent_difference_config_selectorILb1ElEEZNS1_24adjacent_difference_implIS3_Lb1ELb0EPlS7_ZN2at6native12_GLOBAL__N_124unique_dim_cuda_templateImEESt5tupleIJNS8_6TensorESD_SD_EERKSD_lbbbEUlllE1_EE10hipError_tPvRmT2_T3_mT4_P12ihipStream_tbEUlT_E_NS1_11comp_targetILNS1_3genE4ELNS1_11target_archE910ELNS1_3gpuE8ELNS1_3repE0EEENS1_30default_config_static_selectorELNS0_4arch9wavefront6targetE0EEEvT1_
		.amdhsa_group_segment_fixed_size 0
		.amdhsa_private_segment_fixed_size 0
		.amdhsa_kernarg_size 64
		.amdhsa_user_sgpr_count 15
		.amdhsa_user_sgpr_dispatch_ptr 0
		.amdhsa_user_sgpr_queue_ptr 0
		.amdhsa_user_sgpr_kernarg_segment_ptr 1
		.amdhsa_user_sgpr_dispatch_id 0
		.amdhsa_user_sgpr_private_segment_size 0
		.amdhsa_wavefront_size32 1
		.amdhsa_uses_dynamic_stack 0
		.amdhsa_enable_private_segment 0
		.amdhsa_system_sgpr_workgroup_id_x 1
		.amdhsa_system_sgpr_workgroup_id_y 0
		.amdhsa_system_sgpr_workgroup_id_z 0
		.amdhsa_system_sgpr_workgroup_info 0
		.amdhsa_system_vgpr_workitem_id 0
		.amdhsa_next_free_vgpr 1
		.amdhsa_next_free_sgpr 1
		.amdhsa_reserve_vcc 0
		.amdhsa_float_round_mode_32 0
		.amdhsa_float_round_mode_16_64 0
		.amdhsa_float_denorm_mode_32 3
		.amdhsa_float_denorm_mode_16_64 3
		.amdhsa_dx10_clamp 1
		.amdhsa_ieee_mode 1
		.amdhsa_fp16_overflow 0
		.amdhsa_workgroup_processor_mode 1
		.amdhsa_memory_ordered 1
		.amdhsa_forward_progress 0
		.amdhsa_shared_vgpr_count 0
		.amdhsa_exception_fp_ieee_invalid_op 0
		.amdhsa_exception_fp_denorm_src 0
		.amdhsa_exception_fp_ieee_div_zero 0
		.amdhsa_exception_fp_ieee_overflow 0
		.amdhsa_exception_fp_ieee_underflow 0
		.amdhsa_exception_fp_ieee_inexact 0
		.amdhsa_exception_int_div_zero 0
	.end_amdhsa_kernel
	.section	.text._ZN7rocprim17ROCPRIM_400000_NS6detail17trampoline_kernelINS0_14default_configENS1_35adjacent_difference_config_selectorILb1ElEEZNS1_24adjacent_difference_implIS3_Lb1ELb0EPlS7_ZN2at6native12_GLOBAL__N_124unique_dim_cuda_templateImEESt5tupleIJNS8_6TensorESD_SD_EERKSD_lbbbEUlllE1_EE10hipError_tPvRmT2_T3_mT4_P12ihipStream_tbEUlT_E_NS1_11comp_targetILNS1_3genE4ELNS1_11target_archE910ELNS1_3gpuE8ELNS1_3repE0EEENS1_30default_config_static_selectorELNS0_4arch9wavefront6targetE0EEEvT1_,"axG",@progbits,_ZN7rocprim17ROCPRIM_400000_NS6detail17trampoline_kernelINS0_14default_configENS1_35adjacent_difference_config_selectorILb1ElEEZNS1_24adjacent_difference_implIS3_Lb1ELb0EPlS7_ZN2at6native12_GLOBAL__N_124unique_dim_cuda_templateImEESt5tupleIJNS8_6TensorESD_SD_EERKSD_lbbbEUlllE1_EE10hipError_tPvRmT2_T3_mT4_P12ihipStream_tbEUlT_E_NS1_11comp_targetILNS1_3genE4ELNS1_11target_archE910ELNS1_3gpuE8ELNS1_3repE0EEENS1_30default_config_static_selectorELNS0_4arch9wavefront6targetE0EEEvT1_,comdat
.Lfunc_end1656:
	.size	_ZN7rocprim17ROCPRIM_400000_NS6detail17trampoline_kernelINS0_14default_configENS1_35adjacent_difference_config_selectorILb1ElEEZNS1_24adjacent_difference_implIS3_Lb1ELb0EPlS7_ZN2at6native12_GLOBAL__N_124unique_dim_cuda_templateImEESt5tupleIJNS8_6TensorESD_SD_EERKSD_lbbbEUlllE1_EE10hipError_tPvRmT2_T3_mT4_P12ihipStream_tbEUlT_E_NS1_11comp_targetILNS1_3genE4ELNS1_11target_archE910ELNS1_3gpuE8ELNS1_3repE0EEENS1_30default_config_static_selectorELNS0_4arch9wavefront6targetE0EEEvT1_, .Lfunc_end1656-_ZN7rocprim17ROCPRIM_400000_NS6detail17trampoline_kernelINS0_14default_configENS1_35adjacent_difference_config_selectorILb1ElEEZNS1_24adjacent_difference_implIS3_Lb1ELb0EPlS7_ZN2at6native12_GLOBAL__N_124unique_dim_cuda_templateImEESt5tupleIJNS8_6TensorESD_SD_EERKSD_lbbbEUlllE1_EE10hipError_tPvRmT2_T3_mT4_P12ihipStream_tbEUlT_E_NS1_11comp_targetILNS1_3genE4ELNS1_11target_archE910ELNS1_3gpuE8ELNS1_3repE0EEENS1_30default_config_static_selectorELNS0_4arch9wavefront6targetE0EEEvT1_
                                        ; -- End function
	.section	.AMDGPU.csdata,"",@progbits
; Kernel info:
; codeLenInByte = 0
; NumSgprs: 0
; NumVgprs: 0
; ScratchSize: 0
; MemoryBound: 0
; FloatMode: 240
; IeeeMode: 1
; LDSByteSize: 0 bytes/workgroup (compile time only)
; SGPRBlocks: 0
; VGPRBlocks: 0
; NumSGPRsForWavesPerEU: 1
; NumVGPRsForWavesPerEU: 1
; Occupancy: 16
; WaveLimiterHint : 0
; COMPUTE_PGM_RSRC2:SCRATCH_EN: 0
; COMPUTE_PGM_RSRC2:USER_SGPR: 15
; COMPUTE_PGM_RSRC2:TRAP_HANDLER: 0
; COMPUTE_PGM_RSRC2:TGID_X_EN: 1
; COMPUTE_PGM_RSRC2:TGID_Y_EN: 0
; COMPUTE_PGM_RSRC2:TGID_Z_EN: 0
; COMPUTE_PGM_RSRC2:TIDIG_COMP_CNT: 0
	.section	.text._ZN7rocprim17ROCPRIM_400000_NS6detail17trampoline_kernelINS0_14default_configENS1_35adjacent_difference_config_selectorILb1ElEEZNS1_24adjacent_difference_implIS3_Lb1ELb0EPlS7_ZN2at6native12_GLOBAL__N_124unique_dim_cuda_templateImEESt5tupleIJNS8_6TensorESD_SD_EERKSD_lbbbEUlllE1_EE10hipError_tPvRmT2_T3_mT4_P12ihipStream_tbEUlT_E_NS1_11comp_targetILNS1_3genE3ELNS1_11target_archE908ELNS1_3gpuE7ELNS1_3repE0EEENS1_30default_config_static_selectorELNS0_4arch9wavefront6targetE0EEEvT1_,"axG",@progbits,_ZN7rocprim17ROCPRIM_400000_NS6detail17trampoline_kernelINS0_14default_configENS1_35adjacent_difference_config_selectorILb1ElEEZNS1_24adjacent_difference_implIS3_Lb1ELb0EPlS7_ZN2at6native12_GLOBAL__N_124unique_dim_cuda_templateImEESt5tupleIJNS8_6TensorESD_SD_EERKSD_lbbbEUlllE1_EE10hipError_tPvRmT2_T3_mT4_P12ihipStream_tbEUlT_E_NS1_11comp_targetILNS1_3genE3ELNS1_11target_archE908ELNS1_3gpuE7ELNS1_3repE0EEENS1_30default_config_static_selectorELNS0_4arch9wavefront6targetE0EEEvT1_,comdat
	.globl	_ZN7rocprim17ROCPRIM_400000_NS6detail17trampoline_kernelINS0_14default_configENS1_35adjacent_difference_config_selectorILb1ElEEZNS1_24adjacent_difference_implIS3_Lb1ELb0EPlS7_ZN2at6native12_GLOBAL__N_124unique_dim_cuda_templateImEESt5tupleIJNS8_6TensorESD_SD_EERKSD_lbbbEUlllE1_EE10hipError_tPvRmT2_T3_mT4_P12ihipStream_tbEUlT_E_NS1_11comp_targetILNS1_3genE3ELNS1_11target_archE908ELNS1_3gpuE7ELNS1_3repE0EEENS1_30default_config_static_selectorELNS0_4arch9wavefront6targetE0EEEvT1_ ; -- Begin function _ZN7rocprim17ROCPRIM_400000_NS6detail17trampoline_kernelINS0_14default_configENS1_35adjacent_difference_config_selectorILb1ElEEZNS1_24adjacent_difference_implIS3_Lb1ELb0EPlS7_ZN2at6native12_GLOBAL__N_124unique_dim_cuda_templateImEESt5tupleIJNS8_6TensorESD_SD_EERKSD_lbbbEUlllE1_EE10hipError_tPvRmT2_T3_mT4_P12ihipStream_tbEUlT_E_NS1_11comp_targetILNS1_3genE3ELNS1_11target_archE908ELNS1_3gpuE7ELNS1_3repE0EEENS1_30default_config_static_selectorELNS0_4arch9wavefront6targetE0EEEvT1_
	.p2align	8
	.type	_ZN7rocprim17ROCPRIM_400000_NS6detail17trampoline_kernelINS0_14default_configENS1_35adjacent_difference_config_selectorILb1ElEEZNS1_24adjacent_difference_implIS3_Lb1ELb0EPlS7_ZN2at6native12_GLOBAL__N_124unique_dim_cuda_templateImEESt5tupleIJNS8_6TensorESD_SD_EERKSD_lbbbEUlllE1_EE10hipError_tPvRmT2_T3_mT4_P12ihipStream_tbEUlT_E_NS1_11comp_targetILNS1_3genE3ELNS1_11target_archE908ELNS1_3gpuE7ELNS1_3repE0EEENS1_30default_config_static_selectorELNS0_4arch9wavefront6targetE0EEEvT1_,@function
_ZN7rocprim17ROCPRIM_400000_NS6detail17trampoline_kernelINS0_14default_configENS1_35adjacent_difference_config_selectorILb1ElEEZNS1_24adjacent_difference_implIS3_Lb1ELb0EPlS7_ZN2at6native12_GLOBAL__N_124unique_dim_cuda_templateImEESt5tupleIJNS8_6TensorESD_SD_EERKSD_lbbbEUlllE1_EE10hipError_tPvRmT2_T3_mT4_P12ihipStream_tbEUlT_E_NS1_11comp_targetILNS1_3genE3ELNS1_11target_archE908ELNS1_3gpuE7ELNS1_3repE0EEENS1_30default_config_static_selectorELNS0_4arch9wavefront6targetE0EEEvT1_: ; @_ZN7rocprim17ROCPRIM_400000_NS6detail17trampoline_kernelINS0_14default_configENS1_35adjacent_difference_config_selectorILb1ElEEZNS1_24adjacent_difference_implIS3_Lb1ELb0EPlS7_ZN2at6native12_GLOBAL__N_124unique_dim_cuda_templateImEESt5tupleIJNS8_6TensorESD_SD_EERKSD_lbbbEUlllE1_EE10hipError_tPvRmT2_T3_mT4_P12ihipStream_tbEUlT_E_NS1_11comp_targetILNS1_3genE3ELNS1_11target_archE908ELNS1_3gpuE7ELNS1_3repE0EEENS1_30default_config_static_selectorELNS0_4arch9wavefront6targetE0EEEvT1_
; %bb.0:
	.section	.rodata,"a",@progbits
	.p2align	6, 0x0
	.amdhsa_kernel _ZN7rocprim17ROCPRIM_400000_NS6detail17trampoline_kernelINS0_14default_configENS1_35adjacent_difference_config_selectorILb1ElEEZNS1_24adjacent_difference_implIS3_Lb1ELb0EPlS7_ZN2at6native12_GLOBAL__N_124unique_dim_cuda_templateImEESt5tupleIJNS8_6TensorESD_SD_EERKSD_lbbbEUlllE1_EE10hipError_tPvRmT2_T3_mT4_P12ihipStream_tbEUlT_E_NS1_11comp_targetILNS1_3genE3ELNS1_11target_archE908ELNS1_3gpuE7ELNS1_3repE0EEENS1_30default_config_static_selectorELNS0_4arch9wavefront6targetE0EEEvT1_
		.amdhsa_group_segment_fixed_size 0
		.amdhsa_private_segment_fixed_size 0
		.amdhsa_kernarg_size 64
		.amdhsa_user_sgpr_count 15
		.amdhsa_user_sgpr_dispatch_ptr 0
		.amdhsa_user_sgpr_queue_ptr 0
		.amdhsa_user_sgpr_kernarg_segment_ptr 1
		.amdhsa_user_sgpr_dispatch_id 0
		.amdhsa_user_sgpr_private_segment_size 0
		.amdhsa_wavefront_size32 1
		.amdhsa_uses_dynamic_stack 0
		.amdhsa_enable_private_segment 0
		.amdhsa_system_sgpr_workgroup_id_x 1
		.amdhsa_system_sgpr_workgroup_id_y 0
		.amdhsa_system_sgpr_workgroup_id_z 0
		.amdhsa_system_sgpr_workgroup_info 0
		.amdhsa_system_vgpr_workitem_id 0
		.amdhsa_next_free_vgpr 1
		.amdhsa_next_free_sgpr 1
		.amdhsa_reserve_vcc 0
		.amdhsa_float_round_mode_32 0
		.amdhsa_float_round_mode_16_64 0
		.amdhsa_float_denorm_mode_32 3
		.amdhsa_float_denorm_mode_16_64 3
		.amdhsa_dx10_clamp 1
		.amdhsa_ieee_mode 1
		.amdhsa_fp16_overflow 0
		.amdhsa_workgroup_processor_mode 1
		.amdhsa_memory_ordered 1
		.amdhsa_forward_progress 0
		.amdhsa_shared_vgpr_count 0
		.amdhsa_exception_fp_ieee_invalid_op 0
		.amdhsa_exception_fp_denorm_src 0
		.amdhsa_exception_fp_ieee_div_zero 0
		.amdhsa_exception_fp_ieee_overflow 0
		.amdhsa_exception_fp_ieee_underflow 0
		.amdhsa_exception_fp_ieee_inexact 0
		.amdhsa_exception_int_div_zero 0
	.end_amdhsa_kernel
	.section	.text._ZN7rocprim17ROCPRIM_400000_NS6detail17trampoline_kernelINS0_14default_configENS1_35adjacent_difference_config_selectorILb1ElEEZNS1_24adjacent_difference_implIS3_Lb1ELb0EPlS7_ZN2at6native12_GLOBAL__N_124unique_dim_cuda_templateImEESt5tupleIJNS8_6TensorESD_SD_EERKSD_lbbbEUlllE1_EE10hipError_tPvRmT2_T3_mT4_P12ihipStream_tbEUlT_E_NS1_11comp_targetILNS1_3genE3ELNS1_11target_archE908ELNS1_3gpuE7ELNS1_3repE0EEENS1_30default_config_static_selectorELNS0_4arch9wavefront6targetE0EEEvT1_,"axG",@progbits,_ZN7rocprim17ROCPRIM_400000_NS6detail17trampoline_kernelINS0_14default_configENS1_35adjacent_difference_config_selectorILb1ElEEZNS1_24adjacent_difference_implIS3_Lb1ELb0EPlS7_ZN2at6native12_GLOBAL__N_124unique_dim_cuda_templateImEESt5tupleIJNS8_6TensorESD_SD_EERKSD_lbbbEUlllE1_EE10hipError_tPvRmT2_T3_mT4_P12ihipStream_tbEUlT_E_NS1_11comp_targetILNS1_3genE3ELNS1_11target_archE908ELNS1_3gpuE7ELNS1_3repE0EEENS1_30default_config_static_selectorELNS0_4arch9wavefront6targetE0EEEvT1_,comdat
.Lfunc_end1657:
	.size	_ZN7rocprim17ROCPRIM_400000_NS6detail17trampoline_kernelINS0_14default_configENS1_35adjacent_difference_config_selectorILb1ElEEZNS1_24adjacent_difference_implIS3_Lb1ELb0EPlS7_ZN2at6native12_GLOBAL__N_124unique_dim_cuda_templateImEESt5tupleIJNS8_6TensorESD_SD_EERKSD_lbbbEUlllE1_EE10hipError_tPvRmT2_T3_mT4_P12ihipStream_tbEUlT_E_NS1_11comp_targetILNS1_3genE3ELNS1_11target_archE908ELNS1_3gpuE7ELNS1_3repE0EEENS1_30default_config_static_selectorELNS0_4arch9wavefront6targetE0EEEvT1_, .Lfunc_end1657-_ZN7rocprim17ROCPRIM_400000_NS6detail17trampoline_kernelINS0_14default_configENS1_35adjacent_difference_config_selectorILb1ElEEZNS1_24adjacent_difference_implIS3_Lb1ELb0EPlS7_ZN2at6native12_GLOBAL__N_124unique_dim_cuda_templateImEESt5tupleIJNS8_6TensorESD_SD_EERKSD_lbbbEUlllE1_EE10hipError_tPvRmT2_T3_mT4_P12ihipStream_tbEUlT_E_NS1_11comp_targetILNS1_3genE3ELNS1_11target_archE908ELNS1_3gpuE7ELNS1_3repE0EEENS1_30default_config_static_selectorELNS0_4arch9wavefront6targetE0EEEvT1_
                                        ; -- End function
	.section	.AMDGPU.csdata,"",@progbits
; Kernel info:
; codeLenInByte = 0
; NumSgprs: 0
; NumVgprs: 0
; ScratchSize: 0
; MemoryBound: 0
; FloatMode: 240
; IeeeMode: 1
; LDSByteSize: 0 bytes/workgroup (compile time only)
; SGPRBlocks: 0
; VGPRBlocks: 0
; NumSGPRsForWavesPerEU: 1
; NumVGPRsForWavesPerEU: 1
; Occupancy: 16
; WaveLimiterHint : 0
; COMPUTE_PGM_RSRC2:SCRATCH_EN: 0
; COMPUTE_PGM_RSRC2:USER_SGPR: 15
; COMPUTE_PGM_RSRC2:TRAP_HANDLER: 0
; COMPUTE_PGM_RSRC2:TGID_X_EN: 1
; COMPUTE_PGM_RSRC2:TGID_Y_EN: 0
; COMPUTE_PGM_RSRC2:TGID_Z_EN: 0
; COMPUTE_PGM_RSRC2:TIDIG_COMP_CNT: 0
	.section	.text._ZN7rocprim17ROCPRIM_400000_NS6detail17trampoline_kernelINS0_14default_configENS1_35adjacent_difference_config_selectorILb1ElEEZNS1_24adjacent_difference_implIS3_Lb1ELb0EPlS7_ZN2at6native12_GLOBAL__N_124unique_dim_cuda_templateImEESt5tupleIJNS8_6TensorESD_SD_EERKSD_lbbbEUlllE1_EE10hipError_tPvRmT2_T3_mT4_P12ihipStream_tbEUlT_E_NS1_11comp_targetILNS1_3genE2ELNS1_11target_archE906ELNS1_3gpuE6ELNS1_3repE0EEENS1_30default_config_static_selectorELNS0_4arch9wavefront6targetE0EEEvT1_,"axG",@progbits,_ZN7rocprim17ROCPRIM_400000_NS6detail17trampoline_kernelINS0_14default_configENS1_35adjacent_difference_config_selectorILb1ElEEZNS1_24adjacent_difference_implIS3_Lb1ELb0EPlS7_ZN2at6native12_GLOBAL__N_124unique_dim_cuda_templateImEESt5tupleIJNS8_6TensorESD_SD_EERKSD_lbbbEUlllE1_EE10hipError_tPvRmT2_T3_mT4_P12ihipStream_tbEUlT_E_NS1_11comp_targetILNS1_3genE2ELNS1_11target_archE906ELNS1_3gpuE6ELNS1_3repE0EEENS1_30default_config_static_selectorELNS0_4arch9wavefront6targetE0EEEvT1_,comdat
	.globl	_ZN7rocprim17ROCPRIM_400000_NS6detail17trampoline_kernelINS0_14default_configENS1_35adjacent_difference_config_selectorILb1ElEEZNS1_24adjacent_difference_implIS3_Lb1ELb0EPlS7_ZN2at6native12_GLOBAL__N_124unique_dim_cuda_templateImEESt5tupleIJNS8_6TensorESD_SD_EERKSD_lbbbEUlllE1_EE10hipError_tPvRmT2_T3_mT4_P12ihipStream_tbEUlT_E_NS1_11comp_targetILNS1_3genE2ELNS1_11target_archE906ELNS1_3gpuE6ELNS1_3repE0EEENS1_30default_config_static_selectorELNS0_4arch9wavefront6targetE0EEEvT1_ ; -- Begin function _ZN7rocprim17ROCPRIM_400000_NS6detail17trampoline_kernelINS0_14default_configENS1_35adjacent_difference_config_selectorILb1ElEEZNS1_24adjacent_difference_implIS3_Lb1ELb0EPlS7_ZN2at6native12_GLOBAL__N_124unique_dim_cuda_templateImEESt5tupleIJNS8_6TensorESD_SD_EERKSD_lbbbEUlllE1_EE10hipError_tPvRmT2_T3_mT4_P12ihipStream_tbEUlT_E_NS1_11comp_targetILNS1_3genE2ELNS1_11target_archE906ELNS1_3gpuE6ELNS1_3repE0EEENS1_30default_config_static_selectorELNS0_4arch9wavefront6targetE0EEEvT1_
	.p2align	8
	.type	_ZN7rocprim17ROCPRIM_400000_NS6detail17trampoline_kernelINS0_14default_configENS1_35adjacent_difference_config_selectorILb1ElEEZNS1_24adjacent_difference_implIS3_Lb1ELb0EPlS7_ZN2at6native12_GLOBAL__N_124unique_dim_cuda_templateImEESt5tupleIJNS8_6TensorESD_SD_EERKSD_lbbbEUlllE1_EE10hipError_tPvRmT2_T3_mT4_P12ihipStream_tbEUlT_E_NS1_11comp_targetILNS1_3genE2ELNS1_11target_archE906ELNS1_3gpuE6ELNS1_3repE0EEENS1_30default_config_static_selectorELNS0_4arch9wavefront6targetE0EEEvT1_,@function
_ZN7rocprim17ROCPRIM_400000_NS6detail17trampoline_kernelINS0_14default_configENS1_35adjacent_difference_config_selectorILb1ElEEZNS1_24adjacent_difference_implIS3_Lb1ELb0EPlS7_ZN2at6native12_GLOBAL__N_124unique_dim_cuda_templateImEESt5tupleIJNS8_6TensorESD_SD_EERKSD_lbbbEUlllE1_EE10hipError_tPvRmT2_T3_mT4_P12ihipStream_tbEUlT_E_NS1_11comp_targetILNS1_3genE2ELNS1_11target_archE906ELNS1_3gpuE6ELNS1_3repE0EEENS1_30default_config_static_selectorELNS0_4arch9wavefront6targetE0EEEvT1_: ; @_ZN7rocprim17ROCPRIM_400000_NS6detail17trampoline_kernelINS0_14default_configENS1_35adjacent_difference_config_selectorILb1ElEEZNS1_24adjacent_difference_implIS3_Lb1ELb0EPlS7_ZN2at6native12_GLOBAL__N_124unique_dim_cuda_templateImEESt5tupleIJNS8_6TensorESD_SD_EERKSD_lbbbEUlllE1_EE10hipError_tPvRmT2_T3_mT4_P12ihipStream_tbEUlT_E_NS1_11comp_targetILNS1_3genE2ELNS1_11target_archE906ELNS1_3gpuE6ELNS1_3repE0EEENS1_30default_config_static_selectorELNS0_4arch9wavefront6targetE0EEEvT1_
; %bb.0:
	.section	.rodata,"a",@progbits
	.p2align	6, 0x0
	.amdhsa_kernel _ZN7rocprim17ROCPRIM_400000_NS6detail17trampoline_kernelINS0_14default_configENS1_35adjacent_difference_config_selectorILb1ElEEZNS1_24adjacent_difference_implIS3_Lb1ELb0EPlS7_ZN2at6native12_GLOBAL__N_124unique_dim_cuda_templateImEESt5tupleIJNS8_6TensorESD_SD_EERKSD_lbbbEUlllE1_EE10hipError_tPvRmT2_T3_mT4_P12ihipStream_tbEUlT_E_NS1_11comp_targetILNS1_3genE2ELNS1_11target_archE906ELNS1_3gpuE6ELNS1_3repE0EEENS1_30default_config_static_selectorELNS0_4arch9wavefront6targetE0EEEvT1_
		.amdhsa_group_segment_fixed_size 0
		.amdhsa_private_segment_fixed_size 0
		.amdhsa_kernarg_size 64
		.amdhsa_user_sgpr_count 15
		.amdhsa_user_sgpr_dispatch_ptr 0
		.amdhsa_user_sgpr_queue_ptr 0
		.amdhsa_user_sgpr_kernarg_segment_ptr 1
		.amdhsa_user_sgpr_dispatch_id 0
		.amdhsa_user_sgpr_private_segment_size 0
		.amdhsa_wavefront_size32 1
		.amdhsa_uses_dynamic_stack 0
		.amdhsa_enable_private_segment 0
		.amdhsa_system_sgpr_workgroup_id_x 1
		.amdhsa_system_sgpr_workgroup_id_y 0
		.amdhsa_system_sgpr_workgroup_id_z 0
		.amdhsa_system_sgpr_workgroup_info 0
		.amdhsa_system_vgpr_workitem_id 0
		.amdhsa_next_free_vgpr 1
		.amdhsa_next_free_sgpr 1
		.amdhsa_reserve_vcc 0
		.amdhsa_float_round_mode_32 0
		.amdhsa_float_round_mode_16_64 0
		.amdhsa_float_denorm_mode_32 3
		.amdhsa_float_denorm_mode_16_64 3
		.amdhsa_dx10_clamp 1
		.amdhsa_ieee_mode 1
		.amdhsa_fp16_overflow 0
		.amdhsa_workgroup_processor_mode 1
		.amdhsa_memory_ordered 1
		.amdhsa_forward_progress 0
		.amdhsa_shared_vgpr_count 0
		.amdhsa_exception_fp_ieee_invalid_op 0
		.amdhsa_exception_fp_denorm_src 0
		.amdhsa_exception_fp_ieee_div_zero 0
		.amdhsa_exception_fp_ieee_overflow 0
		.amdhsa_exception_fp_ieee_underflow 0
		.amdhsa_exception_fp_ieee_inexact 0
		.amdhsa_exception_int_div_zero 0
	.end_amdhsa_kernel
	.section	.text._ZN7rocprim17ROCPRIM_400000_NS6detail17trampoline_kernelINS0_14default_configENS1_35adjacent_difference_config_selectorILb1ElEEZNS1_24adjacent_difference_implIS3_Lb1ELb0EPlS7_ZN2at6native12_GLOBAL__N_124unique_dim_cuda_templateImEESt5tupleIJNS8_6TensorESD_SD_EERKSD_lbbbEUlllE1_EE10hipError_tPvRmT2_T3_mT4_P12ihipStream_tbEUlT_E_NS1_11comp_targetILNS1_3genE2ELNS1_11target_archE906ELNS1_3gpuE6ELNS1_3repE0EEENS1_30default_config_static_selectorELNS0_4arch9wavefront6targetE0EEEvT1_,"axG",@progbits,_ZN7rocprim17ROCPRIM_400000_NS6detail17trampoline_kernelINS0_14default_configENS1_35adjacent_difference_config_selectorILb1ElEEZNS1_24adjacent_difference_implIS3_Lb1ELb0EPlS7_ZN2at6native12_GLOBAL__N_124unique_dim_cuda_templateImEESt5tupleIJNS8_6TensorESD_SD_EERKSD_lbbbEUlllE1_EE10hipError_tPvRmT2_T3_mT4_P12ihipStream_tbEUlT_E_NS1_11comp_targetILNS1_3genE2ELNS1_11target_archE906ELNS1_3gpuE6ELNS1_3repE0EEENS1_30default_config_static_selectorELNS0_4arch9wavefront6targetE0EEEvT1_,comdat
.Lfunc_end1658:
	.size	_ZN7rocprim17ROCPRIM_400000_NS6detail17trampoline_kernelINS0_14default_configENS1_35adjacent_difference_config_selectorILb1ElEEZNS1_24adjacent_difference_implIS3_Lb1ELb0EPlS7_ZN2at6native12_GLOBAL__N_124unique_dim_cuda_templateImEESt5tupleIJNS8_6TensorESD_SD_EERKSD_lbbbEUlllE1_EE10hipError_tPvRmT2_T3_mT4_P12ihipStream_tbEUlT_E_NS1_11comp_targetILNS1_3genE2ELNS1_11target_archE906ELNS1_3gpuE6ELNS1_3repE0EEENS1_30default_config_static_selectorELNS0_4arch9wavefront6targetE0EEEvT1_, .Lfunc_end1658-_ZN7rocprim17ROCPRIM_400000_NS6detail17trampoline_kernelINS0_14default_configENS1_35adjacent_difference_config_selectorILb1ElEEZNS1_24adjacent_difference_implIS3_Lb1ELb0EPlS7_ZN2at6native12_GLOBAL__N_124unique_dim_cuda_templateImEESt5tupleIJNS8_6TensorESD_SD_EERKSD_lbbbEUlllE1_EE10hipError_tPvRmT2_T3_mT4_P12ihipStream_tbEUlT_E_NS1_11comp_targetILNS1_3genE2ELNS1_11target_archE906ELNS1_3gpuE6ELNS1_3repE0EEENS1_30default_config_static_selectorELNS0_4arch9wavefront6targetE0EEEvT1_
                                        ; -- End function
	.section	.AMDGPU.csdata,"",@progbits
; Kernel info:
; codeLenInByte = 0
; NumSgprs: 0
; NumVgprs: 0
; ScratchSize: 0
; MemoryBound: 0
; FloatMode: 240
; IeeeMode: 1
; LDSByteSize: 0 bytes/workgroup (compile time only)
; SGPRBlocks: 0
; VGPRBlocks: 0
; NumSGPRsForWavesPerEU: 1
; NumVGPRsForWavesPerEU: 1
; Occupancy: 16
; WaveLimiterHint : 0
; COMPUTE_PGM_RSRC2:SCRATCH_EN: 0
; COMPUTE_PGM_RSRC2:USER_SGPR: 15
; COMPUTE_PGM_RSRC2:TRAP_HANDLER: 0
; COMPUTE_PGM_RSRC2:TGID_X_EN: 1
; COMPUTE_PGM_RSRC2:TGID_Y_EN: 0
; COMPUTE_PGM_RSRC2:TGID_Z_EN: 0
; COMPUTE_PGM_RSRC2:TIDIG_COMP_CNT: 0
	.section	.text._ZN7rocprim17ROCPRIM_400000_NS6detail17trampoline_kernelINS0_14default_configENS1_35adjacent_difference_config_selectorILb1ElEEZNS1_24adjacent_difference_implIS3_Lb1ELb0EPlS7_ZN2at6native12_GLOBAL__N_124unique_dim_cuda_templateImEESt5tupleIJNS8_6TensorESD_SD_EERKSD_lbbbEUlllE1_EE10hipError_tPvRmT2_T3_mT4_P12ihipStream_tbEUlT_E_NS1_11comp_targetILNS1_3genE9ELNS1_11target_archE1100ELNS1_3gpuE3ELNS1_3repE0EEENS1_30default_config_static_selectorELNS0_4arch9wavefront6targetE0EEEvT1_,"axG",@progbits,_ZN7rocprim17ROCPRIM_400000_NS6detail17trampoline_kernelINS0_14default_configENS1_35adjacent_difference_config_selectorILb1ElEEZNS1_24adjacent_difference_implIS3_Lb1ELb0EPlS7_ZN2at6native12_GLOBAL__N_124unique_dim_cuda_templateImEESt5tupleIJNS8_6TensorESD_SD_EERKSD_lbbbEUlllE1_EE10hipError_tPvRmT2_T3_mT4_P12ihipStream_tbEUlT_E_NS1_11comp_targetILNS1_3genE9ELNS1_11target_archE1100ELNS1_3gpuE3ELNS1_3repE0EEENS1_30default_config_static_selectorELNS0_4arch9wavefront6targetE0EEEvT1_,comdat
	.globl	_ZN7rocprim17ROCPRIM_400000_NS6detail17trampoline_kernelINS0_14default_configENS1_35adjacent_difference_config_selectorILb1ElEEZNS1_24adjacent_difference_implIS3_Lb1ELb0EPlS7_ZN2at6native12_GLOBAL__N_124unique_dim_cuda_templateImEESt5tupleIJNS8_6TensorESD_SD_EERKSD_lbbbEUlllE1_EE10hipError_tPvRmT2_T3_mT4_P12ihipStream_tbEUlT_E_NS1_11comp_targetILNS1_3genE9ELNS1_11target_archE1100ELNS1_3gpuE3ELNS1_3repE0EEENS1_30default_config_static_selectorELNS0_4arch9wavefront6targetE0EEEvT1_ ; -- Begin function _ZN7rocprim17ROCPRIM_400000_NS6detail17trampoline_kernelINS0_14default_configENS1_35adjacent_difference_config_selectorILb1ElEEZNS1_24adjacent_difference_implIS3_Lb1ELb0EPlS7_ZN2at6native12_GLOBAL__N_124unique_dim_cuda_templateImEESt5tupleIJNS8_6TensorESD_SD_EERKSD_lbbbEUlllE1_EE10hipError_tPvRmT2_T3_mT4_P12ihipStream_tbEUlT_E_NS1_11comp_targetILNS1_3genE9ELNS1_11target_archE1100ELNS1_3gpuE3ELNS1_3repE0EEENS1_30default_config_static_selectorELNS0_4arch9wavefront6targetE0EEEvT1_
	.p2align	8
	.type	_ZN7rocprim17ROCPRIM_400000_NS6detail17trampoline_kernelINS0_14default_configENS1_35adjacent_difference_config_selectorILb1ElEEZNS1_24adjacent_difference_implIS3_Lb1ELb0EPlS7_ZN2at6native12_GLOBAL__N_124unique_dim_cuda_templateImEESt5tupleIJNS8_6TensorESD_SD_EERKSD_lbbbEUlllE1_EE10hipError_tPvRmT2_T3_mT4_P12ihipStream_tbEUlT_E_NS1_11comp_targetILNS1_3genE9ELNS1_11target_archE1100ELNS1_3gpuE3ELNS1_3repE0EEENS1_30default_config_static_selectorELNS0_4arch9wavefront6targetE0EEEvT1_,@function
_ZN7rocprim17ROCPRIM_400000_NS6detail17trampoline_kernelINS0_14default_configENS1_35adjacent_difference_config_selectorILb1ElEEZNS1_24adjacent_difference_implIS3_Lb1ELb0EPlS7_ZN2at6native12_GLOBAL__N_124unique_dim_cuda_templateImEESt5tupleIJNS8_6TensorESD_SD_EERKSD_lbbbEUlllE1_EE10hipError_tPvRmT2_T3_mT4_P12ihipStream_tbEUlT_E_NS1_11comp_targetILNS1_3genE9ELNS1_11target_archE1100ELNS1_3gpuE3ELNS1_3repE0EEENS1_30default_config_static_selectorELNS0_4arch9wavefront6targetE0EEEvT1_: ; @_ZN7rocprim17ROCPRIM_400000_NS6detail17trampoline_kernelINS0_14default_configENS1_35adjacent_difference_config_selectorILb1ElEEZNS1_24adjacent_difference_implIS3_Lb1ELb0EPlS7_ZN2at6native12_GLOBAL__N_124unique_dim_cuda_templateImEESt5tupleIJNS8_6TensorESD_SD_EERKSD_lbbbEUlllE1_EE10hipError_tPvRmT2_T3_mT4_P12ihipStream_tbEUlT_E_NS1_11comp_targetILNS1_3genE9ELNS1_11target_archE1100ELNS1_3gpuE3ELNS1_3repE0EEENS1_30default_config_static_selectorELNS0_4arch9wavefront6targetE0EEEvT1_
; %bb.0:
	s_mov_b32 s22, s15
	s_load_b512 s[0:15], s[0:1], 0x0
	s_waitcnt lgkmcnt(0)
	s_lshl_b64 s[16:17], s[2:3], 3
	s_mov_b32 s2, 0x411a7a30
	s_add_u32 s27, s0, s16
	s_addc_u32 s28, s1, s17
	s_add_u32 s0, 0x76, s2
	s_addc_u32 s1, 0, 0
	v_add_co_u32 v1, s0, 0x20000000, s0
	s_delay_alu instid0(VALU_DEP_1) | instskip(SKIP_1) | instid1(VALU_DEP_1)
	s_cmp_lg_u32 s0, 0
	s_addc_u32 s1, s1, 0x11a7b9
	v_readfirstlane_b32 s0, v1
	s_mul_i32 s2, s1, 0xfffff180
	s_delay_alu instid0(VALU_DEP_1)
	s_mul_hi_u32 s3, s0, 0xfffff180
	s_mul_i32 s18, s0, 0xfffff180
	s_sub_i32 s3, s3, s0
	s_mul_hi_u32 s19, s0, s18
	s_add_i32 s3, s3, s2
	s_mul_hi_u32 s20, s1, s18
	s_mul_i32 s2, s1, s18
	s_mul_hi_u32 s18, s0, s3
	s_mul_i32 s0, s0, s3
	s_mul_hi_u32 s21, s1, s3
	s_add_u32 s0, s19, s0
	s_addc_u32 s18, 0, s18
	s_add_u32 s0, s0, s2
	s_mul_i32 s3, s1, s3
	s_addc_u32 s0, s18, s20
	s_addc_u32 s2, s21, 0
	s_add_u32 s0, s0, s3
	s_addc_u32 s2, 0, s2
	v_add_co_u32 v1, s0, v1, s0
	s_delay_alu instid0(VALU_DEP_1) | instskip(SKIP_1) | instid1(VALU_DEP_1)
	s_cmp_lg_u32 s0, 0
	s_addc_u32 s0, s1, s2
	v_readfirstlane_b32 s1, v1
	s_mul_i32 s3, s6, s0
	s_mul_hi_u32 s2, s6, s0
	s_mul_hi_u32 s18, s7, s0
	s_mul_i32 s0, s7, s0
	s_mul_hi_u32 s19, s6, s1
	s_mul_hi_u32 s20, s7, s1
	s_mul_i32 s1, s7, s1
	s_add_u32 s3, s19, s3
	s_addc_u32 s2, 0, s2
	s_add_u32 s1, s3, s1
	s_addc_u32 s1, s2, s20
	s_addc_u32 s2, s18, 0
	s_add_u32 s0, s1, s0
	s_addc_u32 s1, 0, s2
	s_mul_i32 s3, s0, 0xe80
	s_add_u32 s2, s0, 1
	v_sub_co_u32 v1, s3, s6, s3
	s_mul_hi_u32 s18, s0, 0xe80
	s_addc_u32 s19, s1, 0
	s_mul_i32 s20, s1, 0xe80
	s_delay_alu instid0(VALU_DEP_1)
	v_subrev_co_u32 v2, s21, 0xe80, v1
	s_add_u32 s23, s0, 2
	s_addc_u32 s24, s1, 0
	s_add_i32 s18, s18, s20
	s_cmp_lg_u32 s3, 0
	v_readfirstlane_b32 s3, v2
	s_subb_u32 s18, s7, s18
	s_cmp_lg_u32 s21, 0
	s_subb_u32 s20, s18, 0
	s_delay_alu instid0(VALU_DEP_1) | instskip(SKIP_4) | instid1(SALU_CYCLE_1)
	s_cmpk_gt_u32 s3, 0xe7f
	s_cselect_b32 s3, -1, 0
	s_cmp_eq_u32 s20, 0
	v_readfirstlane_b32 s20, v1
	s_cselect_b32 s3, s3, -1
	s_cmp_lg_u32 s3, 0
	s_cselect_b32 s2, s23, s2
	s_cselect_b32 s3, s24, s19
	s_cmpk_gt_u32 s20, 0xe7f
	s_mov_b32 s23, 0
	s_cselect_b32 s19, -1, 0
	s_cmp_eq_u32 s18, 0
	s_cselect_b32 s18, s19, -1
	s_delay_alu instid0(SALU_CYCLE_1)
	s_cmp_lg_u32 s18, 0
	s_cselect_b32 s3, s3, s1
	s_cselect_b32 s2, s2, s0
	s_mul_i32 s0, s3, 0xe80
	s_mul_hi_u32 s1, s2, 0xe80
	s_mul_i32 s18, s2, 0xe80
	s_add_i32 s1, s1, s0
	s_sub_u32 s0, s6, s18
	s_subb_u32 s1, s7, s1
	s_delay_alu instid0(SALU_CYCLE_1) | instskip(SKIP_1) | instid1(SALU_CYCLE_1)
	s_cmp_lg_u64 s[0:1], 0
	s_cselect_b32 s0, -1, 0
	v_cndmask_b32_e64 v1, 0, 1, s0
	s_delay_alu instid0(VALU_DEP_1) | instskip(NEXT) | instid1(VALU_DEP_1)
	v_readfirstlane_b32 s0, v1
	s_add_u32 s18, s2, s0
	s_addc_u32 s19, s3, 0
	s_add_u32 s20, s14, s22
	s_addc_u32 s21, s15, 0
	s_add_u32 s0, s18, -1
	s_addc_u32 s1, s19, -1
	s_mul_i32 s2, s22, 0xe80
	v_cmp_ge_u64_e64 s26, s[20:21], s[0:1]
	s_mov_b32 s3, -1
	s_mul_i32 s7, s0, 0xfffff180
	s_delay_alu instid0(VALU_DEP_1)
	s_and_b32 vcc_lo, exec_lo, s26
	s_cbranch_vccz .LBB1659_60
; %bb.1:
	s_mov_b32 s3, s23
	s_add_i32 s29, s7, s6
	s_lshl_b64 s[24:25], s[2:3], 3
	s_mov_b32 s3, exec_lo
	s_add_u32 s24, s27, s24
	s_addc_u32 s25, s28, s25
                                        ; implicit-def: $vgpr1_vgpr2
	v_cmpx_gt_u32_e64 s29, v0
	s_cbranch_execz .LBB1659_3
; %bb.2:
	v_lshlrev_b32_e32 v1, 3, v0
	global_load_b64 v[1:2], v1, s[24:25]
.LBB1659_3:
	s_or_b32 exec_lo, exec_lo, s3
	v_or_b32_e32 v3, 0x80, v0
	s_delay_alu instid0(VALU_DEP_1)
	v_cmp_gt_u32_e32 vcc_lo, s29, v3
                                        ; implicit-def: $vgpr3_vgpr4
	s_and_saveexec_b32 s3, vcc_lo
	s_cbranch_execz .LBB1659_5
; %bb.4:
	v_lshlrev_b32_e32 v3, 3, v0
	global_load_b64 v[3:4], v3, s[24:25] offset:1024
.LBB1659_5:
	s_or_b32 exec_lo, exec_lo, s3
	v_or_b32_e32 v5, 0x100, v0
	s_delay_alu instid0(VALU_DEP_1)
	v_cmp_gt_u32_e32 vcc_lo, s29, v5
                                        ; implicit-def: $vgpr5_vgpr6
	s_and_saveexec_b32 s3, vcc_lo
	s_cbranch_execz .LBB1659_7
; %bb.6:
	v_lshlrev_b32_e32 v5, 3, v0
	global_load_b64 v[5:6], v5, s[24:25] offset:2048
.LBB1659_7:
	s_or_b32 exec_lo, exec_lo, s3
	v_or_b32_e32 v7, 0x180, v0
	s_delay_alu instid0(VALU_DEP_1)
	v_cmp_gt_u32_e32 vcc_lo, s29, v7
                                        ; implicit-def: $vgpr7_vgpr8
	s_and_saveexec_b32 s3, vcc_lo
	s_cbranch_execz .LBB1659_9
; %bb.8:
	v_lshlrev_b32_e32 v7, 3, v0
	global_load_b64 v[7:8], v7, s[24:25] offset:3072
.LBB1659_9:
	s_or_b32 exec_lo, exec_lo, s3
	v_or_b32_e32 v11, 0x200, v0
	s_mov_b32 s3, exec_lo
                                        ; implicit-def: $vgpr9_vgpr10
	s_delay_alu instid0(VALU_DEP_1)
	v_cmpx_gt_u32_e64 s29, v11
	s_cbranch_execz .LBB1659_11
; %bb.10:
	v_lshlrev_b32_e32 v9, 3, v11
	global_load_b64 v[9:10], v9, s[24:25]
.LBB1659_11:
	s_or_b32 exec_lo, exec_lo, s3
	v_or_b32_e32 v13, 0x280, v0
	s_mov_b32 s3, exec_lo
                                        ; implicit-def: $vgpr11_vgpr12
	s_delay_alu instid0(VALU_DEP_1)
	v_cmpx_gt_u32_e64 s29, v13
	s_cbranch_execz .LBB1659_13
; %bb.12:
	v_lshlrev_b32_e32 v11, 3, v13
	global_load_b64 v[11:12], v11, s[24:25]
.LBB1659_13:
	s_or_b32 exec_lo, exec_lo, s3
	v_or_b32_e32 v15, 0x300, v0
	s_mov_b32 s3, exec_lo
                                        ; implicit-def: $vgpr13_vgpr14
	s_delay_alu instid0(VALU_DEP_1)
	v_cmpx_gt_u32_e64 s29, v15
	s_cbranch_execz .LBB1659_15
; %bb.14:
	v_lshlrev_b32_e32 v13, 3, v15
	global_load_b64 v[13:14], v13, s[24:25]
.LBB1659_15:
	s_or_b32 exec_lo, exec_lo, s3
	v_or_b32_e32 v17, 0x380, v0
	s_mov_b32 s3, exec_lo
                                        ; implicit-def: $vgpr15_vgpr16
	s_delay_alu instid0(VALU_DEP_1)
	v_cmpx_gt_u32_e64 s29, v17
	s_cbranch_execz .LBB1659_17
; %bb.16:
	v_lshlrev_b32_e32 v15, 3, v17
	global_load_b64 v[15:16], v15, s[24:25]
.LBB1659_17:
	s_or_b32 exec_lo, exec_lo, s3
	v_or_b32_e32 v19, 0x400, v0
	s_mov_b32 s3, exec_lo
                                        ; implicit-def: $vgpr17_vgpr18
	s_delay_alu instid0(VALU_DEP_1)
	v_cmpx_gt_u32_e64 s29, v19
	s_cbranch_execz .LBB1659_19
; %bb.18:
	v_lshlrev_b32_e32 v17, 3, v19
	global_load_b64 v[17:18], v17, s[24:25]
.LBB1659_19:
	s_or_b32 exec_lo, exec_lo, s3
	v_or_b32_e32 v21, 0x480, v0
	s_mov_b32 s3, exec_lo
                                        ; implicit-def: $vgpr19_vgpr20
	s_delay_alu instid0(VALU_DEP_1)
	v_cmpx_gt_u32_e64 s29, v21
	s_cbranch_execz .LBB1659_21
; %bb.20:
	v_lshlrev_b32_e32 v19, 3, v21
	global_load_b64 v[19:20], v19, s[24:25]
.LBB1659_21:
	s_or_b32 exec_lo, exec_lo, s3
	v_or_b32_e32 v23, 0x500, v0
	s_mov_b32 s3, exec_lo
                                        ; implicit-def: $vgpr21_vgpr22
	s_delay_alu instid0(VALU_DEP_1)
	v_cmpx_gt_u32_e64 s29, v23
	s_cbranch_execz .LBB1659_23
; %bb.22:
	v_lshlrev_b32_e32 v21, 3, v23
	global_load_b64 v[21:22], v21, s[24:25]
.LBB1659_23:
	s_or_b32 exec_lo, exec_lo, s3
	v_or_b32_e32 v25, 0x580, v0
	s_mov_b32 s3, exec_lo
                                        ; implicit-def: $vgpr23_vgpr24
	s_delay_alu instid0(VALU_DEP_1)
	v_cmpx_gt_u32_e64 s29, v25
	s_cbranch_execz .LBB1659_25
; %bb.24:
	v_lshlrev_b32_e32 v23, 3, v25
	global_load_b64 v[23:24], v23, s[24:25]
.LBB1659_25:
	s_or_b32 exec_lo, exec_lo, s3
	v_or_b32_e32 v27, 0x600, v0
	s_mov_b32 s3, exec_lo
                                        ; implicit-def: $vgpr25_vgpr26
	s_delay_alu instid0(VALU_DEP_1)
	v_cmpx_gt_u32_e64 s29, v27
	s_cbranch_execz .LBB1659_27
; %bb.26:
	v_lshlrev_b32_e32 v25, 3, v27
	global_load_b64 v[25:26], v25, s[24:25]
.LBB1659_27:
	s_or_b32 exec_lo, exec_lo, s3
	v_or_b32_e32 v29, 0x680, v0
	s_mov_b32 s3, exec_lo
                                        ; implicit-def: $vgpr27_vgpr28
	s_delay_alu instid0(VALU_DEP_1)
	v_cmpx_gt_u32_e64 s29, v29
	s_cbranch_execz .LBB1659_29
; %bb.28:
	v_lshlrev_b32_e32 v27, 3, v29
	global_load_b64 v[27:28], v27, s[24:25]
.LBB1659_29:
	s_or_b32 exec_lo, exec_lo, s3
	v_or_b32_e32 v31, 0x700, v0
	s_mov_b32 s3, exec_lo
                                        ; implicit-def: $vgpr29_vgpr30
	s_delay_alu instid0(VALU_DEP_1)
	v_cmpx_gt_u32_e64 s29, v31
	s_cbranch_execz .LBB1659_31
; %bb.30:
	v_lshlrev_b32_e32 v29, 3, v31
	global_load_b64 v[29:30], v29, s[24:25]
.LBB1659_31:
	s_or_b32 exec_lo, exec_lo, s3
	v_or_b32_e32 v33, 0x780, v0
	s_mov_b32 s3, exec_lo
                                        ; implicit-def: $vgpr31_vgpr32
	s_delay_alu instid0(VALU_DEP_1)
	v_cmpx_gt_u32_e64 s29, v33
	s_cbranch_execz .LBB1659_33
; %bb.32:
	v_lshlrev_b32_e32 v31, 3, v33
	global_load_b64 v[31:32], v31, s[24:25]
.LBB1659_33:
	s_or_b32 exec_lo, exec_lo, s3
	v_or_b32_e32 v35, 0x800, v0
	s_mov_b32 s3, exec_lo
                                        ; implicit-def: $vgpr33_vgpr34
	s_delay_alu instid0(VALU_DEP_1)
	v_cmpx_gt_u32_e64 s29, v35
	s_cbranch_execz .LBB1659_35
; %bb.34:
	v_lshlrev_b32_e32 v33, 3, v35
	global_load_b64 v[33:34], v33, s[24:25]
.LBB1659_35:
	s_or_b32 exec_lo, exec_lo, s3
	v_or_b32_e32 v37, 0x880, v0
	s_mov_b32 s3, exec_lo
                                        ; implicit-def: $vgpr35_vgpr36
	s_delay_alu instid0(VALU_DEP_1)
	v_cmpx_gt_u32_e64 s29, v37
	s_cbranch_execz .LBB1659_37
; %bb.36:
	v_lshlrev_b32_e32 v35, 3, v37
	global_load_b64 v[35:36], v35, s[24:25]
.LBB1659_37:
	s_or_b32 exec_lo, exec_lo, s3
	v_or_b32_e32 v39, 0x900, v0
	s_mov_b32 s3, exec_lo
                                        ; implicit-def: $vgpr37_vgpr38
	s_delay_alu instid0(VALU_DEP_1)
	v_cmpx_gt_u32_e64 s29, v39
	s_cbranch_execz .LBB1659_39
; %bb.38:
	v_lshlrev_b32_e32 v37, 3, v39
	global_load_b64 v[37:38], v37, s[24:25]
.LBB1659_39:
	s_or_b32 exec_lo, exec_lo, s3
	v_or_b32_e32 v41, 0x980, v0
	s_mov_b32 s3, exec_lo
                                        ; implicit-def: $vgpr39_vgpr40
	s_delay_alu instid0(VALU_DEP_1)
	v_cmpx_gt_u32_e64 s29, v41
	s_cbranch_execz .LBB1659_41
; %bb.40:
	v_lshlrev_b32_e32 v39, 3, v41
	global_load_b64 v[39:40], v39, s[24:25]
.LBB1659_41:
	s_or_b32 exec_lo, exec_lo, s3
	v_or_b32_e32 v43, 0xa00, v0
	s_mov_b32 s3, exec_lo
                                        ; implicit-def: $vgpr41_vgpr42
	s_delay_alu instid0(VALU_DEP_1)
	v_cmpx_gt_u32_e64 s29, v43
	s_cbranch_execz .LBB1659_43
; %bb.42:
	v_lshlrev_b32_e32 v41, 3, v43
	global_load_b64 v[41:42], v41, s[24:25]
.LBB1659_43:
	s_or_b32 exec_lo, exec_lo, s3
	v_or_b32_e32 v45, 0xa80, v0
	s_mov_b32 s3, exec_lo
                                        ; implicit-def: $vgpr43_vgpr44
	s_delay_alu instid0(VALU_DEP_1)
	v_cmpx_gt_u32_e64 s29, v45
	s_cbranch_execz .LBB1659_45
; %bb.44:
	v_lshlrev_b32_e32 v43, 3, v45
	global_load_b64 v[43:44], v43, s[24:25]
.LBB1659_45:
	s_or_b32 exec_lo, exec_lo, s3
	v_or_b32_e32 v47, 0xb00, v0
	s_mov_b32 s3, exec_lo
                                        ; implicit-def: $vgpr45_vgpr46
	s_delay_alu instid0(VALU_DEP_1)
	v_cmpx_gt_u32_e64 s29, v47
	s_cbranch_execz .LBB1659_47
; %bb.46:
	v_lshlrev_b32_e32 v45, 3, v47
	global_load_b64 v[45:46], v45, s[24:25]
.LBB1659_47:
	s_or_b32 exec_lo, exec_lo, s3
	v_or_b32_e32 v49, 0xb80, v0
	s_mov_b32 s3, exec_lo
                                        ; implicit-def: $vgpr47_vgpr48
	s_delay_alu instid0(VALU_DEP_1)
	v_cmpx_gt_u32_e64 s29, v49
	s_cbranch_execz .LBB1659_49
; %bb.48:
	v_lshlrev_b32_e32 v47, 3, v49
	global_load_b64 v[47:48], v47, s[24:25]
.LBB1659_49:
	s_or_b32 exec_lo, exec_lo, s3
	v_or_b32_e32 v51, 0xc00, v0
	s_mov_b32 s3, exec_lo
                                        ; implicit-def: $vgpr49_vgpr50
	s_delay_alu instid0(VALU_DEP_1)
	v_cmpx_gt_u32_e64 s29, v51
	s_cbranch_execz .LBB1659_51
; %bb.50:
	v_lshlrev_b32_e32 v49, 3, v51
	global_load_b64 v[49:50], v49, s[24:25]
.LBB1659_51:
	s_or_b32 exec_lo, exec_lo, s3
	v_or_b32_e32 v53, 0xc80, v0
	s_mov_b32 s3, exec_lo
                                        ; implicit-def: $vgpr51_vgpr52
	s_delay_alu instid0(VALU_DEP_1)
	v_cmpx_gt_u32_e64 s29, v53
	s_cbranch_execz .LBB1659_53
; %bb.52:
	v_lshlrev_b32_e32 v51, 3, v53
	global_load_b64 v[51:52], v51, s[24:25]
.LBB1659_53:
	s_or_b32 exec_lo, exec_lo, s3
	v_or_b32_e32 v55, 0xd00, v0
	s_mov_b32 s3, exec_lo
                                        ; implicit-def: $vgpr53_vgpr54
	s_delay_alu instid0(VALU_DEP_1)
	v_cmpx_gt_u32_e64 s29, v55
	s_cbranch_execz .LBB1659_55
; %bb.54:
	v_lshlrev_b32_e32 v53, 3, v55
	global_load_b64 v[53:54], v53, s[24:25]
.LBB1659_55:
	s_or_b32 exec_lo, exec_lo, s3
	v_or_b32_e32 v57, 0xd80, v0
	s_mov_b32 s3, exec_lo
                                        ; implicit-def: $vgpr55_vgpr56
	s_delay_alu instid0(VALU_DEP_1)
	v_cmpx_gt_u32_e64 s29, v57
	s_cbranch_execz .LBB1659_57
; %bb.56:
	v_lshlrev_b32_e32 v55, 3, v57
	global_load_b64 v[55:56], v55, s[24:25]
.LBB1659_57:
	s_or_b32 exec_lo, exec_lo, s3
	v_or_b32_e32 v59, 0xe00, v0
	s_mov_b32 s3, exec_lo
                                        ; implicit-def: $vgpr57_vgpr58
	s_delay_alu instid0(VALU_DEP_1)
	v_cmpx_gt_u32_e64 s29, v59
	s_cbranch_execz .LBB1659_59
; %bb.58:
	v_lshlrev_b32_e32 v57, 3, v59
	global_load_b64 v[57:58], v57, s[24:25]
.LBB1659_59:
	s_or_b32 exec_lo, exec_lo, s3
	v_lshlrev_b32_e32 v59, 3, v0
	s_mov_b32 s3, 0
	s_waitcnt vmcnt(0)
	ds_store_2addr_stride64_b64 v59, v[1:2], v[3:4] offset1:2
	ds_store_2addr_stride64_b64 v59, v[5:6], v[7:8] offset0:4 offset1:6
	ds_store_2addr_stride64_b64 v59, v[9:10], v[11:12] offset0:8 offset1:10
	;; [unrolled: 1-line block ×13, first 2 shown]
	ds_store_b64 v59, v[57:58] offset:28672
	s_waitcnt lgkmcnt(0)
	s_barrier
.LBB1659_60:
	v_lshlrev_b32_e32 v195, 3, v0
	s_and_b32 vcc_lo, exec_lo, s3
	s_cbranch_vccz .LBB1659_62
; %bb.61:
	s_mov_b32 s3, 0
	s_delay_alu instid0(SALU_CYCLE_1) | instskip(NEXT) | instid1(SALU_CYCLE_1)
	s_lshl_b64 s[24:25], s[2:3], 3
	s_add_u32 s24, s27, s24
	s_addc_u32 s25, s28, s25
	v_add_co_u32 v49, s3, s24, v195
	s_delay_alu instid0(VALU_DEP_1)
	v_add_co_ci_u32_e64 v50, null, s25, 0, s3
	s_clause 0x3
	global_load_b64 v[1:2], v195, s[24:25]
	global_load_b64 v[3:4], v195, s[24:25] offset:1024
	global_load_b64 v[5:6], v195, s[24:25] offset:2048
	global_load_b64 v[7:8], v195, s[24:25] offset:3072
	v_add_co_u32 v9, vcc_lo, 0x1000, v49
	v_add_co_ci_u32_e32 v10, vcc_lo, 0, v50, vcc_lo
	v_add_co_u32 v11, vcc_lo, v49, 0x2000
	v_add_co_ci_u32_e32 v12, vcc_lo, 0, v50, vcc_lo
	;; [unrolled: 2-line block ×10, first 2 shown]
	s_clause 0x18
	global_load_b64 v[15:16], v[11:12], off offset:-4096
	global_load_b64 v[17:18], v[9:10], off offset:1024
	global_load_b64 v[19:20], v[9:10], off offset:2048
	;; [unrolled: 1-line block ×12, first 2 shown]
	global_load_b64 v[11:12], v[11:12], off
	global_load_b64 v[43:44], v[25:26], off offset:-4096
	global_load_b64 v[25:26], v[25:26], off
	global_load_b64 v[45:46], v[39:40], off offset:-4096
	global_load_b64 v[39:40], v[39:40], off
	global_load_b64 v[51:52], v[41:42], off offset:1024
	global_load_b64 v[53:54], v[41:42], off offset:2048
	;; [unrolled: 1-line block ×6, first 2 shown]
	global_load_b64 v[49:50], v[49:50], off
	s_waitcnt vmcnt(27)
	ds_store_2addr_stride64_b64 v195, v[1:2], v[3:4] offset1:2
	s_waitcnt vmcnt(25)
	ds_store_2addr_stride64_b64 v195, v[5:6], v[7:8] offset0:4 offset1:6
	s_waitcnt vmcnt(23)
	ds_store_2addr_stride64_b64 v195, v[15:16], v[17:18] offset0:8 offset1:10
	;; [unrolled: 2-line block ×4, first 2 shown]
	ds_store_2addr_stride64_b64 v195, v[29:30], v[13:14] offset0:20 offset1:22
	s_waitcnt vmcnt(10)
	ds_store_2addr_stride64_b64 v195, v[43:44], v[31:32] offset0:24 offset1:26
	ds_store_2addr_stride64_b64 v195, v[33:34], v[23:24] offset0:28 offset1:30
	s_waitcnt vmcnt(9)
	ds_store_2addr_stride64_b64 v195, v[25:26], v[35:36] offset0:32 offset1:34
	;; [unrolled: 3-line block ×3, first 2 shown]
	s_waitcnt vmcnt(4)
	ds_store_2addr_stride64_b64 v195, v[53:54], v[41:42] offset0:44 offset1:46
	s_waitcnt vmcnt(3)
	ds_store_2addr_stride64_b64 v195, v[39:40], v[55:56] offset0:48 offset1:50
	;; [unrolled: 2-line block ×3, first 2 shown]
	s_waitcnt vmcnt(0)
	ds_store_b64 v195, v[49:50] offset:28672
	s_waitcnt lgkmcnt(0)
	s_barrier
.LBB1659_62:
	v_mul_u32_u24_e32 v1, 29, v0
	buffer_gl0_inv
	s_cmp_eq_u64 s[20:21], 0
	v_lshlrev_b32_e32 v53, 3, v1
	ds_load_b64 v[109:110], v53 offset:224
	ds_load_2addr_b64 v[5:8], v53 offset0:26 offset1:27
	ds_load_2addr_b64 v[9:12], v53 offset0:24 offset1:25
	ds_load_2addr_b64 v[1:4], v53 offset1:1
	ds_load_2addr_b64 v[13:16], v53 offset0:2 offset1:3
	ds_load_2addr_b64 v[17:20], v53 offset0:4 offset1:5
	;; [unrolled: 1-line block ×11, first 2 shown]
	s_waitcnt lgkmcnt(0)
	s_barrier
	buffer_gl0_inv
	s_cbranch_scc1 .LBB1659_71
; %bb.63:
	s_lshl_b64 s[14:15], s[14:15], 3
	s_delay_alu instid0(SALU_CYCLE_1) | instskip(SKIP_2) | instid1(SALU_CYCLE_1)
	s_add_u32 s3, s12, s14
	s_addc_u32 s14, s13, s15
	s_lshl_b64 s[12:13], s[22:23], 3
	s_add_u32 s3, s3, s12
	s_addc_u32 s13, s14, s13
	s_add_u32 s12, s3, -8
	s_addc_u32 s13, s13, -1
	s_cmp_lg_u64 s[20:21], s[0:1]
	s_load_b64 s[12:13], s[12:13], 0x0
	s_cbranch_scc0 .LBB1659_72
; %bb.64:
	v_mul_lo_u32 v59, v8, s8
	v_mul_lo_u32 v60, v7, s9
	v_mad_u64_u32 v[57:58], null, v7, s8, 0
	v_mov_b32_e32 v113, 0
	v_mov_b32_e32 v114, 0
	v_cmp_lt_i64_e64 s0, s[8:9], 1
	v_cmp_gt_i64_e64 s1, s[8:9], 0
	s_delay_alu instid0(VALU_DEP_4) | instskip(SKIP_4) | instid1(VALU_DEP_1)
	v_mov_b32_e32 v111, v113
	ds_store_b64 v195, v[109:110]
	v_mov_b32_e32 v112, v114
	v_add3_u32 v58, v58, v60, v59
	s_and_b32 vcc_lo, exec_lo, s0
	v_lshlrev_b64 v[57:58], 3, v[57:58]
	s_cbranch_vccnz .LBB1659_76
; %bb.65:
	v_mul_lo_u32 v61, v110, s8
	v_mul_lo_u32 v62, v109, s9
	v_mad_u64_u32 v[59:60], null, v109, s8, 0
	v_mov_b32_e32 v111, 1
	v_mov_b32_e32 v112, 0
	s_mov_b32 s3, exec_lo
	s_delay_alu instid0(VALU_DEP_3) | instskip(NEXT) | instid1(VALU_DEP_1)
	v_add3_u32 v60, v60, v62, v61
	v_lshlrev_b64 v[59:60], 3, v[59:60]
	s_delay_alu instid0(VALU_DEP_1) | instskip(NEXT) | instid1(VALU_DEP_2)
	v_add_co_u32 v61, vcc_lo, s10, v59
	v_add_co_ci_u32_e32 v62, vcc_lo, s11, v60, vcc_lo
	v_add_co_u32 v59, vcc_lo, s10, v57
	v_add_co_ci_u32_e32 v60, vcc_lo, s11, v58, vcc_lo
	s_clause 0x1
	global_load_b64 v[63:64], v[61:62], off
	global_load_b64 v[65:66], v[59:60], off
	s_waitcnt vmcnt(0)
	v_cmpx_eq_u64_e64 v[63:64], v[65:66]
	s_cbranch_execz .LBB1659_75
; %bb.66:
	v_add_co_u32 v59, vcc_lo, v59, 8
	v_add_co_ci_u32_e32 v60, vcc_lo, 0, v60, vcc_lo
	v_add_co_u32 v61, vcc_lo, v61, 8
	v_add_co_ci_u32_e32 v62, vcc_lo, 0, v62, vcc_lo
	s_add_u32 s14, s8, -1
	s_addc_u32 s15, s9, -1
	s_mov_b64 s[22:23], 0
	s_mov_b32 s21, 0
                                        ; implicit-def: $sgpr24
	s_set_inst_prefetch_distance 0x1
	s_branch .LBB1659_69
	.p2align	6
.LBB1659_67:                            ;   in Loop: Header=BB1659_69 Depth=1
	global_load_b64 v[63:64], v[61:62], off
	global_load_b64 v[65:66], v[59:60], off
	v_add_co_u32 v59, vcc_lo, v59, 8
	v_add_co_ci_u32_e32 v60, vcc_lo, 0, v60, vcc_lo
	v_add_co_u32 v61, s0, v61, 8
	s_delay_alu instid0(VALU_DEP_1)
	v_add_co_ci_u32_e64 v62, s0, 0, v62, s0
	s_add_u32 s22, s22, 1
	s_addc_u32 s23, s23, 0
	s_and_not1_b32 s0, s24, exec_lo
	s_waitcnt vmcnt(0)
	v_cmp_ne_u64_e32 vcc_lo, v[63:64], v[65:66]
	s_and_b32 s24, vcc_lo, exec_lo
	s_delay_alu instid0(SALU_CYCLE_1)
	s_or_b32 s24, s0, s24
.LBB1659_68:                            ;   in Loop: Header=BB1659_69 Depth=1
	v_dual_mov_b32 v64, s23 :: v_dual_mov_b32 v63, s22
	s_and_b32 s0, exec_lo, s24
	s_delay_alu instid0(SALU_CYCLE_1) | instskip(NEXT) | instid1(SALU_CYCLE_1)
	s_or_b32 s21, s0, s21
	s_and_not1_b32 exec_lo, exec_lo, s21
	s_cbranch_execz .LBB1659_74
.LBB1659_69:                            ; =>This Inner Loop Header: Depth=1
	s_or_b32 s24, s24, exec_lo
	s_cmp_eq_u64 s[14:15], s[22:23]
	s_cbranch_scc0 .LBB1659_67
; %bb.70:                               ;   in Loop: Header=BB1659_69 Depth=1
	s_mov_b64 s[22:23], s[8:9]
                                        ; implicit-def: $vgpr59_vgpr60
                                        ; implicit-def: $vgpr61_vgpr62
	s_branch .LBB1659_68
.LBB1659_71:
	s_mov_b32 s1, 0
                                        ; implicit-def: $sgpr0
                                        ; implicit-def: $vgpr165_vgpr166
                                        ; implicit-def: $vgpr163_vgpr164
                                        ; implicit-def: $vgpr161_vgpr162
                                        ; implicit-def: $vgpr159_vgpr160
                                        ; implicit-def: $vgpr157_vgpr158
                                        ; implicit-def: $vgpr155_vgpr156
                                        ; implicit-def: $vgpr153_vgpr154
                                        ; implicit-def: $vgpr151_vgpr152
                                        ; implicit-def: $vgpr149_vgpr150
                                        ; implicit-def: $vgpr147_vgpr148
                                        ; implicit-def: $vgpr145_vgpr146
                                        ; implicit-def: $vgpr143_vgpr144
                                        ; implicit-def: $vgpr141_vgpr142
                                        ; implicit-def: $vgpr139_vgpr140
                                        ; implicit-def: $vgpr137_vgpr138
                                        ; implicit-def: $vgpr135_vgpr136
                                        ; implicit-def: $vgpr133_vgpr134
                                        ; implicit-def: $vgpr131_vgpr132
                                        ; implicit-def: $vgpr129_vgpr130
                                        ; implicit-def: $vgpr127_vgpr128
                                        ; implicit-def: $vgpr125_vgpr126
                                        ; implicit-def: $vgpr123_vgpr124
                                        ; implicit-def: $vgpr121_vgpr122
                                        ; implicit-def: $vgpr119_vgpr120
                                        ; implicit-def: $vgpr117_vgpr118
                                        ; implicit-def: $vgpr113_vgpr114
                                        ; implicit-def: $vgpr115_vgpr116
                                        ; implicit-def: $vgpr111_vgpr112
                                        ; implicit-def: $vgpr181_vgpr182
                                        ; implicit-def: $vgpr167_vgpr168
                                        ; implicit-def: $vgpr169_vgpr170
                                        ; implicit-def: $vgpr171_vgpr172
                                        ; implicit-def: $vgpr173_vgpr174
                                        ; implicit-def: $vgpr175_vgpr176
                                        ; implicit-def: $vgpr177_vgpr178
                                        ; implicit-def: $vgpr179_vgpr180
                                        ; implicit-def: $vgpr183_vgpr184
                                        ; implicit-def: $vgpr185_vgpr186
                                        ; implicit-def: $vgpr187_vgpr188
                                        ; implicit-def: $vgpr189_vgpr190
                                        ; implicit-def: $vgpr191_vgpr192
                                        ; implicit-def: $vgpr193_vgpr194
                                        ; implicit-def: $vgpr57_vgpr58_vgpr59_vgpr60
                                        ; implicit-def: $vgpr61_vgpr62_vgpr63_vgpr64
                                        ; implicit-def: $vgpr65_vgpr66_vgpr67_vgpr68
                                        ; implicit-def: $vgpr69_vgpr70_vgpr71_vgpr72
                                        ; implicit-def: $vgpr73_vgpr74_vgpr75_vgpr76
                                        ; implicit-def: $vgpr77_vgpr78_vgpr79_vgpr80
                                        ; implicit-def: $vgpr81_vgpr82_vgpr83_vgpr84
                                        ; implicit-def: $vgpr85_vgpr86_vgpr87_vgpr88
                                        ; implicit-def: $vgpr89_vgpr90_vgpr91_vgpr92
                                        ; implicit-def: $vgpr93_vgpr94_vgpr95_vgpr96
                                        ; implicit-def: $vgpr97_vgpr98_vgpr99_vgpr100
                                        ; implicit-def: $vgpr101_vgpr102_vgpr103_vgpr104
                                        ; implicit-def: $vgpr105_vgpr106_vgpr107_vgpr108
	s_cbranch_execnz .LBB1659_655
	s_branch .LBB1659_1243
.LBB1659_72:
	s_mov_b32 s1, 0
                                        ; implicit-def: $sgpr0
                                        ; implicit-def: $vgpr165_vgpr166
                                        ; implicit-def: $vgpr163_vgpr164
                                        ; implicit-def: $vgpr161_vgpr162
                                        ; implicit-def: $vgpr159_vgpr160
                                        ; implicit-def: $vgpr157_vgpr158
                                        ; implicit-def: $vgpr155_vgpr156
                                        ; implicit-def: $vgpr153_vgpr154
                                        ; implicit-def: $vgpr151_vgpr152
                                        ; implicit-def: $vgpr149_vgpr150
                                        ; implicit-def: $vgpr147_vgpr148
                                        ; implicit-def: $vgpr145_vgpr146
                                        ; implicit-def: $vgpr143_vgpr144
                                        ; implicit-def: $vgpr141_vgpr142
                                        ; implicit-def: $vgpr139_vgpr140
                                        ; implicit-def: $vgpr137_vgpr138
                                        ; implicit-def: $vgpr135_vgpr136
                                        ; implicit-def: $vgpr133_vgpr134
                                        ; implicit-def: $vgpr131_vgpr132
                                        ; implicit-def: $vgpr129_vgpr130
                                        ; implicit-def: $vgpr127_vgpr128
                                        ; implicit-def: $vgpr125_vgpr126
                                        ; implicit-def: $vgpr123_vgpr124
                                        ; implicit-def: $vgpr121_vgpr122
                                        ; implicit-def: $vgpr119_vgpr120
                                        ; implicit-def: $vgpr117_vgpr118
                                        ; implicit-def: $vgpr113_vgpr114
                                        ; implicit-def: $vgpr115_vgpr116
                                        ; implicit-def: $vgpr111_vgpr112
	s_cbranch_execnz .LBB1659_332
.LBB1659_73:
                                        ; implicit-def: $vgpr181_vgpr182
                                        ; implicit-def: $vgpr167_vgpr168
                                        ; implicit-def: $vgpr169_vgpr170
                                        ; implicit-def: $vgpr171_vgpr172
                                        ; implicit-def: $vgpr173_vgpr174
                                        ; implicit-def: $vgpr175_vgpr176
                                        ; implicit-def: $vgpr177_vgpr178
                                        ; implicit-def: $vgpr179_vgpr180
                                        ; implicit-def: $vgpr183_vgpr184
                                        ; implicit-def: $vgpr185_vgpr186
                                        ; implicit-def: $vgpr187_vgpr188
                                        ; implicit-def: $vgpr189_vgpr190
                                        ; implicit-def: $vgpr191_vgpr192
                                        ; implicit-def: $vgpr193_vgpr194
                                        ; implicit-def: $vgpr57_vgpr58_vgpr59_vgpr60
                                        ; implicit-def: $vgpr61_vgpr62_vgpr63_vgpr64
                                        ; implicit-def: $vgpr65_vgpr66_vgpr67_vgpr68
                                        ; implicit-def: $vgpr69_vgpr70_vgpr71_vgpr72
                                        ; implicit-def: $vgpr73_vgpr74_vgpr75_vgpr76
                                        ; implicit-def: $vgpr77_vgpr78_vgpr79_vgpr80
                                        ; implicit-def: $vgpr81_vgpr82_vgpr83_vgpr84
                                        ; implicit-def: $vgpr85_vgpr86_vgpr87_vgpr88
                                        ; implicit-def: $vgpr89_vgpr90_vgpr91_vgpr92
                                        ; implicit-def: $vgpr93_vgpr94_vgpr95_vgpr96
                                        ; implicit-def: $vgpr97_vgpr98_vgpr99_vgpr100
                                        ; implicit-def: $vgpr101_vgpr102_vgpr103_vgpr104
                                        ; implicit-def: $vgpr105_vgpr106_vgpr107_vgpr108
	s_branch .LBB1659_1243
.LBB1659_74:
	s_set_inst_prefetch_distance 0x2
	s_or_b32 exec_lo, exec_lo, s21
	v_cmp_gt_i64_e32 vcc_lo, s[8:9], v[63:64]
	s_mov_b32 s0, 0
	s_delay_alu instid0(SALU_CYCLE_1)
	v_mov_b32_e32 v112, s0
	v_cndmask_b32_e64 v111, 0, 1, vcc_lo
.LBB1659_75:
	s_or_b32 exec_lo, exec_lo, s3
.LBB1659_76:
	v_mul_lo_u32 v61, v6, s8
	v_mul_lo_u32 v62, v5, s9
	v_mad_u64_u32 v[59:60], null, v5, s8, 0
	v_cndmask_b32_e64 v65, 0, 1, s1
	v_dual_mov_b32 v116, v114 :: v_dual_mov_b32 v115, v113
	s_and_not1_b32 vcc_lo, exec_lo, s1
	s_delay_alu instid0(VALU_DEP_3) | instskip(NEXT) | instid1(VALU_DEP_1)
	v_add3_u32 v60, v60, v62, v61
	v_lshlrev_b64 v[59:60], 3, v[59:60]
	s_cbranch_vccnz .LBB1659_85
; %bb.77:
	v_add_co_u32 v61, vcc_lo, s10, v57
	v_add_co_ci_u32_e32 v62, vcc_lo, s11, v58, vcc_lo
	s_delay_alu instid0(VALU_DEP_3) | instskip(NEXT) | instid1(VALU_DEP_4)
	v_add_co_u32 v57, vcc_lo, s10, v59
	v_add_co_ci_u32_e32 v58, vcc_lo, s11, v60, vcc_lo
	v_mov_b32_e32 v115, 1
	s_clause 0x1
	global_load_b64 v[63:64], v[61:62], off
	global_load_b64 v[66:67], v[57:58], off
	v_mov_b32_e32 v116, 0
	s_mov_b32 s1, exec_lo
	s_waitcnt vmcnt(0)
	v_cmpx_eq_u64_e64 v[63:64], v[66:67]
	s_cbranch_execz .LBB1659_84
; %bb.78:
	v_add_co_u32 v57, vcc_lo, v57, 8
	v_add_co_ci_u32_e32 v58, vcc_lo, 0, v58, vcc_lo
	v_add_co_u32 v61, vcc_lo, v61, 8
	v_add_co_ci_u32_e32 v62, vcc_lo, 0, v62, vcc_lo
	s_add_u32 s14, s8, -1
	s_addc_u32 s15, s9, -1
	s_mov_b64 s[22:23], 0
	s_mov_b32 s3, 0
                                        ; implicit-def: $sgpr21
	s_set_inst_prefetch_distance 0x1
	s_branch .LBB1659_81
	.p2align	6
.LBB1659_79:                            ;   in Loop: Header=BB1659_81 Depth=1
	global_load_b64 v[63:64], v[61:62], off
	global_load_b64 v[66:67], v[57:58], off
	v_add_co_u32 v57, vcc_lo, v57, 8
	v_add_co_ci_u32_e32 v58, vcc_lo, 0, v58, vcc_lo
	v_add_co_u32 v61, s0, v61, 8
	s_delay_alu instid0(VALU_DEP_1)
	v_add_co_ci_u32_e64 v62, s0, 0, v62, s0
	s_add_u32 s22, s22, 1
	s_addc_u32 s23, s23, 0
	s_and_not1_b32 s0, s21, exec_lo
	s_waitcnt vmcnt(0)
	v_cmp_ne_u64_e32 vcc_lo, v[63:64], v[66:67]
	s_and_b32 s21, vcc_lo, exec_lo
	s_delay_alu instid0(SALU_CYCLE_1)
	s_or_b32 s21, s0, s21
.LBB1659_80:                            ;   in Loop: Header=BB1659_81 Depth=1
	v_dual_mov_b32 v64, s23 :: v_dual_mov_b32 v63, s22
	s_and_b32 s0, exec_lo, s21
	s_delay_alu instid0(SALU_CYCLE_1) | instskip(NEXT) | instid1(SALU_CYCLE_1)
	s_or_b32 s3, s0, s3
	s_and_not1_b32 exec_lo, exec_lo, s3
	s_cbranch_execz .LBB1659_83
.LBB1659_81:                            ; =>This Inner Loop Header: Depth=1
	s_or_b32 s21, s21, exec_lo
	s_cmp_eq_u64 s[14:15], s[22:23]
	s_cbranch_scc0 .LBB1659_79
; %bb.82:                               ;   in Loop: Header=BB1659_81 Depth=1
	s_mov_b64 s[22:23], s[8:9]
                                        ; implicit-def: $vgpr57_vgpr58
                                        ; implicit-def: $vgpr61_vgpr62
	s_branch .LBB1659_80
.LBB1659_83:
	s_set_inst_prefetch_distance 0x2
	s_or_b32 exec_lo, exec_lo, s3
	v_cmp_gt_i64_e32 vcc_lo, s[8:9], v[63:64]
	s_mov_b32 s0, 0
	s_delay_alu instid0(SALU_CYCLE_1)
	v_mov_b32_e32 v116, s0
	v_cndmask_b32_e64 v115, 0, 1, vcc_lo
.LBB1659_84:
	s_or_b32 exec_lo, exec_lo, s1
.LBB1659_85:
	v_mul_lo_u32 v61, v12, s8
	v_mul_lo_u32 v62, v11, s9
	v_mad_u64_u32 v[57:58], null, v11, s8, 0
	v_cmp_ne_u32_e32 vcc_lo, 1, v65
	s_delay_alu instid0(VALU_DEP_2) | instskip(NEXT) | instid1(VALU_DEP_1)
	v_add3_u32 v58, v58, v62, v61
	v_lshlrev_b64 v[57:58], 3, v[57:58]
	s_cbranch_vccnz .LBB1659_94
; %bb.86:
	v_add_co_u32 v61, vcc_lo, s10, v59
	v_add_co_ci_u32_e32 v62, vcc_lo, s11, v60, vcc_lo
	s_delay_alu instid0(VALU_DEP_3) | instskip(NEXT) | instid1(VALU_DEP_4)
	v_add_co_u32 v59, vcc_lo, s10, v57
	v_add_co_ci_u32_e32 v60, vcc_lo, s11, v58, vcc_lo
	v_mov_b32_e32 v113, 1
	s_clause 0x1
	global_load_b64 v[63:64], v[61:62], off
	global_load_b64 v[66:67], v[59:60], off
	v_mov_b32_e32 v114, 0
	s_mov_b32 s1, exec_lo
	s_waitcnt vmcnt(0)
	v_cmpx_eq_u64_e64 v[63:64], v[66:67]
	s_cbranch_execz .LBB1659_93
; %bb.87:
	v_add_co_u32 v59, vcc_lo, v59, 8
	v_add_co_ci_u32_e32 v60, vcc_lo, 0, v60, vcc_lo
	v_add_co_u32 v61, vcc_lo, v61, 8
	v_add_co_ci_u32_e32 v62, vcc_lo, 0, v62, vcc_lo
	s_add_u32 s14, s8, -1
	s_addc_u32 s15, s9, -1
	s_mov_b64 s[22:23], 0
	s_mov_b32 s3, 0
                                        ; implicit-def: $sgpr21
	s_set_inst_prefetch_distance 0x1
	s_branch .LBB1659_90
	.p2align	6
.LBB1659_88:                            ;   in Loop: Header=BB1659_90 Depth=1
	global_load_b64 v[63:64], v[61:62], off
	global_load_b64 v[66:67], v[59:60], off
	v_add_co_u32 v59, vcc_lo, v59, 8
	v_add_co_ci_u32_e32 v60, vcc_lo, 0, v60, vcc_lo
	v_add_co_u32 v61, s0, v61, 8
	s_delay_alu instid0(VALU_DEP_1)
	v_add_co_ci_u32_e64 v62, s0, 0, v62, s0
	s_add_u32 s22, s22, 1
	s_addc_u32 s23, s23, 0
	s_and_not1_b32 s0, s21, exec_lo
	s_waitcnt vmcnt(0)
	v_cmp_ne_u64_e32 vcc_lo, v[63:64], v[66:67]
	s_and_b32 s21, vcc_lo, exec_lo
	s_delay_alu instid0(SALU_CYCLE_1)
	s_or_b32 s21, s0, s21
.LBB1659_89:                            ;   in Loop: Header=BB1659_90 Depth=1
	v_dual_mov_b32 v64, s23 :: v_dual_mov_b32 v63, s22
	s_and_b32 s0, exec_lo, s21
	s_delay_alu instid0(SALU_CYCLE_1) | instskip(NEXT) | instid1(SALU_CYCLE_1)
	s_or_b32 s3, s0, s3
	s_and_not1_b32 exec_lo, exec_lo, s3
	s_cbranch_execz .LBB1659_92
.LBB1659_90:                            ; =>This Inner Loop Header: Depth=1
	s_or_b32 s21, s21, exec_lo
	s_cmp_eq_u64 s[14:15], s[22:23]
	s_cbranch_scc0 .LBB1659_88
; %bb.91:                               ;   in Loop: Header=BB1659_90 Depth=1
	s_mov_b64 s[22:23], s[8:9]
                                        ; implicit-def: $vgpr59_vgpr60
                                        ; implicit-def: $vgpr61_vgpr62
	s_branch .LBB1659_89
.LBB1659_92:
	s_set_inst_prefetch_distance 0x2
	s_or_b32 exec_lo, exec_lo, s3
	v_cmp_gt_i64_e32 vcc_lo, s[8:9], v[63:64]
	s_mov_b32 s0, 0
	s_delay_alu instid0(SALU_CYCLE_1)
	v_mov_b32_e32 v114, s0
	v_cndmask_b32_e64 v113, 0, 1, vcc_lo
.LBB1659_93:
	s_or_b32 exec_lo, exec_lo, s1
.LBB1659_94:
	v_mul_lo_u32 v61, v10, s8
	v_mul_lo_u32 v62, v9, s9
	v_mad_u64_u32 v[59:60], null, v9, s8, 0
	v_mov_b32_e32 v119, 0
	v_mov_b32_e32 v120, 0
	v_cmp_ne_u32_e32 vcc_lo, 1, v65
	s_delay_alu instid0(VALU_DEP_2) | instskip(SKIP_1) | instid1(VALU_DEP_1)
	v_dual_mov_b32 v117, v119 :: v_dual_mov_b32 v118, v120
	v_add3_u32 v60, v60, v62, v61
	v_lshlrev_b64 v[59:60], 3, v[59:60]
	s_cbranch_vccnz .LBB1659_103
; %bb.95:
	v_add_co_u32 v61, vcc_lo, s10, v57
	v_add_co_ci_u32_e32 v62, vcc_lo, s11, v58, vcc_lo
	s_delay_alu instid0(VALU_DEP_3) | instskip(NEXT) | instid1(VALU_DEP_4)
	v_add_co_u32 v57, vcc_lo, s10, v59
	v_add_co_ci_u32_e32 v58, vcc_lo, s11, v60, vcc_lo
	v_mov_b32_e32 v117, 1
	s_clause 0x1
	global_load_b64 v[63:64], v[61:62], off
	global_load_b64 v[66:67], v[57:58], off
	v_mov_b32_e32 v118, 0
	s_mov_b32 s1, exec_lo
	s_waitcnt vmcnt(0)
	v_cmpx_eq_u64_e64 v[63:64], v[66:67]
	s_cbranch_execz .LBB1659_102
; %bb.96:
	v_add_co_u32 v57, vcc_lo, v57, 8
	v_add_co_ci_u32_e32 v58, vcc_lo, 0, v58, vcc_lo
	v_add_co_u32 v61, vcc_lo, v61, 8
	v_add_co_ci_u32_e32 v62, vcc_lo, 0, v62, vcc_lo
	s_add_u32 s14, s8, -1
	s_addc_u32 s15, s9, -1
	s_mov_b64 s[22:23], 0
	s_mov_b32 s3, 0
                                        ; implicit-def: $sgpr21
	s_set_inst_prefetch_distance 0x1
	s_branch .LBB1659_99
	.p2align	6
.LBB1659_97:                            ;   in Loop: Header=BB1659_99 Depth=1
	global_load_b64 v[63:64], v[61:62], off
	global_load_b64 v[66:67], v[57:58], off
	v_add_co_u32 v57, vcc_lo, v57, 8
	v_add_co_ci_u32_e32 v58, vcc_lo, 0, v58, vcc_lo
	v_add_co_u32 v61, s0, v61, 8
	s_delay_alu instid0(VALU_DEP_1)
	v_add_co_ci_u32_e64 v62, s0, 0, v62, s0
	s_add_u32 s22, s22, 1
	s_addc_u32 s23, s23, 0
	s_and_not1_b32 s0, s21, exec_lo
	s_waitcnt vmcnt(0)
	v_cmp_ne_u64_e32 vcc_lo, v[63:64], v[66:67]
	s_and_b32 s21, vcc_lo, exec_lo
	s_delay_alu instid0(SALU_CYCLE_1)
	s_or_b32 s21, s0, s21
.LBB1659_98:                            ;   in Loop: Header=BB1659_99 Depth=1
	v_dual_mov_b32 v64, s23 :: v_dual_mov_b32 v63, s22
	s_and_b32 s0, exec_lo, s21
	s_delay_alu instid0(SALU_CYCLE_1) | instskip(NEXT) | instid1(SALU_CYCLE_1)
	s_or_b32 s3, s0, s3
	s_and_not1_b32 exec_lo, exec_lo, s3
	s_cbranch_execz .LBB1659_101
.LBB1659_99:                            ; =>This Inner Loop Header: Depth=1
	s_or_b32 s21, s21, exec_lo
	s_cmp_eq_u64 s[14:15], s[22:23]
	s_cbranch_scc0 .LBB1659_97
; %bb.100:                              ;   in Loop: Header=BB1659_99 Depth=1
	s_mov_b64 s[22:23], s[8:9]
                                        ; implicit-def: $vgpr57_vgpr58
                                        ; implicit-def: $vgpr61_vgpr62
	s_branch .LBB1659_98
.LBB1659_101:
	s_set_inst_prefetch_distance 0x2
	s_or_b32 exec_lo, exec_lo, s3
	v_cmp_gt_i64_e32 vcc_lo, s[8:9], v[63:64]
	s_mov_b32 s0, 0
	s_delay_alu instid0(SALU_CYCLE_1)
	v_mov_b32_e32 v118, s0
	v_cndmask_b32_e64 v117, 0, 1, vcc_lo
.LBB1659_102:
	s_or_b32 exec_lo, exec_lo, s1
.LBB1659_103:
	v_mul_lo_u32 v61, v56, s8
	v_mul_lo_u32 v62, v55, s9
	v_mad_u64_u32 v[57:58], null, v55, s8, 0
	v_cmp_ne_u32_e32 vcc_lo, 1, v65
	s_delay_alu instid0(VALU_DEP_2) | instskip(NEXT) | instid1(VALU_DEP_1)
	v_add3_u32 v58, v58, v62, v61
	v_lshlrev_b64 v[57:58], 3, v[57:58]
	s_cbranch_vccnz .LBB1659_112
; %bb.104:
	v_add_co_u32 v61, vcc_lo, s10, v59
	v_add_co_ci_u32_e32 v62, vcc_lo, s11, v60, vcc_lo
	s_delay_alu instid0(VALU_DEP_3) | instskip(NEXT) | instid1(VALU_DEP_4)
	v_add_co_u32 v59, vcc_lo, s10, v57
	v_add_co_ci_u32_e32 v60, vcc_lo, s11, v58, vcc_lo
	v_mov_b32_e32 v119, 1
	s_clause 0x1
	global_load_b64 v[63:64], v[61:62], off
	global_load_b64 v[66:67], v[59:60], off
	v_mov_b32_e32 v120, 0
	s_mov_b32 s1, exec_lo
	s_waitcnt vmcnt(0)
	v_cmpx_eq_u64_e64 v[63:64], v[66:67]
	s_cbranch_execz .LBB1659_111
; %bb.105:
	v_add_co_u32 v59, vcc_lo, v59, 8
	v_add_co_ci_u32_e32 v60, vcc_lo, 0, v60, vcc_lo
	v_add_co_u32 v61, vcc_lo, v61, 8
	v_add_co_ci_u32_e32 v62, vcc_lo, 0, v62, vcc_lo
	s_add_u32 s14, s8, -1
	s_addc_u32 s15, s9, -1
	s_mov_b64 s[22:23], 0
	s_mov_b32 s3, 0
                                        ; implicit-def: $sgpr21
	s_set_inst_prefetch_distance 0x1
	s_branch .LBB1659_108
	.p2align	6
.LBB1659_106:                           ;   in Loop: Header=BB1659_108 Depth=1
	global_load_b64 v[63:64], v[61:62], off
	global_load_b64 v[66:67], v[59:60], off
	v_add_co_u32 v59, vcc_lo, v59, 8
	v_add_co_ci_u32_e32 v60, vcc_lo, 0, v60, vcc_lo
	v_add_co_u32 v61, s0, v61, 8
	s_delay_alu instid0(VALU_DEP_1)
	v_add_co_ci_u32_e64 v62, s0, 0, v62, s0
	s_add_u32 s22, s22, 1
	s_addc_u32 s23, s23, 0
	s_and_not1_b32 s0, s21, exec_lo
	s_waitcnt vmcnt(0)
	v_cmp_ne_u64_e32 vcc_lo, v[63:64], v[66:67]
	s_and_b32 s21, vcc_lo, exec_lo
	s_delay_alu instid0(SALU_CYCLE_1)
	s_or_b32 s21, s0, s21
.LBB1659_107:                           ;   in Loop: Header=BB1659_108 Depth=1
	v_dual_mov_b32 v64, s23 :: v_dual_mov_b32 v63, s22
	s_and_b32 s0, exec_lo, s21
	s_delay_alu instid0(SALU_CYCLE_1) | instskip(NEXT) | instid1(SALU_CYCLE_1)
	s_or_b32 s3, s0, s3
	s_and_not1_b32 exec_lo, exec_lo, s3
	s_cbranch_execz .LBB1659_110
.LBB1659_108:                           ; =>This Inner Loop Header: Depth=1
	s_or_b32 s21, s21, exec_lo
	s_cmp_eq_u64 s[14:15], s[22:23]
	s_cbranch_scc0 .LBB1659_106
; %bb.109:                              ;   in Loop: Header=BB1659_108 Depth=1
	s_mov_b64 s[22:23], s[8:9]
                                        ; implicit-def: $vgpr59_vgpr60
                                        ; implicit-def: $vgpr61_vgpr62
	s_branch .LBB1659_107
.LBB1659_110:
	s_set_inst_prefetch_distance 0x2
	s_or_b32 exec_lo, exec_lo, s3
	v_cmp_gt_i64_e32 vcc_lo, s[8:9], v[63:64]
	s_mov_b32 s0, 0
	s_delay_alu instid0(SALU_CYCLE_1)
	v_mov_b32_e32 v120, s0
	v_cndmask_b32_e64 v119, 0, 1, vcc_lo
.LBB1659_111:
	s_or_b32 exec_lo, exec_lo, s1
.LBB1659_112:
	v_mul_lo_u32 v61, v54, s8
	v_mul_lo_u32 v62, v53, s9
	v_mad_u64_u32 v[59:60], null, v53, s8, 0
	v_mov_b32_e32 v123, 0
	v_mov_b32_e32 v124, 0
	v_cmp_ne_u32_e32 vcc_lo, 1, v65
	s_delay_alu instid0(VALU_DEP_2) | instskip(SKIP_1) | instid1(VALU_DEP_1)
	v_dual_mov_b32 v121, v123 :: v_dual_mov_b32 v122, v124
	v_add3_u32 v60, v60, v62, v61
	v_lshlrev_b64 v[59:60], 3, v[59:60]
	s_cbranch_vccnz .LBB1659_121
; %bb.113:
	v_add_co_u32 v61, vcc_lo, s10, v57
	v_add_co_ci_u32_e32 v62, vcc_lo, s11, v58, vcc_lo
	s_delay_alu instid0(VALU_DEP_3) | instskip(NEXT) | instid1(VALU_DEP_4)
	v_add_co_u32 v57, vcc_lo, s10, v59
	v_add_co_ci_u32_e32 v58, vcc_lo, s11, v60, vcc_lo
	v_mov_b32_e32 v121, 1
	s_clause 0x1
	global_load_b64 v[63:64], v[61:62], off
	global_load_b64 v[66:67], v[57:58], off
	v_mov_b32_e32 v122, 0
	s_mov_b32 s1, exec_lo
	s_waitcnt vmcnt(0)
	v_cmpx_eq_u64_e64 v[63:64], v[66:67]
	s_cbranch_execz .LBB1659_120
; %bb.114:
	v_add_co_u32 v57, vcc_lo, v57, 8
	v_add_co_ci_u32_e32 v58, vcc_lo, 0, v58, vcc_lo
	v_add_co_u32 v61, vcc_lo, v61, 8
	v_add_co_ci_u32_e32 v62, vcc_lo, 0, v62, vcc_lo
	s_add_u32 s14, s8, -1
	s_addc_u32 s15, s9, -1
	s_mov_b64 s[22:23], 0
	s_mov_b32 s3, 0
                                        ; implicit-def: $sgpr21
	s_set_inst_prefetch_distance 0x1
	s_branch .LBB1659_117
	.p2align	6
.LBB1659_115:                           ;   in Loop: Header=BB1659_117 Depth=1
	global_load_b64 v[63:64], v[61:62], off
	global_load_b64 v[66:67], v[57:58], off
	v_add_co_u32 v57, vcc_lo, v57, 8
	v_add_co_ci_u32_e32 v58, vcc_lo, 0, v58, vcc_lo
	v_add_co_u32 v61, s0, v61, 8
	s_delay_alu instid0(VALU_DEP_1)
	v_add_co_ci_u32_e64 v62, s0, 0, v62, s0
	s_add_u32 s22, s22, 1
	s_addc_u32 s23, s23, 0
	s_and_not1_b32 s0, s21, exec_lo
	s_waitcnt vmcnt(0)
	v_cmp_ne_u64_e32 vcc_lo, v[63:64], v[66:67]
	s_and_b32 s21, vcc_lo, exec_lo
	s_delay_alu instid0(SALU_CYCLE_1)
	s_or_b32 s21, s0, s21
.LBB1659_116:                           ;   in Loop: Header=BB1659_117 Depth=1
	v_dual_mov_b32 v64, s23 :: v_dual_mov_b32 v63, s22
	s_and_b32 s0, exec_lo, s21
	s_delay_alu instid0(SALU_CYCLE_1) | instskip(NEXT) | instid1(SALU_CYCLE_1)
	s_or_b32 s3, s0, s3
	s_and_not1_b32 exec_lo, exec_lo, s3
	s_cbranch_execz .LBB1659_119
.LBB1659_117:                           ; =>This Inner Loop Header: Depth=1
	s_or_b32 s21, s21, exec_lo
	s_cmp_eq_u64 s[14:15], s[22:23]
	s_cbranch_scc0 .LBB1659_115
; %bb.118:                              ;   in Loop: Header=BB1659_117 Depth=1
	s_mov_b64 s[22:23], s[8:9]
                                        ; implicit-def: $vgpr57_vgpr58
                                        ; implicit-def: $vgpr61_vgpr62
	s_branch .LBB1659_116
.LBB1659_119:
	s_set_inst_prefetch_distance 0x2
	s_or_b32 exec_lo, exec_lo, s3
	v_cmp_gt_i64_e32 vcc_lo, s[8:9], v[63:64]
	s_mov_b32 s0, 0
	s_delay_alu instid0(SALU_CYCLE_1)
	v_mov_b32_e32 v122, s0
	v_cndmask_b32_e64 v121, 0, 1, vcc_lo
.LBB1659_120:
	s_or_b32 exec_lo, exec_lo, s1
.LBB1659_121:
	v_mul_lo_u32 v61, v52, s8
	v_mul_lo_u32 v62, v51, s9
	v_mad_u64_u32 v[57:58], null, v51, s8, 0
	v_cmp_ne_u32_e32 vcc_lo, 1, v65
	s_delay_alu instid0(VALU_DEP_2) | instskip(NEXT) | instid1(VALU_DEP_1)
	v_add3_u32 v58, v58, v62, v61
	v_lshlrev_b64 v[57:58], 3, v[57:58]
	s_cbranch_vccnz .LBB1659_130
; %bb.122:
	v_add_co_u32 v61, vcc_lo, s10, v59
	v_add_co_ci_u32_e32 v62, vcc_lo, s11, v60, vcc_lo
	s_delay_alu instid0(VALU_DEP_3) | instskip(NEXT) | instid1(VALU_DEP_4)
	v_add_co_u32 v59, vcc_lo, s10, v57
	v_add_co_ci_u32_e32 v60, vcc_lo, s11, v58, vcc_lo
	v_mov_b32_e32 v123, 1
	s_clause 0x1
	global_load_b64 v[63:64], v[61:62], off
	global_load_b64 v[66:67], v[59:60], off
	v_mov_b32_e32 v124, 0
	s_mov_b32 s1, exec_lo
	s_waitcnt vmcnt(0)
	v_cmpx_eq_u64_e64 v[63:64], v[66:67]
	s_cbranch_execz .LBB1659_129
; %bb.123:
	v_add_co_u32 v59, vcc_lo, v59, 8
	v_add_co_ci_u32_e32 v60, vcc_lo, 0, v60, vcc_lo
	v_add_co_u32 v61, vcc_lo, v61, 8
	v_add_co_ci_u32_e32 v62, vcc_lo, 0, v62, vcc_lo
	s_add_u32 s14, s8, -1
	s_addc_u32 s15, s9, -1
	s_mov_b64 s[22:23], 0
	s_mov_b32 s3, 0
                                        ; implicit-def: $sgpr21
	s_set_inst_prefetch_distance 0x1
	s_branch .LBB1659_126
	.p2align	6
.LBB1659_124:                           ;   in Loop: Header=BB1659_126 Depth=1
	global_load_b64 v[63:64], v[61:62], off
	global_load_b64 v[66:67], v[59:60], off
	v_add_co_u32 v59, vcc_lo, v59, 8
	v_add_co_ci_u32_e32 v60, vcc_lo, 0, v60, vcc_lo
	v_add_co_u32 v61, s0, v61, 8
	s_delay_alu instid0(VALU_DEP_1)
	v_add_co_ci_u32_e64 v62, s0, 0, v62, s0
	s_add_u32 s22, s22, 1
	s_addc_u32 s23, s23, 0
	s_and_not1_b32 s0, s21, exec_lo
	s_waitcnt vmcnt(0)
	v_cmp_ne_u64_e32 vcc_lo, v[63:64], v[66:67]
	s_and_b32 s21, vcc_lo, exec_lo
	s_delay_alu instid0(SALU_CYCLE_1)
	s_or_b32 s21, s0, s21
.LBB1659_125:                           ;   in Loop: Header=BB1659_126 Depth=1
	v_dual_mov_b32 v64, s23 :: v_dual_mov_b32 v63, s22
	s_and_b32 s0, exec_lo, s21
	s_delay_alu instid0(SALU_CYCLE_1) | instskip(NEXT) | instid1(SALU_CYCLE_1)
	s_or_b32 s3, s0, s3
	s_and_not1_b32 exec_lo, exec_lo, s3
	s_cbranch_execz .LBB1659_128
.LBB1659_126:                           ; =>This Inner Loop Header: Depth=1
	s_or_b32 s21, s21, exec_lo
	s_cmp_eq_u64 s[14:15], s[22:23]
	s_cbranch_scc0 .LBB1659_124
; %bb.127:                              ;   in Loop: Header=BB1659_126 Depth=1
	s_mov_b64 s[22:23], s[8:9]
                                        ; implicit-def: $vgpr59_vgpr60
                                        ; implicit-def: $vgpr61_vgpr62
	s_branch .LBB1659_125
.LBB1659_128:
	s_set_inst_prefetch_distance 0x2
	s_or_b32 exec_lo, exec_lo, s3
	v_cmp_gt_i64_e32 vcc_lo, s[8:9], v[63:64]
	s_mov_b32 s0, 0
	s_delay_alu instid0(SALU_CYCLE_1)
	v_mov_b32_e32 v124, s0
	v_cndmask_b32_e64 v123, 0, 1, vcc_lo
.LBB1659_129:
	s_or_b32 exec_lo, exec_lo, s1
.LBB1659_130:
	v_mul_lo_u32 v61, v50, s8
	v_mul_lo_u32 v62, v49, s9
	v_mad_u64_u32 v[59:60], null, v49, s8, 0
	v_mov_b32_e32 v127, 0
	v_mov_b32_e32 v128, 0
	v_cmp_ne_u32_e32 vcc_lo, 1, v65
	s_delay_alu instid0(VALU_DEP_2) | instskip(SKIP_1) | instid1(VALU_DEP_1)
	v_dual_mov_b32 v125, v127 :: v_dual_mov_b32 v126, v128
	v_add3_u32 v60, v60, v62, v61
	v_lshlrev_b64 v[59:60], 3, v[59:60]
	s_cbranch_vccnz .LBB1659_139
; %bb.131:
	v_add_co_u32 v61, vcc_lo, s10, v57
	v_add_co_ci_u32_e32 v62, vcc_lo, s11, v58, vcc_lo
	s_delay_alu instid0(VALU_DEP_3) | instskip(NEXT) | instid1(VALU_DEP_4)
	v_add_co_u32 v57, vcc_lo, s10, v59
	v_add_co_ci_u32_e32 v58, vcc_lo, s11, v60, vcc_lo
	v_mov_b32_e32 v125, 1
	s_clause 0x1
	global_load_b64 v[63:64], v[61:62], off
	global_load_b64 v[66:67], v[57:58], off
	v_mov_b32_e32 v126, 0
	s_mov_b32 s1, exec_lo
	s_waitcnt vmcnt(0)
	v_cmpx_eq_u64_e64 v[63:64], v[66:67]
	s_cbranch_execz .LBB1659_138
; %bb.132:
	v_add_co_u32 v57, vcc_lo, v57, 8
	v_add_co_ci_u32_e32 v58, vcc_lo, 0, v58, vcc_lo
	v_add_co_u32 v61, vcc_lo, v61, 8
	v_add_co_ci_u32_e32 v62, vcc_lo, 0, v62, vcc_lo
	s_add_u32 s14, s8, -1
	s_addc_u32 s15, s9, -1
	s_mov_b64 s[22:23], 0
	s_mov_b32 s3, 0
                                        ; implicit-def: $sgpr21
	s_set_inst_prefetch_distance 0x1
	s_branch .LBB1659_135
	.p2align	6
.LBB1659_133:                           ;   in Loop: Header=BB1659_135 Depth=1
	global_load_b64 v[63:64], v[61:62], off
	global_load_b64 v[66:67], v[57:58], off
	v_add_co_u32 v57, vcc_lo, v57, 8
	v_add_co_ci_u32_e32 v58, vcc_lo, 0, v58, vcc_lo
	v_add_co_u32 v61, s0, v61, 8
	s_delay_alu instid0(VALU_DEP_1)
	v_add_co_ci_u32_e64 v62, s0, 0, v62, s0
	s_add_u32 s22, s22, 1
	s_addc_u32 s23, s23, 0
	s_and_not1_b32 s0, s21, exec_lo
	s_waitcnt vmcnt(0)
	v_cmp_ne_u64_e32 vcc_lo, v[63:64], v[66:67]
	s_and_b32 s21, vcc_lo, exec_lo
	s_delay_alu instid0(SALU_CYCLE_1)
	s_or_b32 s21, s0, s21
.LBB1659_134:                           ;   in Loop: Header=BB1659_135 Depth=1
	v_dual_mov_b32 v64, s23 :: v_dual_mov_b32 v63, s22
	s_and_b32 s0, exec_lo, s21
	s_delay_alu instid0(SALU_CYCLE_1) | instskip(NEXT) | instid1(SALU_CYCLE_1)
	s_or_b32 s3, s0, s3
	s_and_not1_b32 exec_lo, exec_lo, s3
	s_cbranch_execz .LBB1659_137
.LBB1659_135:                           ; =>This Inner Loop Header: Depth=1
	s_or_b32 s21, s21, exec_lo
	s_cmp_eq_u64 s[14:15], s[22:23]
	s_cbranch_scc0 .LBB1659_133
; %bb.136:                              ;   in Loop: Header=BB1659_135 Depth=1
	s_mov_b64 s[22:23], s[8:9]
                                        ; implicit-def: $vgpr57_vgpr58
                                        ; implicit-def: $vgpr61_vgpr62
	s_branch .LBB1659_134
.LBB1659_137:
	s_set_inst_prefetch_distance 0x2
	s_or_b32 exec_lo, exec_lo, s3
	v_cmp_gt_i64_e32 vcc_lo, s[8:9], v[63:64]
	s_mov_b32 s0, 0
	s_delay_alu instid0(SALU_CYCLE_1)
	v_mov_b32_e32 v126, s0
	v_cndmask_b32_e64 v125, 0, 1, vcc_lo
.LBB1659_138:
	s_or_b32 exec_lo, exec_lo, s1
.LBB1659_139:
	v_mul_lo_u32 v61, v48, s8
	v_mul_lo_u32 v62, v47, s9
	v_mad_u64_u32 v[57:58], null, v47, s8, 0
	v_cmp_ne_u32_e32 vcc_lo, 1, v65
	s_delay_alu instid0(VALU_DEP_2) | instskip(NEXT) | instid1(VALU_DEP_1)
	v_add3_u32 v58, v58, v62, v61
	v_lshlrev_b64 v[57:58], 3, v[57:58]
	s_cbranch_vccnz .LBB1659_148
; %bb.140:
	v_add_co_u32 v61, vcc_lo, s10, v59
	v_add_co_ci_u32_e32 v62, vcc_lo, s11, v60, vcc_lo
	s_delay_alu instid0(VALU_DEP_3) | instskip(NEXT) | instid1(VALU_DEP_4)
	v_add_co_u32 v59, vcc_lo, s10, v57
	v_add_co_ci_u32_e32 v60, vcc_lo, s11, v58, vcc_lo
	v_mov_b32_e32 v127, 1
	s_clause 0x1
	global_load_b64 v[63:64], v[61:62], off
	global_load_b64 v[66:67], v[59:60], off
	v_mov_b32_e32 v128, 0
	s_mov_b32 s1, exec_lo
	s_waitcnt vmcnt(0)
	v_cmpx_eq_u64_e64 v[63:64], v[66:67]
	s_cbranch_execz .LBB1659_147
; %bb.141:
	v_add_co_u32 v59, vcc_lo, v59, 8
	v_add_co_ci_u32_e32 v60, vcc_lo, 0, v60, vcc_lo
	v_add_co_u32 v61, vcc_lo, v61, 8
	v_add_co_ci_u32_e32 v62, vcc_lo, 0, v62, vcc_lo
	s_add_u32 s14, s8, -1
	s_addc_u32 s15, s9, -1
	s_mov_b64 s[22:23], 0
	s_mov_b32 s3, 0
                                        ; implicit-def: $sgpr21
	s_set_inst_prefetch_distance 0x1
	s_branch .LBB1659_144
	.p2align	6
.LBB1659_142:                           ;   in Loop: Header=BB1659_144 Depth=1
	global_load_b64 v[63:64], v[61:62], off
	global_load_b64 v[66:67], v[59:60], off
	v_add_co_u32 v59, vcc_lo, v59, 8
	v_add_co_ci_u32_e32 v60, vcc_lo, 0, v60, vcc_lo
	v_add_co_u32 v61, s0, v61, 8
	s_delay_alu instid0(VALU_DEP_1)
	v_add_co_ci_u32_e64 v62, s0, 0, v62, s0
	s_add_u32 s22, s22, 1
	s_addc_u32 s23, s23, 0
	s_and_not1_b32 s0, s21, exec_lo
	s_waitcnt vmcnt(0)
	v_cmp_ne_u64_e32 vcc_lo, v[63:64], v[66:67]
	s_and_b32 s21, vcc_lo, exec_lo
	s_delay_alu instid0(SALU_CYCLE_1)
	s_or_b32 s21, s0, s21
.LBB1659_143:                           ;   in Loop: Header=BB1659_144 Depth=1
	v_dual_mov_b32 v64, s23 :: v_dual_mov_b32 v63, s22
	s_and_b32 s0, exec_lo, s21
	s_delay_alu instid0(SALU_CYCLE_1) | instskip(NEXT) | instid1(SALU_CYCLE_1)
	s_or_b32 s3, s0, s3
	s_and_not1_b32 exec_lo, exec_lo, s3
	s_cbranch_execz .LBB1659_146
.LBB1659_144:                           ; =>This Inner Loop Header: Depth=1
	s_or_b32 s21, s21, exec_lo
	s_cmp_eq_u64 s[14:15], s[22:23]
	s_cbranch_scc0 .LBB1659_142
; %bb.145:                              ;   in Loop: Header=BB1659_144 Depth=1
	s_mov_b64 s[22:23], s[8:9]
                                        ; implicit-def: $vgpr59_vgpr60
                                        ; implicit-def: $vgpr61_vgpr62
	s_branch .LBB1659_143
.LBB1659_146:
	s_set_inst_prefetch_distance 0x2
	s_or_b32 exec_lo, exec_lo, s3
	v_cmp_gt_i64_e32 vcc_lo, s[8:9], v[63:64]
	s_mov_b32 s0, 0
	s_delay_alu instid0(SALU_CYCLE_1)
	v_mov_b32_e32 v128, s0
	v_cndmask_b32_e64 v127, 0, 1, vcc_lo
.LBB1659_147:
	s_or_b32 exec_lo, exec_lo, s1
.LBB1659_148:
	v_mul_lo_u32 v61, v46, s8
	v_mul_lo_u32 v62, v45, s9
	v_mad_u64_u32 v[59:60], null, v45, s8, 0
	v_mov_b32_e32 v131, 0
	v_mov_b32_e32 v132, 0
	v_cmp_ne_u32_e32 vcc_lo, 1, v65
	s_delay_alu instid0(VALU_DEP_2) | instskip(SKIP_1) | instid1(VALU_DEP_1)
	v_dual_mov_b32 v129, v131 :: v_dual_mov_b32 v130, v132
	v_add3_u32 v60, v60, v62, v61
	v_lshlrev_b64 v[59:60], 3, v[59:60]
	s_cbranch_vccnz .LBB1659_157
; %bb.149:
	v_add_co_u32 v61, vcc_lo, s10, v57
	v_add_co_ci_u32_e32 v62, vcc_lo, s11, v58, vcc_lo
	s_delay_alu instid0(VALU_DEP_3) | instskip(NEXT) | instid1(VALU_DEP_4)
	v_add_co_u32 v57, vcc_lo, s10, v59
	v_add_co_ci_u32_e32 v58, vcc_lo, s11, v60, vcc_lo
	v_mov_b32_e32 v129, 1
	s_clause 0x1
	global_load_b64 v[63:64], v[61:62], off
	global_load_b64 v[66:67], v[57:58], off
	v_mov_b32_e32 v130, 0
	s_mov_b32 s1, exec_lo
	s_waitcnt vmcnt(0)
	v_cmpx_eq_u64_e64 v[63:64], v[66:67]
	s_cbranch_execz .LBB1659_156
; %bb.150:
	v_add_co_u32 v57, vcc_lo, v57, 8
	v_add_co_ci_u32_e32 v58, vcc_lo, 0, v58, vcc_lo
	v_add_co_u32 v61, vcc_lo, v61, 8
	v_add_co_ci_u32_e32 v62, vcc_lo, 0, v62, vcc_lo
	s_add_u32 s14, s8, -1
	s_addc_u32 s15, s9, -1
	s_mov_b64 s[22:23], 0
	s_mov_b32 s3, 0
                                        ; implicit-def: $sgpr21
	s_set_inst_prefetch_distance 0x1
	s_branch .LBB1659_153
	.p2align	6
.LBB1659_151:                           ;   in Loop: Header=BB1659_153 Depth=1
	global_load_b64 v[63:64], v[61:62], off
	global_load_b64 v[66:67], v[57:58], off
	v_add_co_u32 v57, vcc_lo, v57, 8
	v_add_co_ci_u32_e32 v58, vcc_lo, 0, v58, vcc_lo
	v_add_co_u32 v61, s0, v61, 8
	s_delay_alu instid0(VALU_DEP_1)
	v_add_co_ci_u32_e64 v62, s0, 0, v62, s0
	s_add_u32 s22, s22, 1
	s_addc_u32 s23, s23, 0
	s_and_not1_b32 s0, s21, exec_lo
	s_waitcnt vmcnt(0)
	v_cmp_ne_u64_e32 vcc_lo, v[63:64], v[66:67]
	s_and_b32 s21, vcc_lo, exec_lo
	s_delay_alu instid0(SALU_CYCLE_1)
	s_or_b32 s21, s0, s21
.LBB1659_152:                           ;   in Loop: Header=BB1659_153 Depth=1
	v_dual_mov_b32 v64, s23 :: v_dual_mov_b32 v63, s22
	s_and_b32 s0, exec_lo, s21
	s_delay_alu instid0(SALU_CYCLE_1) | instskip(NEXT) | instid1(SALU_CYCLE_1)
	s_or_b32 s3, s0, s3
	s_and_not1_b32 exec_lo, exec_lo, s3
	s_cbranch_execz .LBB1659_155
.LBB1659_153:                           ; =>This Inner Loop Header: Depth=1
	s_or_b32 s21, s21, exec_lo
	s_cmp_eq_u64 s[14:15], s[22:23]
	s_cbranch_scc0 .LBB1659_151
; %bb.154:                              ;   in Loop: Header=BB1659_153 Depth=1
	s_mov_b64 s[22:23], s[8:9]
                                        ; implicit-def: $vgpr57_vgpr58
                                        ; implicit-def: $vgpr61_vgpr62
	s_branch .LBB1659_152
.LBB1659_155:
	s_set_inst_prefetch_distance 0x2
	s_or_b32 exec_lo, exec_lo, s3
	v_cmp_gt_i64_e32 vcc_lo, s[8:9], v[63:64]
	s_mov_b32 s0, 0
	s_delay_alu instid0(SALU_CYCLE_1)
	v_mov_b32_e32 v130, s0
	v_cndmask_b32_e64 v129, 0, 1, vcc_lo
.LBB1659_156:
	s_or_b32 exec_lo, exec_lo, s1
.LBB1659_157:
	v_mul_lo_u32 v61, v44, s8
	v_mul_lo_u32 v62, v43, s9
	v_mad_u64_u32 v[57:58], null, v43, s8, 0
	v_cmp_ne_u32_e32 vcc_lo, 1, v65
	s_delay_alu instid0(VALU_DEP_2) | instskip(NEXT) | instid1(VALU_DEP_1)
	v_add3_u32 v58, v58, v62, v61
	v_lshlrev_b64 v[57:58], 3, v[57:58]
	s_cbranch_vccnz .LBB1659_166
; %bb.158:
	v_add_co_u32 v61, vcc_lo, s10, v59
	v_add_co_ci_u32_e32 v62, vcc_lo, s11, v60, vcc_lo
	s_delay_alu instid0(VALU_DEP_3) | instskip(NEXT) | instid1(VALU_DEP_4)
	v_add_co_u32 v59, vcc_lo, s10, v57
	v_add_co_ci_u32_e32 v60, vcc_lo, s11, v58, vcc_lo
	v_mov_b32_e32 v131, 1
	s_clause 0x1
	global_load_b64 v[63:64], v[61:62], off
	global_load_b64 v[66:67], v[59:60], off
	v_mov_b32_e32 v132, 0
	s_mov_b32 s1, exec_lo
	s_waitcnt vmcnt(0)
	v_cmpx_eq_u64_e64 v[63:64], v[66:67]
	s_cbranch_execz .LBB1659_165
; %bb.159:
	v_add_co_u32 v59, vcc_lo, v59, 8
	v_add_co_ci_u32_e32 v60, vcc_lo, 0, v60, vcc_lo
	v_add_co_u32 v61, vcc_lo, v61, 8
	v_add_co_ci_u32_e32 v62, vcc_lo, 0, v62, vcc_lo
	s_add_u32 s14, s8, -1
	s_addc_u32 s15, s9, -1
	s_mov_b64 s[22:23], 0
	s_mov_b32 s3, 0
                                        ; implicit-def: $sgpr21
	s_set_inst_prefetch_distance 0x1
	s_branch .LBB1659_162
	.p2align	6
.LBB1659_160:                           ;   in Loop: Header=BB1659_162 Depth=1
	global_load_b64 v[63:64], v[61:62], off
	global_load_b64 v[66:67], v[59:60], off
	v_add_co_u32 v59, vcc_lo, v59, 8
	v_add_co_ci_u32_e32 v60, vcc_lo, 0, v60, vcc_lo
	v_add_co_u32 v61, s0, v61, 8
	s_delay_alu instid0(VALU_DEP_1)
	v_add_co_ci_u32_e64 v62, s0, 0, v62, s0
	s_add_u32 s22, s22, 1
	s_addc_u32 s23, s23, 0
	s_and_not1_b32 s0, s21, exec_lo
	s_waitcnt vmcnt(0)
	v_cmp_ne_u64_e32 vcc_lo, v[63:64], v[66:67]
	s_and_b32 s21, vcc_lo, exec_lo
	s_delay_alu instid0(SALU_CYCLE_1)
	s_or_b32 s21, s0, s21
.LBB1659_161:                           ;   in Loop: Header=BB1659_162 Depth=1
	v_dual_mov_b32 v64, s23 :: v_dual_mov_b32 v63, s22
	s_and_b32 s0, exec_lo, s21
	s_delay_alu instid0(SALU_CYCLE_1) | instskip(NEXT) | instid1(SALU_CYCLE_1)
	s_or_b32 s3, s0, s3
	s_and_not1_b32 exec_lo, exec_lo, s3
	s_cbranch_execz .LBB1659_164
.LBB1659_162:                           ; =>This Inner Loop Header: Depth=1
	s_or_b32 s21, s21, exec_lo
	s_cmp_eq_u64 s[14:15], s[22:23]
	s_cbranch_scc0 .LBB1659_160
; %bb.163:                              ;   in Loop: Header=BB1659_162 Depth=1
	s_mov_b64 s[22:23], s[8:9]
                                        ; implicit-def: $vgpr59_vgpr60
                                        ; implicit-def: $vgpr61_vgpr62
	s_branch .LBB1659_161
.LBB1659_164:
	s_set_inst_prefetch_distance 0x2
	s_or_b32 exec_lo, exec_lo, s3
	v_cmp_gt_i64_e32 vcc_lo, s[8:9], v[63:64]
	s_mov_b32 s0, 0
	s_delay_alu instid0(SALU_CYCLE_1)
	v_mov_b32_e32 v132, s0
	v_cndmask_b32_e64 v131, 0, 1, vcc_lo
.LBB1659_165:
	s_or_b32 exec_lo, exec_lo, s1
.LBB1659_166:
	v_mul_lo_u32 v61, v42, s8
	v_mul_lo_u32 v62, v41, s9
	v_mad_u64_u32 v[59:60], null, v41, s8, 0
	v_mov_b32_e32 v135, 0
	v_mov_b32_e32 v136, 0
	v_cmp_ne_u32_e32 vcc_lo, 1, v65
	s_delay_alu instid0(VALU_DEP_2) | instskip(SKIP_1) | instid1(VALU_DEP_1)
	v_dual_mov_b32 v133, v135 :: v_dual_mov_b32 v134, v136
	v_add3_u32 v60, v60, v62, v61
	v_lshlrev_b64 v[59:60], 3, v[59:60]
	s_cbranch_vccnz .LBB1659_175
; %bb.167:
	v_add_co_u32 v61, vcc_lo, s10, v57
	v_add_co_ci_u32_e32 v62, vcc_lo, s11, v58, vcc_lo
	s_delay_alu instid0(VALU_DEP_3) | instskip(NEXT) | instid1(VALU_DEP_4)
	v_add_co_u32 v57, vcc_lo, s10, v59
	v_add_co_ci_u32_e32 v58, vcc_lo, s11, v60, vcc_lo
	v_mov_b32_e32 v133, 1
	s_clause 0x1
	global_load_b64 v[63:64], v[61:62], off
	global_load_b64 v[66:67], v[57:58], off
	v_mov_b32_e32 v134, 0
	s_mov_b32 s1, exec_lo
	s_waitcnt vmcnt(0)
	v_cmpx_eq_u64_e64 v[63:64], v[66:67]
	s_cbranch_execz .LBB1659_174
; %bb.168:
	v_add_co_u32 v57, vcc_lo, v57, 8
	v_add_co_ci_u32_e32 v58, vcc_lo, 0, v58, vcc_lo
	v_add_co_u32 v61, vcc_lo, v61, 8
	v_add_co_ci_u32_e32 v62, vcc_lo, 0, v62, vcc_lo
	s_add_u32 s14, s8, -1
	s_addc_u32 s15, s9, -1
	s_mov_b64 s[22:23], 0
	s_mov_b32 s3, 0
                                        ; implicit-def: $sgpr21
	s_set_inst_prefetch_distance 0x1
	s_branch .LBB1659_171
	.p2align	6
.LBB1659_169:                           ;   in Loop: Header=BB1659_171 Depth=1
	global_load_b64 v[63:64], v[61:62], off
	global_load_b64 v[66:67], v[57:58], off
	v_add_co_u32 v57, vcc_lo, v57, 8
	v_add_co_ci_u32_e32 v58, vcc_lo, 0, v58, vcc_lo
	v_add_co_u32 v61, s0, v61, 8
	s_delay_alu instid0(VALU_DEP_1)
	v_add_co_ci_u32_e64 v62, s0, 0, v62, s0
	s_add_u32 s22, s22, 1
	s_addc_u32 s23, s23, 0
	s_and_not1_b32 s0, s21, exec_lo
	s_waitcnt vmcnt(0)
	v_cmp_ne_u64_e32 vcc_lo, v[63:64], v[66:67]
	s_and_b32 s21, vcc_lo, exec_lo
	s_delay_alu instid0(SALU_CYCLE_1)
	s_or_b32 s21, s0, s21
.LBB1659_170:                           ;   in Loop: Header=BB1659_171 Depth=1
	v_dual_mov_b32 v64, s23 :: v_dual_mov_b32 v63, s22
	s_and_b32 s0, exec_lo, s21
	s_delay_alu instid0(SALU_CYCLE_1) | instskip(NEXT) | instid1(SALU_CYCLE_1)
	s_or_b32 s3, s0, s3
	s_and_not1_b32 exec_lo, exec_lo, s3
	s_cbranch_execz .LBB1659_173
.LBB1659_171:                           ; =>This Inner Loop Header: Depth=1
	s_or_b32 s21, s21, exec_lo
	s_cmp_eq_u64 s[14:15], s[22:23]
	s_cbranch_scc0 .LBB1659_169
; %bb.172:                              ;   in Loop: Header=BB1659_171 Depth=1
	s_mov_b64 s[22:23], s[8:9]
                                        ; implicit-def: $vgpr57_vgpr58
                                        ; implicit-def: $vgpr61_vgpr62
	s_branch .LBB1659_170
.LBB1659_173:
	s_set_inst_prefetch_distance 0x2
	s_or_b32 exec_lo, exec_lo, s3
	v_cmp_gt_i64_e32 vcc_lo, s[8:9], v[63:64]
	s_mov_b32 s0, 0
	s_delay_alu instid0(SALU_CYCLE_1)
	v_mov_b32_e32 v134, s0
	v_cndmask_b32_e64 v133, 0, 1, vcc_lo
.LBB1659_174:
	s_or_b32 exec_lo, exec_lo, s1
.LBB1659_175:
	v_mul_lo_u32 v61, v40, s8
	v_mul_lo_u32 v62, v39, s9
	v_mad_u64_u32 v[57:58], null, v39, s8, 0
	v_cmp_ne_u32_e32 vcc_lo, 1, v65
	s_delay_alu instid0(VALU_DEP_2) | instskip(NEXT) | instid1(VALU_DEP_1)
	v_add3_u32 v58, v58, v62, v61
	v_lshlrev_b64 v[57:58], 3, v[57:58]
	s_cbranch_vccnz .LBB1659_184
; %bb.176:
	v_add_co_u32 v61, vcc_lo, s10, v59
	v_add_co_ci_u32_e32 v62, vcc_lo, s11, v60, vcc_lo
	s_delay_alu instid0(VALU_DEP_3) | instskip(NEXT) | instid1(VALU_DEP_4)
	v_add_co_u32 v59, vcc_lo, s10, v57
	v_add_co_ci_u32_e32 v60, vcc_lo, s11, v58, vcc_lo
	v_mov_b32_e32 v135, 1
	s_clause 0x1
	global_load_b64 v[63:64], v[61:62], off
	global_load_b64 v[66:67], v[59:60], off
	v_mov_b32_e32 v136, 0
	s_mov_b32 s1, exec_lo
	s_waitcnt vmcnt(0)
	v_cmpx_eq_u64_e64 v[63:64], v[66:67]
	s_cbranch_execz .LBB1659_183
; %bb.177:
	v_add_co_u32 v59, vcc_lo, v59, 8
	v_add_co_ci_u32_e32 v60, vcc_lo, 0, v60, vcc_lo
	v_add_co_u32 v61, vcc_lo, v61, 8
	v_add_co_ci_u32_e32 v62, vcc_lo, 0, v62, vcc_lo
	s_add_u32 s14, s8, -1
	s_addc_u32 s15, s9, -1
	s_mov_b64 s[22:23], 0
	s_mov_b32 s3, 0
                                        ; implicit-def: $sgpr21
	s_set_inst_prefetch_distance 0x1
	s_branch .LBB1659_180
	.p2align	6
.LBB1659_178:                           ;   in Loop: Header=BB1659_180 Depth=1
	global_load_b64 v[63:64], v[61:62], off
	global_load_b64 v[66:67], v[59:60], off
	v_add_co_u32 v59, vcc_lo, v59, 8
	v_add_co_ci_u32_e32 v60, vcc_lo, 0, v60, vcc_lo
	v_add_co_u32 v61, s0, v61, 8
	s_delay_alu instid0(VALU_DEP_1)
	v_add_co_ci_u32_e64 v62, s0, 0, v62, s0
	s_add_u32 s22, s22, 1
	s_addc_u32 s23, s23, 0
	s_and_not1_b32 s0, s21, exec_lo
	s_waitcnt vmcnt(0)
	v_cmp_ne_u64_e32 vcc_lo, v[63:64], v[66:67]
	s_and_b32 s21, vcc_lo, exec_lo
	s_delay_alu instid0(SALU_CYCLE_1)
	s_or_b32 s21, s0, s21
.LBB1659_179:                           ;   in Loop: Header=BB1659_180 Depth=1
	v_dual_mov_b32 v64, s23 :: v_dual_mov_b32 v63, s22
	s_and_b32 s0, exec_lo, s21
	s_delay_alu instid0(SALU_CYCLE_1) | instskip(NEXT) | instid1(SALU_CYCLE_1)
	s_or_b32 s3, s0, s3
	s_and_not1_b32 exec_lo, exec_lo, s3
	s_cbranch_execz .LBB1659_182
.LBB1659_180:                           ; =>This Inner Loop Header: Depth=1
	s_or_b32 s21, s21, exec_lo
	s_cmp_eq_u64 s[14:15], s[22:23]
	s_cbranch_scc0 .LBB1659_178
; %bb.181:                              ;   in Loop: Header=BB1659_180 Depth=1
	s_mov_b64 s[22:23], s[8:9]
                                        ; implicit-def: $vgpr59_vgpr60
                                        ; implicit-def: $vgpr61_vgpr62
	s_branch .LBB1659_179
.LBB1659_182:
	s_set_inst_prefetch_distance 0x2
	s_or_b32 exec_lo, exec_lo, s3
	v_cmp_gt_i64_e32 vcc_lo, s[8:9], v[63:64]
	s_mov_b32 s0, 0
	s_delay_alu instid0(SALU_CYCLE_1)
	v_mov_b32_e32 v136, s0
	v_cndmask_b32_e64 v135, 0, 1, vcc_lo
.LBB1659_183:
	s_or_b32 exec_lo, exec_lo, s1
.LBB1659_184:
	v_mul_lo_u32 v61, v38, s8
	v_mul_lo_u32 v62, v37, s9
	v_mad_u64_u32 v[59:60], null, v37, s8, 0
	v_mov_b32_e32 v139, 0
	v_mov_b32_e32 v140, 0
	v_cmp_ne_u32_e32 vcc_lo, 1, v65
	s_delay_alu instid0(VALU_DEP_2) | instskip(SKIP_1) | instid1(VALU_DEP_1)
	v_dual_mov_b32 v137, v139 :: v_dual_mov_b32 v138, v140
	v_add3_u32 v60, v60, v62, v61
	v_lshlrev_b64 v[59:60], 3, v[59:60]
	s_cbranch_vccnz .LBB1659_193
; %bb.185:
	v_add_co_u32 v61, vcc_lo, s10, v57
	v_add_co_ci_u32_e32 v62, vcc_lo, s11, v58, vcc_lo
	s_delay_alu instid0(VALU_DEP_3) | instskip(NEXT) | instid1(VALU_DEP_4)
	v_add_co_u32 v57, vcc_lo, s10, v59
	v_add_co_ci_u32_e32 v58, vcc_lo, s11, v60, vcc_lo
	v_mov_b32_e32 v137, 1
	s_clause 0x1
	global_load_b64 v[63:64], v[61:62], off
	global_load_b64 v[66:67], v[57:58], off
	v_mov_b32_e32 v138, 0
	s_mov_b32 s1, exec_lo
	s_waitcnt vmcnt(0)
	v_cmpx_eq_u64_e64 v[63:64], v[66:67]
	s_cbranch_execz .LBB1659_192
; %bb.186:
	v_add_co_u32 v57, vcc_lo, v57, 8
	v_add_co_ci_u32_e32 v58, vcc_lo, 0, v58, vcc_lo
	v_add_co_u32 v61, vcc_lo, v61, 8
	v_add_co_ci_u32_e32 v62, vcc_lo, 0, v62, vcc_lo
	s_add_u32 s14, s8, -1
	s_addc_u32 s15, s9, -1
	s_mov_b64 s[22:23], 0
	s_mov_b32 s3, 0
                                        ; implicit-def: $sgpr21
	s_set_inst_prefetch_distance 0x1
	s_branch .LBB1659_189
	.p2align	6
.LBB1659_187:                           ;   in Loop: Header=BB1659_189 Depth=1
	global_load_b64 v[63:64], v[61:62], off
	global_load_b64 v[66:67], v[57:58], off
	v_add_co_u32 v57, vcc_lo, v57, 8
	v_add_co_ci_u32_e32 v58, vcc_lo, 0, v58, vcc_lo
	v_add_co_u32 v61, s0, v61, 8
	s_delay_alu instid0(VALU_DEP_1)
	v_add_co_ci_u32_e64 v62, s0, 0, v62, s0
	s_add_u32 s22, s22, 1
	s_addc_u32 s23, s23, 0
	s_and_not1_b32 s0, s21, exec_lo
	s_waitcnt vmcnt(0)
	v_cmp_ne_u64_e32 vcc_lo, v[63:64], v[66:67]
	s_and_b32 s21, vcc_lo, exec_lo
	s_delay_alu instid0(SALU_CYCLE_1)
	s_or_b32 s21, s0, s21
.LBB1659_188:                           ;   in Loop: Header=BB1659_189 Depth=1
	v_dual_mov_b32 v64, s23 :: v_dual_mov_b32 v63, s22
	s_and_b32 s0, exec_lo, s21
	s_delay_alu instid0(SALU_CYCLE_1) | instskip(NEXT) | instid1(SALU_CYCLE_1)
	s_or_b32 s3, s0, s3
	s_and_not1_b32 exec_lo, exec_lo, s3
	s_cbranch_execz .LBB1659_191
.LBB1659_189:                           ; =>This Inner Loop Header: Depth=1
	s_or_b32 s21, s21, exec_lo
	s_cmp_eq_u64 s[14:15], s[22:23]
	s_cbranch_scc0 .LBB1659_187
; %bb.190:                              ;   in Loop: Header=BB1659_189 Depth=1
	s_mov_b64 s[22:23], s[8:9]
                                        ; implicit-def: $vgpr57_vgpr58
                                        ; implicit-def: $vgpr61_vgpr62
	s_branch .LBB1659_188
.LBB1659_191:
	s_set_inst_prefetch_distance 0x2
	s_or_b32 exec_lo, exec_lo, s3
	v_cmp_gt_i64_e32 vcc_lo, s[8:9], v[63:64]
	s_mov_b32 s0, 0
	s_delay_alu instid0(SALU_CYCLE_1)
	v_mov_b32_e32 v138, s0
	v_cndmask_b32_e64 v137, 0, 1, vcc_lo
.LBB1659_192:
	s_or_b32 exec_lo, exec_lo, s1
.LBB1659_193:
	v_mul_lo_u32 v61, v36, s8
	v_mul_lo_u32 v62, v35, s9
	v_mad_u64_u32 v[57:58], null, v35, s8, 0
	v_cmp_ne_u32_e32 vcc_lo, 1, v65
	s_delay_alu instid0(VALU_DEP_2) | instskip(NEXT) | instid1(VALU_DEP_1)
	v_add3_u32 v58, v58, v62, v61
	v_lshlrev_b64 v[57:58], 3, v[57:58]
	s_cbranch_vccnz .LBB1659_202
; %bb.194:
	v_add_co_u32 v61, vcc_lo, s10, v59
	v_add_co_ci_u32_e32 v62, vcc_lo, s11, v60, vcc_lo
	s_delay_alu instid0(VALU_DEP_3) | instskip(NEXT) | instid1(VALU_DEP_4)
	v_add_co_u32 v59, vcc_lo, s10, v57
	v_add_co_ci_u32_e32 v60, vcc_lo, s11, v58, vcc_lo
	v_mov_b32_e32 v139, 1
	s_clause 0x1
	global_load_b64 v[63:64], v[61:62], off
	global_load_b64 v[66:67], v[59:60], off
	v_mov_b32_e32 v140, 0
	s_mov_b32 s1, exec_lo
	s_waitcnt vmcnt(0)
	v_cmpx_eq_u64_e64 v[63:64], v[66:67]
	s_cbranch_execz .LBB1659_201
; %bb.195:
	v_add_co_u32 v59, vcc_lo, v59, 8
	v_add_co_ci_u32_e32 v60, vcc_lo, 0, v60, vcc_lo
	v_add_co_u32 v61, vcc_lo, v61, 8
	v_add_co_ci_u32_e32 v62, vcc_lo, 0, v62, vcc_lo
	s_add_u32 s14, s8, -1
	s_addc_u32 s15, s9, -1
	s_mov_b64 s[22:23], 0
	s_mov_b32 s3, 0
                                        ; implicit-def: $sgpr21
	s_set_inst_prefetch_distance 0x1
	s_branch .LBB1659_198
	.p2align	6
.LBB1659_196:                           ;   in Loop: Header=BB1659_198 Depth=1
	global_load_b64 v[63:64], v[61:62], off
	global_load_b64 v[66:67], v[59:60], off
	v_add_co_u32 v59, vcc_lo, v59, 8
	v_add_co_ci_u32_e32 v60, vcc_lo, 0, v60, vcc_lo
	v_add_co_u32 v61, s0, v61, 8
	s_delay_alu instid0(VALU_DEP_1)
	v_add_co_ci_u32_e64 v62, s0, 0, v62, s0
	s_add_u32 s22, s22, 1
	s_addc_u32 s23, s23, 0
	s_and_not1_b32 s0, s21, exec_lo
	s_waitcnt vmcnt(0)
	v_cmp_ne_u64_e32 vcc_lo, v[63:64], v[66:67]
	s_and_b32 s21, vcc_lo, exec_lo
	s_delay_alu instid0(SALU_CYCLE_1)
	s_or_b32 s21, s0, s21
.LBB1659_197:                           ;   in Loop: Header=BB1659_198 Depth=1
	v_dual_mov_b32 v64, s23 :: v_dual_mov_b32 v63, s22
	s_and_b32 s0, exec_lo, s21
	s_delay_alu instid0(SALU_CYCLE_1) | instskip(NEXT) | instid1(SALU_CYCLE_1)
	s_or_b32 s3, s0, s3
	s_and_not1_b32 exec_lo, exec_lo, s3
	s_cbranch_execz .LBB1659_200
.LBB1659_198:                           ; =>This Inner Loop Header: Depth=1
	s_or_b32 s21, s21, exec_lo
	s_cmp_eq_u64 s[14:15], s[22:23]
	s_cbranch_scc0 .LBB1659_196
; %bb.199:                              ;   in Loop: Header=BB1659_198 Depth=1
	s_mov_b64 s[22:23], s[8:9]
                                        ; implicit-def: $vgpr59_vgpr60
                                        ; implicit-def: $vgpr61_vgpr62
	s_branch .LBB1659_197
.LBB1659_200:
	s_set_inst_prefetch_distance 0x2
	s_or_b32 exec_lo, exec_lo, s3
	v_cmp_gt_i64_e32 vcc_lo, s[8:9], v[63:64]
	s_mov_b32 s0, 0
	s_delay_alu instid0(SALU_CYCLE_1)
	v_mov_b32_e32 v140, s0
	v_cndmask_b32_e64 v139, 0, 1, vcc_lo
.LBB1659_201:
	s_or_b32 exec_lo, exec_lo, s1
.LBB1659_202:
	v_mul_lo_u32 v61, v34, s8
	v_mul_lo_u32 v62, v33, s9
	v_mad_u64_u32 v[59:60], null, v33, s8, 0
	v_mov_b32_e32 v143, 0
	v_mov_b32_e32 v144, 0
	v_cmp_ne_u32_e32 vcc_lo, 1, v65
	s_delay_alu instid0(VALU_DEP_2) | instskip(SKIP_1) | instid1(VALU_DEP_1)
	v_dual_mov_b32 v141, v143 :: v_dual_mov_b32 v142, v144
	v_add3_u32 v60, v60, v62, v61
	v_lshlrev_b64 v[59:60], 3, v[59:60]
	s_cbranch_vccnz .LBB1659_211
; %bb.203:
	v_add_co_u32 v61, vcc_lo, s10, v57
	v_add_co_ci_u32_e32 v62, vcc_lo, s11, v58, vcc_lo
	s_delay_alu instid0(VALU_DEP_3) | instskip(NEXT) | instid1(VALU_DEP_4)
	v_add_co_u32 v57, vcc_lo, s10, v59
	v_add_co_ci_u32_e32 v58, vcc_lo, s11, v60, vcc_lo
	v_mov_b32_e32 v141, 1
	s_clause 0x1
	global_load_b64 v[63:64], v[61:62], off
	global_load_b64 v[66:67], v[57:58], off
	v_mov_b32_e32 v142, 0
	s_mov_b32 s1, exec_lo
	s_waitcnt vmcnt(0)
	v_cmpx_eq_u64_e64 v[63:64], v[66:67]
	s_cbranch_execz .LBB1659_210
; %bb.204:
	v_add_co_u32 v57, vcc_lo, v57, 8
	v_add_co_ci_u32_e32 v58, vcc_lo, 0, v58, vcc_lo
	v_add_co_u32 v61, vcc_lo, v61, 8
	v_add_co_ci_u32_e32 v62, vcc_lo, 0, v62, vcc_lo
	s_add_u32 s14, s8, -1
	s_addc_u32 s15, s9, -1
	s_mov_b64 s[22:23], 0
	s_mov_b32 s3, 0
                                        ; implicit-def: $sgpr21
	s_set_inst_prefetch_distance 0x1
	s_branch .LBB1659_207
	.p2align	6
.LBB1659_205:                           ;   in Loop: Header=BB1659_207 Depth=1
	global_load_b64 v[63:64], v[61:62], off
	global_load_b64 v[66:67], v[57:58], off
	v_add_co_u32 v57, vcc_lo, v57, 8
	v_add_co_ci_u32_e32 v58, vcc_lo, 0, v58, vcc_lo
	v_add_co_u32 v61, s0, v61, 8
	s_delay_alu instid0(VALU_DEP_1)
	v_add_co_ci_u32_e64 v62, s0, 0, v62, s0
	s_add_u32 s22, s22, 1
	s_addc_u32 s23, s23, 0
	s_and_not1_b32 s0, s21, exec_lo
	s_waitcnt vmcnt(0)
	v_cmp_ne_u64_e32 vcc_lo, v[63:64], v[66:67]
	s_and_b32 s21, vcc_lo, exec_lo
	s_delay_alu instid0(SALU_CYCLE_1)
	s_or_b32 s21, s0, s21
.LBB1659_206:                           ;   in Loop: Header=BB1659_207 Depth=1
	v_dual_mov_b32 v64, s23 :: v_dual_mov_b32 v63, s22
	s_and_b32 s0, exec_lo, s21
	s_delay_alu instid0(SALU_CYCLE_1) | instskip(NEXT) | instid1(SALU_CYCLE_1)
	s_or_b32 s3, s0, s3
	s_and_not1_b32 exec_lo, exec_lo, s3
	s_cbranch_execz .LBB1659_209
.LBB1659_207:                           ; =>This Inner Loop Header: Depth=1
	s_or_b32 s21, s21, exec_lo
	s_cmp_eq_u64 s[14:15], s[22:23]
	s_cbranch_scc0 .LBB1659_205
; %bb.208:                              ;   in Loop: Header=BB1659_207 Depth=1
	s_mov_b64 s[22:23], s[8:9]
                                        ; implicit-def: $vgpr57_vgpr58
                                        ; implicit-def: $vgpr61_vgpr62
	s_branch .LBB1659_206
.LBB1659_209:
	s_set_inst_prefetch_distance 0x2
	s_or_b32 exec_lo, exec_lo, s3
	v_cmp_gt_i64_e32 vcc_lo, s[8:9], v[63:64]
	s_mov_b32 s0, 0
	s_delay_alu instid0(SALU_CYCLE_1)
	v_mov_b32_e32 v142, s0
	v_cndmask_b32_e64 v141, 0, 1, vcc_lo
.LBB1659_210:
	s_or_b32 exec_lo, exec_lo, s1
.LBB1659_211:
	v_mul_lo_u32 v61, v32, s8
	v_mul_lo_u32 v62, v31, s9
	v_mad_u64_u32 v[57:58], null, v31, s8, 0
	v_cmp_ne_u32_e32 vcc_lo, 1, v65
	s_delay_alu instid0(VALU_DEP_2) | instskip(NEXT) | instid1(VALU_DEP_1)
	v_add3_u32 v58, v58, v62, v61
	v_lshlrev_b64 v[57:58], 3, v[57:58]
	s_cbranch_vccnz .LBB1659_220
; %bb.212:
	v_add_co_u32 v61, vcc_lo, s10, v59
	v_add_co_ci_u32_e32 v62, vcc_lo, s11, v60, vcc_lo
	s_delay_alu instid0(VALU_DEP_3) | instskip(NEXT) | instid1(VALU_DEP_4)
	v_add_co_u32 v59, vcc_lo, s10, v57
	v_add_co_ci_u32_e32 v60, vcc_lo, s11, v58, vcc_lo
	v_mov_b32_e32 v143, 1
	s_clause 0x1
	global_load_b64 v[63:64], v[61:62], off
	global_load_b64 v[66:67], v[59:60], off
	v_mov_b32_e32 v144, 0
	s_mov_b32 s1, exec_lo
	s_waitcnt vmcnt(0)
	v_cmpx_eq_u64_e64 v[63:64], v[66:67]
	s_cbranch_execz .LBB1659_219
; %bb.213:
	v_add_co_u32 v59, vcc_lo, v59, 8
	v_add_co_ci_u32_e32 v60, vcc_lo, 0, v60, vcc_lo
	v_add_co_u32 v61, vcc_lo, v61, 8
	v_add_co_ci_u32_e32 v62, vcc_lo, 0, v62, vcc_lo
	s_add_u32 s14, s8, -1
	s_addc_u32 s15, s9, -1
	s_mov_b64 s[22:23], 0
	s_mov_b32 s3, 0
                                        ; implicit-def: $sgpr21
	s_set_inst_prefetch_distance 0x1
	s_branch .LBB1659_216
	.p2align	6
.LBB1659_214:                           ;   in Loop: Header=BB1659_216 Depth=1
	global_load_b64 v[63:64], v[61:62], off
	global_load_b64 v[66:67], v[59:60], off
	v_add_co_u32 v59, vcc_lo, v59, 8
	v_add_co_ci_u32_e32 v60, vcc_lo, 0, v60, vcc_lo
	v_add_co_u32 v61, s0, v61, 8
	s_delay_alu instid0(VALU_DEP_1)
	v_add_co_ci_u32_e64 v62, s0, 0, v62, s0
	s_add_u32 s22, s22, 1
	s_addc_u32 s23, s23, 0
	s_and_not1_b32 s0, s21, exec_lo
	s_waitcnt vmcnt(0)
	v_cmp_ne_u64_e32 vcc_lo, v[63:64], v[66:67]
	s_and_b32 s21, vcc_lo, exec_lo
	s_delay_alu instid0(SALU_CYCLE_1)
	s_or_b32 s21, s0, s21
.LBB1659_215:                           ;   in Loop: Header=BB1659_216 Depth=1
	v_dual_mov_b32 v64, s23 :: v_dual_mov_b32 v63, s22
	s_and_b32 s0, exec_lo, s21
	s_delay_alu instid0(SALU_CYCLE_1) | instskip(NEXT) | instid1(SALU_CYCLE_1)
	s_or_b32 s3, s0, s3
	s_and_not1_b32 exec_lo, exec_lo, s3
	s_cbranch_execz .LBB1659_218
.LBB1659_216:                           ; =>This Inner Loop Header: Depth=1
	s_or_b32 s21, s21, exec_lo
	s_cmp_eq_u64 s[14:15], s[22:23]
	s_cbranch_scc0 .LBB1659_214
; %bb.217:                              ;   in Loop: Header=BB1659_216 Depth=1
	s_mov_b64 s[22:23], s[8:9]
                                        ; implicit-def: $vgpr59_vgpr60
                                        ; implicit-def: $vgpr61_vgpr62
	s_branch .LBB1659_215
.LBB1659_218:
	s_set_inst_prefetch_distance 0x2
	s_or_b32 exec_lo, exec_lo, s3
	v_cmp_gt_i64_e32 vcc_lo, s[8:9], v[63:64]
	s_mov_b32 s0, 0
	s_delay_alu instid0(SALU_CYCLE_1)
	v_mov_b32_e32 v144, s0
	v_cndmask_b32_e64 v143, 0, 1, vcc_lo
.LBB1659_219:
	s_or_b32 exec_lo, exec_lo, s1
.LBB1659_220:
	v_mul_lo_u32 v61, v30, s8
	v_mul_lo_u32 v62, v29, s9
	v_mad_u64_u32 v[59:60], null, v29, s8, 0
	v_mov_b32_e32 v147, 0
	v_mov_b32_e32 v148, 0
	v_cmp_ne_u32_e32 vcc_lo, 1, v65
	s_delay_alu instid0(VALU_DEP_2) | instskip(SKIP_1) | instid1(VALU_DEP_1)
	v_dual_mov_b32 v145, v147 :: v_dual_mov_b32 v146, v148
	v_add3_u32 v60, v60, v62, v61
	v_lshlrev_b64 v[59:60], 3, v[59:60]
	s_cbranch_vccnz .LBB1659_229
; %bb.221:
	v_add_co_u32 v61, vcc_lo, s10, v57
	v_add_co_ci_u32_e32 v62, vcc_lo, s11, v58, vcc_lo
	s_delay_alu instid0(VALU_DEP_3) | instskip(NEXT) | instid1(VALU_DEP_4)
	v_add_co_u32 v57, vcc_lo, s10, v59
	v_add_co_ci_u32_e32 v58, vcc_lo, s11, v60, vcc_lo
	v_mov_b32_e32 v145, 1
	s_clause 0x1
	global_load_b64 v[63:64], v[61:62], off
	global_load_b64 v[66:67], v[57:58], off
	v_mov_b32_e32 v146, 0
	s_mov_b32 s1, exec_lo
	s_waitcnt vmcnt(0)
	v_cmpx_eq_u64_e64 v[63:64], v[66:67]
	s_cbranch_execz .LBB1659_228
; %bb.222:
	v_add_co_u32 v57, vcc_lo, v57, 8
	v_add_co_ci_u32_e32 v58, vcc_lo, 0, v58, vcc_lo
	v_add_co_u32 v61, vcc_lo, v61, 8
	v_add_co_ci_u32_e32 v62, vcc_lo, 0, v62, vcc_lo
	s_add_u32 s14, s8, -1
	s_addc_u32 s15, s9, -1
	s_mov_b64 s[22:23], 0
	s_mov_b32 s3, 0
                                        ; implicit-def: $sgpr21
	s_set_inst_prefetch_distance 0x1
	s_branch .LBB1659_225
	.p2align	6
.LBB1659_223:                           ;   in Loop: Header=BB1659_225 Depth=1
	global_load_b64 v[63:64], v[61:62], off
	global_load_b64 v[66:67], v[57:58], off
	v_add_co_u32 v57, vcc_lo, v57, 8
	v_add_co_ci_u32_e32 v58, vcc_lo, 0, v58, vcc_lo
	v_add_co_u32 v61, s0, v61, 8
	s_delay_alu instid0(VALU_DEP_1)
	v_add_co_ci_u32_e64 v62, s0, 0, v62, s0
	s_add_u32 s22, s22, 1
	s_addc_u32 s23, s23, 0
	s_and_not1_b32 s0, s21, exec_lo
	s_waitcnt vmcnt(0)
	v_cmp_ne_u64_e32 vcc_lo, v[63:64], v[66:67]
	s_and_b32 s21, vcc_lo, exec_lo
	s_delay_alu instid0(SALU_CYCLE_1)
	s_or_b32 s21, s0, s21
.LBB1659_224:                           ;   in Loop: Header=BB1659_225 Depth=1
	v_dual_mov_b32 v64, s23 :: v_dual_mov_b32 v63, s22
	s_and_b32 s0, exec_lo, s21
	s_delay_alu instid0(SALU_CYCLE_1) | instskip(NEXT) | instid1(SALU_CYCLE_1)
	s_or_b32 s3, s0, s3
	s_and_not1_b32 exec_lo, exec_lo, s3
	s_cbranch_execz .LBB1659_227
.LBB1659_225:                           ; =>This Inner Loop Header: Depth=1
	s_or_b32 s21, s21, exec_lo
	s_cmp_eq_u64 s[14:15], s[22:23]
	s_cbranch_scc0 .LBB1659_223
; %bb.226:                              ;   in Loop: Header=BB1659_225 Depth=1
	s_mov_b64 s[22:23], s[8:9]
                                        ; implicit-def: $vgpr57_vgpr58
                                        ; implicit-def: $vgpr61_vgpr62
	s_branch .LBB1659_224
.LBB1659_227:
	s_set_inst_prefetch_distance 0x2
	s_or_b32 exec_lo, exec_lo, s3
	v_cmp_gt_i64_e32 vcc_lo, s[8:9], v[63:64]
	s_mov_b32 s0, 0
	s_delay_alu instid0(SALU_CYCLE_1)
	v_mov_b32_e32 v146, s0
	v_cndmask_b32_e64 v145, 0, 1, vcc_lo
.LBB1659_228:
	s_or_b32 exec_lo, exec_lo, s1
.LBB1659_229:
	v_mul_lo_u32 v61, v28, s8
	v_mul_lo_u32 v62, v27, s9
	v_mad_u64_u32 v[57:58], null, v27, s8, 0
	v_cmp_ne_u32_e32 vcc_lo, 1, v65
	s_delay_alu instid0(VALU_DEP_2) | instskip(NEXT) | instid1(VALU_DEP_1)
	v_add3_u32 v58, v58, v62, v61
	v_lshlrev_b64 v[57:58], 3, v[57:58]
	s_cbranch_vccnz .LBB1659_238
; %bb.230:
	v_add_co_u32 v61, vcc_lo, s10, v59
	v_add_co_ci_u32_e32 v62, vcc_lo, s11, v60, vcc_lo
	s_delay_alu instid0(VALU_DEP_3) | instskip(NEXT) | instid1(VALU_DEP_4)
	v_add_co_u32 v59, vcc_lo, s10, v57
	v_add_co_ci_u32_e32 v60, vcc_lo, s11, v58, vcc_lo
	v_mov_b32_e32 v147, 1
	s_clause 0x1
	global_load_b64 v[63:64], v[61:62], off
	global_load_b64 v[66:67], v[59:60], off
	v_mov_b32_e32 v148, 0
	s_mov_b32 s1, exec_lo
	s_waitcnt vmcnt(0)
	v_cmpx_eq_u64_e64 v[63:64], v[66:67]
	s_cbranch_execz .LBB1659_237
; %bb.231:
	v_add_co_u32 v59, vcc_lo, v59, 8
	v_add_co_ci_u32_e32 v60, vcc_lo, 0, v60, vcc_lo
	v_add_co_u32 v61, vcc_lo, v61, 8
	v_add_co_ci_u32_e32 v62, vcc_lo, 0, v62, vcc_lo
	s_add_u32 s14, s8, -1
	s_addc_u32 s15, s9, -1
	s_mov_b64 s[22:23], 0
	s_mov_b32 s3, 0
                                        ; implicit-def: $sgpr21
	s_set_inst_prefetch_distance 0x1
	s_branch .LBB1659_234
	.p2align	6
.LBB1659_232:                           ;   in Loop: Header=BB1659_234 Depth=1
	global_load_b64 v[63:64], v[61:62], off
	global_load_b64 v[66:67], v[59:60], off
	v_add_co_u32 v59, vcc_lo, v59, 8
	v_add_co_ci_u32_e32 v60, vcc_lo, 0, v60, vcc_lo
	v_add_co_u32 v61, s0, v61, 8
	s_delay_alu instid0(VALU_DEP_1)
	v_add_co_ci_u32_e64 v62, s0, 0, v62, s0
	s_add_u32 s22, s22, 1
	s_addc_u32 s23, s23, 0
	s_and_not1_b32 s0, s21, exec_lo
	s_waitcnt vmcnt(0)
	v_cmp_ne_u64_e32 vcc_lo, v[63:64], v[66:67]
	s_and_b32 s21, vcc_lo, exec_lo
	s_delay_alu instid0(SALU_CYCLE_1)
	s_or_b32 s21, s0, s21
.LBB1659_233:                           ;   in Loop: Header=BB1659_234 Depth=1
	v_dual_mov_b32 v64, s23 :: v_dual_mov_b32 v63, s22
	s_and_b32 s0, exec_lo, s21
	s_delay_alu instid0(SALU_CYCLE_1) | instskip(NEXT) | instid1(SALU_CYCLE_1)
	s_or_b32 s3, s0, s3
	s_and_not1_b32 exec_lo, exec_lo, s3
	s_cbranch_execz .LBB1659_236
.LBB1659_234:                           ; =>This Inner Loop Header: Depth=1
	s_or_b32 s21, s21, exec_lo
	s_cmp_eq_u64 s[14:15], s[22:23]
	s_cbranch_scc0 .LBB1659_232
; %bb.235:                              ;   in Loop: Header=BB1659_234 Depth=1
	s_mov_b64 s[22:23], s[8:9]
                                        ; implicit-def: $vgpr59_vgpr60
                                        ; implicit-def: $vgpr61_vgpr62
	s_branch .LBB1659_233
.LBB1659_236:
	s_set_inst_prefetch_distance 0x2
	s_or_b32 exec_lo, exec_lo, s3
	v_cmp_gt_i64_e32 vcc_lo, s[8:9], v[63:64]
	s_mov_b32 s0, 0
	s_delay_alu instid0(SALU_CYCLE_1)
	v_mov_b32_e32 v148, s0
	v_cndmask_b32_e64 v147, 0, 1, vcc_lo
.LBB1659_237:
	s_or_b32 exec_lo, exec_lo, s1
.LBB1659_238:
	v_mul_lo_u32 v61, v26, s8
	v_mul_lo_u32 v62, v25, s9
	v_mad_u64_u32 v[59:60], null, v25, s8, 0
	v_mov_b32_e32 v151, 0
	v_mov_b32_e32 v152, 0
	v_cmp_ne_u32_e32 vcc_lo, 1, v65
	s_delay_alu instid0(VALU_DEP_2) | instskip(SKIP_1) | instid1(VALU_DEP_1)
	v_dual_mov_b32 v149, v151 :: v_dual_mov_b32 v150, v152
	v_add3_u32 v60, v60, v62, v61
	v_lshlrev_b64 v[59:60], 3, v[59:60]
	s_cbranch_vccnz .LBB1659_247
; %bb.239:
	v_add_co_u32 v61, vcc_lo, s10, v57
	v_add_co_ci_u32_e32 v62, vcc_lo, s11, v58, vcc_lo
	s_delay_alu instid0(VALU_DEP_3) | instskip(NEXT) | instid1(VALU_DEP_4)
	v_add_co_u32 v57, vcc_lo, s10, v59
	v_add_co_ci_u32_e32 v58, vcc_lo, s11, v60, vcc_lo
	v_mov_b32_e32 v149, 1
	s_clause 0x1
	global_load_b64 v[63:64], v[61:62], off
	global_load_b64 v[66:67], v[57:58], off
	v_mov_b32_e32 v150, 0
	s_mov_b32 s1, exec_lo
	s_waitcnt vmcnt(0)
	v_cmpx_eq_u64_e64 v[63:64], v[66:67]
	s_cbranch_execz .LBB1659_246
; %bb.240:
	v_add_co_u32 v57, vcc_lo, v57, 8
	v_add_co_ci_u32_e32 v58, vcc_lo, 0, v58, vcc_lo
	v_add_co_u32 v61, vcc_lo, v61, 8
	v_add_co_ci_u32_e32 v62, vcc_lo, 0, v62, vcc_lo
	s_add_u32 s14, s8, -1
	s_addc_u32 s15, s9, -1
	s_mov_b64 s[22:23], 0
	s_mov_b32 s3, 0
                                        ; implicit-def: $sgpr21
	s_set_inst_prefetch_distance 0x1
	s_branch .LBB1659_243
	.p2align	6
.LBB1659_241:                           ;   in Loop: Header=BB1659_243 Depth=1
	global_load_b64 v[63:64], v[61:62], off
	global_load_b64 v[66:67], v[57:58], off
	v_add_co_u32 v57, vcc_lo, v57, 8
	v_add_co_ci_u32_e32 v58, vcc_lo, 0, v58, vcc_lo
	v_add_co_u32 v61, s0, v61, 8
	s_delay_alu instid0(VALU_DEP_1)
	v_add_co_ci_u32_e64 v62, s0, 0, v62, s0
	s_add_u32 s22, s22, 1
	s_addc_u32 s23, s23, 0
	s_and_not1_b32 s0, s21, exec_lo
	s_waitcnt vmcnt(0)
	v_cmp_ne_u64_e32 vcc_lo, v[63:64], v[66:67]
	s_and_b32 s21, vcc_lo, exec_lo
	s_delay_alu instid0(SALU_CYCLE_1)
	s_or_b32 s21, s0, s21
.LBB1659_242:                           ;   in Loop: Header=BB1659_243 Depth=1
	v_dual_mov_b32 v64, s23 :: v_dual_mov_b32 v63, s22
	s_and_b32 s0, exec_lo, s21
	s_delay_alu instid0(SALU_CYCLE_1) | instskip(NEXT) | instid1(SALU_CYCLE_1)
	s_or_b32 s3, s0, s3
	s_and_not1_b32 exec_lo, exec_lo, s3
	s_cbranch_execz .LBB1659_245
.LBB1659_243:                           ; =>This Inner Loop Header: Depth=1
	s_or_b32 s21, s21, exec_lo
	s_cmp_eq_u64 s[14:15], s[22:23]
	s_cbranch_scc0 .LBB1659_241
; %bb.244:                              ;   in Loop: Header=BB1659_243 Depth=1
	s_mov_b64 s[22:23], s[8:9]
                                        ; implicit-def: $vgpr57_vgpr58
                                        ; implicit-def: $vgpr61_vgpr62
	s_branch .LBB1659_242
.LBB1659_245:
	s_set_inst_prefetch_distance 0x2
	s_or_b32 exec_lo, exec_lo, s3
	v_cmp_gt_i64_e32 vcc_lo, s[8:9], v[63:64]
	s_mov_b32 s0, 0
	s_delay_alu instid0(SALU_CYCLE_1)
	v_mov_b32_e32 v150, s0
	v_cndmask_b32_e64 v149, 0, 1, vcc_lo
.LBB1659_246:
	s_or_b32 exec_lo, exec_lo, s1
.LBB1659_247:
	v_mul_lo_u32 v61, v24, s8
	v_mul_lo_u32 v62, v23, s9
	v_mad_u64_u32 v[57:58], null, v23, s8, 0
	v_cmp_ne_u32_e32 vcc_lo, 1, v65
	s_delay_alu instid0(VALU_DEP_2) | instskip(NEXT) | instid1(VALU_DEP_1)
	v_add3_u32 v58, v58, v62, v61
	v_lshlrev_b64 v[57:58], 3, v[57:58]
	s_cbranch_vccnz .LBB1659_256
; %bb.248:
	v_add_co_u32 v61, vcc_lo, s10, v59
	v_add_co_ci_u32_e32 v62, vcc_lo, s11, v60, vcc_lo
	s_delay_alu instid0(VALU_DEP_3) | instskip(NEXT) | instid1(VALU_DEP_4)
	v_add_co_u32 v59, vcc_lo, s10, v57
	v_add_co_ci_u32_e32 v60, vcc_lo, s11, v58, vcc_lo
	v_mov_b32_e32 v151, 1
	s_clause 0x1
	global_load_b64 v[63:64], v[61:62], off
	global_load_b64 v[66:67], v[59:60], off
	v_mov_b32_e32 v152, 0
	s_mov_b32 s1, exec_lo
	s_waitcnt vmcnt(0)
	v_cmpx_eq_u64_e64 v[63:64], v[66:67]
	s_cbranch_execz .LBB1659_255
; %bb.249:
	v_add_co_u32 v59, vcc_lo, v59, 8
	v_add_co_ci_u32_e32 v60, vcc_lo, 0, v60, vcc_lo
	v_add_co_u32 v61, vcc_lo, v61, 8
	v_add_co_ci_u32_e32 v62, vcc_lo, 0, v62, vcc_lo
	s_add_u32 s14, s8, -1
	s_addc_u32 s15, s9, -1
	s_mov_b64 s[22:23], 0
	s_mov_b32 s3, 0
                                        ; implicit-def: $sgpr21
	s_set_inst_prefetch_distance 0x1
	s_branch .LBB1659_252
	.p2align	6
.LBB1659_250:                           ;   in Loop: Header=BB1659_252 Depth=1
	global_load_b64 v[63:64], v[61:62], off
	global_load_b64 v[66:67], v[59:60], off
	v_add_co_u32 v59, vcc_lo, v59, 8
	v_add_co_ci_u32_e32 v60, vcc_lo, 0, v60, vcc_lo
	v_add_co_u32 v61, s0, v61, 8
	s_delay_alu instid0(VALU_DEP_1)
	v_add_co_ci_u32_e64 v62, s0, 0, v62, s0
	s_add_u32 s22, s22, 1
	s_addc_u32 s23, s23, 0
	s_and_not1_b32 s0, s21, exec_lo
	s_waitcnt vmcnt(0)
	v_cmp_ne_u64_e32 vcc_lo, v[63:64], v[66:67]
	s_and_b32 s21, vcc_lo, exec_lo
	s_delay_alu instid0(SALU_CYCLE_1)
	s_or_b32 s21, s0, s21
.LBB1659_251:                           ;   in Loop: Header=BB1659_252 Depth=1
	v_dual_mov_b32 v64, s23 :: v_dual_mov_b32 v63, s22
	s_and_b32 s0, exec_lo, s21
	s_delay_alu instid0(SALU_CYCLE_1) | instskip(NEXT) | instid1(SALU_CYCLE_1)
	s_or_b32 s3, s0, s3
	s_and_not1_b32 exec_lo, exec_lo, s3
	s_cbranch_execz .LBB1659_254
.LBB1659_252:                           ; =>This Inner Loop Header: Depth=1
	s_or_b32 s21, s21, exec_lo
	s_cmp_eq_u64 s[14:15], s[22:23]
	s_cbranch_scc0 .LBB1659_250
; %bb.253:                              ;   in Loop: Header=BB1659_252 Depth=1
	s_mov_b64 s[22:23], s[8:9]
                                        ; implicit-def: $vgpr59_vgpr60
                                        ; implicit-def: $vgpr61_vgpr62
	s_branch .LBB1659_251
.LBB1659_254:
	s_set_inst_prefetch_distance 0x2
	s_or_b32 exec_lo, exec_lo, s3
	v_cmp_gt_i64_e32 vcc_lo, s[8:9], v[63:64]
	s_mov_b32 s0, 0
	s_delay_alu instid0(SALU_CYCLE_1)
	v_mov_b32_e32 v152, s0
	v_cndmask_b32_e64 v151, 0, 1, vcc_lo
.LBB1659_255:
	s_or_b32 exec_lo, exec_lo, s1
.LBB1659_256:
	v_mul_lo_u32 v61, v22, s8
	v_mul_lo_u32 v62, v21, s9
	v_mad_u64_u32 v[59:60], null, v21, s8, 0
	v_mov_b32_e32 v155, 0
	v_mov_b32_e32 v156, 0
	v_cmp_ne_u32_e32 vcc_lo, 1, v65
	s_delay_alu instid0(VALU_DEP_2) | instskip(SKIP_1) | instid1(VALU_DEP_1)
	v_dual_mov_b32 v153, v155 :: v_dual_mov_b32 v154, v156
	v_add3_u32 v60, v60, v62, v61
	v_lshlrev_b64 v[59:60], 3, v[59:60]
	s_cbranch_vccnz .LBB1659_265
; %bb.257:
	v_add_co_u32 v61, vcc_lo, s10, v57
	v_add_co_ci_u32_e32 v62, vcc_lo, s11, v58, vcc_lo
	s_delay_alu instid0(VALU_DEP_3) | instskip(NEXT) | instid1(VALU_DEP_4)
	v_add_co_u32 v57, vcc_lo, s10, v59
	v_add_co_ci_u32_e32 v58, vcc_lo, s11, v60, vcc_lo
	v_mov_b32_e32 v153, 1
	s_clause 0x1
	global_load_b64 v[63:64], v[61:62], off
	global_load_b64 v[66:67], v[57:58], off
	v_mov_b32_e32 v154, 0
	s_mov_b32 s1, exec_lo
	s_waitcnt vmcnt(0)
	v_cmpx_eq_u64_e64 v[63:64], v[66:67]
	s_cbranch_execz .LBB1659_264
; %bb.258:
	v_add_co_u32 v57, vcc_lo, v57, 8
	v_add_co_ci_u32_e32 v58, vcc_lo, 0, v58, vcc_lo
	v_add_co_u32 v61, vcc_lo, v61, 8
	v_add_co_ci_u32_e32 v62, vcc_lo, 0, v62, vcc_lo
	s_add_u32 s14, s8, -1
	s_addc_u32 s15, s9, -1
	s_mov_b64 s[22:23], 0
	s_mov_b32 s3, 0
                                        ; implicit-def: $sgpr21
	s_set_inst_prefetch_distance 0x1
	s_branch .LBB1659_261
	.p2align	6
.LBB1659_259:                           ;   in Loop: Header=BB1659_261 Depth=1
	global_load_b64 v[63:64], v[61:62], off
	global_load_b64 v[66:67], v[57:58], off
	v_add_co_u32 v57, vcc_lo, v57, 8
	v_add_co_ci_u32_e32 v58, vcc_lo, 0, v58, vcc_lo
	v_add_co_u32 v61, s0, v61, 8
	s_delay_alu instid0(VALU_DEP_1)
	v_add_co_ci_u32_e64 v62, s0, 0, v62, s0
	s_add_u32 s22, s22, 1
	s_addc_u32 s23, s23, 0
	s_and_not1_b32 s0, s21, exec_lo
	s_waitcnt vmcnt(0)
	v_cmp_ne_u64_e32 vcc_lo, v[63:64], v[66:67]
	s_and_b32 s21, vcc_lo, exec_lo
	s_delay_alu instid0(SALU_CYCLE_1)
	s_or_b32 s21, s0, s21
.LBB1659_260:                           ;   in Loop: Header=BB1659_261 Depth=1
	v_dual_mov_b32 v64, s23 :: v_dual_mov_b32 v63, s22
	s_and_b32 s0, exec_lo, s21
	s_delay_alu instid0(SALU_CYCLE_1) | instskip(NEXT) | instid1(SALU_CYCLE_1)
	s_or_b32 s3, s0, s3
	s_and_not1_b32 exec_lo, exec_lo, s3
	s_cbranch_execz .LBB1659_263
.LBB1659_261:                           ; =>This Inner Loop Header: Depth=1
	s_or_b32 s21, s21, exec_lo
	s_cmp_eq_u64 s[14:15], s[22:23]
	s_cbranch_scc0 .LBB1659_259
; %bb.262:                              ;   in Loop: Header=BB1659_261 Depth=1
	s_mov_b64 s[22:23], s[8:9]
                                        ; implicit-def: $vgpr57_vgpr58
                                        ; implicit-def: $vgpr61_vgpr62
	s_branch .LBB1659_260
.LBB1659_263:
	s_set_inst_prefetch_distance 0x2
	s_or_b32 exec_lo, exec_lo, s3
	v_cmp_gt_i64_e32 vcc_lo, s[8:9], v[63:64]
	s_mov_b32 s0, 0
	s_delay_alu instid0(SALU_CYCLE_1)
	v_mov_b32_e32 v154, s0
	v_cndmask_b32_e64 v153, 0, 1, vcc_lo
.LBB1659_264:
	s_or_b32 exec_lo, exec_lo, s1
.LBB1659_265:
	v_mul_lo_u32 v61, v20, s8
	v_mul_lo_u32 v62, v19, s9
	v_mad_u64_u32 v[57:58], null, v19, s8, 0
	v_cmp_ne_u32_e32 vcc_lo, 1, v65
	s_delay_alu instid0(VALU_DEP_2) | instskip(NEXT) | instid1(VALU_DEP_1)
	v_add3_u32 v58, v58, v62, v61
	v_lshlrev_b64 v[57:58], 3, v[57:58]
	s_cbranch_vccnz .LBB1659_274
; %bb.266:
	v_add_co_u32 v61, vcc_lo, s10, v59
	v_add_co_ci_u32_e32 v62, vcc_lo, s11, v60, vcc_lo
	s_delay_alu instid0(VALU_DEP_3) | instskip(NEXT) | instid1(VALU_DEP_4)
	v_add_co_u32 v59, vcc_lo, s10, v57
	v_add_co_ci_u32_e32 v60, vcc_lo, s11, v58, vcc_lo
	v_mov_b32_e32 v155, 1
	s_clause 0x1
	global_load_b64 v[63:64], v[61:62], off
	global_load_b64 v[66:67], v[59:60], off
	v_mov_b32_e32 v156, 0
	s_mov_b32 s1, exec_lo
	s_waitcnt vmcnt(0)
	v_cmpx_eq_u64_e64 v[63:64], v[66:67]
	s_cbranch_execz .LBB1659_273
; %bb.267:
	v_add_co_u32 v59, vcc_lo, v59, 8
	v_add_co_ci_u32_e32 v60, vcc_lo, 0, v60, vcc_lo
	v_add_co_u32 v61, vcc_lo, v61, 8
	v_add_co_ci_u32_e32 v62, vcc_lo, 0, v62, vcc_lo
	s_add_u32 s14, s8, -1
	s_addc_u32 s15, s9, -1
	s_mov_b64 s[22:23], 0
	s_mov_b32 s3, 0
                                        ; implicit-def: $sgpr21
	s_set_inst_prefetch_distance 0x1
	s_branch .LBB1659_270
	.p2align	6
.LBB1659_268:                           ;   in Loop: Header=BB1659_270 Depth=1
	global_load_b64 v[63:64], v[61:62], off
	global_load_b64 v[66:67], v[59:60], off
	v_add_co_u32 v59, vcc_lo, v59, 8
	v_add_co_ci_u32_e32 v60, vcc_lo, 0, v60, vcc_lo
	v_add_co_u32 v61, s0, v61, 8
	s_delay_alu instid0(VALU_DEP_1)
	v_add_co_ci_u32_e64 v62, s0, 0, v62, s0
	s_add_u32 s22, s22, 1
	s_addc_u32 s23, s23, 0
	s_and_not1_b32 s0, s21, exec_lo
	s_waitcnt vmcnt(0)
	v_cmp_ne_u64_e32 vcc_lo, v[63:64], v[66:67]
	s_and_b32 s21, vcc_lo, exec_lo
	s_delay_alu instid0(SALU_CYCLE_1)
	s_or_b32 s21, s0, s21
.LBB1659_269:                           ;   in Loop: Header=BB1659_270 Depth=1
	v_dual_mov_b32 v64, s23 :: v_dual_mov_b32 v63, s22
	s_and_b32 s0, exec_lo, s21
	s_delay_alu instid0(SALU_CYCLE_1) | instskip(NEXT) | instid1(SALU_CYCLE_1)
	s_or_b32 s3, s0, s3
	s_and_not1_b32 exec_lo, exec_lo, s3
	s_cbranch_execz .LBB1659_272
.LBB1659_270:                           ; =>This Inner Loop Header: Depth=1
	s_or_b32 s21, s21, exec_lo
	s_cmp_eq_u64 s[14:15], s[22:23]
	s_cbranch_scc0 .LBB1659_268
; %bb.271:                              ;   in Loop: Header=BB1659_270 Depth=1
	s_mov_b64 s[22:23], s[8:9]
                                        ; implicit-def: $vgpr59_vgpr60
                                        ; implicit-def: $vgpr61_vgpr62
	s_branch .LBB1659_269
.LBB1659_272:
	s_set_inst_prefetch_distance 0x2
	s_or_b32 exec_lo, exec_lo, s3
	v_cmp_gt_i64_e32 vcc_lo, s[8:9], v[63:64]
	s_mov_b32 s0, 0
	s_delay_alu instid0(SALU_CYCLE_1)
	v_mov_b32_e32 v156, s0
	v_cndmask_b32_e64 v155, 0, 1, vcc_lo
.LBB1659_273:
	s_or_b32 exec_lo, exec_lo, s1
.LBB1659_274:
	v_mul_lo_u32 v61, v18, s8
	v_mul_lo_u32 v62, v17, s9
	v_mad_u64_u32 v[59:60], null, v17, s8, 0
	v_mov_b32_e32 v159, 0
	v_mov_b32_e32 v160, 0
	v_cmp_ne_u32_e32 vcc_lo, 1, v65
	s_delay_alu instid0(VALU_DEP_2) | instskip(SKIP_1) | instid1(VALU_DEP_1)
	v_dual_mov_b32 v157, v159 :: v_dual_mov_b32 v158, v160
	v_add3_u32 v60, v60, v62, v61
	v_lshlrev_b64 v[59:60], 3, v[59:60]
	s_cbranch_vccnz .LBB1659_283
; %bb.275:
	v_add_co_u32 v61, vcc_lo, s10, v57
	v_add_co_ci_u32_e32 v62, vcc_lo, s11, v58, vcc_lo
	s_delay_alu instid0(VALU_DEP_3) | instskip(NEXT) | instid1(VALU_DEP_4)
	v_add_co_u32 v57, vcc_lo, s10, v59
	v_add_co_ci_u32_e32 v58, vcc_lo, s11, v60, vcc_lo
	v_mov_b32_e32 v157, 1
	s_clause 0x1
	global_load_b64 v[63:64], v[61:62], off
	global_load_b64 v[66:67], v[57:58], off
	v_mov_b32_e32 v158, 0
	s_mov_b32 s1, exec_lo
	s_waitcnt vmcnt(0)
	v_cmpx_eq_u64_e64 v[63:64], v[66:67]
	s_cbranch_execz .LBB1659_282
; %bb.276:
	v_add_co_u32 v57, vcc_lo, v57, 8
	v_add_co_ci_u32_e32 v58, vcc_lo, 0, v58, vcc_lo
	v_add_co_u32 v61, vcc_lo, v61, 8
	v_add_co_ci_u32_e32 v62, vcc_lo, 0, v62, vcc_lo
	s_add_u32 s14, s8, -1
	s_addc_u32 s15, s9, -1
	s_mov_b64 s[22:23], 0
	s_mov_b32 s3, 0
                                        ; implicit-def: $sgpr21
	s_set_inst_prefetch_distance 0x1
	s_branch .LBB1659_279
	.p2align	6
.LBB1659_277:                           ;   in Loop: Header=BB1659_279 Depth=1
	global_load_b64 v[63:64], v[61:62], off
	global_load_b64 v[66:67], v[57:58], off
	v_add_co_u32 v57, vcc_lo, v57, 8
	v_add_co_ci_u32_e32 v58, vcc_lo, 0, v58, vcc_lo
	v_add_co_u32 v61, s0, v61, 8
	s_delay_alu instid0(VALU_DEP_1)
	v_add_co_ci_u32_e64 v62, s0, 0, v62, s0
	s_add_u32 s22, s22, 1
	s_addc_u32 s23, s23, 0
	s_and_not1_b32 s0, s21, exec_lo
	s_waitcnt vmcnt(0)
	v_cmp_ne_u64_e32 vcc_lo, v[63:64], v[66:67]
	s_and_b32 s21, vcc_lo, exec_lo
	s_delay_alu instid0(SALU_CYCLE_1)
	s_or_b32 s21, s0, s21
.LBB1659_278:                           ;   in Loop: Header=BB1659_279 Depth=1
	v_dual_mov_b32 v64, s23 :: v_dual_mov_b32 v63, s22
	s_and_b32 s0, exec_lo, s21
	s_delay_alu instid0(SALU_CYCLE_1) | instskip(NEXT) | instid1(SALU_CYCLE_1)
	s_or_b32 s3, s0, s3
	s_and_not1_b32 exec_lo, exec_lo, s3
	s_cbranch_execz .LBB1659_281
.LBB1659_279:                           ; =>This Inner Loop Header: Depth=1
	s_or_b32 s21, s21, exec_lo
	s_cmp_eq_u64 s[14:15], s[22:23]
	s_cbranch_scc0 .LBB1659_277
; %bb.280:                              ;   in Loop: Header=BB1659_279 Depth=1
	s_mov_b64 s[22:23], s[8:9]
                                        ; implicit-def: $vgpr57_vgpr58
                                        ; implicit-def: $vgpr61_vgpr62
	s_branch .LBB1659_278
.LBB1659_281:
	s_set_inst_prefetch_distance 0x2
	s_or_b32 exec_lo, exec_lo, s3
	v_cmp_gt_i64_e32 vcc_lo, s[8:9], v[63:64]
	s_mov_b32 s0, 0
	s_delay_alu instid0(SALU_CYCLE_1)
	v_mov_b32_e32 v158, s0
	v_cndmask_b32_e64 v157, 0, 1, vcc_lo
.LBB1659_282:
	s_or_b32 exec_lo, exec_lo, s1
.LBB1659_283:
	v_mul_lo_u32 v61, v16, s8
	v_mul_lo_u32 v62, v15, s9
	v_mad_u64_u32 v[57:58], null, v15, s8, 0
	v_cmp_ne_u32_e32 vcc_lo, 1, v65
	s_delay_alu instid0(VALU_DEP_2) | instskip(NEXT) | instid1(VALU_DEP_1)
	v_add3_u32 v58, v58, v62, v61
	v_lshlrev_b64 v[57:58], 3, v[57:58]
	s_cbranch_vccnz .LBB1659_292
; %bb.284:
	v_add_co_u32 v61, vcc_lo, s10, v59
	v_add_co_ci_u32_e32 v62, vcc_lo, s11, v60, vcc_lo
	s_delay_alu instid0(VALU_DEP_3) | instskip(NEXT) | instid1(VALU_DEP_4)
	v_add_co_u32 v59, vcc_lo, s10, v57
	v_add_co_ci_u32_e32 v60, vcc_lo, s11, v58, vcc_lo
	v_mov_b32_e32 v159, 1
	s_clause 0x1
	global_load_b64 v[63:64], v[61:62], off
	global_load_b64 v[66:67], v[59:60], off
	v_mov_b32_e32 v160, 0
	s_mov_b32 s1, exec_lo
	s_waitcnt vmcnt(0)
	v_cmpx_eq_u64_e64 v[63:64], v[66:67]
	s_cbranch_execz .LBB1659_291
; %bb.285:
	v_add_co_u32 v59, vcc_lo, v59, 8
	v_add_co_ci_u32_e32 v60, vcc_lo, 0, v60, vcc_lo
	v_add_co_u32 v61, vcc_lo, v61, 8
	v_add_co_ci_u32_e32 v62, vcc_lo, 0, v62, vcc_lo
	s_add_u32 s14, s8, -1
	s_addc_u32 s15, s9, -1
	s_mov_b64 s[22:23], 0
	s_mov_b32 s3, 0
                                        ; implicit-def: $sgpr21
	s_set_inst_prefetch_distance 0x1
	s_branch .LBB1659_288
	.p2align	6
.LBB1659_286:                           ;   in Loop: Header=BB1659_288 Depth=1
	global_load_b64 v[63:64], v[61:62], off
	global_load_b64 v[66:67], v[59:60], off
	v_add_co_u32 v59, vcc_lo, v59, 8
	v_add_co_ci_u32_e32 v60, vcc_lo, 0, v60, vcc_lo
	v_add_co_u32 v61, s0, v61, 8
	s_delay_alu instid0(VALU_DEP_1)
	v_add_co_ci_u32_e64 v62, s0, 0, v62, s0
	s_add_u32 s22, s22, 1
	s_addc_u32 s23, s23, 0
	s_and_not1_b32 s0, s21, exec_lo
	s_waitcnt vmcnt(0)
	v_cmp_ne_u64_e32 vcc_lo, v[63:64], v[66:67]
	s_and_b32 s21, vcc_lo, exec_lo
	s_delay_alu instid0(SALU_CYCLE_1)
	s_or_b32 s21, s0, s21
.LBB1659_287:                           ;   in Loop: Header=BB1659_288 Depth=1
	v_dual_mov_b32 v64, s23 :: v_dual_mov_b32 v63, s22
	s_and_b32 s0, exec_lo, s21
	s_delay_alu instid0(SALU_CYCLE_1) | instskip(NEXT) | instid1(SALU_CYCLE_1)
	s_or_b32 s3, s0, s3
	s_and_not1_b32 exec_lo, exec_lo, s3
	s_cbranch_execz .LBB1659_290
.LBB1659_288:                           ; =>This Inner Loop Header: Depth=1
	s_or_b32 s21, s21, exec_lo
	s_cmp_eq_u64 s[14:15], s[22:23]
	s_cbranch_scc0 .LBB1659_286
; %bb.289:                              ;   in Loop: Header=BB1659_288 Depth=1
	s_mov_b64 s[22:23], s[8:9]
                                        ; implicit-def: $vgpr59_vgpr60
                                        ; implicit-def: $vgpr61_vgpr62
	s_branch .LBB1659_287
.LBB1659_290:
	s_set_inst_prefetch_distance 0x2
	s_or_b32 exec_lo, exec_lo, s3
	v_cmp_gt_i64_e32 vcc_lo, s[8:9], v[63:64]
	s_mov_b32 s0, 0
	s_delay_alu instid0(SALU_CYCLE_1)
	v_mov_b32_e32 v160, s0
	v_cndmask_b32_e64 v159, 0, 1, vcc_lo
.LBB1659_291:
	s_or_b32 exec_lo, exec_lo, s1
.LBB1659_292:
	v_mul_lo_u32 v61, v14, s8
	v_mul_lo_u32 v62, v13, s9
	v_mad_u64_u32 v[59:60], null, v13, s8, 0
	v_mov_b32_e32 v163, 0
	v_mov_b32_e32 v164, 0
	v_cmp_ne_u32_e32 vcc_lo, 1, v65
	s_delay_alu instid0(VALU_DEP_2) | instskip(SKIP_1) | instid1(VALU_DEP_1)
	v_dual_mov_b32 v161, v163 :: v_dual_mov_b32 v162, v164
	v_add3_u32 v60, v60, v62, v61
	v_lshlrev_b64 v[59:60], 3, v[59:60]
	s_cbranch_vccnz .LBB1659_301
; %bb.293:
	v_add_co_u32 v61, vcc_lo, s10, v57
	v_add_co_ci_u32_e32 v62, vcc_lo, s11, v58, vcc_lo
	s_delay_alu instid0(VALU_DEP_3) | instskip(NEXT) | instid1(VALU_DEP_4)
	v_add_co_u32 v57, vcc_lo, s10, v59
	v_add_co_ci_u32_e32 v58, vcc_lo, s11, v60, vcc_lo
	v_mov_b32_e32 v161, 1
	s_clause 0x1
	global_load_b64 v[63:64], v[61:62], off
	global_load_b64 v[66:67], v[57:58], off
	v_mov_b32_e32 v162, 0
	s_mov_b32 s1, exec_lo
	s_waitcnt vmcnt(0)
	v_cmpx_eq_u64_e64 v[63:64], v[66:67]
	s_cbranch_execz .LBB1659_300
; %bb.294:
	v_add_co_u32 v57, vcc_lo, v57, 8
	v_add_co_ci_u32_e32 v58, vcc_lo, 0, v58, vcc_lo
	v_add_co_u32 v61, vcc_lo, v61, 8
	v_add_co_ci_u32_e32 v62, vcc_lo, 0, v62, vcc_lo
	s_add_u32 s14, s8, -1
	s_addc_u32 s15, s9, -1
	s_mov_b64 s[22:23], 0
	s_mov_b32 s3, 0
                                        ; implicit-def: $sgpr21
	s_set_inst_prefetch_distance 0x1
	s_branch .LBB1659_297
	.p2align	6
.LBB1659_295:                           ;   in Loop: Header=BB1659_297 Depth=1
	global_load_b64 v[63:64], v[61:62], off
	global_load_b64 v[66:67], v[57:58], off
	v_add_co_u32 v57, vcc_lo, v57, 8
	v_add_co_ci_u32_e32 v58, vcc_lo, 0, v58, vcc_lo
	v_add_co_u32 v61, s0, v61, 8
	s_delay_alu instid0(VALU_DEP_1)
	v_add_co_ci_u32_e64 v62, s0, 0, v62, s0
	s_add_u32 s22, s22, 1
	s_addc_u32 s23, s23, 0
	s_and_not1_b32 s0, s21, exec_lo
	s_waitcnt vmcnt(0)
	v_cmp_ne_u64_e32 vcc_lo, v[63:64], v[66:67]
	s_and_b32 s21, vcc_lo, exec_lo
	s_delay_alu instid0(SALU_CYCLE_1)
	s_or_b32 s21, s0, s21
.LBB1659_296:                           ;   in Loop: Header=BB1659_297 Depth=1
	v_dual_mov_b32 v64, s23 :: v_dual_mov_b32 v63, s22
	s_and_b32 s0, exec_lo, s21
	s_delay_alu instid0(SALU_CYCLE_1) | instskip(NEXT) | instid1(SALU_CYCLE_1)
	s_or_b32 s3, s0, s3
	s_and_not1_b32 exec_lo, exec_lo, s3
	s_cbranch_execz .LBB1659_299
.LBB1659_297:                           ; =>This Inner Loop Header: Depth=1
	s_or_b32 s21, s21, exec_lo
	s_cmp_eq_u64 s[14:15], s[22:23]
	s_cbranch_scc0 .LBB1659_295
; %bb.298:                              ;   in Loop: Header=BB1659_297 Depth=1
	s_mov_b64 s[22:23], s[8:9]
                                        ; implicit-def: $vgpr57_vgpr58
                                        ; implicit-def: $vgpr61_vgpr62
	s_branch .LBB1659_296
.LBB1659_299:
	s_set_inst_prefetch_distance 0x2
	s_or_b32 exec_lo, exec_lo, s3
	v_cmp_gt_i64_e32 vcc_lo, s[8:9], v[63:64]
	s_mov_b32 s0, 0
	s_delay_alu instid0(SALU_CYCLE_1)
	v_mov_b32_e32 v162, s0
	v_cndmask_b32_e64 v161, 0, 1, vcc_lo
.LBB1659_300:
	s_or_b32 exec_lo, exec_lo, s1
.LBB1659_301:
	v_mul_lo_u32 v61, v4, s8
	v_mul_lo_u32 v62, v3, s9
	v_mad_u64_u32 v[57:58], null, v3, s8, 0
	v_cmp_ne_u32_e32 vcc_lo, 1, v65
	s_delay_alu instid0(VALU_DEP_2) | instskip(NEXT) | instid1(VALU_DEP_1)
	v_add3_u32 v58, v58, v62, v61
	v_lshlrev_b64 v[57:58], 3, v[57:58]
	s_cbranch_vccnz .LBB1659_310
; %bb.302:
	v_add_co_u32 v61, vcc_lo, s10, v59
	v_add_co_ci_u32_e32 v62, vcc_lo, s11, v60, vcc_lo
	s_delay_alu instid0(VALU_DEP_3) | instskip(NEXT) | instid1(VALU_DEP_4)
	v_add_co_u32 v59, vcc_lo, s10, v57
	v_add_co_ci_u32_e32 v60, vcc_lo, s11, v58, vcc_lo
	v_mov_b32_e32 v163, 1
	s_clause 0x1
	global_load_b64 v[63:64], v[61:62], off
	global_load_b64 v[66:67], v[59:60], off
	v_mov_b32_e32 v164, 0
	s_mov_b32 s1, exec_lo
	s_waitcnt vmcnt(0)
	v_cmpx_eq_u64_e64 v[63:64], v[66:67]
	s_cbranch_execz .LBB1659_309
; %bb.303:
	v_add_co_u32 v59, vcc_lo, v59, 8
	v_add_co_ci_u32_e32 v60, vcc_lo, 0, v60, vcc_lo
	v_add_co_u32 v61, vcc_lo, v61, 8
	v_add_co_ci_u32_e32 v62, vcc_lo, 0, v62, vcc_lo
	s_add_u32 s14, s8, -1
	s_addc_u32 s15, s9, -1
	s_mov_b64 s[22:23], 0
	s_mov_b32 s3, 0
                                        ; implicit-def: $sgpr21
	s_set_inst_prefetch_distance 0x1
	s_branch .LBB1659_306
	.p2align	6
.LBB1659_304:                           ;   in Loop: Header=BB1659_306 Depth=1
	global_load_b64 v[63:64], v[61:62], off
	global_load_b64 v[66:67], v[59:60], off
	v_add_co_u32 v59, vcc_lo, v59, 8
	v_add_co_ci_u32_e32 v60, vcc_lo, 0, v60, vcc_lo
	v_add_co_u32 v61, s0, v61, 8
	s_delay_alu instid0(VALU_DEP_1)
	v_add_co_ci_u32_e64 v62, s0, 0, v62, s0
	s_add_u32 s22, s22, 1
	s_addc_u32 s23, s23, 0
	s_and_not1_b32 s0, s21, exec_lo
	s_waitcnt vmcnt(0)
	v_cmp_ne_u64_e32 vcc_lo, v[63:64], v[66:67]
	s_and_b32 s21, vcc_lo, exec_lo
	s_delay_alu instid0(SALU_CYCLE_1)
	s_or_b32 s21, s0, s21
.LBB1659_305:                           ;   in Loop: Header=BB1659_306 Depth=1
	v_dual_mov_b32 v64, s23 :: v_dual_mov_b32 v63, s22
	s_and_b32 s0, exec_lo, s21
	s_delay_alu instid0(SALU_CYCLE_1) | instskip(NEXT) | instid1(SALU_CYCLE_1)
	s_or_b32 s3, s0, s3
	s_and_not1_b32 exec_lo, exec_lo, s3
	s_cbranch_execz .LBB1659_308
.LBB1659_306:                           ; =>This Inner Loop Header: Depth=1
	s_or_b32 s21, s21, exec_lo
	s_cmp_eq_u64 s[14:15], s[22:23]
	s_cbranch_scc0 .LBB1659_304
; %bb.307:                              ;   in Loop: Header=BB1659_306 Depth=1
	s_mov_b64 s[22:23], s[8:9]
                                        ; implicit-def: $vgpr59_vgpr60
                                        ; implicit-def: $vgpr61_vgpr62
	s_branch .LBB1659_305
.LBB1659_308:
	s_set_inst_prefetch_distance 0x2
	s_or_b32 exec_lo, exec_lo, s3
	v_cmp_gt_i64_e32 vcc_lo, s[8:9], v[63:64]
	s_mov_b32 s0, 0
	s_delay_alu instid0(SALU_CYCLE_1)
	v_mov_b32_e32 v164, s0
	v_cndmask_b32_e64 v163, 0, 1, vcc_lo
.LBB1659_309:
	s_or_b32 exec_lo, exec_lo, s1
.LBB1659_310:
	v_cmp_ne_u32_e32 vcc_lo, 1, v65
	s_cbranch_vccnz .LBB1659_317
; %bb.311:
	v_mul_lo_u32 v61, v2, s8
	v_mul_lo_u32 v62, v1, s9
	v_mad_u64_u32 v[59:60], null, v1, s8, 0
	v_mov_b32_e32 v165, 1
	v_mov_b32_e32 v166, 0
	s_mov_b32 s1, exec_lo
	s_delay_alu instid0(VALU_DEP_3) | instskip(NEXT) | instid1(VALU_DEP_1)
	v_add3_u32 v60, v60, v62, v61
	v_lshlrev_b64 v[61:62], 3, v[59:60]
	v_add_co_u32 v59, vcc_lo, s10, v57
	v_add_co_ci_u32_e32 v60, vcc_lo, s11, v58, vcc_lo
	s_delay_alu instid0(VALU_DEP_3) | instskip(NEXT) | instid1(VALU_DEP_4)
	v_add_co_u32 v57, vcc_lo, s10, v61
	v_add_co_ci_u32_e32 v58, vcc_lo, s11, v62, vcc_lo
	s_clause 0x1
	global_load_b64 v[61:62], v[59:60], off
	global_load_b64 v[63:64], v[57:58], off
	s_waitcnt vmcnt(0)
	v_cmpx_eq_u64_e64 v[61:62], v[63:64]
	s_cbranch_execz .LBB1659_319
; %bb.312:
	v_add_co_u32 v57, vcc_lo, v57, 8
	v_add_co_ci_u32_e32 v58, vcc_lo, 0, v58, vcc_lo
	v_add_co_u32 v59, vcc_lo, v59, 8
	v_add_co_ci_u32_e32 v60, vcc_lo, 0, v60, vcc_lo
	s_add_u32 s14, s8, -1
	s_addc_u32 s15, s9, -1
	s_mov_b64 s[22:23], 0
	s_mov_b32 s3, 0
                                        ; implicit-def: $sgpr21
	s_set_inst_prefetch_distance 0x1
	s_branch .LBB1659_315
	.p2align	6
.LBB1659_313:                           ;   in Loop: Header=BB1659_315 Depth=1
	global_load_b64 v[61:62], v[59:60], off
	global_load_b64 v[63:64], v[57:58], off
	v_add_co_u32 v57, vcc_lo, v57, 8
	v_add_co_ci_u32_e32 v58, vcc_lo, 0, v58, vcc_lo
	v_add_co_u32 v59, s0, v59, 8
	s_delay_alu instid0(VALU_DEP_1)
	v_add_co_ci_u32_e64 v60, s0, 0, v60, s0
	s_add_u32 s22, s22, 1
	s_addc_u32 s23, s23, 0
	s_and_not1_b32 s0, s21, exec_lo
	s_waitcnt vmcnt(0)
	v_cmp_ne_u64_e32 vcc_lo, v[61:62], v[63:64]
	s_and_b32 s21, vcc_lo, exec_lo
	s_delay_alu instid0(SALU_CYCLE_1)
	s_or_b32 s21, s0, s21
.LBB1659_314:                           ;   in Loop: Header=BB1659_315 Depth=1
	v_dual_mov_b32 v62, s23 :: v_dual_mov_b32 v61, s22
	s_and_b32 s0, exec_lo, s21
	s_delay_alu instid0(SALU_CYCLE_1) | instskip(NEXT) | instid1(SALU_CYCLE_1)
	s_or_b32 s3, s0, s3
	s_and_not1_b32 exec_lo, exec_lo, s3
	s_cbranch_execz .LBB1659_318
.LBB1659_315:                           ; =>This Inner Loop Header: Depth=1
	s_or_b32 s21, s21, exec_lo
	s_cmp_eq_u64 s[14:15], s[22:23]
	s_cbranch_scc0 .LBB1659_313
; %bb.316:                              ;   in Loop: Header=BB1659_315 Depth=1
	s_mov_b64 s[22:23], s[8:9]
                                        ; implicit-def: $vgpr57_vgpr58
                                        ; implicit-def: $vgpr59_vgpr60
	s_branch .LBB1659_314
.LBB1659_317:
	v_mov_b32_e32 v165, 0
	v_mov_b32_e32 v166, 0
	s_branch .LBB1659_320
.LBB1659_318:
	s_set_inst_prefetch_distance 0x2
	s_or_b32 exec_lo, exec_lo, s3
	v_cmp_gt_i64_e32 vcc_lo, s[8:9], v[61:62]
	s_mov_b32 s0, 0
	s_delay_alu instid0(SALU_CYCLE_1)
	v_mov_b32_e32 v166, s0
	v_cndmask_b32_e64 v165, 0, 1, vcc_lo
.LBB1659_319:
	s_or_b32 exec_lo, exec_lo, s1
.LBB1659_320:
	s_waitcnt lgkmcnt(0)
	v_dual_mov_b32 v58, s13 :: v_dual_mov_b32 v57, s12
	s_mov_b32 s0, 0
	s_mov_b32 s1, exec_lo
	s_barrier
	buffer_gl0_inv
	v_cmpx_ne_u32_e32 0, v0
	s_cbranch_execz .LBB1659_322
; %bb.321:
	v_add_nc_u32_e32 v57, -8, v195
	ds_load_b64 v[57:58], v57
.LBB1659_322:
	s_or_b32 exec_lo, exec_lo, s1
	v_cmp_ne_u32_e32 vcc_lo, 1, v65
	s_cbranch_vccnz .LBB1659_331
; %bb.323:
	v_mul_lo_u32 v63, v2, s8
	v_mul_lo_u32 v64, v1, s9
	v_mad_u64_u32 v[59:60], null, v1, s8, 0
	s_waitcnt lgkmcnt(0)
	v_mul_lo_u32 v58, v58, s8
	v_mul_lo_u32 v65, v57, s9
	v_mad_u64_u32 v[61:62], null, v57, s8, 0
	s_mov_b32 s0, -1
	s_mov_b32 s1, exec_lo
	s_delay_alu instid0(VALU_DEP_4) | instskip(NEXT) | instid1(VALU_DEP_2)
	v_add3_u32 v60, v60, v64, v63
	v_add3_u32 v62, v62, v65, v58
	s_delay_alu instid0(VALU_DEP_2) | instskip(NEXT) | instid1(VALU_DEP_2)
	v_lshlrev_b64 v[57:58], 3, v[59:60]
	v_lshlrev_b64 v[61:62], 3, v[61:62]
	s_delay_alu instid0(VALU_DEP_2) | instskip(NEXT) | instid1(VALU_DEP_3)
	v_add_co_u32 v59, vcc_lo, s10, v57
	v_add_co_ci_u32_e32 v60, vcc_lo, s11, v58, vcc_lo
	s_delay_alu instid0(VALU_DEP_3) | instskip(NEXT) | instid1(VALU_DEP_4)
	v_add_co_u32 v57, vcc_lo, s10, v61
	v_add_co_ci_u32_e32 v58, vcc_lo, s11, v62, vcc_lo
	s_clause 0x1
	global_load_b64 v[61:62], v[59:60], off
	global_load_b64 v[63:64], v[57:58], off
	s_waitcnt vmcnt(0)
	v_cmpx_eq_u64_e64 v[61:62], v[63:64]
	s_cbranch_execz .LBB1659_330
; %bb.324:
	v_add_co_u32 v57, vcc_lo, v57, 8
	v_add_co_ci_u32_e32 v58, vcc_lo, 0, v58, vcc_lo
	v_add_co_u32 v59, vcc_lo, v59, 8
	v_add_co_ci_u32_e32 v60, vcc_lo, 0, v60, vcc_lo
	s_add_u32 s14, s8, -1
	s_addc_u32 s15, s9, -1
	s_mov_b64 s[22:23], 0
	s_mov_b32 s3, 0
                                        ; implicit-def: $sgpr21
	s_set_inst_prefetch_distance 0x1
	s_branch .LBB1659_327
	.p2align	6
.LBB1659_325:                           ;   in Loop: Header=BB1659_327 Depth=1
	global_load_b64 v[61:62], v[59:60], off
	global_load_b64 v[63:64], v[57:58], off
	v_add_co_u32 v57, vcc_lo, v57, 8
	v_add_co_ci_u32_e32 v58, vcc_lo, 0, v58, vcc_lo
	v_add_co_u32 v59, s0, v59, 8
	s_delay_alu instid0(VALU_DEP_1)
	v_add_co_ci_u32_e64 v60, s0, 0, v60, s0
	s_add_u32 s22, s22, 1
	s_addc_u32 s23, s23, 0
	s_and_not1_b32 s0, s21, exec_lo
	s_waitcnt vmcnt(0)
	v_cmp_ne_u64_e32 vcc_lo, v[61:62], v[63:64]
	s_and_b32 s21, vcc_lo, exec_lo
	s_delay_alu instid0(SALU_CYCLE_1)
	s_or_b32 s21, s0, s21
.LBB1659_326:                           ;   in Loop: Header=BB1659_327 Depth=1
	v_dual_mov_b32 v62, s23 :: v_dual_mov_b32 v61, s22
	s_and_b32 s0, exec_lo, s21
	s_delay_alu instid0(SALU_CYCLE_1) | instskip(NEXT) | instid1(SALU_CYCLE_1)
	s_or_b32 s3, s0, s3
	s_and_not1_b32 exec_lo, exec_lo, s3
	s_cbranch_execz .LBB1659_329
.LBB1659_327:                           ; =>This Inner Loop Header: Depth=1
	s_or_b32 s21, s21, exec_lo
	s_cmp_eq_u64 s[14:15], s[22:23]
	s_cbranch_scc0 .LBB1659_325
; %bb.328:                              ;   in Loop: Header=BB1659_327 Depth=1
	s_mov_b64 s[22:23], s[8:9]
                                        ; implicit-def: $vgpr57_vgpr58
                                        ; implicit-def: $vgpr59_vgpr60
	s_branch .LBB1659_326
.LBB1659_329:
	s_set_inst_prefetch_distance 0x2
	s_or_b32 exec_lo, exec_lo, s3
	v_cmp_gt_i64_e32 vcc_lo, s[8:9], v[61:62]
	s_or_not1_b32 s0, vcc_lo, exec_lo
.LBB1659_330:
	s_or_b32 exec_lo, exec_lo, s1
.LBB1659_331:
	s_mov_b32 s1, -1
	s_branch .LBB1659_73
.LBB1659_332:
	v_cmp_gt_i64_e64 s0, s[8:9], 0
	s_waitcnt lgkmcnt(0)
	v_mad_u32_u24 v57, v0, 29, 28
	v_mul_u32_u24_e32 v64, 29, v0
	v_dual_mov_b32 v112, v110 :: v_dual_mov_b32 v111, v109
	s_mul_i32 s3, s20, 0xfffff180
	v_cndmask_b32_e64 v63, 0, 1, s0
	s_add_i32 s3, s3, s6
	s_mov_b32 s22, exec_lo
	ds_store_b64 v195, v[109:110]
	v_cmpx_gt_u32_e64 s3, v57
	s_cbranch_execz .LBB1659_343
; %bb.333:
	s_and_not1_b32 vcc_lo, exec_lo, s0
	s_cbranch_vccnz .LBB1659_340
; %bb.334:
	v_mul_lo_u32 v61, v110, s8
	v_mul_lo_u32 v62, v109, s9
	v_mad_u64_u32 v[57:58], null, v109, s8, 0
	v_mul_lo_u32 v65, v8, s8
	v_mul_lo_u32 v66, v7, s9
	v_mad_u64_u32 v[59:60], null, v7, s8, 0
	v_mov_b32_e32 v111, 1
	v_mov_b32_e32 v112, 0
	v_add3_u32 v58, v58, v62, v61
	s_mov_b32 s23, exec_lo
	s_delay_alu instid0(VALU_DEP_4) | instskip(NEXT) | instid1(VALU_DEP_2)
	v_add3_u32 v60, v60, v66, v65
	v_lshlrev_b64 v[57:58], 3, v[57:58]
	s_delay_alu instid0(VALU_DEP_2) | instskip(NEXT) | instid1(VALU_DEP_2)
	v_lshlrev_b64 v[61:62], 3, v[59:60]
	v_add_co_u32 v59, vcc_lo, s10, v57
	s_delay_alu instid0(VALU_DEP_3) | instskip(NEXT) | instid1(VALU_DEP_3)
	v_add_co_ci_u32_e32 v60, vcc_lo, s11, v58, vcc_lo
	v_add_co_u32 v57, vcc_lo, s10, v61
	s_delay_alu instid0(VALU_DEP_4)
	v_add_co_ci_u32_e32 v58, vcc_lo, s11, v62, vcc_lo
	s_clause 0x1
	global_load_b64 v[61:62], v[59:60], off
	global_load_b64 v[65:66], v[57:58], off
	s_waitcnt vmcnt(0)
	v_cmpx_eq_u64_e64 v[61:62], v[65:66]
	s_cbranch_execz .LBB1659_342
; %bb.335:
	v_add_co_u32 v57, vcc_lo, v57, 8
	v_add_co_ci_u32_e32 v58, vcc_lo, 0, v58, vcc_lo
	v_add_co_u32 v59, vcc_lo, v59, 8
	v_add_co_ci_u32_e32 v60, vcc_lo, 0, v60, vcc_lo
	s_add_u32 s14, s8, -1
	s_addc_u32 s15, s9, -1
	s_mov_b64 s[20:21], 0
	s_mov_b32 s24, 0
                                        ; implicit-def: $sgpr25
	s_set_inst_prefetch_distance 0x1
	s_branch .LBB1659_338
	.p2align	6
.LBB1659_336:                           ;   in Loop: Header=BB1659_338 Depth=1
	global_load_b64 v[61:62], v[59:60], off
	global_load_b64 v[65:66], v[57:58], off
	v_add_co_u32 v57, vcc_lo, v57, 8
	v_add_co_ci_u32_e32 v58, vcc_lo, 0, v58, vcc_lo
	v_add_co_u32 v59, s0, v59, 8
	s_delay_alu instid0(VALU_DEP_1)
	v_add_co_ci_u32_e64 v60, s0, 0, v60, s0
	s_add_u32 s20, s20, 1
	s_addc_u32 s21, s21, 0
	s_and_not1_b32 s0, s25, exec_lo
	s_waitcnt vmcnt(0)
	v_cmp_ne_u64_e32 vcc_lo, v[61:62], v[65:66]
	s_and_b32 s25, vcc_lo, exec_lo
	s_delay_alu instid0(SALU_CYCLE_1)
	s_or_b32 s25, s0, s25
.LBB1659_337:                           ;   in Loop: Header=BB1659_338 Depth=1
	v_dual_mov_b32 v62, s21 :: v_dual_mov_b32 v61, s20
	s_and_b32 s0, exec_lo, s25
	s_delay_alu instid0(SALU_CYCLE_1) | instskip(NEXT) | instid1(SALU_CYCLE_1)
	s_or_b32 s24, s0, s24
	s_and_not1_b32 exec_lo, exec_lo, s24
	s_cbranch_execz .LBB1659_341
.LBB1659_338:                           ; =>This Inner Loop Header: Depth=1
	s_or_b32 s25, s25, exec_lo
	s_cmp_eq_u64 s[14:15], s[20:21]
	s_cbranch_scc0 .LBB1659_336
; %bb.339:                              ;   in Loop: Header=BB1659_338 Depth=1
	s_mov_b64 s[20:21], s[8:9]
                                        ; implicit-def: $vgpr57_vgpr58
                                        ; implicit-def: $vgpr59_vgpr60
	s_branch .LBB1659_337
.LBB1659_340:
	v_mov_b32_e32 v111, 0
	v_mov_b32_e32 v112, 0
	s_branch .LBB1659_343
.LBB1659_341:
	s_set_inst_prefetch_distance 0x2
	s_or_b32 exec_lo, exec_lo, s24
	v_cmp_gt_i64_e32 vcc_lo, s[8:9], v[61:62]
	s_mov_b32 s0, 0
	s_delay_alu instid0(SALU_CYCLE_1)
	v_mov_b32_e32 v112, s0
	v_cndmask_b32_e64 v111, 0, 1, vcc_lo
.LBB1659_342:
	s_or_b32 exec_lo, exec_lo, s23
.LBB1659_343:
	s_delay_alu instid0(SALU_CYCLE_1) | instskip(SKIP_3) | instid1(VALU_DEP_2)
	s_or_b32 exec_lo, exec_lo, s22
	v_dual_mov_b32 v116, v8 :: v_dual_add_nc_u32 v57, 27, v64
	v_mov_b32_e32 v115, v7
	s_mov_b32 s22, exec_lo
	v_cmpx_gt_u32_e64 s3, v57
	s_cbranch_execz .LBB1659_354
; %bb.344:
	v_cmp_ne_u32_e32 vcc_lo, 1, v63
	s_cbranch_vccnz .LBB1659_351
; %bb.345:
	v_mul_lo_u32 v61, v8, s8
	v_mul_lo_u32 v62, v7, s9
	v_mad_u64_u32 v[57:58], null, v7, s8, 0
	v_mul_lo_u32 v65, v6, s8
	v_mul_lo_u32 v66, v5, s9
	v_mad_u64_u32 v[59:60], null, v5, s8, 0
	v_mov_b32_e32 v115, 1
	v_mov_b32_e32 v116, 0
	v_add3_u32 v58, v58, v62, v61
	s_mov_b32 s23, exec_lo
	s_delay_alu instid0(VALU_DEP_4) | instskip(NEXT) | instid1(VALU_DEP_2)
	v_add3_u32 v60, v60, v66, v65
	v_lshlrev_b64 v[57:58], 3, v[57:58]
	s_delay_alu instid0(VALU_DEP_2) | instskip(NEXT) | instid1(VALU_DEP_2)
	v_lshlrev_b64 v[61:62], 3, v[59:60]
	v_add_co_u32 v59, vcc_lo, s10, v57
	s_delay_alu instid0(VALU_DEP_3) | instskip(NEXT) | instid1(VALU_DEP_3)
	v_add_co_ci_u32_e32 v60, vcc_lo, s11, v58, vcc_lo
	v_add_co_u32 v57, vcc_lo, s10, v61
	s_delay_alu instid0(VALU_DEP_4)
	v_add_co_ci_u32_e32 v58, vcc_lo, s11, v62, vcc_lo
	s_clause 0x1
	global_load_b64 v[61:62], v[59:60], off
	global_load_b64 v[65:66], v[57:58], off
	s_waitcnt vmcnt(0)
	v_cmpx_eq_u64_e64 v[61:62], v[65:66]
	s_cbranch_execz .LBB1659_353
; %bb.346:
	v_add_co_u32 v57, vcc_lo, v57, 8
	v_add_co_ci_u32_e32 v58, vcc_lo, 0, v58, vcc_lo
	v_add_co_u32 v59, vcc_lo, v59, 8
	v_add_co_ci_u32_e32 v60, vcc_lo, 0, v60, vcc_lo
	s_add_u32 s14, s8, -1
	s_addc_u32 s15, s9, -1
	s_mov_b64 s[20:21], 0
	s_mov_b32 s24, 0
                                        ; implicit-def: $sgpr25
	s_set_inst_prefetch_distance 0x1
	s_branch .LBB1659_349
	.p2align	6
.LBB1659_347:                           ;   in Loop: Header=BB1659_349 Depth=1
	global_load_b64 v[61:62], v[59:60], off
	global_load_b64 v[65:66], v[57:58], off
	v_add_co_u32 v57, vcc_lo, v57, 8
	v_add_co_ci_u32_e32 v58, vcc_lo, 0, v58, vcc_lo
	v_add_co_u32 v59, s0, v59, 8
	s_delay_alu instid0(VALU_DEP_1)
	v_add_co_ci_u32_e64 v60, s0, 0, v60, s0
	s_add_u32 s20, s20, 1
	s_addc_u32 s21, s21, 0
	s_and_not1_b32 s0, s25, exec_lo
	s_waitcnt vmcnt(0)
	v_cmp_ne_u64_e32 vcc_lo, v[61:62], v[65:66]
	s_and_b32 s25, vcc_lo, exec_lo
	s_delay_alu instid0(SALU_CYCLE_1)
	s_or_b32 s25, s0, s25
.LBB1659_348:                           ;   in Loop: Header=BB1659_349 Depth=1
	v_dual_mov_b32 v62, s21 :: v_dual_mov_b32 v61, s20
	s_and_b32 s0, exec_lo, s25
	s_delay_alu instid0(SALU_CYCLE_1) | instskip(NEXT) | instid1(SALU_CYCLE_1)
	s_or_b32 s24, s0, s24
	s_and_not1_b32 exec_lo, exec_lo, s24
	s_cbranch_execz .LBB1659_352
.LBB1659_349:                           ; =>This Inner Loop Header: Depth=1
	s_or_b32 s25, s25, exec_lo
	s_cmp_eq_u64 s[14:15], s[20:21]
	s_cbranch_scc0 .LBB1659_347
; %bb.350:                              ;   in Loop: Header=BB1659_349 Depth=1
	s_mov_b64 s[20:21], s[8:9]
                                        ; implicit-def: $vgpr57_vgpr58
                                        ; implicit-def: $vgpr59_vgpr60
	s_branch .LBB1659_348
.LBB1659_351:
	v_mov_b32_e32 v115, 0
	v_mov_b32_e32 v116, 0
	s_branch .LBB1659_354
.LBB1659_352:
	s_set_inst_prefetch_distance 0x2
	s_or_b32 exec_lo, exec_lo, s24
	v_cmp_gt_i64_e32 vcc_lo, s[8:9], v[61:62]
	s_mov_b32 s0, 0
	s_delay_alu instid0(SALU_CYCLE_1)
	v_mov_b32_e32 v116, s0
	v_cndmask_b32_e64 v115, 0, 1, vcc_lo
.LBB1659_353:
	s_or_b32 exec_lo, exec_lo, s23
.LBB1659_354:
	s_delay_alu instid0(SALU_CYCLE_1) | instskip(SKIP_3) | instid1(VALU_DEP_2)
	s_or_b32 exec_lo, exec_lo, s22
	v_dual_mov_b32 v114, v6 :: v_dual_add_nc_u32 v57, 26, v64
	v_mov_b32_e32 v113, v5
	s_mov_b32 s22, exec_lo
	v_cmpx_gt_u32_e64 s3, v57
	s_cbranch_execz .LBB1659_365
; %bb.355:
	v_cmp_ne_u32_e32 vcc_lo, 1, v63
	s_cbranch_vccnz .LBB1659_362
; %bb.356:
	v_mul_lo_u32 v61, v6, s8
	v_mul_lo_u32 v62, v5, s9
	v_mad_u64_u32 v[57:58], null, v5, s8, 0
	v_mul_lo_u32 v65, v12, s8
	v_mul_lo_u32 v66, v11, s9
	v_mad_u64_u32 v[59:60], null, v11, s8, 0
	v_mov_b32_e32 v113, 1
	v_mov_b32_e32 v114, 0
	v_add3_u32 v58, v58, v62, v61
	s_mov_b32 s23, exec_lo
	s_delay_alu instid0(VALU_DEP_4) | instskip(NEXT) | instid1(VALU_DEP_2)
	v_add3_u32 v60, v60, v66, v65
	v_lshlrev_b64 v[57:58], 3, v[57:58]
	s_delay_alu instid0(VALU_DEP_2) | instskip(NEXT) | instid1(VALU_DEP_2)
	v_lshlrev_b64 v[61:62], 3, v[59:60]
	v_add_co_u32 v59, vcc_lo, s10, v57
	s_delay_alu instid0(VALU_DEP_3) | instskip(NEXT) | instid1(VALU_DEP_3)
	v_add_co_ci_u32_e32 v60, vcc_lo, s11, v58, vcc_lo
	v_add_co_u32 v57, vcc_lo, s10, v61
	s_delay_alu instid0(VALU_DEP_4)
	v_add_co_ci_u32_e32 v58, vcc_lo, s11, v62, vcc_lo
	s_clause 0x1
	global_load_b64 v[61:62], v[59:60], off
	global_load_b64 v[65:66], v[57:58], off
	s_waitcnt vmcnt(0)
	v_cmpx_eq_u64_e64 v[61:62], v[65:66]
	s_cbranch_execz .LBB1659_364
; %bb.357:
	v_add_co_u32 v57, vcc_lo, v57, 8
	v_add_co_ci_u32_e32 v58, vcc_lo, 0, v58, vcc_lo
	v_add_co_u32 v59, vcc_lo, v59, 8
	v_add_co_ci_u32_e32 v60, vcc_lo, 0, v60, vcc_lo
	s_add_u32 s14, s8, -1
	s_addc_u32 s15, s9, -1
	s_mov_b64 s[20:21], 0
	s_mov_b32 s24, 0
                                        ; implicit-def: $sgpr25
	s_set_inst_prefetch_distance 0x1
	s_branch .LBB1659_360
	.p2align	6
.LBB1659_358:                           ;   in Loop: Header=BB1659_360 Depth=1
	global_load_b64 v[61:62], v[59:60], off
	global_load_b64 v[65:66], v[57:58], off
	v_add_co_u32 v57, vcc_lo, v57, 8
	v_add_co_ci_u32_e32 v58, vcc_lo, 0, v58, vcc_lo
	v_add_co_u32 v59, s0, v59, 8
	s_delay_alu instid0(VALU_DEP_1)
	v_add_co_ci_u32_e64 v60, s0, 0, v60, s0
	s_add_u32 s20, s20, 1
	s_addc_u32 s21, s21, 0
	s_and_not1_b32 s0, s25, exec_lo
	s_waitcnt vmcnt(0)
	v_cmp_ne_u64_e32 vcc_lo, v[61:62], v[65:66]
	s_and_b32 s25, vcc_lo, exec_lo
	s_delay_alu instid0(SALU_CYCLE_1)
	s_or_b32 s25, s0, s25
.LBB1659_359:                           ;   in Loop: Header=BB1659_360 Depth=1
	v_dual_mov_b32 v62, s21 :: v_dual_mov_b32 v61, s20
	s_and_b32 s0, exec_lo, s25
	s_delay_alu instid0(SALU_CYCLE_1) | instskip(NEXT) | instid1(SALU_CYCLE_1)
	s_or_b32 s24, s0, s24
	s_and_not1_b32 exec_lo, exec_lo, s24
	s_cbranch_execz .LBB1659_363
.LBB1659_360:                           ; =>This Inner Loop Header: Depth=1
	s_or_b32 s25, s25, exec_lo
	s_cmp_eq_u64 s[14:15], s[20:21]
	s_cbranch_scc0 .LBB1659_358
; %bb.361:                              ;   in Loop: Header=BB1659_360 Depth=1
	s_mov_b64 s[20:21], s[8:9]
                                        ; implicit-def: $vgpr57_vgpr58
                                        ; implicit-def: $vgpr59_vgpr60
	s_branch .LBB1659_359
.LBB1659_362:
	v_mov_b32_e32 v113, 0
	v_mov_b32_e32 v114, 0
	s_branch .LBB1659_365
.LBB1659_363:
	s_set_inst_prefetch_distance 0x2
	s_or_b32 exec_lo, exec_lo, s24
	v_cmp_gt_i64_e32 vcc_lo, s[8:9], v[61:62]
	s_mov_b32 s0, 0
	s_delay_alu instid0(SALU_CYCLE_1)
	v_mov_b32_e32 v114, s0
	v_cndmask_b32_e64 v113, 0, 1, vcc_lo
.LBB1659_364:
	s_or_b32 exec_lo, exec_lo, s23
.LBB1659_365:
	s_delay_alu instid0(SALU_CYCLE_1) | instskip(SKIP_3) | instid1(VALU_DEP_2)
	s_or_b32 exec_lo, exec_lo, s22
	v_dual_mov_b32 v118, v12 :: v_dual_add_nc_u32 v57, 25, v64
	v_mov_b32_e32 v117, v11
	s_mov_b32 s22, exec_lo
	v_cmpx_gt_u32_e64 s3, v57
	s_cbranch_execz .LBB1659_376
; %bb.366:
	v_cmp_ne_u32_e32 vcc_lo, 1, v63
	s_cbranch_vccnz .LBB1659_373
; %bb.367:
	v_mul_lo_u32 v61, v12, s8
	v_mul_lo_u32 v62, v11, s9
	v_mad_u64_u32 v[57:58], null, v11, s8, 0
	v_mul_lo_u32 v65, v10, s8
	v_mul_lo_u32 v66, v9, s9
	v_mad_u64_u32 v[59:60], null, v9, s8, 0
	v_mov_b32_e32 v117, 1
	v_mov_b32_e32 v118, 0
	v_add3_u32 v58, v58, v62, v61
	s_mov_b32 s23, exec_lo
	s_delay_alu instid0(VALU_DEP_4) | instskip(NEXT) | instid1(VALU_DEP_2)
	v_add3_u32 v60, v60, v66, v65
	v_lshlrev_b64 v[57:58], 3, v[57:58]
	s_delay_alu instid0(VALU_DEP_2) | instskip(NEXT) | instid1(VALU_DEP_2)
	v_lshlrev_b64 v[61:62], 3, v[59:60]
	v_add_co_u32 v59, vcc_lo, s10, v57
	s_delay_alu instid0(VALU_DEP_3) | instskip(NEXT) | instid1(VALU_DEP_3)
	v_add_co_ci_u32_e32 v60, vcc_lo, s11, v58, vcc_lo
	v_add_co_u32 v57, vcc_lo, s10, v61
	s_delay_alu instid0(VALU_DEP_4)
	v_add_co_ci_u32_e32 v58, vcc_lo, s11, v62, vcc_lo
	s_clause 0x1
	global_load_b64 v[61:62], v[59:60], off
	global_load_b64 v[65:66], v[57:58], off
	s_waitcnt vmcnt(0)
	v_cmpx_eq_u64_e64 v[61:62], v[65:66]
	s_cbranch_execz .LBB1659_375
; %bb.368:
	v_add_co_u32 v57, vcc_lo, v57, 8
	v_add_co_ci_u32_e32 v58, vcc_lo, 0, v58, vcc_lo
	v_add_co_u32 v59, vcc_lo, v59, 8
	v_add_co_ci_u32_e32 v60, vcc_lo, 0, v60, vcc_lo
	s_add_u32 s14, s8, -1
	s_addc_u32 s15, s9, -1
	s_mov_b64 s[20:21], 0
	s_mov_b32 s24, 0
                                        ; implicit-def: $sgpr25
	s_set_inst_prefetch_distance 0x1
	s_branch .LBB1659_371
	.p2align	6
.LBB1659_369:                           ;   in Loop: Header=BB1659_371 Depth=1
	global_load_b64 v[61:62], v[59:60], off
	global_load_b64 v[65:66], v[57:58], off
	v_add_co_u32 v57, vcc_lo, v57, 8
	v_add_co_ci_u32_e32 v58, vcc_lo, 0, v58, vcc_lo
	v_add_co_u32 v59, s0, v59, 8
	s_delay_alu instid0(VALU_DEP_1)
	v_add_co_ci_u32_e64 v60, s0, 0, v60, s0
	s_add_u32 s20, s20, 1
	s_addc_u32 s21, s21, 0
	s_and_not1_b32 s0, s25, exec_lo
	s_waitcnt vmcnt(0)
	v_cmp_ne_u64_e32 vcc_lo, v[61:62], v[65:66]
	s_and_b32 s25, vcc_lo, exec_lo
	s_delay_alu instid0(SALU_CYCLE_1)
	s_or_b32 s25, s0, s25
.LBB1659_370:                           ;   in Loop: Header=BB1659_371 Depth=1
	v_dual_mov_b32 v62, s21 :: v_dual_mov_b32 v61, s20
	s_and_b32 s0, exec_lo, s25
	s_delay_alu instid0(SALU_CYCLE_1) | instskip(NEXT) | instid1(SALU_CYCLE_1)
	s_or_b32 s24, s0, s24
	s_and_not1_b32 exec_lo, exec_lo, s24
	s_cbranch_execz .LBB1659_374
.LBB1659_371:                           ; =>This Inner Loop Header: Depth=1
	s_or_b32 s25, s25, exec_lo
	s_cmp_eq_u64 s[14:15], s[20:21]
	s_cbranch_scc0 .LBB1659_369
; %bb.372:                              ;   in Loop: Header=BB1659_371 Depth=1
	s_mov_b64 s[20:21], s[8:9]
                                        ; implicit-def: $vgpr57_vgpr58
                                        ; implicit-def: $vgpr59_vgpr60
	s_branch .LBB1659_370
.LBB1659_373:
	v_mov_b32_e32 v117, 0
	v_mov_b32_e32 v118, 0
	s_branch .LBB1659_376
.LBB1659_374:
	s_set_inst_prefetch_distance 0x2
	s_or_b32 exec_lo, exec_lo, s24
	v_cmp_gt_i64_e32 vcc_lo, s[8:9], v[61:62]
	s_mov_b32 s0, 0
	s_delay_alu instid0(SALU_CYCLE_1)
	v_mov_b32_e32 v118, s0
	v_cndmask_b32_e64 v117, 0, 1, vcc_lo
.LBB1659_375:
	s_or_b32 exec_lo, exec_lo, s23
.LBB1659_376:
	s_delay_alu instid0(SALU_CYCLE_1) | instskip(SKIP_3) | instid1(VALU_DEP_2)
	s_or_b32 exec_lo, exec_lo, s22
	v_dual_mov_b32 v120, v10 :: v_dual_add_nc_u32 v57, 24, v64
	v_mov_b32_e32 v119, v9
	s_mov_b32 s22, exec_lo
	v_cmpx_gt_u32_e64 s3, v57
	s_cbranch_execz .LBB1659_387
; %bb.377:
	v_cmp_ne_u32_e32 vcc_lo, 1, v63
	s_cbranch_vccnz .LBB1659_384
; %bb.378:
	v_mul_lo_u32 v61, v10, s8
	v_mul_lo_u32 v62, v9, s9
	v_mad_u64_u32 v[57:58], null, v9, s8, 0
	v_mul_lo_u32 v65, v56, s8
	v_mul_lo_u32 v66, v55, s9
	v_mad_u64_u32 v[59:60], null, v55, s8, 0
	v_mov_b32_e32 v119, 1
	v_mov_b32_e32 v120, 0
	v_add3_u32 v58, v58, v62, v61
	s_mov_b32 s23, exec_lo
	s_delay_alu instid0(VALU_DEP_4) | instskip(NEXT) | instid1(VALU_DEP_2)
	v_add3_u32 v60, v60, v66, v65
	v_lshlrev_b64 v[57:58], 3, v[57:58]
	s_delay_alu instid0(VALU_DEP_2) | instskip(NEXT) | instid1(VALU_DEP_2)
	v_lshlrev_b64 v[61:62], 3, v[59:60]
	v_add_co_u32 v59, vcc_lo, s10, v57
	s_delay_alu instid0(VALU_DEP_3) | instskip(NEXT) | instid1(VALU_DEP_3)
	v_add_co_ci_u32_e32 v60, vcc_lo, s11, v58, vcc_lo
	v_add_co_u32 v57, vcc_lo, s10, v61
	s_delay_alu instid0(VALU_DEP_4)
	v_add_co_ci_u32_e32 v58, vcc_lo, s11, v62, vcc_lo
	s_clause 0x1
	global_load_b64 v[61:62], v[59:60], off
	global_load_b64 v[65:66], v[57:58], off
	s_waitcnt vmcnt(0)
	v_cmpx_eq_u64_e64 v[61:62], v[65:66]
	s_cbranch_execz .LBB1659_386
; %bb.379:
	v_add_co_u32 v57, vcc_lo, v57, 8
	v_add_co_ci_u32_e32 v58, vcc_lo, 0, v58, vcc_lo
	v_add_co_u32 v59, vcc_lo, v59, 8
	v_add_co_ci_u32_e32 v60, vcc_lo, 0, v60, vcc_lo
	s_add_u32 s14, s8, -1
	s_addc_u32 s15, s9, -1
	s_mov_b64 s[20:21], 0
	s_mov_b32 s24, 0
                                        ; implicit-def: $sgpr25
	s_set_inst_prefetch_distance 0x1
	s_branch .LBB1659_382
	.p2align	6
.LBB1659_380:                           ;   in Loop: Header=BB1659_382 Depth=1
	global_load_b64 v[61:62], v[59:60], off
	global_load_b64 v[65:66], v[57:58], off
	v_add_co_u32 v57, vcc_lo, v57, 8
	v_add_co_ci_u32_e32 v58, vcc_lo, 0, v58, vcc_lo
	v_add_co_u32 v59, s0, v59, 8
	s_delay_alu instid0(VALU_DEP_1)
	v_add_co_ci_u32_e64 v60, s0, 0, v60, s0
	s_add_u32 s20, s20, 1
	s_addc_u32 s21, s21, 0
	s_and_not1_b32 s0, s25, exec_lo
	s_waitcnt vmcnt(0)
	v_cmp_ne_u64_e32 vcc_lo, v[61:62], v[65:66]
	s_and_b32 s25, vcc_lo, exec_lo
	s_delay_alu instid0(SALU_CYCLE_1)
	s_or_b32 s25, s0, s25
.LBB1659_381:                           ;   in Loop: Header=BB1659_382 Depth=1
	v_dual_mov_b32 v62, s21 :: v_dual_mov_b32 v61, s20
	s_and_b32 s0, exec_lo, s25
	s_delay_alu instid0(SALU_CYCLE_1) | instskip(NEXT) | instid1(SALU_CYCLE_1)
	s_or_b32 s24, s0, s24
	s_and_not1_b32 exec_lo, exec_lo, s24
	s_cbranch_execz .LBB1659_385
.LBB1659_382:                           ; =>This Inner Loop Header: Depth=1
	s_or_b32 s25, s25, exec_lo
	s_cmp_eq_u64 s[14:15], s[20:21]
	s_cbranch_scc0 .LBB1659_380
; %bb.383:                              ;   in Loop: Header=BB1659_382 Depth=1
	s_mov_b64 s[20:21], s[8:9]
                                        ; implicit-def: $vgpr57_vgpr58
                                        ; implicit-def: $vgpr59_vgpr60
	s_branch .LBB1659_381
.LBB1659_384:
	v_mov_b32_e32 v119, 0
	v_mov_b32_e32 v120, 0
	s_branch .LBB1659_387
.LBB1659_385:
	s_set_inst_prefetch_distance 0x2
	s_or_b32 exec_lo, exec_lo, s24
	v_cmp_gt_i64_e32 vcc_lo, s[8:9], v[61:62]
	s_mov_b32 s0, 0
	s_delay_alu instid0(SALU_CYCLE_1)
	v_mov_b32_e32 v120, s0
	v_cndmask_b32_e64 v119, 0, 1, vcc_lo
.LBB1659_386:
	s_or_b32 exec_lo, exec_lo, s23
.LBB1659_387:
	s_delay_alu instid0(SALU_CYCLE_1) | instskip(SKIP_3) | instid1(VALU_DEP_2)
	s_or_b32 exec_lo, exec_lo, s22
	v_dual_mov_b32 v122, v56 :: v_dual_add_nc_u32 v57, 23, v64
	v_mov_b32_e32 v121, v55
	s_mov_b32 s22, exec_lo
	v_cmpx_gt_u32_e64 s3, v57
	s_cbranch_execz .LBB1659_398
; %bb.388:
	v_cmp_ne_u32_e32 vcc_lo, 1, v63
	s_cbranch_vccnz .LBB1659_395
; %bb.389:
	v_mul_lo_u32 v61, v56, s8
	v_mul_lo_u32 v62, v55, s9
	v_mad_u64_u32 v[57:58], null, v55, s8, 0
	v_mul_lo_u32 v65, v54, s8
	v_mul_lo_u32 v66, v53, s9
	v_mad_u64_u32 v[59:60], null, v53, s8, 0
	v_mov_b32_e32 v121, 1
	v_mov_b32_e32 v122, 0
	v_add3_u32 v58, v58, v62, v61
	s_mov_b32 s23, exec_lo
	s_delay_alu instid0(VALU_DEP_4) | instskip(NEXT) | instid1(VALU_DEP_2)
	v_add3_u32 v60, v60, v66, v65
	v_lshlrev_b64 v[57:58], 3, v[57:58]
	s_delay_alu instid0(VALU_DEP_2) | instskip(NEXT) | instid1(VALU_DEP_2)
	v_lshlrev_b64 v[61:62], 3, v[59:60]
	v_add_co_u32 v59, vcc_lo, s10, v57
	s_delay_alu instid0(VALU_DEP_3) | instskip(NEXT) | instid1(VALU_DEP_3)
	v_add_co_ci_u32_e32 v60, vcc_lo, s11, v58, vcc_lo
	v_add_co_u32 v57, vcc_lo, s10, v61
	s_delay_alu instid0(VALU_DEP_4)
	v_add_co_ci_u32_e32 v58, vcc_lo, s11, v62, vcc_lo
	s_clause 0x1
	global_load_b64 v[61:62], v[59:60], off
	global_load_b64 v[65:66], v[57:58], off
	s_waitcnt vmcnt(0)
	v_cmpx_eq_u64_e64 v[61:62], v[65:66]
	s_cbranch_execz .LBB1659_397
; %bb.390:
	v_add_co_u32 v57, vcc_lo, v57, 8
	v_add_co_ci_u32_e32 v58, vcc_lo, 0, v58, vcc_lo
	v_add_co_u32 v59, vcc_lo, v59, 8
	v_add_co_ci_u32_e32 v60, vcc_lo, 0, v60, vcc_lo
	s_add_u32 s14, s8, -1
	s_addc_u32 s15, s9, -1
	s_mov_b64 s[20:21], 0
	s_mov_b32 s24, 0
                                        ; implicit-def: $sgpr25
	s_set_inst_prefetch_distance 0x1
	s_branch .LBB1659_393
	.p2align	6
.LBB1659_391:                           ;   in Loop: Header=BB1659_393 Depth=1
	global_load_b64 v[61:62], v[59:60], off
	global_load_b64 v[65:66], v[57:58], off
	v_add_co_u32 v57, vcc_lo, v57, 8
	v_add_co_ci_u32_e32 v58, vcc_lo, 0, v58, vcc_lo
	v_add_co_u32 v59, s0, v59, 8
	s_delay_alu instid0(VALU_DEP_1)
	v_add_co_ci_u32_e64 v60, s0, 0, v60, s0
	s_add_u32 s20, s20, 1
	s_addc_u32 s21, s21, 0
	s_and_not1_b32 s0, s25, exec_lo
	s_waitcnt vmcnt(0)
	v_cmp_ne_u64_e32 vcc_lo, v[61:62], v[65:66]
	s_and_b32 s25, vcc_lo, exec_lo
	s_delay_alu instid0(SALU_CYCLE_1)
	s_or_b32 s25, s0, s25
.LBB1659_392:                           ;   in Loop: Header=BB1659_393 Depth=1
	v_dual_mov_b32 v62, s21 :: v_dual_mov_b32 v61, s20
	s_and_b32 s0, exec_lo, s25
	s_delay_alu instid0(SALU_CYCLE_1) | instskip(NEXT) | instid1(SALU_CYCLE_1)
	s_or_b32 s24, s0, s24
	s_and_not1_b32 exec_lo, exec_lo, s24
	s_cbranch_execz .LBB1659_396
.LBB1659_393:                           ; =>This Inner Loop Header: Depth=1
	s_or_b32 s25, s25, exec_lo
	s_cmp_eq_u64 s[14:15], s[20:21]
	s_cbranch_scc0 .LBB1659_391
; %bb.394:                              ;   in Loop: Header=BB1659_393 Depth=1
	s_mov_b64 s[20:21], s[8:9]
                                        ; implicit-def: $vgpr57_vgpr58
                                        ; implicit-def: $vgpr59_vgpr60
	s_branch .LBB1659_392
.LBB1659_395:
	v_mov_b32_e32 v121, 0
	v_mov_b32_e32 v122, 0
	s_branch .LBB1659_398
.LBB1659_396:
	s_set_inst_prefetch_distance 0x2
	s_or_b32 exec_lo, exec_lo, s24
	v_cmp_gt_i64_e32 vcc_lo, s[8:9], v[61:62]
	s_mov_b32 s0, 0
	s_delay_alu instid0(SALU_CYCLE_1)
	v_mov_b32_e32 v122, s0
	v_cndmask_b32_e64 v121, 0, 1, vcc_lo
.LBB1659_397:
	s_or_b32 exec_lo, exec_lo, s23
.LBB1659_398:
	s_delay_alu instid0(SALU_CYCLE_1) | instskip(SKIP_3) | instid1(VALU_DEP_2)
	s_or_b32 exec_lo, exec_lo, s22
	v_dual_mov_b32 v124, v54 :: v_dual_add_nc_u32 v57, 22, v64
	v_mov_b32_e32 v123, v53
	s_mov_b32 s22, exec_lo
	v_cmpx_gt_u32_e64 s3, v57
	s_cbranch_execz .LBB1659_409
; %bb.399:
	v_cmp_ne_u32_e32 vcc_lo, 1, v63
	s_cbranch_vccnz .LBB1659_406
; %bb.400:
	v_mul_lo_u32 v61, v54, s8
	v_mul_lo_u32 v62, v53, s9
	v_mad_u64_u32 v[57:58], null, v53, s8, 0
	v_mul_lo_u32 v65, v52, s8
	v_mul_lo_u32 v66, v51, s9
	v_mad_u64_u32 v[59:60], null, v51, s8, 0
	v_mov_b32_e32 v123, 1
	v_mov_b32_e32 v124, 0
	v_add3_u32 v58, v58, v62, v61
	s_mov_b32 s23, exec_lo
	s_delay_alu instid0(VALU_DEP_4) | instskip(NEXT) | instid1(VALU_DEP_2)
	v_add3_u32 v60, v60, v66, v65
	v_lshlrev_b64 v[57:58], 3, v[57:58]
	s_delay_alu instid0(VALU_DEP_2) | instskip(NEXT) | instid1(VALU_DEP_2)
	v_lshlrev_b64 v[61:62], 3, v[59:60]
	v_add_co_u32 v59, vcc_lo, s10, v57
	s_delay_alu instid0(VALU_DEP_3) | instskip(NEXT) | instid1(VALU_DEP_3)
	v_add_co_ci_u32_e32 v60, vcc_lo, s11, v58, vcc_lo
	v_add_co_u32 v57, vcc_lo, s10, v61
	s_delay_alu instid0(VALU_DEP_4)
	v_add_co_ci_u32_e32 v58, vcc_lo, s11, v62, vcc_lo
	s_clause 0x1
	global_load_b64 v[61:62], v[59:60], off
	global_load_b64 v[65:66], v[57:58], off
	s_waitcnt vmcnt(0)
	v_cmpx_eq_u64_e64 v[61:62], v[65:66]
	s_cbranch_execz .LBB1659_408
; %bb.401:
	v_add_co_u32 v57, vcc_lo, v57, 8
	v_add_co_ci_u32_e32 v58, vcc_lo, 0, v58, vcc_lo
	v_add_co_u32 v59, vcc_lo, v59, 8
	v_add_co_ci_u32_e32 v60, vcc_lo, 0, v60, vcc_lo
	s_add_u32 s14, s8, -1
	s_addc_u32 s15, s9, -1
	s_mov_b64 s[20:21], 0
	s_mov_b32 s24, 0
                                        ; implicit-def: $sgpr25
	s_set_inst_prefetch_distance 0x1
	s_branch .LBB1659_404
	.p2align	6
.LBB1659_402:                           ;   in Loop: Header=BB1659_404 Depth=1
	global_load_b64 v[61:62], v[59:60], off
	global_load_b64 v[65:66], v[57:58], off
	v_add_co_u32 v57, vcc_lo, v57, 8
	v_add_co_ci_u32_e32 v58, vcc_lo, 0, v58, vcc_lo
	v_add_co_u32 v59, s0, v59, 8
	s_delay_alu instid0(VALU_DEP_1)
	v_add_co_ci_u32_e64 v60, s0, 0, v60, s0
	s_add_u32 s20, s20, 1
	s_addc_u32 s21, s21, 0
	s_and_not1_b32 s0, s25, exec_lo
	s_waitcnt vmcnt(0)
	v_cmp_ne_u64_e32 vcc_lo, v[61:62], v[65:66]
	s_and_b32 s25, vcc_lo, exec_lo
	s_delay_alu instid0(SALU_CYCLE_1)
	s_or_b32 s25, s0, s25
.LBB1659_403:                           ;   in Loop: Header=BB1659_404 Depth=1
	v_dual_mov_b32 v62, s21 :: v_dual_mov_b32 v61, s20
	s_and_b32 s0, exec_lo, s25
	s_delay_alu instid0(SALU_CYCLE_1) | instskip(NEXT) | instid1(SALU_CYCLE_1)
	s_or_b32 s24, s0, s24
	s_and_not1_b32 exec_lo, exec_lo, s24
	s_cbranch_execz .LBB1659_407
.LBB1659_404:                           ; =>This Inner Loop Header: Depth=1
	s_or_b32 s25, s25, exec_lo
	s_cmp_eq_u64 s[14:15], s[20:21]
	s_cbranch_scc0 .LBB1659_402
; %bb.405:                              ;   in Loop: Header=BB1659_404 Depth=1
	s_mov_b64 s[20:21], s[8:9]
                                        ; implicit-def: $vgpr57_vgpr58
                                        ; implicit-def: $vgpr59_vgpr60
	s_branch .LBB1659_403
.LBB1659_406:
	v_mov_b32_e32 v123, 0
	v_mov_b32_e32 v124, 0
	s_branch .LBB1659_409
.LBB1659_407:
	s_set_inst_prefetch_distance 0x2
	s_or_b32 exec_lo, exec_lo, s24
	v_cmp_gt_i64_e32 vcc_lo, s[8:9], v[61:62]
	s_mov_b32 s0, 0
	s_delay_alu instid0(SALU_CYCLE_1)
	v_mov_b32_e32 v124, s0
	v_cndmask_b32_e64 v123, 0, 1, vcc_lo
.LBB1659_408:
	s_or_b32 exec_lo, exec_lo, s23
.LBB1659_409:
	s_delay_alu instid0(SALU_CYCLE_1) | instskip(SKIP_3) | instid1(VALU_DEP_2)
	s_or_b32 exec_lo, exec_lo, s22
	v_dual_mov_b32 v126, v52 :: v_dual_add_nc_u32 v57, 21, v64
	v_mov_b32_e32 v125, v51
	s_mov_b32 s22, exec_lo
	v_cmpx_gt_u32_e64 s3, v57
	s_cbranch_execz .LBB1659_420
; %bb.410:
	v_cmp_ne_u32_e32 vcc_lo, 1, v63
	s_cbranch_vccnz .LBB1659_417
; %bb.411:
	v_mul_lo_u32 v61, v52, s8
	v_mul_lo_u32 v62, v51, s9
	v_mad_u64_u32 v[57:58], null, v51, s8, 0
	v_mul_lo_u32 v65, v50, s8
	v_mul_lo_u32 v66, v49, s9
	v_mad_u64_u32 v[59:60], null, v49, s8, 0
	v_mov_b32_e32 v125, 1
	v_mov_b32_e32 v126, 0
	v_add3_u32 v58, v58, v62, v61
	s_mov_b32 s23, exec_lo
	s_delay_alu instid0(VALU_DEP_4) | instskip(NEXT) | instid1(VALU_DEP_2)
	v_add3_u32 v60, v60, v66, v65
	v_lshlrev_b64 v[57:58], 3, v[57:58]
	s_delay_alu instid0(VALU_DEP_2) | instskip(NEXT) | instid1(VALU_DEP_2)
	v_lshlrev_b64 v[61:62], 3, v[59:60]
	v_add_co_u32 v59, vcc_lo, s10, v57
	s_delay_alu instid0(VALU_DEP_3) | instskip(NEXT) | instid1(VALU_DEP_3)
	v_add_co_ci_u32_e32 v60, vcc_lo, s11, v58, vcc_lo
	v_add_co_u32 v57, vcc_lo, s10, v61
	s_delay_alu instid0(VALU_DEP_4)
	v_add_co_ci_u32_e32 v58, vcc_lo, s11, v62, vcc_lo
	s_clause 0x1
	global_load_b64 v[61:62], v[59:60], off
	global_load_b64 v[65:66], v[57:58], off
	s_waitcnt vmcnt(0)
	v_cmpx_eq_u64_e64 v[61:62], v[65:66]
	s_cbranch_execz .LBB1659_419
; %bb.412:
	v_add_co_u32 v57, vcc_lo, v57, 8
	v_add_co_ci_u32_e32 v58, vcc_lo, 0, v58, vcc_lo
	v_add_co_u32 v59, vcc_lo, v59, 8
	v_add_co_ci_u32_e32 v60, vcc_lo, 0, v60, vcc_lo
	s_add_u32 s14, s8, -1
	s_addc_u32 s15, s9, -1
	s_mov_b64 s[20:21], 0
	s_mov_b32 s24, 0
                                        ; implicit-def: $sgpr25
	s_set_inst_prefetch_distance 0x1
	s_branch .LBB1659_415
	.p2align	6
.LBB1659_413:                           ;   in Loop: Header=BB1659_415 Depth=1
	global_load_b64 v[61:62], v[59:60], off
	global_load_b64 v[65:66], v[57:58], off
	v_add_co_u32 v57, vcc_lo, v57, 8
	v_add_co_ci_u32_e32 v58, vcc_lo, 0, v58, vcc_lo
	v_add_co_u32 v59, s0, v59, 8
	s_delay_alu instid0(VALU_DEP_1)
	v_add_co_ci_u32_e64 v60, s0, 0, v60, s0
	s_add_u32 s20, s20, 1
	s_addc_u32 s21, s21, 0
	s_and_not1_b32 s0, s25, exec_lo
	s_waitcnt vmcnt(0)
	v_cmp_ne_u64_e32 vcc_lo, v[61:62], v[65:66]
	s_and_b32 s25, vcc_lo, exec_lo
	s_delay_alu instid0(SALU_CYCLE_1)
	s_or_b32 s25, s0, s25
.LBB1659_414:                           ;   in Loop: Header=BB1659_415 Depth=1
	v_dual_mov_b32 v62, s21 :: v_dual_mov_b32 v61, s20
	s_and_b32 s0, exec_lo, s25
	s_delay_alu instid0(SALU_CYCLE_1) | instskip(NEXT) | instid1(SALU_CYCLE_1)
	s_or_b32 s24, s0, s24
	s_and_not1_b32 exec_lo, exec_lo, s24
	s_cbranch_execz .LBB1659_418
.LBB1659_415:                           ; =>This Inner Loop Header: Depth=1
	s_or_b32 s25, s25, exec_lo
	s_cmp_eq_u64 s[14:15], s[20:21]
	s_cbranch_scc0 .LBB1659_413
; %bb.416:                              ;   in Loop: Header=BB1659_415 Depth=1
	s_mov_b64 s[20:21], s[8:9]
                                        ; implicit-def: $vgpr57_vgpr58
                                        ; implicit-def: $vgpr59_vgpr60
	s_branch .LBB1659_414
.LBB1659_417:
	v_mov_b32_e32 v125, 0
	v_mov_b32_e32 v126, 0
	s_branch .LBB1659_420
.LBB1659_418:
	s_set_inst_prefetch_distance 0x2
	s_or_b32 exec_lo, exec_lo, s24
	v_cmp_gt_i64_e32 vcc_lo, s[8:9], v[61:62]
	s_mov_b32 s0, 0
	s_delay_alu instid0(SALU_CYCLE_1)
	v_mov_b32_e32 v126, s0
	v_cndmask_b32_e64 v125, 0, 1, vcc_lo
.LBB1659_419:
	s_or_b32 exec_lo, exec_lo, s23
.LBB1659_420:
	s_delay_alu instid0(SALU_CYCLE_1) | instskip(SKIP_3) | instid1(VALU_DEP_2)
	s_or_b32 exec_lo, exec_lo, s22
	v_dual_mov_b32 v128, v50 :: v_dual_add_nc_u32 v57, 20, v64
	v_mov_b32_e32 v127, v49
	s_mov_b32 s22, exec_lo
	v_cmpx_gt_u32_e64 s3, v57
	s_cbranch_execz .LBB1659_431
; %bb.421:
	v_cmp_ne_u32_e32 vcc_lo, 1, v63
	s_cbranch_vccnz .LBB1659_428
; %bb.422:
	v_mul_lo_u32 v61, v50, s8
	v_mul_lo_u32 v62, v49, s9
	v_mad_u64_u32 v[57:58], null, v49, s8, 0
	v_mul_lo_u32 v65, v48, s8
	v_mul_lo_u32 v66, v47, s9
	v_mad_u64_u32 v[59:60], null, v47, s8, 0
	v_mov_b32_e32 v127, 1
	v_mov_b32_e32 v128, 0
	v_add3_u32 v58, v58, v62, v61
	s_mov_b32 s23, exec_lo
	s_delay_alu instid0(VALU_DEP_4) | instskip(NEXT) | instid1(VALU_DEP_2)
	v_add3_u32 v60, v60, v66, v65
	v_lshlrev_b64 v[57:58], 3, v[57:58]
	s_delay_alu instid0(VALU_DEP_2) | instskip(NEXT) | instid1(VALU_DEP_2)
	v_lshlrev_b64 v[61:62], 3, v[59:60]
	v_add_co_u32 v59, vcc_lo, s10, v57
	s_delay_alu instid0(VALU_DEP_3) | instskip(NEXT) | instid1(VALU_DEP_3)
	v_add_co_ci_u32_e32 v60, vcc_lo, s11, v58, vcc_lo
	v_add_co_u32 v57, vcc_lo, s10, v61
	s_delay_alu instid0(VALU_DEP_4)
	v_add_co_ci_u32_e32 v58, vcc_lo, s11, v62, vcc_lo
	s_clause 0x1
	global_load_b64 v[61:62], v[59:60], off
	global_load_b64 v[65:66], v[57:58], off
	s_waitcnt vmcnt(0)
	v_cmpx_eq_u64_e64 v[61:62], v[65:66]
	s_cbranch_execz .LBB1659_430
; %bb.423:
	v_add_co_u32 v57, vcc_lo, v57, 8
	v_add_co_ci_u32_e32 v58, vcc_lo, 0, v58, vcc_lo
	v_add_co_u32 v59, vcc_lo, v59, 8
	v_add_co_ci_u32_e32 v60, vcc_lo, 0, v60, vcc_lo
	s_add_u32 s14, s8, -1
	s_addc_u32 s15, s9, -1
	s_mov_b64 s[20:21], 0
	s_mov_b32 s24, 0
                                        ; implicit-def: $sgpr25
	s_set_inst_prefetch_distance 0x1
	s_branch .LBB1659_426
	.p2align	6
.LBB1659_424:                           ;   in Loop: Header=BB1659_426 Depth=1
	global_load_b64 v[61:62], v[59:60], off
	global_load_b64 v[65:66], v[57:58], off
	v_add_co_u32 v57, vcc_lo, v57, 8
	v_add_co_ci_u32_e32 v58, vcc_lo, 0, v58, vcc_lo
	v_add_co_u32 v59, s0, v59, 8
	s_delay_alu instid0(VALU_DEP_1)
	v_add_co_ci_u32_e64 v60, s0, 0, v60, s0
	s_add_u32 s20, s20, 1
	s_addc_u32 s21, s21, 0
	s_and_not1_b32 s0, s25, exec_lo
	s_waitcnt vmcnt(0)
	v_cmp_ne_u64_e32 vcc_lo, v[61:62], v[65:66]
	s_and_b32 s25, vcc_lo, exec_lo
	s_delay_alu instid0(SALU_CYCLE_1)
	s_or_b32 s25, s0, s25
.LBB1659_425:                           ;   in Loop: Header=BB1659_426 Depth=1
	v_dual_mov_b32 v62, s21 :: v_dual_mov_b32 v61, s20
	s_and_b32 s0, exec_lo, s25
	s_delay_alu instid0(SALU_CYCLE_1) | instskip(NEXT) | instid1(SALU_CYCLE_1)
	s_or_b32 s24, s0, s24
	s_and_not1_b32 exec_lo, exec_lo, s24
	s_cbranch_execz .LBB1659_429
.LBB1659_426:                           ; =>This Inner Loop Header: Depth=1
	s_or_b32 s25, s25, exec_lo
	s_cmp_eq_u64 s[14:15], s[20:21]
	s_cbranch_scc0 .LBB1659_424
; %bb.427:                              ;   in Loop: Header=BB1659_426 Depth=1
	s_mov_b64 s[20:21], s[8:9]
                                        ; implicit-def: $vgpr57_vgpr58
                                        ; implicit-def: $vgpr59_vgpr60
	s_branch .LBB1659_425
.LBB1659_428:
	v_mov_b32_e32 v127, 0
	v_mov_b32_e32 v128, 0
	s_branch .LBB1659_431
.LBB1659_429:
	s_set_inst_prefetch_distance 0x2
	s_or_b32 exec_lo, exec_lo, s24
	v_cmp_gt_i64_e32 vcc_lo, s[8:9], v[61:62]
	s_mov_b32 s0, 0
	s_delay_alu instid0(SALU_CYCLE_1)
	v_mov_b32_e32 v128, s0
	v_cndmask_b32_e64 v127, 0, 1, vcc_lo
.LBB1659_430:
	s_or_b32 exec_lo, exec_lo, s23
.LBB1659_431:
	s_delay_alu instid0(SALU_CYCLE_1) | instskip(SKIP_3) | instid1(VALU_DEP_2)
	s_or_b32 exec_lo, exec_lo, s22
	v_dual_mov_b32 v130, v48 :: v_dual_add_nc_u32 v57, 19, v64
	v_mov_b32_e32 v129, v47
	s_mov_b32 s22, exec_lo
	v_cmpx_gt_u32_e64 s3, v57
	s_cbranch_execz .LBB1659_442
; %bb.432:
	v_cmp_ne_u32_e32 vcc_lo, 1, v63
	s_cbranch_vccnz .LBB1659_439
; %bb.433:
	v_mul_lo_u32 v61, v48, s8
	v_mul_lo_u32 v62, v47, s9
	v_mad_u64_u32 v[57:58], null, v47, s8, 0
	v_mul_lo_u32 v65, v46, s8
	v_mul_lo_u32 v66, v45, s9
	v_mad_u64_u32 v[59:60], null, v45, s8, 0
	v_mov_b32_e32 v129, 1
	v_mov_b32_e32 v130, 0
	v_add3_u32 v58, v58, v62, v61
	s_mov_b32 s23, exec_lo
	s_delay_alu instid0(VALU_DEP_4) | instskip(NEXT) | instid1(VALU_DEP_2)
	v_add3_u32 v60, v60, v66, v65
	v_lshlrev_b64 v[57:58], 3, v[57:58]
	s_delay_alu instid0(VALU_DEP_2) | instskip(NEXT) | instid1(VALU_DEP_2)
	v_lshlrev_b64 v[61:62], 3, v[59:60]
	v_add_co_u32 v59, vcc_lo, s10, v57
	s_delay_alu instid0(VALU_DEP_3) | instskip(NEXT) | instid1(VALU_DEP_3)
	v_add_co_ci_u32_e32 v60, vcc_lo, s11, v58, vcc_lo
	v_add_co_u32 v57, vcc_lo, s10, v61
	s_delay_alu instid0(VALU_DEP_4)
	v_add_co_ci_u32_e32 v58, vcc_lo, s11, v62, vcc_lo
	s_clause 0x1
	global_load_b64 v[61:62], v[59:60], off
	global_load_b64 v[65:66], v[57:58], off
	s_waitcnt vmcnt(0)
	v_cmpx_eq_u64_e64 v[61:62], v[65:66]
	s_cbranch_execz .LBB1659_441
; %bb.434:
	v_add_co_u32 v57, vcc_lo, v57, 8
	v_add_co_ci_u32_e32 v58, vcc_lo, 0, v58, vcc_lo
	v_add_co_u32 v59, vcc_lo, v59, 8
	v_add_co_ci_u32_e32 v60, vcc_lo, 0, v60, vcc_lo
	s_add_u32 s14, s8, -1
	s_addc_u32 s15, s9, -1
	s_mov_b64 s[20:21], 0
	s_mov_b32 s24, 0
                                        ; implicit-def: $sgpr25
	s_set_inst_prefetch_distance 0x1
	s_branch .LBB1659_437
	.p2align	6
.LBB1659_435:                           ;   in Loop: Header=BB1659_437 Depth=1
	global_load_b64 v[61:62], v[59:60], off
	global_load_b64 v[65:66], v[57:58], off
	v_add_co_u32 v57, vcc_lo, v57, 8
	v_add_co_ci_u32_e32 v58, vcc_lo, 0, v58, vcc_lo
	v_add_co_u32 v59, s0, v59, 8
	s_delay_alu instid0(VALU_DEP_1)
	v_add_co_ci_u32_e64 v60, s0, 0, v60, s0
	s_add_u32 s20, s20, 1
	s_addc_u32 s21, s21, 0
	s_and_not1_b32 s0, s25, exec_lo
	s_waitcnt vmcnt(0)
	v_cmp_ne_u64_e32 vcc_lo, v[61:62], v[65:66]
	s_and_b32 s25, vcc_lo, exec_lo
	s_delay_alu instid0(SALU_CYCLE_1)
	s_or_b32 s25, s0, s25
.LBB1659_436:                           ;   in Loop: Header=BB1659_437 Depth=1
	v_dual_mov_b32 v62, s21 :: v_dual_mov_b32 v61, s20
	s_and_b32 s0, exec_lo, s25
	s_delay_alu instid0(SALU_CYCLE_1) | instskip(NEXT) | instid1(SALU_CYCLE_1)
	s_or_b32 s24, s0, s24
	s_and_not1_b32 exec_lo, exec_lo, s24
	s_cbranch_execz .LBB1659_440
.LBB1659_437:                           ; =>This Inner Loop Header: Depth=1
	s_or_b32 s25, s25, exec_lo
	s_cmp_eq_u64 s[14:15], s[20:21]
	s_cbranch_scc0 .LBB1659_435
; %bb.438:                              ;   in Loop: Header=BB1659_437 Depth=1
	s_mov_b64 s[20:21], s[8:9]
                                        ; implicit-def: $vgpr57_vgpr58
                                        ; implicit-def: $vgpr59_vgpr60
	s_branch .LBB1659_436
.LBB1659_439:
	v_mov_b32_e32 v129, 0
	v_mov_b32_e32 v130, 0
	s_branch .LBB1659_442
.LBB1659_440:
	s_set_inst_prefetch_distance 0x2
	s_or_b32 exec_lo, exec_lo, s24
	v_cmp_gt_i64_e32 vcc_lo, s[8:9], v[61:62]
	s_mov_b32 s0, 0
	s_delay_alu instid0(SALU_CYCLE_1)
	v_mov_b32_e32 v130, s0
	v_cndmask_b32_e64 v129, 0, 1, vcc_lo
.LBB1659_441:
	s_or_b32 exec_lo, exec_lo, s23
.LBB1659_442:
	s_delay_alu instid0(SALU_CYCLE_1) | instskip(SKIP_3) | instid1(VALU_DEP_2)
	s_or_b32 exec_lo, exec_lo, s22
	v_dual_mov_b32 v132, v46 :: v_dual_add_nc_u32 v57, 18, v64
	v_mov_b32_e32 v131, v45
	s_mov_b32 s22, exec_lo
	v_cmpx_gt_u32_e64 s3, v57
	s_cbranch_execz .LBB1659_453
; %bb.443:
	v_cmp_ne_u32_e32 vcc_lo, 1, v63
	s_cbranch_vccnz .LBB1659_450
; %bb.444:
	v_mul_lo_u32 v61, v46, s8
	v_mul_lo_u32 v62, v45, s9
	v_mad_u64_u32 v[57:58], null, v45, s8, 0
	v_mul_lo_u32 v65, v44, s8
	v_mul_lo_u32 v66, v43, s9
	v_mad_u64_u32 v[59:60], null, v43, s8, 0
	v_mov_b32_e32 v131, 1
	v_mov_b32_e32 v132, 0
	v_add3_u32 v58, v58, v62, v61
	s_mov_b32 s23, exec_lo
	s_delay_alu instid0(VALU_DEP_4) | instskip(NEXT) | instid1(VALU_DEP_2)
	v_add3_u32 v60, v60, v66, v65
	v_lshlrev_b64 v[57:58], 3, v[57:58]
	s_delay_alu instid0(VALU_DEP_2) | instskip(NEXT) | instid1(VALU_DEP_2)
	v_lshlrev_b64 v[61:62], 3, v[59:60]
	v_add_co_u32 v59, vcc_lo, s10, v57
	s_delay_alu instid0(VALU_DEP_3) | instskip(NEXT) | instid1(VALU_DEP_3)
	v_add_co_ci_u32_e32 v60, vcc_lo, s11, v58, vcc_lo
	v_add_co_u32 v57, vcc_lo, s10, v61
	s_delay_alu instid0(VALU_DEP_4)
	v_add_co_ci_u32_e32 v58, vcc_lo, s11, v62, vcc_lo
	s_clause 0x1
	global_load_b64 v[61:62], v[59:60], off
	global_load_b64 v[65:66], v[57:58], off
	s_waitcnt vmcnt(0)
	v_cmpx_eq_u64_e64 v[61:62], v[65:66]
	s_cbranch_execz .LBB1659_452
; %bb.445:
	v_add_co_u32 v57, vcc_lo, v57, 8
	v_add_co_ci_u32_e32 v58, vcc_lo, 0, v58, vcc_lo
	v_add_co_u32 v59, vcc_lo, v59, 8
	v_add_co_ci_u32_e32 v60, vcc_lo, 0, v60, vcc_lo
	s_add_u32 s14, s8, -1
	s_addc_u32 s15, s9, -1
	s_mov_b64 s[20:21], 0
	s_mov_b32 s24, 0
                                        ; implicit-def: $sgpr25
	s_set_inst_prefetch_distance 0x1
	s_branch .LBB1659_448
	.p2align	6
.LBB1659_446:                           ;   in Loop: Header=BB1659_448 Depth=1
	global_load_b64 v[61:62], v[59:60], off
	global_load_b64 v[65:66], v[57:58], off
	v_add_co_u32 v57, vcc_lo, v57, 8
	v_add_co_ci_u32_e32 v58, vcc_lo, 0, v58, vcc_lo
	v_add_co_u32 v59, s0, v59, 8
	s_delay_alu instid0(VALU_DEP_1)
	v_add_co_ci_u32_e64 v60, s0, 0, v60, s0
	s_add_u32 s20, s20, 1
	s_addc_u32 s21, s21, 0
	s_and_not1_b32 s0, s25, exec_lo
	s_waitcnt vmcnt(0)
	v_cmp_ne_u64_e32 vcc_lo, v[61:62], v[65:66]
	s_and_b32 s25, vcc_lo, exec_lo
	s_delay_alu instid0(SALU_CYCLE_1)
	s_or_b32 s25, s0, s25
.LBB1659_447:                           ;   in Loop: Header=BB1659_448 Depth=1
	v_dual_mov_b32 v62, s21 :: v_dual_mov_b32 v61, s20
	s_and_b32 s0, exec_lo, s25
	s_delay_alu instid0(SALU_CYCLE_1) | instskip(NEXT) | instid1(SALU_CYCLE_1)
	s_or_b32 s24, s0, s24
	s_and_not1_b32 exec_lo, exec_lo, s24
	s_cbranch_execz .LBB1659_451
.LBB1659_448:                           ; =>This Inner Loop Header: Depth=1
	s_or_b32 s25, s25, exec_lo
	s_cmp_eq_u64 s[14:15], s[20:21]
	s_cbranch_scc0 .LBB1659_446
; %bb.449:                              ;   in Loop: Header=BB1659_448 Depth=1
	s_mov_b64 s[20:21], s[8:9]
                                        ; implicit-def: $vgpr57_vgpr58
                                        ; implicit-def: $vgpr59_vgpr60
	s_branch .LBB1659_447
.LBB1659_450:
	v_mov_b32_e32 v131, 0
	v_mov_b32_e32 v132, 0
	s_branch .LBB1659_453
.LBB1659_451:
	s_set_inst_prefetch_distance 0x2
	s_or_b32 exec_lo, exec_lo, s24
	v_cmp_gt_i64_e32 vcc_lo, s[8:9], v[61:62]
	s_mov_b32 s0, 0
	s_delay_alu instid0(SALU_CYCLE_1)
	v_mov_b32_e32 v132, s0
	v_cndmask_b32_e64 v131, 0, 1, vcc_lo
.LBB1659_452:
	s_or_b32 exec_lo, exec_lo, s23
.LBB1659_453:
	s_delay_alu instid0(SALU_CYCLE_1) | instskip(SKIP_3) | instid1(VALU_DEP_2)
	s_or_b32 exec_lo, exec_lo, s22
	v_dual_mov_b32 v134, v44 :: v_dual_add_nc_u32 v57, 17, v64
	v_mov_b32_e32 v133, v43
	s_mov_b32 s22, exec_lo
	v_cmpx_gt_u32_e64 s3, v57
	s_cbranch_execz .LBB1659_464
; %bb.454:
	v_cmp_ne_u32_e32 vcc_lo, 1, v63
	s_cbranch_vccnz .LBB1659_461
; %bb.455:
	v_mul_lo_u32 v61, v44, s8
	v_mul_lo_u32 v62, v43, s9
	v_mad_u64_u32 v[57:58], null, v43, s8, 0
	v_mul_lo_u32 v65, v42, s8
	v_mul_lo_u32 v66, v41, s9
	v_mad_u64_u32 v[59:60], null, v41, s8, 0
	v_mov_b32_e32 v133, 1
	v_mov_b32_e32 v134, 0
	v_add3_u32 v58, v58, v62, v61
	s_mov_b32 s23, exec_lo
	s_delay_alu instid0(VALU_DEP_4) | instskip(NEXT) | instid1(VALU_DEP_2)
	v_add3_u32 v60, v60, v66, v65
	v_lshlrev_b64 v[57:58], 3, v[57:58]
	s_delay_alu instid0(VALU_DEP_2) | instskip(NEXT) | instid1(VALU_DEP_2)
	v_lshlrev_b64 v[61:62], 3, v[59:60]
	v_add_co_u32 v59, vcc_lo, s10, v57
	s_delay_alu instid0(VALU_DEP_3) | instskip(NEXT) | instid1(VALU_DEP_3)
	v_add_co_ci_u32_e32 v60, vcc_lo, s11, v58, vcc_lo
	v_add_co_u32 v57, vcc_lo, s10, v61
	s_delay_alu instid0(VALU_DEP_4)
	v_add_co_ci_u32_e32 v58, vcc_lo, s11, v62, vcc_lo
	s_clause 0x1
	global_load_b64 v[61:62], v[59:60], off
	global_load_b64 v[65:66], v[57:58], off
	s_waitcnt vmcnt(0)
	v_cmpx_eq_u64_e64 v[61:62], v[65:66]
	s_cbranch_execz .LBB1659_463
; %bb.456:
	v_add_co_u32 v57, vcc_lo, v57, 8
	v_add_co_ci_u32_e32 v58, vcc_lo, 0, v58, vcc_lo
	v_add_co_u32 v59, vcc_lo, v59, 8
	v_add_co_ci_u32_e32 v60, vcc_lo, 0, v60, vcc_lo
	s_add_u32 s14, s8, -1
	s_addc_u32 s15, s9, -1
	s_mov_b64 s[20:21], 0
	s_mov_b32 s24, 0
                                        ; implicit-def: $sgpr25
	s_set_inst_prefetch_distance 0x1
	s_branch .LBB1659_459
	.p2align	6
.LBB1659_457:                           ;   in Loop: Header=BB1659_459 Depth=1
	global_load_b64 v[61:62], v[59:60], off
	global_load_b64 v[65:66], v[57:58], off
	v_add_co_u32 v57, vcc_lo, v57, 8
	v_add_co_ci_u32_e32 v58, vcc_lo, 0, v58, vcc_lo
	v_add_co_u32 v59, s0, v59, 8
	s_delay_alu instid0(VALU_DEP_1)
	v_add_co_ci_u32_e64 v60, s0, 0, v60, s0
	s_add_u32 s20, s20, 1
	s_addc_u32 s21, s21, 0
	s_and_not1_b32 s0, s25, exec_lo
	s_waitcnt vmcnt(0)
	v_cmp_ne_u64_e32 vcc_lo, v[61:62], v[65:66]
	s_and_b32 s25, vcc_lo, exec_lo
	s_delay_alu instid0(SALU_CYCLE_1)
	s_or_b32 s25, s0, s25
.LBB1659_458:                           ;   in Loop: Header=BB1659_459 Depth=1
	v_dual_mov_b32 v62, s21 :: v_dual_mov_b32 v61, s20
	s_and_b32 s0, exec_lo, s25
	s_delay_alu instid0(SALU_CYCLE_1) | instskip(NEXT) | instid1(SALU_CYCLE_1)
	s_or_b32 s24, s0, s24
	s_and_not1_b32 exec_lo, exec_lo, s24
	s_cbranch_execz .LBB1659_462
.LBB1659_459:                           ; =>This Inner Loop Header: Depth=1
	s_or_b32 s25, s25, exec_lo
	s_cmp_eq_u64 s[14:15], s[20:21]
	s_cbranch_scc0 .LBB1659_457
; %bb.460:                              ;   in Loop: Header=BB1659_459 Depth=1
	s_mov_b64 s[20:21], s[8:9]
                                        ; implicit-def: $vgpr57_vgpr58
                                        ; implicit-def: $vgpr59_vgpr60
	s_branch .LBB1659_458
.LBB1659_461:
	v_mov_b32_e32 v133, 0
	v_mov_b32_e32 v134, 0
	s_branch .LBB1659_464
.LBB1659_462:
	s_set_inst_prefetch_distance 0x2
	s_or_b32 exec_lo, exec_lo, s24
	v_cmp_gt_i64_e32 vcc_lo, s[8:9], v[61:62]
	s_mov_b32 s0, 0
	s_delay_alu instid0(SALU_CYCLE_1)
	v_mov_b32_e32 v134, s0
	v_cndmask_b32_e64 v133, 0, 1, vcc_lo
.LBB1659_463:
	s_or_b32 exec_lo, exec_lo, s23
.LBB1659_464:
	s_delay_alu instid0(SALU_CYCLE_1) | instskip(SKIP_3) | instid1(VALU_DEP_2)
	s_or_b32 exec_lo, exec_lo, s22
	v_dual_mov_b32 v136, v42 :: v_dual_add_nc_u32 v57, 16, v64
	v_mov_b32_e32 v135, v41
	s_mov_b32 s22, exec_lo
	v_cmpx_gt_u32_e64 s3, v57
	s_cbranch_execz .LBB1659_475
; %bb.465:
	v_cmp_ne_u32_e32 vcc_lo, 1, v63
	s_cbranch_vccnz .LBB1659_472
; %bb.466:
	v_mul_lo_u32 v61, v42, s8
	v_mul_lo_u32 v62, v41, s9
	v_mad_u64_u32 v[57:58], null, v41, s8, 0
	v_mul_lo_u32 v65, v40, s8
	v_mul_lo_u32 v66, v39, s9
	v_mad_u64_u32 v[59:60], null, v39, s8, 0
	v_mov_b32_e32 v135, 1
	v_mov_b32_e32 v136, 0
	v_add3_u32 v58, v58, v62, v61
	s_mov_b32 s23, exec_lo
	s_delay_alu instid0(VALU_DEP_4) | instskip(NEXT) | instid1(VALU_DEP_2)
	v_add3_u32 v60, v60, v66, v65
	v_lshlrev_b64 v[57:58], 3, v[57:58]
	s_delay_alu instid0(VALU_DEP_2) | instskip(NEXT) | instid1(VALU_DEP_2)
	v_lshlrev_b64 v[61:62], 3, v[59:60]
	v_add_co_u32 v59, vcc_lo, s10, v57
	s_delay_alu instid0(VALU_DEP_3) | instskip(NEXT) | instid1(VALU_DEP_3)
	v_add_co_ci_u32_e32 v60, vcc_lo, s11, v58, vcc_lo
	v_add_co_u32 v57, vcc_lo, s10, v61
	s_delay_alu instid0(VALU_DEP_4)
	v_add_co_ci_u32_e32 v58, vcc_lo, s11, v62, vcc_lo
	s_clause 0x1
	global_load_b64 v[61:62], v[59:60], off
	global_load_b64 v[65:66], v[57:58], off
	s_waitcnt vmcnt(0)
	v_cmpx_eq_u64_e64 v[61:62], v[65:66]
	s_cbranch_execz .LBB1659_474
; %bb.467:
	v_add_co_u32 v57, vcc_lo, v57, 8
	v_add_co_ci_u32_e32 v58, vcc_lo, 0, v58, vcc_lo
	v_add_co_u32 v59, vcc_lo, v59, 8
	v_add_co_ci_u32_e32 v60, vcc_lo, 0, v60, vcc_lo
	s_add_u32 s14, s8, -1
	s_addc_u32 s15, s9, -1
	s_mov_b64 s[20:21], 0
	s_mov_b32 s24, 0
                                        ; implicit-def: $sgpr25
	s_set_inst_prefetch_distance 0x1
	s_branch .LBB1659_470
	.p2align	6
.LBB1659_468:                           ;   in Loop: Header=BB1659_470 Depth=1
	global_load_b64 v[61:62], v[59:60], off
	global_load_b64 v[65:66], v[57:58], off
	v_add_co_u32 v57, vcc_lo, v57, 8
	v_add_co_ci_u32_e32 v58, vcc_lo, 0, v58, vcc_lo
	v_add_co_u32 v59, s0, v59, 8
	s_delay_alu instid0(VALU_DEP_1)
	v_add_co_ci_u32_e64 v60, s0, 0, v60, s0
	s_add_u32 s20, s20, 1
	s_addc_u32 s21, s21, 0
	s_and_not1_b32 s0, s25, exec_lo
	s_waitcnt vmcnt(0)
	v_cmp_ne_u64_e32 vcc_lo, v[61:62], v[65:66]
	s_and_b32 s25, vcc_lo, exec_lo
	s_delay_alu instid0(SALU_CYCLE_1)
	s_or_b32 s25, s0, s25
.LBB1659_469:                           ;   in Loop: Header=BB1659_470 Depth=1
	v_dual_mov_b32 v62, s21 :: v_dual_mov_b32 v61, s20
	s_and_b32 s0, exec_lo, s25
	s_delay_alu instid0(SALU_CYCLE_1) | instskip(NEXT) | instid1(SALU_CYCLE_1)
	s_or_b32 s24, s0, s24
	s_and_not1_b32 exec_lo, exec_lo, s24
	s_cbranch_execz .LBB1659_473
.LBB1659_470:                           ; =>This Inner Loop Header: Depth=1
	s_or_b32 s25, s25, exec_lo
	s_cmp_eq_u64 s[14:15], s[20:21]
	s_cbranch_scc0 .LBB1659_468
; %bb.471:                              ;   in Loop: Header=BB1659_470 Depth=1
	s_mov_b64 s[20:21], s[8:9]
                                        ; implicit-def: $vgpr57_vgpr58
                                        ; implicit-def: $vgpr59_vgpr60
	s_branch .LBB1659_469
.LBB1659_472:
	v_mov_b32_e32 v135, 0
	v_mov_b32_e32 v136, 0
	s_branch .LBB1659_475
.LBB1659_473:
	s_set_inst_prefetch_distance 0x2
	s_or_b32 exec_lo, exec_lo, s24
	v_cmp_gt_i64_e32 vcc_lo, s[8:9], v[61:62]
	s_mov_b32 s0, 0
	s_delay_alu instid0(SALU_CYCLE_1)
	v_mov_b32_e32 v136, s0
	v_cndmask_b32_e64 v135, 0, 1, vcc_lo
.LBB1659_474:
	s_or_b32 exec_lo, exec_lo, s23
.LBB1659_475:
	s_delay_alu instid0(SALU_CYCLE_1) | instskip(SKIP_3) | instid1(VALU_DEP_2)
	s_or_b32 exec_lo, exec_lo, s22
	v_dual_mov_b32 v138, v40 :: v_dual_add_nc_u32 v57, 15, v64
	v_mov_b32_e32 v137, v39
	s_mov_b32 s22, exec_lo
	v_cmpx_gt_u32_e64 s3, v57
	s_cbranch_execz .LBB1659_486
; %bb.476:
	v_cmp_ne_u32_e32 vcc_lo, 1, v63
	s_cbranch_vccnz .LBB1659_483
; %bb.477:
	v_mul_lo_u32 v61, v40, s8
	v_mul_lo_u32 v62, v39, s9
	v_mad_u64_u32 v[57:58], null, v39, s8, 0
	v_mul_lo_u32 v65, v38, s8
	v_mul_lo_u32 v66, v37, s9
	v_mad_u64_u32 v[59:60], null, v37, s8, 0
	v_mov_b32_e32 v137, 1
	v_mov_b32_e32 v138, 0
	v_add3_u32 v58, v58, v62, v61
	s_mov_b32 s23, exec_lo
	s_delay_alu instid0(VALU_DEP_4) | instskip(NEXT) | instid1(VALU_DEP_2)
	v_add3_u32 v60, v60, v66, v65
	v_lshlrev_b64 v[57:58], 3, v[57:58]
	s_delay_alu instid0(VALU_DEP_2) | instskip(NEXT) | instid1(VALU_DEP_2)
	v_lshlrev_b64 v[61:62], 3, v[59:60]
	v_add_co_u32 v59, vcc_lo, s10, v57
	s_delay_alu instid0(VALU_DEP_3) | instskip(NEXT) | instid1(VALU_DEP_3)
	v_add_co_ci_u32_e32 v60, vcc_lo, s11, v58, vcc_lo
	v_add_co_u32 v57, vcc_lo, s10, v61
	s_delay_alu instid0(VALU_DEP_4)
	v_add_co_ci_u32_e32 v58, vcc_lo, s11, v62, vcc_lo
	s_clause 0x1
	global_load_b64 v[61:62], v[59:60], off
	global_load_b64 v[65:66], v[57:58], off
	s_waitcnt vmcnt(0)
	v_cmpx_eq_u64_e64 v[61:62], v[65:66]
	s_cbranch_execz .LBB1659_485
; %bb.478:
	v_add_co_u32 v57, vcc_lo, v57, 8
	v_add_co_ci_u32_e32 v58, vcc_lo, 0, v58, vcc_lo
	v_add_co_u32 v59, vcc_lo, v59, 8
	v_add_co_ci_u32_e32 v60, vcc_lo, 0, v60, vcc_lo
	s_add_u32 s14, s8, -1
	s_addc_u32 s15, s9, -1
	s_mov_b64 s[20:21], 0
	s_mov_b32 s24, 0
                                        ; implicit-def: $sgpr25
	s_set_inst_prefetch_distance 0x1
	s_branch .LBB1659_481
	.p2align	6
.LBB1659_479:                           ;   in Loop: Header=BB1659_481 Depth=1
	global_load_b64 v[61:62], v[59:60], off
	global_load_b64 v[65:66], v[57:58], off
	v_add_co_u32 v57, vcc_lo, v57, 8
	v_add_co_ci_u32_e32 v58, vcc_lo, 0, v58, vcc_lo
	v_add_co_u32 v59, s0, v59, 8
	s_delay_alu instid0(VALU_DEP_1)
	v_add_co_ci_u32_e64 v60, s0, 0, v60, s0
	s_add_u32 s20, s20, 1
	s_addc_u32 s21, s21, 0
	s_and_not1_b32 s0, s25, exec_lo
	s_waitcnt vmcnt(0)
	v_cmp_ne_u64_e32 vcc_lo, v[61:62], v[65:66]
	s_and_b32 s25, vcc_lo, exec_lo
	s_delay_alu instid0(SALU_CYCLE_1)
	s_or_b32 s25, s0, s25
.LBB1659_480:                           ;   in Loop: Header=BB1659_481 Depth=1
	v_dual_mov_b32 v62, s21 :: v_dual_mov_b32 v61, s20
	s_and_b32 s0, exec_lo, s25
	s_delay_alu instid0(SALU_CYCLE_1) | instskip(NEXT) | instid1(SALU_CYCLE_1)
	s_or_b32 s24, s0, s24
	s_and_not1_b32 exec_lo, exec_lo, s24
	s_cbranch_execz .LBB1659_484
.LBB1659_481:                           ; =>This Inner Loop Header: Depth=1
	s_or_b32 s25, s25, exec_lo
	s_cmp_eq_u64 s[14:15], s[20:21]
	s_cbranch_scc0 .LBB1659_479
; %bb.482:                              ;   in Loop: Header=BB1659_481 Depth=1
	s_mov_b64 s[20:21], s[8:9]
                                        ; implicit-def: $vgpr57_vgpr58
                                        ; implicit-def: $vgpr59_vgpr60
	s_branch .LBB1659_480
.LBB1659_483:
	v_mov_b32_e32 v137, 0
	v_mov_b32_e32 v138, 0
	s_branch .LBB1659_486
.LBB1659_484:
	s_set_inst_prefetch_distance 0x2
	s_or_b32 exec_lo, exec_lo, s24
	v_cmp_gt_i64_e32 vcc_lo, s[8:9], v[61:62]
	s_mov_b32 s0, 0
	s_delay_alu instid0(SALU_CYCLE_1)
	v_mov_b32_e32 v138, s0
	v_cndmask_b32_e64 v137, 0, 1, vcc_lo
.LBB1659_485:
	s_or_b32 exec_lo, exec_lo, s23
.LBB1659_486:
	s_delay_alu instid0(SALU_CYCLE_1) | instskip(SKIP_3) | instid1(VALU_DEP_2)
	s_or_b32 exec_lo, exec_lo, s22
	v_dual_mov_b32 v140, v38 :: v_dual_add_nc_u32 v57, 14, v64
	v_mov_b32_e32 v139, v37
	s_mov_b32 s22, exec_lo
	v_cmpx_gt_u32_e64 s3, v57
	s_cbranch_execz .LBB1659_497
; %bb.487:
	v_cmp_ne_u32_e32 vcc_lo, 1, v63
	s_cbranch_vccnz .LBB1659_494
; %bb.488:
	v_mul_lo_u32 v61, v38, s8
	v_mul_lo_u32 v62, v37, s9
	v_mad_u64_u32 v[57:58], null, v37, s8, 0
	v_mul_lo_u32 v65, v36, s8
	v_mul_lo_u32 v66, v35, s9
	v_mad_u64_u32 v[59:60], null, v35, s8, 0
	v_mov_b32_e32 v139, 1
	v_mov_b32_e32 v140, 0
	v_add3_u32 v58, v58, v62, v61
	s_mov_b32 s23, exec_lo
	s_delay_alu instid0(VALU_DEP_4) | instskip(NEXT) | instid1(VALU_DEP_2)
	v_add3_u32 v60, v60, v66, v65
	v_lshlrev_b64 v[57:58], 3, v[57:58]
	s_delay_alu instid0(VALU_DEP_2) | instskip(NEXT) | instid1(VALU_DEP_2)
	v_lshlrev_b64 v[61:62], 3, v[59:60]
	v_add_co_u32 v59, vcc_lo, s10, v57
	s_delay_alu instid0(VALU_DEP_3) | instskip(NEXT) | instid1(VALU_DEP_3)
	v_add_co_ci_u32_e32 v60, vcc_lo, s11, v58, vcc_lo
	v_add_co_u32 v57, vcc_lo, s10, v61
	s_delay_alu instid0(VALU_DEP_4)
	v_add_co_ci_u32_e32 v58, vcc_lo, s11, v62, vcc_lo
	s_clause 0x1
	global_load_b64 v[61:62], v[59:60], off
	global_load_b64 v[65:66], v[57:58], off
	s_waitcnt vmcnt(0)
	v_cmpx_eq_u64_e64 v[61:62], v[65:66]
	s_cbranch_execz .LBB1659_496
; %bb.489:
	v_add_co_u32 v57, vcc_lo, v57, 8
	v_add_co_ci_u32_e32 v58, vcc_lo, 0, v58, vcc_lo
	v_add_co_u32 v59, vcc_lo, v59, 8
	v_add_co_ci_u32_e32 v60, vcc_lo, 0, v60, vcc_lo
	s_add_u32 s14, s8, -1
	s_addc_u32 s15, s9, -1
	s_mov_b64 s[20:21], 0
	s_mov_b32 s24, 0
                                        ; implicit-def: $sgpr25
	s_set_inst_prefetch_distance 0x1
	s_branch .LBB1659_492
	.p2align	6
.LBB1659_490:                           ;   in Loop: Header=BB1659_492 Depth=1
	global_load_b64 v[61:62], v[59:60], off
	global_load_b64 v[65:66], v[57:58], off
	v_add_co_u32 v57, vcc_lo, v57, 8
	v_add_co_ci_u32_e32 v58, vcc_lo, 0, v58, vcc_lo
	v_add_co_u32 v59, s0, v59, 8
	s_delay_alu instid0(VALU_DEP_1)
	v_add_co_ci_u32_e64 v60, s0, 0, v60, s0
	s_add_u32 s20, s20, 1
	s_addc_u32 s21, s21, 0
	s_and_not1_b32 s0, s25, exec_lo
	s_waitcnt vmcnt(0)
	v_cmp_ne_u64_e32 vcc_lo, v[61:62], v[65:66]
	s_and_b32 s25, vcc_lo, exec_lo
	s_delay_alu instid0(SALU_CYCLE_1)
	s_or_b32 s25, s0, s25
.LBB1659_491:                           ;   in Loop: Header=BB1659_492 Depth=1
	v_dual_mov_b32 v62, s21 :: v_dual_mov_b32 v61, s20
	s_and_b32 s0, exec_lo, s25
	s_delay_alu instid0(SALU_CYCLE_1) | instskip(NEXT) | instid1(SALU_CYCLE_1)
	s_or_b32 s24, s0, s24
	s_and_not1_b32 exec_lo, exec_lo, s24
	s_cbranch_execz .LBB1659_495
.LBB1659_492:                           ; =>This Inner Loop Header: Depth=1
	s_or_b32 s25, s25, exec_lo
	s_cmp_eq_u64 s[14:15], s[20:21]
	s_cbranch_scc0 .LBB1659_490
; %bb.493:                              ;   in Loop: Header=BB1659_492 Depth=1
	s_mov_b64 s[20:21], s[8:9]
                                        ; implicit-def: $vgpr57_vgpr58
                                        ; implicit-def: $vgpr59_vgpr60
	s_branch .LBB1659_491
.LBB1659_494:
	v_mov_b32_e32 v139, 0
	v_mov_b32_e32 v140, 0
	s_branch .LBB1659_497
.LBB1659_495:
	s_set_inst_prefetch_distance 0x2
	s_or_b32 exec_lo, exec_lo, s24
	v_cmp_gt_i64_e32 vcc_lo, s[8:9], v[61:62]
	s_mov_b32 s0, 0
	s_delay_alu instid0(SALU_CYCLE_1)
	v_mov_b32_e32 v140, s0
	v_cndmask_b32_e64 v139, 0, 1, vcc_lo
.LBB1659_496:
	s_or_b32 exec_lo, exec_lo, s23
.LBB1659_497:
	s_delay_alu instid0(SALU_CYCLE_1) | instskip(SKIP_3) | instid1(VALU_DEP_2)
	s_or_b32 exec_lo, exec_lo, s22
	v_dual_mov_b32 v142, v36 :: v_dual_add_nc_u32 v57, 13, v64
	v_mov_b32_e32 v141, v35
	s_mov_b32 s22, exec_lo
	v_cmpx_gt_u32_e64 s3, v57
	s_cbranch_execz .LBB1659_508
; %bb.498:
	v_cmp_ne_u32_e32 vcc_lo, 1, v63
	s_cbranch_vccnz .LBB1659_505
; %bb.499:
	v_mul_lo_u32 v61, v36, s8
	v_mul_lo_u32 v62, v35, s9
	v_mad_u64_u32 v[57:58], null, v35, s8, 0
	v_mul_lo_u32 v65, v34, s8
	v_mul_lo_u32 v66, v33, s9
	v_mad_u64_u32 v[59:60], null, v33, s8, 0
	v_mov_b32_e32 v141, 1
	v_mov_b32_e32 v142, 0
	v_add3_u32 v58, v58, v62, v61
	s_mov_b32 s23, exec_lo
	s_delay_alu instid0(VALU_DEP_4) | instskip(NEXT) | instid1(VALU_DEP_2)
	v_add3_u32 v60, v60, v66, v65
	v_lshlrev_b64 v[57:58], 3, v[57:58]
	s_delay_alu instid0(VALU_DEP_2) | instskip(NEXT) | instid1(VALU_DEP_2)
	v_lshlrev_b64 v[61:62], 3, v[59:60]
	v_add_co_u32 v59, vcc_lo, s10, v57
	s_delay_alu instid0(VALU_DEP_3) | instskip(NEXT) | instid1(VALU_DEP_3)
	v_add_co_ci_u32_e32 v60, vcc_lo, s11, v58, vcc_lo
	v_add_co_u32 v57, vcc_lo, s10, v61
	s_delay_alu instid0(VALU_DEP_4)
	v_add_co_ci_u32_e32 v58, vcc_lo, s11, v62, vcc_lo
	s_clause 0x1
	global_load_b64 v[61:62], v[59:60], off
	global_load_b64 v[65:66], v[57:58], off
	s_waitcnt vmcnt(0)
	v_cmpx_eq_u64_e64 v[61:62], v[65:66]
	s_cbranch_execz .LBB1659_507
; %bb.500:
	v_add_co_u32 v57, vcc_lo, v57, 8
	v_add_co_ci_u32_e32 v58, vcc_lo, 0, v58, vcc_lo
	v_add_co_u32 v59, vcc_lo, v59, 8
	v_add_co_ci_u32_e32 v60, vcc_lo, 0, v60, vcc_lo
	s_add_u32 s14, s8, -1
	s_addc_u32 s15, s9, -1
	s_mov_b64 s[20:21], 0
	s_mov_b32 s24, 0
                                        ; implicit-def: $sgpr25
	s_set_inst_prefetch_distance 0x1
	s_branch .LBB1659_503
	.p2align	6
.LBB1659_501:                           ;   in Loop: Header=BB1659_503 Depth=1
	global_load_b64 v[61:62], v[59:60], off
	global_load_b64 v[65:66], v[57:58], off
	v_add_co_u32 v57, vcc_lo, v57, 8
	v_add_co_ci_u32_e32 v58, vcc_lo, 0, v58, vcc_lo
	v_add_co_u32 v59, s0, v59, 8
	s_delay_alu instid0(VALU_DEP_1)
	v_add_co_ci_u32_e64 v60, s0, 0, v60, s0
	s_add_u32 s20, s20, 1
	s_addc_u32 s21, s21, 0
	s_and_not1_b32 s0, s25, exec_lo
	s_waitcnt vmcnt(0)
	v_cmp_ne_u64_e32 vcc_lo, v[61:62], v[65:66]
	s_and_b32 s25, vcc_lo, exec_lo
	s_delay_alu instid0(SALU_CYCLE_1)
	s_or_b32 s25, s0, s25
.LBB1659_502:                           ;   in Loop: Header=BB1659_503 Depth=1
	v_dual_mov_b32 v62, s21 :: v_dual_mov_b32 v61, s20
	s_and_b32 s0, exec_lo, s25
	s_delay_alu instid0(SALU_CYCLE_1) | instskip(NEXT) | instid1(SALU_CYCLE_1)
	s_or_b32 s24, s0, s24
	s_and_not1_b32 exec_lo, exec_lo, s24
	s_cbranch_execz .LBB1659_506
.LBB1659_503:                           ; =>This Inner Loop Header: Depth=1
	s_or_b32 s25, s25, exec_lo
	s_cmp_eq_u64 s[14:15], s[20:21]
	s_cbranch_scc0 .LBB1659_501
; %bb.504:                              ;   in Loop: Header=BB1659_503 Depth=1
	s_mov_b64 s[20:21], s[8:9]
                                        ; implicit-def: $vgpr57_vgpr58
                                        ; implicit-def: $vgpr59_vgpr60
	s_branch .LBB1659_502
.LBB1659_505:
	v_mov_b32_e32 v141, 0
	v_mov_b32_e32 v142, 0
	s_branch .LBB1659_508
.LBB1659_506:
	s_set_inst_prefetch_distance 0x2
	s_or_b32 exec_lo, exec_lo, s24
	v_cmp_gt_i64_e32 vcc_lo, s[8:9], v[61:62]
	s_mov_b32 s0, 0
	s_delay_alu instid0(SALU_CYCLE_1)
	v_mov_b32_e32 v142, s0
	v_cndmask_b32_e64 v141, 0, 1, vcc_lo
.LBB1659_507:
	s_or_b32 exec_lo, exec_lo, s23
.LBB1659_508:
	s_delay_alu instid0(SALU_CYCLE_1) | instskip(SKIP_3) | instid1(VALU_DEP_2)
	s_or_b32 exec_lo, exec_lo, s22
	v_dual_mov_b32 v144, v34 :: v_dual_add_nc_u32 v57, 12, v64
	v_mov_b32_e32 v143, v33
	s_mov_b32 s22, exec_lo
	v_cmpx_gt_u32_e64 s3, v57
	s_cbranch_execz .LBB1659_519
; %bb.509:
	v_cmp_ne_u32_e32 vcc_lo, 1, v63
	s_cbranch_vccnz .LBB1659_516
; %bb.510:
	v_mul_lo_u32 v61, v34, s8
	v_mul_lo_u32 v62, v33, s9
	v_mad_u64_u32 v[57:58], null, v33, s8, 0
	v_mul_lo_u32 v65, v32, s8
	v_mul_lo_u32 v66, v31, s9
	v_mad_u64_u32 v[59:60], null, v31, s8, 0
	v_mov_b32_e32 v143, 1
	v_mov_b32_e32 v144, 0
	v_add3_u32 v58, v58, v62, v61
	s_mov_b32 s23, exec_lo
	s_delay_alu instid0(VALU_DEP_4) | instskip(NEXT) | instid1(VALU_DEP_2)
	v_add3_u32 v60, v60, v66, v65
	v_lshlrev_b64 v[57:58], 3, v[57:58]
	s_delay_alu instid0(VALU_DEP_2) | instskip(NEXT) | instid1(VALU_DEP_2)
	v_lshlrev_b64 v[61:62], 3, v[59:60]
	v_add_co_u32 v59, vcc_lo, s10, v57
	s_delay_alu instid0(VALU_DEP_3) | instskip(NEXT) | instid1(VALU_DEP_3)
	v_add_co_ci_u32_e32 v60, vcc_lo, s11, v58, vcc_lo
	v_add_co_u32 v57, vcc_lo, s10, v61
	s_delay_alu instid0(VALU_DEP_4)
	v_add_co_ci_u32_e32 v58, vcc_lo, s11, v62, vcc_lo
	s_clause 0x1
	global_load_b64 v[61:62], v[59:60], off
	global_load_b64 v[65:66], v[57:58], off
	s_waitcnt vmcnt(0)
	v_cmpx_eq_u64_e64 v[61:62], v[65:66]
	s_cbranch_execz .LBB1659_518
; %bb.511:
	v_add_co_u32 v57, vcc_lo, v57, 8
	v_add_co_ci_u32_e32 v58, vcc_lo, 0, v58, vcc_lo
	v_add_co_u32 v59, vcc_lo, v59, 8
	v_add_co_ci_u32_e32 v60, vcc_lo, 0, v60, vcc_lo
	s_add_u32 s14, s8, -1
	s_addc_u32 s15, s9, -1
	s_mov_b64 s[20:21], 0
	s_mov_b32 s24, 0
                                        ; implicit-def: $sgpr25
	s_set_inst_prefetch_distance 0x1
	s_branch .LBB1659_514
	.p2align	6
.LBB1659_512:                           ;   in Loop: Header=BB1659_514 Depth=1
	global_load_b64 v[61:62], v[59:60], off
	global_load_b64 v[65:66], v[57:58], off
	v_add_co_u32 v57, vcc_lo, v57, 8
	v_add_co_ci_u32_e32 v58, vcc_lo, 0, v58, vcc_lo
	v_add_co_u32 v59, s0, v59, 8
	s_delay_alu instid0(VALU_DEP_1)
	v_add_co_ci_u32_e64 v60, s0, 0, v60, s0
	s_add_u32 s20, s20, 1
	s_addc_u32 s21, s21, 0
	s_and_not1_b32 s0, s25, exec_lo
	s_waitcnt vmcnt(0)
	v_cmp_ne_u64_e32 vcc_lo, v[61:62], v[65:66]
	s_and_b32 s25, vcc_lo, exec_lo
	s_delay_alu instid0(SALU_CYCLE_1)
	s_or_b32 s25, s0, s25
.LBB1659_513:                           ;   in Loop: Header=BB1659_514 Depth=1
	v_dual_mov_b32 v62, s21 :: v_dual_mov_b32 v61, s20
	s_and_b32 s0, exec_lo, s25
	s_delay_alu instid0(SALU_CYCLE_1) | instskip(NEXT) | instid1(SALU_CYCLE_1)
	s_or_b32 s24, s0, s24
	s_and_not1_b32 exec_lo, exec_lo, s24
	s_cbranch_execz .LBB1659_517
.LBB1659_514:                           ; =>This Inner Loop Header: Depth=1
	s_or_b32 s25, s25, exec_lo
	s_cmp_eq_u64 s[14:15], s[20:21]
	s_cbranch_scc0 .LBB1659_512
; %bb.515:                              ;   in Loop: Header=BB1659_514 Depth=1
	s_mov_b64 s[20:21], s[8:9]
                                        ; implicit-def: $vgpr57_vgpr58
                                        ; implicit-def: $vgpr59_vgpr60
	s_branch .LBB1659_513
.LBB1659_516:
	v_mov_b32_e32 v143, 0
	v_mov_b32_e32 v144, 0
	s_branch .LBB1659_519
.LBB1659_517:
	s_set_inst_prefetch_distance 0x2
	s_or_b32 exec_lo, exec_lo, s24
	v_cmp_gt_i64_e32 vcc_lo, s[8:9], v[61:62]
	s_mov_b32 s0, 0
	s_delay_alu instid0(SALU_CYCLE_1)
	v_mov_b32_e32 v144, s0
	v_cndmask_b32_e64 v143, 0, 1, vcc_lo
.LBB1659_518:
	s_or_b32 exec_lo, exec_lo, s23
.LBB1659_519:
	s_delay_alu instid0(SALU_CYCLE_1) | instskip(SKIP_3) | instid1(VALU_DEP_2)
	s_or_b32 exec_lo, exec_lo, s22
	v_dual_mov_b32 v146, v32 :: v_dual_add_nc_u32 v57, 11, v64
	v_mov_b32_e32 v145, v31
	s_mov_b32 s22, exec_lo
	v_cmpx_gt_u32_e64 s3, v57
	s_cbranch_execz .LBB1659_530
; %bb.520:
	v_cmp_ne_u32_e32 vcc_lo, 1, v63
	s_cbranch_vccnz .LBB1659_527
; %bb.521:
	v_mul_lo_u32 v61, v32, s8
	v_mul_lo_u32 v62, v31, s9
	v_mad_u64_u32 v[57:58], null, v31, s8, 0
	v_mul_lo_u32 v65, v30, s8
	v_mul_lo_u32 v66, v29, s9
	v_mad_u64_u32 v[59:60], null, v29, s8, 0
	v_mov_b32_e32 v145, 1
	v_mov_b32_e32 v146, 0
	v_add3_u32 v58, v58, v62, v61
	s_mov_b32 s23, exec_lo
	s_delay_alu instid0(VALU_DEP_4) | instskip(NEXT) | instid1(VALU_DEP_2)
	v_add3_u32 v60, v60, v66, v65
	v_lshlrev_b64 v[57:58], 3, v[57:58]
	s_delay_alu instid0(VALU_DEP_2) | instskip(NEXT) | instid1(VALU_DEP_2)
	v_lshlrev_b64 v[61:62], 3, v[59:60]
	v_add_co_u32 v59, vcc_lo, s10, v57
	s_delay_alu instid0(VALU_DEP_3) | instskip(NEXT) | instid1(VALU_DEP_3)
	v_add_co_ci_u32_e32 v60, vcc_lo, s11, v58, vcc_lo
	v_add_co_u32 v57, vcc_lo, s10, v61
	s_delay_alu instid0(VALU_DEP_4)
	v_add_co_ci_u32_e32 v58, vcc_lo, s11, v62, vcc_lo
	s_clause 0x1
	global_load_b64 v[61:62], v[59:60], off
	global_load_b64 v[65:66], v[57:58], off
	s_waitcnt vmcnt(0)
	v_cmpx_eq_u64_e64 v[61:62], v[65:66]
	s_cbranch_execz .LBB1659_529
; %bb.522:
	v_add_co_u32 v57, vcc_lo, v57, 8
	v_add_co_ci_u32_e32 v58, vcc_lo, 0, v58, vcc_lo
	v_add_co_u32 v59, vcc_lo, v59, 8
	v_add_co_ci_u32_e32 v60, vcc_lo, 0, v60, vcc_lo
	s_add_u32 s14, s8, -1
	s_addc_u32 s15, s9, -1
	s_mov_b64 s[20:21], 0
	s_mov_b32 s24, 0
                                        ; implicit-def: $sgpr25
	s_set_inst_prefetch_distance 0x1
	s_branch .LBB1659_525
	.p2align	6
.LBB1659_523:                           ;   in Loop: Header=BB1659_525 Depth=1
	global_load_b64 v[61:62], v[59:60], off
	global_load_b64 v[65:66], v[57:58], off
	v_add_co_u32 v57, vcc_lo, v57, 8
	v_add_co_ci_u32_e32 v58, vcc_lo, 0, v58, vcc_lo
	v_add_co_u32 v59, s0, v59, 8
	s_delay_alu instid0(VALU_DEP_1)
	v_add_co_ci_u32_e64 v60, s0, 0, v60, s0
	s_add_u32 s20, s20, 1
	s_addc_u32 s21, s21, 0
	s_and_not1_b32 s0, s25, exec_lo
	s_waitcnt vmcnt(0)
	v_cmp_ne_u64_e32 vcc_lo, v[61:62], v[65:66]
	s_and_b32 s25, vcc_lo, exec_lo
	s_delay_alu instid0(SALU_CYCLE_1)
	s_or_b32 s25, s0, s25
.LBB1659_524:                           ;   in Loop: Header=BB1659_525 Depth=1
	v_dual_mov_b32 v62, s21 :: v_dual_mov_b32 v61, s20
	s_and_b32 s0, exec_lo, s25
	s_delay_alu instid0(SALU_CYCLE_1) | instskip(NEXT) | instid1(SALU_CYCLE_1)
	s_or_b32 s24, s0, s24
	s_and_not1_b32 exec_lo, exec_lo, s24
	s_cbranch_execz .LBB1659_528
.LBB1659_525:                           ; =>This Inner Loop Header: Depth=1
	s_or_b32 s25, s25, exec_lo
	s_cmp_eq_u64 s[14:15], s[20:21]
	s_cbranch_scc0 .LBB1659_523
; %bb.526:                              ;   in Loop: Header=BB1659_525 Depth=1
	s_mov_b64 s[20:21], s[8:9]
                                        ; implicit-def: $vgpr57_vgpr58
                                        ; implicit-def: $vgpr59_vgpr60
	s_branch .LBB1659_524
.LBB1659_527:
	v_mov_b32_e32 v145, 0
	v_mov_b32_e32 v146, 0
	s_branch .LBB1659_530
.LBB1659_528:
	s_set_inst_prefetch_distance 0x2
	s_or_b32 exec_lo, exec_lo, s24
	v_cmp_gt_i64_e32 vcc_lo, s[8:9], v[61:62]
	s_mov_b32 s0, 0
	s_delay_alu instid0(SALU_CYCLE_1)
	v_mov_b32_e32 v146, s0
	v_cndmask_b32_e64 v145, 0, 1, vcc_lo
.LBB1659_529:
	s_or_b32 exec_lo, exec_lo, s23
.LBB1659_530:
	s_delay_alu instid0(SALU_CYCLE_1) | instskip(SKIP_3) | instid1(VALU_DEP_2)
	s_or_b32 exec_lo, exec_lo, s22
	v_dual_mov_b32 v148, v30 :: v_dual_add_nc_u32 v57, 10, v64
	v_mov_b32_e32 v147, v29
	s_mov_b32 s22, exec_lo
	v_cmpx_gt_u32_e64 s3, v57
	s_cbranch_execz .LBB1659_541
; %bb.531:
	v_cmp_ne_u32_e32 vcc_lo, 1, v63
	s_cbranch_vccnz .LBB1659_538
; %bb.532:
	v_mul_lo_u32 v61, v30, s8
	v_mul_lo_u32 v62, v29, s9
	v_mad_u64_u32 v[57:58], null, v29, s8, 0
	v_mul_lo_u32 v65, v28, s8
	v_mul_lo_u32 v66, v27, s9
	v_mad_u64_u32 v[59:60], null, v27, s8, 0
	v_mov_b32_e32 v147, 1
	v_mov_b32_e32 v148, 0
	v_add3_u32 v58, v58, v62, v61
	s_mov_b32 s23, exec_lo
	s_delay_alu instid0(VALU_DEP_4) | instskip(NEXT) | instid1(VALU_DEP_2)
	v_add3_u32 v60, v60, v66, v65
	v_lshlrev_b64 v[57:58], 3, v[57:58]
	s_delay_alu instid0(VALU_DEP_2) | instskip(NEXT) | instid1(VALU_DEP_2)
	v_lshlrev_b64 v[61:62], 3, v[59:60]
	v_add_co_u32 v59, vcc_lo, s10, v57
	s_delay_alu instid0(VALU_DEP_3) | instskip(NEXT) | instid1(VALU_DEP_3)
	v_add_co_ci_u32_e32 v60, vcc_lo, s11, v58, vcc_lo
	v_add_co_u32 v57, vcc_lo, s10, v61
	s_delay_alu instid0(VALU_DEP_4)
	v_add_co_ci_u32_e32 v58, vcc_lo, s11, v62, vcc_lo
	s_clause 0x1
	global_load_b64 v[61:62], v[59:60], off
	global_load_b64 v[65:66], v[57:58], off
	s_waitcnt vmcnt(0)
	v_cmpx_eq_u64_e64 v[61:62], v[65:66]
	s_cbranch_execz .LBB1659_540
; %bb.533:
	v_add_co_u32 v57, vcc_lo, v57, 8
	v_add_co_ci_u32_e32 v58, vcc_lo, 0, v58, vcc_lo
	v_add_co_u32 v59, vcc_lo, v59, 8
	v_add_co_ci_u32_e32 v60, vcc_lo, 0, v60, vcc_lo
	s_add_u32 s14, s8, -1
	s_addc_u32 s15, s9, -1
	s_mov_b64 s[20:21], 0
	s_mov_b32 s24, 0
                                        ; implicit-def: $sgpr25
	s_set_inst_prefetch_distance 0x1
	s_branch .LBB1659_536
	.p2align	6
.LBB1659_534:                           ;   in Loop: Header=BB1659_536 Depth=1
	global_load_b64 v[61:62], v[59:60], off
	global_load_b64 v[65:66], v[57:58], off
	v_add_co_u32 v57, vcc_lo, v57, 8
	v_add_co_ci_u32_e32 v58, vcc_lo, 0, v58, vcc_lo
	v_add_co_u32 v59, s0, v59, 8
	s_delay_alu instid0(VALU_DEP_1)
	v_add_co_ci_u32_e64 v60, s0, 0, v60, s0
	s_add_u32 s20, s20, 1
	s_addc_u32 s21, s21, 0
	s_and_not1_b32 s0, s25, exec_lo
	s_waitcnt vmcnt(0)
	v_cmp_ne_u64_e32 vcc_lo, v[61:62], v[65:66]
	s_and_b32 s25, vcc_lo, exec_lo
	s_delay_alu instid0(SALU_CYCLE_1)
	s_or_b32 s25, s0, s25
.LBB1659_535:                           ;   in Loop: Header=BB1659_536 Depth=1
	v_dual_mov_b32 v62, s21 :: v_dual_mov_b32 v61, s20
	s_and_b32 s0, exec_lo, s25
	s_delay_alu instid0(SALU_CYCLE_1) | instskip(NEXT) | instid1(SALU_CYCLE_1)
	s_or_b32 s24, s0, s24
	s_and_not1_b32 exec_lo, exec_lo, s24
	s_cbranch_execz .LBB1659_539
.LBB1659_536:                           ; =>This Inner Loop Header: Depth=1
	s_or_b32 s25, s25, exec_lo
	s_cmp_eq_u64 s[14:15], s[20:21]
	s_cbranch_scc0 .LBB1659_534
; %bb.537:                              ;   in Loop: Header=BB1659_536 Depth=1
	s_mov_b64 s[20:21], s[8:9]
                                        ; implicit-def: $vgpr57_vgpr58
                                        ; implicit-def: $vgpr59_vgpr60
	s_branch .LBB1659_535
.LBB1659_538:
	v_mov_b32_e32 v147, 0
	v_mov_b32_e32 v148, 0
	s_branch .LBB1659_541
.LBB1659_539:
	s_set_inst_prefetch_distance 0x2
	s_or_b32 exec_lo, exec_lo, s24
	v_cmp_gt_i64_e32 vcc_lo, s[8:9], v[61:62]
	s_mov_b32 s0, 0
	s_delay_alu instid0(SALU_CYCLE_1)
	v_mov_b32_e32 v148, s0
	v_cndmask_b32_e64 v147, 0, 1, vcc_lo
.LBB1659_540:
	s_or_b32 exec_lo, exec_lo, s23
.LBB1659_541:
	s_delay_alu instid0(SALU_CYCLE_1) | instskip(SKIP_3) | instid1(VALU_DEP_2)
	s_or_b32 exec_lo, exec_lo, s22
	v_dual_mov_b32 v150, v28 :: v_dual_add_nc_u32 v57, 9, v64
	v_mov_b32_e32 v149, v27
	s_mov_b32 s22, exec_lo
	v_cmpx_gt_u32_e64 s3, v57
	s_cbranch_execz .LBB1659_552
; %bb.542:
	v_cmp_ne_u32_e32 vcc_lo, 1, v63
	s_cbranch_vccnz .LBB1659_549
; %bb.543:
	v_mul_lo_u32 v61, v28, s8
	v_mul_lo_u32 v62, v27, s9
	v_mad_u64_u32 v[57:58], null, v27, s8, 0
	v_mul_lo_u32 v65, v26, s8
	v_mul_lo_u32 v66, v25, s9
	v_mad_u64_u32 v[59:60], null, v25, s8, 0
	v_mov_b32_e32 v149, 1
	v_mov_b32_e32 v150, 0
	v_add3_u32 v58, v58, v62, v61
	s_mov_b32 s23, exec_lo
	s_delay_alu instid0(VALU_DEP_4) | instskip(NEXT) | instid1(VALU_DEP_2)
	v_add3_u32 v60, v60, v66, v65
	v_lshlrev_b64 v[57:58], 3, v[57:58]
	s_delay_alu instid0(VALU_DEP_2) | instskip(NEXT) | instid1(VALU_DEP_2)
	v_lshlrev_b64 v[61:62], 3, v[59:60]
	v_add_co_u32 v59, vcc_lo, s10, v57
	s_delay_alu instid0(VALU_DEP_3) | instskip(NEXT) | instid1(VALU_DEP_3)
	v_add_co_ci_u32_e32 v60, vcc_lo, s11, v58, vcc_lo
	v_add_co_u32 v57, vcc_lo, s10, v61
	s_delay_alu instid0(VALU_DEP_4)
	v_add_co_ci_u32_e32 v58, vcc_lo, s11, v62, vcc_lo
	s_clause 0x1
	global_load_b64 v[61:62], v[59:60], off
	global_load_b64 v[65:66], v[57:58], off
	s_waitcnt vmcnt(0)
	v_cmpx_eq_u64_e64 v[61:62], v[65:66]
	s_cbranch_execz .LBB1659_551
; %bb.544:
	v_add_co_u32 v57, vcc_lo, v57, 8
	v_add_co_ci_u32_e32 v58, vcc_lo, 0, v58, vcc_lo
	v_add_co_u32 v59, vcc_lo, v59, 8
	v_add_co_ci_u32_e32 v60, vcc_lo, 0, v60, vcc_lo
	s_add_u32 s14, s8, -1
	s_addc_u32 s15, s9, -1
	s_mov_b64 s[20:21], 0
	s_mov_b32 s24, 0
                                        ; implicit-def: $sgpr25
	s_set_inst_prefetch_distance 0x1
	s_branch .LBB1659_547
	.p2align	6
.LBB1659_545:                           ;   in Loop: Header=BB1659_547 Depth=1
	global_load_b64 v[61:62], v[59:60], off
	global_load_b64 v[65:66], v[57:58], off
	v_add_co_u32 v57, vcc_lo, v57, 8
	v_add_co_ci_u32_e32 v58, vcc_lo, 0, v58, vcc_lo
	v_add_co_u32 v59, s0, v59, 8
	s_delay_alu instid0(VALU_DEP_1)
	v_add_co_ci_u32_e64 v60, s0, 0, v60, s0
	s_add_u32 s20, s20, 1
	s_addc_u32 s21, s21, 0
	s_and_not1_b32 s0, s25, exec_lo
	s_waitcnt vmcnt(0)
	v_cmp_ne_u64_e32 vcc_lo, v[61:62], v[65:66]
	s_and_b32 s25, vcc_lo, exec_lo
	s_delay_alu instid0(SALU_CYCLE_1)
	s_or_b32 s25, s0, s25
.LBB1659_546:                           ;   in Loop: Header=BB1659_547 Depth=1
	v_dual_mov_b32 v62, s21 :: v_dual_mov_b32 v61, s20
	s_and_b32 s0, exec_lo, s25
	s_delay_alu instid0(SALU_CYCLE_1) | instskip(NEXT) | instid1(SALU_CYCLE_1)
	s_or_b32 s24, s0, s24
	s_and_not1_b32 exec_lo, exec_lo, s24
	s_cbranch_execz .LBB1659_550
.LBB1659_547:                           ; =>This Inner Loop Header: Depth=1
	s_or_b32 s25, s25, exec_lo
	s_cmp_eq_u64 s[14:15], s[20:21]
	s_cbranch_scc0 .LBB1659_545
; %bb.548:                              ;   in Loop: Header=BB1659_547 Depth=1
	s_mov_b64 s[20:21], s[8:9]
                                        ; implicit-def: $vgpr57_vgpr58
                                        ; implicit-def: $vgpr59_vgpr60
	s_branch .LBB1659_546
.LBB1659_549:
	v_mov_b32_e32 v149, 0
	v_mov_b32_e32 v150, 0
	s_branch .LBB1659_552
.LBB1659_550:
	s_set_inst_prefetch_distance 0x2
	s_or_b32 exec_lo, exec_lo, s24
	v_cmp_gt_i64_e32 vcc_lo, s[8:9], v[61:62]
	s_mov_b32 s0, 0
	s_delay_alu instid0(SALU_CYCLE_1)
	v_mov_b32_e32 v150, s0
	v_cndmask_b32_e64 v149, 0, 1, vcc_lo
.LBB1659_551:
	s_or_b32 exec_lo, exec_lo, s23
.LBB1659_552:
	s_delay_alu instid0(SALU_CYCLE_1) | instskip(SKIP_3) | instid1(VALU_DEP_2)
	s_or_b32 exec_lo, exec_lo, s22
	v_dual_mov_b32 v152, v26 :: v_dual_add_nc_u32 v57, 8, v64
	v_mov_b32_e32 v151, v25
	s_mov_b32 s22, exec_lo
	v_cmpx_gt_u32_e64 s3, v57
	s_cbranch_execz .LBB1659_563
; %bb.553:
	v_cmp_ne_u32_e32 vcc_lo, 1, v63
	s_cbranch_vccnz .LBB1659_560
; %bb.554:
	v_mul_lo_u32 v61, v26, s8
	v_mul_lo_u32 v62, v25, s9
	v_mad_u64_u32 v[57:58], null, v25, s8, 0
	v_mul_lo_u32 v65, v24, s8
	v_mul_lo_u32 v66, v23, s9
	v_mad_u64_u32 v[59:60], null, v23, s8, 0
	v_mov_b32_e32 v151, 1
	v_mov_b32_e32 v152, 0
	v_add3_u32 v58, v58, v62, v61
	s_mov_b32 s23, exec_lo
	s_delay_alu instid0(VALU_DEP_4) | instskip(NEXT) | instid1(VALU_DEP_2)
	v_add3_u32 v60, v60, v66, v65
	v_lshlrev_b64 v[57:58], 3, v[57:58]
	s_delay_alu instid0(VALU_DEP_2) | instskip(NEXT) | instid1(VALU_DEP_2)
	v_lshlrev_b64 v[61:62], 3, v[59:60]
	v_add_co_u32 v59, vcc_lo, s10, v57
	s_delay_alu instid0(VALU_DEP_3) | instskip(NEXT) | instid1(VALU_DEP_3)
	v_add_co_ci_u32_e32 v60, vcc_lo, s11, v58, vcc_lo
	v_add_co_u32 v57, vcc_lo, s10, v61
	s_delay_alu instid0(VALU_DEP_4)
	v_add_co_ci_u32_e32 v58, vcc_lo, s11, v62, vcc_lo
	s_clause 0x1
	global_load_b64 v[61:62], v[59:60], off
	global_load_b64 v[65:66], v[57:58], off
	s_waitcnt vmcnt(0)
	v_cmpx_eq_u64_e64 v[61:62], v[65:66]
	s_cbranch_execz .LBB1659_562
; %bb.555:
	v_add_co_u32 v57, vcc_lo, v57, 8
	v_add_co_ci_u32_e32 v58, vcc_lo, 0, v58, vcc_lo
	v_add_co_u32 v59, vcc_lo, v59, 8
	v_add_co_ci_u32_e32 v60, vcc_lo, 0, v60, vcc_lo
	s_add_u32 s14, s8, -1
	s_addc_u32 s15, s9, -1
	s_mov_b64 s[20:21], 0
	s_mov_b32 s24, 0
                                        ; implicit-def: $sgpr25
	s_set_inst_prefetch_distance 0x1
	s_branch .LBB1659_558
	.p2align	6
.LBB1659_556:                           ;   in Loop: Header=BB1659_558 Depth=1
	global_load_b64 v[61:62], v[59:60], off
	global_load_b64 v[65:66], v[57:58], off
	v_add_co_u32 v57, vcc_lo, v57, 8
	v_add_co_ci_u32_e32 v58, vcc_lo, 0, v58, vcc_lo
	v_add_co_u32 v59, s0, v59, 8
	s_delay_alu instid0(VALU_DEP_1)
	v_add_co_ci_u32_e64 v60, s0, 0, v60, s0
	s_add_u32 s20, s20, 1
	s_addc_u32 s21, s21, 0
	s_and_not1_b32 s0, s25, exec_lo
	s_waitcnt vmcnt(0)
	v_cmp_ne_u64_e32 vcc_lo, v[61:62], v[65:66]
	s_and_b32 s25, vcc_lo, exec_lo
	s_delay_alu instid0(SALU_CYCLE_1)
	s_or_b32 s25, s0, s25
.LBB1659_557:                           ;   in Loop: Header=BB1659_558 Depth=1
	v_dual_mov_b32 v62, s21 :: v_dual_mov_b32 v61, s20
	s_and_b32 s0, exec_lo, s25
	s_delay_alu instid0(SALU_CYCLE_1) | instskip(NEXT) | instid1(SALU_CYCLE_1)
	s_or_b32 s24, s0, s24
	s_and_not1_b32 exec_lo, exec_lo, s24
	s_cbranch_execz .LBB1659_561
.LBB1659_558:                           ; =>This Inner Loop Header: Depth=1
	s_or_b32 s25, s25, exec_lo
	s_cmp_eq_u64 s[14:15], s[20:21]
	s_cbranch_scc0 .LBB1659_556
; %bb.559:                              ;   in Loop: Header=BB1659_558 Depth=1
	s_mov_b64 s[20:21], s[8:9]
                                        ; implicit-def: $vgpr57_vgpr58
                                        ; implicit-def: $vgpr59_vgpr60
	s_branch .LBB1659_557
.LBB1659_560:
	v_mov_b32_e32 v151, 0
	v_mov_b32_e32 v152, 0
	s_branch .LBB1659_563
.LBB1659_561:
	s_set_inst_prefetch_distance 0x2
	s_or_b32 exec_lo, exec_lo, s24
	v_cmp_gt_i64_e32 vcc_lo, s[8:9], v[61:62]
	s_mov_b32 s0, 0
	s_delay_alu instid0(SALU_CYCLE_1)
	v_mov_b32_e32 v152, s0
	v_cndmask_b32_e64 v151, 0, 1, vcc_lo
.LBB1659_562:
	s_or_b32 exec_lo, exec_lo, s23
.LBB1659_563:
	s_delay_alu instid0(SALU_CYCLE_1) | instskip(SKIP_3) | instid1(VALU_DEP_2)
	s_or_b32 exec_lo, exec_lo, s22
	v_dual_mov_b32 v154, v24 :: v_dual_add_nc_u32 v57, 7, v64
	v_mov_b32_e32 v153, v23
	s_mov_b32 s22, exec_lo
	v_cmpx_gt_u32_e64 s3, v57
	s_cbranch_execz .LBB1659_574
; %bb.564:
	v_cmp_ne_u32_e32 vcc_lo, 1, v63
	s_cbranch_vccnz .LBB1659_571
; %bb.565:
	v_mul_lo_u32 v61, v24, s8
	v_mul_lo_u32 v62, v23, s9
	v_mad_u64_u32 v[57:58], null, v23, s8, 0
	v_mul_lo_u32 v65, v22, s8
	v_mul_lo_u32 v66, v21, s9
	v_mad_u64_u32 v[59:60], null, v21, s8, 0
	v_mov_b32_e32 v153, 1
	v_mov_b32_e32 v154, 0
	v_add3_u32 v58, v58, v62, v61
	s_mov_b32 s23, exec_lo
	s_delay_alu instid0(VALU_DEP_4) | instskip(NEXT) | instid1(VALU_DEP_2)
	v_add3_u32 v60, v60, v66, v65
	v_lshlrev_b64 v[57:58], 3, v[57:58]
	s_delay_alu instid0(VALU_DEP_2) | instskip(NEXT) | instid1(VALU_DEP_2)
	v_lshlrev_b64 v[61:62], 3, v[59:60]
	v_add_co_u32 v59, vcc_lo, s10, v57
	s_delay_alu instid0(VALU_DEP_3) | instskip(NEXT) | instid1(VALU_DEP_3)
	v_add_co_ci_u32_e32 v60, vcc_lo, s11, v58, vcc_lo
	v_add_co_u32 v57, vcc_lo, s10, v61
	s_delay_alu instid0(VALU_DEP_4)
	v_add_co_ci_u32_e32 v58, vcc_lo, s11, v62, vcc_lo
	s_clause 0x1
	global_load_b64 v[61:62], v[59:60], off
	global_load_b64 v[65:66], v[57:58], off
	s_waitcnt vmcnt(0)
	v_cmpx_eq_u64_e64 v[61:62], v[65:66]
	s_cbranch_execz .LBB1659_573
; %bb.566:
	v_add_co_u32 v57, vcc_lo, v57, 8
	v_add_co_ci_u32_e32 v58, vcc_lo, 0, v58, vcc_lo
	v_add_co_u32 v59, vcc_lo, v59, 8
	v_add_co_ci_u32_e32 v60, vcc_lo, 0, v60, vcc_lo
	s_add_u32 s14, s8, -1
	s_addc_u32 s15, s9, -1
	s_mov_b64 s[20:21], 0
	s_mov_b32 s24, 0
                                        ; implicit-def: $sgpr25
	s_set_inst_prefetch_distance 0x1
	s_branch .LBB1659_569
	.p2align	6
.LBB1659_567:                           ;   in Loop: Header=BB1659_569 Depth=1
	global_load_b64 v[61:62], v[59:60], off
	global_load_b64 v[65:66], v[57:58], off
	v_add_co_u32 v57, vcc_lo, v57, 8
	v_add_co_ci_u32_e32 v58, vcc_lo, 0, v58, vcc_lo
	v_add_co_u32 v59, s0, v59, 8
	s_delay_alu instid0(VALU_DEP_1)
	v_add_co_ci_u32_e64 v60, s0, 0, v60, s0
	s_add_u32 s20, s20, 1
	s_addc_u32 s21, s21, 0
	s_and_not1_b32 s0, s25, exec_lo
	s_waitcnt vmcnt(0)
	v_cmp_ne_u64_e32 vcc_lo, v[61:62], v[65:66]
	s_and_b32 s25, vcc_lo, exec_lo
	s_delay_alu instid0(SALU_CYCLE_1)
	s_or_b32 s25, s0, s25
.LBB1659_568:                           ;   in Loop: Header=BB1659_569 Depth=1
	v_dual_mov_b32 v62, s21 :: v_dual_mov_b32 v61, s20
	s_and_b32 s0, exec_lo, s25
	s_delay_alu instid0(SALU_CYCLE_1) | instskip(NEXT) | instid1(SALU_CYCLE_1)
	s_or_b32 s24, s0, s24
	s_and_not1_b32 exec_lo, exec_lo, s24
	s_cbranch_execz .LBB1659_572
.LBB1659_569:                           ; =>This Inner Loop Header: Depth=1
	s_or_b32 s25, s25, exec_lo
	s_cmp_eq_u64 s[14:15], s[20:21]
	s_cbranch_scc0 .LBB1659_567
; %bb.570:                              ;   in Loop: Header=BB1659_569 Depth=1
	s_mov_b64 s[20:21], s[8:9]
                                        ; implicit-def: $vgpr57_vgpr58
                                        ; implicit-def: $vgpr59_vgpr60
	s_branch .LBB1659_568
.LBB1659_571:
	v_mov_b32_e32 v153, 0
	v_mov_b32_e32 v154, 0
	s_branch .LBB1659_574
.LBB1659_572:
	s_set_inst_prefetch_distance 0x2
	s_or_b32 exec_lo, exec_lo, s24
	v_cmp_gt_i64_e32 vcc_lo, s[8:9], v[61:62]
	s_mov_b32 s0, 0
	s_delay_alu instid0(SALU_CYCLE_1)
	v_mov_b32_e32 v154, s0
	v_cndmask_b32_e64 v153, 0, 1, vcc_lo
.LBB1659_573:
	s_or_b32 exec_lo, exec_lo, s23
.LBB1659_574:
	s_delay_alu instid0(SALU_CYCLE_1) | instskip(SKIP_3) | instid1(VALU_DEP_2)
	s_or_b32 exec_lo, exec_lo, s22
	v_dual_mov_b32 v156, v22 :: v_dual_add_nc_u32 v57, 6, v64
	v_mov_b32_e32 v155, v21
	s_mov_b32 s22, exec_lo
	v_cmpx_gt_u32_e64 s3, v57
	s_cbranch_execz .LBB1659_585
; %bb.575:
	v_cmp_ne_u32_e32 vcc_lo, 1, v63
	s_cbranch_vccnz .LBB1659_582
; %bb.576:
	v_mul_lo_u32 v61, v22, s8
	v_mul_lo_u32 v62, v21, s9
	v_mad_u64_u32 v[57:58], null, v21, s8, 0
	v_mul_lo_u32 v65, v20, s8
	v_mul_lo_u32 v66, v19, s9
	v_mad_u64_u32 v[59:60], null, v19, s8, 0
	v_mov_b32_e32 v155, 1
	v_mov_b32_e32 v156, 0
	v_add3_u32 v58, v58, v62, v61
	s_mov_b32 s23, exec_lo
	s_delay_alu instid0(VALU_DEP_4) | instskip(NEXT) | instid1(VALU_DEP_2)
	v_add3_u32 v60, v60, v66, v65
	v_lshlrev_b64 v[57:58], 3, v[57:58]
	s_delay_alu instid0(VALU_DEP_2) | instskip(NEXT) | instid1(VALU_DEP_2)
	v_lshlrev_b64 v[61:62], 3, v[59:60]
	v_add_co_u32 v59, vcc_lo, s10, v57
	s_delay_alu instid0(VALU_DEP_3) | instskip(NEXT) | instid1(VALU_DEP_3)
	v_add_co_ci_u32_e32 v60, vcc_lo, s11, v58, vcc_lo
	v_add_co_u32 v57, vcc_lo, s10, v61
	s_delay_alu instid0(VALU_DEP_4)
	v_add_co_ci_u32_e32 v58, vcc_lo, s11, v62, vcc_lo
	s_clause 0x1
	global_load_b64 v[61:62], v[59:60], off
	global_load_b64 v[65:66], v[57:58], off
	s_waitcnt vmcnt(0)
	v_cmpx_eq_u64_e64 v[61:62], v[65:66]
	s_cbranch_execz .LBB1659_584
; %bb.577:
	v_add_co_u32 v57, vcc_lo, v57, 8
	v_add_co_ci_u32_e32 v58, vcc_lo, 0, v58, vcc_lo
	v_add_co_u32 v59, vcc_lo, v59, 8
	v_add_co_ci_u32_e32 v60, vcc_lo, 0, v60, vcc_lo
	s_add_u32 s14, s8, -1
	s_addc_u32 s15, s9, -1
	s_mov_b64 s[20:21], 0
	s_mov_b32 s24, 0
                                        ; implicit-def: $sgpr25
	s_set_inst_prefetch_distance 0x1
	s_branch .LBB1659_580
	.p2align	6
.LBB1659_578:                           ;   in Loop: Header=BB1659_580 Depth=1
	global_load_b64 v[61:62], v[59:60], off
	global_load_b64 v[65:66], v[57:58], off
	v_add_co_u32 v57, vcc_lo, v57, 8
	v_add_co_ci_u32_e32 v58, vcc_lo, 0, v58, vcc_lo
	v_add_co_u32 v59, s0, v59, 8
	s_delay_alu instid0(VALU_DEP_1)
	v_add_co_ci_u32_e64 v60, s0, 0, v60, s0
	s_add_u32 s20, s20, 1
	s_addc_u32 s21, s21, 0
	s_and_not1_b32 s0, s25, exec_lo
	s_waitcnt vmcnt(0)
	v_cmp_ne_u64_e32 vcc_lo, v[61:62], v[65:66]
	s_and_b32 s25, vcc_lo, exec_lo
	s_delay_alu instid0(SALU_CYCLE_1)
	s_or_b32 s25, s0, s25
.LBB1659_579:                           ;   in Loop: Header=BB1659_580 Depth=1
	v_dual_mov_b32 v62, s21 :: v_dual_mov_b32 v61, s20
	s_and_b32 s0, exec_lo, s25
	s_delay_alu instid0(SALU_CYCLE_1) | instskip(NEXT) | instid1(SALU_CYCLE_1)
	s_or_b32 s24, s0, s24
	s_and_not1_b32 exec_lo, exec_lo, s24
	s_cbranch_execz .LBB1659_583
.LBB1659_580:                           ; =>This Inner Loop Header: Depth=1
	s_or_b32 s25, s25, exec_lo
	s_cmp_eq_u64 s[14:15], s[20:21]
	s_cbranch_scc0 .LBB1659_578
; %bb.581:                              ;   in Loop: Header=BB1659_580 Depth=1
	s_mov_b64 s[20:21], s[8:9]
                                        ; implicit-def: $vgpr57_vgpr58
                                        ; implicit-def: $vgpr59_vgpr60
	s_branch .LBB1659_579
.LBB1659_582:
	v_mov_b32_e32 v155, 0
	v_mov_b32_e32 v156, 0
	s_branch .LBB1659_585
.LBB1659_583:
	s_set_inst_prefetch_distance 0x2
	s_or_b32 exec_lo, exec_lo, s24
	v_cmp_gt_i64_e32 vcc_lo, s[8:9], v[61:62]
	s_mov_b32 s0, 0
	s_delay_alu instid0(SALU_CYCLE_1)
	v_mov_b32_e32 v156, s0
	v_cndmask_b32_e64 v155, 0, 1, vcc_lo
.LBB1659_584:
	s_or_b32 exec_lo, exec_lo, s23
.LBB1659_585:
	s_delay_alu instid0(SALU_CYCLE_1) | instskip(SKIP_3) | instid1(VALU_DEP_2)
	s_or_b32 exec_lo, exec_lo, s22
	v_dual_mov_b32 v158, v20 :: v_dual_add_nc_u32 v57, 5, v64
	v_mov_b32_e32 v157, v19
	s_mov_b32 s22, exec_lo
	v_cmpx_gt_u32_e64 s3, v57
	s_cbranch_execz .LBB1659_596
; %bb.586:
	v_cmp_ne_u32_e32 vcc_lo, 1, v63
	s_cbranch_vccnz .LBB1659_593
; %bb.587:
	v_mul_lo_u32 v61, v20, s8
	v_mul_lo_u32 v62, v19, s9
	v_mad_u64_u32 v[57:58], null, v19, s8, 0
	v_mul_lo_u32 v65, v18, s8
	v_mul_lo_u32 v66, v17, s9
	v_mad_u64_u32 v[59:60], null, v17, s8, 0
	v_mov_b32_e32 v157, 1
	v_mov_b32_e32 v158, 0
	v_add3_u32 v58, v58, v62, v61
	s_mov_b32 s23, exec_lo
	s_delay_alu instid0(VALU_DEP_4) | instskip(NEXT) | instid1(VALU_DEP_2)
	v_add3_u32 v60, v60, v66, v65
	v_lshlrev_b64 v[57:58], 3, v[57:58]
	s_delay_alu instid0(VALU_DEP_2) | instskip(NEXT) | instid1(VALU_DEP_2)
	v_lshlrev_b64 v[61:62], 3, v[59:60]
	v_add_co_u32 v59, vcc_lo, s10, v57
	s_delay_alu instid0(VALU_DEP_3) | instskip(NEXT) | instid1(VALU_DEP_3)
	v_add_co_ci_u32_e32 v60, vcc_lo, s11, v58, vcc_lo
	v_add_co_u32 v57, vcc_lo, s10, v61
	s_delay_alu instid0(VALU_DEP_4)
	v_add_co_ci_u32_e32 v58, vcc_lo, s11, v62, vcc_lo
	s_clause 0x1
	global_load_b64 v[61:62], v[59:60], off
	global_load_b64 v[65:66], v[57:58], off
	s_waitcnt vmcnt(0)
	v_cmpx_eq_u64_e64 v[61:62], v[65:66]
	s_cbranch_execz .LBB1659_595
; %bb.588:
	v_add_co_u32 v57, vcc_lo, v57, 8
	v_add_co_ci_u32_e32 v58, vcc_lo, 0, v58, vcc_lo
	v_add_co_u32 v59, vcc_lo, v59, 8
	v_add_co_ci_u32_e32 v60, vcc_lo, 0, v60, vcc_lo
	s_add_u32 s14, s8, -1
	s_addc_u32 s15, s9, -1
	s_mov_b64 s[20:21], 0
	s_mov_b32 s24, 0
                                        ; implicit-def: $sgpr25
	s_set_inst_prefetch_distance 0x1
	s_branch .LBB1659_591
	.p2align	6
.LBB1659_589:                           ;   in Loop: Header=BB1659_591 Depth=1
	global_load_b64 v[61:62], v[59:60], off
	global_load_b64 v[65:66], v[57:58], off
	v_add_co_u32 v57, vcc_lo, v57, 8
	v_add_co_ci_u32_e32 v58, vcc_lo, 0, v58, vcc_lo
	v_add_co_u32 v59, s0, v59, 8
	s_delay_alu instid0(VALU_DEP_1)
	v_add_co_ci_u32_e64 v60, s0, 0, v60, s0
	s_add_u32 s20, s20, 1
	s_addc_u32 s21, s21, 0
	s_and_not1_b32 s0, s25, exec_lo
	s_waitcnt vmcnt(0)
	v_cmp_ne_u64_e32 vcc_lo, v[61:62], v[65:66]
	s_and_b32 s25, vcc_lo, exec_lo
	s_delay_alu instid0(SALU_CYCLE_1)
	s_or_b32 s25, s0, s25
.LBB1659_590:                           ;   in Loop: Header=BB1659_591 Depth=1
	v_dual_mov_b32 v62, s21 :: v_dual_mov_b32 v61, s20
	s_and_b32 s0, exec_lo, s25
	s_delay_alu instid0(SALU_CYCLE_1) | instskip(NEXT) | instid1(SALU_CYCLE_1)
	s_or_b32 s24, s0, s24
	s_and_not1_b32 exec_lo, exec_lo, s24
	s_cbranch_execz .LBB1659_594
.LBB1659_591:                           ; =>This Inner Loop Header: Depth=1
	s_or_b32 s25, s25, exec_lo
	s_cmp_eq_u64 s[14:15], s[20:21]
	s_cbranch_scc0 .LBB1659_589
; %bb.592:                              ;   in Loop: Header=BB1659_591 Depth=1
	s_mov_b64 s[20:21], s[8:9]
                                        ; implicit-def: $vgpr57_vgpr58
                                        ; implicit-def: $vgpr59_vgpr60
	s_branch .LBB1659_590
.LBB1659_593:
	v_mov_b32_e32 v157, 0
	v_mov_b32_e32 v158, 0
	s_branch .LBB1659_596
.LBB1659_594:
	s_set_inst_prefetch_distance 0x2
	s_or_b32 exec_lo, exec_lo, s24
	v_cmp_gt_i64_e32 vcc_lo, s[8:9], v[61:62]
	s_mov_b32 s0, 0
	s_delay_alu instid0(SALU_CYCLE_1)
	v_mov_b32_e32 v158, s0
	v_cndmask_b32_e64 v157, 0, 1, vcc_lo
.LBB1659_595:
	s_or_b32 exec_lo, exec_lo, s23
.LBB1659_596:
	s_delay_alu instid0(SALU_CYCLE_1) | instskip(SKIP_3) | instid1(VALU_DEP_2)
	s_or_b32 exec_lo, exec_lo, s22
	v_dual_mov_b32 v160, v18 :: v_dual_add_nc_u32 v57, 4, v64
	v_mov_b32_e32 v159, v17
	s_mov_b32 s22, exec_lo
	v_cmpx_gt_u32_e64 s3, v57
	s_cbranch_execz .LBB1659_607
; %bb.597:
	v_cmp_ne_u32_e32 vcc_lo, 1, v63
	s_cbranch_vccnz .LBB1659_604
; %bb.598:
	v_mul_lo_u32 v61, v18, s8
	v_mul_lo_u32 v62, v17, s9
	v_mad_u64_u32 v[57:58], null, v17, s8, 0
	v_mul_lo_u32 v65, v16, s8
	v_mul_lo_u32 v66, v15, s9
	v_mad_u64_u32 v[59:60], null, v15, s8, 0
	v_mov_b32_e32 v159, 1
	v_mov_b32_e32 v160, 0
	v_add3_u32 v58, v58, v62, v61
	s_mov_b32 s23, exec_lo
	s_delay_alu instid0(VALU_DEP_4) | instskip(NEXT) | instid1(VALU_DEP_2)
	v_add3_u32 v60, v60, v66, v65
	v_lshlrev_b64 v[57:58], 3, v[57:58]
	s_delay_alu instid0(VALU_DEP_2) | instskip(NEXT) | instid1(VALU_DEP_2)
	v_lshlrev_b64 v[61:62], 3, v[59:60]
	v_add_co_u32 v59, vcc_lo, s10, v57
	s_delay_alu instid0(VALU_DEP_3) | instskip(NEXT) | instid1(VALU_DEP_3)
	v_add_co_ci_u32_e32 v60, vcc_lo, s11, v58, vcc_lo
	v_add_co_u32 v57, vcc_lo, s10, v61
	s_delay_alu instid0(VALU_DEP_4)
	v_add_co_ci_u32_e32 v58, vcc_lo, s11, v62, vcc_lo
	s_clause 0x1
	global_load_b64 v[61:62], v[59:60], off
	global_load_b64 v[65:66], v[57:58], off
	s_waitcnt vmcnt(0)
	v_cmpx_eq_u64_e64 v[61:62], v[65:66]
	s_cbranch_execz .LBB1659_606
; %bb.599:
	v_add_co_u32 v57, vcc_lo, v57, 8
	v_add_co_ci_u32_e32 v58, vcc_lo, 0, v58, vcc_lo
	v_add_co_u32 v59, vcc_lo, v59, 8
	v_add_co_ci_u32_e32 v60, vcc_lo, 0, v60, vcc_lo
	s_add_u32 s14, s8, -1
	s_addc_u32 s15, s9, -1
	s_mov_b64 s[20:21], 0
	s_mov_b32 s24, 0
                                        ; implicit-def: $sgpr25
	s_set_inst_prefetch_distance 0x1
	s_branch .LBB1659_602
	.p2align	6
.LBB1659_600:                           ;   in Loop: Header=BB1659_602 Depth=1
	global_load_b64 v[61:62], v[59:60], off
	global_load_b64 v[65:66], v[57:58], off
	v_add_co_u32 v57, vcc_lo, v57, 8
	v_add_co_ci_u32_e32 v58, vcc_lo, 0, v58, vcc_lo
	v_add_co_u32 v59, s0, v59, 8
	s_delay_alu instid0(VALU_DEP_1)
	v_add_co_ci_u32_e64 v60, s0, 0, v60, s0
	s_add_u32 s20, s20, 1
	s_addc_u32 s21, s21, 0
	s_and_not1_b32 s0, s25, exec_lo
	s_waitcnt vmcnt(0)
	v_cmp_ne_u64_e32 vcc_lo, v[61:62], v[65:66]
	s_and_b32 s25, vcc_lo, exec_lo
	s_delay_alu instid0(SALU_CYCLE_1)
	s_or_b32 s25, s0, s25
.LBB1659_601:                           ;   in Loop: Header=BB1659_602 Depth=1
	v_dual_mov_b32 v62, s21 :: v_dual_mov_b32 v61, s20
	s_and_b32 s0, exec_lo, s25
	s_delay_alu instid0(SALU_CYCLE_1) | instskip(NEXT) | instid1(SALU_CYCLE_1)
	s_or_b32 s24, s0, s24
	s_and_not1_b32 exec_lo, exec_lo, s24
	s_cbranch_execz .LBB1659_605
.LBB1659_602:                           ; =>This Inner Loop Header: Depth=1
	s_or_b32 s25, s25, exec_lo
	s_cmp_eq_u64 s[14:15], s[20:21]
	s_cbranch_scc0 .LBB1659_600
; %bb.603:                              ;   in Loop: Header=BB1659_602 Depth=1
	s_mov_b64 s[20:21], s[8:9]
                                        ; implicit-def: $vgpr57_vgpr58
                                        ; implicit-def: $vgpr59_vgpr60
	s_branch .LBB1659_601
.LBB1659_604:
	v_mov_b32_e32 v159, 0
	v_mov_b32_e32 v160, 0
	s_branch .LBB1659_607
.LBB1659_605:
	s_set_inst_prefetch_distance 0x2
	s_or_b32 exec_lo, exec_lo, s24
	v_cmp_gt_i64_e32 vcc_lo, s[8:9], v[61:62]
	s_mov_b32 s0, 0
	s_delay_alu instid0(SALU_CYCLE_1)
	v_mov_b32_e32 v160, s0
	v_cndmask_b32_e64 v159, 0, 1, vcc_lo
.LBB1659_606:
	s_or_b32 exec_lo, exec_lo, s23
.LBB1659_607:
	s_delay_alu instid0(SALU_CYCLE_1) | instskip(SKIP_3) | instid1(VALU_DEP_2)
	s_or_b32 exec_lo, exec_lo, s22
	v_dual_mov_b32 v162, v16 :: v_dual_add_nc_u32 v57, 3, v64
	v_mov_b32_e32 v161, v15
	s_mov_b32 s22, exec_lo
	v_cmpx_gt_u32_e64 s3, v57
	s_cbranch_execz .LBB1659_618
; %bb.608:
	v_cmp_ne_u32_e32 vcc_lo, 1, v63
	s_cbranch_vccnz .LBB1659_615
; %bb.609:
	v_mul_lo_u32 v61, v16, s8
	v_mul_lo_u32 v62, v15, s9
	v_mad_u64_u32 v[57:58], null, v15, s8, 0
	v_mul_lo_u32 v65, v14, s8
	v_mul_lo_u32 v66, v13, s9
	v_mad_u64_u32 v[59:60], null, v13, s8, 0
	v_mov_b32_e32 v161, 1
	v_mov_b32_e32 v162, 0
	v_add3_u32 v58, v58, v62, v61
	s_mov_b32 s23, exec_lo
	s_delay_alu instid0(VALU_DEP_4) | instskip(NEXT) | instid1(VALU_DEP_2)
	v_add3_u32 v60, v60, v66, v65
	v_lshlrev_b64 v[57:58], 3, v[57:58]
	s_delay_alu instid0(VALU_DEP_2) | instskip(NEXT) | instid1(VALU_DEP_2)
	v_lshlrev_b64 v[61:62], 3, v[59:60]
	v_add_co_u32 v59, vcc_lo, s10, v57
	s_delay_alu instid0(VALU_DEP_3) | instskip(NEXT) | instid1(VALU_DEP_3)
	v_add_co_ci_u32_e32 v60, vcc_lo, s11, v58, vcc_lo
	v_add_co_u32 v57, vcc_lo, s10, v61
	s_delay_alu instid0(VALU_DEP_4)
	v_add_co_ci_u32_e32 v58, vcc_lo, s11, v62, vcc_lo
	s_clause 0x1
	global_load_b64 v[61:62], v[59:60], off
	global_load_b64 v[65:66], v[57:58], off
	s_waitcnt vmcnt(0)
	v_cmpx_eq_u64_e64 v[61:62], v[65:66]
	s_cbranch_execz .LBB1659_617
; %bb.610:
	v_add_co_u32 v57, vcc_lo, v57, 8
	v_add_co_ci_u32_e32 v58, vcc_lo, 0, v58, vcc_lo
	v_add_co_u32 v59, vcc_lo, v59, 8
	v_add_co_ci_u32_e32 v60, vcc_lo, 0, v60, vcc_lo
	s_add_u32 s14, s8, -1
	s_addc_u32 s15, s9, -1
	s_mov_b64 s[20:21], 0
	s_mov_b32 s24, 0
                                        ; implicit-def: $sgpr25
	s_set_inst_prefetch_distance 0x1
	s_branch .LBB1659_613
	.p2align	6
.LBB1659_611:                           ;   in Loop: Header=BB1659_613 Depth=1
	global_load_b64 v[61:62], v[59:60], off
	global_load_b64 v[65:66], v[57:58], off
	v_add_co_u32 v57, vcc_lo, v57, 8
	v_add_co_ci_u32_e32 v58, vcc_lo, 0, v58, vcc_lo
	v_add_co_u32 v59, s0, v59, 8
	s_delay_alu instid0(VALU_DEP_1)
	v_add_co_ci_u32_e64 v60, s0, 0, v60, s0
	s_add_u32 s20, s20, 1
	s_addc_u32 s21, s21, 0
	s_and_not1_b32 s0, s25, exec_lo
	s_waitcnt vmcnt(0)
	v_cmp_ne_u64_e32 vcc_lo, v[61:62], v[65:66]
	s_and_b32 s25, vcc_lo, exec_lo
	s_delay_alu instid0(SALU_CYCLE_1)
	s_or_b32 s25, s0, s25
.LBB1659_612:                           ;   in Loop: Header=BB1659_613 Depth=1
	v_dual_mov_b32 v62, s21 :: v_dual_mov_b32 v61, s20
	s_and_b32 s0, exec_lo, s25
	s_delay_alu instid0(SALU_CYCLE_1) | instskip(NEXT) | instid1(SALU_CYCLE_1)
	s_or_b32 s24, s0, s24
	s_and_not1_b32 exec_lo, exec_lo, s24
	s_cbranch_execz .LBB1659_616
.LBB1659_613:                           ; =>This Inner Loop Header: Depth=1
	s_or_b32 s25, s25, exec_lo
	s_cmp_eq_u64 s[14:15], s[20:21]
	s_cbranch_scc0 .LBB1659_611
; %bb.614:                              ;   in Loop: Header=BB1659_613 Depth=1
	s_mov_b64 s[20:21], s[8:9]
                                        ; implicit-def: $vgpr57_vgpr58
                                        ; implicit-def: $vgpr59_vgpr60
	s_branch .LBB1659_612
.LBB1659_615:
	v_mov_b32_e32 v161, 0
	v_mov_b32_e32 v162, 0
	s_branch .LBB1659_618
.LBB1659_616:
	s_set_inst_prefetch_distance 0x2
	s_or_b32 exec_lo, exec_lo, s24
	v_cmp_gt_i64_e32 vcc_lo, s[8:9], v[61:62]
	s_mov_b32 s0, 0
	s_delay_alu instid0(SALU_CYCLE_1)
	v_mov_b32_e32 v162, s0
	v_cndmask_b32_e64 v161, 0, 1, vcc_lo
.LBB1659_617:
	s_or_b32 exec_lo, exec_lo, s23
.LBB1659_618:
	s_delay_alu instid0(SALU_CYCLE_1) | instskip(SKIP_3) | instid1(VALU_DEP_2)
	s_or_b32 exec_lo, exec_lo, s22
	v_dual_mov_b32 v164, v14 :: v_dual_add_nc_u32 v57, 2, v64
	v_mov_b32_e32 v163, v13
	s_mov_b32 s22, exec_lo
	v_cmpx_gt_u32_e64 s3, v57
	s_cbranch_execz .LBB1659_629
; %bb.619:
	v_cmp_ne_u32_e32 vcc_lo, 1, v63
	s_cbranch_vccnz .LBB1659_626
; %bb.620:
	v_mul_lo_u32 v61, v14, s8
	v_mul_lo_u32 v62, v13, s9
	v_mad_u64_u32 v[57:58], null, v13, s8, 0
	v_mul_lo_u32 v65, v4, s8
	v_mul_lo_u32 v66, v3, s9
	v_mad_u64_u32 v[59:60], null, v3, s8, 0
	v_mov_b32_e32 v163, 1
	v_mov_b32_e32 v164, 0
	v_add3_u32 v58, v58, v62, v61
	s_mov_b32 s23, exec_lo
	s_delay_alu instid0(VALU_DEP_4) | instskip(NEXT) | instid1(VALU_DEP_2)
	v_add3_u32 v60, v60, v66, v65
	v_lshlrev_b64 v[57:58], 3, v[57:58]
	s_delay_alu instid0(VALU_DEP_2) | instskip(NEXT) | instid1(VALU_DEP_2)
	v_lshlrev_b64 v[61:62], 3, v[59:60]
	v_add_co_u32 v59, vcc_lo, s10, v57
	s_delay_alu instid0(VALU_DEP_3) | instskip(NEXT) | instid1(VALU_DEP_3)
	v_add_co_ci_u32_e32 v60, vcc_lo, s11, v58, vcc_lo
	v_add_co_u32 v57, vcc_lo, s10, v61
	s_delay_alu instid0(VALU_DEP_4)
	v_add_co_ci_u32_e32 v58, vcc_lo, s11, v62, vcc_lo
	s_clause 0x1
	global_load_b64 v[61:62], v[59:60], off
	global_load_b64 v[65:66], v[57:58], off
	s_waitcnt vmcnt(0)
	v_cmpx_eq_u64_e64 v[61:62], v[65:66]
	s_cbranch_execz .LBB1659_628
; %bb.621:
	v_add_co_u32 v57, vcc_lo, v57, 8
	v_add_co_ci_u32_e32 v58, vcc_lo, 0, v58, vcc_lo
	v_add_co_u32 v59, vcc_lo, v59, 8
	v_add_co_ci_u32_e32 v60, vcc_lo, 0, v60, vcc_lo
	s_add_u32 s14, s8, -1
	s_addc_u32 s15, s9, -1
	s_mov_b64 s[20:21], 0
	s_mov_b32 s24, 0
                                        ; implicit-def: $sgpr25
	s_set_inst_prefetch_distance 0x1
	s_branch .LBB1659_624
	.p2align	6
.LBB1659_622:                           ;   in Loop: Header=BB1659_624 Depth=1
	global_load_b64 v[61:62], v[59:60], off
	global_load_b64 v[65:66], v[57:58], off
	v_add_co_u32 v57, vcc_lo, v57, 8
	v_add_co_ci_u32_e32 v58, vcc_lo, 0, v58, vcc_lo
	v_add_co_u32 v59, s0, v59, 8
	s_delay_alu instid0(VALU_DEP_1)
	v_add_co_ci_u32_e64 v60, s0, 0, v60, s0
	s_add_u32 s20, s20, 1
	s_addc_u32 s21, s21, 0
	s_and_not1_b32 s0, s25, exec_lo
	s_waitcnt vmcnt(0)
	v_cmp_ne_u64_e32 vcc_lo, v[61:62], v[65:66]
	s_and_b32 s25, vcc_lo, exec_lo
	s_delay_alu instid0(SALU_CYCLE_1)
	s_or_b32 s25, s0, s25
.LBB1659_623:                           ;   in Loop: Header=BB1659_624 Depth=1
	v_dual_mov_b32 v62, s21 :: v_dual_mov_b32 v61, s20
	s_and_b32 s0, exec_lo, s25
	s_delay_alu instid0(SALU_CYCLE_1) | instskip(NEXT) | instid1(SALU_CYCLE_1)
	s_or_b32 s24, s0, s24
	s_and_not1_b32 exec_lo, exec_lo, s24
	s_cbranch_execz .LBB1659_627
.LBB1659_624:                           ; =>This Inner Loop Header: Depth=1
	s_or_b32 s25, s25, exec_lo
	s_cmp_eq_u64 s[14:15], s[20:21]
	s_cbranch_scc0 .LBB1659_622
; %bb.625:                              ;   in Loop: Header=BB1659_624 Depth=1
	s_mov_b64 s[20:21], s[8:9]
                                        ; implicit-def: $vgpr57_vgpr58
                                        ; implicit-def: $vgpr59_vgpr60
	s_branch .LBB1659_623
.LBB1659_626:
	v_mov_b32_e32 v163, 0
	v_mov_b32_e32 v164, 0
	s_branch .LBB1659_629
.LBB1659_627:
	s_set_inst_prefetch_distance 0x2
	s_or_b32 exec_lo, exec_lo, s24
	v_cmp_gt_i64_e32 vcc_lo, s[8:9], v[61:62]
	s_mov_b32 s0, 0
	s_delay_alu instid0(SALU_CYCLE_1)
	v_mov_b32_e32 v164, s0
	v_cndmask_b32_e64 v163, 0, 1, vcc_lo
.LBB1659_628:
	s_or_b32 exec_lo, exec_lo, s23
.LBB1659_629:
	s_delay_alu instid0(SALU_CYCLE_1) | instskip(SKIP_3) | instid1(VALU_DEP_2)
	s_or_b32 exec_lo, exec_lo, s22
	v_dual_mov_b32 v166, v4 :: v_dual_add_nc_u32 v57, 1, v64
	v_mov_b32_e32 v165, v3
	s_mov_b32 s22, exec_lo
	v_cmpx_gt_u32_e64 s3, v57
	s_cbranch_execz .LBB1659_640
; %bb.630:
	v_cmp_ne_u32_e32 vcc_lo, 1, v63
	s_cbranch_vccnz .LBB1659_637
; %bb.631:
	v_mul_lo_u32 v61, v4, s8
	v_mul_lo_u32 v62, v3, s9
	v_mad_u64_u32 v[57:58], null, v3, s8, 0
	v_mul_lo_u32 v65, v2, s8
	v_mul_lo_u32 v66, v1, s9
	v_mad_u64_u32 v[59:60], null, v1, s8, 0
	v_mov_b32_e32 v165, 1
	v_mov_b32_e32 v166, 0
	v_add3_u32 v58, v58, v62, v61
	s_mov_b32 s23, exec_lo
	s_delay_alu instid0(VALU_DEP_4) | instskip(NEXT) | instid1(VALU_DEP_2)
	v_add3_u32 v60, v60, v66, v65
	v_lshlrev_b64 v[57:58], 3, v[57:58]
	s_delay_alu instid0(VALU_DEP_2) | instskip(NEXT) | instid1(VALU_DEP_2)
	v_lshlrev_b64 v[61:62], 3, v[59:60]
	v_add_co_u32 v59, vcc_lo, s10, v57
	s_delay_alu instid0(VALU_DEP_3) | instskip(NEXT) | instid1(VALU_DEP_3)
	v_add_co_ci_u32_e32 v60, vcc_lo, s11, v58, vcc_lo
	v_add_co_u32 v57, vcc_lo, s10, v61
	s_delay_alu instid0(VALU_DEP_4)
	v_add_co_ci_u32_e32 v58, vcc_lo, s11, v62, vcc_lo
	s_clause 0x1
	global_load_b64 v[61:62], v[59:60], off
	global_load_b64 v[65:66], v[57:58], off
	s_waitcnt vmcnt(0)
	v_cmpx_eq_u64_e64 v[61:62], v[65:66]
	s_cbranch_execz .LBB1659_639
; %bb.632:
	v_add_co_u32 v57, vcc_lo, v57, 8
	v_add_co_ci_u32_e32 v58, vcc_lo, 0, v58, vcc_lo
	v_add_co_u32 v59, vcc_lo, v59, 8
	v_add_co_ci_u32_e32 v60, vcc_lo, 0, v60, vcc_lo
	s_add_u32 s14, s8, -1
	s_addc_u32 s15, s9, -1
	s_mov_b64 s[20:21], 0
	s_mov_b32 s24, 0
                                        ; implicit-def: $sgpr25
	s_set_inst_prefetch_distance 0x1
	s_branch .LBB1659_635
	.p2align	6
.LBB1659_633:                           ;   in Loop: Header=BB1659_635 Depth=1
	global_load_b64 v[61:62], v[59:60], off
	global_load_b64 v[65:66], v[57:58], off
	v_add_co_u32 v57, vcc_lo, v57, 8
	v_add_co_ci_u32_e32 v58, vcc_lo, 0, v58, vcc_lo
	v_add_co_u32 v59, s0, v59, 8
	s_delay_alu instid0(VALU_DEP_1)
	v_add_co_ci_u32_e64 v60, s0, 0, v60, s0
	s_add_u32 s20, s20, 1
	s_addc_u32 s21, s21, 0
	s_and_not1_b32 s0, s25, exec_lo
	s_waitcnt vmcnt(0)
	v_cmp_ne_u64_e32 vcc_lo, v[61:62], v[65:66]
	s_and_b32 s25, vcc_lo, exec_lo
	s_delay_alu instid0(SALU_CYCLE_1)
	s_or_b32 s25, s0, s25
.LBB1659_634:                           ;   in Loop: Header=BB1659_635 Depth=1
	v_dual_mov_b32 v62, s21 :: v_dual_mov_b32 v61, s20
	s_and_b32 s0, exec_lo, s25
	s_delay_alu instid0(SALU_CYCLE_1) | instskip(NEXT) | instid1(SALU_CYCLE_1)
	s_or_b32 s24, s0, s24
	s_and_not1_b32 exec_lo, exec_lo, s24
	s_cbranch_execz .LBB1659_638
.LBB1659_635:                           ; =>This Inner Loop Header: Depth=1
	s_or_b32 s25, s25, exec_lo
	s_cmp_eq_u64 s[14:15], s[20:21]
	s_cbranch_scc0 .LBB1659_633
; %bb.636:                              ;   in Loop: Header=BB1659_635 Depth=1
	s_mov_b64 s[20:21], s[8:9]
                                        ; implicit-def: $vgpr57_vgpr58
                                        ; implicit-def: $vgpr59_vgpr60
	s_branch .LBB1659_634
.LBB1659_637:
	v_mov_b32_e32 v165, 0
	v_mov_b32_e32 v166, 0
	s_branch .LBB1659_640
.LBB1659_638:
	s_set_inst_prefetch_distance 0x2
	s_or_b32 exec_lo, exec_lo, s24
	v_cmp_gt_i64_e32 vcc_lo, s[8:9], v[61:62]
	s_mov_b32 s0, 0
	s_delay_alu instid0(SALU_CYCLE_1)
	v_mov_b32_e32 v166, s0
	v_cndmask_b32_e64 v165, 0, 1, vcc_lo
.LBB1659_639:
	s_or_b32 exec_lo, exec_lo, s23
.LBB1659_640:
	s_delay_alu instid0(SALU_CYCLE_1)
	s_or_b32 exec_lo, exec_lo, s22
	v_dual_mov_b32 v58, s13 :: v_dual_mov_b32 v57, s12
	s_mov_b32 s0, exec_lo
	s_waitcnt lgkmcnt(0)
	s_barrier
	buffer_gl0_inv
	v_cmpx_ne_u32_e32 0, v0
	s_cbranch_execz .LBB1659_642
; %bb.641:
	v_add_nc_u32_e32 v57, -8, v195
	ds_load_b64 v[57:58], v57
.LBB1659_642:
	s_or_b32 exec_lo, exec_lo, s0
	v_cmp_gt_u32_e32 vcc_lo, s3, v64
                                        ; implicit-def: $sgpr0
	s_and_saveexec_b32 s3, vcc_lo
	s_cbranch_execz .LBB1659_654
; %bb.643:
	v_cmp_ne_u32_e32 vcc_lo, 1, v63
	s_cbranch_vccnz .LBB1659_650
; %bb.644:
	v_mul_lo_u32 v63, v2, s8
	v_mul_lo_u32 v64, v1, s9
	v_mad_u64_u32 v[59:60], null, v1, s8, 0
	s_waitcnt lgkmcnt(0)
	v_mul_lo_u32 v58, v58, s8
	v_mul_lo_u32 v65, v57, s9
	v_mad_u64_u32 v[61:62], null, v57, s8, 0
	s_mov_b32 s0, -1
	s_mov_b32 s20, exec_lo
	s_delay_alu instid0(VALU_DEP_4) | instskip(NEXT) | instid1(VALU_DEP_2)
	v_add3_u32 v60, v60, v64, v63
	v_add3_u32 v62, v62, v65, v58
	s_delay_alu instid0(VALU_DEP_2) | instskip(NEXT) | instid1(VALU_DEP_2)
	v_lshlrev_b64 v[57:58], 3, v[59:60]
	v_lshlrev_b64 v[61:62], 3, v[61:62]
	s_delay_alu instid0(VALU_DEP_2) | instskip(NEXT) | instid1(VALU_DEP_3)
	v_add_co_u32 v59, vcc_lo, s10, v57
	v_add_co_ci_u32_e32 v60, vcc_lo, s11, v58, vcc_lo
	s_delay_alu instid0(VALU_DEP_3) | instskip(NEXT) | instid1(VALU_DEP_4)
	v_add_co_u32 v57, vcc_lo, s10, v61
	v_add_co_ci_u32_e32 v58, vcc_lo, s11, v62, vcc_lo
	s_clause 0x1
	global_load_b64 v[61:62], v[59:60], off
	global_load_b64 v[63:64], v[57:58], off
	s_waitcnt vmcnt(0)
	v_cmpx_eq_u64_e64 v[61:62], v[63:64]
	s_cbranch_execz .LBB1659_652
; %bb.645:
	v_add_co_u32 v57, vcc_lo, v57, 8
	v_add_co_ci_u32_e32 v58, vcc_lo, 0, v58, vcc_lo
	v_add_co_u32 v59, vcc_lo, v59, 8
	v_add_co_ci_u32_e32 v60, vcc_lo, 0, v60, vcc_lo
	s_add_u32 s12, s8, -1
	s_addc_u32 s13, s9, -1
	s_mov_b64 s[14:15], 0
	s_mov_b32 s21, 0
                                        ; implicit-def: $sgpr22
	s_set_inst_prefetch_distance 0x1
	s_branch .LBB1659_648
	.p2align	6
.LBB1659_646:                           ;   in Loop: Header=BB1659_648 Depth=1
	global_load_b64 v[61:62], v[59:60], off
	global_load_b64 v[63:64], v[57:58], off
	v_add_co_u32 v57, vcc_lo, v57, 8
	v_add_co_ci_u32_e32 v58, vcc_lo, 0, v58, vcc_lo
	v_add_co_u32 v59, s0, v59, 8
	s_delay_alu instid0(VALU_DEP_1)
	v_add_co_ci_u32_e64 v60, s0, 0, v60, s0
	s_add_u32 s14, s14, 1
	s_addc_u32 s15, s15, 0
	s_and_not1_b32 s0, s22, exec_lo
	s_waitcnt vmcnt(0)
	v_cmp_ne_u64_e32 vcc_lo, v[61:62], v[63:64]
	s_and_b32 s22, vcc_lo, exec_lo
	s_delay_alu instid0(SALU_CYCLE_1)
	s_or_b32 s22, s0, s22
.LBB1659_647:                           ;   in Loop: Header=BB1659_648 Depth=1
	v_dual_mov_b32 v62, s15 :: v_dual_mov_b32 v61, s14
	s_and_b32 s0, exec_lo, s22
	s_delay_alu instid0(SALU_CYCLE_1) | instskip(NEXT) | instid1(SALU_CYCLE_1)
	s_or_b32 s21, s0, s21
	s_and_not1_b32 exec_lo, exec_lo, s21
	s_cbranch_execz .LBB1659_651
.LBB1659_648:                           ; =>This Inner Loop Header: Depth=1
	s_or_b32 s22, s22, exec_lo
	s_cmp_eq_u64 s[12:13], s[14:15]
	s_cbranch_scc0 .LBB1659_646
; %bb.649:                              ;   in Loop: Header=BB1659_648 Depth=1
	s_mov_b64 s[14:15], s[8:9]
                                        ; implicit-def: $vgpr57_vgpr58
                                        ; implicit-def: $vgpr59_vgpr60
	s_branch .LBB1659_647
.LBB1659_650:
	s_mov_b32 s0, 0
	s_branch .LBB1659_653
.LBB1659_651:
	s_set_inst_prefetch_distance 0x2
	s_or_b32 exec_lo, exec_lo, s21
	v_cmp_gt_i64_e32 vcc_lo, s[8:9], v[61:62]
	s_or_not1_b32 s0, vcc_lo, exec_lo
.LBB1659_652:
	s_or_b32 exec_lo, exec_lo, s20
.LBB1659_653:
	s_delay_alu instid0(SALU_CYCLE_1)
	s_and_b32 s0, s0, exec_lo
	s_or_b32 s1, s1, exec_lo
.LBB1659_654:
	s_or_b32 exec_lo, exec_lo, s3
	v_dual_mov_b32 v182, v166 :: v_dual_mov_b32 v181, v165
	v_dual_mov_b32 v168, v164 :: v_dual_mov_b32 v167, v163
	;; [unrolled: 1-line block ×27, first 2 shown]
	s_branch .LBB1659_1243
.LBB1659_655:
	s_cmp_lg_u64 s[18:19], 1
	s_cbranch_scc0 .LBB1659_663
; %bb.656:
	v_mul_lo_u32 v59, v8, s8
	v_mul_lo_u32 v60, v7, s9
	s_waitcnt lgkmcnt(0)
	v_mad_u64_u32 v[57:58], null, v7, s8, 0
	v_mov_b32_e32 v113, 0
	v_mov_b32_e32 v114, 0
	v_cmp_lt_i64_e64 s0, s[8:9], 1
	v_cmp_gt_i64_e64 s3, s[8:9], 0
	s_delay_alu instid0(VALU_DEP_4) | instskip(SKIP_4) | instid1(VALU_DEP_1)
	v_mov_b32_e32 v111, v113
	ds_store_b64 v195, v[109:110]
	v_mov_b32_e32 v112, v114
	v_add3_u32 v58, v58, v60, v59
	s_and_b32 vcc_lo, exec_lo, s0
	v_lshlrev_b64 v[57:58], 3, v[57:58]
	s_cbranch_vccnz .LBB1659_666
; %bb.657:
	v_mul_lo_u32 v61, v110, s8
	v_mul_lo_u32 v62, v109, s9
	v_mad_u64_u32 v[59:60], null, v109, s8, 0
	v_mov_b32_e32 v111, 1
	v_mov_b32_e32 v112, 0
	s_mov_b32 s18, exec_lo
	s_delay_alu instid0(VALU_DEP_3) | instskip(NEXT) | instid1(VALU_DEP_1)
	v_add3_u32 v60, v60, v62, v61
	v_lshlrev_b64 v[59:60], 3, v[59:60]
	s_delay_alu instid0(VALU_DEP_1) | instskip(NEXT) | instid1(VALU_DEP_2)
	v_add_co_u32 v61, vcc_lo, s10, v59
	v_add_co_ci_u32_e32 v62, vcc_lo, s11, v60, vcc_lo
	v_add_co_u32 v59, vcc_lo, s10, v57
	v_add_co_ci_u32_e32 v60, vcc_lo, s11, v58, vcc_lo
	s_clause 0x1
	global_load_b64 v[63:64], v[61:62], off
	global_load_b64 v[65:66], v[59:60], off
	s_waitcnt vmcnt(0)
	v_cmpx_eq_u64_e64 v[63:64], v[65:66]
	s_cbranch_execz .LBB1659_665
; %bb.658:
	v_add_co_u32 v59, vcc_lo, v59, 8
	v_add_co_ci_u32_e32 v60, vcc_lo, 0, v60, vcc_lo
	v_add_co_u32 v61, vcc_lo, v61, 8
	v_add_co_ci_u32_e32 v62, vcc_lo, 0, v62, vcc_lo
	s_add_u32 s12, s8, -1
	s_addc_u32 s13, s9, -1
	s_mov_b64 s[14:15], 0
	s_mov_b32 s19, 0
                                        ; implicit-def: $sgpr20
	s_set_inst_prefetch_distance 0x1
	s_branch .LBB1659_661
	.p2align	6
.LBB1659_659:                           ;   in Loop: Header=BB1659_661 Depth=1
	global_load_b64 v[63:64], v[61:62], off
	global_load_b64 v[65:66], v[59:60], off
	v_add_co_u32 v59, vcc_lo, v59, 8
	v_add_co_ci_u32_e32 v60, vcc_lo, 0, v60, vcc_lo
	v_add_co_u32 v61, s0, v61, 8
	s_delay_alu instid0(VALU_DEP_1)
	v_add_co_ci_u32_e64 v62, s0, 0, v62, s0
	s_add_u32 s14, s14, 1
	s_addc_u32 s15, s15, 0
	s_and_not1_b32 s0, s20, exec_lo
	s_waitcnt vmcnt(0)
	v_cmp_ne_u64_e32 vcc_lo, v[63:64], v[65:66]
	s_and_b32 s20, vcc_lo, exec_lo
	s_delay_alu instid0(SALU_CYCLE_1)
	s_or_b32 s20, s0, s20
.LBB1659_660:                           ;   in Loop: Header=BB1659_661 Depth=1
	v_dual_mov_b32 v64, s15 :: v_dual_mov_b32 v63, s14
	s_and_b32 s0, exec_lo, s20
	s_delay_alu instid0(SALU_CYCLE_1) | instskip(NEXT) | instid1(SALU_CYCLE_1)
	s_or_b32 s19, s0, s19
	s_and_not1_b32 exec_lo, exec_lo, s19
	s_cbranch_execz .LBB1659_664
.LBB1659_661:                           ; =>This Inner Loop Header: Depth=1
	s_or_b32 s20, s20, exec_lo
	s_cmp_eq_u64 s[12:13], s[14:15]
	s_cbranch_scc0 .LBB1659_659
; %bb.662:                              ;   in Loop: Header=BB1659_661 Depth=1
	s_mov_b64 s[14:15], s[8:9]
                                        ; implicit-def: $vgpr59_vgpr60
                                        ; implicit-def: $vgpr61_vgpr62
	s_branch .LBB1659_660
.LBB1659_663:
                                        ; implicit-def: $sgpr0
                                        ; implicit-def: $vgpr165_vgpr166
                                        ; implicit-def: $vgpr163_vgpr164
                                        ; implicit-def: $vgpr161_vgpr162
                                        ; implicit-def: $vgpr159_vgpr160
                                        ; implicit-def: $vgpr157_vgpr158
                                        ; implicit-def: $vgpr155_vgpr156
                                        ; implicit-def: $vgpr153_vgpr154
                                        ; implicit-def: $vgpr151_vgpr152
                                        ; implicit-def: $vgpr149_vgpr150
                                        ; implicit-def: $vgpr147_vgpr148
                                        ; implicit-def: $vgpr145_vgpr146
                                        ; implicit-def: $vgpr143_vgpr144
                                        ; implicit-def: $vgpr141_vgpr142
                                        ; implicit-def: $vgpr139_vgpr140
                                        ; implicit-def: $vgpr137_vgpr138
                                        ; implicit-def: $vgpr135_vgpr136
                                        ; implicit-def: $vgpr133_vgpr134
                                        ; implicit-def: $vgpr131_vgpr132
                                        ; implicit-def: $vgpr129_vgpr130
                                        ; implicit-def: $vgpr127_vgpr128
                                        ; implicit-def: $vgpr125_vgpr126
                                        ; implicit-def: $vgpr123_vgpr124
                                        ; implicit-def: $vgpr121_vgpr122
                                        ; implicit-def: $vgpr119_vgpr120
                                        ; implicit-def: $vgpr117_vgpr118
                                        ; implicit-def: $vgpr113_vgpr114
                                        ; implicit-def: $vgpr115_vgpr116
                                        ; implicit-def: $vgpr111_vgpr112
                                        ; implicit-def: $vgpr181_vgpr182
                                        ; implicit-def: $vgpr167_vgpr168
                                        ; implicit-def: $vgpr169_vgpr170
                                        ; implicit-def: $vgpr171_vgpr172
                                        ; implicit-def: $vgpr173_vgpr174
                                        ; implicit-def: $vgpr175_vgpr176
                                        ; implicit-def: $vgpr177_vgpr178
                                        ; implicit-def: $vgpr179_vgpr180
                                        ; implicit-def: $vgpr183_vgpr184
                                        ; implicit-def: $vgpr185_vgpr186
                                        ; implicit-def: $vgpr187_vgpr188
                                        ; implicit-def: $vgpr189_vgpr190
                                        ; implicit-def: $vgpr191_vgpr192
                                        ; implicit-def: $vgpr193_vgpr194
                                        ; implicit-def: $vgpr57_vgpr58_vgpr59_vgpr60
                                        ; implicit-def: $vgpr61_vgpr62_vgpr63_vgpr64
                                        ; implicit-def: $vgpr65_vgpr66_vgpr67_vgpr68
                                        ; implicit-def: $vgpr69_vgpr70_vgpr71_vgpr72
                                        ; implicit-def: $vgpr73_vgpr74_vgpr75_vgpr76
                                        ; implicit-def: $vgpr77_vgpr78_vgpr79_vgpr80
                                        ; implicit-def: $vgpr81_vgpr82_vgpr83_vgpr84
                                        ; implicit-def: $vgpr85_vgpr86_vgpr87_vgpr88
                                        ; implicit-def: $vgpr89_vgpr90_vgpr91_vgpr92
                                        ; implicit-def: $vgpr93_vgpr94_vgpr95_vgpr96
                                        ; implicit-def: $vgpr97_vgpr98_vgpr99_vgpr100
                                        ; implicit-def: $vgpr101_vgpr102_vgpr103_vgpr104
                                        ; implicit-def: $vgpr105_vgpr106_vgpr107_vgpr108
	s_cbranch_execnz .LBB1659_923
	s_branch .LBB1659_1243
.LBB1659_664:
	s_set_inst_prefetch_distance 0x2
	s_or_b32 exec_lo, exec_lo, s19
	v_cmp_gt_i64_e32 vcc_lo, s[8:9], v[63:64]
	s_mov_b32 s0, 0
	s_delay_alu instid0(SALU_CYCLE_1)
	v_mov_b32_e32 v112, s0
	v_cndmask_b32_e64 v111, 0, 1, vcc_lo
.LBB1659_665:
	s_or_b32 exec_lo, exec_lo, s18
.LBB1659_666:
	v_mul_lo_u32 v61, v6, s8
	v_mul_lo_u32 v62, v5, s9
	v_mad_u64_u32 v[59:60], null, v5, s8, 0
	v_cndmask_b32_e64 v65, 0, 1, s3
	v_dual_mov_b32 v116, v114 :: v_dual_mov_b32 v115, v113
	s_and_not1_b32 vcc_lo, exec_lo, s3
	s_delay_alu instid0(VALU_DEP_3) | instskip(NEXT) | instid1(VALU_DEP_1)
	v_add3_u32 v60, v60, v62, v61
	v_lshlrev_b64 v[59:60], 3, v[59:60]
	s_cbranch_vccnz .LBB1659_675
; %bb.667:
	v_add_co_u32 v61, vcc_lo, s10, v57
	v_add_co_ci_u32_e32 v62, vcc_lo, s11, v58, vcc_lo
	s_delay_alu instid0(VALU_DEP_3) | instskip(NEXT) | instid1(VALU_DEP_4)
	v_add_co_u32 v57, vcc_lo, s10, v59
	v_add_co_ci_u32_e32 v58, vcc_lo, s11, v60, vcc_lo
	v_mov_b32_e32 v115, 1
	s_clause 0x1
	global_load_b64 v[63:64], v[61:62], off
	global_load_b64 v[66:67], v[57:58], off
	v_mov_b32_e32 v116, 0
	s_mov_b32 s3, exec_lo
	s_waitcnt vmcnt(0)
	v_cmpx_eq_u64_e64 v[63:64], v[66:67]
	s_cbranch_execz .LBB1659_674
; %bb.668:
	v_add_co_u32 v57, vcc_lo, v57, 8
	v_add_co_ci_u32_e32 v58, vcc_lo, 0, v58, vcc_lo
	v_add_co_u32 v61, vcc_lo, v61, 8
	v_add_co_ci_u32_e32 v62, vcc_lo, 0, v62, vcc_lo
	s_add_u32 s12, s8, -1
	s_addc_u32 s13, s9, -1
	s_mov_b64 s[14:15], 0
	s_mov_b32 s18, 0
                                        ; implicit-def: $sgpr19
	s_set_inst_prefetch_distance 0x1
	s_branch .LBB1659_671
	.p2align	6
.LBB1659_669:                           ;   in Loop: Header=BB1659_671 Depth=1
	global_load_b64 v[63:64], v[61:62], off
	global_load_b64 v[66:67], v[57:58], off
	v_add_co_u32 v57, vcc_lo, v57, 8
	v_add_co_ci_u32_e32 v58, vcc_lo, 0, v58, vcc_lo
	v_add_co_u32 v61, s0, v61, 8
	s_delay_alu instid0(VALU_DEP_1)
	v_add_co_ci_u32_e64 v62, s0, 0, v62, s0
	s_add_u32 s14, s14, 1
	s_addc_u32 s15, s15, 0
	s_and_not1_b32 s0, s19, exec_lo
	s_waitcnt vmcnt(0)
	v_cmp_ne_u64_e32 vcc_lo, v[63:64], v[66:67]
	s_and_b32 s19, vcc_lo, exec_lo
	s_delay_alu instid0(SALU_CYCLE_1)
	s_or_b32 s19, s0, s19
.LBB1659_670:                           ;   in Loop: Header=BB1659_671 Depth=1
	v_dual_mov_b32 v64, s15 :: v_dual_mov_b32 v63, s14
	s_and_b32 s0, exec_lo, s19
	s_delay_alu instid0(SALU_CYCLE_1) | instskip(NEXT) | instid1(SALU_CYCLE_1)
	s_or_b32 s18, s0, s18
	s_and_not1_b32 exec_lo, exec_lo, s18
	s_cbranch_execz .LBB1659_673
.LBB1659_671:                           ; =>This Inner Loop Header: Depth=1
	s_or_b32 s19, s19, exec_lo
	s_cmp_eq_u64 s[12:13], s[14:15]
	s_cbranch_scc0 .LBB1659_669
; %bb.672:                              ;   in Loop: Header=BB1659_671 Depth=1
	s_mov_b64 s[14:15], s[8:9]
                                        ; implicit-def: $vgpr57_vgpr58
                                        ; implicit-def: $vgpr61_vgpr62
	s_branch .LBB1659_670
.LBB1659_673:
	s_set_inst_prefetch_distance 0x2
	s_or_b32 exec_lo, exec_lo, s18
	v_cmp_gt_i64_e32 vcc_lo, s[8:9], v[63:64]
	s_mov_b32 s0, 0
	s_delay_alu instid0(SALU_CYCLE_1)
	v_mov_b32_e32 v116, s0
	v_cndmask_b32_e64 v115, 0, 1, vcc_lo
.LBB1659_674:
	s_or_b32 exec_lo, exec_lo, s3
.LBB1659_675:
	v_mul_lo_u32 v61, v12, s8
	v_mul_lo_u32 v62, v11, s9
	v_mad_u64_u32 v[57:58], null, v11, s8, 0
	v_cmp_ne_u32_e32 vcc_lo, 1, v65
	s_delay_alu instid0(VALU_DEP_2) | instskip(NEXT) | instid1(VALU_DEP_1)
	v_add3_u32 v58, v58, v62, v61
	v_lshlrev_b64 v[57:58], 3, v[57:58]
	s_cbranch_vccnz .LBB1659_684
; %bb.676:
	v_add_co_u32 v61, vcc_lo, s10, v59
	v_add_co_ci_u32_e32 v62, vcc_lo, s11, v60, vcc_lo
	s_delay_alu instid0(VALU_DEP_3) | instskip(NEXT) | instid1(VALU_DEP_4)
	v_add_co_u32 v59, vcc_lo, s10, v57
	v_add_co_ci_u32_e32 v60, vcc_lo, s11, v58, vcc_lo
	v_mov_b32_e32 v113, 1
	s_clause 0x1
	global_load_b64 v[63:64], v[61:62], off
	global_load_b64 v[66:67], v[59:60], off
	v_mov_b32_e32 v114, 0
	s_mov_b32 s3, exec_lo
	s_waitcnt vmcnt(0)
	v_cmpx_eq_u64_e64 v[63:64], v[66:67]
	s_cbranch_execz .LBB1659_683
; %bb.677:
	v_add_co_u32 v59, vcc_lo, v59, 8
	v_add_co_ci_u32_e32 v60, vcc_lo, 0, v60, vcc_lo
	v_add_co_u32 v61, vcc_lo, v61, 8
	v_add_co_ci_u32_e32 v62, vcc_lo, 0, v62, vcc_lo
	s_add_u32 s12, s8, -1
	s_addc_u32 s13, s9, -1
	s_mov_b64 s[14:15], 0
	s_mov_b32 s18, 0
                                        ; implicit-def: $sgpr19
	s_set_inst_prefetch_distance 0x1
	s_branch .LBB1659_680
	.p2align	6
.LBB1659_678:                           ;   in Loop: Header=BB1659_680 Depth=1
	global_load_b64 v[63:64], v[61:62], off
	global_load_b64 v[66:67], v[59:60], off
	v_add_co_u32 v59, vcc_lo, v59, 8
	v_add_co_ci_u32_e32 v60, vcc_lo, 0, v60, vcc_lo
	v_add_co_u32 v61, s0, v61, 8
	s_delay_alu instid0(VALU_DEP_1)
	v_add_co_ci_u32_e64 v62, s0, 0, v62, s0
	s_add_u32 s14, s14, 1
	s_addc_u32 s15, s15, 0
	s_and_not1_b32 s0, s19, exec_lo
	s_waitcnt vmcnt(0)
	v_cmp_ne_u64_e32 vcc_lo, v[63:64], v[66:67]
	s_and_b32 s19, vcc_lo, exec_lo
	s_delay_alu instid0(SALU_CYCLE_1)
	s_or_b32 s19, s0, s19
.LBB1659_679:                           ;   in Loop: Header=BB1659_680 Depth=1
	v_dual_mov_b32 v64, s15 :: v_dual_mov_b32 v63, s14
	s_and_b32 s0, exec_lo, s19
	s_delay_alu instid0(SALU_CYCLE_1) | instskip(NEXT) | instid1(SALU_CYCLE_1)
	s_or_b32 s18, s0, s18
	s_and_not1_b32 exec_lo, exec_lo, s18
	s_cbranch_execz .LBB1659_682
.LBB1659_680:                           ; =>This Inner Loop Header: Depth=1
	s_or_b32 s19, s19, exec_lo
	s_cmp_eq_u64 s[12:13], s[14:15]
	s_cbranch_scc0 .LBB1659_678
; %bb.681:                              ;   in Loop: Header=BB1659_680 Depth=1
	s_mov_b64 s[14:15], s[8:9]
                                        ; implicit-def: $vgpr59_vgpr60
                                        ; implicit-def: $vgpr61_vgpr62
	s_branch .LBB1659_679
.LBB1659_682:
	s_set_inst_prefetch_distance 0x2
	s_or_b32 exec_lo, exec_lo, s18
	v_cmp_gt_i64_e32 vcc_lo, s[8:9], v[63:64]
	s_mov_b32 s0, 0
	s_delay_alu instid0(SALU_CYCLE_1)
	v_mov_b32_e32 v114, s0
	v_cndmask_b32_e64 v113, 0, 1, vcc_lo
.LBB1659_683:
	s_or_b32 exec_lo, exec_lo, s3
.LBB1659_684:
	v_mul_lo_u32 v61, v10, s8
	v_mul_lo_u32 v62, v9, s9
	v_mad_u64_u32 v[59:60], null, v9, s8, 0
	v_mov_b32_e32 v119, 0
	v_mov_b32_e32 v120, 0
	v_cmp_ne_u32_e32 vcc_lo, 1, v65
	s_delay_alu instid0(VALU_DEP_2) | instskip(SKIP_1) | instid1(VALU_DEP_1)
	v_dual_mov_b32 v117, v119 :: v_dual_mov_b32 v118, v120
	v_add3_u32 v60, v60, v62, v61
	v_lshlrev_b64 v[59:60], 3, v[59:60]
	s_cbranch_vccnz .LBB1659_693
; %bb.685:
	v_add_co_u32 v61, vcc_lo, s10, v57
	v_add_co_ci_u32_e32 v62, vcc_lo, s11, v58, vcc_lo
	s_delay_alu instid0(VALU_DEP_3) | instskip(NEXT) | instid1(VALU_DEP_4)
	v_add_co_u32 v57, vcc_lo, s10, v59
	v_add_co_ci_u32_e32 v58, vcc_lo, s11, v60, vcc_lo
	v_mov_b32_e32 v117, 1
	s_clause 0x1
	global_load_b64 v[63:64], v[61:62], off
	global_load_b64 v[66:67], v[57:58], off
	v_mov_b32_e32 v118, 0
	s_mov_b32 s3, exec_lo
	s_waitcnt vmcnt(0)
	v_cmpx_eq_u64_e64 v[63:64], v[66:67]
	s_cbranch_execz .LBB1659_692
; %bb.686:
	v_add_co_u32 v57, vcc_lo, v57, 8
	v_add_co_ci_u32_e32 v58, vcc_lo, 0, v58, vcc_lo
	v_add_co_u32 v61, vcc_lo, v61, 8
	v_add_co_ci_u32_e32 v62, vcc_lo, 0, v62, vcc_lo
	s_add_u32 s12, s8, -1
	s_addc_u32 s13, s9, -1
	s_mov_b64 s[14:15], 0
	s_mov_b32 s18, 0
                                        ; implicit-def: $sgpr19
	s_set_inst_prefetch_distance 0x1
	s_branch .LBB1659_689
	.p2align	6
.LBB1659_687:                           ;   in Loop: Header=BB1659_689 Depth=1
	global_load_b64 v[63:64], v[61:62], off
	global_load_b64 v[66:67], v[57:58], off
	v_add_co_u32 v57, vcc_lo, v57, 8
	v_add_co_ci_u32_e32 v58, vcc_lo, 0, v58, vcc_lo
	v_add_co_u32 v61, s0, v61, 8
	s_delay_alu instid0(VALU_DEP_1)
	v_add_co_ci_u32_e64 v62, s0, 0, v62, s0
	s_add_u32 s14, s14, 1
	s_addc_u32 s15, s15, 0
	s_and_not1_b32 s0, s19, exec_lo
	s_waitcnt vmcnt(0)
	v_cmp_ne_u64_e32 vcc_lo, v[63:64], v[66:67]
	s_and_b32 s19, vcc_lo, exec_lo
	s_delay_alu instid0(SALU_CYCLE_1)
	s_or_b32 s19, s0, s19
.LBB1659_688:                           ;   in Loop: Header=BB1659_689 Depth=1
	v_dual_mov_b32 v64, s15 :: v_dual_mov_b32 v63, s14
	s_and_b32 s0, exec_lo, s19
	s_delay_alu instid0(SALU_CYCLE_1) | instskip(NEXT) | instid1(SALU_CYCLE_1)
	s_or_b32 s18, s0, s18
	s_and_not1_b32 exec_lo, exec_lo, s18
	s_cbranch_execz .LBB1659_691
.LBB1659_689:                           ; =>This Inner Loop Header: Depth=1
	s_or_b32 s19, s19, exec_lo
	s_cmp_eq_u64 s[12:13], s[14:15]
	s_cbranch_scc0 .LBB1659_687
; %bb.690:                              ;   in Loop: Header=BB1659_689 Depth=1
	s_mov_b64 s[14:15], s[8:9]
                                        ; implicit-def: $vgpr57_vgpr58
                                        ; implicit-def: $vgpr61_vgpr62
	s_branch .LBB1659_688
.LBB1659_691:
	s_set_inst_prefetch_distance 0x2
	s_or_b32 exec_lo, exec_lo, s18
	v_cmp_gt_i64_e32 vcc_lo, s[8:9], v[63:64]
	s_mov_b32 s0, 0
	s_delay_alu instid0(SALU_CYCLE_1)
	v_mov_b32_e32 v118, s0
	v_cndmask_b32_e64 v117, 0, 1, vcc_lo
.LBB1659_692:
	s_or_b32 exec_lo, exec_lo, s3
.LBB1659_693:
	v_mul_lo_u32 v61, v56, s8
	v_mul_lo_u32 v62, v55, s9
	v_mad_u64_u32 v[57:58], null, v55, s8, 0
	v_cmp_ne_u32_e32 vcc_lo, 1, v65
	s_delay_alu instid0(VALU_DEP_2) | instskip(NEXT) | instid1(VALU_DEP_1)
	v_add3_u32 v58, v58, v62, v61
	v_lshlrev_b64 v[57:58], 3, v[57:58]
	s_cbranch_vccnz .LBB1659_702
; %bb.694:
	v_add_co_u32 v61, vcc_lo, s10, v59
	v_add_co_ci_u32_e32 v62, vcc_lo, s11, v60, vcc_lo
	s_delay_alu instid0(VALU_DEP_3) | instskip(NEXT) | instid1(VALU_DEP_4)
	v_add_co_u32 v59, vcc_lo, s10, v57
	v_add_co_ci_u32_e32 v60, vcc_lo, s11, v58, vcc_lo
	v_mov_b32_e32 v119, 1
	s_clause 0x1
	global_load_b64 v[63:64], v[61:62], off
	global_load_b64 v[66:67], v[59:60], off
	v_mov_b32_e32 v120, 0
	s_mov_b32 s3, exec_lo
	s_waitcnt vmcnt(0)
	v_cmpx_eq_u64_e64 v[63:64], v[66:67]
	s_cbranch_execz .LBB1659_701
; %bb.695:
	v_add_co_u32 v59, vcc_lo, v59, 8
	v_add_co_ci_u32_e32 v60, vcc_lo, 0, v60, vcc_lo
	v_add_co_u32 v61, vcc_lo, v61, 8
	v_add_co_ci_u32_e32 v62, vcc_lo, 0, v62, vcc_lo
	s_add_u32 s12, s8, -1
	s_addc_u32 s13, s9, -1
	s_mov_b64 s[14:15], 0
	s_mov_b32 s18, 0
                                        ; implicit-def: $sgpr19
	s_set_inst_prefetch_distance 0x1
	s_branch .LBB1659_698
	.p2align	6
.LBB1659_696:                           ;   in Loop: Header=BB1659_698 Depth=1
	global_load_b64 v[63:64], v[61:62], off
	global_load_b64 v[66:67], v[59:60], off
	v_add_co_u32 v59, vcc_lo, v59, 8
	v_add_co_ci_u32_e32 v60, vcc_lo, 0, v60, vcc_lo
	v_add_co_u32 v61, s0, v61, 8
	s_delay_alu instid0(VALU_DEP_1)
	v_add_co_ci_u32_e64 v62, s0, 0, v62, s0
	s_add_u32 s14, s14, 1
	s_addc_u32 s15, s15, 0
	s_and_not1_b32 s0, s19, exec_lo
	s_waitcnt vmcnt(0)
	v_cmp_ne_u64_e32 vcc_lo, v[63:64], v[66:67]
	s_and_b32 s19, vcc_lo, exec_lo
	s_delay_alu instid0(SALU_CYCLE_1)
	s_or_b32 s19, s0, s19
.LBB1659_697:                           ;   in Loop: Header=BB1659_698 Depth=1
	v_dual_mov_b32 v64, s15 :: v_dual_mov_b32 v63, s14
	s_and_b32 s0, exec_lo, s19
	s_delay_alu instid0(SALU_CYCLE_1) | instskip(NEXT) | instid1(SALU_CYCLE_1)
	s_or_b32 s18, s0, s18
	s_and_not1_b32 exec_lo, exec_lo, s18
	s_cbranch_execz .LBB1659_700
.LBB1659_698:                           ; =>This Inner Loop Header: Depth=1
	s_or_b32 s19, s19, exec_lo
	s_cmp_eq_u64 s[12:13], s[14:15]
	s_cbranch_scc0 .LBB1659_696
; %bb.699:                              ;   in Loop: Header=BB1659_698 Depth=1
	s_mov_b64 s[14:15], s[8:9]
                                        ; implicit-def: $vgpr59_vgpr60
                                        ; implicit-def: $vgpr61_vgpr62
	s_branch .LBB1659_697
.LBB1659_700:
	s_set_inst_prefetch_distance 0x2
	s_or_b32 exec_lo, exec_lo, s18
	v_cmp_gt_i64_e32 vcc_lo, s[8:9], v[63:64]
	s_mov_b32 s0, 0
	s_delay_alu instid0(SALU_CYCLE_1)
	v_mov_b32_e32 v120, s0
	v_cndmask_b32_e64 v119, 0, 1, vcc_lo
.LBB1659_701:
	s_or_b32 exec_lo, exec_lo, s3
.LBB1659_702:
	v_mul_lo_u32 v61, v54, s8
	v_mul_lo_u32 v62, v53, s9
	v_mad_u64_u32 v[59:60], null, v53, s8, 0
	v_mov_b32_e32 v123, 0
	v_mov_b32_e32 v124, 0
	v_cmp_ne_u32_e32 vcc_lo, 1, v65
	s_delay_alu instid0(VALU_DEP_2) | instskip(SKIP_1) | instid1(VALU_DEP_1)
	v_dual_mov_b32 v121, v123 :: v_dual_mov_b32 v122, v124
	v_add3_u32 v60, v60, v62, v61
	v_lshlrev_b64 v[59:60], 3, v[59:60]
	s_cbranch_vccnz .LBB1659_711
; %bb.703:
	v_add_co_u32 v61, vcc_lo, s10, v57
	v_add_co_ci_u32_e32 v62, vcc_lo, s11, v58, vcc_lo
	s_delay_alu instid0(VALU_DEP_3) | instskip(NEXT) | instid1(VALU_DEP_4)
	v_add_co_u32 v57, vcc_lo, s10, v59
	v_add_co_ci_u32_e32 v58, vcc_lo, s11, v60, vcc_lo
	v_mov_b32_e32 v121, 1
	s_clause 0x1
	global_load_b64 v[63:64], v[61:62], off
	global_load_b64 v[66:67], v[57:58], off
	v_mov_b32_e32 v122, 0
	s_mov_b32 s3, exec_lo
	s_waitcnt vmcnt(0)
	v_cmpx_eq_u64_e64 v[63:64], v[66:67]
	s_cbranch_execz .LBB1659_710
; %bb.704:
	v_add_co_u32 v57, vcc_lo, v57, 8
	v_add_co_ci_u32_e32 v58, vcc_lo, 0, v58, vcc_lo
	v_add_co_u32 v61, vcc_lo, v61, 8
	v_add_co_ci_u32_e32 v62, vcc_lo, 0, v62, vcc_lo
	s_add_u32 s12, s8, -1
	s_addc_u32 s13, s9, -1
	s_mov_b64 s[14:15], 0
	s_mov_b32 s18, 0
                                        ; implicit-def: $sgpr19
	s_set_inst_prefetch_distance 0x1
	s_branch .LBB1659_707
	.p2align	6
.LBB1659_705:                           ;   in Loop: Header=BB1659_707 Depth=1
	global_load_b64 v[63:64], v[61:62], off
	global_load_b64 v[66:67], v[57:58], off
	v_add_co_u32 v57, vcc_lo, v57, 8
	v_add_co_ci_u32_e32 v58, vcc_lo, 0, v58, vcc_lo
	v_add_co_u32 v61, s0, v61, 8
	s_delay_alu instid0(VALU_DEP_1)
	v_add_co_ci_u32_e64 v62, s0, 0, v62, s0
	s_add_u32 s14, s14, 1
	s_addc_u32 s15, s15, 0
	s_and_not1_b32 s0, s19, exec_lo
	s_waitcnt vmcnt(0)
	v_cmp_ne_u64_e32 vcc_lo, v[63:64], v[66:67]
	s_and_b32 s19, vcc_lo, exec_lo
	s_delay_alu instid0(SALU_CYCLE_1)
	s_or_b32 s19, s0, s19
.LBB1659_706:                           ;   in Loop: Header=BB1659_707 Depth=1
	v_dual_mov_b32 v64, s15 :: v_dual_mov_b32 v63, s14
	s_and_b32 s0, exec_lo, s19
	s_delay_alu instid0(SALU_CYCLE_1) | instskip(NEXT) | instid1(SALU_CYCLE_1)
	s_or_b32 s18, s0, s18
	s_and_not1_b32 exec_lo, exec_lo, s18
	s_cbranch_execz .LBB1659_709
.LBB1659_707:                           ; =>This Inner Loop Header: Depth=1
	s_or_b32 s19, s19, exec_lo
	s_cmp_eq_u64 s[12:13], s[14:15]
	s_cbranch_scc0 .LBB1659_705
; %bb.708:                              ;   in Loop: Header=BB1659_707 Depth=1
	s_mov_b64 s[14:15], s[8:9]
                                        ; implicit-def: $vgpr57_vgpr58
                                        ; implicit-def: $vgpr61_vgpr62
	s_branch .LBB1659_706
.LBB1659_709:
	s_set_inst_prefetch_distance 0x2
	s_or_b32 exec_lo, exec_lo, s18
	v_cmp_gt_i64_e32 vcc_lo, s[8:9], v[63:64]
	s_mov_b32 s0, 0
	s_delay_alu instid0(SALU_CYCLE_1)
	v_mov_b32_e32 v122, s0
	v_cndmask_b32_e64 v121, 0, 1, vcc_lo
.LBB1659_710:
	s_or_b32 exec_lo, exec_lo, s3
.LBB1659_711:
	v_mul_lo_u32 v61, v52, s8
	v_mul_lo_u32 v62, v51, s9
	v_mad_u64_u32 v[57:58], null, v51, s8, 0
	v_cmp_ne_u32_e32 vcc_lo, 1, v65
	s_delay_alu instid0(VALU_DEP_2) | instskip(NEXT) | instid1(VALU_DEP_1)
	v_add3_u32 v58, v58, v62, v61
	v_lshlrev_b64 v[57:58], 3, v[57:58]
	s_cbranch_vccnz .LBB1659_720
; %bb.712:
	v_add_co_u32 v61, vcc_lo, s10, v59
	v_add_co_ci_u32_e32 v62, vcc_lo, s11, v60, vcc_lo
	s_delay_alu instid0(VALU_DEP_3) | instskip(NEXT) | instid1(VALU_DEP_4)
	v_add_co_u32 v59, vcc_lo, s10, v57
	v_add_co_ci_u32_e32 v60, vcc_lo, s11, v58, vcc_lo
	v_mov_b32_e32 v123, 1
	s_clause 0x1
	global_load_b64 v[63:64], v[61:62], off
	global_load_b64 v[66:67], v[59:60], off
	v_mov_b32_e32 v124, 0
	s_mov_b32 s3, exec_lo
	s_waitcnt vmcnt(0)
	v_cmpx_eq_u64_e64 v[63:64], v[66:67]
	s_cbranch_execz .LBB1659_719
; %bb.713:
	v_add_co_u32 v59, vcc_lo, v59, 8
	v_add_co_ci_u32_e32 v60, vcc_lo, 0, v60, vcc_lo
	v_add_co_u32 v61, vcc_lo, v61, 8
	v_add_co_ci_u32_e32 v62, vcc_lo, 0, v62, vcc_lo
	s_add_u32 s12, s8, -1
	s_addc_u32 s13, s9, -1
	s_mov_b64 s[14:15], 0
	s_mov_b32 s18, 0
                                        ; implicit-def: $sgpr19
	s_set_inst_prefetch_distance 0x1
	s_branch .LBB1659_716
	.p2align	6
.LBB1659_714:                           ;   in Loop: Header=BB1659_716 Depth=1
	global_load_b64 v[63:64], v[61:62], off
	global_load_b64 v[66:67], v[59:60], off
	v_add_co_u32 v59, vcc_lo, v59, 8
	v_add_co_ci_u32_e32 v60, vcc_lo, 0, v60, vcc_lo
	v_add_co_u32 v61, s0, v61, 8
	s_delay_alu instid0(VALU_DEP_1)
	v_add_co_ci_u32_e64 v62, s0, 0, v62, s0
	s_add_u32 s14, s14, 1
	s_addc_u32 s15, s15, 0
	s_and_not1_b32 s0, s19, exec_lo
	s_waitcnt vmcnt(0)
	v_cmp_ne_u64_e32 vcc_lo, v[63:64], v[66:67]
	s_and_b32 s19, vcc_lo, exec_lo
	s_delay_alu instid0(SALU_CYCLE_1)
	s_or_b32 s19, s0, s19
.LBB1659_715:                           ;   in Loop: Header=BB1659_716 Depth=1
	v_dual_mov_b32 v64, s15 :: v_dual_mov_b32 v63, s14
	s_and_b32 s0, exec_lo, s19
	s_delay_alu instid0(SALU_CYCLE_1) | instskip(NEXT) | instid1(SALU_CYCLE_1)
	s_or_b32 s18, s0, s18
	s_and_not1_b32 exec_lo, exec_lo, s18
	s_cbranch_execz .LBB1659_718
.LBB1659_716:                           ; =>This Inner Loop Header: Depth=1
	s_or_b32 s19, s19, exec_lo
	s_cmp_eq_u64 s[12:13], s[14:15]
	s_cbranch_scc0 .LBB1659_714
; %bb.717:                              ;   in Loop: Header=BB1659_716 Depth=1
	s_mov_b64 s[14:15], s[8:9]
                                        ; implicit-def: $vgpr59_vgpr60
                                        ; implicit-def: $vgpr61_vgpr62
	s_branch .LBB1659_715
.LBB1659_718:
	s_set_inst_prefetch_distance 0x2
	s_or_b32 exec_lo, exec_lo, s18
	v_cmp_gt_i64_e32 vcc_lo, s[8:9], v[63:64]
	s_mov_b32 s0, 0
	s_delay_alu instid0(SALU_CYCLE_1)
	v_mov_b32_e32 v124, s0
	v_cndmask_b32_e64 v123, 0, 1, vcc_lo
.LBB1659_719:
	s_or_b32 exec_lo, exec_lo, s3
.LBB1659_720:
	v_mul_lo_u32 v61, v50, s8
	v_mul_lo_u32 v62, v49, s9
	v_mad_u64_u32 v[59:60], null, v49, s8, 0
	v_mov_b32_e32 v127, 0
	v_mov_b32_e32 v128, 0
	v_cmp_ne_u32_e32 vcc_lo, 1, v65
	s_delay_alu instid0(VALU_DEP_2) | instskip(SKIP_1) | instid1(VALU_DEP_1)
	v_dual_mov_b32 v125, v127 :: v_dual_mov_b32 v126, v128
	v_add3_u32 v60, v60, v62, v61
	v_lshlrev_b64 v[59:60], 3, v[59:60]
	s_cbranch_vccnz .LBB1659_729
; %bb.721:
	v_add_co_u32 v61, vcc_lo, s10, v57
	v_add_co_ci_u32_e32 v62, vcc_lo, s11, v58, vcc_lo
	s_delay_alu instid0(VALU_DEP_3) | instskip(NEXT) | instid1(VALU_DEP_4)
	v_add_co_u32 v57, vcc_lo, s10, v59
	v_add_co_ci_u32_e32 v58, vcc_lo, s11, v60, vcc_lo
	v_mov_b32_e32 v125, 1
	s_clause 0x1
	global_load_b64 v[63:64], v[61:62], off
	global_load_b64 v[66:67], v[57:58], off
	v_mov_b32_e32 v126, 0
	s_mov_b32 s3, exec_lo
	s_waitcnt vmcnt(0)
	v_cmpx_eq_u64_e64 v[63:64], v[66:67]
	s_cbranch_execz .LBB1659_728
; %bb.722:
	v_add_co_u32 v57, vcc_lo, v57, 8
	v_add_co_ci_u32_e32 v58, vcc_lo, 0, v58, vcc_lo
	v_add_co_u32 v61, vcc_lo, v61, 8
	v_add_co_ci_u32_e32 v62, vcc_lo, 0, v62, vcc_lo
	s_add_u32 s12, s8, -1
	s_addc_u32 s13, s9, -1
	s_mov_b64 s[14:15], 0
	s_mov_b32 s18, 0
                                        ; implicit-def: $sgpr19
	s_set_inst_prefetch_distance 0x1
	s_branch .LBB1659_725
	.p2align	6
.LBB1659_723:                           ;   in Loop: Header=BB1659_725 Depth=1
	global_load_b64 v[63:64], v[61:62], off
	global_load_b64 v[66:67], v[57:58], off
	v_add_co_u32 v57, vcc_lo, v57, 8
	v_add_co_ci_u32_e32 v58, vcc_lo, 0, v58, vcc_lo
	v_add_co_u32 v61, s0, v61, 8
	s_delay_alu instid0(VALU_DEP_1)
	v_add_co_ci_u32_e64 v62, s0, 0, v62, s0
	s_add_u32 s14, s14, 1
	s_addc_u32 s15, s15, 0
	s_and_not1_b32 s0, s19, exec_lo
	s_waitcnt vmcnt(0)
	v_cmp_ne_u64_e32 vcc_lo, v[63:64], v[66:67]
	s_and_b32 s19, vcc_lo, exec_lo
	s_delay_alu instid0(SALU_CYCLE_1)
	s_or_b32 s19, s0, s19
.LBB1659_724:                           ;   in Loop: Header=BB1659_725 Depth=1
	v_dual_mov_b32 v64, s15 :: v_dual_mov_b32 v63, s14
	s_and_b32 s0, exec_lo, s19
	s_delay_alu instid0(SALU_CYCLE_1) | instskip(NEXT) | instid1(SALU_CYCLE_1)
	s_or_b32 s18, s0, s18
	s_and_not1_b32 exec_lo, exec_lo, s18
	s_cbranch_execz .LBB1659_727
.LBB1659_725:                           ; =>This Inner Loop Header: Depth=1
	s_or_b32 s19, s19, exec_lo
	s_cmp_eq_u64 s[12:13], s[14:15]
	s_cbranch_scc0 .LBB1659_723
; %bb.726:                              ;   in Loop: Header=BB1659_725 Depth=1
	s_mov_b64 s[14:15], s[8:9]
                                        ; implicit-def: $vgpr57_vgpr58
                                        ; implicit-def: $vgpr61_vgpr62
	s_branch .LBB1659_724
.LBB1659_727:
	s_set_inst_prefetch_distance 0x2
	s_or_b32 exec_lo, exec_lo, s18
	v_cmp_gt_i64_e32 vcc_lo, s[8:9], v[63:64]
	s_mov_b32 s0, 0
	s_delay_alu instid0(SALU_CYCLE_1)
	v_mov_b32_e32 v126, s0
	v_cndmask_b32_e64 v125, 0, 1, vcc_lo
.LBB1659_728:
	s_or_b32 exec_lo, exec_lo, s3
.LBB1659_729:
	v_mul_lo_u32 v61, v48, s8
	v_mul_lo_u32 v62, v47, s9
	v_mad_u64_u32 v[57:58], null, v47, s8, 0
	v_cmp_ne_u32_e32 vcc_lo, 1, v65
	s_delay_alu instid0(VALU_DEP_2) | instskip(NEXT) | instid1(VALU_DEP_1)
	v_add3_u32 v58, v58, v62, v61
	v_lshlrev_b64 v[57:58], 3, v[57:58]
	s_cbranch_vccnz .LBB1659_738
; %bb.730:
	v_add_co_u32 v61, vcc_lo, s10, v59
	v_add_co_ci_u32_e32 v62, vcc_lo, s11, v60, vcc_lo
	s_delay_alu instid0(VALU_DEP_3) | instskip(NEXT) | instid1(VALU_DEP_4)
	v_add_co_u32 v59, vcc_lo, s10, v57
	v_add_co_ci_u32_e32 v60, vcc_lo, s11, v58, vcc_lo
	v_mov_b32_e32 v127, 1
	s_clause 0x1
	global_load_b64 v[63:64], v[61:62], off
	global_load_b64 v[66:67], v[59:60], off
	v_mov_b32_e32 v128, 0
	s_mov_b32 s3, exec_lo
	s_waitcnt vmcnt(0)
	v_cmpx_eq_u64_e64 v[63:64], v[66:67]
	s_cbranch_execz .LBB1659_737
; %bb.731:
	v_add_co_u32 v59, vcc_lo, v59, 8
	v_add_co_ci_u32_e32 v60, vcc_lo, 0, v60, vcc_lo
	v_add_co_u32 v61, vcc_lo, v61, 8
	v_add_co_ci_u32_e32 v62, vcc_lo, 0, v62, vcc_lo
	s_add_u32 s12, s8, -1
	s_addc_u32 s13, s9, -1
	s_mov_b64 s[14:15], 0
	s_mov_b32 s18, 0
                                        ; implicit-def: $sgpr19
	s_set_inst_prefetch_distance 0x1
	s_branch .LBB1659_734
	.p2align	6
.LBB1659_732:                           ;   in Loop: Header=BB1659_734 Depth=1
	global_load_b64 v[63:64], v[61:62], off
	global_load_b64 v[66:67], v[59:60], off
	v_add_co_u32 v59, vcc_lo, v59, 8
	v_add_co_ci_u32_e32 v60, vcc_lo, 0, v60, vcc_lo
	v_add_co_u32 v61, s0, v61, 8
	s_delay_alu instid0(VALU_DEP_1)
	v_add_co_ci_u32_e64 v62, s0, 0, v62, s0
	s_add_u32 s14, s14, 1
	s_addc_u32 s15, s15, 0
	s_and_not1_b32 s0, s19, exec_lo
	s_waitcnt vmcnt(0)
	v_cmp_ne_u64_e32 vcc_lo, v[63:64], v[66:67]
	s_and_b32 s19, vcc_lo, exec_lo
	s_delay_alu instid0(SALU_CYCLE_1)
	s_or_b32 s19, s0, s19
.LBB1659_733:                           ;   in Loop: Header=BB1659_734 Depth=1
	v_dual_mov_b32 v64, s15 :: v_dual_mov_b32 v63, s14
	s_and_b32 s0, exec_lo, s19
	s_delay_alu instid0(SALU_CYCLE_1) | instskip(NEXT) | instid1(SALU_CYCLE_1)
	s_or_b32 s18, s0, s18
	s_and_not1_b32 exec_lo, exec_lo, s18
	s_cbranch_execz .LBB1659_736
.LBB1659_734:                           ; =>This Inner Loop Header: Depth=1
	s_or_b32 s19, s19, exec_lo
	s_cmp_eq_u64 s[12:13], s[14:15]
	s_cbranch_scc0 .LBB1659_732
; %bb.735:                              ;   in Loop: Header=BB1659_734 Depth=1
	s_mov_b64 s[14:15], s[8:9]
                                        ; implicit-def: $vgpr59_vgpr60
                                        ; implicit-def: $vgpr61_vgpr62
	s_branch .LBB1659_733
.LBB1659_736:
	s_set_inst_prefetch_distance 0x2
	s_or_b32 exec_lo, exec_lo, s18
	v_cmp_gt_i64_e32 vcc_lo, s[8:9], v[63:64]
	s_mov_b32 s0, 0
	s_delay_alu instid0(SALU_CYCLE_1)
	v_mov_b32_e32 v128, s0
	v_cndmask_b32_e64 v127, 0, 1, vcc_lo
.LBB1659_737:
	s_or_b32 exec_lo, exec_lo, s3
.LBB1659_738:
	v_mul_lo_u32 v61, v46, s8
	v_mul_lo_u32 v62, v45, s9
	v_mad_u64_u32 v[59:60], null, v45, s8, 0
	v_mov_b32_e32 v131, 0
	v_mov_b32_e32 v132, 0
	v_cmp_ne_u32_e32 vcc_lo, 1, v65
	s_delay_alu instid0(VALU_DEP_2) | instskip(SKIP_1) | instid1(VALU_DEP_1)
	v_dual_mov_b32 v129, v131 :: v_dual_mov_b32 v130, v132
	v_add3_u32 v60, v60, v62, v61
	v_lshlrev_b64 v[59:60], 3, v[59:60]
	s_cbranch_vccnz .LBB1659_747
; %bb.739:
	v_add_co_u32 v61, vcc_lo, s10, v57
	v_add_co_ci_u32_e32 v62, vcc_lo, s11, v58, vcc_lo
	s_delay_alu instid0(VALU_DEP_3) | instskip(NEXT) | instid1(VALU_DEP_4)
	v_add_co_u32 v57, vcc_lo, s10, v59
	v_add_co_ci_u32_e32 v58, vcc_lo, s11, v60, vcc_lo
	v_mov_b32_e32 v129, 1
	s_clause 0x1
	global_load_b64 v[63:64], v[61:62], off
	global_load_b64 v[66:67], v[57:58], off
	v_mov_b32_e32 v130, 0
	s_mov_b32 s3, exec_lo
	s_waitcnt vmcnt(0)
	v_cmpx_eq_u64_e64 v[63:64], v[66:67]
	s_cbranch_execz .LBB1659_746
; %bb.740:
	v_add_co_u32 v57, vcc_lo, v57, 8
	v_add_co_ci_u32_e32 v58, vcc_lo, 0, v58, vcc_lo
	v_add_co_u32 v61, vcc_lo, v61, 8
	v_add_co_ci_u32_e32 v62, vcc_lo, 0, v62, vcc_lo
	s_add_u32 s12, s8, -1
	s_addc_u32 s13, s9, -1
	s_mov_b64 s[14:15], 0
	s_mov_b32 s18, 0
                                        ; implicit-def: $sgpr19
	s_set_inst_prefetch_distance 0x1
	s_branch .LBB1659_743
	.p2align	6
.LBB1659_741:                           ;   in Loop: Header=BB1659_743 Depth=1
	global_load_b64 v[63:64], v[61:62], off
	global_load_b64 v[66:67], v[57:58], off
	v_add_co_u32 v57, vcc_lo, v57, 8
	v_add_co_ci_u32_e32 v58, vcc_lo, 0, v58, vcc_lo
	v_add_co_u32 v61, s0, v61, 8
	s_delay_alu instid0(VALU_DEP_1)
	v_add_co_ci_u32_e64 v62, s0, 0, v62, s0
	s_add_u32 s14, s14, 1
	s_addc_u32 s15, s15, 0
	s_and_not1_b32 s0, s19, exec_lo
	s_waitcnt vmcnt(0)
	v_cmp_ne_u64_e32 vcc_lo, v[63:64], v[66:67]
	s_and_b32 s19, vcc_lo, exec_lo
	s_delay_alu instid0(SALU_CYCLE_1)
	s_or_b32 s19, s0, s19
.LBB1659_742:                           ;   in Loop: Header=BB1659_743 Depth=1
	v_dual_mov_b32 v64, s15 :: v_dual_mov_b32 v63, s14
	s_and_b32 s0, exec_lo, s19
	s_delay_alu instid0(SALU_CYCLE_1) | instskip(NEXT) | instid1(SALU_CYCLE_1)
	s_or_b32 s18, s0, s18
	s_and_not1_b32 exec_lo, exec_lo, s18
	s_cbranch_execz .LBB1659_745
.LBB1659_743:                           ; =>This Inner Loop Header: Depth=1
	s_or_b32 s19, s19, exec_lo
	s_cmp_eq_u64 s[12:13], s[14:15]
	s_cbranch_scc0 .LBB1659_741
; %bb.744:                              ;   in Loop: Header=BB1659_743 Depth=1
	s_mov_b64 s[14:15], s[8:9]
                                        ; implicit-def: $vgpr57_vgpr58
                                        ; implicit-def: $vgpr61_vgpr62
	s_branch .LBB1659_742
.LBB1659_745:
	s_set_inst_prefetch_distance 0x2
	s_or_b32 exec_lo, exec_lo, s18
	v_cmp_gt_i64_e32 vcc_lo, s[8:9], v[63:64]
	s_mov_b32 s0, 0
	s_delay_alu instid0(SALU_CYCLE_1)
	v_mov_b32_e32 v130, s0
	v_cndmask_b32_e64 v129, 0, 1, vcc_lo
.LBB1659_746:
	s_or_b32 exec_lo, exec_lo, s3
.LBB1659_747:
	v_mul_lo_u32 v61, v44, s8
	v_mul_lo_u32 v62, v43, s9
	v_mad_u64_u32 v[57:58], null, v43, s8, 0
	v_cmp_ne_u32_e32 vcc_lo, 1, v65
	s_delay_alu instid0(VALU_DEP_2) | instskip(NEXT) | instid1(VALU_DEP_1)
	v_add3_u32 v58, v58, v62, v61
	v_lshlrev_b64 v[57:58], 3, v[57:58]
	s_cbranch_vccnz .LBB1659_756
; %bb.748:
	v_add_co_u32 v61, vcc_lo, s10, v59
	v_add_co_ci_u32_e32 v62, vcc_lo, s11, v60, vcc_lo
	s_delay_alu instid0(VALU_DEP_3) | instskip(NEXT) | instid1(VALU_DEP_4)
	v_add_co_u32 v59, vcc_lo, s10, v57
	v_add_co_ci_u32_e32 v60, vcc_lo, s11, v58, vcc_lo
	v_mov_b32_e32 v131, 1
	s_clause 0x1
	global_load_b64 v[63:64], v[61:62], off
	global_load_b64 v[66:67], v[59:60], off
	v_mov_b32_e32 v132, 0
	s_mov_b32 s3, exec_lo
	s_waitcnt vmcnt(0)
	v_cmpx_eq_u64_e64 v[63:64], v[66:67]
	s_cbranch_execz .LBB1659_755
; %bb.749:
	v_add_co_u32 v59, vcc_lo, v59, 8
	v_add_co_ci_u32_e32 v60, vcc_lo, 0, v60, vcc_lo
	v_add_co_u32 v61, vcc_lo, v61, 8
	v_add_co_ci_u32_e32 v62, vcc_lo, 0, v62, vcc_lo
	s_add_u32 s12, s8, -1
	s_addc_u32 s13, s9, -1
	s_mov_b64 s[14:15], 0
	s_mov_b32 s18, 0
                                        ; implicit-def: $sgpr19
	s_set_inst_prefetch_distance 0x1
	s_branch .LBB1659_752
	.p2align	6
.LBB1659_750:                           ;   in Loop: Header=BB1659_752 Depth=1
	global_load_b64 v[63:64], v[61:62], off
	global_load_b64 v[66:67], v[59:60], off
	v_add_co_u32 v59, vcc_lo, v59, 8
	v_add_co_ci_u32_e32 v60, vcc_lo, 0, v60, vcc_lo
	v_add_co_u32 v61, s0, v61, 8
	s_delay_alu instid0(VALU_DEP_1)
	v_add_co_ci_u32_e64 v62, s0, 0, v62, s0
	s_add_u32 s14, s14, 1
	s_addc_u32 s15, s15, 0
	s_and_not1_b32 s0, s19, exec_lo
	s_waitcnt vmcnt(0)
	v_cmp_ne_u64_e32 vcc_lo, v[63:64], v[66:67]
	s_and_b32 s19, vcc_lo, exec_lo
	s_delay_alu instid0(SALU_CYCLE_1)
	s_or_b32 s19, s0, s19
.LBB1659_751:                           ;   in Loop: Header=BB1659_752 Depth=1
	v_dual_mov_b32 v64, s15 :: v_dual_mov_b32 v63, s14
	s_and_b32 s0, exec_lo, s19
	s_delay_alu instid0(SALU_CYCLE_1) | instskip(NEXT) | instid1(SALU_CYCLE_1)
	s_or_b32 s18, s0, s18
	s_and_not1_b32 exec_lo, exec_lo, s18
	s_cbranch_execz .LBB1659_754
.LBB1659_752:                           ; =>This Inner Loop Header: Depth=1
	s_or_b32 s19, s19, exec_lo
	s_cmp_eq_u64 s[12:13], s[14:15]
	s_cbranch_scc0 .LBB1659_750
; %bb.753:                              ;   in Loop: Header=BB1659_752 Depth=1
	s_mov_b64 s[14:15], s[8:9]
                                        ; implicit-def: $vgpr59_vgpr60
                                        ; implicit-def: $vgpr61_vgpr62
	s_branch .LBB1659_751
.LBB1659_754:
	s_set_inst_prefetch_distance 0x2
	s_or_b32 exec_lo, exec_lo, s18
	v_cmp_gt_i64_e32 vcc_lo, s[8:9], v[63:64]
	s_mov_b32 s0, 0
	s_delay_alu instid0(SALU_CYCLE_1)
	v_mov_b32_e32 v132, s0
	v_cndmask_b32_e64 v131, 0, 1, vcc_lo
.LBB1659_755:
	s_or_b32 exec_lo, exec_lo, s3
.LBB1659_756:
	v_mul_lo_u32 v61, v42, s8
	v_mul_lo_u32 v62, v41, s9
	v_mad_u64_u32 v[59:60], null, v41, s8, 0
	v_mov_b32_e32 v135, 0
	v_mov_b32_e32 v136, 0
	v_cmp_ne_u32_e32 vcc_lo, 1, v65
	s_delay_alu instid0(VALU_DEP_2) | instskip(SKIP_1) | instid1(VALU_DEP_1)
	v_dual_mov_b32 v133, v135 :: v_dual_mov_b32 v134, v136
	v_add3_u32 v60, v60, v62, v61
	v_lshlrev_b64 v[59:60], 3, v[59:60]
	s_cbranch_vccnz .LBB1659_765
; %bb.757:
	v_add_co_u32 v61, vcc_lo, s10, v57
	v_add_co_ci_u32_e32 v62, vcc_lo, s11, v58, vcc_lo
	s_delay_alu instid0(VALU_DEP_3) | instskip(NEXT) | instid1(VALU_DEP_4)
	v_add_co_u32 v57, vcc_lo, s10, v59
	v_add_co_ci_u32_e32 v58, vcc_lo, s11, v60, vcc_lo
	v_mov_b32_e32 v133, 1
	s_clause 0x1
	global_load_b64 v[63:64], v[61:62], off
	global_load_b64 v[66:67], v[57:58], off
	v_mov_b32_e32 v134, 0
	s_mov_b32 s3, exec_lo
	s_waitcnt vmcnt(0)
	v_cmpx_eq_u64_e64 v[63:64], v[66:67]
	s_cbranch_execz .LBB1659_764
; %bb.758:
	v_add_co_u32 v57, vcc_lo, v57, 8
	v_add_co_ci_u32_e32 v58, vcc_lo, 0, v58, vcc_lo
	v_add_co_u32 v61, vcc_lo, v61, 8
	v_add_co_ci_u32_e32 v62, vcc_lo, 0, v62, vcc_lo
	s_add_u32 s12, s8, -1
	s_addc_u32 s13, s9, -1
	s_mov_b64 s[14:15], 0
	s_mov_b32 s18, 0
                                        ; implicit-def: $sgpr19
	s_set_inst_prefetch_distance 0x1
	s_branch .LBB1659_761
	.p2align	6
.LBB1659_759:                           ;   in Loop: Header=BB1659_761 Depth=1
	global_load_b64 v[63:64], v[61:62], off
	global_load_b64 v[66:67], v[57:58], off
	v_add_co_u32 v57, vcc_lo, v57, 8
	v_add_co_ci_u32_e32 v58, vcc_lo, 0, v58, vcc_lo
	v_add_co_u32 v61, s0, v61, 8
	s_delay_alu instid0(VALU_DEP_1)
	v_add_co_ci_u32_e64 v62, s0, 0, v62, s0
	s_add_u32 s14, s14, 1
	s_addc_u32 s15, s15, 0
	s_and_not1_b32 s0, s19, exec_lo
	s_waitcnt vmcnt(0)
	v_cmp_ne_u64_e32 vcc_lo, v[63:64], v[66:67]
	s_and_b32 s19, vcc_lo, exec_lo
	s_delay_alu instid0(SALU_CYCLE_1)
	s_or_b32 s19, s0, s19
.LBB1659_760:                           ;   in Loop: Header=BB1659_761 Depth=1
	v_dual_mov_b32 v64, s15 :: v_dual_mov_b32 v63, s14
	s_and_b32 s0, exec_lo, s19
	s_delay_alu instid0(SALU_CYCLE_1) | instskip(NEXT) | instid1(SALU_CYCLE_1)
	s_or_b32 s18, s0, s18
	s_and_not1_b32 exec_lo, exec_lo, s18
	s_cbranch_execz .LBB1659_763
.LBB1659_761:                           ; =>This Inner Loop Header: Depth=1
	s_or_b32 s19, s19, exec_lo
	s_cmp_eq_u64 s[12:13], s[14:15]
	s_cbranch_scc0 .LBB1659_759
; %bb.762:                              ;   in Loop: Header=BB1659_761 Depth=1
	s_mov_b64 s[14:15], s[8:9]
                                        ; implicit-def: $vgpr57_vgpr58
                                        ; implicit-def: $vgpr61_vgpr62
	s_branch .LBB1659_760
.LBB1659_763:
	s_set_inst_prefetch_distance 0x2
	s_or_b32 exec_lo, exec_lo, s18
	v_cmp_gt_i64_e32 vcc_lo, s[8:9], v[63:64]
	s_mov_b32 s0, 0
	s_delay_alu instid0(SALU_CYCLE_1)
	v_mov_b32_e32 v134, s0
	v_cndmask_b32_e64 v133, 0, 1, vcc_lo
.LBB1659_764:
	s_or_b32 exec_lo, exec_lo, s3
.LBB1659_765:
	v_mul_lo_u32 v61, v40, s8
	v_mul_lo_u32 v62, v39, s9
	v_mad_u64_u32 v[57:58], null, v39, s8, 0
	v_cmp_ne_u32_e32 vcc_lo, 1, v65
	s_delay_alu instid0(VALU_DEP_2) | instskip(NEXT) | instid1(VALU_DEP_1)
	v_add3_u32 v58, v58, v62, v61
	v_lshlrev_b64 v[57:58], 3, v[57:58]
	s_cbranch_vccnz .LBB1659_774
; %bb.766:
	v_add_co_u32 v61, vcc_lo, s10, v59
	v_add_co_ci_u32_e32 v62, vcc_lo, s11, v60, vcc_lo
	s_delay_alu instid0(VALU_DEP_3) | instskip(NEXT) | instid1(VALU_DEP_4)
	v_add_co_u32 v59, vcc_lo, s10, v57
	v_add_co_ci_u32_e32 v60, vcc_lo, s11, v58, vcc_lo
	v_mov_b32_e32 v135, 1
	s_clause 0x1
	global_load_b64 v[63:64], v[61:62], off
	global_load_b64 v[66:67], v[59:60], off
	v_mov_b32_e32 v136, 0
	s_mov_b32 s3, exec_lo
	s_waitcnt vmcnt(0)
	v_cmpx_eq_u64_e64 v[63:64], v[66:67]
	s_cbranch_execz .LBB1659_773
; %bb.767:
	v_add_co_u32 v59, vcc_lo, v59, 8
	v_add_co_ci_u32_e32 v60, vcc_lo, 0, v60, vcc_lo
	v_add_co_u32 v61, vcc_lo, v61, 8
	v_add_co_ci_u32_e32 v62, vcc_lo, 0, v62, vcc_lo
	s_add_u32 s12, s8, -1
	s_addc_u32 s13, s9, -1
	s_mov_b64 s[14:15], 0
	s_mov_b32 s18, 0
                                        ; implicit-def: $sgpr19
	s_set_inst_prefetch_distance 0x1
	s_branch .LBB1659_770
	.p2align	6
.LBB1659_768:                           ;   in Loop: Header=BB1659_770 Depth=1
	global_load_b64 v[63:64], v[61:62], off
	global_load_b64 v[66:67], v[59:60], off
	v_add_co_u32 v59, vcc_lo, v59, 8
	v_add_co_ci_u32_e32 v60, vcc_lo, 0, v60, vcc_lo
	v_add_co_u32 v61, s0, v61, 8
	s_delay_alu instid0(VALU_DEP_1)
	v_add_co_ci_u32_e64 v62, s0, 0, v62, s0
	s_add_u32 s14, s14, 1
	s_addc_u32 s15, s15, 0
	s_and_not1_b32 s0, s19, exec_lo
	s_waitcnt vmcnt(0)
	v_cmp_ne_u64_e32 vcc_lo, v[63:64], v[66:67]
	s_and_b32 s19, vcc_lo, exec_lo
	s_delay_alu instid0(SALU_CYCLE_1)
	s_or_b32 s19, s0, s19
.LBB1659_769:                           ;   in Loop: Header=BB1659_770 Depth=1
	v_dual_mov_b32 v64, s15 :: v_dual_mov_b32 v63, s14
	s_and_b32 s0, exec_lo, s19
	s_delay_alu instid0(SALU_CYCLE_1) | instskip(NEXT) | instid1(SALU_CYCLE_1)
	s_or_b32 s18, s0, s18
	s_and_not1_b32 exec_lo, exec_lo, s18
	s_cbranch_execz .LBB1659_772
.LBB1659_770:                           ; =>This Inner Loop Header: Depth=1
	s_or_b32 s19, s19, exec_lo
	s_cmp_eq_u64 s[12:13], s[14:15]
	s_cbranch_scc0 .LBB1659_768
; %bb.771:                              ;   in Loop: Header=BB1659_770 Depth=1
	s_mov_b64 s[14:15], s[8:9]
                                        ; implicit-def: $vgpr59_vgpr60
                                        ; implicit-def: $vgpr61_vgpr62
	s_branch .LBB1659_769
.LBB1659_772:
	s_set_inst_prefetch_distance 0x2
	s_or_b32 exec_lo, exec_lo, s18
	v_cmp_gt_i64_e32 vcc_lo, s[8:9], v[63:64]
	s_mov_b32 s0, 0
	s_delay_alu instid0(SALU_CYCLE_1)
	v_mov_b32_e32 v136, s0
	v_cndmask_b32_e64 v135, 0, 1, vcc_lo
.LBB1659_773:
	s_or_b32 exec_lo, exec_lo, s3
.LBB1659_774:
	v_mul_lo_u32 v61, v38, s8
	v_mul_lo_u32 v62, v37, s9
	v_mad_u64_u32 v[59:60], null, v37, s8, 0
	v_mov_b32_e32 v139, 0
	v_mov_b32_e32 v140, 0
	v_cmp_ne_u32_e32 vcc_lo, 1, v65
	s_delay_alu instid0(VALU_DEP_2) | instskip(SKIP_1) | instid1(VALU_DEP_1)
	v_dual_mov_b32 v137, v139 :: v_dual_mov_b32 v138, v140
	v_add3_u32 v60, v60, v62, v61
	v_lshlrev_b64 v[59:60], 3, v[59:60]
	s_cbranch_vccnz .LBB1659_783
; %bb.775:
	v_add_co_u32 v61, vcc_lo, s10, v57
	v_add_co_ci_u32_e32 v62, vcc_lo, s11, v58, vcc_lo
	s_delay_alu instid0(VALU_DEP_3) | instskip(NEXT) | instid1(VALU_DEP_4)
	v_add_co_u32 v57, vcc_lo, s10, v59
	v_add_co_ci_u32_e32 v58, vcc_lo, s11, v60, vcc_lo
	v_mov_b32_e32 v137, 1
	s_clause 0x1
	global_load_b64 v[63:64], v[61:62], off
	global_load_b64 v[66:67], v[57:58], off
	v_mov_b32_e32 v138, 0
	s_mov_b32 s3, exec_lo
	s_waitcnt vmcnt(0)
	v_cmpx_eq_u64_e64 v[63:64], v[66:67]
	s_cbranch_execz .LBB1659_782
; %bb.776:
	v_add_co_u32 v57, vcc_lo, v57, 8
	v_add_co_ci_u32_e32 v58, vcc_lo, 0, v58, vcc_lo
	v_add_co_u32 v61, vcc_lo, v61, 8
	v_add_co_ci_u32_e32 v62, vcc_lo, 0, v62, vcc_lo
	s_add_u32 s12, s8, -1
	s_addc_u32 s13, s9, -1
	s_mov_b64 s[14:15], 0
	s_mov_b32 s18, 0
                                        ; implicit-def: $sgpr19
	s_set_inst_prefetch_distance 0x1
	s_branch .LBB1659_779
	.p2align	6
.LBB1659_777:                           ;   in Loop: Header=BB1659_779 Depth=1
	global_load_b64 v[63:64], v[61:62], off
	global_load_b64 v[66:67], v[57:58], off
	v_add_co_u32 v57, vcc_lo, v57, 8
	v_add_co_ci_u32_e32 v58, vcc_lo, 0, v58, vcc_lo
	v_add_co_u32 v61, s0, v61, 8
	s_delay_alu instid0(VALU_DEP_1)
	v_add_co_ci_u32_e64 v62, s0, 0, v62, s0
	s_add_u32 s14, s14, 1
	s_addc_u32 s15, s15, 0
	s_and_not1_b32 s0, s19, exec_lo
	s_waitcnt vmcnt(0)
	v_cmp_ne_u64_e32 vcc_lo, v[63:64], v[66:67]
	s_and_b32 s19, vcc_lo, exec_lo
	s_delay_alu instid0(SALU_CYCLE_1)
	s_or_b32 s19, s0, s19
.LBB1659_778:                           ;   in Loop: Header=BB1659_779 Depth=1
	v_dual_mov_b32 v64, s15 :: v_dual_mov_b32 v63, s14
	s_and_b32 s0, exec_lo, s19
	s_delay_alu instid0(SALU_CYCLE_1) | instskip(NEXT) | instid1(SALU_CYCLE_1)
	s_or_b32 s18, s0, s18
	s_and_not1_b32 exec_lo, exec_lo, s18
	s_cbranch_execz .LBB1659_781
.LBB1659_779:                           ; =>This Inner Loop Header: Depth=1
	s_or_b32 s19, s19, exec_lo
	s_cmp_eq_u64 s[12:13], s[14:15]
	s_cbranch_scc0 .LBB1659_777
; %bb.780:                              ;   in Loop: Header=BB1659_779 Depth=1
	s_mov_b64 s[14:15], s[8:9]
                                        ; implicit-def: $vgpr57_vgpr58
                                        ; implicit-def: $vgpr61_vgpr62
	s_branch .LBB1659_778
.LBB1659_781:
	s_set_inst_prefetch_distance 0x2
	s_or_b32 exec_lo, exec_lo, s18
	v_cmp_gt_i64_e32 vcc_lo, s[8:9], v[63:64]
	s_mov_b32 s0, 0
	s_delay_alu instid0(SALU_CYCLE_1)
	v_mov_b32_e32 v138, s0
	v_cndmask_b32_e64 v137, 0, 1, vcc_lo
.LBB1659_782:
	s_or_b32 exec_lo, exec_lo, s3
.LBB1659_783:
	v_mul_lo_u32 v61, v36, s8
	v_mul_lo_u32 v62, v35, s9
	v_mad_u64_u32 v[57:58], null, v35, s8, 0
	v_cmp_ne_u32_e32 vcc_lo, 1, v65
	s_delay_alu instid0(VALU_DEP_2) | instskip(NEXT) | instid1(VALU_DEP_1)
	v_add3_u32 v58, v58, v62, v61
	v_lshlrev_b64 v[57:58], 3, v[57:58]
	s_cbranch_vccnz .LBB1659_792
; %bb.784:
	v_add_co_u32 v61, vcc_lo, s10, v59
	v_add_co_ci_u32_e32 v62, vcc_lo, s11, v60, vcc_lo
	s_delay_alu instid0(VALU_DEP_3) | instskip(NEXT) | instid1(VALU_DEP_4)
	v_add_co_u32 v59, vcc_lo, s10, v57
	v_add_co_ci_u32_e32 v60, vcc_lo, s11, v58, vcc_lo
	v_mov_b32_e32 v139, 1
	s_clause 0x1
	global_load_b64 v[63:64], v[61:62], off
	global_load_b64 v[66:67], v[59:60], off
	v_mov_b32_e32 v140, 0
	s_mov_b32 s3, exec_lo
	s_waitcnt vmcnt(0)
	v_cmpx_eq_u64_e64 v[63:64], v[66:67]
	s_cbranch_execz .LBB1659_791
; %bb.785:
	v_add_co_u32 v59, vcc_lo, v59, 8
	v_add_co_ci_u32_e32 v60, vcc_lo, 0, v60, vcc_lo
	v_add_co_u32 v61, vcc_lo, v61, 8
	v_add_co_ci_u32_e32 v62, vcc_lo, 0, v62, vcc_lo
	s_add_u32 s12, s8, -1
	s_addc_u32 s13, s9, -1
	s_mov_b64 s[14:15], 0
	s_mov_b32 s18, 0
                                        ; implicit-def: $sgpr19
	s_set_inst_prefetch_distance 0x1
	s_branch .LBB1659_788
	.p2align	6
.LBB1659_786:                           ;   in Loop: Header=BB1659_788 Depth=1
	global_load_b64 v[63:64], v[61:62], off
	global_load_b64 v[66:67], v[59:60], off
	v_add_co_u32 v59, vcc_lo, v59, 8
	v_add_co_ci_u32_e32 v60, vcc_lo, 0, v60, vcc_lo
	v_add_co_u32 v61, s0, v61, 8
	s_delay_alu instid0(VALU_DEP_1)
	v_add_co_ci_u32_e64 v62, s0, 0, v62, s0
	s_add_u32 s14, s14, 1
	s_addc_u32 s15, s15, 0
	s_and_not1_b32 s0, s19, exec_lo
	s_waitcnt vmcnt(0)
	v_cmp_ne_u64_e32 vcc_lo, v[63:64], v[66:67]
	s_and_b32 s19, vcc_lo, exec_lo
	s_delay_alu instid0(SALU_CYCLE_1)
	s_or_b32 s19, s0, s19
.LBB1659_787:                           ;   in Loop: Header=BB1659_788 Depth=1
	v_dual_mov_b32 v64, s15 :: v_dual_mov_b32 v63, s14
	s_and_b32 s0, exec_lo, s19
	s_delay_alu instid0(SALU_CYCLE_1) | instskip(NEXT) | instid1(SALU_CYCLE_1)
	s_or_b32 s18, s0, s18
	s_and_not1_b32 exec_lo, exec_lo, s18
	s_cbranch_execz .LBB1659_790
.LBB1659_788:                           ; =>This Inner Loop Header: Depth=1
	s_or_b32 s19, s19, exec_lo
	s_cmp_eq_u64 s[12:13], s[14:15]
	s_cbranch_scc0 .LBB1659_786
; %bb.789:                              ;   in Loop: Header=BB1659_788 Depth=1
	s_mov_b64 s[14:15], s[8:9]
                                        ; implicit-def: $vgpr59_vgpr60
                                        ; implicit-def: $vgpr61_vgpr62
	s_branch .LBB1659_787
.LBB1659_790:
	s_set_inst_prefetch_distance 0x2
	s_or_b32 exec_lo, exec_lo, s18
	v_cmp_gt_i64_e32 vcc_lo, s[8:9], v[63:64]
	s_mov_b32 s0, 0
	s_delay_alu instid0(SALU_CYCLE_1)
	v_mov_b32_e32 v140, s0
	v_cndmask_b32_e64 v139, 0, 1, vcc_lo
.LBB1659_791:
	s_or_b32 exec_lo, exec_lo, s3
.LBB1659_792:
	v_mul_lo_u32 v61, v34, s8
	v_mul_lo_u32 v62, v33, s9
	v_mad_u64_u32 v[59:60], null, v33, s8, 0
	v_mov_b32_e32 v143, 0
	v_mov_b32_e32 v144, 0
	v_cmp_ne_u32_e32 vcc_lo, 1, v65
	s_delay_alu instid0(VALU_DEP_2) | instskip(SKIP_1) | instid1(VALU_DEP_1)
	v_dual_mov_b32 v141, v143 :: v_dual_mov_b32 v142, v144
	v_add3_u32 v60, v60, v62, v61
	v_lshlrev_b64 v[59:60], 3, v[59:60]
	s_cbranch_vccnz .LBB1659_801
; %bb.793:
	v_add_co_u32 v61, vcc_lo, s10, v57
	v_add_co_ci_u32_e32 v62, vcc_lo, s11, v58, vcc_lo
	s_delay_alu instid0(VALU_DEP_3) | instskip(NEXT) | instid1(VALU_DEP_4)
	v_add_co_u32 v57, vcc_lo, s10, v59
	v_add_co_ci_u32_e32 v58, vcc_lo, s11, v60, vcc_lo
	v_mov_b32_e32 v141, 1
	s_clause 0x1
	global_load_b64 v[63:64], v[61:62], off
	global_load_b64 v[66:67], v[57:58], off
	v_mov_b32_e32 v142, 0
	s_mov_b32 s3, exec_lo
	s_waitcnt vmcnt(0)
	v_cmpx_eq_u64_e64 v[63:64], v[66:67]
	s_cbranch_execz .LBB1659_800
; %bb.794:
	v_add_co_u32 v57, vcc_lo, v57, 8
	v_add_co_ci_u32_e32 v58, vcc_lo, 0, v58, vcc_lo
	v_add_co_u32 v61, vcc_lo, v61, 8
	v_add_co_ci_u32_e32 v62, vcc_lo, 0, v62, vcc_lo
	s_add_u32 s12, s8, -1
	s_addc_u32 s13, s9, -1
	s_mov_b64 s[14:15], 0
	s_mov_b32 s18, 0
                                        ; implicit-def: $sgpr19
	s_set_inst_prefetch_distance 0x1
	s_branch .LBB1659_797
	.p2align	6
.LBB1659_795:                           ;   in Loop: Header=BB1659_797 Depth=1
	global_load_b64 v[63:64], v[61:62], off
	global_load_b64 v[66:67], v[57:58], off
	v_add_co_u32 v57, vcc_lo, v57, 8
	v_add_co_ci_u32_e32 v58, vcc_lo, 0, v58, vcc_lo
	v_add_co_u32 v61, s0, v61, 8
	s_delay_alu instid0(VALU_DEP_1)
	v_add_co_ci_u32_e64 v62, s0, 0, v62, s0
	s_add_u32 s14, s14, 1
	s_addc_u32 s15, s15, 0
	s_and_not1_b32 s0, s19, exec_lo
	s_waitcnt vmcnt(0)
	v_cmp_ne_u64_e32 vcc_lo, v[63:64], v[66:67]
	s_and_b32 s19, vcc_lo, exec_lo
	s_delay_alu instid0(SALU_CYCLE_1)
	s_or_b32 s19, s0, s19
.LBB1659_796:                           ;   in Loop: Header=BB1659_797 Depth=1
	v_dual_mov_b32 v64, s15 :: v_dual_mov_b32 v63, s14
	s_and_b32 s0, exec_lo, s19
	s_delay_alu instid0(SALU_CYCLE_1) | instskip(NEXT) | instid1(SALU_CYCLE_1)
	s_or_b32 s18, s0, s18
	s_and_not1_b32 exec_lo, exec_lo, s18
	s_cbranch_execz .LBB1659_799
.LBB1659_797:                           ; =>This Inner Loop Header: Depth=1
	s_or_b32 s19, s19, exec_lo
	s_cmp_eq_u64 s[12:13], s[14:15]
	s_cbranch_scc0 .LBB1659_795
; %bb.798:                              ;   in Loop: Header=BB1659_797 Depth=1
	s_mov_b64 s[14:15], s[8:9]
                                        ; implicit-def: $vgpr57_vgpr58
                                        ; implicit-def: $vgpr61_vgpr62
	s_branch .LBB1659_796
.LBB1659_799:
	s_set_inst_prefetch_distance 0x2
	s_or_b32 exec_lo, exec_lo, s18
	v_cmp_gt_i64_e32 vcc_lo, s[8:9], v[63:64]
	s_mov_b32 s0, 0
	s_delay_alu instid0(SALU_CYCLE_1)
	v_mov_b32_e32 v142, s0
	v_cndmask_b32_e64 v141, 0, 1, vcc_lo
.LBB1659_800:
	s_or_b32 exec_lo, exec_lo, s3
.LBB1659_801:
	v_mul_lo_u32 v61, v32, s8
	v_mul_lo_u32 v62, v31, s9
	v_mad_u64_u32 v[57:58], null, v31, s8, 0
	v_cmp_ne_u32_e32 vcc_lo, 1, v65
	s_delay_alu instid0(VALU_DEP_2) | instskip(NEXT) | instid1(VALU_DEP_1)
	v_add3_u32 v58, v58, v62, v61
	v_lshlrev_b64 v[57:58], 3, v[57:58]
	s_cbranch_vccnz .LBB1659_810
; %bb.802:
	v_add_co_u32 v61, vcc_lo, s10, v59
	v_add_co_ci_u32_e32 v62, vcc_lo, s11, v60, vcc_lo
	s_delay_alu instid0(VALU_DEP_3) | instskip(NEXT) | instid1(VALU_DEP_4)
	v_add_co_u32 v59, vcc_lo, s10, v57
	v_add_co_ci_u32_e32 v60, vcc_lo, s11, v58, vcc_lo
	v_mov_b32_e32 v143, 1
	s_clause 0x1
	global_load_b64 v[63:64], v[61:62], off
	global_load_b64 v[66:67], v[59:60], off
	v_mov_b32_e32 v144, 0
	s_mov_b32 s3, exec_lo
	s_waitcnt vmcnt(0)
	v_cmpx_eq_u64_e64 v[63:64], v[66:67]
	s_cbranch_execz .LBB1659_809
; %bb.803:
	v_add_co_u32 v59, vcc_lo, v59, 8
	v_add_co_ci_u32_e32 v60, vcc_lo, 0, v60, vcc_lo
	v_add_co_u32 v61, vcc_lo, v61, 8
	v_add_co_ci_u32_e32 v62, vcc_lo, 0, v62, vcc_lo
	s_add_u32 s12, s8, -1
	s_addc_u32 s13, s9, -1
	s_mov_b64 s[14:15], 0
	s_mov_b32 s18, 0
                                        ; implicit-def: $sgpr19
	s_set_inst_prefetch_distance 0x1
	s_branch .LBB1659_806
	.p2align	6
.LBB1659_804:                           ;   in Loop: Header=BB1659_806 Depth=1
	global_load_b64 v[63:64], v[61:62], off
	global_load_b64 v[66:67], v[59:60], off
	v_add_co_u32 v59, vcc_lo, v59, 8
	v_add_co_ci_u32_e32 v60, vcc_lo, 0, v60, vcc_lo
	v_add_co_u32 v61, s0, v61, 8
	s_delay_alu instid0(VALU_DEP_1)
	v_add_co_ci_u32_e64 v62, s0, 0, v62, s0
	s_add_u32 s14, s14, 1
	s_addc_u32 s15, s15, 0
	s_and_not1_b32 s0, s19, exec_lo
	s_waitcnt vmcnt(0)
	v_cmp_ne_u64_e32 vcc_lo, v[63:64], v[66:67]
	s_and_b32 s19, vcc_lo, exec_lo
	s_delay_alu instid0(SALU_CYCLE_1)
	s_or_b32 s19, s0, s19
.LBB1659_805:                           ;   in Loop: Header=BB1659_806 Depth=1
	v_dual_mov_b32 v64, s15 :: v_dual_mov_b32 v63, s14
	s_and_b32 s0, exec_lo, s19
	s_delay_alu instid0(SALU_CYCLE_1) | instskip(NEXT) | instid1(SALU_CYCLE_1)
	s_or_b32 s18, s0, s18
	s_and_not1_b32 exec_lo, exec_lo, s18
	s_cbranch_execz .LBB1659_808
.LBB1659_806:                           ; =>This Inner Loop Header: Depth=1
	s_or_b32 s19, s19, exec_lo
	s_cmp_eq_u64 s[12:13], s[14:15]
	s_cbranch_scc0 .LBB1659_804
; %bb.807:                              ;   in Loop: Header=BB1659_806 Depth=1
	s_mov_b64 s[14:15], s[8:9]
                                        ; implicit-def: $vgpr59_vgpr60
                                        ; implicit-def: $vgpr61_vgpr62
	s_branch .LBB1659_805
.LBB1659_808:
	s_set_inst_prefetch_distance 0x2
	s_or_b32 exec_lo, exec_lo, s18
	v_cmp_gt_i64_e32 vcc_lo, s[8:9], v[63:64]
	s_mov_b32 s0, 0
	s_delay_alu instid0(SALU_CYCLE_1)
	v_mov_b32_e32 v144, s0
	v_cndmask_b32_e64 v143, 0, 1, vcc_lo
.LBB1659_809:
	s_or_b32 exec_lo, exec_lo, s3
.LBB1659_810:
	v_mul_lo_u32 v61, v30, s8
	v_mul_lo_u32 v62, v29, s9
	v_mad_u64_u32 v[59:60], null, v29, s8, 0
	v_mov_b32_e32 v147, 0
	v_mov_b32_e32 v148, 0
	v_cmp_ne_u32_e32 vcc_lo, 1, v65
	s_delay_alu instid0(VALU_DEP_2) | instskip(SKIP_1) | instid1(VALU_DEP_1)
	v_dual_mov_b32 v145, v147 :: v_dual_mov_b32 v146, v148
	v_add3_u32 v60, v60, v62, v61
	v_lshlrev_b64 v[59:60], 3, v[59:60]
	s_cbranch_vccnz .LBB1659_819
; %bb.811:
	v_add_co_u32 v61, vcc_lo, s10, v57
	v_add_co_ci_u32_e32 v62, vcc_lo, s11, v58, vcc_lo
	s_delay_alu instid0(VALU_DEP_3) | instskip(NEXT) | instid1(VALU_DEP_4)
	v_add_co_u32 v57, vcc_lo, s10, v59
	v_add_co_ci_u32_e32 v58, vcc_lo, s11, v60, vcc_lo
	v_mov_b32_e32 v145, 1
	s_clause 0x1
	global_load_b64 v[63:64], v[61:62], off
	global_load_b64 v[66:67], v[57:58], off
	v_mov_b32_e32 v146, 0
	s_mov_b32 s3, exec_lo
	s_waitcnt vmcnt(0)
	v_cmpx_eq_u64_e64 v[63:64], v[66:67]
	s_cbranch_execz .LBB1659_818
; %bb.812:
	v_add_co_u32 v57, vcc_lo, v57, 8
	v_add_co_ci_u32_e32 v58, vcc_lo, 0, v58, vcc_lo
	v_add_co_u32 v61, vcc_lo, v61, 8
	v_add_co_ci_u32_e32 v62, vcc_lo, 0, v62, vcc_lo
	s_add_u32 s12, s8, -1
	s_addc_u32 s13, s9, -1
	s_mov_b64 s[14:15], 0
	s_mov_b32 s18, 0
                                        ; implicit-def: $sgpr19
	s_set_inst_prefetch_distance 0x1
	s_branch .LBB1659_815
	.p2align	6
.LBB1659_813:                           ;   in Loop: Header=BB1659_815 Depth=1
	global_load_b64 v[63:64], v[61:62], off
	global_load_b64 v[66:67], v[57:58], off
	v_add_co_u32 v57, vcc_lo, v57, 8
	v_add_co_ci_u32_e32 v58, vcc_lo, 0, v58, vcc_lo
	v_add_co_u32 v61, s0, v61, 8
	s_delay_alu instid0(VALU_DEP_1)
	v_add_co_ci_u32_e64 v62, s0, 0, v62, s0
	s_add_u32 s14, s14, 1
	s_addc_u32 s15, s15, 0
	s_and_not1_b32 s0, s19, exec_lo
	s_waitcnt vmcnt(0)
	v_cmp_ne_u64_e32 vcc_lo, v[63:64], v[66:67]
	s_and_b32 s19, vcc_lo, exec_lo
	s_delay_alu instid0(SALU_CYCLE_1)
	s_or_b32 s19, s0, s19
.LBB1659_814:                           ;   in Loop: Header=BB1659_815 Depth=1
	v_dual_mov_b32 v64, s15 :: v_dual_mov_b32 v63, s14
	s_and_b32 s0, exec_lo, s19
	s_delay_alu instid0(SALU_CYCLE_1) | instskip(NEXT) | instid1(SALU_CYCLE_1)
	s_or_b32 s18, s0, s18
	s_and_not1_b32 exec_lo, exec_lo, s18
	s_cbranch_execz .LBB1659_817
.LBB1659_815:                           ; =>This Inner Loop Header: Depth=1
	s_or_b32 s19, s19, exec_lo
	s_cmp_eq_u64 s[12:13], s[14:15]
	s_cbranch_scc0 .LBB1659_813
; %bb.816:                              ;   in Loop: Header=BB1659_815 Depth=1
	s_mov_b64 s[14:15], s[8:9]
                                        ; implicit-def: $vgpr57_vgpr58
                                        ; implicit-def: $vgpr61_vgpr62
	s_branch .LBB1659_814
.LBB1659_817:
	s_set_inst_prefetch_distance 0x2
	s_or_b32 exec_lo, exec_lo, s18
	v_cmp_gt_i64_e32 vcc_lo, s[8:9], v[63:64]
	s_mov_b32 s0, 0
	s_delay_alu instid0(SALU_CYCLE_1)
	v_mov_b32_e32 v146, s0
	v_cndmask_b32_e64 v145, 0, 1, vcc_lo
.LBB1659_818:
	s_or_b32 exec_lo, exec_lo, s3
.LBB1659_819:
	v_mul_lo_u32 v61, v28, s8
	v_mul_lo_u32 v62, v27, s9
	v_mad_u64_u32 v[57:58], null, v27, s8, 0
	v_cmp_ne_u32_e32 vcc_lo, 1, v65
	s_delay_alu instid0(VALU_DEP_2) | instskip(NEXT) | instid1(VALU_DEP_1)
	v_add3_u32 v58, v58, v62, v61
	v_lshlrev_b64 v[57:58], 3, v[57:58]
	s_cbranch_vccnz .LBB1659_828
; %bb.820:
	v_add_co_u32 v61, vcc_lo, s10, v59
	v_add_co_ci_u32_e32 v62, vcc_lo, s11, v60, vcc_lo
	s_delay_alu instid0(VALU_DEP_3) | instskip(NEXT) | instid1(VALU_DEP_4)
	v_add_co_u32 v59, vcc_lo, s10, v57
	v_add_co_ci_u32_e32 v60, vcc_lo, s11, v58, vcc_lo
	v_mov_b32_e32 v147, 1
	s_clause 0x1
	global_load_b64 v[63:64], v[61:62], off
	global_load_b64 v[66:67], v[59:60], off
	v_mov_b32_e32 v148, 0
	s_mov_b32 s3, exec_lo
	s_waitcnt vmcnt(0)
	v_cmpx_eq_u64_e64 v[63:64], v[66:67]
	s_cbranch_execz .LBB1659_827
; %bb.821:
	v_add_co_u32 v59, vcc_lo, v59, 8
	v_add_co_ci_u32_e32 v60, vcc_lo, 0, v60, vcc_lo
	v_add_co_u32 v61, vcc_lo, v61, 8
	v_add_co_ci_u32_e32 v62, vcc_lo, 0, v62, vcc_lo
	s_add_u32 s12, s8, -1
	s_addc_u32 s13, s9, -1
	s_mov_b64 s[14:15], 0
	s_mov_b32 s18, 0
                                        ; implicit-def: $sgpr19
	s_set_inst_prefetch_distance 0x1
	s_branch .LBB1659_824
	.p2align	6
.LBB1659_822:                           ;   in Loop: Header=BB1659_824 Depth=1
	global_load_b64 v[63:64], v[61:62], off
	global_load_b64 v[66:67], v[59:60], off
	v_add_co_u32 v59, vcc_lo, v59, 8
	v_add_co_ci_u32_e32 v60, vcc_lo, 0, v60, vcc_lo
	v_add_co_u32 v61, s0, v61, 8
	s_delay_alu instid0(VALU_DEP_1)
	v_add_co_ci_u32_e64 v62, s0, 0, v62, s0
	s_add_u32 s14, s14, 1
	s_addc_u32 s15, s15, 0
	s_and_not1_b32 s0, s19, exec_lo
	s_waitcnt vmcnt(0)
	v_cmp_ne_u64_e32 vcc_lo, v[63:64], v[66:67]
	s_and_b32 s19, vcc_lo, exec_lo
	s_delay_alu instid0(SALU_CYCLE_1)
	s_or_b32 s19, s0, s19
.LBB1659_823:                           ;   in Loop: Header=BB1659_824 Depth=1
	v_dual_mov_b32 v64, s15 :: v_dual_mov_b32 v63, s14
	s_and_b32 s0, exec_lo, s19
	s_delay_alu instid0(SALU_CYCLE_1) | instskip(NEXT) | instid1(SALU_CYCLE_1)
	s_or_b32 s18, s0, s18
	s_and_not1_b32 exec_lo, exec_lo, s18
	s_cbranch_execz .LBB1659_826
.LBB1659_824:                           ; =>This Inner Loop Header: Depth=1
	s_or_b32 s19, s19, exec_lo
	s_cmp_eq_u64 s[12:13], s[14:15]
	s_cbranch_scc0 .LBB1659_822
; %bb.825:                              ;   in Loop: Header=BB1659_824 Depth=1
	s_mov_b64 s[14:15], s[8:9]
                                        ; implicit-def: $vgpr59_vgpr60
                                        ; implicit-def: $vgpr61_vgpr62
	s_branch .LBB1659_823
.LBB1659_826:
	s_set_inst_prefetch_distance 0x2
	s_or_b32 exec_lo, exec_lo, s18
	v_cmp_gt_i64_e32 vcc_lo, s[8:9], v[63:64]
	s_mov_b32 s0, 0
	s_delay_alu instid0(SALU_CYCLE_1)
	v_mov_b32_e32 v148, s0
	v_cndmask_b32_e64 v147, 0, 1, vcc_lo
.LBB1659_827:
	s_or_b32 exec_lo, exec_lo, s3
.LBB1659_828:
	v_mul_lo_u32 v61, v26, s8
	v_mul_lo_u32 v62, v25, s9
	v_mad_u64_u32 v[59:60], null, v25, s8, 0
	v_mov_b32_e32 v151, 0
	v_mov_b32_e32 v152, 0
	v_cmp_ne_u32_e32 vcc_lo, 1, v65
	s_delay_alu instid0(VALU_DEP_2) | instskip(SKIP_1) | instid1(VALU_DEP_1)
	v_dual_mov_b32 v149, v151 :: v_dual_mov_b32 v150, v152
	v_add3_u32 v60, v60, v62, v61
	v_lshlrev_b64 v[59:60], 3, v[59:60]
	s_cbranch_vccnz .LBB1659_837
; %bb.829:
	v_add_co_u32 v61, vcc_lo, s10, v57
	v_add_co_ci_u32_e32 v62, vcc_lo, s11, v58, vcc_lo
	s_delay_alu instid0(VALU_DEP_3) | instskip(NEXT) | instid1(VALU_DEP_4)
	v_add_co_u32 v57, vcc_lo, s10, v59
	v_add_co_ci_u32_e32 v58, vcc_lo, s11, v60, vcc_lo
	v_mov_b32_e32 v149, 1
	s_clause 0x1
	global_load_b64 v[63:64], v[61:62], off
	global_load_b64 v[66:67], v[57:58], off
	v_mov_b32_e32 v150, 0
	s_mov_b32 s3, exec_lo
	s_waitcnt vmcnt(0)
	v_cmpx_eq_u64_e64 v[63:64], v[66:67]
	s_cbranch_execz .LBB1659_836
; %bb.830:
	v_add_co_u32 v57, vcc_lo, v57, 8
	v_add_co_ci_u32_e32 v58, vcc_lo, 0, v58, vcc_lo
	v_add_co_u32 v61, vcc_lo, v61, 8
	v_add_co_ci_u32_e32 v62, vcc_lo, 0, v62, vcc_lo
	s_add_u32 s12, s8, -1
	s_addc_u32 s13, s9, -1
	s_mov_b64 s[14:15], 0
	s_mov_b32 s18, 0
                                        ; implicit-def: $sgpr19
	s_set_inst_prefetch_distance 0x1
	s_branch .LBB1659_833
	.p2align	6
.LBB1659_831:                           ;   in Loop: Header=BB1659_833 Depth=1
	global_load_b64 v[63:64], v[61:62], off
	global_load_b64 v[66:67], v[57:58], off
	v_add_co_u32 v57, vcc_lo, v57, 8
	v_add_co_ci_u32_e32 v58, vcc_lo, 0, v58, vcc_lo
	v_add_co_u32 v61, s0, v61, 8
	s_delay_alu instid0(VALU_DEP_1)
	v_add_co_ci_u32_e64 v62, s0, 0, v62, s0
	s_add_u32 s14, s14, 1
	s_addc_u32 s15, s15, 0
	s_and_not1_b32 s0, s19, exec_lo
	s_waitcnt vmcnt(0)
	v_cmp_ne_u64_e32 vcc_lo, v[63:64], v[66:67]
	s_and_b32 s19, vcc_lo, exec_lo
	s_delay_alu instid0(SALU_CYCLE_1)
	s_or_b32 s19, s0, s19
.LBB1659_832:                           ;   in Loop: Header=BB1659_833 Depth=1
	v_dual_mov_b32 v64, s15 :: v_dual_mov_b32 v63, s14
	s_and_b32 s0, exec_lo, s19
	s_delay_alu instid0(SALU_CYCLE_1) | instskip(NEXT) | instid1(SALU_CYCLE_1)
	s_or_b32 s18, s0, s18
	s_and_not1_b32 exec_lo, exec_lo, s18
	s_cbranch_execz .LBB1659_835
.LBB1659_833:                           ; =>This Inner Loop Header: Depth=1
	s_or_b32 s19, s19, exec_lo
	s_cmp_eq_u64 s[12:13], s[14:15]
	s_cbranch_scc0 .LBB1659_831
; %bb.834:                              ;   in Loop: Header=BB1659_833 Depth=1
	s_mov_b64 s[14:15], s[8:9]
                                        ; implicit-def: $vgpr57_vgpr58
                                        ; implicit-def: $vgpr61_vgpr62
	s_branch .LBB1659_832
.LBB1659_835:
	s_set_inst_prefetch_distance 0x2
	s_or_b32 exec_lo, exec_lo, s18
	v_cmp_gt_i64_e32 vcc_lo, s[8:9], v[63:64]
	s_mov_b32 s0, 0
	s_delay_alu instid0(SALU_CYCLE_1)
	v_mov_b32_e32 v150, s0
	v_cndmask_b32_e64 v149, 0, 1, vcc_lo
.LBB1659_836:
	s_or_b32 exec_lo, exec_lo, s3
.LBB1659_837:
	v_mul_lo_u32 v61, v24, s8
	v_mul_lo_u32 v62, v23, s9
	v_mad_u64_u32 v[57:58], null, v23, s8, 0
	v_cmp_ne_u32_e32 vcc_lo, 1, v65
	s_delay_alu instid0(VALU_DEP_2) | instskip(NEXT) | instid1(VALU_DEP_1)
	v_add3_u32 v58, v58, v62, v61
	v_lshlrev_b64 v[57:58], 3, v[57:58]
	s_cbranch_vccnz .LBB1659_846
; %bb.838:
	v_add_co_u32 v61, vcc_lo, s10, v59
	v_add_co_ci_u32_e32 v62, vcc_lo, s11, v60, vcc_lo
	s_delay_alu instid0(VALU_DEP_3) | instskip(NEXT) | instid1(VALU_DEP_4)
	v_add_co_u32 v59, vcc_lo, s10, v57
	v_add_co_ci_u32_e32 v60, vcc_lo, s11, v58, vcc_lo
	v_mov_b32_e32 v151, 1
	s_clause 0x1
	global_load_b64 v[63:64], v[61:62], off
	global_load_b64 v[66:67], v[59:60], off
	v_mov_b32_e32 v152, 0
	s_mov_b32 s3, exec_lo
	s_waitcnt vmcnt(0)
	v_cmpx_eq_u64_e64 v[63:64], v[66:67]
	s_cbranch_execz .LBB1659_845
; %bb.839:
	v_add_co_u32 v59, vcc_lo, v59, 8
	v_add_co_ci_u32_e32 v60, vcc_lo, 0, v60, vcc_lo
	v_add_co_u32 v61, vcc_lo, v61, 8
	v_add_co_ci_u32_e32 v62, vcc_lo, 0, v62, vcc_lo
	s_add_u32 s12, s8, -1
	s_addc_u32 s13, s9, -1
	s_mov_b64 s[14:15], 0
	s_mov_b32 s18, 0
                                        ; implicit-def: $sgpr19
	s_set_inst_prefetch_distance 0x1
	s_branch .LBB1659_842
	.p2align	6
.LBB1659_840:                           ;   in Loop: Header=BB1659_842 Depth=1
	global_load_b64 v[63:64], v[61:62], off
	global_load_b64 v[66:67], v[59:60], off
	v_add_co_u32 v59, vcc_lo, v59, 8
	v_add_co_ci_u32_e32 v60, vcc_lo, 0, v60, vcc_lo
	v_add_co_u32 v61, s0, v61, 8
	s_delay_alu instid0(VALU_DEP_1)
	v_add_co_ci_u32_e64 v62, s0, 0, v62, s0
	s_add_u32 s14, s14, 1
	s_addc_u32 s15, s15, 0
	s_and_not1_b32 s0, s19, exec_lo
	s_waitcnt vmcnt(0)
	v_cmp_ne_u64_e32 vcc_lo, v[63:64], v[66:67]
	s_and_b32 s19, vcc_lo, exec_lo
	s_delay_alu instid0(SALU_CYCLE_1)
	s_or_b32 s19, s0, s19
.LBB1659_841:                           ;   in Loop: Header=BB1659_842 Depth=1
	v_dual_mov_b32 v64, s15 :: v_dual_mov_b32 v63, s14
	s_and_b32 s0, exec_lo, s19
	s_delay_alu instid0(SALU_CYCLE_1) | instskip(NEXT) | instid1(SALU_CYCLE_1)
	s_or_b32 s18, s0, s18
	s_and_not1_b32 exec_lo, exec_lo, s18
	s_cbranch_execz .LBB1659_844
.LBB1659_842:                           ; =>This Inner Loop Header: Depth=1
	s_or_b32 s19, s19, exec_lo
	s_cmp_eq_u64 s[12:13], s[14:15]
	s_cbranch_scc0 .LBB1659_840
; %bb.843:                              ;   in Loop: Header=BB1659_842 Depth=1
	s_mov_b64 s[14:15], s[8:9]
                                        ; implicit-def: $vgpr59_vgpr60
                                        ; implicit-def: $vgpr61_vgpr62
	s_branch .LBB1659_841
.LBB1659_844:
	s_set_inst_prefetch_distance 0x2
	s_or_b32 exec_lo, exec_lo, s18
	v_cmp_gt_i64_e32 vcc_lo, s[8:9], v[63:64]
	s_mov_b32 s0, 0
	s_delay_alu instid0(SALU_CYCLE_1)
	v_mov_b32_e32 v152, s0
	v_cndmask_b32_e64 v151, 0, 1, vcc_lo
.LBB1659_845:
	s_or_b32 exec_lo, exec_lo, s3
.LBB1659_846:
	v_mul_lo_u32 v61, v22, s8
	v_mul_lo_u32 v62, v21, s9
	v_mad_u64_u32 v[59:60], null, v21, s8, 0
	v_mov_b32_e32 v155, 0
	v_mov_b32_e32 v156, 0
	v_cmp_ne_u32_e32 vcc_lo, 1, v65
	s_delay_alu instid0(VALU_DEP_2) | instskip(SKIP_1) | instid1(VALU_DEP_1)
	v_dual_mov_b32 v153, v155 :: v_dual_mov_b32 v154, v156
	v_add3_u32 v60, v60, v62, v61
	v_lshlrev_b64 v[59:60], 3, v[59:60]
	s_cbranch_vccnz .LBB1659_855
; %bb.847:
	v_add_co_u32 v61, vcc_lo, s10, v57
	v_add_co_ci_u32_e32 v62, vcc_lo, s11, v58, vcc_lo
	s_delay_alu instid0(VALU_DEP_3) | instskip(NEXT) | instid1(VALU_DEP_4)
	v_add_co_u32 v57, vcc_lo, s10, v59
	v_add_co_ci_u32_e32 v58, vcc_lo, s11, v60, vcc_lo
	v_mov_b32_e32 v153, 1
	s_clause 0x1
	global_load_b64 v[63:64], v[61:62], off
	global_load_b64 v[66:67], v[57:58], off
	v_mov_b32_e32 v154, 0
	s_mov_b32 s3, exec_lo
	s_waitcnt vmcnt(0)
	v_cmpx_eq_u64_e64 v[63:64], v[66:67]
	s_cbranch_execz .LBB1659_854
; %bb.848:
	v_add_co_u32 v57, vcc_lo, v57, 8
	v_add_co_ci_u32_e32 v58, vcc_lo, 0, v58, vcc_lo
	v_add_co_u32 v61, vcc_lo, v61, 8
	v_add_co_ci_u32_e32 v62, vcc_lo, 0, v62, vcc_lo
	s_add_u32 s12, s8, -1
	s_addc_u32 s13, s9, -1
	s_mov_b64 s[14:15], 0
	s_mov_b32 s18, 0
                                        ; implicit-def: $sgpr19
	s_set_inst_prefetch_distance 0x1
	s_branch .LBB1659_851
	.p2align	6
.LBB1659_849:                           ;   in Loop: Header=BB1659_851 Depth=1
	global_load_b64 v[63:64], v[61:62], off
	global_load_b64 v[66:67], v[57:58], off
	v_add_co_u32 v57, vcc_lo, v57, 8
	v_add_co_ci_u32_e32 v58, vcc_lo, 0, v58, vcc_lo
	v_add_co_u32 v61, s0, v61, 8
	s_delay_alu instid0(VALU_DEP_1)
	v_add_co_ci_u32_e64 v62, s0, 0, v62, s0
	s_add_u32 s14, s14, 1
	s_addc_u32 s15, s15, 0
	s_and_not1_b32 s0, s19, exec_lo
	s_waitcnt vmcnt(0)
	v_cmp_ne_u64_e32 vcc_lo, v[63:64], v[66:67]
	s_and_b32 s19, vcc_lo, exec_lo
	s_delay_alu instid0(SALU_CYCLE_1)
	s_or_b32 s19, s0, s19
.LBB1659_850:                           ;   in Loop: Header=BB1659_851 Depth=1
	v_dual_mov_b32 v64, s15 :: v_dual_mov_b32 v63, s14
	s_and_b32 s0, exec_lo, s19
	s_delay_alu instid0(SALU_CYCLE_1) | instskip(NEXT) | instid1(SALU_CYCLE_1)
	s_or_b32 s18, s0, s18
	s_and_not1_b32 exec_lo, exec_lo, s18
	s_cbranch_execz .LBB1659_853
.LBB1659_851:                           ; =>This Inner Loop Header: Depth=1
	s_or_b32 s19, s19, exec_lo
	s_cmp_eq_u64 s[12:13], s[14:15]
	s_cbranch_scc0 .LBB1659_849
; %bb.852:                              ;   in Loop: Header=BB1659_851 Depth=1
	s_mov_b64 s[14:15], s[8:9]
                                        ; implicit-def: $vgpr57_vgpr58
                                        ; implicit-def: $vgpr61_vgpr62
	s_branch .LBB1659_850
.LBB1659_853:
	s_set_inst_prefetch_distance 0x2
	s_or_b32 exec_lo, exec_lo, s18
	v_cmp_gt_i64_e32 vcc_lo, s[8:9], v[63:64]
	s_mov_b32 s0, 0
	s_delay_alu instid0(SALU_CYCLE_1)
	v_mov_b32_e32 v154, s0
	v_cndmask_b32_e64 v153, 0, 1, vcc_lo
.LBB1659_854:
	s_or_b32 exec_lo, exec_lo, s3
.LBB1659_855:
	v_mul_lo_u32 v61, v20, s8
	v_mul_lo_u32 v62, v19, s9
	v_mad_u64_u32 v[57:58], null, v19, s8, 0
	v_cmp_ne_u32_e32 vcc_lo, 1, v65
	s_delay_alu instid0(VALU_DEP_2) | instskip(NEXT) | instid1(VALU_DEP_1)
	v_add3_u32 v58, v58, v62, v61
	v_lshlrev_b64 v[57:58], 3, v[57:58]
	s_cbranch_vccnz .LBB1659_864
; %bb.856:
	v_add_co_u32 v61, vcc_lo, s10, v59
	v_add_co_ci_u32_e32 v62, vcc_lo, s11, v60, vcc_lo
	s_delay_alu instid0(VALU_DEP_3) | instskip(NEXT) | instid1(VALU_DEP_4)
	v_add_co_u32 v59, vcc_lo, s10, v57
	v_add_co_ci_u32_e32 v60, vcc_lo, s11, v58, vcc_lo
	v_mov_b32_e32 v155, 1
	s_clause 0x1
	global_load_b64 v[63:64], v[61:62], off
	global_load_b64 v[66:67], v[59:60], off
	v_mov_b32_e32 v156, 0
	s_mov_b32 s3, exec_lo
	s_waitcnt vmcnt(0)
	v_cmpx_eq_u64_e64 v[63:64], v[66:67]
	s_cbranch_execz .LBB1659_863
; %bb.857:
	v_add_co_u32 v59, vcc_lo, v59, 8
	v_add_co_ci_u32_e32 v60, vcc_lo, 0, v60, vcc_lo
	v_add_co_u32 v61, vcc_lo, v61, 8
	v_add_co_ci_u32_e32 v62, vcc_lo, 0, v62, vcc_lo
	s_add_u32 s12, s8, -1
	s_addc_u32 s13, s9, -1
	s_mov_b64 s[14:15], 0
	s_mov_b32 s18, 0
                                        ; implicit-def: $sgpr19
	s_set_inst_prefetch_distance 0x1
	s_branch .LBB1659_860
	.p2align	6
.LBB1659_858:                           ;   in Loop: Header=BB1659_860 Depth=1
	global_load_b64 v[63:64], v[61:62], off
	global_load_b64 v[66:67], v[59:60], off
	v_add_co_u32 v59, vcc_lo, v59, 8
	v_add_co_ci_u32_e32 v60, vcc_lo, 0, v60, vcc_lo
	v_add_co_u32 v61, s0, v61, 8
	s_delay_alu instid0(VALU_DEP_1)
	v_add_co_ci_u32_e64 v62, s0, 0, v62, s0
	s_add_u32 s14, s14, 1
	s_addc_u32 s15, s15, 0
	s_and_not1_b32 s0, s19, exec_lo
	s_waitcnt vmcnt(0)
	v_cmp_ne_u64_e32 vcc_lo, v[63:64], v[66:67]
	s_and_b32 s19, vcc_lo, exec_lo
	s_delay_alu instid0(SALU_CYCLE_1)
	s_or_b32 s19, s0, s19
.LBB1659_859:                           ;   in Loop: Header=BB1659_860 Depth=1
	v_dual_mov_b32 v64, s15 :: v_dual_mov_b32 v63, s14
	s_and_b32 s0, exec_lo, s19
	s_delay_alu instid0(SALU_CYCLE_1) | instskip(NEXT) | instid1(SALU_CYCLE_1)
	s_or_b32 s18, s0, s18
	s_and_not1_b32 exec_lo, exec_lo, s18
	s_cbranch_execz .LBB1659_862
.LBB1659_860:                           ; =>This Inner Loop Header: Depth=1
	s_or_b32 s19, s19, exec_lo
	s_cmp_eq_u64 s[12:13], s[14:15]
	s_cbranch_scc0 .LBB1659_858
; %bb.861:                              ;   in Loop: Header=BB1659_860 Depth=1
	s_mov_b64 s[14:15], s[8:9]
                                        ; implicit-def: $vgpr59_vgpr60
                                        ; implicit-def: $vgpr61_vgpr62
	s_branch .LBB1659_859
.LBB1659_862:
	s_set_inst_prefetch_distance 0x2
	s_or_b32 exec_lo, exec_lo, s18
	v_cmp_gt_i64_e32 vcc_lo, s[8:9], v[63:64]
	s_mov_b32 s0, 0
	s_delay_alu instid0(SALU_CYCLE_1)
	v_mov_b32_e32 v156, s0
	v_cndmask_b32_e64 v155, 0, 1, vcc_lo
.LBB1659_863:
	s_or_b32 exec_lo, exec_lo, s3
.LBB1659_864:
	v_mul_lo_u32 v61, v18, s8
	v_mul_lo_u32 v62, v17, s9
	v_mad_u64_u32 v[59:60], null, v17, s8, 0
	v_mov_b32_e32 v159, 0
	v_mov_b32_e32 v160, 0
	v_cmp_ne_u32_e32 vcc_lo, 1, v65
	s_delay_alu instid0(VALU_DEP_2) | instskip(SKIP_1) | instid1(VALU_DEP_1)
	v_dual_mov_b32 v157, v159 :: v_dual_mov_b32 v158, v160
	v_add3_u32 v60, v60, v62, v61
	v_lshlrev_b64 v[59:60], 3, v[59:60]
	s_cbranch_vccnz .LBB1659_873
; %bb.865:
	v_add_co_u32 v61, vcc_lo, s10, v57
	v_add_co_ci_u32_e32 v62, vcc_lo, s11, v58, vcc_lo
	s_delay_alu instid0(VALU_DEP_3) | instskip(NEXT) | instid1(VALU_DEP_4)
	v_add_co_u32 v57, vcc_lo, s10, v59
	v_add_co_ci_u32_e32 v58, vcc_lo, s11, v60, vcc_lo
	v_mov_b32_e32 v157, 1
	s_clause 0x1
	global_load_b64 v[63:64], v[61:62], off
	global_load_b64 v[66:67], v[57:58], off
	v_mov_b32_e32 v158, 0
	s_mov_b32 s3, exec_lo
	s_waitcnt vmcnt(0)
	v_cmpx_eq_u64_e64 v[63:64], v[66:67]
	s_cbranch_execz .LBB1659_872
; %bb.866:
	v_add_co_u32 v57, vcc_lo, v57, 8
	v_add_co_ci_u32_e32 v58, vcc_lo, 0, v58, vcc_lo
	v_add_co_u32 v61, vcc_lo, v61, 8
	v_add_co_ci_u32_e32 v62, vcc_lo, 0, v62, vcc_lo
	s_add_u32 s12, s8, -1
	s_addc_u32 s13, s9, -1
	s_mov_b64 s[14:15], 0
	s_mov_b32 s18, 0
                                        ; implicit-def: $sgpr19
	s_set_inst_prefetch_distance 0x1
	s_branch .LBB1659_869
	.p2align	6
.LBB1659_867:                           ;   in Loop: Header=BB1659_869 Depth=1
	global_load_b64 v[63:64], v[61:62], off
	global_load_b64 v[66:67], v[57:58], off
	v_add_co_u32 v57, vcc_lo, v57, 8
	v_add_co_ci_u32_e32 v58, vcc_lo, 0, v58, vcc_lo
	v_add_co_u32 v61, s0, v61, 8
	s_delay_alu instid0(VALU_DEP_1)
	v_add_co_ci_u32_e64 v62, s0, 0, v62, s0
	s_add_u32 s14, s14, 1
	s_addc_u32 s15, s15, 0
	s_and_not1_b32 s0, s19, exec_lo
	s_waitcnt vmcnt(0)
	v_cmp_ne_u64_e32 vcc_lo, v[63:64], v[66:67]
	s_and_b32 s19, vcc_lo, exec_lo
	s_delay_alu instid0(SALU_CYCLE_1)
	s_or_b32 s19, s0, s19
.LBB1659_868:                           ;   in Loop: Header=BB1659_869 Depth=1
	v_dual_mov_b32 v64, s15 :: v_dual_mov_b32 v63, s14
	s_and_b32 s0, exec_lo, s19
	s_delay_alu instid0(SALU_CYCLE_1) | instskip(NEXT) | instid1(SALU_CYCLE_1)
	s_or_b32 s18, s0, s18
	s_and_not1_b32 exec_lo, exec_lo, s18
	s_cbranch_execz .LBB1659_871
.LBB1659_869:                           ; =>This Inner Loop Header: Depth=1
	s_or_b32 s19, s19, exec_lo
	s_cmp_eq_u64 s[12:13], s[14:15]
	s_cbranch_scc0 .LBB1659_867
; %bb.870:                              ;   in Loop: Header=BB1659_869 Depth=1
	s_mov_b64 s[14:15], s[8:9]
                                        ; implicit-def: $vgpr57_vgpr58
                                        ; implicit-def: $vgpr61_vgpr62
	s_branch .LBB1659_868
.LBB1659_871:
	s_set_inst_prefetch_distance 0x2
	s_or_b32 exec_lo, exec_lo, s18
	v_cmp_gt_i64_e32 vcc_lo, s[8:9], v[63:64]
	s_mov_b32 s0, 0
	s_delay_alu instid0(SALU_CYCLE_1)
	v_mov_b32_e32 v158, s0
	v_cndmask_b32_e64 v157, 0, 1, vcc_lo
.LBB1659_872:
	s_or_b32 exec_lo, exec_lo, s3
.LBB1659_873:
	v_mul_lo_u32 v61, v16, s8
	v_mul_lo_u32 v62, v15, s9
	v_mad_u64_u32 v[57:58], null, v15, s8, 0
	v_cmp_ne_u32_e32 vcc_lo, 1, v65
	s_delay_alu instid0(VALU_DEP_2) | instskip(NEXT) | instid1(VALU_DEP_1)
	v_add3_u32 v58, v58, v62, v61
	v_lshlrev_b64 v[57:58], 3, v[57:58]
	s_cbranch_vccnz .LBB1659_882
; %bb.874:
	v_add_co_u32 v61, vcc_lo, s10, v59
	v_add_co_ci_u32_e32 v62, vcc_lo, s11, v60, vcc_lo
	s_delay_alu instid0(VALU_DEP_3) | instskip(NEXT) | instid1(VALU_DEP_4)
	v_add_co_u32 v59, vcc_lo, s10, v57
	v_add_co_ci_u32_e32 v60, vcc_lo, s11, v58, vcc_lo
	v_mov_b32_e32 v159, 1
	s_clause 0x1
	global_load_b64 v[63:64], v[61:62], off
	global_load_b64 v[66:67], v[59:60], off
	v_mov_b32_e32 v160, 0
	s_mov_b32 s3, exec_lo
	s_waitcnt vmcnt(0)
	v_cmpx_eq_u64_e64 v[63:64], v[66:67]
	s_cbranch_execz .LBB1659_881
; %bb.875:
	v_add_co_u32 v59, vcc_lo, v59, 8
	v_add_co_ci_u32_e32 v60, vcc_lo, 0, v60, vcc_lo
	v_add_co_u32 v61, vcc_lo, v61, 8
	v_add_co_ci_u32_e32 v62, vcc_lo, 0, v62, vcc_lo
	s_add_u32 s12, s8, -1
	s_addc_u32 s13, s9, -1
	s_mov_b64 s[14:15], 0
	s_mov_b32 s18, 0
                                        ; implicit-def: $sgpr19
	s_set_inst_prefetch_distance 0x1
	s_branch .LBB1659_878
	.p2align	6
.LBB1659_876:                           ;   in Loop: Header=BB1659_878 Depth=1
	global_load_b64 v[63:64], v[61:62], off
	global_load_b64 v[66:67], v[59:60], off
	v_add_co_u32 v59, vcc_lo, v59, 8
	v_add_co_ci_u32_e32 v60, vcc_lo, 0, v60, vcc_lo
	v_add_co_u32 v61, s0, v61, 8
	s_delay_alu instid0(VALU_DEP_1)
	v_add_co_ci_u32_e64 v62, s0, 0, v62, s0
	s_add_u32 s14, s14, 1
	s_addc_u32 s15, s15, 0
	s_and_not1_b32 s0, s19, exec_lo
	s_waitcnt vmcnt(0)
	v_cmp_ne_u64_e32 vcc_lo, v[63:64], v[66:67]
	s_and_b32 s19, vcc_lo, exec_lo
	s_delay_alu instid0(SALU_CYCLE_1)
	s_or_b32 s19, s0, s19
.LBB1659_877:                           ;   in Loop: Header=BB1659_878 Depth=1
	v_dual_mov_b32 v64, s15 :: v_dual_mov_b32 v63, s14
	s_and_b32 s0, exec_lo, s19
	s_delay_alu instid0(SALU_CYCLE_1) | instskip(NEXT) | instid1(SALU_CYCLE_1)
	s_or_b32 s18, s0, s18
	s_and_not1_b32 exec_lo, exec_lo, s18
	s_cbranch_execz .LBB1659_880
.LBB1659_878:                           ; =>This Inner Loop Header: Depth=1
	s_or_b32 s19, s19, exec_lo
	s_cmp_eq_u64 s[12:13], s[14:15]
	s_cbranch_scc0 .LBB1659_876
; %bb.879:                              ;   in Loop: Header=BB1659_878 Depth=1
	s_mov_b64 s[14:15], s[8:9]
                                        ; implicit-def: $vgpr59_vgpr60
                                        ; implicit-def: $vgpr61_vgpr62
	s_branch .LBB1659_877
.LBB1659_880:
	s_set_inst_prefetch_distance 0x2
	s_or_b32 exec_lo, exec_lo, s18
	v_cmp_gt_i64_e32 vcc_lo, s[8:9], v[63:64]
	s_mov_b32 s0, 0
	s_delay_alu instid0(SALU_CYCLE_1)
	v_mov_b32_e32 v160, s0
	v_cndmask_b32_e64 v159, 0, 1, vcc_lo
.LBB1659_881:
	s_or_b32 exec_lo, exec_lo, s3
.LBB1659_882:
	v_mul_lo_u32 v61, v14, s8
	v_mul_lo_u32 v62, v13, s9
	v_mad_u64_u32 v[59:60], null, v13, s8, 0
	v_mov_b32_e32 v163, 0
	v_mov_b32_e32 v164, 0
	v_cmp_ne_u32_e32 vcc_lo, 1, v65
	s_delay_alu instid0(VALU_DEP_2) | instskip(SKIP_1) | instid1(VALU_DEP_1)
	v_dual_mov_b32 v161, v163 :: v_dual_mov_b32 v162, v164
	v_add3_u32 v60, v60, v62, v61
	v_lshlrev_b64 v[59:60], 3, v[59:60]
	s_cbranch_vccnz .LBB1659_891
; %bb.883:
	v_add_co_u32 v61, vcc_lo, s10, v57
	v_add_co_ci_u32_e32 v62, vcc_lo, s11, v58, vcc_lo
	s_delay_alu instid0(VALU_DEP_3) | instskip(NEXT) | instid1(VALU_DEP_4)
	v_add_co_u32 v57, vcc_lo, s10, v59
	v_add_co_ci_u32_e32 v58, vcc_lo, s11, v60, vcc_lo
	v_mov_b32_e32 v161, 1
	s_clause 0x1
	global_load_b64 v[63:64], v[61:62], off
	global_load_b64 v[66:67], v[57:58], off
	v_mov_b32_e32 v162, 0
	s_mov_b32 s3, exec_lo
	s_waitcnt vmcnt(0)
	v_cmpx_eq_u64_e64 v[63:64], v[66:67]
	s_cbranch_execz .LBB1659_890
; %bb.884:
	v_add_co_u32 v57, vcc_lo, v57, 8
	v_add_co_ci_u32_e32 v58, vcc_lo, 0, v58, vcc_lo
	v_add_co_u32 v61, vcc_lo, v61, 8
	v_add_co_ci_u32_e32 v62, vcc_lo, 0, v62, vcc_lo
	s_add_u32 s12, s8, -1
	s_addc_u32 s13, s9, -1
	s_mov_b64 s[14:15], 0
	s_mov_b32 s18, 0
                                        ; implicit-def: $sgpr19
	s_set_inst_prefetch_distance 0x1
	s_branch .LBB1659_887
	.p2align	6
.LBB1659_885:                           ;   in Loop: Header=BB1659_887 Depth=1
	global_load_b64 v[63:64], v[61:62], off
	global_load_b64 v[66:67], v[57:58], off
	v_add_co_u32 v57, vcc_lo, v57, 8
	v_add_co_ci_u32_e32 v58, vcc_lo, 0, v58, vcc_lo
	v_add_co_u32 v61, s0, v61, 8
	s_delay_alu instid0(VALU_DEP_1)
	v_add_co_ci_u32_e64 v62, s0, 0, v62, s0
	s_add_u32 s14, s14, 1
	s_addc_u32 s15, s15, 0
	s_and_not1_b32 s0, s19, exec_lo
	s_waitcnt vmcnt(0)
	v_cmp_ne_u64_e32 vcc_lo, v[63:64], v[66:67]
	s_and_b32 s19, vcc_lo, exec_lo
	s_delay_alu instid0(SALU_CYCLE_1)
	s_or_b32 s19, s0, s19
.LBB1659_886:                           ;   in Loop: Header=BB1659_887 Depth=1
	v_dual_mov_b32 v64, s15 :: v_dual_mov_b32 v63, s14
	s_and_b32 s0, exec_lo, s19
	s_delay_alu instid0(SALU_CYCLE_1) | instskip(NEXT) | instid1(SALU_CYCLE_1)
	s_or_b32 s18, s0, s18
	s_and_not1_b32 exec_lo, exec_lo, s18
	s_cbranch_execz .LBB1659_889
.LBB1659_887:                           ; =>This Inner Loop Header: Depth=1
	s_or_b32 s19, s19, exec_lo
	s_cmp_eq_u64 s[12:13], s[14:15]
	s_cbranch_scc0 .LBB1659_885
; %bb.888:                              ;   in Loop: Header=BB1659_887 Depth=1
	s_mov_b64 s[14:15], s[8:9]
                                        ; implicit-def: $vgpr57_vgpr58
                                        ; implicit-def: $vgpr61_vgpr62
	s_branch .LBB1659_886
.LBB1659_889:
	s_set_inst_prefetch_distance 0x2
	s_or_b32 exec_lo, exec_lo, s18
	v_cmp_gt_i64_e32 vcc_lo, s[8:9], v[63:64]
	s_mov_b32 s0, 0
	s_delay_alu instid0(SALU_CYCLE_1)
	v_mov_b32_e32 v162, s0
	v_cndmask_b32_e64 v161, 0, 1, vcc_lo
.LBB1659_890:
	s_or_b32 exec_lo, exec_lo, s3
.LBB1659_891:
	v_mul_lo_u32 v61, v4, s8
	v_mul_lo_u32 v62, v3, s9
	v_mad_u64_u32 v[57:58], null, v3, s8, 0
	v_cmp_ne_u32_e32 vcc_lo, 1, v65
	s_delay_alu instid0(VALU_DEP_2) | instskip(NEXT) | instid1(VALU_DEP_1)
	v_add3_u32 v58, v58, v62, v61
	v_lshlrev_b64 v[57:58], 3, v[57:58]
	s_cbranch_vccnz .LBB1659_900
; %bb.892:
	v_add_co_u32 v61, vcc_lo, s10, v59
	v_add_co_ci_u32_e32 v62, vcc_lo, s11, v60, vcc_lo
	s_delay_alu instid0(VALU_DEP_3) | instskip(NEXT) | instid1(VALU_DEP_4)
	v_add_co_u32 v59, vcc_lo, s10, v57
	v_add_co_ci_u32_e32 v60, vcc_lo, s11, v58, vcc_lo
	v_mov_b32_e32 v163, 1
	s_clause 0x1
	global_load_b64 v[63:64], v[61:62], off
	global_load_b64 v[66:67], v[59:60], off
	v_mov_b32_e32 v164, 0
	s_mov_b32 s3, exec_lo
	s_waitcnt vmcnt(0)
	v_cmpx_eq_u64_e64 v[63:64], v[66:67]
	s_cbranch_execz .LBB1659_899
; %bb.893:
	v_add_co_u32 v59, vcc_lo, v59, 8
	v_add_co_ci_u32_e32 v60, vcc_lo, 0, v60, vcc_lo
	v_add_co_u32 v61, vcc_lo, v61, 8
	v_add_co_ci_u32_e32 v62, vcc_lo, 0, v62, vcc_lo
	s_add_u32 s12, s8, -1
	s_addc_u32 s13, s9, -1
	s_mov_b64 s[14:15], 0
	s_mov_b32 s18, 0
                                        ; implicit-def: $sgpr19
	s_set_inst_prefetch_distance 0x1
	s_branch .LBB1659_896
	.p2align	6
.LBB1659_894:                           ;   in Loop: Header=BB1659_896 Depth=1
	global_load_b64 v[63:64], v[61:62], off
	global_load_b64 v[66:67], v[59:60], off
	v_add_co_u32 v59, vcc_lo, v59, 8
	v_add_co_ci_u32_e32 v60, vcc_lo, 0, v60, vcc_lo
	v_add_co_u32 v61, s0, v61, 8
	s_delay_alu instid0(VALU_DEP_1)
	v_add_co_ci_u32_e64 v62, s0, 0, v62, s0
	s_add_u32 s14, s14, 1
	s_addc_u32 s15, s15, 0
	s_and_not1_b32 s0, s19, exec_lo
	s_waitcnt vmcnt(0)
	v_cmp_ne_u64_e32 vcc_lo, v[63:64], v[66:67]
	s_and_b32 s19, vcc_lo, exec_lo
	s_delay_alu instid0(SALU_CYCLE_1)
	s_or_b32 s19, s0, s19
.LBB1659_895:                           ;   in Loop: Header=BB1659_896 Depth=1
	v_dual_mov_b32 v64, s15 :: v_dual_mov_b32 v63, s14
	s_and_b32 s0, exec_lo, s19
	s_delay_alu instid0(SALU_CYCLE_1) | instskip(NEXT) | instid1(SALU_CYCLE_1)
	s_or_b32 s18, s0, s18
	s_and_not1_b32 exec_lo, exec_lo, s18
	s_cbranch_execz .LBB1659_898
.LBB1659_896:                           ; =>This Inner Loop Header: Depth=1
	s_or_b32 s19, s19, exec_lo
	s_cmp_eq_u64 s[12:13], s[14:15]
	s_cbranch_scc0 .LBB1659_894
; %bb.897:                              ;   in Loop: Header=BB1659_896 Depth=1
	s_mov_b64 s[14:15], s[8:9]
                                        ; implicit-def: $vgpr59_vgpr60
                                        ; implicit-def: $vgpr61_vgpr62
	s_branch .LBB1659_895
.LBB1659_898:
	s_set_inst_prefetch_distance 0x2
	s_or_b32 exec_lo, exec_lo, s18
	v_cmp_gt_i64_e32 vcc_lo, s[8:9], v[63:64]
	s_mov_b32 s0, 0
	s_delay_alu instid0(SALU_CYCLE_1)
	v_mov_b32_e32 v164, s0
	v_cndmask_b32_e64 v163, 0, 1, vcc_lo
.LBB1659_899:
	s_or_b32 exec_lo, exec_lo, s3
.LBB1659_900:
	v_cmp_ne_u32_e32 vcc_lo, 1, v65
	s_cbranch_vccnz .LBB1659_907
; %bb.901:
	v_mul_lo_u32 v61, v2, s8
	v_mul_lo_u32 v62, v1, s9
	v_mad_u64_u32 v[59:60], null, v1, s8, 0
	v_mov_b32_e32 v165, 1
	v_mov_b32_e32 v166, 0
	s_mov_b32 s3, exec_lo
	s_delay_alu instid0(VALU_DEP_3) | instskip(NEXT) | instid1(VALU_DEP_1)
	v_add3_u32 v60, v60, v62, v61
	v_lshlrev_b64 v[61:62], 3, v[59:60]
	v_add_co_u32 v59, vcc_lo, s10, v57
	v_add_co_ci_u32_e32 v60, vcc_lo, s11, v58, vcc_lo
	s_delay_alu instid0(VALU_DEP_3) | instskip(NEXT) | instid1(VALU_DEP_4)
	v_add_co_u32 v57, vcc_lo, s10, v61
	v_add_co_ci_u32_e32 v58, vcc_lo, s11, v62, vcc_lo
	s_clause 0x1
	global_load_b64 v[61:62], v[59:60], off
	global_load_b64 v[63:64], v[57:58], off
	s_waitcnt vmcnt(0)
	v_cmpx_eq_u64_e64 v[61:62], v[63:64]
	s_cbranch_execz .LBB1659_909
; %bb.902:
	v_add_co_u32 v57, vcc_lo, v57, 8
	v_add_co_ci_u32_e32 v58, vcc_lo, 0, v58, vcc_lo
	v_add_co_u32 v59, vcc_lo, v59, 8
	v_add_co_ci_u32_e32 v60, vcc_lo, 0, v60, vcc_lo
	s_add_u32 s12, s8, -1
	s_addc_u32 s13, s9, -1
	s_mov_b64 s[14:15], 0
	s_mov_b32 s18, 0
                                        ; implicit-def: $sgpr19
	s_set_inst_prefetch_distance 0x1
	s_branch .LBB1659_905
	.p2align	6
.LBB1659_903:                           ;   in Loop: Header=BB1659_905 Depth=1
	global_load_b64 v[61:62], v[59:60], off
	global_load_b64 v[63:64], v[57:58], off
	v_add_co_u32 v57, vcc_lo, v57, 8
	v_add_co_ci_u32_e32 v58, vcc_lo, 0, v58, vcc_lo
	v_add_co_u32 v59, s0, v59, 8
	s_delay_alu instid0(VALU_DEP_1)
	v_add_co_ci_u32_e64 v60, s0, 0, v60, s0
	s_add_u32 s14, s14, 1
	s_addc_u32 s15, s15, 0
	s_and_not1_b32 s0, s19, exec_lo
	s_waitcnt vmcnt(0)
	v_cmp_ne_u64_e32 vcc_lo, v[61:62], v[63:64]
	s_and_b32 s19, vcc_lo, exec_lo
	s_delay_alu instid0(SALU_CYCLE_1)
	s_or_b32 s19, s0, s19
.LBB1659_904:                           ;   in Loop: Header=BB1659_905 Depth=1
	v_dual_mov_b32 v62, s15 :: v_dual_mov_b32 v61, s14
	s_and_b32 s0, exec_lo, s19
	s_delay_alu instid0(SALU_CYCLE_1) | instskip(NEXT) | instid1(SALU_CYCLE_1)
	s_or_b32 s18, s0, s18
	s_and_not1_b32 exec_lo, exec_lo, s18
	s_cbranch_execz .LBB1659_908
.LBB1659_905:                           ; =>This Inner Loop Header: Depth=1
	s_or_b32 s19, s19, exec_lo
	s_cmp_eq_u64 s[12:13], s[14:15]
	s_cbranch_scc0 .LBB1659_903
; %bb.906:                              ;   in Loop: Header=BB1659_905 Depth=1
	s_mov_b64 s[14:15], s[8:9]
                                        ; implicit-def: $vgpr57_vgpr58
                                        ; implicit-def: $vgpr59_vgpr60
	s_branch .LBB1659_904
.LBB1659_907:
	v_mov_b32_e32 v165, 0
	v_mov_b32_e32 v166, 0
	s_branch .LBB1659_910
.LBB1659_908:
	s_set_inst_prefetch_distance 0x2
	s_or_b32 exec_lo, exec_lo, s18
	v_cmp_gt_i64_e32 vcc_lo, s[8:9], v[61:62]
	s_mov_b32 s0, 0
	s_delay_alu instid0(SALU_CYCLE_1)
	v_mov_b32_e32 v166, s0
	v_cndmask_b32_e64 v165, 0, 1, vcc_lo
.LBB1659_909:
	s_or_b32 exec_lo, exec_lo, s3
.LBB1659_910:
	s_mov_b32 s3, 0
	s_mov_b32 s18, exec_lo
	s_waitcnt lgkmcnt(0)
	s_barrier
	buffer_gl0_inv
                                        ; implicit-def: $sgpr0
	v_cmpx_ne_u32_e32 0, v0
	s_cbranch_execz .LBB1659_922
; %bb.911:
	v_cmp_ne_u32_e32 vcc_lo, 1, v65
	s_cbranch_vccnz .LBB1659_918
; %bb.912:
	v_add_nc_u32_e32 v57, -8, v195
	v_mul_lo_u32 v63, v2, s8
	v_mul_lo_u32 v64, v1, s9
	v_mad_u64_u32 v[59:60], null, v1, s8, 0
	ds_load_b64 v[57:58], v57
	s_mov_b32 s0, -1
	s_mov_b32 s19, exec_lo
	v_add3_u32 v60, v60, v64, v63
	s_waitcnt lgkmcnt(0)
	v_mul_lo_u32 v58, v58, s8
	v_mul_lo_u32 v65, v57, s9
	v_mad_u64_u32 v[61:62], null, v57, s8, 0
	s_delay_alu instid0(VALU_DEP_1) | instskip(SKIP_1) | instid1(VALU_DEP_2)
	v_add3_u32 v62, v62, v65, v58
	v_lshlrev_b64 v[57:58], 3, v[59:60]
	v_lshlrev_b64 v[61:62], 3, v[61:62]
	s_delay_alu instid0(VALU_DEP_2) | instskip(NEXT) | instid1(VALU_DEP_3)
	v_add_co_u32 v59, vcc_lo, s10, v57
	v_add_co_ci_u32_e32 v60, vcc_lo, s11, v58, vcc_lo
	s_delay_alu instid0(VALU_DEP_3) | instskip(NEXT) | instid1(VALU_DEP_4)
	v_add_co_u32 v57, vcc_lo, s10, v61
	v_add_co_ci_u32_e32 v58, vcc_lo, s11, v62, vcc_lo
	s_clause 0x1
	global_load_b64 v[61:62], v[59:60], off
	global_load_b64 v[63:64], v[57:58], off
	s_waitcnt vmcnt(0)
	v_cmpx_eq_u64_e64 v[61:62], v[63:64]
	s_cbranch_execz .LBB1659_920
; %bb.913:
	v_add_co_u32 v57, vcc_lo, v57, 8
	v_add_co_ci_u32_e32 v58, vcc_lo, 0, v58, vcc_lo
	v_add_co_u32 v59, vcc_lo, v59, 8
	v_add_co_ci_u32_e32 v60, vcc_lo, 0, v60, vcc_lo
	s_add_u32 s12, s8, -1
	s_addc_u32 s13, s9, -1
	s_mov_b64 s[14:15], 0
	s_mov_b32 s20, 0
                                        ; implicit-def: $sgpr21
	s_set_inst_prefetch_distance 0x1
	s_branch .LBB1659_916
	.p2align	6
.LBB1659_914:                           ;   in Loop: Header=BB1659_916 Depth=1
	global_load_b64 v[61:62], v[59:60], off
	global_load_b64 v[63:64], v[57:58], off
	v_add_co_u32 v57, vcc_lo, v57, 8
	v_add_co_ci_u32_e32 v58, vcc_lo, 0, v58, vcc_lo
	v_add_co_u32 v59, s0, v59, 8
	s_delay_alu instid0(VALU_DEP_1)
	v_add_co_ci_u32_e64 v60, s0, 0, v60, s0
	s_add_u32 s14, s14, 1
	s_addc_u32 s15, s15, 0
	s_and_not1_b32 s0, s21, exec_lo
	s_waitcnt vmcnt(0)
	v_cmp_ne_u64_e32 vcc_lo, v[61:62], v[63:64]
	s_and_b32 s21, vcc_lo, exec_lo
	s_delay_alu instid0(SALU_CYCLE_1)
	s_or_b32 s21, s0, s21
.LBB1659_915:                           ;   in Loop: Header=BB1659_916 Depth=1
	v_dual_mov_b32 v62, s15 :: v_dual_mov_b32 v61, s14
	s_and_b32 s0, exec_lo, s21
	s_delay_alu instid0(SALU_CYCLE_1) | instskip(NEXT) | instid1(SALU_CYCLE_1)
	s_or_b32 s20, s0, s20
	s_and_not1_b32 exec_lo, exec_lo, s20
	s_cbranch_execz .LBB1659_919
.LBB1659_916:                           ; =>This Inner Loop Header: Depth=1
	s_or_b32 s21, s21, exec_lo
	s_cmp_eq_u64 s[12:13], s[14:15]
	s_cbranch_scc0 .LBB1659_914
; %bb.917:                              ;   in Loop: Header=BB1659_916 Depth=1
	s_mov_b64 s[14:15], s[8:9]
                                        ; implicit-def: $vgpr57_vgpr58
                                        ; implicit-def: $vgpr59_vgpr60
	s_branch .LBB1659_915
.LBB1659_918:
	s_mov_b32 s0, 0
	s_branch .LBB1659_921
.LBB1659_919:
	s_set_inst_prefetch_distance 0x2
	s_or_b32 exec_lo, exec_lo, s20
	v_cmp_gt_i64_e32 vcc_lo, s[8:9], v[61:62]
	s_or_not1_b32 s0, vcc_lo, exec_lo
.LBB1659_920:
	s_or_b32 exec_lo, exec_lo, s19
.LBB1659_921:
	s_delay_alu instid0(SALU_CYCLE_1)
	s_and_b32 s0, s0, exec_lo
	s_or_b32 s1, s1, exec_lo
.LBB1659_922:
	s_or_b32 exec_lo, exec_lo, s18
	v_dual_mov_b32 v182, v166 :: v_dual_mov_b32 v181, v165
	v_dual_mov_b32 v168, v164 :: v_dual_mov_b32 v167, v163
	;; [unrolled: 1-line block ×27, first 2 shown]
	s_and_b32 vcc_lo, exec_lo, s3
	s_cbranch_vccz .LBB1659_1243
.LBB1659_923:
	v_cmp_gt_i64_e64 s0, s[8:9], 0
	s_waitcnt lgkmcnt(0)
	v_mad_u32_u24 v57, v0, 29, 28
	v_mul_u32_u24_e32 v64, 29, v0
	s_mov_b32 s3, exec_lo
	ds_store_b64 v195, v[109:110]
	v_cndmask_b32_e64 v63, 0, 1, s0
	v_cmpx_gt_u32_e64 s6, v57
	s_cbranch_execz .LBB1659_934
; %bb.924:
	s_and_not1_b32 vcc_lo, exec_lo, s0
	s_cbranch_vccnz .LBB1659_931
; %bb.925:
	v_mul_lo_u32 v61, v110, s8
	v_mul_lo_u32 v62, v109, s9
	v_mad_u64_u32 v[57:58], null, v109, s8, 0
	v_mul_lo_u32 v65, v8, s8
	v_mul_lo_u32 v66, v7, s9
	v_mad_u64_u32 v[59:60], null, v7, s8, 0
	v_mov_b32_e32 v109, 1
	v_mov_b32_e32 v110, 0
	v_add3_u32 v58, v58, v62, v61
	s_mov_b32 s18, exec_lo
	s_delay_alu instid0(VALU_DEP_4) | instskip(NEXT) | instid1(VALU_DEP_2)
	v_add3_u32 v60, v60, v66, v65
	v_lshlrev_b64 v[57:58], 3, v[57:58]
	s_delay_alu instid0(VALU_DEP_2) | instskip(NEXT) | instid1(VALU_DEP_2)
	v_lshlrev_b64 v[61:62], 3, v[59:60]
	v_add_co_u32 v59, vcc_lo, s10, v57
	s_delay_alu instid0(VALU_DEP_3) | instskip(NEXT) | instid1(VALU_DEP_3)
	v_add_co_ci_u32_e32 v60, vcc_lo, s11, v58, vcc_lo
	v_add_co_u32 v57, vcc_lo, s10, v61
	s_delay_alu instid0(VALU_DEP_4)
	v_add_co_ci_u32_e32 v58, vcc_lo, s11, v62, vcc_lo
	s_clause 0x1
	global_load_b64 v[61:62], v[59:60], off
	global_load_b64 v[65:66], v[57:58], off
	s_waitcnt vmcnt(0)
	v_cmpx_eq_u64_e64 v[61:62], v[65:66]
	s_cbranch_execz .LBB1659_933
; %bb.926:
	v_add_co_u32 v57, vcc_lo, v57, 8
	v_add_co_ci_u32_e32 v58, vcc_lo, 0, v58, vcc_lo
	v_add_co_u32 v59, vcc_lo, v59, 8
	v_add_co_ci_u32_e32 v60, vcc_lo, 0, v60, vcc_lo
	s_add_u32 s12, s8, -1
	s_addc_u32 s13, s9, -1
	s_mov_b64 s[14:15], 0
	s_mov_b32 s19, 0
                                        ; implicit-def: $sgpr20
	s_set_inst_prefetch_distance 0x1
	s_branch .LBB1659_929
	.p2align	6
.LBB1659_927:                           ;   in Loop: Header=BB1659_929 Depth=1
	global_load_b64 v[61:62], v[59:60], off
	global_load_b64 v[65:66], v[57:58], off
	v_add_co_u32 v57, vcc_lo, v57, 8
	v_add_co_ci_u32_e32 v58, vcc_lo, 0, v58, vcc_lo
	v_add_co_u32 v59, s0, v59, 8
	s_delay_alu instid0(VALU_DEP_1)
	v_add_co_ci_u32_e64 v60, s0, 0, v60, s0
	s_add_u32 s14, s14, 1
	s_addc_u32 s15, s15, 0
	s_and_not1_b32 s0, s20, exec_lo
	s_waitcnt vmcnt(0)
	v_cmp_ne_u64_e32 vcc_lo, v[61:62], v[65:66]
	s_and_b32 s20, vcc_lo, exec_lo
	s_delay_alu instid0(SALU_CYCLE_1)
	s_or_b32 s20, s0, s20
.LBB1659_928:                           ;   in Loop: Header=BB1659_929 Depth=1
	v_dual_mov_b32 v62, s15 :: v_dual_mov_b32 v61, s14
	s_and_b32 s0, exec_lo, s20
	s_delay_alu instid0(SALU_CYCLE_1) | instskip(NEXT) | instid1(SALU_CYCLE_1)
	s_or_b32 s19, s0, s19
	s_and_not1_b32 exec_lo, exec_lo, s19
	s_cbranch_execz .LBB1659_932
.LBB1659_929:                           ; =>This Inner Loop Header: Depth=1
	s_or_b32 s20, s20, exec_lo
	s_cmp_eq_u64 s[12:13], s[14:15]
	s_cbranch_scc0 .LBB1659_927
; %bb.930:                              ;   in Loop: Header=BB1659_929 Depth=1
	s_mov_b64 s[14:15], s[8:9]
                                        ; implicit-def: $vgpr57_vgpr58
                                        ; implicit-def: $vgpr59_vgpr60
	s_branch .LBB1659_928
.LBB1659_931:
	v_mov_b32_e32 v109, 0
	v_mov_b32_e32 v110, 0
	s_branch .LBB1659_934
.LBB1659_932:
	s_set_inst_prefetch_distance 0x2
	s_or_b32 exec_lo, exec_lo, s19
	v_cmp_gt_i64_e32 vcc_lo, s[8:9], v[61:62]
	s_mov_b32 s0, 0
	s_delay_alu instid0(SALU_CYCLE_1)
	v_mov_b32_e32 v110, s0
	v_cndmask_b32_e64 v109, 0, 1, vcc_lo
.LBB1659_933:
	s_or_b32 exec_lo, exec_lo, s18
.LBB1659_934:
	s_delay_alu instid0(SALU_CYCLE_1) | instskip(SKIP_2) | instid1(VALU_DEP_1)
	s_or_b32 exec_lo, exec_lo, s3
	v_add_nc_u32_e32 v57, 27, v64
	s_mov_b32 s3, exec_lo
	v_cmpx_gt_u32_e64 s6, v57
	s_cbranch_execz .LBB1659_945
; %bb.935:
	v_cmp_ne_u32_e32 vcc_lo, 1, v63
	s_cbranch_vccnz .LBB1659_942
; %bb.936:
	v_mul_lo_u32 v59, v8, s8
	v_mul_lo_u32 v60, v7, s9
	v_mad_u64_u32 v[57:58], null, v7, s8, 0
	v_mul_lo_u32 v61, v6, s8
	v_mul_lo_u32 v62, v5, s9
	v_mad_u64_u32 v[7:8], null, v5, s8, 0
	s_delay_alu instid0(VALU_DEP_4) | instskip(NEXT) | instid1(VALU_DEP_2)
	v_add3_u32 v58, v58, v60, v59
	v_add3_u32 v8, v8, v62, v61
	s_delay_alu instid0(VALU_DEP_2) | instskip(NEXT) | instid1(VALU_DEP_2)
	v_lshlrev_b64 v[57:58], 3, v[57:58]
	v_lshlrev_b64 v[7:8], 3, v[7:8]
	s_delay_alu instid0(VALU_DEP_2) | instskip(NEXT) | instid1(VALU_DEP_3)
	v_add_co_u32 v57, vcc_lo, s10, v57
	v_add_co_ci_u32_e32 v58, vcc_lo, s11, v58, vcc_lo
	s_delay_alu instid0(VALU_DEP_3) | instskip(NEXT) | instid1(VALU_DEP_4)
	v_add_co_u32 v59, vcc_lo, s10, v7
	v_add_co_ci_u32_e32 v60, vcc_lo, s11, v8, vcc_lo
	s_clause 0x1
	global_load_b64 v[7:8], v[57:58], off
	global_load_b64 v[61:62], v[59:60], off
	s_waitcnt vmcnt(0)
	v_cmp_eq_u64_e32 vcc_lo, v[7:8], v[61:62]
	v_mov_b32_e32 v7, 1
	v_mov_b32_e32 v8, 0
	s_and_saveexec_b32 s18, vcc_lo
	s_cbranch_execz .LBB1659_944
; %bb.937:
	v_add_co_u32 v7, vcc_lo, v59, 8
	v_add_co_ci_u32_e32 v8, vcc_lo, 0, v60, vcc_lo
	v_add_co_u32 v57, vcc_lo, v57, 8
	v_add_co_ci_u32_e32 v58, vcc_lo, 0, v58, vcc_lo
	s_add_u32 s12, s8, -1
	s_addc_u32 s13, s9, -1
	s_mov_b64 s[14:15], 0
	s_mov_b32 s19, 0
                                        ; implicit-def: $sgpr20
	s_set_inst_prefetch_distance 0x1
	s_branch .LBB1659_940
	.p2align	6
.LBB1659_938:                           ;   in Loop: Header=BB1659_940 Depth=1
	global_load_b64 v[59:60], v[57:58], off
	global_load_b64 v[61:62], v[7:8], off
	v_add_co_u32 v7, vcc_lo, v7, 8
	v_add_co_ci_u32_e32 v8, vcc_lo, 0, v8, vcc_lo
	v_add_co_u32 v57, s0, v57, 8
	s_delay_alu instid0(VALU_DEP_1)
	v_add_co_ci_u32_e64 v58, s0, 0, v58, s0
	s_add_u32 s14, s14, 1
	s_addc_u32 s15, s15, 0
	s_and_not1_b32 s0, s20, exec_lo
	s_waitcnt vmcnt(0)
	v_cmp_ne_u64_e32 vcc_lo, v[59:60], v[61:62]
	s_and_b32 s20, vcc_lo, exec_lo
	s_delay_alu instid0(SALU_CYCLE_1)
	s_or_b32 s20, s0, s20
.LBB1659_939:                           ;   in Loop: Header=BB1659_940 Depth=1
	v_dual_mov_b32 v60, s15 :: v_dual_mov_b32 v59, s14
	s_and_b32 s0, exec_lo, s20
	s_delay_alu instid0(SALU_CYCLE_1) | instskip(NEXT) | instid1(SALU_CYCLE_1)
	s_or_b32 s19, s0, s19
	s_and_not1_b32 exec_lo, exec_lo, s19
	s_cbranch_execz .LBB1659_943
.LBB1659_940:                           ; =>This Inner Loop Header: Depth=1
	s_or_b32 s20, s20, exec_lo
	s_cmp_eq_u64 s[12:13], s[14:15]
	s_cbranch_scc0 .LBB1659_938
; %bb.941:                              ;   in Loop: Header=BB1659_940 Depth=1
	s_mov_b64 s[14:15], s[8:9]
                                        ; implicit-def: $vgpr7_vgpr8
                                        ; implicit-def: $vgpr57_vgpr58
	s_branch .LBB1659_939
.LBB1659_942:
	v_mov_b32_e32 v7, 0
	v_mov_b32_e32 v8, 0
	s_branch .LBB1659_945
.LBB1659_943:
	s_set_inst_prefetch_distance 0x2
	s_or_b32 exec_lo, exec_lo, s19
	v_cmp_gt_i64_e32 vcc_lo, s[8:9], v[59:60]
	s_mov_b32 s0, 0
	s_delay_alu instid0(SALU_CYCLE_1)
	v_mov_b32_e32 v8, s0
	v_cndmask_b32_e64 v7, 0, 1, vcc_lo
.LBB1659_944:
	s_or_b32 exec_lo, exec_lo, s18
.LBB1659_945:
	s_delay_alu instid0(SALU_CYCLE_1) | instskip(SKIP_2) | instid1(VALU_DEP_1)
	s_or_b32 exec_lo, exec_lo, s3
	v_add_nc_u32_e32 v57, 26, v64
	s_mov_b32 s3, exec_lo
	v_cmpx_gt_u32_e64 s6, v57
	s_cbranch_execz .LBB1659_956
; %bb.946:
	v_cmp_ne_u32_e32 vcc_lo, 1, v63
	s_cbranch_vccnz .LBB1659_953
; %bb.947:
	v_mul_lo_u32 v59, v6, s8
	v_mul_lo_u32 v60, v5, s9
	v_mad_u64_u32 v[57:58], null, v5, s8, 0
	v_mul_lo_u32 v61, v12, s8
	v_mul_lo_u32 v62, v11, s9
	v_mad_u64_u32 v[5:6], null, v11, s8, 0
	s_delay_alu instid0(VALU_DEP_4) | instskip(NEXT) | instid1(VALU_DEP_2)
	v_add3_u32 v58, v58, v60, v59
	v_add3_u32 v6, v6, v62, v61
	s_delay_alu instid0(VALU_DEP_2) | instskip(NEXT) | instid1(VALU_DEP_2)
	v_lshlrev_b64 v[57:58], 3, v[57:58]
	v_lshlrev_b64 v[5:6], 3, v[5:6]
	s_delay_alu instid0(VALU_DEP_2) | instskip(NEXT) | instid1(VALU_DEP_3)
	v_add_co_u32 v57, vcc_lo, s10, v57
	v_add_co_ci_u32_e32 v58, vcc_lo, s11, v58, vcc_lo
	s_delay_alu instid0(VALU_DEP_3) | instskip(NEXT) | instid1(VALU_DEP_4)
	v_add_co_u32 v59, vcc_lo, s10, v5
	v_add_co_ci_u32_e32 v60, vcc_lo, s11, v6, vcc_lo
	s_clause 0x1
	global_load_b64 v[5:6], v[57:58], off
	global_load_b64 v[61:62], v[59:60], off
	s_waitcnt vmcnt(0)
	v_cmp_eq_u64_e32 vcc_lo, v[5:6], v[61:62]
	v_mov_b32_e32 v5, 1
	v_mov_b32_e32 v6, 0
	s_and_saveexec_b32 s18, vcc_lo
	s_cbranch_execz .LBB1659_955
; %bb.948:
	v_add_co_u32 v5, vcc_lo, v59, 8
	v_add_co_ci_u32_e32 v6, vcc_lo, 0, v60, vcc_lo
	v_add_co_u32 v57, vcc_lo, v57, 8
	v_add_co_ci_u32_e32 v58, vcc_lo, 0, v58, vcc_lo
	s_add_u32 s12, s8, -1
	s_addc_u32 s13, s9, -1
	s_mov_b64 s[14:15], 0
	s_mov_b32 s19, 0
                                        ; implicit-def: $sgpr20
	s_set_inst_prefetch_distance 0x1
	s_branch .LBB1659_951
	.p2align	6
.LBB1659_949:                           ;   in Loop: Header=BB1659_951 Depth=1
	global_load_b64 v[59:60], v[57:58], off
	global_load_b64 v[61:62], v[5:6], off
	v_add_co_u32 v5, vcc_lo, v5, 8
	v_add_co_ci_u32_e32 v6, vcc_lo, 0, v6, vcc_lo
	v_add_co_u32 v57, s0, v57, 8
	s_delay_alu instid0(VALU_DEP_1)
	v_add_co_ci_u32_e64 v58, s0, 0, v58, s0
	s_add_u32 s14, s14, 1
	s_addc_u32 s15, s15, 0
	s_and_not1_b32 s0, s20, exec_lo
	s_waitcnt vmcnt(0)
	v_cmp_ne_u64_e32 vcc_lo, v[59:60], v[61:62]
	s_and_b32 s20, vcc_lo, exec_lo
	s_delay_alu instid0(SALU_CYCLE_1)
	s_or_b32 s20, s0, s20
.LBB1659_950:                           ;   in Loop: Header=BB1659_951 Depth=1
	v_dual_mov_b32 v60, s15 :: v_dual_mov_b32 v59, s14
	s_and_b32 s0, exec_lo, s20
	s_delay_alu instid0(SALU_CYCLE_1) | instskip(NEXT) | instid1(SALU_CYCLE_1)
	s_or_b32 s19, s0, s19
	s_and_not1_b32 exec_lo, exec_lo, s19
	s_cbranch_execz .LBB1659_954
.LBB1659_951:                           ; =>This Inner Loop Header: Depth=1
	s_or_b32 s20, s20, exec_lo
	s_cmp_eq_u64 s[12:13], s[14:15]
	s_cbranch_scc0 .LBB1659_949
; %bb.952:                              ;   in Loop: Header=BB1659_951 Depth=1
	s_mov_b64 s[14:15], s[8:9]
                                        ; implicit-def: $vgpr5_vgpr6
                                        ; implicit-def: $vgpr57_vgpr58
	s_branch .LBB1659_950
.LBB1659_953:
	v_mov_b32_e32 v5, 0
	v_mov_b32_e32 v6, 0
	s_branch .LBB1659_956
.LBB1659_954:
	s_set_inst_prefetch_distance 0x2
	s_or_b32 exec_lo, exec_lo, s19
	v_cmp_gt_i64_e32 vcc_lo, s[8:9], v[59:60]
	s_mov_b32 s0, 0
	s_delay_alu instid0(SALU_CYCLE_1)
	v_mov_b32_e32 v6, s0
	v_cndmask_b32_e64 v5, 0, 1, vcc_lo
.LBB1659_955:
	s_or_b32 exec_lo, exec_lo, s18
.LBB1659_956:
	s_delay_alu instid0(SALU_CYCLE_1) | instskip(SKIP_2) | instid1(VALU_DEP_1)
	s_or_b32 exec_lo, exec_lo, s3
	v_add_nc_u32_e32 v57, 25, v64
	s_mov_b32 s3, exec_lo
	v_cmpx_gt_u32_e64 s6, v57
	s_cbranch_execz .LBB1659_967
; %bb.957:
	v_cmp_ne_u32_e32 vcc_lo, 1, v63
	s_cbranch_vccnz .LBB1659_964
; %bb.958:
	v_mul_lo_u32 v59, v12, s8
	v_mul_lo_u32 v60, v11, s9
	v_mad_u64_u32 v[57:58], null, v11, s8, 0
	v_mul_lo_u32 v61, v10, s8
	v_mul_lo_u32 v62, v9, s9
	v_mad_u64_u32 v[11:12], null, v9, s8, 0
	s_delay_alu instid0(VALU_DEP_4) | instskip(NEXT) | instid1(VALU_DEP_2)
	v_add3_u32 v58, v58, v60, v59
	v_add3_u32 v12, v12, v62, v61
	s_delay_alu instid0(VALU_DEP_2) | instskip(NEXT) | instid1(VALU_DEP_2)
	v_lshlrev_b64 v[57:58], 3, v[57:58]
	v_lshlrev_b64 v[11:12], 3, v[11:12]
	s_delay_alu instid0(VALU_DEP_2) | instskip(NEXT) | instid1(VALU_DEP_3)
	v_add_co_u32 v57, vcc_lo, s10, v57
	v_add_co_ci_u32_e32 v58, vcc_lo, s11, v58, vcc_lo
	s_delay_alu instid0(VALU_DEP_3) | instskip(NEXT) | instid1(VALU_DEP_4)
	v_add_co_u32 v59, vcc_lo, s10, v11
	v_add_co_ci_u32_e32 v60, vcc_lo, s11, v12, vcc_lo
	s_clause 0x1
	global_load_b64 v[11:12], v[57:58], off
	global_load_b64 v[61:62], v[59:60], off
	s_waitcnt vmcnt(0)
	v_cmp_eq_u64_e32 vcc_lo, v[11:12], v[61:62]
	v_mov_b32_e32 v11, 1
	v_mov_b32_e32 v12, 0
	s_and_saveexec_b32 s18, vcc_lo
	s_cbranch_execz .LBB1659_966
; %bb.959:
	v_add_co_u32 v11, vcc_lo, v59, 8
	v_add_co_ci_u32_e32 v12, vcc_lo, 0, v60, vcc_lo
	v_add_co_u32 v57, vcc_lo, v57, 8
	v_add_co_ci_u32_e32 v58, vcc_lo, 0, v58, vcc_lo
	s_add_u32 s12, s8, -1
	s_addc_u32 s13, s9, -1
	s_mov_b64 s[14:15], 0
	s_mov_b32 s19, 0
                                        ; implicit-def: $sgpr20
	s_set_inst_prefetch_distance 0x1
	s_branch .LBB1659_962
	.p2align	6
.LBB1659_960:                           ;   in Loop: Header=BB1659_962 Depth=1
	global_load_b64 v[59:60], v[57:58], off
	global_load_b64 v[61:62], v[11:12], off
	v_add_co_u32 v11, vcc_lo, v11, 8
	v_add_co_ci_u32_e32 v12, vcc_lo, 0, v12, vcc_lo
	v_add_co_u32 v57, s0, v57, 8
	s_delay_alu instid0(VALU_DEP_1)
	v_add_co_ci_u32_e64 v58, s0, 0, v58, s0
	s_add_u32 s14, s14, 1
	s_addc_u32 s15, s15, 0
	s_and_not1_b32 s0, s20, exec_lo
	s_waitcnt vmcnt(0)
	v_cmp_ne_u64_e32 vcc_lo, v[59:60], v[61:62]
	s_and_b32 s20, vcc_lo, exec_lo
	s_delay_alu instid0(SALU_CYCLE_1)
	s_or_b32 s20, s0, s20
.LBB1659_961:                           ;   in Loop: Header=BB1659_962 Depth=1
	v_dual_mov_b32 v60, s15 :: v_dual_mov_b32 v59, s14
	s_and_b32 s0, exec_lo, s20
	s_delay_alu instid0(SALU_CYCLE_1) | instskip(NEXT) | instid1(SALU_CYCLE_1)
	s_or_b32 s19, s0, s19
	s_and_not1_b32 exec_lo, exec_lo, s19
	s_cbranch_execz .LBB1659_965
.LBB1659_962:                           ; =>This Inner Loop Header: Depth=1
	s_or_b32 s20, s20, exec_lo
	s_cmp_eq_u64 s[12:13], s[14:15]
	s_cbranch_scc0 .LBB1659_960
; %bb.963:                              ;   in Loop: Header=BB1659_962 Depth=1
	s_mov_b64 s[14:15], s[8:9]
                                        ; implicit-def: $vgpr11_vgpr12
                                        ; implicit-def: $vgpr57_vgpr58
	s_branch .LBB1659_961
.LBB1659_964:
	v_mov_b32_e32 v11, 0
	v_mov_b32_e32 v12, 0
	s_branch .LBB1659_967
.LBB1659_965:
	s_set_inst_prefetch_distance 0x2
	s_or_b32 exec_lo, exec_lo, s19
	v_cmp_gt_i64_e32 vcc_lo, s[8:9], v[59:60]
	s_mov_b32 s0, 0
	s_delay_alu instid0(SALU_CYCLE_1)
	v_mov_b32_e32 v12, s0
	v_cndmask_b32_e64 v11, 0, 1, vcc_lo
.LBB1659_966:
	s_or_b32 exec_lo, exec_lo, s18
.LBB1659_967:
	s_delay_alu instid0(SALU_CYCLE_1) | instskip(SKIP_2) | instid1(VALU_DEP_1)
	s_or_b32 exec_lo, exec_lo, s3
	v_add_nc_u32_e32 v57, 24, v64
	s_mov_b32 s3, exec_lo
	v_cmpx_gt_u32_e64 s6, v57
	s_cbranch_execz .LBB1659_978
; %bb.968:
	v_cmp_ne_u32_e32 vcc_lo, 1, v63
	s_cbranch_vccnz .LBB1659_975
; %bb.969:
	v_mul_lo_u32 v59, v10, s8
	v_mul_lo_u32 v60, v9, s9
	v_mad_u64_u32 v[57:58], null, v9, s8, 0
	v_mul_lo_u32 v61, v56, s8
	v_mul_lo_u32 v62, v55, s9
	v_mad_u64_u32 v[9:10], null, v55, s8, 0
	s_delay_alu instid0(VALU_DEP_4) | instskip(NEXT) | instid1(VALU_DEP_2)
	v_add3_u32 v58, v58, v60, v59
	v_add3_u32 v10, v10, v62, v61
	s_delay_alu instid0(VALU_DEP_2) | instskip(NEXT) | instid1(VALU_DEP_2)
	v_lshlrev_b64 v[57:58], 3, v[57:58]
	v_lshlrev_b64 v[9:10], 3, v[9:10]
	s_delay_alu instid0(VALU_DEP_2) | instskip(NEXT) | instid1(VALU_DEP_3)
	v_add_co_u32 v57, vcc_lo, s10, v57
	v_add_co_ci_u32_e32 v58, vcc_lo, s11, v58, vcc_lo
	s_delay_alu instid0(VALU_DEP_3) | instskip(NEXT) | instid1(VALU_DEP_4)
	v_add_co_u32 v59, vcc_lo, s10, v9
	v_add_co_ci_u32_e32 v60, vcc_lo, s11, v10, vcc_lo
	s_clause 0x1
	global_load_b64 v[9:10], v[57:58], off
	global_load_b64 v[61:62], v[59:60], off
	s_waitcnt vmcnt(0)
	v_cmp_eq_u64_e32 vcc_lo, v[9:10], v[61:62]
	v_mov_b32_e32 v9, 1
	v_mov_b32_e32 v10, 0
	s_and_saveexec_b32 s18, vcc_lo
	s_cbranch_execz .LBB1659_977
; %bb.970:
	v_add_co_u32 v9, vcc_lo, v59, 8
	v_add_co_ci_u32_e32 v10, vcc_lo, 0, v60, vcc_lo
	v_add_co_u32 v57, vcc_lo, v57, 8
	v_add_co_ci_u32_e32 v58, vcc_lo, 0, v58, vcc_lo
	s_add_u32 s12, s8, -1
	s_addc_u32 s13, s9, -1
	s_mov_b64 s[14:15], 0
	s_mov_b32 s19, 0
                                        ; implicit-def: $sgpr20
	s_set_inst_prefetch_distance 0x1
	s_branch .LBB1659_973
	.p2align	6
.LBB1659_971:                           ;   in Loop: Header=BB1659_973 Depth=1
	global_load_b64 v[59:60], v[57:58], off
	global_load_b64 v[61:62], v[9:10], off
	v_add_co_u32 v9, vcc_lo, v9, 8
	v_add_co_ci_u32_e32 v10, vcc_lo, 0, v10, vcc_lo
	v_add_co_u32 v57, s0, v57, 8
	s_delay_alu instid0(VALU_DEP_1)
	v_add_co_ci_u32_e64 v58, s0, 0, v58, s0
	s_add_u32 s14, s14, 1
	s_addc_u32 s15, s15, 0
	s_and_not1_b32 s0, s20, exec_lo
	s_waitcnt vmcnt(0)
	v_cmp_ne_u64_e32 vcc_lo, v[59:60], v[61:62]
	s_and_b32 s20, vcc_lo, exec_lo
	s_delay_alu instid0(SALU_CYCLE_1)
	s_or_b32 s20, s0, s20
.LBB1659_972:                           ;   in Loop: Header=BB1659_973 Depth=1
	v_dual_mov_b32 v60, s15 :: v_dual_mov_b32 v59, s14
	s_and_b32 s0, exec_lo, s20
	s_delay_alu instid0(SALU_CYCLE_1) | instskip(NEXT) | instid1(SALU_CYCLE_1)
	s_or_b32 s19, s0, s19
	s_and_not1_b32 exec_lo, exec_lo, s19
	s_cbranch_execz .LBB1659_976
.LBB1659_973:                           ; =>This Inner Loop Header: Depth=1
	s_or_b32 s20, s20, exec_lo
	s_cmp_eq_u64 s[12:13], s[14:15]
	s_cbranch_scc0 .LBB1659_971
; %bb.974:                              ;   in Loop: Header=BB1659_973 Depth=1
	s_mov_b64 s[14:15], s[8:9]
                                        ; implicit-def: $vgpr9_vgpr10
                                        ; implicit-def: $vgpr57_vgpr58
	s_branch .LBB1659_972
.LBB1659_975:
	v_mov_b32_e32 v9, 0
	v_mov_b32_e32 v10, 0
	s_branch .LBB1659_978
.LBB1659_976:
	s_set_inst_prefetch_distance 0x2
	s_or_b32 exec_lo, exec_lo, s19
	v_cmp_gt_i64_e32 vcc_lo, s[8:9], v[59:60]
	s_mov_b32 s0, 0
	s_delay_alu instid0(SALU_CYCLE_1)
	v_mov_b32_e32 v10, s0
	v_cndmask_b32_e64 v9, 0, 1, vcc_lo
.LBB1659_977:
	s_or_b32 exec_lo, exec_lo, s18
.LBB1659_978:
	s_delay_alu instid0(SALU_CYCLE_1) | instskip(SKIP_2) | instid1(VALU_DEP_1)
	s_or_b32 exec_lo, exec_lo, s3
	v_add_nc_u32_e32 v57, 23, v64
	s_mov_b32 s3, exec_lo
	v_cmpx_gt_u32_e64 s6, v57
	s_cbranch_execz .LBB1659_989
; %bb.979:
	v_cmp_ne_u32_e32 vcc_lo, 1, v63
	s_cbranch_vccnz .LBB1659_986
; %bb.980:
	v_mul_lo_u32 v60, v56, s8
	v_mul_lo_u32 v61, v55, s9
	v_mad_u64_u32 v[56:57], null, v55, s8, 0
	v_mul_lo_u32 v55, v54, s8
	v_mul_lo_u32 v62, v53, s9
	v_mad_u64_u32 v[58:59], null, v53, s8, 0
	s_delay_alu instid0(VALU_DEP_4) | instskip(NEXT) | instid1(VALU_DEP_2)
	v_add3_u32 v57, v57, v61, v60
	v_add3_u32 v59, v59, v62, v55
	s_delay_alu instid0(VALU_DEP_2) | instskip(NEXT) | instid1(VALU_DEP_2)
	v_lshlrev_b64 v[55:56], 3, v[56:57]
	v_lshlrev_b64 v[59:60], 3, v[58:59]
	s_delay_alu instid0(VALU_DEP_2) | instskip(NEXT) | instid1(VALU_DEP_3)
	v_add_co_u32 v57, vcc_lo, s10, v55
	v_add_co_ci_u32_e32 v58, vcc_lo, s11, v56, vcc_lo
	s_delay_alu instid0(VALU_DEP_3) | instskip(NEXT) | instid1(VALU_DEP_4)
	v_add_co_u32 v59, vcc_lo, s10, v59
	v_add_co_ci_u32_e32 v60, vcc_lo, s11, v60, vcc_lo
	s_clause 0x1
	global_load_b64 v[55:56], v[57:58], off
	global_load_b64 v[61:62], v[59:60], off
	s_waitcnt vmcnt(0)
	v_cmp_eq_u64_e32 vcc_lo, v[55:56], v[61:62]
	v_mov_b32_e32 v55, 1
	v_mov_b32_e32 v56, 0
	s_and_saveexec_b32 s18, vcc_lo
	s_cbranch_execz .LBB1659_988
; %bb.981:
	v_add_co_u32 v55, vcc_lo, v59, 8
	v_add_co_ci_u32_e32 v56, vcc_lo, 0, v60, vcc_lo
	v_add_co_u32 v57, vcc_lo, v57, 8
	v_add_co_ci_u32_e32 v58, vcc_lo, 0, v58, vcc_lo
	s_add_u32 s12, s8, -1
	s_addc_u32 s13, s9, -1
	s_mov_b64 s[14:15], 0
	s_mov_b32 s19, 0
                                        ; implicit-def: $sgpr20
	s_set_inst_prefetch_distance 0x1
	s_branch .LBB1659_984
	.p2align	6
.LBB1659_982:                           ;   in Loop: Header=BB1659_984 Depth=1
	global_load_b64 v[59:60], v[57:58], off
	global_load_b64 v[61:62], v[55:56], off
	v_add_co_u32 v55, vcc_lo, v55, 8
	v_add_co_ci_u32_e32 v56, vcc_lo, 0, v56, vcc_lo
	v_add_co_u32 v57, s0, v57, 8
	s_delay_alu instid0(VALU_DEP_1)
	v_add_co_ci_u32_e64 v58, s0, 0, v58, s0
	s_add_u32 s14, s14, 1
	s_addc_u32 s15, s15, 0
	s_and_not1_b32 s0, s20, exec_lo
	s_waitcnt vmcnt(0)
	v_cmp_ne_u64_e32 vcc_lo, v[59:60], v[61:62]
	s_and_b32 s20, vcc_lo, exec_lo
	s_delay_alu instid0(SALU_CYCLE_1)
	s_or_b32 s20, s0, s20
.LBB1659_983:                           ;   in Loop: Header=BB1659_984 Depth=1
	v_dual_mov_b32 v60, s15 :: v_dual_mov_b32 v59, s14
	s_and_b32 s0, exec_lo, s20
	s_delay_alu instid0(SALU_CYCLE_1) | instskip(NEXT) | instid1(SALU_CYCLE_1)
	s_or_b32 s19, s0, s19
	s_and_not1_b32 exec_lo, exec_lo, s19
	s_cbranch_execz .LBB1659_987
.LBB1659_984:                           ; =>This Inner Loop Header: Depth=1
	s_or_b32 s20, s20, exec_lo
	s_cmp_eq_u64 s[12:13], s[14:15]
	s_cbranch_scc0 .LBB1659_982
; %bb.985:                              ;   in Loop: Header=BB1659_984 Depth=1
	s_mov_b64 s[14:15], s[8:9]
                                        ; implicit-def: $vgpr55_vgpr56
                                        ; implicit-def: $vgpr57_vgpr58
	s_branch .LBB1659_983
.LBB1659_986:
	v_mov_b32_e32 v55, 0
	v_mov_b32_e32 v56, 0
	s_branch .LBB1659_989
.LBB1659_987:
	s_set_inst_prefetch_distance 0x2
	s_or_b32 exec_lo, exec_lo, s19
	v_cmp_gt_i64_e32 vcc_lo, s[8:9], v[59:60]
	s_mov_b32 s0, 0
	s_delay_alu instid0(SALU_CYCLE_1)
	v_mov_b32_e32 v56, s0
	v_cndmask_b32_e64 v55, 0, 1, vcc_lo
.LBB1659_988:
	s_or_b32 exec_lo, exec_lo, s18
.LBB1659_989:
	s_delay_alu instid0(SALU_CYCLE_1) | instskip(SKIP_2) | instid1(VALU_DEP_1)
	s_or_b32 exec_lo, exec_lo, s3
	v_add_nc_u32_e32 v57, 22, v64
	s_mov_b32 s3, exec_lo
	v_cmpx_gt_u32_e64 s6, v57
	s_cbranch_execz .LBB1659_1000
; %bb.990:
	v_cmp_ne_u32_e32 vcc_lo, 1, v63
	s_cbranch_vccnz .LBB1659_997
; %bb.991:
	v_mul_lo_u32 v59, v54, s8
	v_mul_lo_u32 v60, v53, s9
	v_mad_u64_u32 v[57:58], null, v53, s8, 0
	v_mul_lo_u32 v61, v52, s8
	v_mul_lo_u32 v62, v51, s9
	v_mad_u64_u32 v[53:54], null, v51, s8, 0
	s_delay_alu instid0(VALU_DEP_4) | instskip(NEXT) | instid1(VALU_DEP_2)
	v_add3_u32 v58, v58, v60, v59
	v_add3_u32 v54, v54, v62, v61
	s_delay_alu instid0(VALU_DEP_2) | instskip(NEXT) | instid1(VALU_DEP_2)
	v_lshlrev_b64 v[57:58], 3, v[57:58]
	v_lshlrev_b64 v[53:54], 3, v[53:54]
	s_delay_alu instid0(VALU_DEP_2) | instskip(NEXT) | instid1(VALU_DEP_3)
	v_add_co_u32 v57, vcc_lo, s10, v57
	v_add_co_ci_u32_e32 v58, vcc_lo, s11, v58, vcc_lo
	s_delay_alu instid0(VALU_DEP_3) | instskip(NEXT) | instid1(VALU_DEP_4)
	v_add_co_u32 v59, vcc_lo, s10, v53
	v_add_co_ci_u32_e32 v60, vcc_lo, s11, v54, vcc_lo
	s_clause 0x1
	global_load_b64 v[53:54], v[57:58], off
	global_load_b64 v[61:62], v[59:60], off
	s_waitcnt vmcnt(0)
	v_cmp_eq_u64_e32 vcc_lo, v[53:54], v[61:62]
	v_mov_b32_e32 v53, 1
	v_mov_b32_e32 v54, 0
	s_and_saveexec_b32 s18, vcc_lo
	s_cbranch_execz .LBB1659_999
; %bb.992:
	v_add_co_u32 v53, vcc_lo, v59, 8
	v_add_co_ci_u32_e32 v54, vcc_lo, 0, v60, vcc_lo
	v_add_co_u32 v57, vcc_lo, v57, 8
	v_add_co_ci_u32_e32 v58, vcc_lo, 0, v58, vcc_lo
	s_add_u32 s12, s8, -1
	s_addc_u32 s13, s9, -1
	s_mov_b64 s[14:15], 0
	s_mov_b32 s19, 0
                                        ; implicit-def: $sgpr20
	s_set_inst_prefetch_distance 0x1
	s_branch .LBB1659_995
	.p2align	6
.LBB1659_993:                           ;   in Loop: Header=BB1659_995 Depth=1
	global_load_b64 v[59:60], v[57:58], off
	global_load_b64 v[61:62], v[53:54], off
	v_add_co_u32 v53, vcc_lo, v53, 8
	v_add_co_ci_u32_e32 v54, vcc_lo, 0, v54, vcc_lo
	v_add_co_u32 v57, s0, v57, 8
	s_delay_alu instid0(VALU_DEP_1)
	v_add_co_ci_u32_e64 v58, s0, 0, v58, s0
	s_add_u32 s14, s14, 1
	s_addc_u32 s15, s15, 0
	s_and_not1_b32 s0, s20, exec_lo
	s_waitcnt vmcnt(0)
	v_cmp_ne_u64_e32 vcc_lo, v[59:60], v[61:62]
	s_and_b32 s20, vcc_lo, exec_lo
	s_delay_alu instid0(SALU_CYCLE_1)
	s_or_b32 s20, s0, s20
.LBB1659_994:                           ;   in Loop: Header=BB1659_995 Depth=1
	v_dual_mov_b32 v60, s15 :: v_dual_mov_b32 v59, s14
	s_and_b32 s0, exec_lo, s20
	s_delay_alu instid0(SALU_CYCLE_1) | instskip(NEXT) | instid1(SALU_CYCLE_1)
	s_or_b32 s19, s0, s19
	s_and_not1_b32 exec_lo, exec_lo, s19
	s_cbranch_execz .LBB1659_998
.LBB1659_995:                           ; =>This Inner Loop Header: Depth=1
	s_or_b32 s20, s20, exec_lo
	s_cmp_eq_u64 s[12:13], s[14:15]
	s_cbranch_scc0 .LBB1659_993
; %bb.996:                              ;   in Loop: Header=BB1659_995 Depth=1
	s_mov_b64 s[14:15], s[8:9]
                                        ; implicit-def: $vgpr53_vgpr54
                                        ; implicit-def: $vgpr57_vgpr58
	s_branch .LBB1659_994
.LBB1659_997:
	v_mov_b32_e32 v53, 0
	v_mov_b32_e32 v54, 0
	s_branch .LBB1659_1000
.LBB1659_998:
	s_set_inst_prefetch_distance 0x2
	s_or_b32 exec_lo, exec_lo, s19
	v_cmp_gt_i64_e32 vcc_lo, s[8:9], v[59:60]
	s_mov_b32 s0, 0
	s_delay_alu instid0(SALU_CYCLE_1)
	v_mov_b32_e32 v54, s0
	v_cndmask_b32_e64 v53, 0, 1, vcc_lo
.LBB1659_999:
	s_or_b32 exec_lo, exec_lo, s18
.LBB1659_1000:
	s_delay_alu instid0(SALU_CYCLE_1) | instskip(SKIP_2) | instid1(VALU_DEP_1)
	s_or_b32 exec_lo, exec_lo, s3
	v_add_nc_u32_e32 v57, 21, v64
	s_mov_b32 s3, exec_lo
	v_cmpx_gt_u32_e64 s6, v57
	s_cbranch_execz .LBB1659_1011
; %bb.1001:
	v_cmp_ne_u32_e32 vcc_lo, 1, v63
	s_cbranch_vccnz .LBB1659_1008
; %bb.1002:
	v_mul_lo_u32 v59, v52, s8
	v_mul_lo_u32 v60, v51, s9
	v_mad_u64_u32 v[57:58], null, v51, s8, 0
	v_mul_lo_u32 v61, v50, s8
	v_mul_lo_u32 v62, v49, s9
	v_mad_u64_u32 v[51:52], null, v49, s8, 0
	s_delay_alu instid0(VALU_DEP_4) | instskip(NEXT) | instid1(VALU_DEP_2)
	v_add3_u32 v58, v58, v60, v59
	v_add3_u32 v52, v52, v62, v61
	s_delay_alu instid0(VALU_DEP_2) | instskip(NEXT) | instid1(VALU_DEP_2)
	v_lshlrev_b64 v[57:58], 3, v[57:58]
	v_lshlrev_b64 v[51:52], 3, v[51:52]
	s_delay_alu instid0(VALU_DEP_2) | instskip(NEXT) | instid1(VALU_DEP_3)
	v_add_co_u32 v57, vcc_lo, s10, v57
	v_add_co_ci_u32_e32 v58, vcc_lo, s11, v58, vcc_lo
	s_delay_alu instid0(VALU_DEP_3) | instskip(NEXT) | instid1(VALU_DEP_4)
	v_add_co_u32 v59, vcc_lo, s10, v51
	v_add_co_ci_u32_e32 v60, vcc_lo, s11, v52, vcc_lo
	s_clause 0x1
	global_load_b64 v[51:52], v[57:58], off
	global_load_b64 v[61:62], v[59:60], off
	s_waitcnt vmcnt(0)
	v_cmp_eq_u64_e32 vcc_lo, v[51:52], v[61:62]
	v_mov_b32_e32 v51, 1
	v_mov_b32_e32 v52, 0
	s_and_saveexec_b32 s18, vcc_lo
	s_cbranch_execz .LBB1659_1010
; %bb.1003:
	v_add_co_u32 v51, vcc_lo, v59, 8
	v_add_co_ci_u32_e32 v52, vcc_lo, 0, v60, vcc_lo
	v_add_co_u32 v57, vcc_lo, v57, 8
	v_add_co_ci_u32_e32 v58, vcc_lo, 0, v58, vcc_lo
	s_add_u32 s12, s8, -1
	s_addc_u32 s13, s9, -1
	s_mov_b64 s[14:15], 0
	s_mov_b32 s19, 0
                                        ; implicit-def: $sgpr20
	s_set_inst_prefetch_distance 0x1
	s_branch .LBB1659_1006
	.p2align	6
.LBB1659_1004:                          ;   in Loop: Header=BB1659_1006 Depth=1
	global_load_b64 v[59:60], v[57:58], off
	global_load_b64 v[61:62], v[51:52], off
	v_add_co_u32 v51, vcc_lo, v51, 8
	v_add_co_ci_u32_e32 v52, vcc_lo, 0, v52, vcc_lo
	v_add_co_u32 v57, s0, v57, 8
	s_delay_alu instid0(VALU_DEP_1)
	v_add_co_ci_u32_e64 v58, s0, 0, v58, s0
	s_add_u32 s14, s14, 1
	s_addc_u32 s15, s15, 0
	s_and_not1_b32 s0, s20, exec_lo
	s_waitcnt vmcnt(0)
	v_cmp_ne_u64_e32 vcc_lo, v[59:60], v[61:62]
	s_and_b32 s20, vcc_lo, exec_lo
	s_delay_alu instid0(SALU_CYCLE_1)
	s_or_b32 s20, s0, s20
.LBB1659_1005:                          ;   in Loop: Header=BB1659_1006 Depth=1
	v_dual_mov_b32 v60, s15 :: v_dual_mov_b32 v59, s14
	s_and_b32 s0, exec_lo, s20
	s_delay_alu instid0(SALU_CYCLE_1) | instskip(NEXT) | instid1(SALU_CYCLE_1)
	s_or_b32 s19, s0, s19
	s_and_not1_b32 exec_lo, exec_lo, s19
	s_cbranch_execz .LBB1659_1009
.LBB1659_1006:                          ; =>This Inner Loop Header: Depth=1
	s_or_b32 s20, s20, exec_lo
	s_cmp_eq_u64 s[12:13], s[14:15]
	s_cbranch_scc0 .LBB1659_1004
; %bb.1007:                             ;   in Loop: Header=BB1659_1006 Depth=1
	s_mov_b64 s[14:15], s[8:9]
                                        ; implicit-def: $vgpr51_vgpr52
                                        ; implicit-def: $vgpr57_vgpr58
	s_branch .LBB1659_1005
.LBB1659_1008:
	v_mov_b32_e32 v51, 0
	v_mov_b32_e32 v52, 0
	s_branch .LBB1659_1011
.LBB1659_1009:
	s_set_inst_prefetch_distance 0x2
	s_or_b32 exec_lo, exec_lo, s19
	v_cmp_gt_i64_e32 vcc_lo, s[8:9], v[59:60]
	s_mov_b32 s0, 0
	s_delay_alu instid0(SALU_CYCLE_1)
	v_mov_b32_e32 v52, s0
	v_cndmask_b32_e64 v51, 0, 1, vcc_lo
.LBB1659_1010:
	s_or_b32 exec_lo, exec_lo, s18
.LBB1659_1011:
	s_delay_alu instid0(SALU_CYCLE_1) | instskip(SKIP_2) | instid1(VALU_DEP_1)
	s_or_b32 exec_lo, exec_lo, s3
	v_add_nc_u32_e32 v57, 20, v64
	s_mov_b32 s3, exec_lo
	v_cmpx_gt_u32_e64 s6, v57
	s_cbranch_execz .LBB1659_1022
; %bb.1012:
	v_cmp_ne_u32_e32 vcc_lo, 1, v63
	s_cbranch_vccnz .LBB1659_1019
; %bb.1013:
	v_mul_lo_u32 v59, v50, s8
	v_mul_lo_u32 v60, v49, s9
	v_mad_u64_u32 v[57:58], null, v49, s8, 0
	v_mul_lo_u32 v61, v48, s8
	v_mul_lo_u32 v62, v47, s9
	v_mad_u64_u32 v[49:50], null, v47, s8, 0
	s_delay_alu instid0(VALU_DEP_4) | instskip(NEXT) | instid1(VALU_DEP_2)
	v_add3_u32 v58, v58, v60, v59
	v_add3_u32 v50, v50, v62, v61
	s_delay_alu instid0(VALU_DEP_2) | instskip(NEXT) | instid1(VALU_DEP_2)
	v_lshlrev_b64 v[57:58], 3, v[57:58]
	v_lshlrev_b64 v[49:50], 3, v[49:50]
	s_delay_alu instid0(VALU_DEP_2) | instskip(NEXT) | instid1(VALU_DEP_3)
	v_add_co_u32 v57, vcc_lo, s10, v57
	v_add_co_ci_u32_e32 v58, vcc_lo, s11, v58, vcc_lo
	s_delay_alu instid0(VALU_DEP_3) | instskip(NEXT) | instid1(VALU_DEP_4)
	v_add_co_u32 v59, vcc_lo, s10, v49
	v_add_co_ci_u32_e32 v60, vcc_lo, s11, v50, vcc_lo
	s_clause 0x1
	global_load_b64 v[49:50], v[57:58], off
	global_load_b64 v[61:62], v[59:60], off
	s_waitcnt vmcnt(0)
	v_cmp_eq_u64_e32 vcc_lo, v[49:50], v[61:62]
	v_mov_b32_e32 v49, 1
	v_mov_b32_e32 v50, 0
	s_and_saveexec_b32 s18, vcc_lo
	s_cbranch_execz .LBB1659_1021
; %bb.1014:
	v_add_co_u32 v49, vcc_lo, v59, 8
	v_add_co_ci_u32_e32 v50, vcc_lo, 0, v60, vcc_lo
	v_add_co_u32 v57, vcc_lo, v57, 8
	v_add_co_ci_u32_e32 v58, vcc_lo, 0, v58, vcc_lo
	s_add_u32 s12, s8, -1
	s_addc_u32 s13, s9, -1
	s_mov_b64 s[14:15], 0
	s_mov_b32 s19, 0
                                        ; implicit-def: $sgpr20
	s_set_inst_prefetch_distance 0x1
	s_branch .LBB1659_1017
	.p2align	6
.LBB1659_1015:                          ;   in Loop: Header=BB1659_1017 Depth=1
	global_load_b64 v[59:60], v[57:58], off
	global_load_b64 v[61:62], v[49:50], off
	v_add_co_u32 v49, vcc_lo, v49, 8
	v_add_co_ci_u32_e32 v50, vcc_lo, 0, v50, vcc_lo
	v_add_co_u32 v57, s0, v57, 8
	s_delay_alu instid0(VALU_DEP_1)
	v_add_co_ci_u32_e64 v58, s0, 0, v58, s0
	s_add_u32 s14, s14, 1
	s_addc_u32 s15, s15, 0
	s_and_not1_b32 s0, s20, exec_lo
	s_waitcnt vmcnt(0)
	v_cmp_ne_u64_e32 vcc_lo, v[59:60], v[61:62]
	s_and_b32 s20, vcc_lo, exec_lo
	s_delay_alu instid0(SALU_CYCLE_1)
	s_or_b32 s20, s0, s20
.LBB1659_1016:                          ;   in Loop: Header=BB1659_1017 Depth=1
	v_dual_mov_b32 v60, s15 :: v_dual_mov_b32 v59, s14
	s_and_b32 s0, exec_lo, s20
	s_delay_alu instid0(SALU_CYCLE_1) | instskip(NEXT) | instid1(SALU_CYCLE_1)
	s_or_b32 s19, s0, s19
	s_and_not1_b32 exec_lo, exec_lo, s19
	s_cbranch_execz .LBB1659_1020
.LBB1659_1017:                          ; =>This Inner Loop Header: Depth=1
	s_or_b32 s20, s20, exec_lo
	s_cmp_eq_u64 s[12:13], s[14:15]
	s_cbranch_scc0 .LBB1659_1015
; %bb.1018:                             ;   in Loop: Header=BB1659_1017 Depth=1
	s_mov_b64 s[14:15], s[8:9]
                                        ; implicit-def: $vgpr49_vgpr50
                                        ; implicit-def: $vgpr57_vgpr58
	s_branch .LBB1659_1016
.LBB1659_1019:
	v_mov_b32_e32 v49, 0
	v_mov_b32_e32 v50, 0
	s_branch .LBB1659_1022
.LBB1659_1020:
	s_set_inst_prefetch_distance 0x2
	s_or_b32 exec_lo, exec_lo, s19
	v_cmp_gt_i64_e32 vcc_lo, s[8:9], v[59:60]
	s_mov_b32 s0, 0
	s_delay_alu instid0(SALU_CYCLE_1)
	v_mov_b32_e32 v50, s0
	v_cndmask_b32_e64 v49, 0, 1, vcc_lo
.LBB1659_1021:
	s_or_b32 exec_lo, exec_lo, s18
.LBB1659_1022:
	s_delay_alu instid0(SALU_CYCLE_1) | instskip(SKIP_2) | instid1(VALU_DEP_1)
	s_or_b32 exec_lo, exec_lo, s3
	v_add_nc_u32_e32 v57, 19, v64
	s_mov_b32 s3, exec_lo
	v_cmpx_gt_u32_e64 s6, v57
	s_cbranch_execz .LBB1659_1033
; %bb.1023:
	v_cmp_ne_u32_e32 vcc_lo, 1, v63
	s_cbranch_vccnz .LBB1659_1030
; %bb.1024:
	v_mul_lo_u32 v59, v48, s8
	v_mul_lo_u32 v60, v47, s9
	v_mad_u64_u32 v[57:58], null, v47, s8, 0
	v_mul_lo_u32 v61, v46, s8
	v_mul_lo_u32 v62, v45, s9
	v_mad_u64_u32 v[47:48], null, v45, s8, 0
	s_delay_alu instid0(VALU_DEP_4) | instskip(NEXT) | instid1(VALU_DEP_2)
	v_add3_u32 v58, v58, v60, v59
	v_add3_u32 v48, v48, v62, v61
	s_delay_alu instid0(VALU_DEP_2) | instskip(NEXT) | instid1(VALU_DEP_2)
	v_lshlrev_b64 v[57:58], 3, v[57:58]
	v_lshlrev_b64 v[47:48], 3, v[47:48]
	s_delay_alu instid0(VALU_DEP_2) | instskip(NEXT) | instid1(VALU_DEP_3)
	v_add_co_u32 v57, vcc_lo, s10, v57
	v_add_co_ci_u32_e32 v58, vcc_lo, s11, v58, vcc_lo
	s_delay_alu instid0(VALU_DEP_3) | instskip(NEXT) | instid1(VALU_DEP_4)
	v_add_co_u32 v59, vcc_lo, s10, v47
	v_add_co_ci_u32_e32 v60, vcc_lo, s11, v48, vcc_lo
	s_clause 0x1
	global_load_b64 v[47:48], v[57:58], off
	global_load_b64 v[61:62], v[59:60], off
	s_waitcnt vmcnt(0)
	v_cmp_eq_u64_e32 vcc_lo, v[47:48], v[61:62]
	v_mov_b32_e32 v47, 1
	v_mov_b32_e32 v48, 0
	s_and_saveexec_b32 s18, vcc_lo
	s_cbranch_execz .LBB1659_1032
; %bb.1025:
	v_add_co_u32 v47, vcc_lo, v59, 8
	v_add_co_ci_u32_e32 v48, vcc_lo, 0, v60, vcc_lo
	v_add_co_u32 v57, vcc_lo, v57, 8
	v_add_co_ci_u32_e32 v58, vcc_lo, 0, v58, vcc_lo
	s_add_u32 s12, s8, -1
	s_addc_u32 s13, s9, -1
	s_mov_b64 s[14:15], 0
	s_mov_b32 s19, 0
                                        ; implicit-def: $sgpr20
	s_set_inst_prefetch_distance 0x1
	s_branch .LBB1659_1028
	.p2align	6
.LBB1659_1026:                          ;   in Loop: Header=BB1659_1028 Depth=1
	global_load_b64 v[59:60], v[57:58], off
	global_load_b64 v[61:62], v[47:48], off
	v_add_co_u32 v47, vcc_lo, v47, 8
	v_add_co_ci_u32_e32 v48, vcc_lo, 0, v48, vcc_lo
	v_add_co_u32 v57, s0, v57, 8
	s_delay_alu instid0(VALU_DEP_1)
	v_add_co_ci_u32_e64 v58, s0, 0, v58, s0
	s_add_u32 s14, s14, 1
	s_addc_u32 s15, s15, 0
	s_and_not1_b32 s0, s20, exec_lo
	s_waitcnt vmcnt(0)
	v_cmp_ne_u64_e32 vcc_lo, v[59:60], v[61:62]
	s_and_b32 s20, vcc_lo, exec_lo
	s_delay_alu instid0(SALU_CYCLE_1)
	s_or_b32 s20, s0, s20
.LBB1659_1027:                          ;   in Loop: Header=BB1659_1028 Depth=1
	v_dual_mov_b32 v60, s15 :: v_dual_mov_b32 v59, s14
	s_and_b32 s0, exec_lo, s20
	s_delay_alu instid0(SALU_CYCLE_1) | instskip(NEXT) | instid1(SALU_CYCLE_1)
	s_or_b32 s19, s0, s19
	s_and_not1_b32 exec_lo, exec_lo, s19
	s_cbranch_execz .LBB1659_1031
.LBB1659_1028:                          ; =>This Inner Loop Header: Depth=1
	s_or_b32 s20, s20, exec_lo
	s_cmp_eq_u64 s[12:13], s[14:15]
	s_cbranch_scc0 .LBB1659_1026
; %bb.1029:                             ;   in Loop: Header=BB1659_1028 Depth=1
	s_mov_b64 s[14:15], s[8:9]
                                        ; implicit-def: $vgpr47_vgpr48
                                        ; implicit-def: $vgpr57_vgpr58
	s_branch .LBB1659_1027
.LBB1659_1030:
	v_mov_b32_e32 v47, 0
	v_mov_b32_e32 v48, 0
	s_branch .LBB1659_1033
.LBB1659_1031:
	s_set_inst_prefetch_distance 0x2
	s_or_b32 exec_lo, exec_lo, s19
	v_cmp_gt_i64_e32 vcc_lo, s[8:9], v[59:60]
	s_mov_b32 s0, 0
	s_delay_alu instid0(SALU_CYCLE_1)
	v_mov_b32_e32 v48, s0
	v_cndmask_b32_e64 v47, 0, 1, vcc_lo
.LBB1659_1032:
	s_or_b32 exec_lo, exec_lo, s18
.LBB1659_1033:
	s_delay_alu instid0(SALU_CYCLE_1) | instskip(SKIP_2) | instid1(VALU_DEP_1)
	s_or_b32 exec_lo, exec_lo, s3
	v_add_nc_u32_e32 v57, 18, v64
	s_mov_b32 s3, exec_lo
	v_cmpx_gt_u32_e64 s6, v57
	s_cbranch_execz .LBB1659_1044
; %bb.1034:
	v_cmp_ne_u32_e32 vcc_lo, 1, v63
	s_cbranch_vccnz .LBB1659_1041
; %bb.1035:
	v_mul_lo_u32 v59, v46, s8
	v_mul_lo_u32 v60, v45, s9
	v_mad_u64_u32 v[57:58], null, v45, s8, 0
	v_mul_lo_u32 v61, v44, s8
	v_mul_lo_u32 v62, v43, s9
	v_mad_u64_u32 v[45:46], null, v43, s8, 0
	s_delay_alu instid0(VALU_DEP_4) | instskip(NEXT) | instid1(VALU_DEP_2)
	v_add3_u32 v58, v58, v60, v59
	v_add3_u32 v46, v46, v62, v61
	s_delay_alu instid0(VALU_DEP_2) | instskip(NEXT) | instid1(VALU_DEP_2)
	v_lshlrev_b64 v[57:58], 3, v[57:58]
	v_lshlrev_b64 v[45:46], 3, v[45:46]
	s_delay_alu instid0(VALU_DEP_2) | instskip(NEXT) | instid1(VALU_DEP_3)
	v_add_co_u32 v57, vcc_lo, s10, v57
	v_add_co_ci_u32_e32 v58, vcc_lo, s11, v58, vcc_lo
	s_delay_alu instid0(VALU_DEP_3) | instskip(NEXT) | instid1(VALU_DEP_4)
	v_add_co_u32 v59, vcc_lo, s10, v45
	v_add_co_ci_u32_e32 v60, vcc_lo, s11, v46, vcc_lo
	s_clause 0x1
	global_load_b64 v[45:46], v[57:58], off
	global_load_b64 v[61:62], v[59:60], off
	s_waitcnt vmcnt(0)
	v_cmp_eq_u64_e32 vcc_lo, v[45:46], v[61:62]
	v_mov_b32_e32 v45, 1
	v_mov_b32_e32 v46, 0
	s_and_saveexec_b32 s18, vcc_lo
	s_cbranch_execz .LBB1659_1043
; %bb.1036:
	v_add_co_u32 v45, vcc_lo, v59, 8
	v_add_co_ci_u32_e32 v46, vcc_lo, 0, v60, vcc_lo
	v_add_co_u32 v57, vcc_lo, v57, 8
	v_add_co_ci_u32_e32 v58, vcc_lo, 0, v58, vcc_lo
	s_add_u32 s12, s8, -1
	s_addc_u32 s13, s9, -1
	s_mov_b64 s[14:15], 0
	s_mov_b32 s19, 0
                                        ; implicit-def: $sgpr20
	s_set_inst_prefetch_distance 0x1
	s_branch .LBB1659_1039
	.p2align	6
.LBB1659_1037:                          ;   in Loop: Header=BB1659_1039 Depth=1
	global_load_b64 v[59:60], v[57:58], off
	global_load_b64 v[61:62], v[45:46], off
	v_add_co_u32 v45, vcc_lo, v45, 8
	v_add_co_ci_u32_e32 v46, vcc_lo, 0, v46, vcc_lo
	v_add_co_u32 v57, s0, v57, 8
	s_delay_alu instid0(VALU_DEP_1)
	v_add_co_ci_u32_e64 v58, s0, 0, v58, s0
	s_add_u32 s14, s14, 1
	s_addc_u32 s15, s15, 0
	s_and_not1_b32 s0, s20, exec_lo
	s_waitcnt vmcnt(0)
	v_cmp_ne_u64_e32 vcc_lo, v[59:60], v[61:62]
	s_and_b32 s20, vcc_lo, exec_lo
	s_delay_alu instid0(SALU_CYCLE_1)
	s_or_b32 s20, s0, s20
.LBB1659_1038:                          ;   in Loop: Header=BB1659_1039 Depth=1
	v_dual_mov_b32 v60, s15 :: v_dual_mov_b32 v59, s14
	s_and_b32 s0, exec_lo, s20
	s_delay_alu instid0(SALU_CYCLE_1) | instskip(NEXT) | instid1(SALU_CYCLE_1)
	s_or_b32 s19, s0, s19
	s_and_not1_b32 exec_lo, exec_lo, s19
	s_cbranch_execz .LBB1659_1042
.LBB1659_1039:                          ; =>This Inner Loop Header: Depth=1
	s_or_b32 s20, s20, exec_lo
	s_cmp_eq_u64 s[12:13], s[14:15]
	s_cbranch_scc0 .LBB1659_1037
; %bb.1040:                             ;   in Loop: Header=BB1659_1039 Depth=1
	s_mov_b64 s[14:15], s[8:9]
                                        ; implicit-def: $vgpr45_vgpr46
                                        ; implicit-def: $vgpr57_vgpr58
	s_branch .LBB1659_1038
.LBB1659_1041:
	v_mov_b32_e32 v45, 0
	v_mov_b32_e32 v46, 0
	s_branch .LBB1659_1044
.LBB1659_1042:
	s_set_inst_prefetch_distance 0x2
	s_or_b32 exec_lo, exec_lo, s19
	v_cmp_gt_i64_e32 vcc_lo, s[8:9], v[59:60]
	s_mov_b32 s0, 0
	s_delay_alu instid0(SALU_CYCLE_1)
	v_mov_b32_e32 v46, s0
	v_cndmask_b32_e64 v45, 0, 1, vcc_lo
.LBB1659_1043:
	s_or_b32 exec_lo, exec_lo, s18
.LBB1659_1044:
	s_delay_alu instid0(SALU_CYCLE_1) | instskip(SKIP_2) | instid1(VALU_DEP_1)
	s_or_b32 exec_lo, exec_lo, s3
	v_add_nc_u32_e32 v57, 17, v64
	s_mov_b32 s3, exec_lo
	v_cmpx_gt_u32_e64 s6, v57
	s_cbranch_execz .LBB1659_1055
; %bb.1045:
	v_cmp_ne_u32_e32 vcc_lo, 1, v63
	s_cbranch_vccnz .LBB1659_1052
; %bb.1046:
	v_mul_lo_u32 v59, v44, s8
	v_mul_lo_u32 v60, v43, s9
	v_mad_u64_u32 v[57:58], null, v43, s8, 0
	v_mul_lo_u32 v61, v42, s8
	v_mul_lo_u32 v62, v41, s9
	v_mad_u64_u32 v[43:44], null, v41, s8, 0
	s_delay_alu instid0(VALU_DEP_4) | instskip(NEXT) | instid1(VALU_DEP_2)
	v_add3_u32 v58, v58, v60, v59
	v_add3_u32 v44, v44, v62, v61
	s_delay_alu instid0(VALU_DEP_2) | instskip(NEXT) | instid1(VALU_DEP_2)
	v_lshlrev_b64 v[57:58], 3, v[57:58]
	v_lshlrev_b64 v[43:44], 3, v[43:44]
	s_delay_alu instid0(VALU_DEP_2) | instskip(NEXT) | instid1(VALU_DEP_3)
	v_add_co_u32 v57, vcc_lo, s10, v57
	v_add_co_ci_u32_e32 v58, vcc_lo, s11, v58, vcc_lo
	s_delay_alu instid0(VALU_DEP_3) | instskip(NEXT) | instid1(VALU_DEP_4)
	v_add_co_u32 v59, vcc_lo, s10, v43
	v_add_co_ci_u32_e32 v60, vcc_lo, s11, v44, vcc_lo
	s_clause 0x1
	global_load_b64 v[43:44], v[57:58], off
	global_load_b64 v[61:62], v[59:60], off
	s_waitcnt vmcnt(0)
	v_cmp_eq_u64_e32 vcc_lo, v[43:44], v[61:62]
	v_mov_b32_e32 v43, 1
	v_mov_b32_e32 v44, 0
	s_and_saveexec_b32 s18, vcc_lo
	s_cbranch_execz .LBB1659_1054
; %bb.1047:
	v_add_co_u32 v43, vcc_lo, v59, 8
	v_add_co_ci_u32_e32 v44, vcc_lo, 0, v60, vcc_lo
	v_add_co_u32 v57, vcc_lo, v57, 8
	v_add_co_ci_u32_e32 v58, vcc_lo, 0, v58, vcc_lo
	s_add_u32 s12, s8, -1
	s_addc_u32 s13, s9, -1
	s_mov_b64 s[14:15], 0
	s_mov_b32 s19, 0
                                        ; implicit-def: $sgpr20
	s_set_inst_prefetch_distance 0x1
	s_branch .LBB1659_1050
	.p2align	6
.LBB1659_1048:                          ;   in Loop: Header=BB1659_1050 Depth=1
	global_load_b64 v[59:60], v[57:58], off
	global_load_b64 v[61:62], v[43:44], off
	v_add_co_u32 v43, vcc_lo, v43, 8
	v_add_co_ci_u32_e32 v44, vcc_lo, 0, v44, vcc_lo
	v_add_co_u32 v57, s0, v57, 8
	s_delay_alu instid0(VALU_DEP_1)
	v_add_co_ci_u32_e64 v58, s0, 0, v58, s0
	s_add_u32 s14, s14, 1
	s_addc_u32 s15, s15, 0
	s_and_not1_b32 s0, s20, exec_lo
	s_waitcnt vmcnt(0)
	v_cmp_ne_u64_e32 vcc_lo, v[59:60], v[61:62]
	s_and_b32 s20, vcc_lo, exec_lo
	s_delay_alu instid0(SALU_CYCLE_1)
	s_or_b32 s20, s0, s20
.LBB1659_1049:                          ;   in Loop: Header=BB1659_1050 Depth=1
	v_dual_mov_b32 v60, s15 :: v_dual_mov_b32 v59, s14
	s_and_b32 s0, exec_lo, s20
	s_delay_alu instid0(SALU_CYCLE_1) | instskip(NEXT) | instid1(SALU_CYCLE_1)
	s_or_b32 s19, s0, s19
	s_and_not1_b32 exec_lo, exec_lo, s19
	s_cbranch_execz .LBB1659_1053
.LBB1659_1050:                          ; =>This Inner Loop Header: Depth=1
	s_or_b32 s20, s20, exec_lo
	s_cmp_eq_u64 s[12:13], s[14:15]
	s_cbranch_scc0 .LBB1659_1048
; %bb.1051:                             ;   in Loop: Header=BB1659_1050 Depth=1
	s_mov_b64 s[14:15], s[8:9]
                                        ; implicit-def: $vgpr43_vgpr44
                                        ; implicit-def: $vgpr57_vgpr58
	s_branch .LBB1659_1049
.LBB1659_1052:
	v_mov_b32_e32 v43, 0
	v_mov_b32_e32 v44, 0
	s_branch .LBB1659_1055
.LBB1659_1053:
	s_set_inst_prefetch_distance 0x2
	s_or_b32 exec_lo, exec_lo, s19
	v_cmp_gt_i64_e32 vcc_lo, s[8:9], v[59:60]
	s_mov_b32 s0, 0
	s_delay_alu instid0(SALU_CYCLE_1)
	v_mov_b32_e32 v44, s0
	v_cndmask_b32_e64 v43, 0, 1, vcc_lo
.LBB1659_1054:
	s_or_b32 exec_lo, exec_lo, s18
.LBB1659_1055:
	s_delay_alu instid0(SALU_CYCLE_1) | instskip(SKIP_2) | instid1(VALU_DEP_1)
	s_or_b32 exec_lo, exec_lo, s3
	v_add_nc_u32_e32 v57, 16, v64
	s_mov_b32 s3, exec_lo
	v_cmpx_gt_u32_e64 s6, v57
	s_cbranch_execz .LBB1659_1066
; %bb.1056:
	v_cmp_ne_u32_e32 vcc_lo, 1, v63
	s_cbranch_vccnz .LBB1659_1063
; %bb.1057:
	v_mul_lo_u32 v59, v42, s8
	v_mul_lo_u32 v60, v41, s9
	v_mad_u64_u32 v[57:58], null, v41, s8, 0
	v_mul_lo_u32 v61, v40, s8
	v_mul_lo_u32 v62, v39, s9
	v_mad_u64_u32 v[41:42], null, v39, s8, 0
	s_delay_alu instid0(VALU_DEP_4) | instskip(NEXT) | instid1(VALU_DEP_2)
	v_add3_u32 v58, v58, v60, v59
	v_add3_u32 v42, v42, v62, v61
	s_delay_alu instid0(VALU_DEP_2) | instskip(NEXT) | instid1(VALU_DEP_2)
	v_lshlrev_b64 v[57:58], 3, v[57:58]
	v_lshlrev_b64 v[41:42], 3, v[41:42]
	s_delay_alu instid0(VALU_DEP_2) | instskip(NEXT) | instid1(VALU_DEP_3)
	v_add_co_u32 v57, vcc_lo, s10, v57
	v_add_co_ci_u32_e32 v58, vcc_lo, s11, v58, vcc_lo
	s_delay_alu instid0(VALU_DEP_3) | instskip(NEXT) | instid1(VALU_DEP_4)
	v_add_co_u32 v59, vcc_lo, s10, v41
	v_add_co_ci_u32_e32 v60, vcc_lo, s11, v42, vcc_lo
	s_clause 0x1
	global_load_b64 v[41:42], v[57:58], off
	global_load_b64 v[61:62], v[59:60], off
	s_waitcnt vmcnt(0)
	v_cmp_eq_u64_e32 vcc_lo, v[41:42], v[61:62]
	v_mov_b32_e32 v41, 1
	v_mov_b32_e32 v42, 0
	s_and_saveexec_b32 s18, vcc_lo
	s_cbranch_execz .LBB1659_1065
; %bb.1058:
	v_add_co_u32 v41, vcc_lo, v59, 8
	v_add_co_ci_u32_e32 v42, vcc_lo, 0, v60, vcc_lo
	v_add_co_u32 v57, vcc_lo, v57, 8
	v_add_co_ci_u32_e32 v58, vcc_lo, 0, v58, vcc_lo
	s_add_u32 s12, s8, -1
	s_addc_u32 s13, s9, -1
	s_mov_b64 s[14:15], 0
	s_mov_b32 s19, 0
                                        ; implicit-def: $sgpr20
	s_set_inst_prefetch_distance 0x1
	s_branch .LBB1659_1061
	.p2align	6
.LBB1659_1059:                          ;   in Loop: Header=BB1659_1061 Depth=1
	global_load_b64 v[59:60], v[57:58], off
	global_load_b64 v[61:62], v[41:42], off
	v_add_co_u32 v41, vcc_lo, v41, 8
	v_add_co_ci_u32_e32 v42, vcc_lo, 0, v42, vcc_lo
	v_add_co_u32 v57, s0, v57, 8
	s_delay_alu instid0(VALU_DEP_1)
	v_add_co_ci_u32_e64 v58, s0, 0, v58, s0
	s_add_u32 s14, s14, 1
	s_addc_u32 s15, s15, 0
	s_and_not1_b32 s0, s20, exec_lo
	s_waitcnt vmcnt(0)
	v_cmp_ne_u64_e32 vcc_lo, v[59:60], v[61:62]
	s_and_b32 s20, vcc_lo, exec_lo
	s_delay_alu instid0(SALU_CYCLE_1)
	s_or_b32 s20, s0, s20
.LBB1659_1060:                          ;   in Loop: Header=BB1659_1061 Depth=1
	v_dual_mov_b32 v60, s15 :: v_dual_mov_b32 v59, s14
	s_and_b32 s0, exec_lo, s20
	s_delay_alu instid0(SALU_CYCLE_1) | instskip(NEXT) | instid1(SALU_CYCLE_1)
	s_or_b32 s19, s0, s19
	s_and_not1_b32 exec_lo, exec_lo, s19
	s_cbranch_execz .LBB1659_1064
.LBB1659_1061:                          ; =>This Inner Loop Header: Depth=1
	s_or_b32 s20, s20, exec_lo
	s_cmp_eq_u64 s[12:13], s[14:15]
	s_cbranch_scc0 .LBB1659_1059
; %bb.1062:                             ;   in Loop: Header=BB1659_1061 Depth=1
	s_mov_b64 s[14:15], s[8:9]
                                        ; implicit-def: $vgpr41_vgpr42
                                        ; implicit-def: $vgpr57_vgpr58
	s_branch .LBB1659_1060
.LBB1659_1063:
	v_mov_b32_e32 v41, 0
	v_mov_b32_e32 v42, 0
	s_branch .LBB1659_1066
.LBB1659_1064:
	s_set_inst_prefetch_distance 0x2
	s_or_b32 exec_lo, exec_lo, s19
	v_cmp_gt_i64_e32 vcc_lo, s[8:9], v[59:60]
	s_mov_b32 s0, 0
	s_delay_alu instid0(SALU_CYCLE_1)
	v_mov_b32_e32 v42, s0
	v_cndmask_b32_e64 v41, 0, 1, vcc_lo
.LBB1659_1065:
	s_or_b32 exec_lo, exec_lo, s18
.LBB1659_1066:
	s_delay_alu instid0(SALU_CYCLE_1) | instskip(SKIP_2) | instid1(VALU_DEP_1)
	s_or_b32 exec_lo, exec_lo, s3
	v_add_nc_u32_e32 v57, 15, v64
	s_mov_b32 s3, exec_lo
	v_cmpx_gt_u32_e64 s6, v57
	s_cbranch_execz .LBB1659_1077
; %bb.1067:
	v_cmp_ne_u32_e32 vcc_lo, 1, v63
	s_cbranch_vccnz .LBB1659_1074
; %bb.1068:
	v_mul_lo_u32 v59, v40, s8
	v_mul_lo_u32 v60, v39, s9
	v_mad_u64_u32 v[57:58], null, v39, s8, 0
	v_mul_lo_u32 v61, v38, s8
	v_mul_lo_u32 v62, v37, s9
	v_mad_u64_u32 v[39:40], null, v37, s8, 0
	s_delay_alu instid0(VALU_DEP_4) | instskip(NEXT) | instid1(VALU_DEP_2)
	v_add3_u32 v58, v58, v60, v59
	v_add3_u32 v40, v40, v62, v61
	s_delay_alu instid0(VALU_DEP_2) | instskip(NEXT) | instid1(VALU_DEP_2)
	v_lshlrev_b64 v[57:58], 3, v[57:58]
	v_lshlrev_b64 v[39:40], 3, v[39:40]
	s_delay_alu instid0(VALU_DEP_2) | instskip(NEXT) | instid1(VALU_DEP_3)
	v_add_co_u32 v57, vcc_lo, s10, v57
	v_add_co_ci_u32_e32 v58, vcc_lo, s11, v58, vcc_lo
	s_delay_alu instid0(VALU_DEP_3) | instskip(NEXT) | instid1(VALU_DEP_4)
	v_add_co_u32 v59, vcc_lo, s10, v39
	v_add_co_ci_u32_e32 v60, vcc_lo, s11, v40, vcc_lo
	s_clause 0x1
	global_load_b64 v[39:40], v[57:58], off
	global_load_b64 v[61:62], v[59:60], off
	s_waitcnt vmcnt(0)
	v_cmp_eq_u64_e32 vcc_lo, v[39:40], v[61:62]
	v_mov_b32_e32 v39, 1
	v_mov_b32_e32 v40, 0
	s_and_saveexec_b32 s18, vcc_lo
	s_cbranch_execz .LBB1659_1076
; %bb.1069:
	v_add_co_u32 v39, vcc_lo, v59, 8
	v_add_co_ci_u32_e32 v40, vcc_lo, 0, v60, vcc_lo
	v_add_co_u32 v57, vcc_lo, v57, 8
	v_add_co_ci_u32_e32 v58, vcc_lo, 0, v58, vcc_lo
	s_add_u32 s12, s8, -1
	s_addc_u32 s13, s9, -1
	s_mov_b64 s[14:15], 0
	s_mov_b32 s19, 0
                                        ; implicit-def: $sgpr20
	s_set_inst_prefetch_distance 0x1
	s_branch .LBB1659_1072
	.p2align	6
.LBB1659_1070:                          ;   in Loop: Header=BB1659_1072 Depth=1
	global_load_b64 v[59:60], v[57:58], off
	global_load_b64 v[61:62], v[39:40], off
	v_add_co_u32 v39, vcc_lo, v39, 8
	v_add_co_ci_u32_e32 v40, vcc_lo, 0, v40, vcc_lo
	v_add_co_u32 v57, s0, v57, 8
	s_delay_alu instid0(VALU_DEP_1)
	v_add_co_ci_u32_e64 v58, s0, 0, v58, s0
	s_add_u32 s14, s14, 1
	s_addc_u32 s15, s15, 0
	s_and_not1_b32 s0, s20, exec_lo
	s_waitcnt vmcnt(0)
	v_cmp_ne_u64_e32 vcc_lo, v[59:60], v[61:62]
	s_and_b32 s20, vcc_lo, exec_lo
	s_delay_alu instid0(SALU_CYCLE_1)
	s_or_b32 s20, s0, s20
.LBB1659_1071:                          ;   in Loop: Header=BB1659_1072 Depth=1
	v_dual_mov_b32 v60, s15 :: v_dual_mov_b32 v59, s14
	s_and_b32 s0, exec_lo, s20
	s_delay_alu instid0(SALU_CYCLE_1) | instskip(NEXT) | instid1(SALU_CYCLE_1)
	s_or_b32 s19, s0, s19
	s_and_not1_b32 exec_lo, exec_lo, s19
	s_cbranch_execz .LBB1659_1075
.LBB1659_1072:                          ; =>This Inner Loop Header: Depth=1
	s_or_b32 s20, s20, exec_lo
	s_cmp_eq_u64 s[12:13], s[14:15]
	s_cbranch_scc0 .LBB1659_1070
; %bb.1073:                             ;   in Loop: Header=BB1659_1072 Depth=1
	s_mov_b64 s[14:15], s[8:9]
                                        ; implicit-def: $vgpr39_vgpr40
                                        ; implicit-def: $vgpr57_vgpr58
	s_branch .LBB1659_1071
.LBB1659_1074:
	v_mov_b32_e32 v39, 0
	v_mov_b32_e32 v40, 0
	s_branch .LBB1659_1077
.LBB1659_1075:
	s_set_inst_prefetch_distance 0x2
	s_or_b32 exec_lo, exec_lo, s19
	v_cmp_gt_i64_e32 vcc_lo, s[8:9], v[59:60]
	s_mov_b32 s0, 0
	s_delay_alu instid0(SALU_CYCLE_1)
	v_mov_b32_e32 v40, s0
	v_cndmask_b32_e64 v39, 0, 1, vcc_lo
.LBB1659_1076:
	s_or_b32 exec_lo, exec_lo, s18
.LBB1659_1077:
	s_delay_alu instid0(SALU_CYCLE_1) | instskip(SKIP_2) | instid1(VALU_DEP_1)
	s_or_b32 exec_lo, exec_lo, s3
	v_add_nc_u32_e32 v57, 14, v64
	s_mov_b32 s3, exec_lo
	v_cmpx_gt_u32_e64 s6, v57
	s_cbranch_execz .LBB1659_1088
; %bb.1078:
	v_cmp_ne_u32_e32 vcc_lo, 1, v63
	s_cbranch_vccnz .LBB1659_1085
; %bb.1079:
	v_mul_lo_u32 v59, v38, s8
	v_mul_lo_u32 v60, v37, s9
	v_mad_u64_u32 v[57:58], null, v37, s8, 0
	v_mul_lo_u32 v61, v36, s8
	v_mul_lo_u32 v62, v35, s9
	v_mad_u64_u32 v[37:38], null, v35, s8, 0
	s_delay_alu instid0(VALU_DEP_4) | instskip(NEXT) | instid1(VALU_DEP_2)
	v_add3_u32 v58, v58, v60, v59
	v_add3_u32 v38, v38, v62, v61
	s_delay_alu instid0(VALU_DEP_2) | instskip(NEXT) | instid1(VALU_DEP_2)
	v_lshlrev_b64 v[57:58], 3, v[57:58]
	v_lshlrev_b64 v[37:38], 3, v[37:38]
	s_delay_alu instid0(VALU_DEP_2) | instskip(NEXT) | instid1(VALU_DEP_3)
	v_add_co_u32 v57, vcc_lo, s10, v57
	v_add_co_ci_u32_e32 v58, vcc_lo, s11, v58, vcc_lo
	s_delay_alu instid0(VALU_DEP_3) | instskip(NEXT) | instid1(VALU_DEP_4)
	v_add_co_u32 v59, vcc_lo, s10, v37
	v_add_co_ci_u32_e32 v60, vcc_lo, s11, v38, vcc_lo
	s_clause 0x1
	global_load_b64 v[37:38], v[57:58], off
	global_load_b64 v[61:62], v[59:60], off
	s_waitcnt vmcnt(0)
	v_cmp_eq_u64_e32 vcc_lo, v[37:38], v[61:62]
	v_mov_b32_e32 v37, 1
	v_mov_b32_e32 v38, 0
	s_and_saveexec_b32 s18, vcc_lo
	s_cbranch_execz .LBB1659_1087
; %bb.1080:
	v_add_co_u32 v37, vcc_lo, v59, 8
	v_add_co_ci_u32_e32 v38, vcc_lo, 0, v60, vcc_lo
	v_add_co_u32 v57, vcc_lo, v57, 8
	v_add_co_ci_u32_e32 v58, vcc_lo, 0, v58, vcc_lo
	s_add_u32 s12, s8, -1
	s_addc_u32 s13, s9, -1
	s_mov_b64 s[14:15], 0
	s_mov_b32 s19, 0
                                        ; implicit-def: $sgpr20
	s_set_inst_prefetch_distance 0x1
	s_branch .LBB1659_1083
	.p2align	6
.LBB1659_1081:                          ;   in Loop: Header=BB1659_1083 Depth=1
	global_load_b64 v[59:60], v[57:58], off
	global_load_b64 v[61:62], v[37:38], off
	v_add_co_u32 v37, vcc_lo, v37, 8
	v_add_co_ci_u32_e32 v38, vcc_lo, 0, v38, vcc_lo
	v_add_co_u32 v57, s0, v57, 8
	s_delay_alu instid0(VALU_DEP_1)
	v_add_co_ci_u32_e64 v58, s0, 0, v58, s0
	s_add_u32 s14, s14, 1
	s_addc_u32 s15, s15, 0
	s_and_not1_b32 s0, s20, exec_lo
	s_waitcnt vmcnt(0)
	v_cmp_ne_u64_e32 vcc_lo, v[59:60], v[61:62]
	s_and_b32 s20, vcc_lo, exec_lo
	s_delay_alu instid0(SALU_CYCLE_1)
	s_or_b32 s20, s0, s20
.LBB1659_1082:                          ;   in Loop: Header=BB1659_1083 Depth=1
	v_dual_mov_b32 v60, s15 :: v_dual_mov_b32 v59, s14
	s_and_b32 s0, exec_lo, s20
	s_delay_alu instid0(SALU_CYCLE_1) | instskip(NEXT) | instid1(SALU_CYCLE_1)
	s_or_b32 s19, s0, s19
	s_and_not1_b32 exec_lo, exec_lo, s19
	s_cbranch_execz .LBB1659_1086
.LBB1659_1083:                          ; =>This Inner Loop Header: Depth=1
	s_or_b32 s20, s20, exec_lo
	s_cmp_eq_u64 s[12:13], s[14:15]
	s_cbranch_scc0 .LBB1659_1081
; %bb.1084:                             ;   in Loop: Header=BB1659_1083 Depth=1
	s_mov_b64 s[14:15], s[8:9]
                                        ; implicit-def: $vgpr37_vgpr38
                                        ; implicit-def: $vgpr57_vgpr58
	s_branch .LBB1659_1082
.LBB1659_1085:
	v_mov_b32_e32 v37, 0
	v_mov_b32_e32 v38, 0
	s_branch .LBB1659_1088
.LBB1659_1086:
	s_set_inst_prefetch_distance 0x2
	s_or_b32 exec_lo, exec_lo, s19
	v_cmp_gt_i64_e32 vcc_lo, s[8:9], v[59:60]
	s_mov_b32 s0, 0
	s_delay_alu instid0(SALU_CYCLE_1)
	v_mov_b32_e32 v38, s0
	v_cndmask_b32_e64 v37, 0, 1, vcc_lo
.LBB1659_1087:
	s_or_b32 exec_lo, exec_lo, s18
.LBB1659_1088:
	s_delay_alu instid0(SALU_CYCLE_1) | instskip(SKIP_2) | instid1(VALU_DEP_1)
	s_or_b32 exec_lo, exec_lo, s3
	v_add_nc_u32_e32 v57, 13, v64
	s_mov_b32 s3, exec_lo
	v_cmpx_gt_u32_e64 s6, v57
	s_cbranch_execz .LBB1659_1099
; %bb.1089:
	v_cmp_ne_u32_e32 vcc_lo, 1, v63
	s_cbranch_vccnz .LBB1659_1096
; %bb.1090:
	v_mul_lo_u32 v59, v36, s8
	v_mul_lo_u32 v60, v35, s9
	v_mad_u64_u32 v[57:58], null, v35, s8, 0
	v_mul_lo_u32 v61, v34, s8
	v_mul_lo_u32 v62, v33, s9
	v_mad_u64_u32 v[35:36], null, v33, s8, 0
	s_delay_alu instid0(VALU_DEP_4) | instskip(NEXT) | instid1(VALU_DEP_2)
	v_add3_u32 v58, v58, v60, v59
	v_add3_u32 v36, v36, v62, v61
	s_delay_alu instid0(VALU_DEP_2) | instskip(NEXT) | instid1(VALU_DEP_2)
	v_lshlrev_b64 v[57:58], 3, v[57:58]
	v_lshlrev_b64 v[35:36], 3, v[35:36]
	s_delay_alu instid0(VALU_DEP_2) | instskip(NEXT) | instid1(VALU_DEP_3)
	v_add_co_u32 v57, vcc_lo, s10, v57
	v_add_co_ci_u32_e32 v58, vcc_lo, s11, v58, vcc_lo
	s_delay_alu instid0(VALU_DEP_3) | instskip(NEXT) | instid1(VALU_DEP_4)
	v_add_co_u32 v59, vcc_lo, s10, v35
	v_add_co_ci_u32_e32 v60, vcc_lo, s11, v36, vcc_lo
	s_clause 0x1
	global_load_b64 v[35:36], v[57:58], off
	global_load_b64 v[61:62], v[59:60], off
	s_waitcnt vmcnt(0)
	v_cmp_eq_u64_e32 vcc_lo, v[35:36], v[61:62]
	v_mov_b32_e32 v35, 1
	v_mov_b32_e32 v36, 0
	s_and_saveexec_b32 s18, vcc_lo
	s_cbranch_execz .LBB1659_1098
; %bb.1091:
	v_add_co_u32 v35, vcc_lo, v59, 8
	v_add_co_ci_u32_e32 v36, vcc_lo, 0, v60, vcc_lo
	v_add_co_u32 v57, vcc_lo, v57, 8
	v_add_co_ci_u32_e32 v58, vcc_lo, 0, v58, vcc_lo
	s_add_u32 s12, s8, -1
	s_addc_u32 s13, s9, -1
	s_mov_b64 s[14:15], 0
	s_mov_b32 s19, 0
                                        ; implicit-def: $sgpr20
	s_set_inst_prefetch_distance 0x1
	s_branch .LBB1659_1094
	.p2align	6
.LBB1659_1092:                          ;   in Loop: Header=BB1659_1094 Depth=1
	global_load_b64 v[59:60], v[57:58], off
	global_load_b64 v[61:62], v[35:36], off
	v_add_co_u32 v35, vcc_lo, v35, 8
	v_add_co_ci_u32_e32 v36, vcc_lo, 0, v36, vcc_lo
	v_add_co_u32 v57, s0, v57, 8
	s_delay_alu instid0(VALU_DEP_1)
	v_add_co_ci_u32_e64 v58, s0, 0, v58, s0
	s_add_u32 s14, s14, 1
	s_addc_u32 s15, s15, 0
	s_and_not1_b32 s0, s20, exec_lo
	s_waitcnt vmcnt(0)
	v_cmp_ne_u64_e32 vcc_lo, v[59:60], v[61:62]
	s_and_b32 s20, vcc_lo, exec_lo
	s_delay_alu instid0(SALU_CYCLE_1)
	s_or_b32 s20, s0, s20
.LBB1659_1093:                          ;   in Loop: Header=BB1659_1094 Depth=1
	v_dual_mov_b32 v60, s15 :: v_dual_mov_b32 v59, s14
	s_and_b32 s0, exec_lo, s20
	s_delay_alu instid0(SALU_CYCLE_1) | instskip(NEXT) | instid1(SALU_CYCLE_1)
	s_or_b32 s19, s0, s19
	s_and_not1_b32 exec_lo, exec_lo, s19
	s_cbranch_execz .LBB1659_1097
.LBB1659_1094:                          ; =>This Inner Loop Header: Depth=1
	s_or_b32 s20, s20, exec_lo
	s_cmp_eq_u64 s[12:13], s[14:15]
	s_cbranch_scc0 .LBB1659_1092
; %bb.1095:                             ;   in Loop: Header=BB1659_1094 Depth=1
	s_mov_b64 s[14:15], s[8:9]
                                        ; implicit-def: $vgpr35_vgpr36
                                        ; implicit-def: $vgpr57_vgpr58
	s_branch .LBB1659_1093
.LBB1659_1096:
	v_mov_b32_e32 v35, 0
	v_mov_b32_e32 v36, 0
	s_branch .LBB1659_1099
.LBB1659_1097:
	s_set_inst_prefetch_distance 0x2
	s_or_b32 exec_lo, exec_lo, s19
	v_cmp_gt_i64_e32 vcc_lo, s[8:9], v[59:60]
	s_mov_b32 s0, 0
	s_delay_alu instid0(SALU_CYCLE_1)
	v_mov_b32_e32 v36, s0
	v_cndmask_b32_e64 v35, 0, 1, vcc_lo
.LBB1659_1098:
	s_or_b32 exec_lo, exec_lo, s18
.LBB1659_1099:
	s_delay_alu instid0(SALU_CYCLE_1) | instskip(SKIP_2) | instid1(VALU_DEP_1)
	s_or_b32 exec_lo, exec_lo, s3
	v_add_nc_u32_e32 v57, 12, v64
	s_mov_b32 s3, exec_lo
	v_cmpx_gt_u32_e64 s6, v57
	s_cbranch_execz .LBB1659_1110
; %bb.1100:
	v_cmp_ne_u32_e32 vcc_lo, 1, v63
	s_cbranch_vccnz .LBB1659_1107
; %bb.1101:
	v_mul_lo_u32 v59, v34, s8
	v_mul_lo_u32 v60, v33, s9
	v_mad_u64_u32 v[57:58], null, v33, s8, 0
	v_mul_lo_u32 v61, v32, s8
	v_mul_lo_u32 v62, v31, s9
	v_mad_u64_u32 v[33:34], null, v31, s8, 0
	s_delay_alu instid0(VALU_DEP_4) | instskip(NEXT) | instid1(VALU_DEP_2)
	v_add3_u32 v58, v58, v60, v59
	v_add3_u32 v34, v34, v62, v61
	s_delay_alu instid0(VALU_DEP_2) | instskip(NEXT) | instid1(VALU_DEP_2)
	v_lshlrev_b64 v[57:58], 3, v[57:58]
	v_lshlrev_b64 v[33:34], 3, v[33:34]
	s_delay_alu instid0(VALU_DEP_2) | instskip(NEXT) | instid1(VALU_DEP_3)
	v_add_co_u32 v57, vcc_lo, s10, v57
	v_add_co_ci_u32_e32 v58, vcc_lo, s11, v58, vcc_lo
	s_delay_alu instid0(VALU_DEP_3) | instskip(NEXT) | instid1(VALU_DEP_4)
	v_add_co_u32 v59, vcc_lo, s10, v33
	v_add_co_ci_u32_e32 v60, vcc_lo, s11, v34, vcc_lo
	s_clause 0x1
	global_load_b64 v[33:34], v[57:58], off
	global_load_b64 v[61:62], v[59:60], off
	s_waitcnt vmcnt(0)
	v_cmp_eq_u64_e32 vcc_lo, v[33:34], v[61:62]
	v_mov_b32_e32 v33, 1
	v_mov_b32_e32 v34, 0
	s_and_saveexec_b32 s18, vcc_lo
	s_cbranch_execz .LBB1659_1109
; %bb.1102:
	v_add_co_u32 v33, vcc_lo, v59, 8
	v_add_co_ci_u32_e32 v34, vcc_lo, 0, v60, vcc_lo
	v_add_co_u32 v57, vcc_lo, v57, 8
	v_add_co_ci_u32_e32 v58, vcc_lo, 0, v58, vcc_lo
	s_add_u32 s12, s8, -1
	s_addc_u32 s13, s9, -1
	s_mov_b64 s[14:15], 0
	s_mov_b32 s19, 0
                                        ; implicit-def: $sgpr20
	s_set_inst_prefetch_distance 0x1
	s_branch .LBB1659_1105
	.p2align	6
.LBB1659_1103:                          ;   in Loop: Header=BB1659_1105 Depth=1
	global_load_b64 v[59:60], v[57:58], off
	global_load_b64 v[61:62], v[33:34], off
	v_add_co_u32 v33, vcc_lo, v33, 8
	v_add_co_ci_u32_e32 v34, vcc_lo, 0, v34, vcc_lo
	v_add_co_u32 v57, s0, v57, 8
	s_delay_alu instid0(VALU_DEP_1)
	v_add_co_ci_u32_e64 v58, s0, 0, v58, s0
	s_add_u32 s14, s14, 1
	s_addc_u32 s15, s15, 0
	s_and_not1_b32 s0, s20, exec_lo
	s_waitcnt vmcnt(0)
	v_cmp_ne_u64_e32 vcc_lo, v[59:60], v[61:62]
	s_and_b32 s20, vcc_lo, exec_lo
	s_delay_alu instid0(SALU_CYCLE_1)
	s_or_b32 s20, s0, s20
.LBB1659_1104:                          ;   in Loop: Header=BB1659_1105 Depth=1
	v_dual_mov_b32 v60, s15 :: v_dual_mov_b32 v59, s14
	s_and_b32 s0, exec_lo, s20
	s_delay_alu instid0(SALU_CYCLE_1) | instskip(NEXT) | instid1(SALU_CYCLE_1)
	s_or_b32 s19, s0, s19
	s_and_not1_b32 exec_lo, exec_lo, s19
	s_cbranch_execz .LBB1659_1108
.LBB1659_1105:                          ; =>This Inner Loop Header: Depth=1
	s_or_b32 s20, s20, exec_lo
	s_cmp_eq_u64 s[12:13], s[14:15]
	s_cbranch_scc0 .LBB1659_1103
; %bb.1106:                             ;   in Loop: Header=BB1659_1105 Depth=1
	s_mov_b64 s[14:15], s[8:9]
                                        ; implicit-def: $vgpr33_vgpr34
                                        ; implicit-def: $vgpr57_vgpr58
	s_branch .LBB1659_1104
.LBB1659_1107:
	v_mov_b32_e32 v33, 0
	v_mov_b32_e32 v34, 0
	s_branch .LBB1659_1110
.LBB1659_1108:
	s_set_inst_prefetch_distance 0x2
	s_or_b32 exec_lo, exec_lo, s19
	v_cmp_gt_i64_e32 vcc_lo, s[8:9], v[59:60]
	s_mov_b32 s0, 0
	s_delay_alu instid0(SALU_CYCLE_1)
	v_mov_b32_e32 v34, s0
	v_cndmask_b32_e64 v33, 0, 1, vcc_lo
.LBB1659_1109:
	s_or_b32 exec_lo, exec_lo, s18
.LBB1659_1110:
	s_delay_alu instid0(SALU_CYCLE_1) | instskip(SKIP_2) | instid1(VALU_DEP_1)
	s_or_b32 exec_lo, exec_lo, s3
	v_add_nc_u32_e32 v57, 11, v64
	s_mov_b32 s3, exec_lo
	v_cmpx_gt_u32_e64 s6, v57
	s_cbranch_execz .LBB1659_1121
; %bb.1111:
	v_cmp_ne_u32_e32 vcc_lo, 1, v63
	s_cbranch_vccnz .LBB1659_1118
; %bb.1112:
	v_mul_lo_u32 v59, v32, s8
	v_mul_lo_u32 v60, v31, s9
	v_mad_u64_u32 v[57:58], null, v31, s8, 0
	v_mul_lo_u32 v61, v30, s8
	v_mul_lo_u32 v62, v29, s9
	v_mad_u64_u32 v[31:32], null, v29, s8, 0
	s_delay_alu instid0(VALU_DEP_4) | instskip(NEXT) | instid1(VALU_DEP_2)
	v_add3_u32 v58, v58, v60, v59
	v_add3_u32 v32, v32, v62, v61
	s_delay_alu instid0(VALU_DEP_2) | instskip(NEXT) | instid1(VALU_DEP_2)
	v_lshlrev_b64 v[57:58], 3, v[57:58]
	v_lshlrev_b64 v[31:32], 3, v[31:32]
	s_delay_alu instid0(VALU_DEP_2) | instskip(NEXT) | instid1(VALU_DEP_3)
	v_add_co_u32 v57, vcc_lo, s10, v57
	v_add_co_ci_u32_e32 v58, vcc_lo, s11, v58, vcc_lo
	s_delay_alu instid0(VALU_DEP_3) | instskip(NEXT) | instid1(VALU_DEP_4)
	v_add_co_u32 v59, vcc_lo, s10, v31
	v_add_co_ci_u32_e32 v60, vcc_lo, s11, v32, vcc_lo
	s_clause 0x1
	global_load_b64 v[31:32], v[57:58], off
	global_load_b64 v[61:62], v[59:60], off
	s_waitcnt vmcnt(0)
	v_cmp_eq_u64_e32 vcc_lo, v[31:32], v[61:62]
	v_mov_b32_e32 v31, 1
	v_mov_b32_e32 v32, 0
	s_and_saveexec_b32 s18, vcc_lo
	s_cbranch_execz .LBB1659_1120
; %bb.1113:
	v_add_co_u32 v31, vcc_lo, v59, 8
	v_add_co_ci_u32_e32 v32, vcc_lo, 0, v60, vcc_lo
	v_add_co_u32 v57, vcc_lo, v57, 8
	v_add_co_ci_u32_e32 v58, vcc_lo, 0, v58, vcc_lo
	s_add_u32 s12, s8, -1
	s_addc_u32 s13, s9, -1
	s_mov_b64 s[14:15], 0
	s_mov_b32 s19, 0
                                        ; implicit-def: $sgpr20
	s_set_inst_prefetch_distance 0x1
	s_branch .LBB1659_1116
	.p2align	6
.LBB1659_1114:                          ;   in Loop: Header=BB1659_1116 Depth=1
	global_load_b64 v[59:60], v[57:58], off
	global_load_b64 v[61:62], v[31:32], off
	v_add_co_u32 v31, vcc_lo, v31, 8
	v_add_co_ci_u32_e32 v32, vcc_lo, 0, v32, vcc_lo
	v_add_co_u32 v57, s0, v57, 8
	s_delay_alu instid0(VALU_DEP_1)
	v_add_co_ci_u32_e64 v58, s0, 0, v58, s0
	s_add_u32 s14, s14, 1
	s_addc_u32 s15, s15, 0
	s_and_not1_b32 s0, s20, exec_lo
	s_waitcnt vmcnt(0)
	v_cmp_ne_u64_e32 vcc_lo, v[59:60], v[61:62]
	s_and_b32 s20, vcc_lo, exec_lo
	s_delay_alu instid0(SALU_CYCLE_1)
	s_or_b32 s20, s0, s20
.LBB1659_1115:                          ;   in Loop: Header=BB1659_1116 Depth=1
	v_dual_mov_b32 v60, s15 :: v_dual_mov_b32 v59, s14
	s_and_b32 s0, exec_lo, s20
	s_delay_alu instid0(SALU_CYCLE_1) | instskip(NEXT) | instid1(SALU_CYCLE_1)
	s_or_b32 s19, s0, s19
	s_and_not1_b32 exec_lo, exec_lo, s19
	s_cbranch_execz .LBB1659_1119
.LBB1659_1116:                          ; =>This Inner Loop Header: Depth=1
	s_or_b32 s20, s20, exec_lo
	s_cmp_eq_u64 s[12:13], s[14:15]
	s_cbranch_scc0 .LBB1659_1114
; %bb.1117:                             ;   in Loop: Header=BB1659_1116 Depth=1
	s_mov_b64 s[14:15], s[8:9]
                                        ; implicit-def: $vgpr31_vgpr32
                                        ; implicit-def: $vgpr57_vgpr58
	s_branch .LBB1659_1115
.LBB1659_1118:
	v_mov_b32_e32 v31, 0
	v_mov_b32_e32 v32, 0
	s_branch .LBB1659_1121
.LBB1659_1119:
	s_set_inst_prefetch_distance 0x2
	s_or_b32 exec_lo, exec_lo, s19
	v_cmp_gt_i64_e32 vcc_lo, s[8:9], v[59:60]
	s_mov_b32 s0, 0
	s_delay_alu instid0(SALU_CYCLE_1)
	v_mov_b32_e32 v32, s0
	v_cndmask_b32_e64 v31, 0, 1, vcc_lo
.LBB1659_1120:
	s_or_b32 exec_lo, exec_lo, s18
.LBB1659_1121:
	s_delay_alu instid0(SALU_CYCLE_1) | instskip(SKIP_2) | instid1(VALU_DEP_1)
	s_or_b32 exec_lo, exec_lo, s3
	v_add_nc_u32_e32 v57, 10, v64
	s_mov_b32 s3, exec_lo
	v_cmpx_gt_u32_e64 s6, v57
	s_cbranch_execz .LBB1659_1132
; %bb.1122:
	v_cmp_ne_u32_e32 vcc_lo, 1, v63
	s_cbranch_vccnz .LBB1659_1129
; %bb.1123:
	v_mul_lo_u32 v59, v30, s8
	v_mul_lo_u32 v60, v29, s9
	v_mad_u64_u32 v[57:58], null, v29, s8, 0
	v_mul_lo_u32 v61, v28, s8
	v_mul_lo_u32 v62, v27, s9
	v_mad_u64_u32 v[29:30], null, v27, s8, 0
	s_delay_alu instid0(VALU_DEP_4) | instskip(NEXT) | instid1(VALU_DEP_2)
	v_add3_u32 v58, v58, v60, v59
	v_add3_u32 v30, v30, v62, v61
	s_delay_alu instid0(VALU_DEP_2) | instskip(NEXT) | instid1(VALU_DEP_2)
	v_lshlrev_b64 v[57:58], 3, v[57:58]
	v_lshlrev_b64 v[29:30], 3, v[29:30]
	s_delay_alu instid0(VALU_DEP_2) | instskip(NEXT) | instid1(VALU_DEP_3)
	v_add_co_u32 v57, vcc_lo, s10, v57
	v_add_co_ci_u32_e32 v58, vcc_lo, s11, v58, vcc_lo
	s_delay_alu instid0(VALU_DEP_3) | instskip(NEXT) | instid1(VALU_DEP_4)
	v_add_co_u32 v59, vcc_lo, s10, v29
	v_add_co_ci_u32_e32 v60, vcc_lo, s11, v30, vcc_lo
	s_clause 0x1
	global_load_b64 v[29:30], v[57:58], off
	global_load_b64 v[61:62], v[59:60], off
	s_waitcnt vmcnt(0)
	v_cmp_eq_u64_e32 vcc_lo, v[29:30], v[61:62]
	v_mov_b32_e32 v29, 1
	v_mov_b32_e32 v30, 0
	s_and_saveexec_b32 s18, vcc_lo
	s_cbranch_execz .LBB1659_1131
; %bb.1124:
	v_add_co_u32 v29, vcc_lo, v59, 8
	v_add_co_ci_u32_e32 v30, vcc_lo, 0, v60, vcc_lo
	v_add_co_u32 v57, vcc_lo, v57, 8
	v_add_co_ci_u32_e32 v58, vcc_lo, 0, v58, vcc_lo
	s_add_u32 s12, s8, -1
	s_addc_u32 s13, s9, -1
	s_mov_b64 s[14:15], 0
	s_mov_b32 s19, 0
                                        ; implicit-def: $sgpr20
	s_set_inst_prefetch_distance 0x1
	s_branch .LBB1659_1127
	.p2align	6
.LBB1659_1125:                          ;   in Loop: Header=BB1659_1127 Depth=1
	global_load_b64 v[59:60], v[57:58], off
	global_load_b64 v[61:62], v[29:30], off
	v_add_co_u32 v29, vcc_lo, v29, 8
	v_add_co_ci_u32_e32 v30, vcc_lo, 0, v30, vcc_lo
	v_add_co_u32 v57, s0, v57, 8
	s_delay_alu instid0(VALU_DEP_1)
	v_add_co_ci_u32_e64 v58, s0, 0, v58, s0
	s_add_u32 s14, s14, 1
	s_addc_u32 s15, s15, 0
	s_and_not1_b32 s0, s20, exec_lo
	s_waitcnt vmcnt(0)
	v_cmp_ne_u64_e32 vcc_lo, v[59:60], v[61:62]
	s_and_b32 s20, vcc_lo, exec_lo
	s_delay_alu instid0(SALU_CYCLE_1)
	s_or_b32 s20, s0, s20
.LBB1659_1126:                          ;   in Loop: Header=BB1659_1127 Depth=1
	v_dual_mov_b32 v60, s15 :: v_dual_mov_b32 v59, s14
	s_and_b32 s0, exec_lo, s20
	s_delay_alu instid0(SALU_CYCLE_1) | instskip(NEXT) | instid1(SALU_CYCLE_1)
	s_or_b32 s19, s0, s19
	s_and_not1_b32 exec_lo, exec_lo, s19
	s_cbranch_execz .LBB1659_1130
.LBB1659_1127:                          ; =>This Inner Loop Header: Depth=1
	s_or_b32 s20, s20, exec_lo
	s_cmp_eq_u64 s[12:13], s[14:15]
	s_cbranch_scc0 .LBB1659_1125
; %bb.1128:                             ;   in Loop: Header=BB1659_1127 Depth=1
	s_mov_b64 s[14:15], s[8:9]
                                        ; implicit-def: $vgpr29_vgpr30
                                        ; implicit-def: $vgpr57_vgpr58
	s_branch .LBB1659_1126
.LBB1659_1129:
	v_mov_b32_e32 v29, 0
	v_mov_b32_e32 v30, 0
	s_branch .LBB1659_1132
.LBB1659_1130:
	s_set_inst_prefetch_distance 0x2
	s_or_b32 exec_lo, exec_lo, s19
	v_cmp_gt_i64_e32 vcc_lo, s[8:9], v[59:60]
	s_mov_b32 s0, 0
	s_delay_alu instid0(SALU_CYCLE_1)
	v_mov_b32_e32 v30, s0
	v_cndmask_b32_e64 v29, 0, 1, vcc_lo
.LBB1659_1131:
	s_or_b32 exec_lo, exec_lo, s18
.LBB1659_1132:
	s_delay_alu instid0(SALU_CYCLE_1) | instskip(SKIP_2) | instid1(VALU_DEP_1)
	s_or_b32 exec_lo, exec_lo, s3
	v_add_nc_u32_e32 v57, 9, v64
	s_mov_b32 s3, exec_lo
	v_cmpx_gt_u32_e64 s6, v57
	s_cbranch_execz .LBB1659_1143
; %bb.1133:
	v_cmp_ne_u32_e32 vcc_lo, 1, v63
	s_cbranch_vccnz .LBB1659_1140
; %bb.1134:
	v_mul_lo_u32 v59, v28, s8
	v_mul_lo_u32 v60, v27, s9
	v_mad_u64_u32 v[57:58], null, v27, s8, 0
	v_mul_lo_u32 v61, v26, s8
	v_mul_lo_u32 v62, v25, s9
	v_mad_u64_u32 v[27:28], null, v25, s8, 0
	s_delay_alu instid0(VALU_DEP_4) | instskip(NEXT) | instid1(VALU_DEP_2)
	v_add3_u32 v58, v58, v60, v59
	v_add3_u32 v28, v28, v62, v61
	s_delay_alu instid0(VALU_DEP_2) | instskip(NEXT) | instid1(VALU_DEP_2)
	v_lshlrev_b64 v[57:58], 3, v[57:58]
	v_lshlrev_b64 v[27:28], 3, v[27:28]
	s_delay_alu instid0(VALU_DEP_2) | instskip(NEXT) | instid1(VALU_DEP_3)
	v_add_co_u32 v57, vcc_lo, s10, v57
	v_add_co_ci_u32_e32 v58, vcc_lo, s11, v58, vcc_lo
	s_delay_alu instid0(VALU_DEP_3) | instskip(NEXT) | instid1(VALU_DEP_4)
	v_add_co_u32 v59, vcc_lo, s10, v27
	v_add_co_ci_u32_e32 v60, vcc_lo, s11, v28, vcc_lo
	s_clause 0x1
	global_load_b64 v[27:28], v[57:58], off
	global_load_b64 v[61:62], v[59:60], off
	s_waitcnt vmcnt(0)
	v_cmp_eq_u64_e32 vcc_lo, v[27:28], v[61:62]
	v_mov_b32_e32 v27, 1
	v_mov_b32_e32 v28, 0
	s_and_saveexec_b32 s18, vcc_lo
	s_cbranch_execz .LBB1659_1142
; %bb.1135:
	v_add_co_u32 v27, vcc_lo, v59, 8
	v_add_co_ci_u32_e32 v28, vcc_lo, 0, v60, vcc_lo
	v_add_co_u32 v57, vcc_lo, v57, 8
	v_add_co_ci_u32_e32 v58, vcc_lo, 0, v58, vcc_lo
	s_add_u32 s12, s8, -1
	s_addc_u32 s13, s9, -1
	s_mov_b64 s[14:15], 0
	s_mov_b32 s19, 0
                                        ; implicit-def: $sgpr20
	s_set_inst_prefetch_distance 0x1
	s_branch .LBB1659_1138
	.p2align	6
.LBB1659_1136:                          ;   in Loop: Header=BB1659_1138 Depth=1
	global_load_b64 v[59:60], v[57:58], off
	global_load_b64 v[61:62], v[27:28], off
	v_add_co_u32 v27, vcc_lo, v27, 8
	v_add_co_ci_u32_e32 v28, vcc_lo, 0, v28, vcc_lo
	v_add_co_u32 v57, s0, v57, 8
	s_delay_alu instid0(VALU_DEP_1)
	v_add_co_ci_u32_e64 v58, s0, 0, v58, s0
	s_add_u32 s14, s14, 1
	s_addc_u32 s15, s15, 0
	s_and_not1_b32 s0, s20, exec_lo
	s_waitcnt vmcnt(0)
	v_cmp_ne_u64_e32 vcc_lo, v[59:60], v[61:62]
	s_and_b32 s20, vcc_lo, exec_lo
	s_delay_alu instid0(SALU_CYCLE_1)
	s_or_b32 s20, s0, s20
.LBB1659_1137:                          ;   in Loop: Header=BB1659_1138 Depth=1
	v_dual_mov_b32 v60, s15 :: v_dual_mov_b32 v59, s14
	s_and_b32 s0, exec_lo, s20
	s_delay_alu instid0(SALU_CYCLE_1) | instskip(NEXT) | instid1(SALU_CYCLE_1)
	s_or_b32 s19, s0, s19
	s_and_not1_b32 exec_lo, exec_lo, s19
	s_cbranch_execz .LBB1659_1141
.LBB1659_1138:                          ; =>This Inner Loop Header: Depth=1
	s_or_b32 s20, s20, exec_lo
	s_cmp_eq_u64 s[12:13], s[14:15]
	s_cbranch_scc0 .LBB1659_1136
; %bb.1139:                             ;   in Loop: Header=BB1659_1138 Depth=1
	s_mov_b64 s[14:15], s[8:9]
                                        ; implicit-def: $vgpr27_vgpr28
                                        ; implicit-def: $vgpr57_vgpr58
	s_branch .LBB1659_1137
.LBB1659_1140:
	v_mov_b32_e32 v27, 0
	v_mov_b32_e32 v28, 0
	s_branch .LBB1659_1143
.LBB1659_1141:
	s_set_inst_prefetch_distance 0x2
	s_or_b32 exec_lo, exec_lo, s19
	v_cmp_gt_i64_e32 vcc_lo, s[8:9], v[59:60]
	s_mov_b32 s0, 0
	s_delay_alu instid0(SALU_CYCLE_1)
	v_mov_b32_e32 v28, s0
	v_cndmask_b32_e64 v27, 0, 1, vcc_lo
.LBB1659_1142:
	s_or_b32 exec_lo, exec_lo, s18
.LBB1659_1143:
	s_delay_alu instid0(SALU_CYCLE_1) | instskip(SKIP_2) | instid1(VALU_DEP_1)
	s_or_b32 exec_lo, exec_lo, s3
	v_add_nc_u32_e32 v57, 8, v64
	s_mov_b32 s3, exec_lo
	v_cmpx_gt_u32_e64 s6, v57
	s_cbranch_execz .LBB1659_1154
; %bb.1144:
	v_cmp_ne_u32_e32 vcc_lo, 1, v63
	s_cbranch_vccnz .LBB1659_1151
; %bb.1145:
	v_mul_lo_u32 v59, v26, s8
	v_mul_lo_u32 v60, v25, s9
	v_mad_u64_u32 v[57:58], null, v25, s8, 0
	v_mul_lo_u32 v61, v24, s8
	v_mul_lo_u32 v62, v23, s9
	v_mad_u64_u32 v[25:26], null, v23, s8, 0
	s_delay_alu instid0(VALU_DEP_4) | instskip(NEXT) | instid1(VALU_DEP_2)
	v_add3_u32 v58, v58, v60, v59
	v_add3_u32 v26, v26, v62, v61
	s_delay_alu instid0(VALU_DEP_2) | instskip(NEXT) | instid1(VALU_DEP_2)
	v_lshlrev_b64 v[57:58], 3, v[57:58]
	v_lshlrev_b64 v[25:26], 3, v[25:26]
	s_delay_alu instid0(VALU_DEP_2) | instskip(NEXT) | instid1(VALU_DEP_3)
	v_add_co_u32 v57, vcc_lo, s10, v57
	v_add_co_ci_u32_e32 v58, vcc_lo, s11, v58, vcc_lo
	s_delay_alu instid0(VALU_DEP_3) | instskip(NEXT) | instid1(VALU_DEP_4)
	v_add_co_u32 v59, vcc_lo, s10, v25
	v_add_co_ci_u32_e32 v60, vcc_lo, s11, v26, vcc_lo
	s_clause 0x1
	global_load_b64 v[25:26], v[57:58], off
	global_load_b64 v[61:62], v[59:60], off
	s_waitcnt vmcnt(0)
	v_cmp_eq_u64_e32 vcc_lo, v[25:26], v[61:62]
	v_mov_b32_e32 v25, 1
	v_mov_b32_e32 v26, 0
	s_and_saveexec_b32 s18, vcc_lo
	s_cbranch_execz .LBB1659_1153
; %bb.1146:
	v_add_co_u32 v25, vcc_lo, v59, 8
	v_add_co_ci_u32_e32 v26, vcc_lo, 0, v60, vcc_lo
	v_add_co_u32 v57, vcc_lo, v57, 8
	v_add_co_ci_u32_e32 v58, vcc_lo, 0, v58, vcc_lo
	s_add_u32 s12, s8, -1
	s_addc_u32 s13, s9, -1
	s_mov_b64 s[14:15], 0
	s_mov_b32 s19, 0
                                        ; implicit-def: $sgpr20
	s_set_inst_prefetch_distance 0x1
	s_branch .LBB1659_1149
	.p2align	6
.LBB1659_1147:                          ;   in Loop: Header=BB1659_1149 Depth=1
	global_load_b64 v[59:60], v[57:58], off
	global_load_b64 v[61:62], v[25:26], off
	v_add_co_u32 v25, vcc_lo, v25, 8
	v_add_co_ci_u32_e32 v26, vcc_lo, 0, v26, vcc_lo
	v_add_co_u32 v57, s0, v57, 8
	s_delay_alu instid0(VALU_DEP_1)
	v_add_co_ci_u32_e64 v58, s0, 0, v58, s0
	s_add_u32 s14, s14, 1
	s_addc_u32 s15, s15, 0
	s_and_not1_b32 s0, s20, exec_lo
	s_waitcnt vmcnt(0)
	v_cmp_ne_u64_e32 vcc_lo, v[59:60], v[61:62]
	s_and_b32 s20, vcc_lo, exec_lo
	s_delay_alu instid0(SALU_CYCLE_1)
	s_or_b32 s20, s0, s20
.LBB1659_1148:                          ;   in Loop: Header=BB1659_1149 Depth=1
	v_dual_mov_b32 v60, s15 :: v_dual_mov_b32 v59, s14
	s_and_b32 s0, exec_lo, s20
	s_delay_alu instid0(SALU_CYCLE_1) | instskip(NEXT) | instid1(SALU_CYCLE_1)
	s_or_b32 s19, s0, s19
	s_and_not1_b32 exec_lo, exec_lo, s19
	s_cbranch_execz .LBB1659_1152
.LBB1659_1149:                          ; =>This Inner Loop Header: Depth=1
	s_or_b32 s20, s20, exec_lo
	s_cmp_eq_u64 s[12:13], s[14:15]
	s_cbranch_scc0 .LBB1659_1147
; %bb.1150:                             ;   in Loop: Header=BB1659_1149 Depth=1
	s_mov_b64 s[14:15], s[8:9]
                                        ; implicit-def: $vgpr25_vgpr26
                                        ; implicit-def: $vgpr57_vgpr58
	s_branch .LBB1659_1148
.LBB1659_1151:
	v_mov_b32_e32 v25, 0
	v_mov_b32_e32 v26, 0
	s_branch .LBB1659_1154
.LBB1659_1152:
	s_set_inst_prefetch_distance 0x2
	s_or_b32 exec_lo, exec_lo, s19
	v_cmp_gt_i64_e32 vcc_lo, s[8:9], v[59:60]
	s_mov_b32 s0, 0
	s_delay_alu instid0(SALU_CYCLE_1)
	v_mov_b32_e32 v26, s0
	v_cndmask_b32_e64 v25, 0, 1, vcc_lo
.LBB1659_1153:
	s_or_b32 exec_lo, exec_lo, s18
.LBB1659_1154:
	s_delay_alu instid0(SALU_CYCLE_1) | instskip(SKIP_2) | instid1(VALU_DEP_1)
	s_or_b32 exec_lo, exec_lo, s3
	v_add_nc_u32_e32 v57, 7, v64
	s_mov_b32 s3, exec_lo
	v_cmpx_gt_u32_e64 s6, v57
	s_cbranch_execz .LBB1659_1165
; %bb.1155:
	v_cmp_ne_u32_e32 vcc_lo, 1, v63
	s_cbranch_vccnz .LBB1659_1162
; %bb.1156:
	v_mul_lo_u32 v59, v24, s8
	v_mul_lo_u32 v60, v23, s9
	v_mad_u64_u32 v[57:58], null, v23, s8, 0
	v_mul_lo_u32 v61, v22, s8
	v_mul_lo_u32 v62, v21, s9
	v_mad_u64_u32 v[23:24], null, v21, s8, 0
	s_delay_alu instid0(VALU_DEP_4) | instskip(NEXT) | instid1(VALU_DEP_2)
	v_add3_u32 v58, v58, v60, v59
	v_add3_u32 v24, v24, v62, v61
	s_delay_alu instid0(VALU_DEP_2) | instskip(NEXT) | instid1(VALU_DEP_2)
	v_lshlrev_b64 v[57:58], 3, v[57:58]
	v_lshlrev_b64 v[23:24], 3, v[23:24]
	s_delay_alu instid0(VALU_DEP_2) | instskip(NEXT) | instid1(VALU_DEP_3)
	v_add_co_u32 v57, vcc_lo, s10, v57
	v_add_co_ci_u32_e32 v58, vcc_lo, s11, v58, vcc_lo
	s_delay_alu instid0(VALU_DEP_3) | instskip(NEXT) | instid1(VALU_DEP_4)
	v_add_co_u32 v59, vcc_lo, s10, v23
	v_add_co_ci_u32_e32 v60, vcc_lo, s11, v24, vcc_lo
	s_clause 0x1
	global_load_b64 v[23:24], v[57:58], off
	global_load_b64 v[61:62], v[59:60], off
	s_waitcnt vmcnt(0)
	v_cmp_eq_u64_e32 vcc_lo, v[23:24], v[61:62]
	v_mov_b32_e32 v23, 1
	v_mov_b32_e32 v24, 0
	s_and_saveexec_b32 s18, vcc_lo
	s_cbranch_execz .LBB1659_1164
; %bb.1157:
	v_add_co_u32 v23, vcc_lo, v59, 8
	v_add_co_ci_u32_e32 v24, vcc_lo, 0, v60, vcc_lo
	v_add_co_u32 v57, vcc_lo, v57, 8
	v_add_co_ci_u32_e32 v58, vcc_lo, 0, v58, vcc_lo
	s_add_u32 s12, s8, -1
	s_addc_u32 s13, s9, -1
	s_mov_b64 s[14:15], 0
	s_mov_b32 s19, 0
                                        ; implicit-def: $sgpr20
	s_set_inst_prefetch_distance 0x1
	s_branch .LBB1659_1160
	.p2align	6
.LBB1659_1158:                          ;   in Loop: Header=BB1659_1160 Depth=1
	global_load_b64 v[59:60], v[57:58], off
	global_load_b64 v[61:62], v[23:24], off
	v_add_co_u32 v23, vcc_lo, v23, 8
	v_add_co_ci_u32_e32 v24, vcc_lo, 0, v24, vcc_lo
	v_add_co_u32 v57, s0, v57, 8
	s_delay_alu instid0(VALU_DEP_1)
	v_add_co_ci_u32_e64 v58, s0, 0, v58, s0
	s_add_u32 s14, s14, 1
	s_addc_u32 s15, s15, 0
	s_and_not1_b32 s0, s20, exec_lo
	s_waitcnt vmcnt(0)
	v_cmp_ne_u64_e32 vcc_lo, v[59:60], v[61:62]
	s_and_b32 s20, vcc_lo, exec_lo
	s_delay_alu instid0(SALU_CYCLE_1)
	s_or_b32 s20, s0, s20
.LBB1659_1159:                          ;   in Loop: Header=BB1659_1160 Depth=1
	v_dual_mov_b32 v60, s15 :: v_dual_mov_b32 v59, s14
	s_and_b32 s0, exec_lo, s20
	s_delay_alu instid0(SALU_CYCLE_1) | instskip(NEXT) | instid1(SALU_CYCLE_1)
	s_or_b32 s19, s0, s19
	s_and_not1_b32 exec_lo, exec_lo, s19
	s_cbranch_execz .LBB1659_1163
.LBB1659_1160:                          ; =>This Inner Loop Header: Depth=1
	s_or_b32 s20, s20, exec_lo
	s_cmp_eq_u64 s[12:13], s[14:15]
	s_cbranch_scc0 .LBB1659_1158
; %bb.1161:                             ;   in Loop: Header=BB1659_1160 Depth=1
	s_mov_b64 s[14:15], s[8:9]
                                        ; implicit-def: $vgpr23_vgpr24
                                        ; implicit-def: $vgpr57_vgpr58
	s_branch .LBB1659_1159
.LBB1659_1162:
	v_mov_b32_e32 v23, 0
	v_mov_b32_e32 v24, 0
	s_branch .LBB1659_1165
.LBB1659_1163:
	s_set_inst_prefetch_distance 0x2
	s_or_b32 exec_lo, exec_lo, s19
	v_cmp_gt_i64_e32 vcc_lo, s[8:9], v[59:60]
	s_mov_b32 s0, 0
	s_delay_alu instid0(SALU_CYCLE_1)
	v_mov_b32_e32 v24, s0
	v_cndmask_b32_e64 v23, 0, 1, vcc_lo
.LBB1659_1164:
	s_or_b32 exec_lo, exec_lo, s18
.LBB1659_1165:
	s_delay_alu instid0(SALU_CYCLE_1) | instskip(SKIP_2) | instid1(VALU_DEP_1)
	s_or_b32 exec_lo, exec_lo, s3
	v_add_nc_u32_e32 v57, 6, v64
	s_mov_b32 s3, exec_lo
	v_cmpx_gt_u32_e64 s6, v57
	s_cbranch_execz .LBB1659_1176
; %bb.1166:
	v_cmp_ne_u32_e32 vcc_lo, 1, v63
	s_cbranch_vccnz .LBB1659_1173
; %bb.1167:
	v_mul_lo_u32 v59, v22, s8
	v_mul_lo_u32 v60, v21, s9
	v_mad_u64_u32 v[57:58], null, v21, s8, 0
	v_mul_lo_u32 v61, v20, s8
	v_mul_lo_u32 v62, v19, s9
	v_mad_u64_u32 v[21:22], null, v19, s8, 0
	s_delay_alu instid0(VALU_DEP_4) | instskip(NEXT) | instid1(VALU_DEP_2)
	v_add3_u32 v58, v58, v60, v59
	v_add3_u32 v22, v22, v62, v61
	s_delay_alu instid0(VALU_DEP_2) | instskip(NEXT) | instid1(VALU_DEP_2)
	v_lshlrev_b64 v[57:58], 3, v[57:58]
	v_lshlrev_b64 v[21:22], 3, v[21:22]
	s_delay_alu instid0(VALU_DEP_2) | instskip(NEXT) | instid1(VALU_DEP_3)
	v_add_co_u32 v57, vcc_lo, s10, v57
	v_add_co_ci_u32_e32 v58, vcc_lo, s11, v58, vcc_lo
	s_delay_alu instid0(VALU_DEP_3) | instskip(NEXT) | instid1(VALU_DEP_4)
	v_add_co_u32 v59, vcc_lo, s10, v21
	v_add_co_ci_u32_e32 v60, vcc_lo, s11, v22, vcc_lo
	s_clause 0x1
	global_load_b64 v[21:22], v[57:58], off
	global_load_b64 v[61:62], v[59:60], off
	s_waitcnt vmcnt(0)
	v_cmp_eq_u64_e32 vcc_lo, v[21:22], v[61:62]
	v_mov_b32_e32 v21, 1
	v_mov_b32_e32 v22, 0
	s_and_saveexec_b32 s18, vcc_lo
	s_cbranch_execz .LBB1659_1175
; %bb.1168:
	v_add_co_u32 v21, vcc_lo, v59, 8
	v_add_co_ci_u32_e32 v22, vcc_lo, 0, v60, vcc_lo
	v_add_co_u32 v57, vcc_lo, v57, 8
	v_add_co_ci_u32_e32 v58, vcc_lo, 0, v58, vcc_lo
	s_add_u32 s12, s8, -1
	s_addc_u32 s13, s9, -1
	s_mov_b64 s[14:15], 0
	s_mov_b32 s19, 0
                                        ; implicit-def: $sgpr20
	s_set_inst_prefetch_distance 0x1
	s_branch .LBB1659_1171
	.p2align	6
.LBB1659_1169:                          ;   in Loop: Header=BB1659_1171 Depth=1
	global_load_b64 v[59:60], v[57:58], off
	global_load_b64 v[61:62], v[21:22], off
	v_add_co_u32 v21, vcc_lo, v21, 8
	v_add_co_ci_u32_e32 v22, vcc_lo, 0, v22, vcc_lo
	v_add_co_u32 v57, s0, v57, 8
	s_delay_alu instid0(VALU_DEP_1)
	v_add_co_ci_u32_e64 v58, s0, 0, v58, s0
	s_add_u32 s14, s14, 1
	s_addc_u32 s15, s15, 0
	s_and_not1_b32 s0, s20, exec_lo
	s_waitcnt vmcnt(0)
	v_cmp_ne_u64_e32 vcc_lo, v[59:60], v[61:62]
	s_and_b32 s20, vcc_lo, exec_lo
	s_delay_alu instid0(SALU_CYCLE_1)
	s_or_b32 s20, s0, s20
.LBB1659_1170:                          ;   in Loop: Header=BB1659_1171 Depth=1
	v_dual_mov_b32 v60, s15 :: v_dual_mov_b32 v59, s14
	s_and_b32 s0, exec_lo, s20
	s_delay_alu instid0(SALU_CYCLE_1) | instskip(NEXT) | instid1(SALU_CYCLE_1)
	s_or_b32 s19, s0, s19
	s_and_not1_b32 exec_lo, exec_lo, s19
	s_cbranch_execz .LBB1659_1174
.LBB1659_1171:                          ; =>This Inner Loop Header: Depth=1
	s_or_b32 s20, s20, exec_lo
	s_cmp_eq_u64 s[12:13], s[14:15]
	s_cbranch_scc0 .LBB1659_1169
; %bb.1172:                             ;   in Loop: Header=BB1659_1171 Depth=1
	s_mov_b64 s[14:15], s[8:9]
                                        ; implicit-def: $vgpr21_vgpr22
                                        ; implicit-def: $vgpr57_vgpr58
	s_branch .LBB1659_1170
.LBB1659_1173:
	v_mov_b32_e32 v21, 0
	v_mov_b32_e32 v22, 0
	s_branch .LBB1659_1176
.LBB1659_1174:
	s_set_inst_prefetch_distance 0x2
	s_or_b32 exec_lo, exec_lo, s19
	v_cmp_gt_i64_e32 vcc_lo, s[8:9], v[59:60]
	s_mov_b32 s0, 0
	s_delay_alu instid0(SALU_CYCLE_1)
	v_mov_b32_e32 v22, s0
	v_cndmask_b32_e64 v21, 0, 1, vcc_lo
.LBB1659_1175:
	s_or_b32 exec_lo, exec_lo, s18
.LBB1659_1176:
	s_delay_alu instid0(SALU_CYCLE_1) | instskip(SKIP_2) | instid1(VALU_DEP_1)
	s_or_b32 exec_lo, exec_lo, s3
	v_add_nc_u32_e32 v57, 5, v64
	s_mov_b32 s3, exec_lo
	v_cmpx_gt_u32_e64 s6, v57
	s_cbranch_execz .LBB1659_1187
; %bb.1177:
	v_cmp_ne_u32_e32 vcc_lo, 1, v63
	s_cbranch_vccnz .LBB1659_1184
; %bb.1178:
	v_mul_lo_u32 v59, v20, s8
	v_mul_lo_u32 v60, v19, s9
	v_mad_u64_u32 v[57:58], null, v19, s8, 0
	v_mul_lo_u32 v61, v18, s8
	v_mul_lo_u32 v62, v17, s9
	v_mad_u64_u32 v[19:20], null, v17, s8, 0
	s_delay_alu instid0(VALU_DEP_4) | instskip(NEXT) | instid1(VALU_DEP_2)
	v_add3_u32 v58, v58, v60, v59
	v_add3_u32 v20, v20, v62, v61
	s_delay_alu instid0(VALU_DEP_2) | instskip(NEXT) | instid1(VALU_DEP_2)
	v_lshlrev_b64 v[57:58], 3, v[57:58]
	v_lshlrev_b64 v[19:20], 3, v[19:20]
	s_delay_alu instid0(VALU_DEP_2) | instskip(NEXT) | instid1(VALU_DEP_3)
	v_add_co_u32 v57, vcc_lo, s10, v57
	v_add_co_ci_u32_e32 v58, vcc_lo, s11, v58, vcc_lo
	s_delay_alu instid0(VALU_DEP_3) | instskip(NEXT) | instid1(VALU_DEP_4)
	v_add_co_u32 v59, vcc_lo, s10, v19
	v_add_co_ci_u32_e32 v60, vcc_lo, s11, v20, vcc_lo
	s_clause 0x1
	global_load_b64 v[19:20], v[57:58], off
	global_load_b64 v[61:62], v[59:60], off
	s_waitcnt vmcnt(0)
	v_cmp_eq_u64_e32 vcc_lo, v[19:20], v[61:62]
	v_mov_b32_e32 v19, 1
	v_mov_b32_e32 v20, 0
	s_and_saveexec_b32 s18, vcc_lo
	s_cbranch_execz .LBB1659_1186
; %bb.1179:
	v_add_co_u32 v19, vcc_lo, v59, 8
	v_add_co_ci_u32_e32 v20, vcc_lo, 0, v60, vcc_lo
	v_add_co_u32 v57, vcc_lo, v57, 8
	v_add_co_ci_u32_e32 v58, vcc_lo, 0, v58, vcc_lo
	s_add_u32 s12, s8, -1
	s_addc_u32 s13, s9, -1
	s_mov_b64 s[14:15], 0
	s_mov_b32 s19, 0
                                        ; implicit-def: $sgpr20
	s_set_inst_prefetch_distance 0x1
	s_branch .LBB1659_1182
	.p2align	6
.LBB1659_1180:                          ;   in Loop: Header=BB1659_1182 Depth=1
	global_load_b64 v[59:60], v[57:58], off
	global_load_b64 v[61:62], v[19:20], off
	v_add_co_u32 v19, vcc_lo, v19, 8
	v_add_co_ci_u32_e32 v20, vcc_lo, 0, v20, vcc_lo
	v_add_co_u32 v57, s0, v57, 8
	s_delay_alu instid0(VALU_DEP_1)
	v_add_co_ci_u32_e64 v58, s0, 0, v58, s0
	s_add_u32 s14, s14, 1
	s_addc_u32 s15, s15, 0
	s_and_not1_b32 s0, s20, exec_lo
	s_waitcnt vmcnt(0)
	v_cmp_ne_u64_e32 vcc_lo, v[59:60], v[61:62]
	s_and_b32 s20, vcc_lo, exec_lo
	s_delay_alu instid0(SALU_CYCLE_1)
	s_or_b32 s20, s0, s20
.LBB1659_1181:                          ;   in Loop: Header=BB1659_1182 Depth=1
	v_dual_mov_b32 v60, s15 :: v_dual_mov_b32 v59, s14
	s_and_b32 s0, exec_lo, s20
	s_delay_alu instid0(SALU_CYCLE_1) | instskip(NEXT) | instid1(SALU_CYCLE_1)
	s_or_b32 s19, s0, s19
	s_and_not1_b32 exec_lo, exec_lo, s19
	s_cbranch_execz .LBB1659_1185
.LBB1659_1182:                          ; =>This Inner Loop Header: Depth=1
	s_or_b32 s20, s20, exec_lo
	s_cmp_eq_u64 s[12:13], s[14:15]
	s_cbranch_scc0 .LBB1659_1180
; %bb.1183:                             ;   in Loop: Header=BB1659_1182 Depth=1
	s_mov_b64 s[14:15], s[8:9]
                                        ; implicit-def: $vgpr19_vgpr20
                                        ; implicit-def: $vgpr57_vgpr58
	s_branch .LBB1659_1181
.LBB1659_1184:
	v_mov_b32_e32 v19, 0
	v_mov_b32_e32 v20, 0
	s_branch .LBB1659_1187
.LBB1659_1185:
	s_set_inst_prefetch_distance 0x2
	s_or_b32 exec_lo, exec_lo, s19
	v_cmp_gt_i64_e32 vcc_lo, s[8:9], v[59:60]
	s_mov_b32 s0, 0
	s_delay_alu instid0(SALU_CYCLE_1)
	v_mov_b32_e32 v20, s0
	v_cndmask_b32_e64 v19, 0, 1, vcc_lo
.LBB1659_1186:
	s_or_b32 exec_lo, exec_lo, s18
.LBB1659_1187:
	s_delay_alu instid0(SALU_CYCLE_1) | instskip(SKIP_2) | instid1(VALU_DEP_1)
	s_or_b32 exec_lo, exec_lo, s3
	v_add_nc_u32_e32 v57, 4, v64
	s_mov_b32 s3, exec_lo
	v_cmpx_gt_u32_e64 s6, v57
	s_cbranch_execz .LBB1659_1198
; %bb.1188:
	v_cmp_ne_u32_e32 vcc_lo, 1, v63
	s_cbranch_vccnz .LBB1659_1195
; %bb.1189:
	v_mul_lo_u32 v59, v18, s8
	v_mul_lo_u32 v60, v17, s9
	v_mad_u64_u32 v[57:58], null, v17, s8, 0
	v_mul_lo_u32 v61, v16, s8
	v_mul_lo_u32 v62, v15, s9
	v_mad_u64_u32 v[17:18], null, v15, s8, 0
	s_delay_alu instid0(VALU_DEP_4) | instskip(NEXT) | instid1(VALU_DEP_2)
	v_add3_u32 v58, v58, v60, v59
	v_add3_u32 v18, v18, v62, v61
	s_delay_alu instid0(VALU_DEP_2) | instskip(NEXT) | instid1(VALU_DEP_2)
	v_lshlrev_b64 v[57:58], 3, v[57:58]
	v_lshlrev_b64 v[17:18], 3, v[17:18]
	s_delay_alu instid0(VALU_DEP_2) | instskip(NEXT) | instid1(VALU_DEP_3)
	v_add_co_u32 v57, vcc_lo, s10, v57
	v_add_co_ci_u32_e32 v58, vcc_lo, s11, v58, vcc_lo
	s_delay_alu instid0(VALU_DEP_3) | instskip(NEXT) | instid1(VALU_DEP_4)
	v_add_co_u32 v59, vcc_lo, s10, v17
	v_add_co_ci_u32_e32 v60, vcc_lo, s11, v18, vcc_lo
	s_clause 0x1
	global_load_b64 v[17:18], v[57:58], off
	global_load_b64 v[61:62], v[59:60], off
	s_waitcnt vmcnt(0)
	v_cmp_eq_u64_e32 vcc_lo, v[17:18], v[61:62]
	v_mov_b32_e32 v17, 1
	v_mov_b32_e32 v18, 0
	s_and_saveexec_b32 s18, vcc_lo
	s_cbranch_execz .LBB1659_1197
; %bb.1190:
	v_add_co_u32 v17, vcc_lo, v59, 8
	v_add_co_ci_u32_e32 v18, vcc_lo, 0, v60, vcc_lo
	v_add_co_u32 v57, vcc_lo, v57, 8
	v_add_co_ci_u32_e32 v58, vcc_lo, 0, v58, vcc_lo
	s_add_u32 s12, s8, -1
	s_addc_u32 s13, s9, -1
	s_mov_b64 s[14:15], 0
	s_mov_b32 s19, 0
                                        ; implicit-def: $sgpr20
	s_set_inst_prefetch_distance 0x1
	s_branch .LBB1659_1193
	.p2align	6
.LBB1659_1191:                          ;   in Loop: Header=BB1659_1193 Depth=1
	global_load_b64 v[59:60], v[57:58], off
	global_load_b64 v[61:62], v[17:18], off
	v_add_co_u32 v17, vcc_lo, v17, 8
	v_add_co_ci_u32_e32 v18, vcc_lo, 0, v18, vcc_lo
	v_add_co_u32 v57, s0, v57, 8
	s_delay_alu instid0(VALU_DEP_1)
	v_add_co_ci_u32_e64 v58, s0, 0, v58, s0
	s_add_u32 s14, s14, 1
	s_addc_u32 s15, s15, 0
	s_and_not1_b32 s0, s20, exec_lo
	s_waitcnt vmcnt(0)
	v_cmp_ne_u64_e32 vcc_lo, v[59:60], v[61:62]
	s_and_b32 s20, vcc_lo, exec_lo
	s_delay_alu instid0(SALU_CYCLE_1)
	s_or_b32 s20, s0, s20
.LBB1659_1192:                          ;   in Loop: Header=BB1659_1193 Depth=1
	v_dual_mov_b32 v60, s15 :: v_dual_mov_b32 v59, s14
	s_and_b32 s0, exec_lo, s20
	s_delay_alu instid0(SALU_CYCLE_1) | instskip(NEXT) | instid1(SALU_CYCLE_1)
	s_or_b32 s19, s0, s19
	s_and_not1_b32 exec_lo, exec_lo, s19
	s_cbranch_execz .LBB1659_1196
.LBB1659_1193:                          ; =>This Inner Loop Header: Depth=1
	s_or_b32 s20, s20, exec_lo
	s_cmp_eq_u64 s[12:13], s[14:15]
	s_cbranch_scc0 .LBB1659_1191
; %bb.1194:                             ;   in Loop: Header=BB1659_1193 Depth=1
	s_mov_b64 s[14:15], s[8:9]
                                        ; implicit-def: $vgpr17_vgpr18
                                        ; implicit-def: $vgpr57_vgpr58
	s_branch .LBB1659_1192
.LBB1659_1195:
	v_mov_b32_e32 v17, 0
	v_mov_b32_e32 v18, 0
	s_branch .LBB1659_1198
.LBB1659_1196:
	s_set_inst_prefetch_distance 0x2
	s_or_b32 exec_lo, exec_lo, s19
	v_cmp_gt_i64_e32 vcc_lo, s[8:9], v[59:60]
	s_mov_b32 s0, 0
	s_delay_alu instid0(SALU_CYCLE_1)
	v_mov_b32_e32 v18, s0
	v_cndmask_b32_e64 v17, 0, 1, vcc_lo
.LBB1659_1197:
	s_or_b32 exec_lo, exec_lo, s18
.LBB1659_1198:
	s_delay_alu instid0(SALU_CYCLE_1) | instskip(SKIP_2) | instid1(VALU_DEP_1)
	s_or_b32 exec_lo, exec_lo, s3
	v_add_nc_u32_e32 v57, 3, v64
	s_mov_b32 s3, exec_lo
	v_cmpx_gt_u32_e64 s6, v57
	s_cbranch_execz .LBB1659_1209
; %bb.1199:
	v_cmp_ne_u32_e32 vcc_lo, 1, v63
	s_cbranch_vccnz .LBB1659_1206
; %bb.1200:
	v_mul_lo_u32 v59, v16, s8
	v_mul_lo_u32 v60, v15, s9
	v_mad_u64_u32 v[57:58], null, v15, s8, 0
	v_mul_lo_u32 v61, v14, s8
	v_mul_lo_u32 v62, v13, s9
	v_mad_u64_u32 v[15:16], null, v13, s8, 0
	s_delay_alu instid0(VALU_DEP_4) | instskip(NEXT) | instid1(VALU_DEP_2)
	v_add3_u32 v58, v58, v60, v59
	v_add3_u32 v16, v16, v62, v61
	s_delay_alu instid0(VALU_DEP_2) | instskip(NEXT) | instid1(VALU_DEP_2)
	v_lshlrev_b64 v[57:58], 3, v[57:58]
	v_lshlrev_b64 v[15:16], 3, v[15:16]
	s_delay_alu instid0(VALU_DEP_2) | instskip(NEXT) | instid1(VALU_DEP_3)
	v_add_co_u32 v57, vcc_lo, s10, v57
	v_add_co_ci_u32_e32 v58, vcc_lo, s11, v58, vcc_lo
	s_delay_alu instid0(VALU_DEP_3) | instskip(NEXT) | instid1(VALU_DEP_4)
	v_add_co_u32 v59, vcc_lo, s10, v15
	v_add_co_ci_u32_e32 v60, vcc_lo, s11, v16, vcc_lo
	s_clause 0x1
	global_load_b64 v[15:16], v[57:58], off
	global_load_b64 v[61:62], v[59:60], off
	s_waitcnt vmcnt(0)
	v_cmp_eq_u64_e32 vcc_lo, v[15:16], v[61:62]
	v_mov_b32_e32 v15, 1
	v_mov_b32_e32 v16, 0
	s_and_saveexec_b32 s18, vcc_lo
	s_cbranch_execz .LBB1659_1208
; %bb.1201:
	v_add_co_u32 v15, vcc_lo, v59, 8
	v_add_co_ci_u32_e32 v16, vcc_lo, 0, v60, vcc_lo
	v_add_co_u32 v57, vcc_lo, v57, 8
	v_add_co_ci_u32_e32 v58, vcc_lo, 0, v58, vcc_lo
	s_add_u32 s12, s8, -1
	s_addc_u32 s13, s9, -1
	s_mov_b64 s[14:15], 0
	s_mov_b32 s19, 0
                                        ; implicit-def: $sgpr20
	s_set_inst_prefetch_distance 0x1
	s_branch .LBB1659_1204
	.p2align	6
.LBB1659_1202:                          ;   in Loop: Header=BB1659_1204 Depth=1
	global_load_b64 v[59:60], v[57:58], off
	global_load_b64 v[61:62], v[15:16], off
	v_add_co_u32 v15, vcc_lo, v15, 8
	v_add_co_ci_u32_e32 v16, vcc_lo, 0, v16, vcc_lo
	v_add_co_u32 v57, s0, v57, 8
	s_delay_alu instid0(VALU_DEP_1)
	v_add_co_ci_u32_e64 v58, s0, 0, v58, s0
	s_add_u32 s14, s14, 1
	s_addc_u32 s15, s15, 0
	s_and_not1_b32 s0, s20, exec_lo
	s_waitcnt vmcnt(0)
	v_cmp_ne_u64_e32 vcc_lo, v[59:60], v[61:62]
	s_and_b32 s20, vcc_lo, exec_lo
	s_delay_alu instid0(SALU_CYCLE_1)
	s_or_b32 s20, s0, s20
.LBB1659_1203:                          ;   in Loop: Header=BB1659_1204 Depth=1
	v_dual_mov_b32 v60, s15 :: v_dual_mov_b32 v59, s14
	s_and_b32 s0, exec_lo, s20
	s_delay_alu instid0(SALU_CYCLE_1) | instskip(NEXT) | instid1(SALU_CYCLE_1)
	s_or_b32 s19, s0, s19
	s_and_not1_b32 exec_lo, exec_lo, s19
	s_cbranch_execz .LBB1659_1207
.LBB1659_1204:                          ; =>This Inner Loop Header: Depth=1
	s_or_b32 s20, s20, exec_lo
	s_cmp_eq_u64 s[12:13], s[14:15]
	s_cbranch_scc0 .LBB1659_1202
; %bb.1205:                             ;   in Loop: Header=BB1659_1204 Depth=1
	s_mov_b64 s[14:15], s[8:9]
                                        ; implicit-def: $vgpr15_vgpr16
                                        ; implicit-def: $vgpr57_vgpr58
	s_branch .LBB1659_1203
.LBB1659_1206:
	v_mov_b32_e32 v15, 0
	v_mov_b32_e32 v16, 0
	s_branch .LBB1659_1209
.LBB1659_1207:
	s_set_inst_prefetch_distance 0x2
	s_or_b32 exec_lo, exec_lo, s19
	v_cmp_gt_i64_e32 vcc_lo, s[8:9], v[59:60]
	s_mov_b32 s0, 0
	s_delay_alu instid0(SALU_CYCLE_1)
	v_mov_b32_e32 v16, s0
	v_cndmask_b32_e64 v15, 0, 1, vcc_lo
.LBB1659_1208:
	s_or_b32 exec_lo, exec_lo, s18
.LBB1659_1209:
	s_delay_alu instid0(SALU_CYCLE_1) | instskip(SKIP_2) | instid1(VALU_DEP_1)
	s_or_b32 exec_lo, exec_lo, s3
	v_add_nc_u32_e32 v57, 2, v64
	s_mov_b32 s3, exec_lo
	v_cmpx_gt_u32_e64 s6, v57
	s_cbranch_execz .LBB1659_1220
; %bb.1210:
	v_cmp_ne_u32_e32 vcc_lo, 1, v63
	s_cbranch_vccnz .LBB1659_1217
; %bb.1211:
	v_mul_lo_u32 v59, v14, s8
	v_mul_lo_u32 v60, v13, s9
	v_mad_u64_u32 v[57:58], null, v13, s8, 0
	v_mul_lo_u32 v61, v4, s8
	v_mul_lo_u32 v62, v3, s9
	v_mad_u64_u32 v[13:14], null, v3, s8, 0
	s_delay_alu instid0(VALU_DEP_4) | instskip(NEXT) | instid1(VALU_DEP_2)
	v_add3_u32 v58, v58, v60, v59
	v_add3_u32 v14, v14, v62, v61
	s_delay_alu instid0(VALU_DEP_2) | instskip(NEXT) | instid1(VALU_DEP_2)
	v_lshlrev_b64 v[57:58], 3, v[57:58]
	v_lshlrev_b64 v[13:14], 3, v[13:14]
	s_delay_alu instid0(VALU_DEP_2) | instskip(NEXT) | instid1(VALU_DEP_3)
	v_add_co_u32 v57, vcc_lo, s10, v57
	v_add_co_ci_u32_e32 v58, vcc_lo, s11, v58, vcc_lo
	s_delay_alu instid0(VALU_DEP_3) | instskip(NEXT) | instid1(VALU_DEP_4)
	v_add_co_u32 v59, vcc_lo, s10, v13
	v_add_co_ci_u32_e32 v60, vcc_lo, s11, v14, vcc_lo
	s_clause 0x1
	global_load_b64 v[13:14], v[57:58], off
	global_load_b64 v[61:62], v[59:60], off
	s_waitcnt vmcnt(0)
	v_cmp_eq_u64_e32 vcc_lo, v[13:14], v[61:62]
	v_mov_b32_e32 v13, 1
	v_mov_b32_e32 v14, 0
	s_and_saveexec_b32 s18, vcc_lo
	s_cbranch_execz .LBB1659_1219
; %bb.1212:
	v_add_co_u32 v13, vcc_lo, v59, 8
	v_add_co_ci_u32_e32 v14, vcc_lo, 0, v60, vcc_lo
	v_add_co_u32 v57, vcc_lo, v57, 8
	v_add_co_ci_u32_e32 v58, vcc_lo, 0, v58, vcc_lo
	s_add_u32 s12, s8, -1
	s_addc_u32 s13, s9, -1
	s_mov_b64 s[14:15], 0
	s_mov_b32 s19, 0
                                        ; implicit-def: $sgpr20
	s_set_inst_prefetch_distance 0x1
	s_branch .LBB1659_1215
	.p2align	6
.LBB1659_1213:                          ;   in Loop: Header=BB1659_1215 Depth=1
	global_load_b64 v[59:60], v[57:58], off
	global_load_b64 v[61:62], v[13:14], off
	v_add_co_u32 v13, vcc_lo, v13, 8
	v_add_co_ci_u32_e32 v14, vcc_lo, 0, v14, vcc_lo
	v_add_co_u32 v57, s0, v57, 8
	s_delay_alu instid0(VALU_DEP_1)
	v_add_co_ci_u32_e64 v58, s0, 0, v58, s0
	s_add_u32 s14, s14, 1
	s_addc_u32 s15, s15, 0
	s_and_not1_b32 s0, s20, exec_lo
	s_waitcnt vmcnt(0)
	v_cmp_ne_u64_e32 vcc_lo, v[59:60], v[61:62]
	s_and_b32 s20, vcc_lo, exec_lo
	s_delay_alu instid0(SALU_CYCLE_1)
	s_or_b32 s20, s0, s20
.LBB1659_1214:                          ;   in Loop: Header=BB1659_1215 Depth=1
	v_dual_mov_b32 v60, s15 :: v_dual_mov_b32 v59, s14
	s_and_b32 s0, exec_lo, s20
	s_delay_alu instid0(SALU_CYCLE_1) | instskip(NEXT) | instid1(SALU_CYCLE_1)
	s_or_b32 s19, s0, s19
	s_and_not1_b32 exec_lo, exec_lo, s19
	s_cbranch_execz .LBB1659_1218
.LBB1659_1215:                          ; =>This Inner Loop Header: Depth=1
	s_or_b32 s20, s20, exec_lo
	s_cmp_eq_u64 s[12:13], s[14:15]
	s_cbranch_scc0 .LBB1659_1213
; %bb.1216:                             ;   in Loop: Header=BB1659_1215 Depth=1
	s_mov_b64 s[14:15], s[8:9]
                                        ; implicit-def: $vgpr13_vgpr14
                                        ; implicit-def: $vgpr57_vgpr58
	s_branch .LBB1659_1214
.LBB1659_1217:
	v_mov_b32_e32 v13, 0
	v_mov_b32_e32 v14, 0
	s_branch .LBB1659_1220
.LBB1659_1218:
	s_set_inst_prefetch_distance 0x2
	s_or_b32 exec_lo, exec_lo, s19
	v_cmp_gt_i64_e32 vcc_lo, s[8:9], v[59:60]
	s_mov_b32 s0, 0
	s_delay_alu instid0(SALU_CYCLE_1)
	v_mov_b32_e32 v14, s0
	v_cndmask_b32_e64 v13, 0, 1, vcc_lo
.LBB1659_1219:
	s_or_b32 exec_lo, exec_lo, s18
.LBB1659_1220:
	s_delay_alu instid0(SALU_CYCLE_1) | instskip(SKIP_2) | instid1(VALU_DEP_1)
	s_or_b32 exec_lo, exec_lo, s3
	v_add_nc_u32_e32 v57, 1, v64
	s_mov_b32 s3, exec_lo
	v_cmpx_gt_u32_e64 s6, v57
	s_cbranch_execz .LBB1659_1231
; %bb.1221:
	v_cmp_ne_u32_e32 vcc_lo, 1, v63
	s_cbranch_vccnz .LBB1659_1228
; %bb.1222:
	v_mul_lo_u32 v59, v4, s8
	v_mul_lo_u32 v60, v3, s9
	v_mad_u64_u32 v[57:58], null, v3, s8, 0
	v_mul_lo_u32 v61, v2, s8
	v_mul_lo_u32 v62, v1, s9
	v_mad_u64_u32 v[3:4], null, v1, s8, 0
	s_delay_alu instid0(VALU_DEP_4) | instskip(NEXT) | instid1(VALU_DEP_2)
	v_add3_u32 v58, v58, v60, v59
	v_add3_u32 v4, v4, v62, v61
	s_delay_alu instid0(VALU_DEP_2) | instskip(NEXT) | instid1(VALU_DEP_2)
	v_lshlrev_b64 v[57:58], 3, v[57:58]
	v_lshlrev_b64 v[3:4], 3, v[3:4]
	s_delay_alu instid0(VALU_DEP_2) | instskip(NEXT) | instid1(VALU_DEP_3)
	v_add_co_u32 v57, vcc_lo, s10, v57
	v_add_co_ci_u32_e32 v58, vcc_lo, s11, v58, vcc_lo
	s_delay_alu instid0(VALU_DEP_3) | instskip(NEXT) | instid1(VALU_DEP_4)
	v_add_co_u32 v59, vcc_lo, s10, v3
	v_add_co_ci_u32_e32 v60, vcc_lo, s11, v4, vcc_lo
	s_clause 0x1
	global_load_b64 v[3:4], v[57:58], off
	global_load_b64 v[61:62], v[59:60], off
	s_waitcnt vmcnt(0)
	v_cmp_eq_u64_e32 vcc_lo, v[3:4], v[61:62]
	v_mov_b32_e32 v3, 1
	v_mov_b32_e32 v4, 0
	s_and_saveexec_b32 s18, vcc_lo
	s_cbranch_execz .LBB1659_1230
; %bb.1223:
	v_add_co_u32 v3, vcc_lo, v59, 8
	v_add_co_ci_u32_e32 v4, vcc_lo, 0, v60, vcc_lo
	v_add_co_u32 v57, vcc_lo, v57, 8
	v_add_co_ci_u32_e32 v58, vcc_lo, 0, v58, vcc_lo
	s_add_u32 s12, s8, -1
	s_addc_u32 s13, s9, -1
	s_mov_b64 s[14:15], 0
	s_mov_b32 s19, 0
                                        ; implicit-def: $sgpr20
	s_set_inst_prefetch_distance 0x1
	s_branch .LBB1659_1226
	.p2align	6
.LBB1659_1224:                          ;   in Loop: Header=BB1659_1226 Depth=1
	global_load_b64 v[59:60], v[57:58], off
	global_load_b64 v[61:62], v[3:4], off
	v_add_co_u32 v3, vcc_lo, v3, 8
	v_add_co_ci_u32_e32 v4, vcc_lo, 0, v4, vcc_lo
	v_add_co_u32 v57, s0, v57, 8
	s_delay_alu instid0(VALU_DEP_1)
	v_add_co_ci_u32_e64 v58, s0, 0, v58, s0
	s_add_u32 s14, s14, 1
	s_addc_u32 s15, s15, 0
	s_and_not1_b32 s0, s20, exec_lo
	s_waitcnt vmcnt(0)
	v_cmp_ne_u64_e32 vcc_lo, v[59:60], v[61:62]
	s_and_b32 s20, vcc_lo, exec_lo
	s_delay_alu instid0(SALU_CYCLE_1)
	s_or_b32 s20, s0, s20
.LBB1659_1225:                          ;   in Loop: Header=BB1659_1226 Depth=1
	v_dual_mov_b32 v60, s15 :: v_dual_mov_b32 v59, s14
	s_and_b32 s0, exec_lo, s20
	s_delay_alu instid0(SALU_CYCLE_1) | instskip(NEXT) | instid1(SALU_CYCLE_1)
	s_or_b32 s19, s0, s19
	s_and_not1_b32 exec_lo, exec_lo, s19
	s_cbranch_execz .LBB1659_1229
.LBB1659_1226:                          ; =>This Inner Loop Header: Depth=1
	s_or_b32 s20, s20, exec_lo
	s_cmp_eq_u64 s[12:13], s[14:15]
	s_cbranch_scc0 .LBB1659_1224
; %bb.1227:                             ;   in Loop: Header=BB1659_1226 Depth=1
	s_mov_b64 s[14:15], s[8:9]
                                        ; implicit-def: $vgpr3_vgpr4
                                        ; implicit-def: $vgpr57_vgpr58
	s_branch .LBB1659_1225
.LBB1659_1228:
	v_mov_b32_e32 v3, 0
	v_mov_b32_e32 v4, 0
	s_branch .LBB1659_1231
.LBB1659_1229:
	s_set_inst_prefetch_distance 0x2
	s_or_b32 exec_lo, exec_lo, s19
	v_cmp_gt_i64_e32 vcc_lo, s[8:9], v[59:60]
	s_mov_b32 s0, 0
	s_delay_alu instid0(SALU_CYCLE_1)
	v_mov_b32_e32 v4, s0
	v_cndmask_b32_e64 v3, 0, 1, vcc_lo
.LBB1659_1230:
	s_or_b32 exec_lo, exec_lo, s18
.LBB1659_1231:
	s_delay_alu instid0(SALU_CYCLE_1)
	s_or_b32 exec_lo, exec_lo, s3
	v_cmp_ne_u32_e32 vcc_lo, 0, v0
	v_cmp_gt_u32_e64 s0, s6, v64
	s_mov_b32 s12, 0
	s_waitcnt lgkmcnt(0)
	s_barrier
	buffer_gl0_inv
	s_and_b32 s13, vcc_lo, s0
                                        ; implicit-def: $sgpr0
	s_delay_alu instid0(SALU_CYCLE_1)
	s_and_saveexec_b32 s3, s13
	s_cbranch_execz .LBB1659_1242
; %bb.1232:
	v_cmp_ne_u32_e32 vcc_lo, 1, v63
	s_cbranch_vccnz .LBB1659_1241
; %bb.1233:
	v_add_nc_u32_e32 v57, -8, v195
	v_mul_lo_u32 v61, v2, s8
	v_mul_lo_u32 v62, v1, s9
	v_mad_u64_u32 v[59:60], null, v1, s8, 0
	ds_load_b64 v[57:58], v57
	s_mov_b32 s12, -1
	s_mov_b32 s14, exec_lo
	v_add3_u32 v60, v60, v62, v61
	s_waitcnt lgkmcnt(0)
	v_mul_lo_u32 v58, v58, s8
	v_mul_lo_u32 v63, v57, s9
	v_mad_u64_u32 v[1:2], null, v57, s8, 0
	s_delay_alu instid0(VALU_DEP_1) | instskip(SKIP_1) | instid1(VALU_DEP_2)
	v_add3_u32 v2, v2, v63, v58
	v_lshlrev_b64 v[57:58], 3, v[59:60]
	v_lshlrev_b64 v[1:2], 3, v[1:2]
	s_delay_alu instid0(VALU_DEP_2) | instskip(NEXT) | instid1(VALU_DEP_3)
	v_add_co_u32 v57, vcc_lo, s10, v57
	v_add_co_ci_u32_e32 v58, vcc_lo, s11, v58, vcc_lo
	s_delay_alu instid0(VALU_DEP_3) | instskip(NEXT) | instid1(VALU_DEP_4)
	v_add_co_u32 v1, vcc_lo, s10, v1
	v_add_co_ci_u32_e32 v2, vcc_lo, s11, v2, vcc_lo
	s_clause 0x1
	global_load_b64 v[59:60], v[57:58], off
	global_load_b64 v[61:62], v[1:2], off
	s_waitcnt vmcnt(0)
	v_cmpx_eq_u64_e64 v[59:60], v[61:62]
	s_cbranch_execz .LBB1659_1240
; %bb.1234:
	v_add_co_u32 v1, vcc_lo, v1, 8
	v_add_co_ci_u32_e32 v2, vcc_lo, 0, v2, vcc_lo
	v_add_co_u32 v57, vcc_lo, v57, 8
	v_add_co_ci_u32_e32 v58, vcc_lo, 0, v58, vcc_lo
	s_add_u32 s10, s8, -1
	s_addc_u32 s11, s9, -1
	s_mov_b64 s[12:13], 0
	s_mov_b32 s15, 0
                                        ; implicit-def: $sgpr18
	s_set_inst_prefetch_distance 0x1
	s_branch .LBB1659_1237
	.p2align	6
.LBB1659_1235:                          ;   in Loop: Header=BB1659_1237 Depth=1
	global_load_b64 v[59:60], v[57:58], off
	global_load_b64 v[61:62], v[1:2], off
	v_add_co_u32 v1, vcc_lo, v1, 8
	v_add_co_ci_u32_e32 v2, vcc_lo, 0, v2, vcc_lo
	v_add_co_u32 v57, s0, v57, 8
	s_delay_alu instid0(VALU_DEP_1)
	v_add_co_ci_u32_e64 v58, s0, 0, v58, s0
	s_add_u32 s12, s12, 1
	s_addc_u32 s13, s13, 0
	s_and_not1_b32 s0, s18, exec_lo
	s_waitcnt vmcnt(0)
	v_cmp_ne_u64_e32 vcc_lo, v[59:60], v[61:62]
	s_and_b32 s18, vcc_lo, exec_lo
	s_delay_alu instid0(SALU_CYCLE_1)
	s_or_b32 s18, s0, s18
.LBB1659_1236:                          ;   in Loop: Header=BB1659_1237 Depth=1
	v_dual_mov_b32 v60, s13 :: v_dual_mov_b32 v59, s12
	s_and_b32 s0, exec_lo, s18
	s_delay_alu instid0(SALU_CYCLE_1) | instskip(NEXT) | instid1(SALU_CYCLE_1)
	s_or_b32 s15, s0, s15
	s_and_not1_b32 exec_lo, exec_lo, s15
	s_cbranch_execz .LBB1659_1239
.LBB1659_1237:                          ; =>This Inner Loop Header: Depth=1
	s_or_b32 s18, s18, exec_lo
	s_cmp_eq_u64 s[10:11], s[12:13]
	s_cbranch_scc0 .LBB1659_1235
; %bb.1238:                             ;   in Loop: Header=BB1659_1237 Depth=1
	s_mov_b64 s[12:13], s[8:9]
                                        ; implicit-def: $vgpr1_vgpr2
                                        ; implicit-def: $vgpr57_vgpr58
	s_branch .LBB1659_1236
.LBB1659_1239:
	s_set_inst_prefetch_distance 0x2
	s_or_b32 exec_lo, exec_lo, s15
	v_cmp_gt_i64_e32 vcc_lo, s[8:9], v[59:60]
	s_or_not1_b32 s12, vcc_lo, exec_lo
.LBB1659_1240:
	s_or_b32 exec_lo, exec_lo, s14
.LBB1659_1241:
	s_delay_alu instid0(SALU_CYCLE_1)
	s_and_b32 s0, s12, exec_lo
	s_or_b32 s1, s1, exec_lo
.LBB1659_1242:
	s_or_b32 exec_lo, exec_lo, s3
	v_dual_mov_b32 v166, v4 :: v_dual_mov_b32 v165, v3
	v_dual_mov_b32 v164, v14 :: v_dual_mov_b32 v163, v13
	;; [unrolled: 1-line block ×55, first 2 shown]
.LBB1659_1243:
	s_and_saveexec_b32 s3, s1
	s_cbranch_execz .LBB1659_1245
; %bb.1244:
	s_mov_b32 s1, 0
	v_dual_mov_b32 v194, v114 :: v_dual_mov_b32 v63, v117
	v_dual_mov_b32 v2, s1 :: v_dual_mov_b32 v59, v115
	;; [unrolled: 1-line block ×13, first 2 shown]
	v_mov_b32_e32 v168, v164
	v_dual_mov_b32 v182, v166 :: v_dual_mov_b32 v181, v165
	v_cndmask_b32_e64 v1, 0, 1, s0
	v_dual_mov_b32 v60, v116 :: v_dual_mov_b32 v193, v113
	v_dual_mov_b32 v64, v118 :: v_dual_mov_b32 v191, v119
	;; [unrolled: 1-line block ×13, first 2 shown]
.LBB1659_1245:
	s_or_b32 exec_lo, exec_lo, s3
	v_mul_u32_u24_e32 v65, 0xe8, v0
	v_mul_i32_i24_e32 v66, 0xffffff20, v0
	s_add_u32 s8, s4, s16
	s_addc_u32 s4, s5, s17
	s_and_b32 vcc_lo, exec_lo, s26
	s_waitcnt lgkmcnt(0)
	s_barrier
	buffer_gl0_inv
	s_cbranch_vccz .LBB1659_1303
; %bb.1246:
	v_dual_mov_b32 v3, v181 :: v_dual_mov_b32 v4, v182
	s_mov_b32 s3, 0
	ds_store_2addr_b64 v65, v[169:170], v[103:104] offset0:4 offset1:5
	ds_store_2addr_b64 v65, v[171:172], v[99:100] offset0:6 offset1:7
	ds_store_2addr_b64 v65, v[1:2], v[3:4] offset1:1
	ds_store_2addr_b64 v65, v[167:168], v[107:108] offset0:2 offset1:3
	ds_store_2addr_b64 v65, v[173:174], v[95:96] offset0:8 offset1:9
	;; [unrolled: 1-line block ×11, first 2 shown]
	v_mad_u32_u24 v3, 0xe8, v0, v66
	ds_store_b64 v65, v[111:112] offset:224
	s_waitcnt lgkmcnt(0)
	s_barrier
	buffer_gl0_inv
	ds_load_2addr_stride64_b64 v[55:58], v3 offset0:2 offset1:4
	ds_load_2addr_stride64_b64 v[51:54], v3 offset0:6 offset1:8
	;; [unrolled: 1-line block ×14, first 2 shown]
	s_lshl_b64 s[0:1], s[2:3], 3
	s_add_i32 s7, s7, s6
	s_add_u32 s0, s8, s0
	s_addc_u32 s1, s4, s1
	v_add_co_u32 v61, s0, s0, v195
	s_delay_alu instid0(VALU_DEP_1)
	v_add_co_ci_u32_e64 v62, null, s1, 0, s0
	s_mov_b32 s0, exec_lo
	v_cmpx_gt_u32_e64 s7, v0
	s_cbranch_execz .LBB1659_1248
; %bb.1247:
	v_add_nc_u32_e32 v69, v65, v66
	ds_load_b64 v[69:70], v69
	s_waitcnt lgkmcnt(0)
	global_store_b64 v[61:62], v[69:70], off
.LBB1659_1248:
	s_or_b32 exec_lo, exec_lo, s0
	v_or_b32_e32 v69, 0x80, v0
	s_mov_b32 s0, exec_lo
	s_delay_alu instid0(VALU_DEP_1)
	v_cmpx_gt_u32_e64 s7, v69
	s_cbranch_execz .LBB1659_1250
; %bb.1249:
	s_waitcnt lgkmcnt(13)
	global_store_b64 v[61:62], v[55:56], off offset:1024
.LBB1659_1250:
	s_or_b32 exec_lo, exec_lo, s0
	s_waitcnt lgkmcnt(13)
	v_or_b32_e32 v55, 0x100, v0
	s_mov_b32 s0, exec_lo
	s_delay_alu instid0(VALU_DEP_1)
	v_cmpx_gt_u32_e64 s7, v55
	s_cbranch_execz .LBB1659_1252
; %bb.1251:
	global_store_b64 v[61:62], v[57:58], off offset:2048
.LBB1659_1252:
	s_or_b32 exec_lo, exec_lo, s0
	v_or_b32_e32 v55, 0x180, v0
	s_mov_b32 s0, exec_lo
	s_delay_alu instid0(VALU_DEP_1)
	v_cmpx_gt_u32_e64 s7, v55
	s_cbranch_execz .LBB1659_1254
; %bb.1253:
	s_waitcnt lgkmcnt(12)
	global_store_b64 v[61:62], v[51:52], off offset:3072
.LBB1659_1254:
	s_or_b32 exec_lo, exec_lo, s0
	s_waitcnt lgkmcnt(12)
	v_or_b32_e32 v51, 0x200, v0
	s_mov_b32 s0, exec_lo
	s_delay_alu instid0(VALU_DEP_1)
	v_cmpx_gt_u32_e64 s7, v51
	s_cbranch_execz .LBB1659_1256
; %bb.1255:
	v_add_co_u32 v51, vcc_lo, 0x1000, v61
	v_add_co_ci_u32_e32 v52, vcc_lo, 0, v62, vcc_lo
	global_store_b64 v[51:52], v[53:54], off
.LBB1659_1256:
	s_or_b32 exec_lo, exec_lo, s0
	v_or_b32_e32 v51, 0x280, v0
	s_mov_b32 s0, exec_lo
	s_delay_alu instid0(VALU_DEP_1)
	v_cmpx_gt_u32_e64 s7, v51
	s_cbranch_execz .LBB1659_1258
; %bb.1257:
	v_add_co_u32 v51, vcc_lo, 0x1000, v61
	v_add_co_ci_u32_e32 v52, vcc_lo, 0, v62, vcc_lo
	s_waitcnt lgkmcnt(11)
	global_store_b64 v[51:52], v[47:48], off offset:1024
.LBB1659_1258:
	s_or_b32 exec_lo, exec_lo, s0
	s_waitcnt lgkmcnt(11)
	v_or_b32_e32 v47, 0x300, v0
	s_mov_b32 s0, exec_lo
	s_delay_alu instid0(VALU_DEP_1)
	v_cmpx_gt_u32_e64 s7, v47
	s_cbranch_execz .LBB1659_1260
; %bb.1259:
	v_add_co_u32 v47, vcc_lo, 0x1000, v61
	v_add_co_ci_u32_e32 v48, vcc_lo, 0, v62, vcc_lo
	global_store_b64 v[47:48], v[49:50], off offset:2048
.LBB1659_1260:
	s_or_b32 exec_lo, exec_lo, s0
	v_or_b32_e32 v47, 0x380, v0
	s_mov_b32 s0, exec_lo
	s_delay_alu instid0(VALU_DEP_1)
	v_cmpx_gt_u32_e64 s7, v47
	s_cbranch_execz .LBB1659_1262
; %bb.1261:
	v_add_co_u32 v47, vcc_lo, 0x1000, v61
	v_add_co_ci_u32_e32 v48, vcc_lo, 0, v62, vcc_lo
	s_waitcnt lgkmcnt(10)
	global_store_b64 v[47:48], v[43:44], off offset:3072
.LBB1659_1262:
	s_or_b32 exec_lo, exec_lo, s0
	s_waitcnt lgkmcnt(10)
	v_or_b32_e32 v43, 0x400, v0
	s_mov_b32 s0, exec_lo
	s_delay_alu instid0(VALU_DEP_1)
	v_cmpx_gt_u32_e64 s7, v43
	s_cbranch_execz .LBB1659_1264
; %bb.1263:
	v_add_co_u32 v43, vcc_lo, 0x2000, v61
	v_add_co_ci_u32_e32 v44, vcc_lo, 0, v62, vcc_lo
	global_store_b64 v[43:44], v[45:46], off
.LBB1659_1264:
	s_or_b32 exec_lo, exec_lo, s0
	v_or_b32_e32 v43, 0x480, v0
	s_mov_b32 s0, exec_lo
	s_delay_alu instid0(VALU_DEP_1)
	v_cmpx_gt_u32_e64 s7, v43
	s_cbranch_execz .LBB1659_1266
; %bb.1265:
	v_add_co_u32 v43, vcc_lo, 0x2000, v61
	v_add_co_ci_u32_e32 v44, vcc_lo, 0, v62, vcc_lo
	s_waitcnt lgkmcnt(9)
	global_store_b64 v[43:44], v[39:40], off offset:1024
.LBB1659_1266:
	s_or_b32 exec_lo, exec_lo, s0
	s_waitcnt lgkmcnt(9)
	v_or_b32_e32 v39, 0x500, v0
	s_mov_b32 s0, exec_lo
	s_delay_alu instid0(VALU_DEP_1)
	v_cmpx_gt_u32_e64 s7, v39
	s_cbranch_execz .LBB1659_1268
; %bb.1267:
	v_add_co_u32 v39, vcc_lo, 0x2000, v61
	v_add_co_ci_u32_e32 v40, vcc_lo, 0, v62, vcc_lo
	global_store_b64 v[39:40], v[41:42], off offset:2048
.LBB1659_1268:
	s_or_b32 exec_lo, exec_lo, s0
	v_or_b32_e32 v39, 0x580, v0
	s_mov_b32 s0, exec_lo
	s_delay_alu instid0(VALU_DEP_1)
	v_cmpx_gt_u32_e64 s7, v39
	s_cbranch_execz .LBB1659_1270
; %bb.1269:
	v_add_co_u32 v39, vcc_lo, 0x2000, v61
	v_add_co_ci_u32_e32 v40, vcc_lo, 0, v62, vcc_lo
	s_waitcnt lgkmcnt(8)
	global_store_b64 v[39:40], v[35:36], off offset:3072
.LBB1659_1270:
	;; [unrolled: 48-line block ×6, first 2 shown]
	s_or_b32 exec_lo, exec_lo, s0
	s_waitcnt lgkmcnt(0)
	v_or_b32_e32 v3, 0xe00, v0
	s_delay_alu instid0(VALU_DEP_1)
	v_cmp_gt_u32_e64 s5, s7, v3
	s_branch .LBB1659_1305
.LBB1659_1303:
	s_mov_b32 s5, 0
                                        ; implicit-def: $vgpr5_vgpr6
                                        ; implicit-def: $vgpr61_vgpr62
	s_cbranch_execz .LBB1659_1305
; %bb.1304:
	v_mad_u32_u24 v4, 0xe8, v0, v66
	ds_store_2addr_b64 v65, v[1:2], v[181:182] offset1:1
	ds_store_2addr_b64 v65, v[167:168], v[107:108] offset0:2 offset1:3
	ds_store_2addr_b64 v65, v[169:170], v[103:104] offset0:4 offset1:5
	;; [unrolled: 1-line block ×13, first 2 shown]
	ds_store_b64 v65, v[111:112] offset:224
	s_waitcnt lgkmcnt(0)
	s_waitcnt_vscnt null, 0x0
	s_barrier
	buffer_gl0_inv
	ds_load_2addr_stride64_b64 v[0:3], v4 offset1:2
	s_mov_b32 s3, 0
	ds_load_2addr_stride64_b64 v[7:10], v4 offset0:4 offset1:6
	ds_load_2addr_stride64_b64 v[11:14], v4 offset0:8 offset1:10
	;; [unrolled: 1-line block ×13, first 2 shown]
	ds_load_b64 v[5:6], v4 offset:28672
	s_lshl_b64 s[0:1], s[2:3], 3
	s_delay_alu instid0(SALU_CYCLE_1) | instskip(SKIP_2) | instid1(VALU_DEP_1)
	s_add_u32 s0, s8, s0
	s_addc_u32 s1, s4, s1
	v_add_co_u32 v61, s2, s0, v195
	v_add_co_ci_u32_e64 v62, null, s1, 0, s2
	s_or_b32 s5, s5, exec_lo
	s_waitcnt lgkmcnt(14)
	s_clause 0x1
	global_store_b64 v195, v[0:1], s[0:1]
	global_store_b64 v195, v[2:3], s[0:1] offset:1024
	s_waitcnt lgkmcnt(13)
	s_clause 0x1
	global_store_b64 v195, v[7:8], s[0:1] offset:2048
	global_store_b64 v195, v[9:10], s[0:1] offset:3072
	v_add_co_u32 v0, vcc_lo, 0x1000, v61
	v_add_co_ci_u32_e32 v1, vcc_lo, 0, v62, vcc_lo
	v_add_co_u32 v2, vcc_lo, v61, 0x2000
	v_add_co_ci_u32_e32 v3, vcc_lo, 0, v62, vcc_lo
	;; [unrolled: 2-line block ×3, first 2 shown]
	s_waitcnt lgkmcnt(10)
	s_clause 0x4
	global_store_b64 v[2:3], v[19:20], off
	global_store_b64 v[0:1], v[13:14], off offset:1024
	global_store_b64 v[0:1], v[15:16], off offset:2048
	;; [unrolled: 1-line block ×4, first 2 shown]
	v_add_co_u32 v0, vcc_lo, 0x3000, v61
	v_add_co_ci_u32_e32 v1, vcc_lo, 0, v62, vcc_lo
	v_add_co_u32 v9, vcc_lo, v61, 0x4000
	v_add_co_ci_u32_e32 v10, vcc_lo, 0, v62, vcc_lo
	;; [unrolled: 2-line block ×3, first 2 shown]
	s_waitcnt lgkmcnt(9)
	s_clause 0x1
	global_store_b64 v[7:8], v[23:24], off offset:2048
	global_store_b64 v[7:8], v[25:26], off offset:3072
	s_waitcnt lgkmcnt(8)
	global_store_b64 v[0:1], v[29:30], off offset:1024
	s_waitcnt lgkmcnt(7)
	s_clause 0x1
	global_store_b64 v[0:1], v[31:32], off offset:2048
	global_store_b64 v[0:1], v[33:34], off offset:3072
	s_waitcnt lgkmcnt(6)
	global_store_b64 v[13:14], v[37:38], off offset:1024
	s_waitcnt lgkmcnt(5)
	s_clause 0x1
	global_store_b64 v[13:14], v[39:40], off offset:2048
	global_store_b64 v[13:14], v[41:42], off offset:3072
	v_add_co_u32 v0, vcc_lo, 0x5000, v61
	v_add_co_ci_u32_e32 v1, vcc_lo, 0, v62, vcc_lo
	v_add_co_u32 v7, vcc_lo, v61, 0x6000
	v_add_co_ci_u32_e32 v8, vcc_lo, 0, v62, vcc_lo
	;; [unrolled: 2-line block ×3, first 2 shown]
	s_clause 0x1
	global_store_b64 v[9:10], v[27:28], off offset:-4096
	global_store_b64 v[9:10], v[35:36], off
	s_waitcnt lgkmcnt(4)
	global_store_b64 v[7:8], v[43:44], off offset:-4096
	s_waitcnt lgkmcnt(2)
	s_clause 0x4
	global_store_b64 v[7:8], v[51:52], off
	global_store_b64 v[0:1], v[45:46], off offset:1024
	global_store_b64 v[0:1], v[47:48], off offset:2048
	;; [unrolled: 1-line block ×4, first 2 shown]
	s_waitcnt lgkmcnt(1)
	s_clause 0x2
	global_store_b64 v[13:14], v[55:56], off offset:2048
	global_store_b64 v[2:3], v[11:12], off offset:-4096
	global_store_b64 v[13:14], v[57:58], off offset:3072
.LBB1659_1305:
	s_delay_alu instid0(VALU_DEP_1)
	s_and_saveexec_b32 s0, s5
	s_cbranch_execnz .LBB1659_1307
; %bb.1306:
	s_nop 0
	s_sendmsg sendmsg(MSG_DEALLOC_VGPRS)
	s_endpgm
.LBB1659_1307:
	v_add_co_u32 v0, vcc_lo, 0x7000, v61
	v_add_co_ci_u32_e32 v1, vcc_lo, 0, v62, vcc_lo
	s_waitcnt lgkmcnt(0)
	global_store_b64 v[0:1], v[5:6], off
	s_nop 0
	s_sendmsg sendmsg(MSG_DEALLOC_VGPRS)
	s_endpgm
	.section	.rodata,"a",@progbits
	.p2align	6, 0x0
	.amdhsa_kernel _ZN7rocprim17ROCPRIM_400000_NS6detail17trampoline_kernelINS0_14default_configENS1_35adjacent_difference_config_selectorILb1ElEEZNS1_24adjacent_difference_implIS3_Lb1ELb0EPlS7_ZN2at6native12_GLOBAL__N_124unique_dim_cuda_templateImEESt5tupleIJNS8_6TensorESD_SD_EERKSD_lbbbEUlllE1_EE10hipError_tPvRmT2_T3_mT4_P12ihipStream_tbEUlT_E_NS1_11comp_targetILNS1_3genE9ELNS1_11target_archE1100ELNS1_3gpuE3ELNS1_3repE0EEENS1_30default_config_static_selectorELNS0_4arch9wavefront6targetE0EEEvT1_
		.amdhsa_group_segment_fixed_size 29696
		.amdhsa_private_segment_fixed_size 0
		.amdhsa_kernarg_size 64
		.amdhsa_user_sgpr_count 15
		.amdhsa_user_sgpr_dispatch_ptr 0
		.amdhsa_user_sgpr_queue_ptr 0
		.amdhsa_user_sgpr_kernarg_segment_ptr 1
		.amdhsa_user_sgpr_dispatch_id 0
		.amdhsa_user_sgpr_private_segment_size 0
		.amdhsa_wavefront_size32 1
		.amdhsa_uses_dynamic_stack 0
		.amdhsa_enable_private_segment 0
		.amdhsa_system_sgpr_workgroup_id_x 1
		.amdhsa_system_sgpr_workgroup_id_y 0
		.amdhsa_system_sgpr_workgroup_id_z 0
		.amdhsa_system_sgpr_workgroup_info 0
		.amdhsa_system_vgpr_workitem_id 0
		.amdhsa_next_free_vgpr 196
		.amdhsa_next_free_sgpr 30
		.amdhsa_reserve_vcc 1
		.amdhsa_float_round_mode_32 0
		.amdhsa_float_round_mode_16_64 0
		.amdhsa_float_denorm_mode_32 3
		.amdhsa_float_denorm_mode_16_64 3
		.amdhsa_dx10_clamp 1
		.amdhsa_ieee_mode 1
		.amdhsa_fp16_overflow 0
		.amdhsa_workgroup_processor_mode 1
		.amdhsa_memory_ordered 1
		.amdhsa_forward_progress 0
		.amdhsa_shared_vgpr_count 0
		.amdhsa_exception_fp_ieee_invalid_op 0
		.amdhsa_exception_fp_denorm_src 0
		.amdhsa_exception_fp_ieee_div_zero 0
		.amdhsa_exception_fp_ieee_overflow 0
		.amdhsa_exception_fp_ieee_underflow 0
		.amdhsa_exception_fp_ieee_inexact 0
		.amdhsa_exception_int_div_zero 0
	.end_amdhsa_kernel
	.section	.text._ZN7rocprim17ROCPRIM_400000_NS6detail17trampoline_kernelINS0_14default_configENS1_35adjacent_difference_config_selectorILb1ElEEZNS1_24adjacent_difference_implIS3_Lb1ELb0EPlS7_ZN2at6native12_GLOBAL__N_124unique_dim_cuda_templateImEESt5tupleIJNS8_6TensorESD_SD_EERKSD_lbbbEUlllE1_EE10hipError_tPvRmT2_T3_mT4_P12ihipStream_tbEUlT_E_NS1_11comp_targetILNS1_3genE9ELNS1_11target_archE1100ELNS1_3gpuE3ELNS1_3repE0EEENS1_30default_config_static_selectorELNS0_4arch9wavefront6targetE0EEEvT1_,"axG",@progbits,_ZN7rocprim17ROCPRIM_400000_NS6detail17trampoline_kernelINS0_14default_configENS1_35adjacent_difference_config_selectorILb1ElEEZNS1_24adjacent_difference_implIS3_Lb1ELb0EPlS7_ZN2at6native12_GLOBAL__N_124unique_dim_cuda_templateImEESt5tupleIJNS8_6TensorESD_SD_EERKSD_lbbbEUlllE1_EE10hipError_tPvRmT2_T3_mT4_P12ihipStream_tbEUlT_E_NS1_11comp_targetILNS1_3genE9ELNS1_11target_archE1100ELNS1_3gpuE3ELNS1_3repE0EEENS1_30default_config_static_selectorELNS0_4arch9wavefront6targetE0EEEvT1_,comdat
.Lfunc_end1659:
	.size	_ZN7rocprim17ROCPRIM_400000_NS6detail17trampoline_kernelINS0_14default_configENS1_35adjacent_difference_config_selectorILb1ElEEZNS1_24adjacent_difference_implIS3_Lb1ELb0EPlS7_ZN2at6native12_GLOBAL__N_124unique_dim_cuda_templateImEESt5tupleIJNS8_6TensorESD_SD_EERKSD_lbbbEUlllE1_EE10hipError_tPvRmT2_T3_mT4_P12ihipStream_tbEUlT_E_NS1_11comp_targetILNS1_3genE9ELNS1_11target_archE1100ELNS1_3gpuE3ELNS1_3repE0EEENS1_30default_config_static_selectorELNS0_4arch9wavefront6targetE0EEEvT1_, .Lfunc_end1659-_ZN7rocprim17ROCPRIM_400000_NS6detail17trampoline_kernelINS0_14default_configENS1_35adjacent_difference_config_selectorILb1ElEEZNS1_24adjacent_difference_implIS3_Lb1ELb0EPlS7_ZN2at6native12_GLOBAL__N_124unique_dim_cuda_templateImEESt5tupleIJNS8_6TensorESD_SD_EERKSD_lbbbEUlllE1_EE10hipError_tPvRmT2_T3_mT4_P12ihipStream_tbEUlT_E_NS1_11comp_targetILNS1_3genE9ELNS1_11target_archE1100ELNS1_3gpuE3ELNS1_3repE0EEENS1_30default_config_static_selectorELNS0_4arch9wavefront6targetE0EEEvT1_
                                        ; -- End function
	.section	.AMDGPU.csdata,"",@progbits
; Kernel info:
; codeLenInByte = 52388
; NumSgprs: 32
; NumVgprs: 196
; ScratchSize: 0
; MemoryBound: 1
; FloatMode: 240
; IeeeMode: 1
; LDSByteSize: 29696 bytes/workgroup (compile time only)
; SGPRBlocks: 3
; VGPRBlocks: 24
; NumSGPRsForWavesPerEU: 32
; NumVGPRsForWavesPerEU: 196
; Occupancy: 4
; WaveLimiterHint : 1
; COMPUTE_PGM_RSRC2:SCRATCH_EN: 0
; COMPUTE_PGM_RSRC2:USER_SGPR: 15
; COMPUTE_PGM_RSRC2:TRAP_HANDLER: 0
; COMPUTE_PGM_RSRC2:TGID_X_EN: 1
; COMPUTE_PGM_RSRC2:TGID_Y_EN: 0
; COMPUTE_PGM_RSRC2:TGID_Z_EN: 0
; COMPUTE_PGM_RSRC2:TIDIG_COMP_CNT: 0
	.section	.text._ZN7rocprim17ROCPRIM_400000_NS6detail17trampoline_kernelINS0_14default_configENS1_35adjacent_difference_config_selectorILb1ElEEZNS1_24adjacent_difference_implIS3_Lb1ELb0EPlS7_ZN2at6native12_GLOBAL__N_124unique_dim_cuda_templateImEESt5tupleIJNS8_6TensorESD_SD_EERKSD_lbbbEUlllE1_EE10hipError_tPvRmT2_T3_mT4_P12ihipStream_tbEUlT_E_NS1_11comp_targetILNS1_3genE8ELNS1_11target_archE1030ELNS1_3gpuE2ELNS1_3repE0EEENS1_30default_config_static_selectorELNS0_4arch9wavefront6targetE0EEEvT1_,"axG",@progbits,_ZN7rocprim17ROCPRIM_400000_NS6detail17trampoline_kernelINS0_14default_configENS1_35adjacent_difference_config_selectorILb1ElEEZNS1_24adjacent_difference_implIS3_Lb1ELb0EPlS7_ZN2at6native12_GLOBAL__N_124unique_dim_cuda_templateImEESt5tupleIJNS8_6TensorESD_SD_EERKSD_lbbbEUlllE1_EE10hipError_tPvRmT2_T3_mT4_P12ihipStream_tbEUlT_E_NS1_11comp_targetILNS1_3genE8ELNS1_11target_archE1030ELNS1_3gpuE2ELNS1_3repE0EEENS1_30default_config_static_selectorELNS0_4arch9wavefront6targetE0EEEvT1_,comdat
	.globl	_ZN7rocprim17ROCPRIM_400000_NS6detail17trampoline_kernelINS0_14default_configENS1_35adjacent_difference_config_selectorILb1ElEEZNS1_24adjacent_difference_implIS3_Lb1ELb0EPlS7_ZN2at6native12_GLOBAL__N_124unique_dim_cuda_templateImEESt5tupleIJNS8_6TensorESD_SD_EERKSD_lbbbEUlllE1_EE10hipError_tPvRmT2_T3_mT4_P12ihipStream_tbEUlT_E_NS1_11comp_targetILNS1_3genE8ELNS1_11target_archE1030ELNS1_3gpuE2ELNS1_3repE0EEENS1_30default_config_static_selectorELNS0_4arch9wavefront6targetE0EEEvT1_ ; -- Begin function _ZN7rocprim17ROCPRIM_400000_NS6detail17trampoline_kernelINS0_14default_configENS1_35adjacent_difference_config_selectorILb1ElEEZNS1_24adjacent_difference_implIS3_Lb1ELb0EPlS7_ZN2at6native12_GLOBAL__N_124unique_dim_cuda_templateImEESt5tupleIJNS8_6TensorESD_SD_EERKSD_lbbbEUlllE1_EE10hipError_tPvRmT2_T3_mT4_P12ihipStream_tbEUlT_E_NS1_11comp_targetILNS1_3genE8ELNS1_11target_archE1030ELNS1_3gpuE2ELNS1_3repE0EEENS1_30default_config_static_selectorELNS0_4arch9wavefront6targetE0EEEvT1_
	.p2align	8
	.type	_ZN7rocprim17ROCPRIM_400000_NS6detail17trampoline_kernelINS0_14default_configENS1_35adjacent_difference_config_selectorILb1ElEEZNS1_24adjacent_difference_implIS3_Lb1ELb0EPlS7_ZN2at6native12_GLOBAL__N_124unique_dim_cuda_templateImEESt5tupleIJNS8_6TensorESD_SD_EERKSD_lbbbEUlllE1_EE10hipError_tPvRmT2_T3_mT4_P12ihipStream_tbEUlT_E_NS1_11comp_targetILNS1_3genE8ELNS1_11target_archE1030ELNS1_3gpuE2ELNS1_3repE0EEENS1_30default_config_static_selectorELNS0_4arch9wavefront6targetE0EEEvT1_,@function
_ZN7rocprim17ROCPRIM_400000_NS6detail17trampoline_kernelINS0_14default_configENS1_35adjacent_difference_config_selectorILb1ElEEZNS1_24adjacent_difference_implIS3_Lb1ELb0EPlS7_ZN2at6native12_GLOBAL__N_124unique_dim_cuda_templateImEESt5tupleIJNS8_6TensorESD_SD_EERKSD_lbbbEUlllE1_EE10hipError_tPvRmT2_T3_mT4_P12ihipStream_tbEUlT_E_NS1_11comp_targetILNS1_3genE8ELNS1_11target_archE1030ELNS1_3gpuE2ELNS1_3repE0EEENS1_30default_config_static_selectorELNS0_4arch9wavefront6targetE0EEEvT1_: ; @_ZN7rocprim17ROCPRIM_400000_NS6detail17trampoline_kernelINS0_14default_configENS1_35adjacent_difference_config_selectorILb1ElEEZNS1_24adjacent_difference_implIS3_Lb1ELb0EPlS7_ZN2at6native12_GLOBAL__N_124unique_dim_cuda_templateImEESt5tupleIJNS8_6TensorESD_SD_EERKSD_lbbbEUlllE1_EE10hipError_tPvRmT2_T3_mT4_P12ihipStream_tbEUlT_E_NS1_11comp_targetILNS1_3genE8ELNS1_11target_archE1030ELNS1_3gpuE2ELNS1_3repE0EEENS1_30default_config_static_selectorELNS0_4arch9wavefront6targetE0EEEvT1_
; %bb.0:
	.section	.rodata,"a",@progbits
	.p2align	6, 0x0
	.amdhsa_kernel _ZN7rocprim17ROCPRIM_400000_NS6detail17trampoline_kernelINS0_14default_configENS1_35adjacent_difference_config_selectorILb1ElEEZNS1_24adjacent_difference_implIS3_Lb1ELb0EPlS7_ZN2at6native12_GLOBAL__N_124unique_dim_cuda_templateImEESt5tupleIJNS8_6TensorESD_SD_EERKSD_lbbbEUlllE1_EE10hipError_tPvRmT2_T3_mT4_P12ihipStream_tbEUlT_E_NS1_11comp_targetILNS1_3genE8ELNS1_11target_archE1030ELNS1_3gpuE2ELNS1_3repE0EEENS1_30default_config_static_selectorELNS0_4arch9wavefront6targetE0EEEvT1_
		.amdhsa_group_segment_fixed_size 0
		.amdhsa_private_segment_fixed_size 0
		.amdhsa_kernarg_size 64
		.amdhsa_user_sgpr_count 15
		.amdhsa_user_sgpr_dispatch_ptr 0
		.amdhsa_user_sgpr_queue_ptr 0
		.amdhsa_user_sgpr_kernarg_segment_ptr 1
		.amdhsa_user_sgpr_dispatch_id 0
		.amdhsa_user_sgpr_private_segment_size 0
		.amdhsa_wavefront_size32 1
		.amdhsa_uses_dynamic_stack 0
		.amdhsa_enable_private_segment 0
		.amdhsa_system_sgpr_workgroup_id_x 1
		.amdhsa_system_sgpr_workgroup_id_y 0
		.amdhsa_system_sgpr_workgroup_id_z 0
		.amdhsa_system_sgpr_workgroup_info 0
		.amdhsa_system_vgpr_workitem_id 0
		.amdhsa_next_free_vgpr 1
		.amdhsa_next_free_sgpr 1
		.amdhsa_reserve_vcc 0
		.amdhsa_float_round_mode_32 0
		.amdhsa_float_round_mode_16_64 0
		.amdhsa_float_denorm_mode_32 3
		.amdhsa_float_denorm_mode_16_64 3
		.amdhsa_dx10_clamp 1
		.amdhsa_ieee_mode 1
		.amdhsa_fp16_overflow 0
		.amdhsa_workgroup_processor_mode 1
		.amdhsa_memory_ordered 1
		.amdhsa_forward_progress 0
		.amdhsa_shared_vgpr_count 0
		.amdhsa_exception_fp_ieee_invalid_op 0
		.amdhsa_exception_fp_denorm_src 0
		.amdhsa_exception_fp_ieee_div_zero 0
		.amdhsa_exception_fp_ieee_overflow 0
		.amdhsa_exception_fp_ieee_underflow 0
		.amdhsa_exception_fp_ieee_inexact 0
		.amdhsa_exception_int_div_zero 0
	.end_amdhsa_kernel
	.section	.text._ZN7rocprim17ROCPRIM_400000_NS6detail17trampoline_kernelINS0_14default_configENS1_35adjacent_difference_config_selectorILb1ElEEZNS1_24adjacent_difference_implIS3_Lb1ELb0EPlS7_ZN2at6native12_GLOBAL__N_124unique_dim_cuda_templateImEESt5tupleIJNS8_6TensorESD_SD_EERKSD_lbbbEUlllE1_EE10hipError_tPvRmT2_T3_mT4_P12ihipStream_tbEUlT_E_NS1_11comp_targetILNS1_3genE8ELNS1_11target_archE1030ELNS1_3gpuE2ELNS1_3repE0EEENS1_30default_config_static_selectorELNS0_4arch9wavefront6targetE0EEEvT1_,"axG",@progbits,_ZN7rocprim17ROCPRIM_400000_NS6detail17trampoline_kernelINS0_14default_configENS1_35adjacent_difference_config_selectorILb1ElEEZNS1_24adjacent_difference_implIS3_Lb1ELb0EPlS7_ZN2at6native12_GLOBAL__N_124unique_dim_cuda_templateImEESt5tupleIJNS8_6TensorESD_SD_EERKSD_lbbbEUlllE1_EE10hipError_tPvRmT2_T3_mT4_P12ihipStream_tbEUlT_E_NS1_11comp_targetILNS1_3genE8ELNS1_11target_archE1030ELNS1_3gpuE2ELNS1_3repE0EEENS1_30default_config_static_selectorELNS0_4arch9wavefront6targetE0EEEvT1_,comdat
.Lfunc_end1660:
	.size	_ZN7rocprim17ROCPRIM_400000_NS6detail17trampoline_kernelINS0_14default_configENS1_35adjacent_difference_config_selectorILb1ElEEZNS1_24adjacent_difference_implIS3_Lb1ELb0EPlS7_ZN2at6native12_GLOBAL__N_124unique_dim_cuda_templateImEESt5tupleIJNS8_6TensorESD_SD_EERKSD_lbbbEUlllE1_EE10hipError_tPvRmT2_T3_mT4_P12ihipStream_tbEUlT_E_NS1_11comp_targetILNS1_3genE8ELNS1_11target_archE1030ELNS1_3gpuE2ELNS1_3repE0EEENS1_30default_config_static_selectorELNS0_4arch9wavefront6targetE0EEEvT1_, .Lfunc_end1660-_ZN7rocprim17ROCPRIM_400000_NS6detail17trampoline_kernelINS0_14default_configENS1_35adjacent_difference_config_selectorILb1ElEEZNS1_24adjacent_difference_implIS3_Lb1ELb0EPlS7_ZN2at6native12_GLOBAL__N_124unique_dim_cuda_templateImEESt5tupleIJNS8_6TensorESD_SD_EERKSD_lbbbEUlllE1_EE10hipError_tPvRmT2_T3_mT4_P12ihipStream_tbEUlT_E_NS1_11comp_targetILNS1_3genE8ELNS1_11target_archE1030ELNS1_3gpuE2ELNS1_3repE0EEENS1_30default_config_static_selectorELNS0_4arch9wavefront6targetE0EEEvT1_
                                        ; -- End function
	.section	.AMDGPU.csdata,"",@progbits
; Kernel info:
; codeLenInByte = 0
; NumSgprs: 0
; NumVgprs: 0
; ScratchSize: 0
; MemoryBound: 0
; FloatMode: 240
; IeeeMode: 1
; LDSByteSize: 0 bytes/workgroup (compile time only)
; SGPRBlocks: 0
; VGPRBlocks: 0
; NumSGPRsForWavesPerEU: 1
; NumVGPRsForWavesPerEU: 1
; Occupancy: 16
; WaveLimiterHint : 0
; COMPUTE_PGM_RSRC2:SCRATCH_EN: 0
; COMPUTE_PGM_RSRC2:USER_SGPR: 15
; COMPUTE_PGM_RSRC2:TRAP_HANDLER: 0
; COMPUTE_PGM_RSRC2:TGID_X_EN: 1
; COMPUTE_PGM_RSRC2:TGID_Y_EN: 0
; COMPUTE_PGM_RSRC2:TGID_Z_EN: 0
; COMPUTE_PGM_RSRC2:TIDIG_COMP_CNT: 0
	.section	.text._ZN7rocprim17ROCPRIM_400000_NS6detail17trampoline_kernelINS0_14default_configENS1_25partition_config_selectorILNS1_17partition_subalgoE8ElNS0_10empty_typeEbEEZZNS1_14partition_implILS5_8ELb0ES3_jPlPS6_PKS6_NS0_5tupleIJS9_S6_EEENSD_IJSA_SA_EEENS0_18inequality_wrapperIZN2at6native12_GLOBAL__N_124unique_dim_cuda_templateImEESt5tupleIJNSH_6TensorESM_SM_EERKSM_lbbbEUlllE0_EEPmJS6_EEE10hipError_tPvRmT3_T4_T5_T6_T7_T9_mT8_P12ihipStream_tbDpT10_ENKUlT_T0_E_clISt17integral_constantIbLb0EES1C_EEDaS17_S18_EUlS17_E_NS1_11comp_targetILNS1_3genE0ELNS1_11target_archE4294967295ELNS1_3gpuE0ELNS1_3repE0EEENS1_30default_config_static_selectorELNS0_4arch9wavefront6targetE0EEEvT1_,"axG",@progbits,_ZN7rocprim17ROCPRIM_400000_NS6detail17trampoline_kernelINS0_14default_configENS1_25partition_config_selectorILNS1_17partition_subalgoE8ElNS0_10empty_typeEbEEZZNS1_14partition_implILS5_8ELb0ES3_jPlPS6_PKS6_NS0_5tupleIJS9_S6_EEENSD_IJSA_SA_EEENS0_18inequality_wrapperIZN2at6native12_GLOBAL__N_124unique_dim_cuda_templateImEESt5tupleIJNSH_6TensorESM_SM_EERKSM_lbbbEUlllE0_EEPmJS6_EEE10hipError_tPvRmT3_T4_T5_T6_T7_T9_mT8_P12ihipStream_tbDpT10_ENKUlT_T0_E_clISt17integral_constantIbLb0EES1C_EEDaS17_S18_EUlS17_E_NS1_11comp_targetILNS1_3genE0ELNS1_11target_archE4294967295ELNS1_3gpuE0ELNS1_3repE0EEENS1_30default_config_static_selectorELNS0_4arch9wavefront6targetE0EEEvT1_,comdat
	.globl	_ZN7rocprim17ROCPRIM_400000_NS6detail17trampoline_kernelINS0_14default_configENS1_25partition_config_selectorILNS1_17partition_subalgoE8ElNS0_10empty_typeEbEEZZNS1_14partition_implILS5_8ELb0ES3_jPlPS6_PKS6_NS0_5tupleIJS9_S6_EEENSD_IJSA_SA_EEENS0_18inequality_wrapperIZN2at6native12_GLOBAL__N_124unique_dim_cuda_templateImEESt5tupleIJNSH_6TensorESM_SM_EERKSM_lbbbEUlllE0_EEPmJS6_EEE10hipError_tPvRmT3_T4_T5_T6_T7_T9_mT8_P12ihipStream_tbDpT10_ENKUlT_T0_E_clISt17integral_constantIbLb0EES1C_EEDaS17_S18_EUlS17_E_NS1_11comp_targetILNS1_3genE0ELNS1_11target_archE4294967295ELNS1_3gpuE0ELNS1_3repE0EEENS1_30default_config_static_selectorELNS0_4arch9wavefront6targetE0EEEvT1_ ; -- Begin function _ZN7rocprim17ROCPRIM_400000_NS6detail17trampoline_kernelINS0_14default_configENS1_25partition_config_selectorILNS1_17partition_subalgoE8ElNS0_10empty_typeEbEEZZNS1_14partition_implILS5_8ELb0ES3_jPlPS6_PKS6_NS0_5tupleIJS9_S6_EEENSD_IJSA_SA_EEENS0_18inequality_wrapperIZN2at6native12_GLOBAL__N_124unique_dim_cuda_templateImEESt5tupleIJNSH_6TensorESM_SM_EERKSM_lbbbEUlllE0_EEPmJS6_EEE10hipError_tPvRmT3_T4_T5_T6_T7_T9_mT8_P12ihipStream_tbDpT10_ENKUlT_T0_E_clISt17integral_constantIbLb0EES1C_EEDaS17_S18_EUlS17_E_NS1_11comp_targetILNS1_3genE0ELNS1_11target_archE4294967295ELNS1_3gpuE0ELNS1_3repE0EEENS1_30default_config_static_selectorELNS0_4arch9wavefront6targetE0EEEvT1_
	.p2align	8
	.type	_ZN7rocprim17ROCPRIM_400000_NS6detail17trampoline_kernelINS0_14default_configENS1_25partition_config_selectorILNS1_17partition_subalgoE8ElNS0_10empty_typeEbEEZZNS1_14partition_implILS5_8ELb0ES3_jPlPS6_PKS6_NS0_5tupleIJS9_S6_EEENSD_IJSA_SA_EEENS0_18inequality_wrapperIZN2at6native12_GLOBAL__N_124unique_dim_cuda_templateImEESt5tupleIJNSH_6TensorESM_SM_EERKSM_lbbbEUlllE0_EEPmJS6_EEE10hipError_tPvRmT3_T4_T5_T6_T7_T9_mT8_P12ihipStream_tbDpT10_ENKUlT_T0_E_clISt17integral_constantIbLb0EES1C_EEDaS17_S18_EUlS17_E_NS1_11comp_targetILNS1_3genE0ELNS1_11target_archE4294967295ELNS1_3gpuE0ELNS1_3repE0EEENS1_30default_config_static_selectorELNS0_4arch9wavefront6targetE0EEEvT1_,@function
_ZN7rocprim17ROCPRIM_400000_NS6detail17trampoline_kernelINS0_14default_configENS1_25partition_config_selectorILNS1_17partition_subalgoE8ElNS0_10empty_typeEbEEZZNS1_14partition_implILS5_8ELb0ES3_jPlPS6_PKS6_NS0_5tupleIJS9_S6_EEENSD_IJSA_SA_EEENS0_18inequality_wrapperIZN2at6native12_GLOBAL__N_124unique_dim_cuda_templateImEESt5tupleIJNSH_6TensorESM_SM_EERKSM_lbbbEUlllE0_EEPmJS6_EEE10hipError_tPvRmT3_T4_T5_T6_T7_T9_mT8_P12ihipStream_tbDpT10_ENKUlT_T0_E_clISt17integral_constantIbLb0EES1C_EEDaS17_S18_EUlS17_E_NS1_11comp_targetILNS1_3genE0ELNS1_11target_archE4294967295ELNS1_3gpuE0ELNS1_3repE0EEENS1_30default_config_static_selectorELNS0_4arch9wavefront6targetE0EEEvT1_: ; @_ZN7rocprim17ROCPRIM_400000_NS6detail17trampoline_kernelINS0_14default_configENS1_25partition_config_selectorILNS1_17partition_subalgoE8ElNS0_10empty_typeEbEEZZNS1_14partition_implILS5_8ELb0ES3_jPlPS6_PKS6_NS0_5tupleIJS9_S6_EEENSD_IJSA_SA_EEENS0_18inequality_wrapperIZN2at6native12_GLOBAL__N_124unique_dim_cuda_templateImEESt5tupleIJNSH_6TensorESM_SM_EERKSM_lbbbEUlllE0_EEPmJS6_EEE10hipError_tPvRmT3_T4_T5_T6_T7_T9_mT8_P12ihipStream_tbDpT10_ENKUlT_T0_E_clISt17integral_constantIbLb0EES1C_EEDaS17_S18_EUlS17_E_NS1_11comp_targetILNS1_3genE0ELNS1_11target_archE4294967295ELNS1_3gpuE0ELNS1_3repE0EEENS1_30default_config_static_selectorELNS0_4arch9wavefront6targetE0EEEvT1_
; %bb.0:
	.section	.rodata,"a",@progbits
	.p2align	6, 0x0
	.amdhsa_kernel _ZN7rocprim17ROCPRIM_400000_NS6detail17trampoline_kernelINS0_14default_configENS1_25partition_config_selectorILNS1_17partition_subalgoE8ElNS0_10empty_typeEbEEZZNS1_14partition_implILS5_8ELb0ES3_jPlPS6_PKS6_NS0_5tupleIJS9_S6_EEENSD_IJSA_SA_EEENS0_18inequality_wrapperIZN2at6native12_GLOBAL__N_124unique_dim_cuda_templateImEESt5tupleIJNSH_6TensorESM_SM_EERKSM_lbbbEUlllE0_EEPmJS6_EEE10hipError_tPvRmT3_T4_T5_T6_T7_T9_mT8_P12ihipStream_tbDpT10_ENKUlT_T0_E_clISt17integral_constantIbLb0EES1C_EEDaS17_S18_EUlS17_E_NS1_11comp_targetILNS1_3genE0ELNS1_11target_archE4294967295ELNS1_3gpuE0ELNS1_3repE0EEENS1_30default_config_static_selectorELNS0_4arch9wavefront6targetE0EEEvT1_
		.amdhsa_group_segment_fixed_size 0
		.amdhsa_private_segment_fixed_size 0
		.amdhsa_kernarg_size 120
		.amdhsa_user_sgpr_count 15
		.amdhsa_user_sgpr_dispatch_ptr 0
		.amdhsa_user_sgpr_queue_ptr 0
		.amdhsa_user_sgpr_kernarg_segment_ptr 1
		.amdhsa_user_sgpr_dispatch_id 0
		.amdhsa_user_sgpr_private_segment_size 0
		.amdhsa_wavefront_size32 1
		.amdhsa_uses_dynamic_stack 0
		.amdhsa_enable_private_segment 0
		.amdhsa_system_sgpr_workgroup_id_x 1
		.amdhsa_system_sgpr_workgroup_id_y 0
		.amdhsa_system_sgpr_workgroup_id_z 0
		.amdhsa_system_sgpr_workgroup_info 0
		.amdhsa_system_vgpr_workitem_id 0
		.amdhsa_next_free_vgpr 1
		.amdhsa_next_free_sgpr 1
		.amdhsa_reserve_vcc 0
		.amdhsa_float_round_mode_32 0
		.amdhsa_float_round_mode_16_64 0
		.amdhsa_float_denorm_mode_32 3
		.amdhsa_float_denorm_mode_16_64 3
		.amdhsa_dx10_clamp 1
		.amdhsa_ieee_mode 1
		.amdhsa_fp16_overflow 0
		.amdhsa_workgroup_processor_mode 1
		.amdhsa_memory_ordered 1
		.amdhsa_forward_progress 0
		.amdhsa_shared_vgpr_count 0
		.amdhsa_exception_fp_ieee_invalid_op 0
		.amdhsa_exception_fp_denorm_src 0
		.amdhsa_exception_fp_ieee_div_zero 0
		.amdhsa_exception_fp_ieee_overflow 0
		.amdhsa_exception_fp_ieee_underflow 0
		.amdhsa_exception_fp_ieee_inexact 0
		.amdhsa_exception_int_div_zero 0
	.end_amdhsa_kernel
	.section	.text._ZN7rocprim17ROCPRIM_400000_NS6detail17trampoline_kernelINS0_14default_configENS1_25partition_config_selectorILNS1_17partition_subalgoE8ElNS0_10empty_typeEbEEZZNS1_14partition_implILS5_8ELb0ES3_jPlPS6_PKS6_NS0_5tupleIJS9_S6_EEENSD_IJSA_SA_EEENS0_18inequality_wrapperIZN2at6native12_GLOBAL__N_124unique_dim_cuda_templateImEESt5tupleIJNSH_6TensorESM_SM_EERKSM_lbbbEUlllE0_EEPmJS6_EEE10hipError_tPvRmT3_T4_T5_T6_T7_T9_mT8_P12ihipStream_tbDpT10_ENKUlT_T0_E_clISt17integral_constantIbLb0EES1C_EEDaS17_S18_EUlS17_E_NS1_11comp_targetILNS1_3genE0ELNS1_11target_archE4294967295ELNS1_3gpuE0ELNS1_3repE0EEENS1_30default_config_static_selectorELNS0_4arch9wavefront6targetE0EEEvT1_,"axG",@progbits,_ZN7rocprim17ROCPRIM_400000_NS6detail17trampoline_kernelINS0_14default_configENS1_25partition_config_selectorILNS1_17partition_subalgoE8ElNS0_10empty_typeEbEEZZNS1_14partition_implILS5_8ELb0ES3_jPlPS6_PKS6_NS0_5tupleIJS9_S6_EEENSD_IJSA_SA_EEENS0_18inequality_wrapperIZN2at6native12_GLOBAL__N_124unique_dim_cuda_templateImEESt5tupleIJNSH_6TensorESM_SM_EERKSM_lbbbEUlllE0_EEPmJS6_EEE10hipError_tPvRmT3_T4_T5_T6_T7_T9_mT8_P12ihipStream_tbDpT10_ENKUlT_T0_E_clISt17integral_constantIbLb0EES1C_EEDaS17_S18_EUlS17_E_NS1_11comp_targetILNS1_3genE0ELNS1_11target_archE4294967295ELNS1_3gpuE0ELNS1_3repE0EEENS1_30default_config_static_selectorELNS0_4arch9wavefront6targetE0EEEvT1_,comdat
.Lfunc_end1661:
	.size	_ZN7rocprim17ROCPRIM_400000_NS6detail17trampoline_kernelINS0_14default_configENS1_25partition_config_selectorILNS1_17partition_subalgoE8ElNS0_10empty_typeEbEEZZNS1_14partition_implILS5_8ELb0ES3_jPlPS6_PKS6_NS0_5tupleIJS9_S6_EEENSD_IJSA_SA_EEENS0_18inequality_wrapperIZN2at6native12_GLOBAL__N_124unique_dim_cuda_templateImEESt5tupleIJNSH_6TensorESM_SM_EERKSM_lbbbEUlllE0_EEPmJS6_EEE10hipError_tPvRmT3_T4_T5_T6_T7_T9_mT8_P12ihipStream_tbDpT10_ENKUlT_T0_E_clISt17integral_constantIbLb0EES1C_EEDaS17_S18_EUlS17_E_NS1_11comp_targetILNS1_3genE0ELNS1_11target_archE4294967295ELNS1_3gpuE0ELNS1_3repE0EEENS1_30default_config_static_selectorELNS0_4arch9wavefront6targetE0EEEvT1_, .Lfunc_end1661-_ZN7rocprim17ROCPRIM_400000_NS6detail17trampoline_kernelINS0_14default_configENS1_25partition_config_selectorILNS1_17partition_subalgoE8ElNS0_10empty_typeEbEEZZNS1_14partition_implILS5_8ELb0ES3_jPlPS6_PKS6_NS0_5tupleIJS9_S6_EEENSD_IJSA_SA_EEENS0_18inequality_wrapperIZN2at6native12_GLOBAL__N_124unique_dim_cuda_templateImEESt5tupleIJNSH_6TensorESM_SM_EERKSM_lbbbEUlllE0_EEPmJS6_EEE10hipError_tPvRmT3_T4_T5_T6_T7_T9_mT8_P12ihipStream_tbDpT10_ENKUlT_T0_E_clISt17integral_constantIbLb0EES1C_EEDaS17_S18_EUlS17_E_NS1_11comp_targetILNS1_3genE0ELNS1_11target_archE4294967295ELNS1_3gpuE0ELNS1_3repE0EEENS1_30default_config_static_selectorELNS0_4arch9wavefront6targetE0EEEvT1_
                                        ; -- End function
	.section	.AMDGPU.csdata,"",@progbits
; Kernel info:
; codeLenInByte = 0
; NumSgprs: 0
; NumVgprs: 0
; ScratchSize: 0
; MemoryBound: 0
; FloatMode: 240
; IeeeMode: 1
; LDSByteSize: 0 bytes/workgroup (compile time only)
; SGPRBlocks: 0
; VGPRBlocks: 0
; NumSGPRsForWavesPerEU: 1
; NumVGPRsForWavesPerEU: 1
; Occupancy: 16
; WaveLimiterHint : 0
; COMPUTE_PGM_RSRC2:SCRATCH_EN: 0
; COMPUTE_PGM_RSRC2:USER_SGPR: 15
; COMPUTE_PGM_RSRC2:TRAP_HANDLER: 0
; COMPUTE_PGM_RSRC2:TGID_X_EN: 1
; COMPUTE_PGM_RSRC2:TGID_Y_EN: 0
; COMPUTE_PGM_RSRC2:TGID_Z_EN: 0
; COMPUTE_PGM_RSRC2:TIDIG_COMP_CNT: 0
	.section	.text._ZN7rocprim17ROCPRIM_400000_NS6detail17trampoline_kernelINS0_14default_configENS1_25partition_config_selectorILNS1_17partition_subalgoE8ElNS0_10empty_typeEbEEZZNS1_14partition_implILS5_8ELb0ES3_jPlPS6_PKS6_NS0_5tupleIJS9_S6_EEENSD_IJSA_SA_EEENS0_18inequality_wrapperIZN2at6native12_GLOBAL__N_124unique_dim_cuda_templateImEESt5tupleIJNSH_6TensorESM_SM_EERKSM_lbbbEUlllE0_EEPmJS6_EEE10hipError_tPvRmT3_T4_T5_T6_T7_T9_mT8_P12ihipStream_tbDpT10_ENKUlT_T0_E_clISt17integral_constantIbLb0EES1C_EEDaS17_S18_EUlS17_E_NS1_11comp_targetILNS1_3genE5ELNS1_11target_archE942ELNS1_3gpuE9ELNS1_3repE0EEENS1_30default_config_static_selectorELNS0_4arch9wavefront6targetE0EEEvT1_,"axG",@progbits,_ZN7rocprim17ROCPRIM_400000_NS6detail17trampoline_kernelINS0_14default_configENS1_25partition_config_selectorILNS1_17partition_subalgoE8ElNS0_10empty_typeEbEEZZNS1_14partition_implILS5_8ELb0ES3_jPlPS6_PKS6_NS0_5tupleIJS9_S6_EEENSD_IJSA_SA_EEENS0_18inequality_wrapperIZN2at6native12_GLOBAL__N_124unique_dim_cuda_templateImEESt5tupleIJNSH_6TensorESM_SM_EERKSM_lbbbEUlllE0_EEPmJS6_EEE10hipError_tPvRmT3_T4_T5_T6_T7_T9_mT8_P12ihipStream_tbDpT10_ENKUlT_T0_E_clISt17integral_constantIbLb0EES1C_EEDaS17_S18_EUlS17_E_NS1_11comp_targetILNS1_3genE5ELNS1_11target_archE942ELNS1_3gpuE9ELNS1_3repE0EEENS1_30default_config_static_selectorELNS0_4arch9wavefront6targetE0EEEvT1_,comdat
	.globl	_ZN7rocprim17ROCPRIM_400000_NS6detail17trampoline_kernelINS0_14default_configENS1_25partition_config_selectorILNS1_17partition_subalgoE8ElNS0_10empty_typeEbEEZZNS1_14partition_implILS5_8ELb0ES3_jPlPS6_PKS6_NS0_5tupleIJS9_S6_EEENSD_IJSA_SA_EEENS0_18inequality_wrapperIZN2at6native12_GLOBAL__N_124unique_dim_cuda_templateImEESt5tupleIJNSH_6TensorESM_SM_EERKSM_lbbbEUlllE0_EEPmJS6_EEE10hipError_tPvRmT3_T4_T5_T6_T7_T9_mT8_P12ihipStream_tbDpT10_ENKUlT_T0_E_clISt17integral_constantIbLb0EES1C_EEDaS17_S18_EUlS17_E_NS1_11comp_targetILNS1_3genE5ELNS1_11target_archE942ELNS1_3gpuE9ELNS1_3repE0EEENS1_30default_config_static_selectorELNS0_4arch9wavefront6targetE0EEEvT1_ ; -- Begin function _ZN7rocprim17ROCPRIM_400000_NS6detail17trampoline_kernelINS0_14default_configENS1_25partition_config_selectorILNS1_17partition_subalgoE8ElNS0_10empty_typeEbEEZZNS1_14partition_implILS5_8ELb0ES3_jPlPS6_PKS6_NS0_5tupleIJS9_S6_EEENSD_IJSA_SA_EEENS0_18inequality_wrapperIZN2at6native12_GLOBAL__N_124unique_dim_cuda_templateImEESt5tupleIJNSH_6TensorESM_SM_EERKSM_lbbbEUlllE0_EEPmJS6_EEE10hipError_tPvRmT3_T4_T5_T6_T7_T9_mT8_P12ihipStream_tbDpT10_ENKUlT_T0_E_clISt17integral_constantIbLb0EES1C_EEDaS17_S18_EUlS17_E_NS1_11comp_targetILNS1_3genE5ELNS1_11target_archE942ELNS1_3gpuE9ELNS1_3repE0EEENS1_30default_config_static_selectorELNS0_4arch9wavefront6targetE0EEEvT1_
	.p2align	8
	.type	_ZN7rocprim17ROCPRIM_400000_NS6detail17trampoline_kernelINS0_14default_configENS1_25partition_config_selectorILNS1_17partition_subalgoE8ElNS0_10empty_typeEbEEZZNS1_14partition_implILS5_8ELb0ES3_jPlPS6_PKS6_NS0_5tupleIJS9_S6_EEENSD_IJSA_SA_EEENS0_18inequality_wrapperIZN2at6native12_GLOBAL__N_124unique_dim_cuda_templateImEESt5tupleIJNSH_6TensorESM_SM_EERKSM_lbbbEUlllE0_EEPmJS6_EEE10hipError_tPvRmT3_T4_T5_T6_T7_T9_mT8_P12ihipStream_tbDpT10_ENKUlT_T0_E_clISt17integral_constantIbLb0EES1C_EEDaS17_S18_EUlS17_E_NS1_11comp_targetILNS1_3genE5ELNS1_11target_archE942ELNS1_3gpuE9ELNS1_3repE0EEENS1_30default_config_static_selectorELNS0_4arch9wavefront6targetE0EEEvT1_,@function
_ZN7rocprim17ROCPRIM_400000_NS6detail17trampoline_kernelINS0_14default_configENS1_25partition_config_selectorILNS1_17partition_subalgoE8ElNS0_10empty_typeEbEEZZNS1_14partition_implILS5_8ELb0ES3_jPlPS6_PKS6_NS0_5tupleIJS9_S6_EEENSD_IJSA_SA_EEENS0_18inequality_wrapperIZN2at6native12_GLOBAL__N_124unique_dim_cuda_templateImEESt5tupleIJNSH_6TensorESM_SM_EERKSM_lbbbEUlllE0_EEPmJS6_EEE10hipError_tPvRmT3_T4_T5_T6_T7_T9_mT8_P12ihipStream_tbDpT10_ENKUlT_T0_E_clISt17integral_constantIbLb0EES1C_EEDaS17_S18_EUlS17_E_NS1_11comp_targetILNS1_3genE5ELNS1_11target_archE942ELNS1_3gpuE9ELNS1_3repE0EEENS1_30default_config_static_selectorELNS0_4arch9wavefront6targetE0EEEvT1_: ; @_ZN7rocprim17ROCPRIM_400000_NS6detail17trampoline_kernelINS0_14default_configENS1_25partition_config_selectorILNS1_17partition_subalgoE8ElNS0_10empty_typeEbEEZZNS1_14partition_implILS5_8ELb0ES3_jPlPS6_PKS6_NS0_5tupleIJS9_S6_EEENSD_IJSA_SA_EEENS0_18inequality_wrapperIZN2at6native12_GLOBAL__N_124unique_dim_cuda_templateImEESt5tupleIJNSH_6TensorESM_SM_EERKSM_lbbbEUlllE0_EEPmJS6_EEE10hipError_tPvRmT3_T4_T5_T6_T7_T9_mT8_P12ihipStream_tbDpT10_ENKUlT_T0_E_clISt17integral_constantIbLb0EES1C_EEDaS17_S18_EUlS17_E_NS1_11comp_targetILNS1_3genE5ELNS1_11target_archE942ELNS1_3gpuE9ELNS1_3repE0EEENS1_30default_config_static_selectorELNS0_4arch9wavefront6targetE0EEEvT1_
; %bb.0:
	.section	.rodata,"a",@progbits
	.p2align	6, 0x0
	.amdhsa_kernel _ZN7rocprim17ROCPRIM_400000_NS6detail17trampoline_kernelINS0_14default_configENS1_25partition_config_selectorILNS1_17partition_subalgoE8ElNS0_10empty_typeEbEEZZNS1_14partition_implILS5_8ELb0ES3_jPlPS6_PKS6_NS0_5tupleIJS9_S6_EEENSD_IJSA_SA_EEENS0_18inequality_wrapperIZN2at6native12_GLOBAL__N_124unique_dim_cuda_templateImEESt5tupleIJNSH_6TensorESM_SM_EERKSM_lbbbEUlllE0_EEPmJS6_EEE10hipError_tPvRmT3_T4_T5_T6_T7_T9_mT8_P12ihipStream_tbDpT10_ENKUlT_T0_E_clISt17integral_constantIbLb0EES1C_EEDaS17_S18_EUlS17_E_NS1_11comp_targetILNS1_3genE5ELNS1_11target_archE942ELNS1_3gpuE9ELNS1_3repE0EEENS1_30default_config_static_selectorELNS0_4arch9wavefront6targetE0EEEvT1_
		.amdhsa_group_segment_fixed_size 0
		.amdhsa_private_segment_fixed_size 0
		.amdhsa_kernarg_size 120
		.amdhsa_user_sgpr_count 15
		.amdhsa_user_sgpr_dispatch_ptr 0
		.amdhsa_user_sgpr_queue_ptr 0
		.amdhsa_user_sgpr_kernarg_segment_ptr 1
		.amdhsa_user_sgpr_dispatch_id 0
		.amdhsa_user_sgpr_private_segment_size 0
		.amdhsa_wavefront_size32 1
		.amdhsa_uses_dynamic_stack 0
		.amdhsa_enable_private_segment 0
		.amdhsa_system_sgpr_workgroup_id_x 1
		.amdhsa_system_sgpr_workgroup_id_y 0
		.amdhsa_system_sgpr_workgroup_id_z 0
		.amdhsa_system_sgpr_workgroup_info 0
		.amdhsa_system_vgpr_workitem_id 0
		.amdhsa_next_free_vgpr 1
		.amdhsa_next_free_sgpr 1
		.amdhsa_reserve_vcc 0
		.amdhsa_float_round_mode_32 0
		.amdhsa_float_round_mode_16_64 0
		.amdhsa_float_denorm_mode_32 3
		.amdhsa_float_denorm_mode_16_64 3
		.amdhsa_dx10_clamp 1
		.amdhsa_ieee_mode 1
		.amdhsa_fp16_overflow 0
		.amdhsa_workgroup_processor_mode 1
		.amdhsa_memory_ordered 1
		.amdhsa_forward_progress 0
		.amdhsa_shared_vgpr_count 0
		.amdhsa_exception_fp_ieee_invalid_op 0
		.amdhsa_exception_fp_denorm_src 0
		.amdhsa_exception_fp_ieee_div_zero 0
		.amdhsa_exception_fp_ieee_overflow 0
		.amdhsa_exception_fp_ieee_underflow 0
		.amdhsa_exception_fp_ieee_inexact 0
		.amdhsa_exception_int_div_zero 0
	.end_amdhsa_kernel
	.section	.text._ZN7rocprim17ROCPRIM_400000_NS6detail17trampoline_kernelINS0_14default_configENS1_25partition_config_selectorILNS1_17partition_subalgoE8ElNS0_10empty_typeEbEEZZNS1_14partition_implILS5_8ELb0ES3_jPlPS6_PKS6_NS0_5tupleIJS9_S6_EEENSD_IJSA_SA_EEENS0_18inequality_wrapperIZN2at6native12_GLOBAL__N_124unique_dim_cuda_templateImEESt5tupleIJNSH_6TensorESM_SM_EERKSM_lbbbEUlllE0_EEPmJS6_EEE10hipError_tPvRmT3_T4_T5_T6_T7_T9_mT8_P12ihipStream_tbDpT10_ENKUlT_T0_E_clISt17integral_constantIbLb0EES1C_EEDaS17_S18_EUlS17_E_NS1_11comp_targetILNS1_3genE5ELNS1_11target_archE942ELNS1_3gpuE9ELNS1_3repE0EEENS1_30default_config_static_selectorELNS0_4arch9wavefront6targetE0EEEvT1_,"axG",@progbits,_ZN7rocprim17ROCPRIM_400000_NS6detail17trampoline_kernelINS0_14default_configENS1_25partition_config_selectorILNS1_17partition_subalgoE8ElNS0_10empty_typeEbEEZZNS1_14partition_implILS5_8ELb0ES3_jPlPS6_PKS6_NS0_5tupleIJS9_S6_EEENSD_IJSA_SA_EEENS0_18inequality_wrapperIZN2at6native12_GLOBAL__N_124unique_dim_cuda_templateImEESt5tupleIJNSH_6TensorESM_SM_EERKSM_lbbbEUlllE0_EEPmJS6_EEE10hipError_tPvRmT3_T4_T5_T6_T7_T9_mT8_P12ihipStream_tbDpT10_ENKUlT_T0_E_clISt17integral_constantIbLb0EES1C_EEDaS17_S18_EUlS17_E_NS1_11comp_targetILNS1_3genE5ELNS1_11target_archE942ELNS1_3gpuE9ELNS1_3repE0EEENS1_30default_config_static_selectorELNS0_4arch9wavefront6targetE0EEEvT1_,comdat
.Lfunc_end1662:
	.size	_ZN7rocprim17ROCPRIM_400000_NS6detail17trampoline_kernelINS0_14default_configENS1_25partition_config_selectorILNS1_17partition_subalgoE8ElNS0_10empty_typeEbEEZZNS1_14partition_implILS5_8ELb0ES3_jPlPS6_PKS6_NS0_5tupleIJS9_S6_EEENSD_IJSA_SA_EEENS0_18inequality_wrapperIZN2at6native12_GLOBAL__N_124unique_dim_cuda_templateImEESt5tupleIJNSH_6TensorESM_SM_EERKSM_lbbbEUlllE0_EEPmJS6_EEE10hipError_tPvRmT3_T4_T5_T6_T7_T9_mT8_P12ihipStream_tbDpT10_ENKUlT_T0_E_clISt17integral_constantIbLb0EES1C_EEDaS17_S18_EUlS17_E_NS1_11comp_targetILNS1_3genE5ELNS1_11target_archE942ELNS1_3gpuE9ELNS1_3repE0EEENS1_30default_config_static_selectorELNS0_4arch9wavefront6targetE0EEEvT1_, .Lfunc_end1662-_ZN7rocprim17ROCPRIM_400000_NS6detail17trampoline_kernelINS0_14default_configENS1_25partition_config_selectorILNS1_17partition_subalgoE8ElNS0_10empty_typeEbEEZZNS1_14partition_implILS5_8ELb0ES3_jPlPS6_PKS6_NS0_5tupleIJS9_S6_EEENSD_IJSA_SA_EEENS0_18inequality_wrapperIZN2at6native12_GLOBAL__N_124unique_dim_cuda_templateImEESt5tupleIJNSH_6TensorESM_SM_EERKSM_lbbbEUlllE0_EEPmJS6_EEE10hipError_tPvRmT3_T4_T5_T6_T7_T9_mT8_P12ihipStream_tbDpT10_ENKUlT_T0_E_clISt17integral_constantIbLb0EES1C_EEDaS17_S18_EUlS17_E_NS1_11comp_targetILNS1_3genE5ELNS1_11target_archE942ELNS1_3gpuE9ELNS1_3repE0EEENS1_30default_config_static_selectorELNS0_4arch9wavefront6targetE0EEEvT1_
                                        ; -- End function
	.section	.AMDGPU.csdata,"",@progbits
; Kernel info:
; codeLenInByte = 0
; NumSgprs: 0
; NumVgprs: 0
; ScratchSize: 0
; MemoryBound: 0
; FloatMode: 240
; IeeeMode: 1
; LDSByteSize: 0 bytes/workgroup (compile time only)
; SGPRBlocks: 0
; VGPRBlocks: 0
; NumSGPRsForWavesPerEU: 1
; NumVGPRsForWavesPerEU: 1
; Occupancy: 16
; WaveLimiterHint : 0
; COMPUTE_PGM_RSRC2:SCRATCH_EN: 0
; COMPUTE_PGM_RSRC2:USER_SGPR: 15
; COMPUTE_PGM_RSRC2:TRAP_HANDLER: 0
; COMPUTE_PGM_RSRC2:TGID_X_EN: 1
; COMPUTE_PGM_RSRC2:TGID_Y_EN: 0
; COMPUTE_PGM_RSRC2:TGID_Z_EN: 0
; COMPUTE_PGM_RSRC2:TIDIG_COMP_CNT: 0
	.section	.text._ZN7rocprim17ROCPRIM_400000_NS6detail17trampoline_kernelINS0_14default_configENS1_25partition_config_selectorILNS1_17partition_subalgoE8ElNS0_10empty_typeEbEEZZNS1_14partition_implILS5_8ELb0ES3_jPlPS6_PKS6_NS0_5tupleIJS9_S6_EEENSD_IJSA_SA_EEENS0_18inequality_wrapperIZN2at6native12_GLOBAL__N_124unique_dim_cuda_templateImEESt5tupleIJNSH_6TensorESM_SM_EERKSM_lbbbEUlllE0_EEPmJS6_EEE10hipError_tPvRmT3_T4_T5_T6_T7_T9_mT8_P12ihipStream_tbDpT10_ENKUlT_T0_E_clISt17integral_constantIbLb0EES1C_EEDaS17_S18_EUlS17_E_NS1_11comp_targetILNS1_3genE4ELNS1_11target_archE910ELNS1_3gpuE8ELNS1_3repE0EEENS1_30default_config_static_selectorELNS0_4arch9wavefront6targetE0EEEvT1_,"axG",@progbits,_ZN7rocprim17ROCPRIM_400000_NS6detail17trampoline_kernelINS0_14default_configENS1_25partition_config_selectorILNS1_17partition_subalgoE8ElNS0_10empty_typeEbEEZZNS1_14partition_implILS5_8ELb0ES3_jPlPS6_PKS6_NS0_5tupleIJS9_S6_EEENSD_IJSA_SA_EEENS0_18inequality_wrapperIZN2at6native12_GLOBAL__N_124unique_dim_cuda_templateImEESt5tupleIJNSH_6TensorESM_SM_EERKSM_lbbbEUlllE0_EEPmJS6_EEE10hipError_tPvRmT3_T4_T5_T6_T7_T9_mT8_P12ihipStream_tbDpT10_ENKUlT_T0_E_clISt17integral_constantIbLb0EES1C_EEDaS17_S18_EUlS17_E_NS1_11comp_targetILNS1_3genE4ELNS1_11target_archE910ELNS1_3gpuE8ELNS1_3repE0EEENS1_30default_config_static_selectorELNS0_4arch9wavefront6targetE0EEEvT1_,comdat
	.globl	_ZN7rocprim17ROCPRIM_400000_NS6detail17trampoline_kernelINS0_14default_configENS1_25partition_config_selectorILNS1_17partition_subalgoE8ElNS0_10empty_typeEbEEZZNS1_14partition_implILS5_8ELb0ES3_jPlPS6_PKS6_NS0_5tupleIJS9_S6_EEENSD_IJSA_SA_EEENS0_18inequality_wrapperIZN2at6native12_GLOBAL__N_124unique_dim_cuda_templateImEESt5tupleIJNSH_6TensorESM_SM_EERKSM_lbbbEUlllE0_EEPmJS6_EEE10hipError_tPvRmT3_T4_T5_T6_T7_T9_mT8_P12ihipStream_tbDpT10_ENKUlT_T0_E_clISt17integral_constantIbLb0EES1C_EEDaS17_S18_EUlS17_E_NS1_11comp_targetILNS1_3genE4ELNS1_11target_archE910ELNS1_3gpuE8ELNS1_3repE0EEENS1_30default_config_static_selectorELNS0_4arch9wavefront6targetE0EEEvT1_ ; -- Begin function _ZN7rocprim17ROCPRIM_400000_NS6detail17trampoline_kernelINS0_14default_configENS1_25partition_config_selectorILNS1_17partition_subalgoE8ElNS0_10empty_typeEbEEZZNS1_14partition_implILS5_8ELb0ES3_jPlPS6_PKS6_NS0_5tupleIJS9_S6_EEENSD_IJSA_SA_EEENS0_18inequality_wrapperIZN2at6native12_GLOBAL__N_124unique_dim_cuda_templateImEESt5tupleIJNSH_6TensorESM_SM_EERKSM_lbbbEUlllE0_EEPmJS6_EEE10hipError_tPvRmT3_T4_T5_T6_T7_T9_mT8_P12ihipStream_tbDpT10_ENKUlT_T0_E_clISt17integral_constantIbLb0EES1C_EEDaS17_S18_EUlS17_E_NS1_11comp_targetILNS1_3genE4ELNS1_11target_archE910ELNS1_3gpuE8ELNS1_3repE0EEENS1_30default_config_static_selectorELNS0_4arch9wavefront6targetE0EEEvT1_
	.p2align	8
	.type	_ZN7rocprim17ROCPRIM_400000_NS6detail17trampoline_kernelINS0_14default_configENS1_25partition_config_selectorILNS1_17partition_subalgoE8ElNS0_10empty_typeEbEEZZNS1_14partition_implILS5_8ELb0ES3_jPlPS6_PKS6_NS0_5tupleIJS9_S6_EEENSD_IJSA_SA_EEENS0_18inequality_wrapperIZN2at6native12_GLOBAL__N_124unique_dim_cuda_templateImEESt5tupleIJNSH_6TensorESM_SM_EERKSM_lbbbEUlllE0_EEPmJS6_EEE10hipError_tPvRmT3_T4_T5_T6_T7_T9_mT8_P12ihipStream_tbDpT10_ENKUlT_T0_E_clISt17integral_constantIbLb0EES1C_EEDaS17_S18_EUlS17_E_NS1_11comp_targetILNS1_3genE4ELNS1_11target_archE910ELNS1_3gpuE8ELNS1_3repE0EEENS1_30default_config_static_selectorELNS0_4arch9wavefront6targetE0EEEvT1_,@function
_ZN7rocprim17ROCPRIM_400000_NS6detail17trampoline_kernelINS0_14default_configENS1_25partition_config_selectorILNS1_17partition_subalgoE8ElNS0_10empty_typeEbEEZZNS1_14partition_implILS5_8ELb0ES3_jPlPS6_PKS6_NS0_5tupleIJS9_S6_EEENSD_IJSA_SA_EEENS0_18inequality_wrapperIZN2at6native12_GLOBAL__N_124unique_dim_cuda_templateImEESt5tupleIJNSH_6TensorESM_SM_EERKSM_lbbbEUlllE0_EEPmJS6_EEE10hipError_tPvRmT3_T4_T5_T6_T7_T9_mT8_P12ihipStream_tbDpT10_ENKUlT_T0_E_clISt17integral_constantIbLb0EES1C_EEDaS17_S18_EUlS17_E_NS1_11comp_targetILNS1_3genE4ELNS1_11target_archE910ELNS1_3gpuE8ELNS1_3repE0EEENS1_30default_config_static_selectorELNS0_4arch9wavefront6targetE0EEEvT1_: ; @_ZN7rocprim17ROCPRIM_400000_NS6detail17trampoline_kernelINS0_14default_configENS1_25partition_config_selectorILNS1_17partition_subalgoE8ElNS0_10empty_typeEbEEZZNS1_14partition_implILS5_8ELb0ES3_jPlPS6_PKS6_NS0_5tupleIJS9_S6_EEENSD_IJSA_SA_EEENS0_18inequality_wrapperIZN2at6native12_GLOBAL__N_124unique_dim_cuda_templateImEESt5tupleIJNSH_6TensorESM_SM_EERKSM_lbbbEUlllE0_EEPmJS6_EEE10hipError_tPvRmT3_T4_T5_T6_T7_T9_mT8_P12ihipStream_tbDpT10_ENKUlT_T0_E_clISt17integral_constantIbLb0EES1C_EEDaS17_S18_EUlS17_E_NS1_11comp_targetILNS1_3genE4ELNS1_11target_archE910ELNS1_3gpuE8ELNS1_3repE0EEENS1_30default_config_static_selectorELNS0_4arch9wavefront6targetE0EEEvT1_
; %bb.0:
	.section	.rodata,"a",@progbits
	.p2align	6, 0x0
	.amdhsa_kernel _ZN7rocprim17ROCPRIM_400000_NS6detail17trampoline_kernelINS0_14default_configENS1_25partition_config_selectorILNS1_17partition_subalgoE8ElNS0_10empty_typeEbEEZZNS1_14partition_implILS5_8ELb0ES3_jPlPS6_PKS6_NS0_5tupleIJS9_S6_EEENSD_IJSA_SA_EEENS0_18inequality_wrapperIZN2at6native12_GLOBAL__N_124unique_dim_cuda_templateImEESt5tupleIJNSH_6TensorESM_SM_EERKSM_lbbbEUlllE0_EEPmJS6_EEE10hipError_tPvRmT3_T4_T5_T6_T7_T9_mT8_P12ihipStream_tbDpT10_ENKUlT_T0_E_clISt17integral_constantIbLb0EES1C_EEDaS17_S18_EUlS17_E_NS1_11comp_targetILNS1_3genE4ELNS1_11target_archE910ELNS1_3gpuE8ELNS1_3repE0EEENS1_30default_config_static_selectorELNS0_4arch9wavefront6targetE0EEEvT1_
		.amdhsa_group_segment_fixed_size 0
		.amdhsa_private_segment_fixed_size 0
		.amdhsa_kernarg_size 120
		.amdhsa_user_sgpr_count 15
		.amdhsa_user_sgpr_dispatch_ptr 0
		.amdhsa_user_sgpr_queue_ptr 0
		.amdhsa_user_sgpr_kernarg_segment_ptr 1
		.amdhsa_user_sgpr_dispatch_id 0
		.amdhsa_user_sgpr_private_segment_size 0
		.amdhsa_wavefront_size32 1
		.amdhsa_uses_dynamic_stack 0
		.amdhsa_enable_private_segment 0
		.amdhsa_system_sgpr_workgroup_id_x 1
		.amdhsa_system_sgpr_workgroup_id_y 0
		.amdhsa_system_sgpr_workgroup_id_z 0
		.amdhsa_system_sgpr_workgroup_info 0
		.amdhsa_system_vgpr_workitem_id 0
		.amdhsa_next_free_vgpr 1
		.amdhsa_next_free_sgpr 1
		.amdhsa_reserve_vcc 0
		.amdhsa_float_round_mode_32 0
		.amdhsa_float_round_mode_16_64 0
		.amdhsa_float_denorm_mode_32 3
		.amdhsa_float_denorm_mode_16_64 3
		.amdhsa_dx10_clamp 1
		.amdhsa_ieee_mode 1
		.amdhsa_fp16_overflow 0
		.amdhsa_workgroup_processor_mode 1
		.amdhsa_memory_ordered 1
		.amdhsa_forward_progress 0
		.amdhsa_shared_vgpr_count 0
		.amdhsa_exception_fp_ieee_invalid_op 0
		.amdhsa_exception_fp_denorm_src 0
		.amdhsa_exception_fp_ieee_div_zero 0
		.amdhsa_exception_fp_ieee_overflow 0
		.amdhsa_exception_fp_ieee_underflow 0
		.amdhsa_exception_fp_ieee_inexact 0
		.amdhsa_exception_int_div_zero 0
	.end_amdhsa_kernel
	.section	.text._ZN7rocprim17ROCPRIM_400000_NS6detail17trampoline_kernelINS0_14default_configENS1_25partition_config_selectorILNS1_17partition_subalgoE8ElNS0_10empty_typeEbEEZZNS1_14partition_implILS5_8ELb0ES3_jPlPS6_PKS6_NS0_5tupleIJS9_S6_EEENSD_IJSA_SA_EEENS0_18inequality_wrapperIZN2at6native12_GLOBAL__N_124unique_dim_cuda_templateImEESt5tupleIJNSH_6TensorESM_SM_EERKSM_lbbbEUlllE0_EEPmJS6_EEE10hipError_tPvRmT3_T4_T5_T6_T7_T9_mT8_P12ihipStream_tbDpT10_ENKUlT_T0_E_clISt17integral_constantIbLb0EES1C_EEDaS17_S18_EUlS17_E_NS1_11comp_targetILNS1_3genE4ELNS1_11target_archE910ELNS1_3gpuE8ELNS1_3repE0EEENS1_30default_config_static_selectorELNS0_4arch9wavefront6targetE0EEEvT1_,"axG",@progbits,_ZN7rocprim17ROCPRIM_400000_NS6detail17trampoline_kernelINS0_14default_configENS1_25partition_config_selectorILNS1_17partition_subalgoE8ElNS0_10empty_typeEbEEZZNS1_14partition_implILS5_8ELb0ES3_jPlPS6_PKS6_NS0_5tupleIJS9_S6_EEENSD_IJSA_SA_EEENS0_18inequality_wrapperIZN2at6native12_GLOBAL__N_124unique_dim_cuda_templateImEESt5tupleIJNSH_6TensorESM_SM_EERKSM_lbbbEUlllE0_EEPmJS6_EEE10hipError_tPvRmT3_T4_T5_T6_T7_T9_mT8_P12ihipStream_tbDpT10_ENKUlT_T0_E_clISt17integral_constantIbLb0EES1C_EEDaS17_S18_EUlS17_E_NS1_11comp_targetILNS1_3genE4ELNS1_11target_archE910ELNS1_3gpuE8ELNS1_3repE0EEENS1_30default_config_static_selectorELNS0_4arch9wavefront6targetE0EEEvT1_,comdat
.Lfunc_end1663:
	.size	_ZN7rocprim17ROCPRIM_400000_NS6detail17trampoline_kernelINS0_14default_configENS1_25partition_config_selectorILNS1_17partition_subalgoE8ElNS0_10empty_typeEbEEZZNS1_14partition_implILS5_8ELb0ES3_jPlPS6_PKS6_NS0_5tupleIJS9_S6_EEENSD_IJSA_SA_EEENS0_18inequality_wrapperIZN2at6native12_GLOBAL__N_124unique_dim_cuda_templateImEESt5tupleIJNSH_6TensorESM_SM_EERKSM_lbbbEUlllE0_EEPmJS6_EEE10hipError_tPvRmT3_T4_T5_T6_T7_T9_mT8_P12ihipStream_tbDpT10_ENKUlT_T0_E_clISt17integral_constantIbLb0EES1C_EEDaS17_S18_EUlS17_E_NS1_11comp_targetILNS1_3genE4ELNS1_11target_archE910ELNS1_3gpuE8ELNS1_3repE0EEENS1_30default_config_static_selectorELNS0_4arch9wavefront6targetE0EEEvT1_, .Lfunc_end1663-_ZN7rocprim17ROCPRIM_400000_NS6detail17trampoline_kernelINS0_14default_configENS1_25partition_config_selectorILNS1_17partition_subalgoE8ElNS0_10empty_typeEbEEZZNS1_14partition_implILS5_8ELb0ES3_jPlPS6_PKS6_NS0_5tupleIJS9_S6_EEENSD_IJSA_SA_EEENS0_18inequality_wrapperIZN2at6native12_GLOBAL__N_124unique_dim_cuda_templateImEESt5tupleIJNSH_6TensorESM_SM_EERKSM_lbbbEUlllE0_EEPmJS6_EEE10hipError_tPvRmT3_T4_T5_T6_T7_T9_mT8_P12ihipStream_tbDpT10_ENKUlT_T0_E_clISt17integral_constantIbLb0EES1C_EEDaS17_S18_EUlS17_E_NS1_11comp_targetILNS1_3genE4ELNS1_11target_archE910ELNS1_3gpuE8ELNS1_3repE0EEENS1_30default_config_static_selectorELNS0_4arch9wavefront6targetE0EEEvT1_
                                        ; -- End function
	.section	.AMDGPU.csdata,"",@progbits
; Kernel info:
; codeLenInByte = 0
; NumSgprs: 0
; NumVgprs: 0
; ScratchSize: 0
; MemoryBound: 0
; FloatMode: 240
; IeeeMode: 1
; LDSByteSize: 0 bytes/workgroup (compile time only)
; SGPRBlocks: 0
; VGPRBlocks: 0
; NumSGPRsForWavesPerEU: 1
; NumVGPRsForWavesPerEU: 1
; Occupancy: 16
; WaveLimiterHint : 0
; COMPUTE_PGM_RSRC2:SCRATCH_EN: 0
; COMPUTE_PGM_RSRC2:USER_SGPR: 15
; COMPUTE_PGM_RSRC2:TRAP_HANDLER: 0
; COMPUTE_PGM_RSRC2:TGID_X_EN: 1
; COMPUTE_PGM_RSRC2:TGID_Y_EN: 0
; COMPUTE_PGM_RSRC2:TGID_Z_EN: 0
; COMPUTE_PGM_RSRC2:TIDIG_COMP_CNT: 0
	.section	.text._ZN7rocprim17ROCPRIM_400000_NS6detail17trampoline_kernelINS0_14default_configENS1_25partition_config_selectorILNS1_17partition_subalgoE8ElNS0_10empty_typeEbEEZZNS1_14partition_implILS5_8ELb0ES3_jPlPS6_PKS6_NS0_5tupleIJS9_S6_EEENSD_IJSA_SA_EEENS0_18inequality_wrapperIZN2at6native12_GLOBAL__N_124unique_dim_cuda_templateImEESt5tupleIJNSH_6TensorESM_SM_EERKSM_lbbbEUlllE0_EEPmJS6_EEE10hipError_tPvRmT3_T4_T5_T6_T7_T9_mT8_P12ihipStream_tbDpT10_ENKUlT_T0_E_clISt17integral_constantIbLb0EES1C_EEDaS17_S18_EUlS17_E_NS1_11comp_targetILNS1_3genE3ELNS1_11target_archE908ELNS1_3gpuE7ELNS1_3repE0EEENS1_30default_config_static_selectorELNS0_4arch9wavefront6targetE0EEEvT1_,"axG",@progbits,_ZN7rocprim17ROCPRIM_400000_NS6detail17trampoline_kernelINS0_14default_configENS1_25partition_config_selectorILNS1_17partition_subalgoE8ElNS0_10empty_typeEbEEZZNS1_14partition_implILS5_8ELb0ES3_jPlPS6_PKS6_NS0_5tupleIJS9_S6_EEENSD_IJSA_SA_EEENS0_18inequality_wrapperIZN2at6native12_GLOBAL__N_124unique_dim_cuda_templateImEESt5tupleIJNSH_6TensorESM_SM_EERKSM_lbbbEUlllE0_EEPmJS6_EEE10hipError_tPvRmT3_T4_T5_T6_T7_T9_mT8_P12ihipStream_tbDpT10_ENKUlT_T0_E_clISt17integral_constantIbLb0EES1C_EEDaS17_S18_EUlS17_E_NS1_11comp_targetILNS1_3genE3ELNS1_11target_archE908ELNS1_3gpuE7ELNS1_3repE0EEENS1_30default_config_static_selectorELNS0_4arch9wavefront6targetE0EEEvT1_,comdat
	.globl	_ZN7rocprim17ROCPRIM_400000_NS6detail17trampoline_kernelINS0_14default_configENS1_25partition_config_selectorILNS1_17partition_subalgoE8ElNS0_10empty_typeEbEEZZNS1_14partition_implILS5_8ELb0ES3_jPlPS6_PKS6_NS0_5tupleIJS9_S6_EEENSD_IJSA_SA_EEENS0_18inequality_wrapperIZN2at6native12_GLOBAL__N_124unique_dim_cuda_templateImEESt5tupleIJNSH_6TensorESM_SM_EERKSM_lbbbEUlllE0_EEPmJS6_EEE10hipError_tPvRmT3_T4_T5_T6_T7_T9_mT8_P12ihipStream_tbDpT10_ENKUlT_T0_E_clISt17integral_constantIbLb0EES1C_EEDaS17_S18_EUlS17_E_NS1_11comp_targetILNS1_3genE3ELNS1_11target_archE908ELNS1_3gpuE7ELNS1_3repE0EEENS1_30default_config_static_selectorELNS0_4arch9wavefront6targetE0EEEvT1_ ; -- Begin function _ZN7rocprim17ROCPRIM_400000_NS6detail17trampoline_kernelINS0_14default_configENS1_25partition_config_selectorILNS1_17partition_subalgoE8ElNS0_10empty_typeEbEEZZNS1_14partition_implILS5_8ELb0ES3_jPlPS6_PKS6_NS0_5tupleIJS9_S6_EEENSD_IJSA_SA_EEENS0_18inequality_wrapperIZN2at6native12_GLOBAL__N_124unique_dim_cuda_templateImEESt5tupleIJNSH_6TensorESM_SM_EERKSM_lbbbEUlllE0_EEPmJS6_EEE10hipError_tPvRmT3_T4_T5_T6_T7_T9_mT8_P12ihipStream_tbDpT10_ENKUlT_T0_E_clISt17integral_constantIbLb0EES1C_EEDaS17_S18_EUlS17_E_NS1_11comp_targetILNS1_3genE3ELNS1_11target_archE908ELNS1_3gpuE7ELNS1_3repE0EEENS1_30default_config_static_selectorELNS0_4arch9wavefront6targetE0EEEvT1_
	.p2align	8
	.type	_ZN7rocprim17ROCPRIM_400000_NS6detail17trampoline_kernelINS0_14default_configENS1_25partition_config_selectorILNS1_17partition_subalgoE8ElNS0_10empty_typeEbEEZZNS1_14partition_implILS5_8ELb0ES3_jPlPS6_PKS6_NS0_5tupleIJS9_S6_EEENSD_IJSA_SA_EEENS0_18inequality_wrapperIZN2at6native12_GLOBAL__N_124unique_dim_cuda_templateImEESt5tupleIJNSH_6TensorESM_SM_EERKSM_lbbbEUlllE0_EEPmJS6_EEE10hipError_tPvRmT3_T4_T5_T6_T7_T9_mT8_P12ihipStream_tbDpT10_ENKUlT_T0_E_clISt17integral_constantIbLb0EES1C_EEDaS17_S18_EUlS17_E_NS1_11comp_targetILNS1_3genE3ELNS1_11target_archE908ELNS1_3gpuE7ELNS1_3repE0EEENS1_30default_config_static_selectorELNS0_4arch9wavefront6targetE0EEEvT1_,@function
_ZN7rocprim17ROCPRIM_400000_NS6detail17trampoline_kernelINS0_14default_configENS1_25partition_config_selectorILNS1_17partition_subalgoE8ElNS0_10empty_typeEbEEZZNS1_14partition_implILS5_8ELb0ES3_jPlPS6_PKS6_NS0_5tupleIJS9_S6_EEENSD_IJSA_SA_EEENS0_18inequality_wrapperIZN2at6native12_GLOBAL__N_124unique_dim_cuda_templateImEESt5tupleIJNSH_6TensorESM_SM_EERKSM_lbbbEUlllE0_EEPmJS6_EEE10hipError_tPvRmT3_T4_T5_T6_T7_T9_mT8_P12ihipStream_tbDpT10_ENKUlT_T0_E_clISt17integral_constantIbLb0EES1C_EEDaS17_S18_EUlS17_E_NS1_11comp_targetILNS1_3genE3ELNS1_11target_archE908ELNS1_3gpuE7ELNS1_3repE0EEENS1_30default_config_static_selectorELNS0_4arch9wavefront6targetE0EEEvT1_: ; @_ZN7rocprim17ROCPRIM_400000_NS6detail17trampoline_kernelINS0_14default_configENS1_25partition_config_selectorILNS1_17partition_subalgoE8ElNS0_10empty_typeEbEEZZNS1_14partition_implILS5_8ELb0ES3_jPlPS6_PKS6_NS0_5tupleIJS9_S6_EEENSD_IJSA_SA_EEENS0_18inequality_wrapperIZN2at6native12_GLOBAL__N_124unique_dim_cuda_templateImEESt5tupleIJNSH_6TensorESM_SM_EERKSM_lbbbEUlllE0_EEPmJS6_EEE10hipError_tPvRmT3_T4_T5_T6_T7_T9_mT8_P12ihipStream_tbDpT10_ENKUlT_T0_E_clISt17integral_constantIbLb0EES1C_EEDaS17_S18_EUlS17_E_NS1_11comp_targetILNS1_3genE3ELNS1_11target_archE908ELNS1_3gpuE7ELNS1_3repE0EEENS1_30default_config_static_selectorELNS0_4arch9wavefront6targetE0EEEvT1_
; %bb.0:
	.section	.rodata,"a",@progbits
	.p2align	6, 0x0
	.amdhsa_kernel _ZN7rocprim17ROCPRIM_400000_NS6detail17trampoline_kernelINS0_14default_configENS1_25partition_config_selectorILNS1_17partition_subalgoE8ElNS0_10empty_typeEbEEZZNS1_14partition_implILS5_8ELb0ES3_jPlPS6_PKS6_NS0_5tupleIJS9_S6_EEENSD_IJSA_SA_EEENS0_18inequality_wrapperIZN2at6native12_GLOBAL__N_124unique_dim_cuda_templateImEESt5tupleIJNSH_6TensorESM_SM_EERKSM_lbbbEUlllE0_EEPmJS6_EEE10hipError_tPvRmT3_T4_T5_T6_T7_T9_mT8_P12ihipStream_tbDpT10_ENKUlT_T0_E_clISt17integral_constantIbLb0EES1C_EEDaS17_S18_EUlS17_E_NS1_11comp_targetILNS1_3genE3ELNS1_11target_archE908ELNS1_3gpuE7ELNS1_3repE0EEENS1_30default_config_static_selectorELNS0_4arch9wavefront6targetE0EEEvT1_
		.amdhsa_group_segment_fixed_size 0
		.amdhsa_private_segment_fixed_size 0
		.amdhsa_kernarg_size 120
		.amdhsa_user_sgpr_count 15
		.amdhsa_user_sgpr_dispatch_ptr 0
		.amdhsa_user_sgpr_queue_ptr 0
		.amdhsa_user_sgpr_kernarg_segment_ptr 1
		.amdhsa_user_sgpr_dispatch_id 0
		.amdhsa_user_sgpr_private_segment_size 0
		.amdhsa_wavefront_size32 1
		.amdhsa_uses_dynamic_stack 0
		.amdhsa_enable_private_segment 0
		.amdhsa_system_sgpr_workgroup_id_x 1
		.amdhsa_system_sgpr_workgroup_id_y 0
		.amdhsa_system_sgpr_workgroup_id_z 0
		.amdhsa_system_sgpr_workgroup_info 0
		.amdhsa_system_vgpr_workitem_id 0
		.amdhsa_next_free_vgpr 1
		.amdhsa_next_free_sgpr 1
		.amdhsa_reserve_vcc 0
		.amdhsa_float_round_mode_32 0
		.amdhsa_float_round_mode_16_64 0
		.amdhsa_float_denorm_mode_32 3
		.amdhsa_float_denorm_mode_16_64 3
		.amdhsa_dx10_clamp 1
		.amdhsa_ieee_mode 1
		.amdhsa_fp16_overflow 0
		.amdhsa_workgroup_processor_mode 1
		.amdhsa_memory_ordered 1
		.amdhsa_forward_progress 0
		.amdhsa_shared_vgpr_count 0
		.amdhsa_exception_fp_ieee_invalid_op 0
		.amdhsa_exception_fp_denorm_src 0
		.amdhsa_exception_fp_ieee_div_zero 0
		.amdhsa_exception_fp_ieee_overflow 0
		.amdhsa_exception_fp_ieee_underflow 0
		.amdhsa_exception_fp_ieee_inexact 0
		.amdhsa_exception_int_div_zero 0
	.end_amdhsa_kernel
	.section	.text._ZN7rocprim17ROCPRIM_400000_NS6detail17trampoline_kernelINS0_14default_configENS1_25partition_config_selectorILNS1_17partition_subalgoE8ElNS0_10empty_typeEbEEZZNS1_14partition_implILS5_8ELb0ES3_jPlPS6_PKS6_NS0_5tupleIJS9_S6_EEENSD_IJSA_SA_EEENS0_18inequality_wrapperIZN2at6native12_GLOBAL__N_124unique_dim_cuda_templateImEESt5tupleIJNSH_6TensorESM_SM_EERKSM_lbbbEUlllE0_EEPmJS6_EEE10hipError_tPvRmT3_T4_T5_T6_T7_T9_mT8_P12ihipStream_tbDpT10_ENKUlT_T0_E_clISt17integral_constantIbLb0EES1C_EEDaS17_S18_EUlS17_E_NS1_11comp_targetILNS1_3genE3ELNS1_11target_archE908ELNS1_3gpuE7ELNS1_3repE0EEENS1_30default_config_static_selectorELNS0_4arch9wavefront6targetE0EEEvT1_,"axG",@progbits,_ZN7rocprim17ROCPRIM_400000_NS6detail17trampoline_kernelINS0_14default_configENS1_25partition_config_selectorILNS1_17partition_subalgoE8ElNS0_10empty_typeEbEEZZNS1_14partition_implILS5_8ELb0ES3_jPlPS6_PKS6_NS0_5tupleIJS9_S6_EEENSD_IJSA_SA_EEENS0_18inequality_wrapperIZN2at6native12_GLOBAL__N_124unique_dim_cuda_templateImEESt5tupleIJNSH_6TensorESM_SM_EERKSM_lbbbEUlllE0_EEPmJS6_EEE10hipError_tPvRmT3_T4_T5_T6_T7_T9_mT8_P12ihipStream_tbDpT10_ENKUlT_T0_E_clISt17integral_constantIbLb0EES1C_EEDaS17_S18_EUlS17_E_NS1_11comp_targetILNS1_3genE3ELNS1_11target_archE908ELNS1_3gpuE7ELNS1_3repE0EEENS1_30default_config_static_selectorELNS0_4arch9wavefront6targetE0EEEvT1_,comdat
.Lfunc_end1664:
	.size	_ZN7rocprim17ROCPRIM_400000_NS6detail17trampoline_kernelINS0_14default_configENS1_25partition_config_selectorILNS1_17partition_subalgoE8ElNS0_10empty_typeEbEEZZNS1_14partition_implILS5_8ELb0ES3_jPlPS6_PKS6_NS0_5tupleIJS9_S6_EEENSD_IJSA_SA_EEENS0_18inequality_wrapperIZN2at6native12_GLOBAL__N_124unique_dim_cuda_templateImEESt5tupleIJNSH_6TensorESM_SM_EERKSM_lbbbEUlllE0_EEPmJS6_EEE10hipError_tPvRmT3_T4_T5_T6_T7_T9_mT8_P12ihipStream_tbDpT10_ENKUlT_T0_E_clISt17integral_constantIbLb0EES1C_EEDaS17_S18_EUlS17_E_NS1_11comp_targetILNS1_3genE3ELNS1_11target_archE908ELNS1_3gpuE7ELNS1_3repE0EEENS1_30default_config_static_selectorELNS0_4arch9wavefront6targetE0EEEvT1_, .Lfunc_end1664-_ZN7rocprim17ROCPRIM_400000_NS6detail17trampoline_kernelINS0_14default_configENS1_25partition_config_selectorILNS1_17partition_subalgoE8ElNS0_10empty_typeEbEEZZNS1_14partition_implILS5_8ELb0ES3_jPlPS6_PKS6_NS0_5tupleIJS9_S6_EEENSD_IJSA_SA_EEENS0_18inequality_wrapperIZN2at6native12_GLOBAL__N_124unique_dim_cuda_templateImEESt5tupleIJNSH_6TensorESM_SM_EERKSM_lbbbEUlllE0_EEPmJS6_EEE10hipError_tPvRmT3_T4_T5_T6_T7_T9_mT8_P12ihipStream_tbDpT10_ENKUlT_T0_E_clISt17integral_constantIbLb0EES1C_EEDaS17_S18_EUlS17_E_NS1_11comp_targetILNS1_3genE3ELNS1_11target_archE908ELNS1_3gpuE7ELNS1_3repE0EEENS1_30default_config_static_selectorELNS0_4arch9wavefront6targetE0EEEvT1_
                                        ; -- End function
	.section	.AMDGPU.csdata,"",@progbits
; Kernel info:
; codeLenInByte = 0
; NumSgprs: 0
; NumVgprs: 0
; ScratchSize: 0
; MemoryBound: 0
; FloatMode: 240
; IeeeMode: 1
; LDSByteSize: 0 bytes/workgroup (compile time only)
; SGPRBlocks: 0
; VGPRBlocks: 0
; NumSGPRsForWavesPerEU: 1
; NumVGPRsForWavesPerEU: 1
; Occupancy: 16
; WaveLimiterHint : 0
; COMPUTE_PGM_RSRC2:SCRATCH_EN: 0
; COMPUTE_PGM_RSRC2:USER_SGPR: 15
; COMPUTE_PGM_RSRC2:TRAP_HANDLER: 0
; COMPUTE_PGM_RSRC2:TGID_X_EN: 1
; COMPUTE_PGM_RSRC2:TGID_Y_EN: 0
; COMPUTE_PGM_RSRC2:TGID_Z_EN: 0
; COMPUTE_PGM_RSRC2:TIDIG_COMP_CNT: 0
	.section	.text._ZN7rocprim17ROCPRIM_400000_NS6detail17trampoline_kernelINS0_14default_configENS1_25partition_config_selectorILNS1_17partition_subalgoE8ElNS0_10empty_typeEbEEZZNS1_14partition_implILS5_8ELb0ES3_jPlPS6_PKS6_NS0_5tupleIJS9_S6_EEENSD_IJSA_SA_EEENS0_18inequality_wrapperIZN2at6native12_GLOBAL__N_124unique_dim_cuda_templateImEESt5tupleIJNSH_6TensorESM_SM_EERKSM_lbbbEUlllE0_EEPmJS6_EEE10hipError_tPvRmT3_T4_T5_T6_T7_T9_mT8_P12ihipStream_tbDpT10_ENKUlT_T0_E_clISt17integral_constantIbLb0EES1C_EEDaS17_S18_EUlS17_E_NS1_11comp_targetILNS1_3genE2ELNS1_11target_archE906ELNS1_3gpuE6ELNS1_3repE0EEENS1_30default_config_static_selectorELNS0_4arch9wavefront6targetE0EEEvT1_,"axG",@progbits,_ZN7rocprim17ROCPRIM_400000_NS6detail17trampoline_kernelINS0_14default_configENS1_25partition_config_selectorILNS1_17partition_subalgoE8ElNS0_10empty_typeEbEEZZNS1_14partition_implILS5_8ELb0ES3_jPlPS6_PKS6_NS0_5tupleIJS9_S6_EEENSD_IJSA_SA_EEENS0_18inequality_wrapperIZN2at6native12_GLOBAL__N_124unique_dim_cuda_templateImEESt5tupleIJNSH_6TensorESM_SM_EERKSM_lbbbEUlllE0_EEPmJS6_EEE10hipError_tPvRmT3_T4_T5_T6_T7_T9_mT8_P12ihipStream_tbDpT10_ENKUlT_T0_E_clISt17integral_constantIbLb0EES1C_EEDaS17_S18_EUlS17_E_NS1_11comp_targetILNS1_3genE2ELNS1_11target_archE906ELNS1_3gpuE6ELNS1_3repE0EEENS1_30default_config_static_selectorELNS0_4arch9wavefront6targetE0EEEvT1_,comdat
	.globl	_ZN7rocprim17ROCPRIM_400000_NS6detail17trampoline_kernelINS0_14default_configENS1_25partition_config_selectorILNS1_17partition_subalgoE8ElNS0_10empty_typeEbEEZZNS1_14partition_implILS5_8ELb0ES3_jPlPS6_PKS6_NS0_5tupleIJS9_S6_EEENSD_IJSA_SA_EEENS0_18inequality_wrapperIZN2at6native12_GLOBAL__N_124unique_dim_cuda_templateImEESt5tupleIJNSH_6TensorESM_SM_EERKSM_lbbbEUlllE0_EEPmJS6_EEE10hipError_tPvRmT3_T4_T5_T6_T7_T9_mT8_P12ihipStream_tbDpT10_ENKUlT_T0_E_clISt17integral_constantIbLb0EES1C_EEDaS17_S18_EUlS17_E_NS1_11comp_targetILNS1_3genE2ELNS1_11target_archE906ELNS1_3gpuE6ELNS1_3repE0EEENS1_30default_config_static_selectorELNS0_4arch9wavefront6targetE0EEEvT1_ ; -- Begin function _ZN7rocprim17ROCPRIM_400000_NS6detail17trampoline_kernelINS0_14default_configENS1_25partition_config_selectorILNS1_17partition_subalgoE8ElNS0_10empty_typeEbEEZZNS1_14partition_implILS5_8ELb0ES3_jPlPS6_PKS6_NS0_5tupleIJS9_S6_EEENSD_IJSA_SA_EEENS0_18inequality_wrapperIZN2at6native12_GLOBAL__N_124unique_dim_cuda_templateImEESt5tupleIJNSH_6TensorESM_SM_EERKSM_lbbbEUlllE0_EEPmJS6_EEE10hipError_tPvRmT3_T4_T5_T6_T7_T9_mT8_P12ihipStream_tbDpT10_ENKUlT_T0_E_clISt17integral_constantIbLb0EES1C_EEDaS17_S18_EUlS17_E_NS1_11comp_targetILNS1_3genE2ELNS1_11target_archE906ELNS1_3gpuE6ELNS1_3repE0EEENS1_30default_config_static_selectorELNS0_4arch9wavefront6targetE0EEEvT1_
	.p2align	8
	.type	_ZN7rocprim17ROCPRIM_400000_NS6detail17trampoline_kernelINS0_14default_configENS1_25partition_config_selectorILNS1_17partition_subalgoE8ElNS0_10empty_typeEbEEZZNS1_14partition_implILS5_8ELb0ES3_jPlPS6_PKS6_NS0_5tupleIJS9_S6_EEENSD_IJSA_SA_EEENS0_18inequality_wrapperIZN2at6native12_GLOBAL__N_124unique_dim_cuda_templateImEESt5tupleIJNSH_6TensorESM_SM_EERKSM_lbbbEUlllE0_EEPmJS6_EEE10hipError_tPvRmT3_T4_T5_T6_T7_T9_mT8_P12ihipStream_tbDpT10_ENKUlT_T0_E_clISt17integral_constantIbLb0EES1C_EEDaS17_S18_EUlS17_E_NS1_11comp_targetILNS1_3genE2ELNS1_11target_archE906ELNS1_3gpuE6ELNS1_3repE0EEENS1_30default_config_static_selectorELNS0_4arch9wavefront6targetE0EEEvT1_,@function
_ZN7rocprim17ROCPRIM_400000_NS6detail17trampoline_kernelINS0_14default_configENS1_25partition_config_selectorILNS1_17partition_subalgoE8ElNS0_10empty_typeEbEEZZNS1_14partition_implILS5_8ELb0ES3_jPlPS6_PKS6_NS0_5tupleIJS9_S6_EEENSD_IJSA_SA_EEENS0_18inequality_wrapperIZN2at6native12_GLOBAL__N_124unique_dim_cuda_templateImEESt5tupleIJNSH_6TensorESM_SM_EERKSM_lbbbEUlllE0_EEPmJS6_EEE10hipError_tPvRmT3_T4_T5_T6_T7_T9_mT8_P12ihipStream_tbDpT10_ENKUlT_T0_E_clISt17integral_constantIbLb0EES1C_EEDaS17_S18_EUlS17_E_NS1_11comp_targetILNS1_3genE2ELNS1_11target_archE906ELNS1_3gpuE6ELNS1_3repE0EEENS1_30default_config_static_selectorELNS0_4arch9wavefront6targetE0EEEvT1_: ; @_ZN7rocprim17ROCPRIM_400000_NS6detail17trampoline_kernelINS0_14default_configENS1_25partition_config_selectorILNS1_17partition_subalgoE8ElNS0_10empty_typeEbEEZZNS1_14partition_implILS5_8ELb0ES3_jPlPS6_PKS6_NS0_5tupleIJS9_S6_EEENSD_IJSA_SA_EEENS0_18inequality_wrapperIZN2at6native12_GLOBAL__N_124unique_dim_cuda_templateImEESt5tupleIJNSH_6TensorESM_SM_EERKSM_lbbbEUlllE0_EEPmJS6_EEE10hipError_tPvRmT3_T4_T5_T6_T7_T9_mT8_P12ihipStream_tbDpT10_ENKUlT_T0_E_clISt17integral_constantIbLb0EES1C_EEDaS17_S18_EUlS17_E_NS1_11comp_targetILNS1_3genE2ELNS1_11target_archE906ELNS1_3gpuE6ELNS1_3repE0EEENS1_30default_config_static_selectorELNS0_4arch9wavefront6targetE0EEEvT1_
; %bb.0:
	.section	.rodata,"a",@progbits
	.p2align	6, 0x0
	.amdhsa_kernel _ZN7rocprim17ROCPRIM_400000_NS6detail17trampoline_kernelINS0_14default_configENS1_25partition_config_selectorILNS1_17partition_subalgoE8ElNS0_10empty_typeEbEEZZNS1_14partition_implILS5_8ELb0ES3_jPlPS6_PKS6_NS0_5tupleIJS9_S6_EEENSD_IJSA_SA_EEENS0_18inequality_wrapperIZN2at6native12_GLOBAL__N_124unique_dim_cuda_templateImEESt5tupleIJNSH_6TensorESM_SM_EERKSM_lbbbEUlllE0_EEPmJS6_EEE10hipError_tPvRmT3_T4_T5_T6_T7_T9_mT8_P12ihipStream_tbDpT10_ENKUlT_T0_E_clISt17integral_constantIbLb0EES1C_EEDaS17_S18_EUlS17_E_NS1_11comp_targetILNS1_3genE2ELNS1_11target_archE906ELNS1_3gpuE6ELNS1_3repE0EEENS1_30default_config_static_selectorELNS0_4arch9wavefront6targetE0EEEvT1_
		.amdhsa_group_segment_fixed_size 0
		.amdhsa_private_segment_fixed_size 0
		.amdhsa_kernarg_size 120
		.amdhsa_user_sgpr_count 15
		.amdhsa_user_sgpr_dispatch_ptr 0
		.amdhsa_user_sgpr_queue_ptr 0
		.amdhsa_user_sgpr_kernarg_segment_ptr 1
		.amdhsa_user_sgpr_dispatch_id 0
		.amdhsa_user_sgpr_private_segment_size 0
		.amdhsa_wavefront_size32 1
		.amdhsa_uses_dynamic_stack 0
		.amdhsa_enable_private_segment 0
		.amdhsa_system_sgpr_workgroup_id_x 1
		.amdhsa_system_sgpr_workgroup_id_y 0
		.amdhsa_system_sgpr_workgroup_id_z 0
		.amdhsa_system_sgpr_workgroup_info 0
		.amdhsa_system_vgpr_workitem_id 0
		.amdhsa_next_free_vgpr 1
		.amdhsa_next_free_sgpr 1
		.amdhsa_reserve_vcc 0
		.amdhsa_float_round_mode_32 0
		.amdhsa_float_round_mode_16_64 0
		.amdhsa_float_denorm_mode_32 3
		.amdhsa_float_denorm_mode_16_64 3
		.amdhsa_dx10_clamp 1
		.amdhsa_ieee_mode 1
		.amdhsa_fp16_overflow 0
		.amdhsa_workgroup_processor_mode 1
		.amdhsa_memory_ordered 1
		.amdhsa_forward_progress 0
		.amdhsa_shared_vgpr_count 0
		.amdhsa_exception_fp_ieee_invalid_op 0
		.amdhsa_exception_fp_denorm_src 0
		.amdhsa_exception_fp_ieee_div_zero 0
		.amdhsa_exception_fp_ieee_overflow 0
		.amdhsa_exception_fp_ieee_underflow 0
		.amdhsa_exception_fp_ieee_inexact 0
		.amdhsa_exception_int_div_zero 0
	.end_amdhsa_kernel
	.section	.text._ZN7rocprim17ROCPRIM_400000_NS6detail17trampoline_kernelINS0_14default_configENS1_25partition_config_selectorILNS1_17partition_subalgoE8ElNS0_10empty_typeEbEEZZNS1_14partition_implILS5_8ELb0ES3_jPlPS6_PKS6_NS0_5tupleIJS9_S6_EEENSD_IJSA_SA_EEENS0_18inequality_wrapperIZN2at6native12_GLOBAL__N_124unique_dim_cuda_templateImEESt5tupleIJNSH_6TensorESM_SM_EERKSM_lbbbEUlllE0_EEPmJS6_EEE10hipError_tPvRmT3_T4_T5_T6_T7_T9_mT8_P12ihipStream_tbDpT10_ENKUlT_T0_E_clISt17integral_constantIbLb0EES1C_EEDaS17_S18_EUlS17_E_NS1_11comp_targetILNS1_3genE2ELNS1_11target_archE906ELNS1_3gpuE6ELNS1_3repE0EEENS1_30default_config_static_selectorELNS0_4arch9wavefront6targetE0EEEvT1_,"axG",@progbits,_ZN7rocprim17ROCPRIM_400000_NS6detail17trampoline_kernelINS0_14default_configENS1_25partition_config_selectorILNS1_17partition_subalgoE8ElNS0_10empty_typeEbEEZZNS1_14partition_implILS5_8ELb0ES3_jPlPS6_PKS6_NS0_5tupleIJS9_S6_EEENSD_IJSA_SA_EEENS0_18inequality_wrapperIZN2at6native12_GLOBAL__N_124unique_dim_cuda_templateImEESt5tupleIJNSH_6TensorESM_SM_EERKSM_lbbbEUlllE0_EEPmJS6_EEE10hipError_tPvRmT3_T4_T5_T6_T7_T9_mT8_P12ihipStream_tbDpT10_ENKUlT_T0_E_clISt17integral_constantIbLb0EES1C_EEDaS17_S18_EUlS17_E_NS1_11comp_targetILNS1_3genE2ELNS1_11target_archE906ELNS1_3gpuE6ELNS1_3repE0EEENS1_30default_config_static_selectorELNS0_4arch9wavefront6targetE0EEEvT1_,comdat
.Lfunc_end1665:
	.size	_ZN7rocprim17ROCPRIM_400000_NS6detail17trampoline_kernelINS0_14default_configENS1_25partition_config_selectorILNS1_17partition_subalgoE8ElNS0_10empty_typeEbEEZZNS1_14partition_implILS5_8ELb0ES3_jPlPS6_PKS6_NS0_5tupleIJS9_S6_EEENSD_IJSA_SA_EEENS0_18inequality_wrapperIZN2at6native12_GLOBAL__N_124unique_dim_cuda_templateImEESt5tupleIJNSH_6TensorESM_SM_EERKSM_lbbbEUlllE0_EEPmJS6_EEE10hipError_tPvRmT3_T4_T5_T6_T7_T9_mT8_P12ihipStream_tbDpT10_ENKUlT_T0_E_clISt17integral_constantIbLb0EES1C_EEDaS17_S18_EUlS17_E_NS1_11comp_targetILNS1_3genE2ELNS1_11target_archE906ELNS1_3gpuE6ELNS1_3repE0EEENS1_30default_config_static_selectorELNS0_4arch9wavefront6targetE0EEEvT1_, .Lfunc_end1665-_ZN7rocprim17ROCPRIM_400000_NS6detail17trampoline_kernelINS0_14default_configENS1_25partition_config_selectorILNS1_17partition_subalgoE8ElNS0_10empty_typeEbEEZZNS1_14partition_implILS5_8ELb0ES3_jPlPS6_PKS6_NS0_5tupleIJS9_S6_EEENSD_IJSA_SA_EEENS0_18inequality_wrapperIZN2at6native12_GLOBAL__N_124unique_dim_cuda_templateImEESt5tupleIJNSH_6TensorESM_SM_EERKSM_lbbbEUlllE0_EEPmJS6_EEE10hipError_tPvRmT3_T4_T5_T6_T7_T9_mT8_P12ihipStream_tbDpT10_ENKUlT_T0_E_clISt17integral_constantIbLb0EES1C_EEDaS17_S18_EUlS17_E_NS1_11comp_targetILNS1_3genE2ELNS1_11target_archE906ELNS1_3gpuE6ELNS1_3repE0EEENS1_30default_config_static_selectorELNS0_4arch9wavefront6targetE0EEEvT1_
                                        ; -- End function
	.section	.AMDGPU.csdata,"",@progbits
; Kernel info:
; codeLenInByte = 0
; NumSgprs: 0
; NumVgprs: 0
; ScratchSize: 0
; MemoryBound: 0
; FloatMode: 240
; IeeeMode: 1
; LDSByteSize: 0 bytes/workgroup (compile time only)
; SGPRBlocks: 0
; VGPRBlocks: 0
; NumSGPRsForWavesPerEU: 1
; NumVGPRsForWavesPerEU: 1
; Occupancy: 16
; WaveLimiterHint : 0
; COMPUTE_PGM_RSRC2:SCRATCH_EN: 0
; COMPUTE_PGM_RSRC2:USER_SGPR: 15
; COMPUTE_PGM_RSRC2:TRAP_HANDLER: 0
; COMPUTE_PGM_RSRC2:TGID_X_EN: 1
; COMPUTE_PGM_RSRC2:TGID_Y_EN: 0
; COMPUTE_PGM_RSRC2:TGID_Z_EN: 0
; COMPUTE_PGM_RSRC2:TIDIG_COMP_CNT: 0
	.section	.text._ZN7rocprim17ROCPRIM_400000_NS6detail17trampoline_kernelINS0_14default_configENS1_25partition_config_selectorILNS1_17partition_subalgoE8ElNS0_10empty_typeEbEEZZNS1_14partition_implILS5_8ELb0ES3_jPlPS6_PKS6_NS0_5tupleIJS9_S6_EEENSD_IJSA_SA_EEENS0_18inequality_wrapperIZN2at6native12_GLOBAL__N_124unique_dim_cuda_templateImEESt5tupleIJNSH_6TensorESM_SM_EERKSM_lbbbEUlllE0_EEPmJS6_EEE10hipError_tPvRmT3_T4_T5_T6_T7_T9_mT8_P12ihipStream_tbDpT10_ENKUlT_T0_E_clISt17integral_constantIbLb0EES1C_EEDaS17_S18_EUlS17_E_NS1_11comp_targetILNS1_3genE10ELNS1_11target_archE1200ELNS1_3gpuE4ELNS1_3repE0EEENS1_30default_config_static_selectorELNS0_4arch9wavefront6targetE0EEEvT1_,"axG",@progbits,_ZN7rocprim17ROCPRIM_400000_NS6detail17trampoline_kernelINS0_14default_configENS1_25partition_config_selectorILNS1_17partition_subalgoE8ElNS0_10empty_typeEbEEZZNS1_14partition_implILS5_8ELb0ES3_jPlPS6_PKS6_NS0_5tupleIJS9_S6_EEENSD_IJSA_SA_EEENS0_18inequality_wrapperIZN2at6native12_GLOBAL__N_124unique_dim_cuda_templateImEESt5tupleIJNSH_6TensorESM_SM_EERKSM_lbbbEUlllE0_EEPmJS6_EEE10hipError_tPvRmT3_T4_T5_T6_T7_T9_mT8_P12ihipStream_tbDpT10_ENKUlT_T0_E_clISt17integral_constantIbLb0EES1C_EEDaS17_S18_EUlS17_E_NS1_11comp_targetILNS1_3genE10ELNS1_11target_archE1200ELNS1_3gpuE4ELNS1_3repE0EEENS1_30default_config_static_selectorELNS0_4arch9wavefront6targetE0EEEvT1_,comdat
	.globl	_ZN7rocprim17ROCPRIM_400000_NS6detail17trampoline_kernelINS0_14default_configENS1_25partition_config_selectorILNS1_17partition_subalgoE8ElNS0_10empty_typeEbEEZZNS1_14partition_implILS5_8ELb0ES3_jPlPS6_PKS6_NS0_5tupleIJS9_S6_EEENSD_IJSA_SA_EEENS0_18inequality_wrapperIZN2at6native12_GLOBAL__N_124unique_dim_cuda_templateImEESt5tupleIJNSH_6TensorESM_SM_EERKSM_lbbbEUlllE0_EEPmJS6_EEE10hipError_tPvRmT3_T4_T5_T6_T7_T9_mT8_P12ihipStream_tbDpT10_ENKUlT_T0_E_clISt17integral_constantIbLb0EES1C_EEDaS17_S18_EUlS17_E_NS1_11comp_targetILNS1_3genE10ELNS1_11target_archE1200ELNS1_3gpuE4ELNS1_3repE0EEENS1_30default_config_static_selectorELNS0_4arch9wavefront6targetE0EEEvT1_ ; -- Begin function _ZN7rocprim17ROCPRIM_400000_NS6detail17trampoline_kernelINS0_14default_configENS1_25partition_config_selectorILNS1_17partition_subalgoE8ElNS0_10empty_typeEbEEZZNS1_14partition_implILS5_8ELb0ES3_jPlPS6_PKS6_NS0_5tupleIJS9_S6_EEENSD_IJSA_SA_EEENS0_18inequality_wrapperIZN2at6native12_GLOBAL__N_124unique_dim_cuda_templateImEESt5tupleIJNSH_6TensorESM_SM_EERKSM_lbbbEUlllE0_EEPmJS6_EEE10hipError_tPvRmT3_T4_T5_T6_T7_T9_mT8_P12ihipStream_tbDpT10_ENKUlT_T0_E_clISt17integral_constantIbLb0EES1C_EEDaS17_S18_EUlS17_E_NS1_11comp_targetILNS1_3genE10ELNS1_11target_archE1200ELNS1_3gpuE4ELNS1_3repE0EEENS1_30default_config_static_selectorELNS0_4arch9wavefront6targetE0EEEvT1_
	.p2align	8
	.type	_ZN7rocprim17ROCPRIM_400000_NS6detail17trampoline_kernelINS0_14default_configENS1_25partition_config_selectorILNS1_17partition_subalgoE8ElNS0_10empty_typeEbEEZZNS1_14partition_implILS5_8ELb0ES3_jPlPS6_PKS6_NS0_5tupleIJS9_S6_EEENSD_IJSA_SA_EEENS0_18inequality_wrapperIZN2at6native12_GLOBAL__N_124unique_dim_cuda_templateImEESt5tupleIJNSH_6TensorESM_SM_EERKSM_lbbbEUlllE0_EEPmJS6_EEE10hipError_tPvRmT3_T4_T5_T6_T7_T9_mT8_P12ihipStream_tbDpT10_ENKUlT_T0_E_clISt17integral_constantIbLb0EES1C_EEDaS17_S18_EUlS17_E_NS1_11comp_targetILNS1_3genE10ELNS1_11target_archE1200ELNS1_3gpuE4ELNS1_3repE0EEENS1_30default_config_static_selectorELNS0_4arch9wavefront6targetE0EEEvT1_,@function
_ZN7rocprim17ROCPRIM_400000_NS6detail17trampoline_kernelINS0_14default_configENS1_25partition_config_selectorILNS1_17partition_subalgoE8ElNS0_10empty_typeEbEEZZNS1_14partition_implILS5_8ELb0ES3_jPlPS6_PKS6_NS0_5tupleIJS9_S6_EEENSD_IJSA_SA_EEENS0_18inequality_wrapperIZN2at6native12_GLOBAL__N_124unique_dim_cuda_templateImEESt5tupleIJNSH_6TensorESM_SM_EERKSM_lbbbEUlllE0_EEPmJS6_EEE10hipError_tPvRmT3_T4_T5_T6_T7_T9_mT8_P12ihipStream_tbDpT10_ENKUlT_T0_E_clISt17integral_constantIbLb0EES1C_EEDaS17_S18_EUlS17_E_NS1_11comp_targetILNS1_3genE10ELNS1_11target_archE1200ELNS1_3gpuE4ELNS1_3repE0EEENS1_30default_config_static_selectorELNS0_4arch9wavefront6targetE0EEEvT1_: ; @_ZN7rocprim17ROCPRIM_400000_NS6detail17trampoline_kernelINS0_14default_configENS1_25partition_config_selectorILNS1_17partition_subalgoE8ElNS0_10empty_typeEbEEZZNS1_14partition_implILS5_8ELb0ES3_jPlPS6_PKS6_NS0_5tupleIJS9_S6_EEENSD_IJSA_SA_EEENS0_18inequality_wrapperIZN2at6native12_GLOBAL__N_124unique_dim_cuda_templateImEESt5tupleIJNSH_6TensorESM_SM_EERKSM_lbbbEUlllE0_EEPmJS6_EEE10hipError_tPvRmT3_T4_T5_T6_T7_T9_mT8_P12ihipStream_tbDpT10_ENKUlT_T0_E_clISt17integral_constantIbLb0EES1C_EEDaS17_S18_EUlS17_E_NS1_11comp_targetILNS1_3genE10ELNS1_11target_archE1200ELNS1_3gpuE4ELNS1_3repE0EEENS1_30default_config_static_selectorELNS0_4arch9wavefront6targetE0EEEvT1_
; %bb.0:
	.section	.rodata,"a",@progbits
	.p2align	6, 0x0
	.amdhsa_kernel _ZN7rocprim17ROCPRIM_400000_NS6detail17trampoline_kernelINS0_14default_configENS1_25partition_config_selectorILNS1_17partition_subalgoE8ElNS0_10empty_typeEbEEZZNS1_14partition_implILS5_8ELb0ES3_jPlPS6_PKS6_NS0_5tupleIJS9_S6_EEENSD_IJSA_SA_EEENS0_18inequality_wrapperIZN2at6native12_GLOBAL__N_124unique_dim_cuda_templateImEESt5tupleIJNSH_6TensorESM_SM_EERKSM_lbbbEUlllE0_EEPmJS6_EEE10hipError_tPvRmT3_T4_T5_T6_T7_T9_mT8_P12ihipStream_tbDpT10_ENKUlT_T0_E_clISt17integral_constantIbLb0EES1C_EEDaS17_S18_EUlS17_E_NS1_11comp_targetILNS1_3genE10ELNS1_11target_archE1200ELNS1_3gpuE4ELNS1_3repE0EEENS1_30default_config_static_selectorELNS0_4arch9wavefront6targetE0EEEvT1_
		.amdhsa_group_segment_fixed_size 0
		.amdhsa_private_segment_fixed_size 0
		.amdhsa_kernarg_size 120
		.amdhsa_user_sgpr_count 15
		.amdhsa_user_sgpr_dispatch_ptr 0
		.amdhsa_user_sgpr_queue_ptr 0
		.amdhsa_user_sgpr_kernarg_segment_ptr 1
		.amdhsa_user_sgpr_dispatch_id 0
		.amdhsa_user_sgpr_private_segment_size 0
		.amdhsa_wavefront_size32 1
		.amdhsa_uses_dynamic_stack 0
		.amdhsa_enable_private_segment 0
		.amdhsa_system_sgpr_workgroup_id_x 1
		.amdhsa_system_sgpr_workgroup_id_y 0
		.amdhsa_system_sgpr_workgroup_id_z 0
		.amdhsa_system_sgpr_workgroup_info 0
		.amdhsa_system_vgpr_workitem_id 0
		.amdhsa_next_free_vgpr 1
		.amdhsa_next_free_sgpr 1
		.amdhsa_reserve_vcc 0
		.amdhsa_float_round_mode_32 0
		.amdhsa_float_round_mode_16_64 0
		.amdhsa_float_denorm_mode_32 3
		.amdhsa_float_denorm_mode_16_64 3
		.amdhsa_dx10_clamp 1
		.amdhsa_ieee_mode 1
		.amdhsa_fp16_overflow 0
		.amdhsa_workgroup_processor_mode 1
		.amdhsa_memory_ordered 1
		.amdhsa_forward_progress 0
		.amdhsa_shared_vgpr_count 0
		.amdhsa_exception_fp_ieee_invalid_op 0
		.amdhsa_exception_fp_denorm_src 0
		.amdhsa_exception_fp_ieee_div_zero 0
		.amdhsa_exception_fp_ieee_overflow 0
		.amdhsa_exception_fp_ieee_underflow 0
		.amdhsa_exception_fp_ieee_inexact 0
		.amdhsa_exception_int_div_zero 0
	.end_amdhsa_kernel
	.section	.text._ZN7rocprim17ROCPRIM_400000_NS6detail17trampoline_kernelINS0_14default_configENS1_25partition_config_selectorILNS1_17partition_subalgoE8ElNS0_10empty_typeEbEEZZNS1_14partition_implILS5_8ELb0ES3_jPlPS6_PKS6_NS0_5tupleIJS9_S6_EEENSD_IJSA_SA_EEENS0_18inequality_wrapperIZN2at6native12_GLOBAL__N_124unique_dim_cuda_templateImEESt5tupleIJNSH_6TensorESM_SM_EERKSM_lbbbEUlllE0_EEPmJS6_EEE10hipError_tPvRmT3_T4_T5_T6_T7_T9_mT8_P12ihipStream_tbDpT10_ENKUlT_T0_E_clISt17integral_constantIbLb0EES1C_EEDaS17_S18_EUlS17_E_NS1_11comp_targetILNS1_3genE10ELNS1_11target_archE1200ELNS1_3gpuE4ELNS1_3repE0EEENS1_30default_config_static_selectorELNS0_4arch9wavefront6targetE0EEEvT1_,"axG",@progbits,_ZN7rocprim17ROCPRIM_400000_NS6detail17trampoline_kernelINS0_14default_configENS1_25partition_config_selectorILNS1_17partition_subalgoE8ElNS0_10empty_typeEbEEZZNS1_14partition_implILS5_8ELb0ES3_jPlPS6_PKS6_NS0_5tupleIJS9_S6_EEENSD_IJSA_SA_EEENS0_18inequality_wrapperIZN2at6native12_GLOBAL__N_124unique_dim_cuda_templateImEESt5tupleIJNSH_6TensorESM_SM_EERKSM_lbbbEUlllE0_EEPmJS6_EEE10hipError_tPvRmT3_T4_T5_T6_T7_T9_mT8_P12ihipStream_tbDpT10_ENKUlT_T0_E_clISt17integral_constantIbLb0EES1C_EEDaS17_S18_EUlS17_E_NS1_11comp_targetILNS1_3genE10ELNS1_11target_archE1200ELNS1_3gpuE4ELNS1_3repE0EEENS1_30default_config_static_selectorELNS0_4arch9wavefront6targetE0EEEvT1_,comdat
.Lfunc_end1666:
	.size	_ZN7rocprim17ROCPRIM_400000_NS6detail17trampoline_kernelINS0_14default_configENS1_25partition_config_selectorILNS1_17partition_subalgoE8ElNS0_10empty_typeEbEEZZNS1_14partition_implILS5_8ELb0ES3_jPlPS6_PKS6_NS0_5tupleIJS9_S6_EEENSD_IJSA_SA_EEENS0_18inequality_wrapperIZN2at6native12_GLOBAL__N_124unique_dim_cuda_templateImEESt5tupleIJNSH_6TensorESM_SM_EERKSM_lbbbEUlllE0_EEPmJS6_EEE10hipError_tPvRmT3_T4_T5_T6_T7_T9_mT8_P12ihipStream_tbDpT10_ENKUlT_T0_E_clISt17integral_constantIbLb0EES1C_EEDaS17_S18_EUlS17_E_NS1_11comp_targetILNS1_3genE10ELNS1_11target_archE1200ELNS1_3gpuE4ELNS1_3repE0EEENS1_30default_config_static_selectorELNS0_4arch9wavefront6targetE0EEEvT1_, .Lfunc_end1666-_ZN7rocprim17ROCPRIM_400000_NS6detail17trampoline_kernelINS0_14default_configENS1_25partition_config_selectorILNS1_17partition_subalgoE8ElNS0_10empty_typeEbEEZZNS1_14partition_implILS5_8ELb0ES3_jPlPS6_PKS6_NS0_5tupleIJS9_S6_EEENSD_IJSA_SA_EEENS0_18inequality_wrapperIZN2at6native12_GLOBAL__N_124unique_dim_cuda_templateImEESt5tupleIJNSH_6TensorESM_SM_EERKSM_lbbbEUlllE0_EEPmJS6_EEE10hipError_tPvRmT3_T4_T5_T6_T7_T9_mT8_P12ihipStream_tbDpT10_ENKUlT_T0_E_clISt17integral_constantIbLb0EES1C_EEDaS17_S18_EUlS17_E_NS1_11comp_targetILNS1_3genE10ELNS1_11target_archE1200ELNS1_3gpuE4ELNS1_3repE0EEENS1_30default_config_static_selectorELNS0_4arch9wavefront6targetE0EEEvT1_
                                        ; -- End function
	.section	.AMDGPU.csdata,"",@progbits
; Kernel info:
; codeLenInByte = 0
; NumSgprs: 0
; NumVgprs: 0
; ScratchSize: 0
; MemoryBound: 0
; FloatMode: 240
; IeeeMode: 1
; LDSByteSize: 0 bytes/workgroup (compile time only)
; SGPRBlocks: 0
; VGPRBlocks: 0
; NumSGPRsForWavesPerEU: 1
; NumVGPRsForWavesPerEU: 1
; Occupancy: 15
; WaveLimiterHint : 0
; COMPUTE_PGM_RSRC2:SCRATCH_EN: 0
; COMPUTE_PGM_RSRC2:USER_SGPR: 15
; COMPUTE_PGM_RSRC2:TRAP_HANDLER: 0
; COMPUTE_PGM_RSRC2:TGID_X_EN: 1
; COMPUTE_PGM_RSRC2:TGID_Y_EN: 0
; COMPUTE_PGM_RSRC2:TGID_Z_EN: 0
; COMPUTE_PGM_RSRC2:TIDIG_COMP_CNT: 0
	.section	.text._ZN7rocprim17ROCPRIM_400000_NS6detail17trampoline_kernelINS0_14default_configENS1_25partition_config_selectorILNS1_17partition_subalgoE8ElNS0_10empty_typeEbEEZZNS1_14partition_implILS5_8ELb0ES3_jPlPS6_PKS6_NS0_5tupleIJS9_S6_EEENSD_IJSA_SA_EEENS0_18inequality_wrapperIZN2at6native12_GLOBAL__N_124unique_dim_cuda_templateImEESt5tupleIJNSH_6TensorESM_SM_EERKSM_lbbbEUlllE0_EEPmJS6_EEE10hipError_tPvRmT3_T4_T5_T6_T7_T9_mT8_P12ihipStream_tbDpT10_ENKUlT_T0_E_clISt17integral_constantIbLb0EES1C_EEDaS17_S18_EUlS17_E_NS1_11comp_targetILNS1_3genE9ELNS1_11target_archE1100ELNS1_3gpuE3ELNS1_3repE0EEENS1_30default_config_static_selectorELNS0_4arch9wavefront6targetE0EEEvT1_,"axG",@progbits,_ZN7rocprim17ROCPRIM_400000_NS6detail17trampoline_kernelINS0_14default_configENS1_25partition_config_selectorILNS1_17partition_subalgoE8ElNS0_10empty_typeEbEEZZNS1_14partition_implILS5_8ELb0ES3_jPlPS6_PKS6_NS0_5tupleIJS9_S6_EEENSD_IJSA_SA_EEENS0_18inequality_wrapperIZN2at6native12_GLOBAL__N_124unique_dim_cuda_templateImEESt5tupleIJNSH_6TensorESM_SM_EERKSM_lbbbEUlllE0_EEPmJS6_EEE10hipError_tPvRmT3_T4_T5_T6_T7_T9_mT8_P12ihipStream_tbDpT10_ENKUlT_T0_E_clISt17integral_constantIbLb0EES1C_EEDaS17_S18_EUlS17_E_NS1_11comp_targetILNS1_3genE9ELNS1_11target_archE1100ELNS1_3gpuE3ELNS1_3repE0EEENS1_30default_config_static_selectorELNS0_4arch9wavefront6targetE0EEEvT1_,comdat
	.globl	_ZN7rocprim17ROCPRIM_400000_NS6detail17trampoline_kernelINS0_14default_configENS1_25partition_config_selectorILNS1_17partition_subalgoE8ElNS0_10empty_typeEbEEZZNS1_14partition_implILS5_8ELb0ES3_jPlPS6_PKS6_NS0_5tupleIJS9_S6_EEENSD_IJSA_SA_EEENS0_18inequality_wrapperIZN2at6native12_GLOBAL__N_124unique_dim_cuda_templateImEESt5tupleIJNSH_6TensorESM_SM_EERKSM_lbbbEUlllE0_EEPmJS6_EEE10hipError_tPvRmT3_T4_T5_T6_T7_T9_mT8_P12ihipStream_tbDpT10_ENKUlT_T0_E_clISt17integral_constantIbLb0EES1C_EEDaS17_S18_EUlS17_E_NS1_11comp_targetILNS1_3genE9ELNS1_11target_archE1100ELNS1_3gpuE3ELNS1_3repE0EEENS1_30default_config_static_selectorELNS0_4arch9wavefront6targetE0EEEvT1_ ; -- Begin function _ZN7rocprim17ROCPRIM_400000_NS6detail17trampoline_kernelINS0_14default_configENS1_25partition_config_selectorILNS1_17partition_subalgoE8ElNS0_10empty_typeEbEEZZNS1_14partition_implILS5_8ELb0ES3_jPlPS6_PKS6_NS0_5tupleIJS9_S6_EEENSD_IJSA_SA_EEENS0_18inequality_wrapperIZN2at6native12_GLOBAL__N_124unique_dim_cuda_templateImEESt5tupleIJNSH_6TensorESM_SM_EERKSM_lbbbEUlllE0_EEPmJS6_EEE10hipError_tPvRmT3_T4_T5_T6_T7_T9_mT8_P12ihipStream_tbDpT10_ENKUlT_T0_E_clISt17integral_constantIbLb0EES1C_EEDaS17_S18_EUlS17_E_NS1_11comp_targetILNS1_3genE9ELNS1_11target_archE1100ELNS1_3gpuE3ELNS1_3repE0EEENS1_30default_config_static_selectorELNS0_4arch9wavefront6targetE0EEEvT1_
	.p2align	8
	.type	_ZN7rocprim17ROCPRIM_400000_NS6detail17trampoline_kernelINS0_14default_configENS1_25partition_config_selectorILNS1_17partition_subalgoE8ElNS0_10empty_typeEbEEZZNS1_14partition_implILS5_8ELb0ES3_jPlPS6_PKS6_NS0_5tupleIJS9_S6_EEENSD_IJSA_SA_EEENS0_18inequality_wrapperIZN2at6native12_GLOBAL__N_124unique_dim_cuda_templateImEESt5tupleIJNSH_6TensorESM_SM_EERKSM_lbbbEUlllE0_EEPmJS6_EEE10hipError_tPvRmT3_T4_T5_T6_T7_T9_mT8_P12ihipStream_tbDpT10_ENKUlT_T0_E_clISt17integral_constantIbLb0EES1C_EEDaS17_S18_EUlS17_E_NS1_11comp_targetILNS1_3genE9ELNS1_11target_archE1100ELNS1_3gpuE3ELNS1_3repE0EEENS1_30default_config_static_selectorELNS0_4arch9wavefront6targetE0EEEvT1_,@function
_ZN7rocprim17ROCPRIM_400000_NS6detail17trampoline_kernelINS0_14default_configENS1_25partition_config_selectorILNS1_17partition_subalgoE8ElNS0_10empty_typeEbEEZZNS1_14partition_implILS5_8ELb0ES3_jPlPS6_PKS6_NS0_5tupleIJS9_S6_EEENSD_IJSA_SA_EEENS0_18inequality_wrapperIZN2at6native12_GLOBAL__N_124unique_dim_cuda_templateImEESt5tupleIJNSH_6TensorESM_SM_EERKSM_lbbbEUlllE0_EEPmJS6_EEE10hipError_tPvRmT3_T4_T5_T6_T7_T9_mT8_P12ihipStream_tbDpT10_ENKUlT_T0_E_clISt17integral_constantIbLb0EES1C_EEDaS17_S18_EUlS17_E_NS1_11comp_targetILNS1_3genE9ELNS1_11target_archE1100ELNS1_3gpuE3ELNS1_3repE0EEENS1_30default_config_static_selectorELNS0_4arch9wavefront6targetE0EEEvT1_: ; @_ZN7rocprim17ROCPRIM_400000_NS6detail17trampoline_kernelINS0_14default_configENS1_25partition_config_selectorILNS1_17partition_subalgoE8ElNS0_10empty_typeEbEEZZNS1_14partition_implILS5_8ELb0ES3_jPlPS6_PKS6_NS0_5tupleIJS9_S6_EEENSD_IJSA_SA_EEENS0_18inequality_wrapperIZN2at6native12_GLOBAL__N_124unique_dim_cuda_templateImEESt5tupleIJNSH_6TensorESM_SM_EERKSM_lbbbEUlllE0_EEPmJS6_EEE10hipError_tPvRmT3_T4_T5_T6_T7_T9_mT8_P12ihipStream_tbDpT10_ENKUlT_T0_E_clISt17integral_constantIbLb0EES1C_EEDaS17_S18_EUlS17_E_NS1_11comp_targetILNS1_3genE9ELNS1_11target_archE1100ELNS1_3gpuE3ELNS1_3repE0EEENS1_30default_config_static_selectorELNS0_4arch9wavefront6targetE0EEEvT1_
; %bb.0:
	s_clause 0x3
	s_load_b128 s[4:7], s[0:1], 0x8
	s_load_b256 s[16:23], s[0:1], 0x40
	s_load_b32 s14, s[0:1], 0x70
	s_load_b128 s[8:11], s[0:1], 0x60
	s_mov_b32 s3, 0
	v_lshlrev_b32_e32 v39, 3, v0
	v_lshrrev_b32_e32 v17, 2, v0
	v_or_b32_e32 v24, 0x200, v0
	v_or_b32_e32 v22, 0x400, v0
	;; [unrolled: 1-line block ×7, first 2 shown]
	s_waitcnt lgkmcnt(0)
	s_lshl_b64 s[24:25], s[6:7], 3
	s_load_b64 s[12:13], s[18:19], 0x0
	s_add_u32 s26, s4, s24
	s_addc_u32 s5, s5, s25
	s_add_i32 s24, s14, -1
	s_lshl_b32 s14, s14, 12
	s_lshl_b32 s4, s24, 12
	;; [unrolled: 1-line block ×3, first 2 shown]
	s_add_i32 s4, s6, s4
	s_add_u32 s18, s6, s14
	s_addc_u32 s19, s7, 0
	s_cmp_eq_u32 s15, s24
	v_cmp_ge_u64_e64 s18, s[18:19], s[20:21]
	s_cselect_b32 s14, -1, 0
	s_lshl_b64 s[2:3], s[2:3], 3
	s_delay_alu instid0(VALU_DEP_1) | instskip(NEXT) | instid1(SALU_CYCLE_1)
	s_and_b32 s24, s14, s18
	s_xor_b32 s21, s24, -1
	s_add_u32 s2, s26, s2
	s_addc_u32 s3, s5, s3
	s_and_b32 vcc_lo, exec_lo, s21
	s_mov_b32 s5, -1
	s_cbranch_vccz .LBB1667_2
; %bb.1:
	v_add_co_u32 v9, s5, s2, v39
	s_delay_alu instid0(VALU_DEP_1)
	v_add_co_ci_u32_e64 v10, null, s3, 0, s5
	global_load_b64 v[1:2], v39, s[2:3]
	v_add_co_u32 v3, vcc_lo, v9, 0x2000
	v_add_co_ci_u32_e32 v4, vcc_lo, 0, v10, vcc_lo
	v_add_co_u32 v5, vcc_lo, v9, 0x4000
	v_add_co_ci_u32_e32 v6, vcc_lo, 0, v10, vcc_lo
	;; [unrolled: 2-line block ×4, first 2 shown]
	s_clause 0x6
	global_load_b64 v[11:12], v[3:4], off offset:-4096
	global_load_b64 v[3:4], v[3:4], off
	global_load_b64 v[13:14], v[5:6], off offset:-4096
	global_load_b64 v[5:6], v[5:6], off
	global_load_b64 v[15:16], v[7:8], off offset:-4096
	global_load_b64 v[7:8], v[7:8], off
	global_load_b64 v[9:10], v[9:10], off
	v_lshrrev_b32_e32 v26, 2, v24
	v_lshrrev_b32_e32 v27, 2, v22
	;; [unrolled: 1-line block ×4, first 2 shown]
	v_and_b32_e32 v25, 0x78, v17
	v_lshrrev_b32_e32 v30, 2, v20
	v_lshrrev_b32_e32 v31, 2, v19
	;; [unrolled: 1-line block ×3, first 2 shown]
	v_and_b32_e32 v26, 0xf8, v26
	v_and_b32_e32 v27, 0x178, v27
	;; [unrolled: 1-line block ×4, first 2 shown]
	v_add_nc_u32_e32 v25, v25, v39
	v_and_b32_e32 v30, 0x2f8, v30
	v_and_b32_e32 v31, 0x378, v31
	;; [unrolled: 1-line block ×3, first 2 shown]
	v_add_nc_u32_e32 v26, v26, v39
	v_add_nc_u32_e32 v27, v27, v39
	;; [unrolled: 1-line block ×4, first 2 shown]
	s_mov_b32 s5, 0
	v_add_nc_u32_e32 v30, v30, v39
	v_add_nc_u32_e32 v31, v31, v39
	;; [unrolled: 1-line block ×3, first 2 shown]
	s_waitcnt vmcnt(7)
	ds_store_b64 v25, v[1:2]
	s_waitcnt vmcnt(6)
	ds_store_b64 v26, v[11:12] offset:4096
	s_waitcnt vmcnt(5)
	ds_store_b64 v27, v[3:4] offset:8192
	;; [unrolled: 2-line block ×7, first 2 shown]
	s_waitcnt lgkmcnt(0)
	s_barrier
.LBB1667_2:
	s_and_not1_b32 vcc_lo, exec_lo, s5
	s_sub_i32 s20, s20, s4
	s_cbranch_vccnz .LBB1667_13
; %bb.3:
	s_mov_b32 s4, exec_lo
                                        ; implicit-def: $vgpr1_vgpr2_vgpr3_vgpr4_vgpr5_vgpr6_vgpr7_vgpr8_vgpr9_vgpr10_vgpr11_vgpr12_vgpr13_vgpr14_vgpr15_vgpr16
	v_cmpx_gt_u32_e64 s20, v0
	s_cbranch_execnz .LBB1667_23
; %bb.4:
	s_or_b32 exec_lo, exec_lo, s4
	s_delay_alu instid0(SALU_CYCLE_1)
	s_mov_b32 s4, exec_lo
	v_cmpx_gt_u32_e64 s20, v24
	s_cbranch_execnz .LBB1667_24
.LBB1667_5:
	s_or_b32 exec_lo, exec_lo, s4
	s_delay_alu instid0(SALU_CYCLE_1)
	s_mov_b32 s4, exec_lo
	v_cmpx_gt_u32_e64 s20, v22
	s_cbranch_execnz .LBB1667_25
.LBB1667_6:
	s_or_b32 exec_lo, exec_lo, s4
	s_delay_alu instid0(SALU_CYCLE_1)
	s_mov_b32 s4, exec_lo
	v_cmpx_gt_u32_e64 s20, v23
	s_cbranch_execnz .LBB1667_26
.LBB1667_7:
	s_or_b32 exec_lo, exec_lo, s4
	s_delay_alu instid0(SALU_CYCLE_1)
	s_mov_b32 s4, exec_lo
	v_cmpx_gt_u32_e64 s20, v21
	s_cbranch_execnz .LBB1667_27
.LBB1667_8:
	s_or_b32 exec_lo, exec_lo, s4
	s_delay_alu instid0(SALU_CYCLE_1)
	s_mov_b32 s4, exec_lo
	v_cmpx_gt_u32_e64 s20, v20
	s_cbranch_execnz .LBB1667_28
.LBB1667_9:
	s_or_b32 exec_lo, exec_lo, s4
	s_delay_alu instid0(SALU_CYCLE_1)
	s_mov_b32 s4, exec_lo
	v_cmpx_gt_u32_e64 s20, v19
	s_cbranch_execnz .LBB1667_29
.LBB1667_10:
	s_or_b32 exec_lo, exec_lo, s4
	s_delay_alu instid0(SALU_CYCLE_1)
	s_mov_b32 s4, exec_lo
	v_cmpx_gt_u32_e64 s20, v18
	s_cbranch_execz .LBB1667_12
.LBB1667_11:
	v_lshlrev_b32_e32 v15, 3, v18
	global_load_b64 v[15:16], v15, s[2:3]
.LBB1667_12:
	s_or_b32 exec_lo, exec_lo, s4
	v_lshrrev_b32_e32 v24, 2, v24
	v_lshrrev_b32_e32 v22, 2, v22
	;; [unrolled: 1-line block ×4, first 2 shown]
	v_and_b32_e32 v25, 0x78, v17
	v_lshrrev_b32_e32 v20, 2, v20
	v_lshrrev_b32_e32 v19, 2, v19
	;; [unrolled: 1-line block ×3, first 2 shown]
	v_and_b32_e32 v24, 0xf8, v24
	v_and_b32_e32 v22, 0x1f8, v22
	;; [unrolled: 1-line block ×4, first 2 shown]
	v_add_nc_u32_e32 v25, v25, v39
	v_and_b32_e32 v20, 0x3f8, v20
	v_and_b32_e32 v19, 0x3f8, v19
	;; [unrolled: 1-line block ×3, first 2 shown]
	v_add_nc_u32_e32 v24, v24, v39
	v_add_nc_u32_e32 v22, v22, v39
	;; [unrolled: 1-line block ×7, first 2 shown]
	s_waitcnt vmcnt(0)
	ds_store_b64 v25, v[1:2]
	ds_store_b64 v24, v[3:4] offset:4096
	ds_store_b64 v22, v[5:6] offset:8192
	;; [unrolled: 1-line block ×7, first 2 shown]
	s_waitcnt lgkmcnt(0)
	s_barrier
.LBB1667_13:
	v_add_lshl_u32 v1, v17, v39, 3
	s_waitcnt lgkmcnt(0)
	buffer_gl0_inv
	s_cmp_lg_u32 s15, 0
	v_cmp_gt_i64_e64 s26, s[22:23], 0
	s_cselect_b32 s25, -1, 0
	ds_load_2addr_b64 v[13:16], v1 offset1:1
	ds_load_2addr_b64 v[9:12], v1 offset0:2 offset1:3
	ds_load_2addr_b64 v[5:8], v1 offset0:4 offset1:5
	ds_load_2addr_b64 v[1:4], v1 offset0:6 offset1:7
	s_cmp_lg_u64 s[6:7], 0
	s_mov_b32 s18, 0
	s_cselect_b32 s4, -1, 0
	s_waitcnt lgkmcnt(0)
	s_or_b32 s4, s25, s4
	s_barrier
	s_and_b32 vcc_lo, exec_lo, s4
	buffer_gl0_inv
	s_cbranch_vccz .LBB1667_22
; %bb.14:
	s_add_u32 s2, s2, -8
	s_addc_u32 s3, s3, -1
	v_cndmask_b32_e64 v25, 0, 1, s26
	s_load_b64 s[4:5], s[2:3], 0x0
	s_and_b32 vcc_lo, exec_lo, s21
	ds_store_b64 v39, v[3:4]
	v_cmp_ne_u32_e64 s2, 1, v25
	s_cbranch_vccz .LBB1667_30
; %bb.15:
	v_mul_lo_u32 v19, v2, s22
	v_mul_lo_u32 v20, v1, s23
	v_mad_u64_u32 v[17:18], null, v1, s22, 0
	s_mov_b32 s3, 0
	s_and_b32 vcc_lo, exec_lo, s2
	s_mov_b32 s27, 0
	s_delay_alu instid0(VALU_DEP_1) | instskip(NEXT) | instid1(VALU_DEP_1)
	v_add3_u32 v18, v18, v20, v19
	v_lshlrev_b64 v[17:18], 3, v[17:18]
	s_cbranch_vccnz .LBB1667_33
; %bb.16:
	v_mul_lo_u32 v21, v4, s22
	v_mul_lo_u32 v22, v3, s23
	v_mad_u64_u32 v[19:20], null, v3, s22, 0
	s_mov_b32 s27, -1
	s_mov_b32 s28, exec_lo
	s_delay_alu instid0(VALU_DEP_1) | instskip(SKIP_2) | instid1(VALU_DEP_3)
	v_add3_u32 v20, v20, v22, v21
	v_add_co_u32 v21, vcc_lo, s8, v17
	v_add_co_ci_u32_e32 v22, vcc_lo, s9, v18, vcc_lo
	v_lshlrev_b64 v[19:20], 3, v[19:20]
	s_delay_alu instid0(VALU_DEP_1) | instskip(NEXT) | instid1(VALU_DEP_2)
	v_add_co_u32 v19, vcc_lo, s8, v19
	v_add_co_ci_u32_e32 v20, vcc_lo, s9, v20, vcc_lo
	s_clause 0x1
	global_load_b64 v[23:24], v[21:22], off
	global_load_b64 v[26:27], v[19:20], off
	s_waitcnt vmcnt(0)
	v_cmpx_eq_u64_e64 v[23:24], v[26:27]
	s_cbranch_execz .LBB1667_32
; %bb.17:
	v_add_co_u32 v19, vcc_lo, v19, 8
	v_add_co_ci_u32_e32 v20, vcc_lo, 0, v20, vcc_lo
	v_add_co_u32 v21, vcc_lo, v21, 8
	v_add_co_ci_u32_e32 v22, vcc_lo, 0, v22, vcc_lo
	s_add_u32 s6, s22, -1
	s_addc_u32 s7, s23, -1
	s_mov_b64 s[18:19], 0
	s_mov_b32 s27, 0
                                        ; implicit-def: $sgpr29
	s_set_inst_prefetch_distance 0x1
	s_branch .LBB1667_20
	.p2align	6
.LBB1667_18:                            ;   in Loop: Header=BB1667_20 Depth=1
	global_load_b64 v[23:24], v[21:22], off
	global_load_b64 v[26:27], v[19:20], off
	v_add_co_u32 v19, vcc_lo, v19, 8
	v_add_co_ci_u32_e32 v20, vcc_lo, 0, v20, vcc_lo
	v_add_co_u32 v21, s2, v21, 8
	s_delay_alu instid0(VALU_DEP_1)
	v_add_co_ci_u32_e64 v22, s2, 0, v22, s2
	s_add_u32 s18, s18, 1
	s_addc_u32 s19, s19, 0
	s_and_not1_b32 s2, s29, exec_lo
	s_waitcnt vmcnt(0)
	v_cmp_ne_u64_e32 vcc_lo, v[23:24], v[26:27]
	s_and_b32 s29, vcc_lo, exec_lo
	s_delay_alu instid0(SALU_CYCLE_1)
	s_or_b32 s29, s2, s29
.LBB1667_19:                            ;   in Loop: Header=BB1667_20 Depth=1
	v_dual_mov_b32 v24, s19 :: v_dual_mov_b32 v23, s18
	s_and_b32 s2, exec_lo, s29
	s_delay_alu instid0(SALU_CYCLE_1) | instskip(NEXT) | instid1(SALU_CYCLE_1)
	s_or_b32 s27, s2, s27
	s_and_not1_b32 exec_lo, exec_lo, s27
	s_cbranch_execz .LBB1667_31
.LBB1667_20:                            ; =>This Inner Loop Header: Depth=1
	s_or_b32 s29, s29, exec_lo
	s_cmp_eq_u64 s[6:7], s[18:19]
	s_cbranch_scc0 .LBB1667_18
; %bb.21:                               ;   in Loop: Header=BB1667_20 Depth=1
	s_mov_b64 s[18:19], s[22:23]
                                        ; implicit-def: $vgpr19_vgpr20
                                        ; implicit-def: $vgpr21_vgpr22
	s_branch .LBB1667_19
.LBB1667_22:
                                        ; implicit-def: $sgpr2
                                        ; implicit-def: $vgpr18
	s_branch .LBB1667_191
.LBB1667_23:
	global_load_b64 v[1:2], v39, s[2:3]
	s_or_b32 exec_lo, exec_lo, s4
	s_delay_alu instid0(SALU_CYCLE_1)
	s_mov_b32 s4, exec_lo
	v_cmpx_gt_u32_e64 s20, v24
	s_cbranch_execz .LBB1667_5
.LBB1667_24:
	v_lshlrev_b32_e32 v3, 3, v24
	global_load_b64 v[3:4], v3, s[2:3]
	s_or_b32 exec_lo, exec_lo, s4
	s_delay_alu instid0(SALU_CYCLE_1)
	s_mov_b32 s4, exec_lo
	v_cmpx_gt_u32_e64 s20, v22
	s_cbranch_execz .LBB1667_6
.LBB1667_25:
	v_lshlrev_b32_e32 v5, 3, v22
	global_load_b64 v[5:6], v5, s[2:3]
	s_or_b32 exec_lo, exec_lo, s4
	s_delay_alu instid0(SALU_CYCLE_1)
	s_mov_b32 s4, exec_lo
	v_cmpx_gt_u32_e64 s20, v23
	s_cbranch_execz .LBB1667_7
.LBB1667_26:
	v_lshlrev_b32_e32 v7, 3, v23
	global_load_b64 v[7:8], v7, s[2:3]
	s_or_b32 exec_lo, exec_lo, s4
	s_delay_alu instid0(SALU_CYCLE_1)
	s_mov_b32 s4, exec_lo
	v_cmpx_gt_u32_e64 s20, v21
	s_cbranch_execz .LBB1667_8
.LBB1667_27:
	v_lshlrev_b32_e32 v9, 3, v21
	global_load_b64 v[9:10], v9, s[2:3]
	s_or_b32 exec_lo, exec_lo, s4
	s_delay_alu instid0(SALU_CYCLE_1)
	s_mov_b32 s4, exec_lo
	v_cmpx_gt_u32_e64 s20, v20
	s_cbranch_execz .LBB1667_9
.LBB1667_28:
	v_lshlrev_b32_e32 v11, 3, v20
	global_load_b64 v[11:12], v11, s[2:3]
	s_or_b32 exec_lo, exec_lo, s4
	s_delay_alu instid0(SALU_CYCLE_1)
	s_mov_b32 s4, exec_lo
	v_cmpx_gt_u32_e64 s20, v19
	s_cbranch_execz .LBB1667_10
.LBB1667_29:
	v_lshlrev_b32_e32 v13, 3, v19
	global_load_b64 v[13:14], v13, s[2:3]
	s_or_b32 exec_lo, exec_lo, s4
	s_delay_alu instid0(SALU_CYCLE_1)
	s_mov_b32 s4, exec_lo
	v_cmpx_gt_u32_e64 s20, v18
	s_cbranch_execnz .LBB1667_11
	s_branch .LBB1667_12
.LBB1667_30:
                                        ; implicit-def: $sgpr2
                                        ; implicit-def: $vgpr18
	s_cbranch_execnz .LBB1667_99
	s_branch .LBB1667_190
.LBB1667_31:
	s_set_inst_prefetch_distance 0x2
	s_or_b32 exec_lo, exec_lo, s27
	v_cmp_gt_i64_e32 vcc_lo, s[22:23], v[23:24]
	s_or_not1_b32 s27, vcc_lo, exec_lo
.LBB1667_32:
	s_or_b32 exec_lo, exec_lo, s28
.LBB1667_33:
	v_mul_lo_u32 v21, v8, s22
	v_mul_lo_u32 v22, v7, s23
	v_mad_u64_u32 v[19:20], null, v7, s22, 0
	s_and_not1_b32 vcc_lo, exec_lo, s26
	s_delay_alu instid0(VALU_DEP_1) | instskip(NEXT) | instid1(VALU_DEP_1)
	v_add3_u32 v20, v20, v22, v21
	v_lshlrev_b64 v[19:20], 3, v[19:20]
	s_cbranch_vccnz .LBB1667_42
; %bb.34:
	s_delay_alu instid0(VALU_DEP_1) | instskip(NEXT) | instid1(VALU_DEP_2)
	v_add_co_u32 v21, vcc_lo, s8, v19
	v_add_co_ci_u32_e32 v22, vcc_lo, s9, v20, vcc_lo
	v_add_co_u32 v17, vcc_lo, s8, v17
	v_add_co_ci_u32_e32 v18, vcc_lo, s9, v18, vcc_lo
	s_mov_b32 s3, -1
	s_clause 0x1
	global_load_b64 v[23:24], v[21:22], off
	global_load_b64 v[26:27], v[17:18], off
	s_mov_b32 s28, exec_lo
	s_waitcnt vmcnt(0)
	v_cmpx_eq_u64_e64 v[23:24], v[26:27]
	s_cbranch_execz .LBB1667_41
; %bb.35:
	v_add_co_u32 v17, vcc_lo, v17, 8
	v_add_co_ci_u32_e32 v18, vcc_lo, 0, v18, vcc_lo
	v_add_co_u32 v21, vcc_lo, v21, 8
	v_add_co_ci_u32_e32 v22, vcc_lo, 0, v22, vcc_lo
	s_add_u32 s6, s22, -1
	s_addc_u32 s7, s23, -1
	s_mov_b64 s[18:19], 0
	s_mov_b32 s3, 0
                                        ; implicit-def: $sgpr29
	s_set_inst_prefetch_distance 0x1
	s_branch .LBB1667_38
	.p2align	6
.LBB1667_36:                            ;   in Loop: Header=BB1667_38 Depth=1
	global_load_b64 v[23:24], v[21:22], off
	global_load_b64 v[26:27], v[17:18], off
	v_add_co_u32 v17, vcc_lo, v17, 8
	v_add_co_ci_u32_e32 v18, vcc_lo, 0, v18, vcc_lo
	v_add_co_u32 v21, s2, v21, 8
	s_delay_alu instid0(VALU_DEP_1)
	v_add_co_ci_u32_e64 v22, s2, 0, v22, s2
	s_add_u32 s18, s18, 1
	s_addc_u32 s19, s19, 0
	s_and_not1_b32 s2, s29, exec_lo
	s_waitcnt vmcnt(0)
	v_cmp_ne_u64_e32 vcc_lo, v[23:24], v[26:27]
	s_and_b32 s29, vcc_lo, exec_lo
	s_delay_alu instid0(SALU_CYCLE_1)
	s_or_b32 s29, s2, s29
.LBB1667_37:                            ;   in Loop: Header=BB1667_38 Depth=1
	v_dual_mov_b32 v24, s19 :: v_dual_mov_b32 v23, s18
	s_and_b32 s2, exec_lo, s29
	s_delay_alu instid0(SALU_CYCLE_1) | instskip(NEXT) | instid1(SALU_CYCLE_1)
	s_or_b32 s3, s2, s3
	s_and_not1_b32 exec_lo, exec_lo, s3
	s_cbranch_execz .LBB1667_40
.LBB1667_38:                            ; =>This Inner Loop Header: Depth=1
	s_or_b32 s29, s29, exec_lo
	s_cmp_eq_u64 s[6:7], s[18:19]
	s_cbranch_scc0 .LBB1667_36
; %bb.39:                               ;   in Loop: Header=BB1667_38 Depth=1
	s_mov_b64 s[18:19], s[22:23]
                                        ; implicit-def: $vgpr17_vgpr18
                                        ; implicit-def: $vgpr21_vgpr22
	s_branch .LBB1667_37
.LBB1667_40:
	s_set_inst_prefetch_distance 0x2
	s_or_b32 exec_lo, exec_lo, s3
	v_cmp_gt_i64_e32 vcc_lo, s[22:23], v[23:24]
	s_or_not1_b32 s3, vcc_lo, exec_lo
.LBB1667_41:
	s_or_b32 exec_lo, exec_lo, s28
.LBB1667_42:
	v_mul_lo_u32 v21, v6, s22
	v_mul_lo_u32 v22, v5, s23
	v_mad_u64_u32 v[17:18], null, v5, s22, 0
	s_mov_b32 s28, 0
	s_and_not1_b32 vcc_lo, exec_lo, s26
	s_mov_b32 s29, 0
	s_delay_alu instid0(VALU_DEP_1) | instskip(NEXT) | instid1(VALU_DEP_1)
	v_add3_u32 v18, v18, v22, v21
	v_lshlrev_b64 v[21:22], 3, v[17:18]
	s_cbranch_vccnz .LBB1667_51
; %bb.43:
	s_delay_alu instid0(VALU_DEP_1) | instskip(NEXT) | instid1(VALU_DEP_2)
	v_add_co_u32 v23, vcc_lo, s8, v21
	v_add_co_ci_u32_e32 v24, vcc_lo, s9, v22, vcc_lo
	v_add_co_u32 v17, vcc_lo, s8, v19
	v_add_co_ci_u32_e32 v18, vcc_lo, s9, v20, vcc_lo
	s_mov_b32 s29, -1
	s_clause 0x1
	global_load_b64 v[19:20], v[23:24], off
	global_load_b64 v[26:27], v[17:18], off
	s_mov_b32 s30, exec_lo
	s_waitcnt vmcnt(0)
	v_cmpx_eq_u64_e64 v[19:20], v[26:27]
	s_cbranch_execz .LBB1667_50
; %bb.44:
	v_add_co_u32 v17, vcc_lo, v17, 8
	v_add_co_ci_u32_e32 v18, vcc_lo, 0, v18, vcc_lo
	v_add_co_u32 v19, vcc_lo, v23, 8
	v_add_co_ci_u32_e32 v20, vcc_lo, 0, v24, vcc_lo
	s_add_u32 s6, s22, -1
	s_addc_u32 s7, s23, -1
	s_mov_b64 s[18:19], 0
	s_mov_b32 s29, 0
                                        ; implicit-def: $sgpr31
	s_set_inst_prefetch_distance 0x1
	s_branch .LBB1667_47
	.p2align	6
.LBB1667_45:                            ;   in Loop: Header=BB1667_47 Depth=1
	global_load_b64 v[23:24], v[19:20], off
	global_load_b64 v[26:27], v[17:18], off
	v_add_co_u32 v17, vcc_lo, v17, 8
	v_add_co_ci_u32_e32 v18, vcc_lo, 0, v18, vcc_lo
	v_add_co_u32 v19, s2, v19, 8
	s_delay_alu instid0(VALU_DEP_1)
	v_add_co_ci_u32_e64 v20, s2, 0, v20, s2
	s_add_u32 s18, s18, 1
	s_addc_u32 s19, s19, 0
	s_and_not1_b32 s2, s31, exec_lo
	s_waitcnt vmcnt(0)
	v_cmp_ne_u64_e32 vcc_lo, v[23:24], v[26:27]
	s_and_b32 s31, vcc_lo, exec_lo
	s_delay_alu instid0(SALU_CYCLE_1)
	s_or_b32 s31, s2, s31
.LBB1667_46:                            ;   in Loop: Header=BB1667_47 Depth=1
	v_dual_mov_b32 v24, s19 :: v_dual_mov_b32 v23, s18
	s_and_b32 s2, exec_lo, s31
	s_delay_alu instid0(SALU_CYCLE_1) | instskip(NEXT) | instid1(SALU_CYCLE_1)
	s_or_b32 s29, s2, s29
	s_and_not1_b32 exec_lo, exec_lo, s29
	s_cbranch_execz .LBB1667_49
.LBB1667_47:                            ; =>This Inner Loop Header: Depth=1
	s_or_b32 s31, s31, exec_lo
	s_cmp_eq_u64 s[6:7], s[18:19]
	s_cbranch_scc0 .LBB1667_45
; %bb.48:                               ;   in Loop: Header=BB1667_47 Depth=1
	s_mov_b64 s[18:19], s[22:23]
                                        ; implicit-def: $vgpr17_vgpr18
                                        ; implicit-def: $vgpr19_vgpr20
	s_branch .LBB1667_46
.LBB1667_49:
	s_set_inst_prefetch_distance 0x2
	s_or_b32 exec_lo, exec_lo, s29
	v_cmp_gt_i64_e32 vcc_lo, s[22:23], v[23:24]
	s_or_not1_b32 s29, vcc_lo, exec_lo
.LBB1667_50:
	s_or_b32 exec_lo, exec_lo, s30
.LBB1667_51:
	v_mul_lo_u32 v19, v12, s22
	v_mul_lo_u32 v20, v11, s23
	v_mad_u64_u32 v[17:18], null, v11, s22, 0
	s_and_not1_b32 vcc_lo, exec_lo, s26
	s_delay_alu instid0(VALU_DEP_1) | instskip(NEXT) | instid1(VALU_DEP_1)
	v_add3_u32 v18, v18, v20, v19
	v_lshlrev_b64 v[17:18], 3, v[17:18]
	s_cbranch_vccnz .LBB1667_60
; %bb.52:
	s_delay_alu instid0(VALU_DEP_1) | instskip(NEXT) | instid1(VALU_DEP_2)
	v_add_co_u32 v23, vcc_lo, s8, v17
	v_add_co_ci_u32_e32 v24, vcc_lo, s9, v18, vcc_lo
	v_add_co_u32 v19, vcc_lo, s8, v21
	v_add_co_ci_u32_e32 v20, vcc_lo, s9, v22, vcc_lo
	s_mov_b32 s28, -1
	s_clause 0x1
	global_load_b64 v[21:22], v[23:24], off
	global_load_b64 v[26:27], v[19:20], off
	s_mov_b32 s30, exec_lo
	s_waitcnt vmcnt(0)
	v_cmpx_eq_u64_e64 v[21:22], v[26:27]
	s_cbranch_execz .LBB1667_59
; %bb.53:
	v_add_co_u32 v19, vcc_lo, v19, 8
	v_add_co_ci_u32_e32 v20, vcc_lo, 0, v20, vcc_lo
	v_add_co_u32 v21, vcc_lo, v23, 8
	v_add_co_ci_u32_e32 v22, vcc_lo, 0, v24, vcc_lo
	s_add_u32 s6, s22, -1
	s_addc_u32 s7, s23, -1
	s_mov_b64 s[18:19], 0
	s_mov_b32 s28, 0
                                        ; implicit-def: $sgpr31
	s_set_inst_prefetch_distance 0x1
	s_branch .LBB1667_56
	.p2align	6
.LBB1667_54:                            ;   in Loop: Header=BB1667_56 Depth=1
	global_load_b64 v[23:24], v[21:22], off
	global_load_b64 v[26:27], v[19:20], off
	v_add_co_u32 v19, vcc_lo, v19, 8
	v_add_co_ci_u32_e32 v20, vcc_lo, 0, v20, vcc_lo
	v_add_co_u32 v21, s2, v21, 8
	s_delay_alu instid0(VALU_DEP_1)
	v_add_co_ci_u32_e64 v22, s2, 0, v22, s2
	s_add_u32 s18, s18, 1
	s_addc_u32 s19, s19, 0
	s_and_not1_b32 s2, s31, exec_lo
	s_waitcnt vmcnt(0)
	v_cmp_ne_u64_e32 vcc_lo, v[23:24], v[26:27]
	s_and_b32 s31, vcc_lo, exec_lo
	s_delay_alu instid0(SALU_CYCLE_1)
	s_or_b32 s31, s2, s31
.LBB1667_55:                            ;   in Loop: Header=BB1667_56 Depth=1
	v_dual_mov_b32 v24, s19 :: v_dual_mov_b32 v23, s18
	s_and_b32 s2, exec_lo, s31
	s_delay_alu instid0(SALU_CYCLE_1) | instskip(NEXT) | instid1(SALU_CYCLE_1)
	s_or_b32 s28, s2, s28
	s_and_not1_b32 exec_lo, exec_lo, s28
	s_cbranch_execz .LBB1667_58
.LBB1667_56:                            ; =>This Inner Loop Header: Depth=1
	s_or_b32 s31, s31, exec_lo
	s_cmp_eq_u64 s[6:7], s[18:19]
	s_cbranch_scc0 .LBB1667_54
; %bb.57:                               ;   in Loop: Header=BB1667_56 Depth=1
	s_mov_b64 s[18:19], s[22:23]
                                        ; implicit-def: $vgpr19_vgpr20
                                        ; implicit-def: $vgpr21_vgpr22
	s_branch .LBB1667_55
.LBB1667_58:
	s_set_inst_prefetch_distance 0x2
	s_or_b32 exec_lo, exec_lo, s28
	v_cmp_gt_i64_e32 vcc_lo, s[22:23], v[23:24]
	s_or_not1_b32 s28, vcc_lo, exec_lo
.LBB1667_59:
	s_or_b32 exec_lo, exec_lo, s30
.LBB1667_60:
	v_mul_lo_u32 v21, v10, s22
	v_mul_lo_u32 v22, v9, s23
	v_mad_u64_u32 v[19:20], null, v9, s22, 0
	s_mov_b32 s30, 0
	s_and_not1_b32 vcc_lo, exec_lo, s26
	s_mov_b32 s31, 0
	s_delay_alu instid0(VALU_DEP_1) | instskip(NEXT) | instid1(VALU_DEP_1)
	v_add3_u32 v20, v20, v22, v21
	v_lshlrev_b64 v[21:22], 3, v[19:20]
	s_cbranch_vccnz .LBB1667_69
; %bb.61:
	s_delay_alu instid0(VALU_DEP_1) | instskip(NEXT) | instid1(VALU_DEP_2)
	v_add_co_u32 v19, vcc_lo, s8, v21
	v_add_co_ci_u32_e32 v20, vcc_lo, s9, v22, vcc_lo
	v_add_co_u32 v17, vcc_lo, s8, v17
	v_add_co_ci_u32_e32 v18, vcc_lo, s9, v18, vcc_lo
	s_mov_b32 s31, -1
	s_clause 0x1
	global_load_b64 v[23:24], v[19:20], off
	global_load_b64 v[26:27], v[17:18], off
	s_mov_b32 s33, exec_lo
	s_waitcnt vmcnt(0)
	v_cmpx_eq_u64_e64 v[23:24], v[26:27]
	s_cbranch_execz .LBB1667_68
; %bb.62:
	v_add_co_u32 v17, vcc_lo, v17, 8
	v_add_co_ci_u32_e32 v18, vcc_lo, 0, v18, vcc_lo
	v_add_co_u32 v19, vcc_lo, v19, 8
	v_add_co_ci_u32_e32 v20, vcc_lo, 0, v20, vcc_lo
	s_add_u32 s6, s22, -1
	s_addc_u32 s7, s23, -1
	s_mov_b64 s[18:19], 0
	s_mov_b32 s31, 0
                                        ; implicit-def: $sgpr34
	s_set_inst_prefetch_distance 0x1
	s_branch .LBB1667_65
	.p2align	6
.LBB1667_63:                            ;   in Loop: Header=BB1667_65 Depth=1
	global_load_b64 v[23:24], v[19:20], off
	global_load_b64 v[26:27], v[17:18], off
	v_add_co_u32 v17, vcc_lo, v17, 8
	v_add_co_ci_u32_e32 v18, vcc_lo, 0, v18, vcc_lo
	v_add_co_u32 v19, s2, v19, 8
	s_delay_alu instid0(VALU_DEP_1)
	v_add_co_ci_u32_e64 v20, s2, 0, v20, s2
	s_add_u32 s18, s18, 1
	s_addc_u32 s19, s19, 0
	s_and_not1_b32 s2, s34, exec_lo
	s_waitcnt vmcnt(0)
	v_cmp_ne_u64_e32 vcc_lo, v[23:24], v[26:27]
	s_and_b32 s34, vcc_lo, exec_lo
	s_delay_alu instid0(SALU_CYCLE_1)
	s_or_b32 s34, s2, s34
.LBB1667_64:                            ;   in Loop: Header=BB1667_65 Depth=1
	v_dual_mov_b32 v24, s19 :: v_dual_mov_b32 v23, s18
	s_and_b32 s2, exec_lo, s34
	s_delay_alu instid0(SALU_CYCLE_1) | instskip(NEXT) | instid1(SALU_CYCLE_1)
	s_or_b32 s31, s2, s31
	s_and_not1_b32 exec_lo, exec_lo, s31
	s_cbranch_execz .LBB1667_67
.LBB1667_65:                            ; =>This Inner Loop Header: Depth=1
	s_or_b32 s34, s34, exec_lo
	s_cmp_eq_u64 s[6:7], s[18:19]
	s_cbranch_scc0 .LBB1667_63
; %bb.66:                               ;   in Loop: Header=BB1667_65 Depth=1
	s_mov_b64 s[18:19], s[22:23]
                                        ; implicit-def: $vgpr17_vgpr18
                                        ; implicit-def: $vgpr19_vgpr20
	s_branch .LBB1667_64
.LBB1667_67:
	s_set_inst_prefetch_distance 0x2
	s_or_b32 exec_lo, exec_lo, s31
	v_cmp_gt_i64_e32 vcc_lo, s[22:23], v[23:24]
	s_or_not1_b32 s31, vcc_lo, exec_lo
.LBB1667_68:
	s_or_b32 exec_lo, exec_lo, s33
.LBB1667_69:
	v_mul_lo_u32 v19, v16, s22
	v_mul_lo_u32 v20, v15, s23
	v_mad_u64_u32 v[17:18], null, v15, s22, 0
	s_and_not1_b32 vcc_lo, exec_lo, s26
	s_delay_alu instid0(VALU_DEP_1) | instskip(NEXT) | instid1(VALU_DEP_1)
	v_add3_u32 v18, v18, v20, v19
	v_lshlrev_b64 v[19:20], 3, v[17:18]
	s_cbranch_vccnz .LBB1667_78
; %bb.70:
	s_delay_alu instid0(VALU_DEP_1) | instskip(NEXT) | instid1(VALU_DEP_2)
	v_add_co_u32 v23, vcc_lo, s8, v19
	v_add_co_ci_u32_e32 v24, vcc_lo, s9, v20, vcc_lo
	v_add_co_u32 v17, vcc_lo, s8, v21
	v_add_co_ci_u32_e32 v18, vcc_lo, s9, v22, vcc_lo
	s_mov_b32 s30, -1
	s_clause 0x1
	global_load_b64 v[21:22], v[23:24], off
	global_load_b64 v[26:27], v[17:18], off
	s_mov_b32 s33, exec_lo
	s_waitcnt vmcnt(0)
	v_cmpx_eq_u64_e64 v[21:22], v[26:27]
	s_cbranch_execz .LBB1667_77
; %bb.71:
	v_add_co_u32 v17, vcc_lo, v17, 8
	v_add_co_ci_u32_e32 v18, vcc_lo, 0, v18, vcc_lo
	v_add_co_u32 v21, vcc_lo, v23, 8
	v_add_co_ci_u32_e32 v22, vcc_lo, 0, v24, vcc_lo
	s_add_u32 s6, s22, -1
	s_addc_u32 s7, s23, -1
	s_mov_b64 s[18:19], 0
	s_mov_b32 s30, 0
                                        ; implicit-def: $sgpr34
	s_set_inst_prefetch_distance 0x1
	s_branch .LBB1667_74
	.p2align	6
.LBB1667_72:                            ;   in Loop: Header=BB1667_74 Depth=1
	global_load_b64 v[23:24], v[21:22], off
	global_load_b64 v[26:27], v[17:18], off
	v_add_co_u32 v17, vcc_lo, v17, 8
	v_add_co_ci_u32_e32 v18, vcc_lo, 0, v18, vcc_lo
	v_add_co_u32 v21, s2, v21, 8
	s_delay_alu instid0(VALU_DEP_1)
	v_add_co_ci_u32_e64 v22, s2, 0, v22, s2
	s_add_u32 s18, s18, 1
	s_addc_u32 s19, s19, 0
	s_and_not1_b32 s2, s34, exec_lo
	s_waitcnt vmcnt(0)
	v_cmp_ne_u64_e32 vcc_lo, v[23:24], v[26:27]
	s_and_b32 s34, vcc_lo, exec_lo
	s_delay_alu instid0(SALU_CYCLE_1)
	s_or_b32 s34, s2, s34
.LBB1667_73:                            ;   in Loop: Header=BB1667_74 Depth=1
	v_dual_mov_b32 v24, s19 :: v_dual_mov_b32 v23, s18
	s_and_b32 s2, exec_lo, s34
	s_delay_alu instid0(SALU_CYCLE_1) | instskip(NEXT) | instid1(SALU_CYCLE_1)
	s_or_b32 s30, s2, s30
	s_and_not1_b32 exec_lo, exec_lo, s30
	s_cbranch_execz .LBB1667_76
.LBB1667_74:                            ; =>This Inner Loop Header: Depth=1
	s_or_b32 s34, s34, exec_lo
	s_cmp_eq_u64 s[6:7], s[18:19]
	s_cbranch_scc0 .LBB1667_72
; %bb.75:                               ;   in Loop: Header=BB1667_74 Depth=1
	s_mov_b64 s[18:19], s[22:23]
                                        ; implicit-def: $vgpr17_vgpr18
                                        ; implicit-def: $vgpr21_vgpr22
	s_branch .LBB1667_73
.LBB1667_76:
	s_set_inst_prefetch_distance 0x2
	s_or_b32 exec_lo, exec_lo, s30
	v_cmp_gt_i64_e32 vcc_lo, s[22:23], v[23:24]
	s_or_not1_b32 s30, vcc_lo, exec_lo
.LBB1667_77:
	s_or_b32 exec_lo, exec_lo, s33
.LBB1667_78:
	v_mul_lo_u32 v21, v14, s22
	v_mul_lo_u32 v22, v13, s23
	v_mad_u64_u32 v[17:18], null, v13, s22, 0
	s_and_not1_b32 vcc_lo, exec_lo, s26
	s_mov_b32 s2, 0
	s_delay_alu instid0(VALU_DEP_1) | instskip(NEXT) | instid1(VALU_DEP_1)
	v_add3_u32 v18, v18, v22, v21
	v_lshlrev_b64 v[17:18], 3, v[17:18]
	s_cbranch_vccnz .LBB1667_87
; %bb.79:
	s_delay_alu instid0(VALU_DEP_1) | instskip(NEXT) | instid1(VALU_DEP_2)
	v_add_co_u32 v21, vcc_lo, s8, v17
	v_add_co_ci_u32_e32 v22, vcc_lo, s9, v18, vcc_lo
	v_add_co_u32 v19, vcc_lo, s8, v19
	v_add_co_ci_u32_e32 v20, vcc_lo, s9, v20, vcc_lo
	s_mov_b32 s2, -1
	s_clause 0x1
	global_load_b64 v[23:24], v[21:22], off
	global_load_b64 v[26:27], v[19:20], off
	s_mov_b32 s33, exec_lo
	s_waitcnt vmcnt(0)
	v_cmpx_eq_u64_e64 v[23:24], v[26:27]
	s_cbranch_execz .LBB1667_86
; %bb.80:
	v_add_co_u32 v19, vcc_lo, v19, 8
	v_add_co_ci_u32_e32 v20, vcc_lo, 0, v20, vcc_lo
	v_add_co_u32 v21, vcc_lo, v21, 8
	v_add_co_ci_u32_e32 v22, vcc_lo, 0, v22, vcc_lo
	s_add_u32 s6, s22, -1
	s_addc_u32 s7, s23, -1
	s_mov_b64 s[18:19], 0
	s_mov_b32 s34, 0
                                        ; implicit-def: $sgpr35
	s_set_inst_prefetch_distance 0x1
	s_branch .LBB1667_83
	.p2align	6
.LBB1667_81:                            ;   in Loop: Header=BB1667_83 Depth=1
	global_load_b64 v[23:24], v[21:22], off
	global_load_b64 v[26:27], v[19:20], off
	v_add_co_u32 v19, vcc_lo, v19, 8
	v_add_co_ci_u32_e32 v20, vcc_lo, 0, v20, vcc_lo
	v_add_co_u32 v21, s2, v21, 8
	s_delay_alu instid0(VALU_DEP_1)
	v_add_co_ci_u32_e64 v22, s2, 0, v22, s2
	s_add_u32 s18, s18, 1
	s_addc_u32 s19, s19, 0
	s_and_not1_b32 s2, s35, exec_lo
	s_waitcnt vmcnt(0)
	v_cmp_ne_u64_e32 vcc_lo, v[23:24], v[26:27]
	s_and_b32 s35, vcc_lo, exec_lo
	s_delay_alu instid0(SALU_CYCLE_1)
	s_or_b32 s35, s2, s35
.LBB1667_82:                            ;   in Loop: Header=BB1667_83 Depth=1
	v_dual_mov_b32 v24, s19 :: v_dual_mov_b32 v23, s18
	s_and_b32 s2, exec_lo, s35
	s_delay_alu instid0(SALU_CYCLE_1) | instskip(NEXT) | instid1(SALU_CYCLE_1)
	s_or_b32 s34, s2, s34
	s_and_not1_b32 exec_lo, exec_lo, s34
	s_cbranch_execz .LBB1667_85
.LBB1667_83:                            ; =>This Inner Loop Header: Depth=1
	s_or_b32 s35, s35, exec_lo
	s_cmp_eq_u64 s[6:7], s[18:19]
	s_cbranch_scc0 .LBB1667_81
; %bb.84:                               ;   in Loop: Header=BB1667_83 Depth=1
	s_mov_b64 s[18:19], s[22:23]
                                        ; implicit-def: $vgpr19_vgpr20
                                        ; implicit-def: $vgpr21_vgpr22
	s_branch .LBB1667_82
.LBB1667_85:
	s_set_inst_prefetch_distance 0x2
	s_or_b32 exec_lo, exec_lo, s34
	v_cmp_gt_i64_e32 vcc_lo, s[22:23], v[23:24]
	s_or_not1_b32 s2, vcc_lo, exec_lo
.LBB1667_86:
	s_or_b32 exec_lo, exec_lo, s33
.LBB1667_87:
	s_waitcnt lgkmcnt(0)
	v_dual_mov_b32 v20, s5 :: v_dual_mov_b32 v19, s4
	s_mov_b32 s6, exec_lo
	s_barrier
	buffer_gl0_inv
	v_cmpx_ne_u32_e32 0, v0
	s_cbranch_execz .LBB1667_89
; %bb.88:
	v_add_nc_u32_e32 v19, -8, v39
	ds_load_b64 v[19:20], v19
.LBB1667_89:
	s_or_b32 exec_lo, exec_lo, s6
	v_cndmask_b32_e64 v22, 0, 1, s31
	v_cndmask_b32_e64 v24, 0, 1, s29
	;; [unrolled: 1-line block ×7, first 2 shown]
	v_lshlrev_b16 v22, 8, v22
	v_lshlrev_b16 v24, 8, v24
	;; [unrolled: 1-line block ×4, first 2 shown]
	s_mov_b32 s3, 0
	v_or_b32_e32 v21, v21, v22
	v_or_b32_e32 v22, v23, v24
	;; [unrolled: 1-line block ×3, first 2 shown]
	v_and_b32_e32 v23, 0xffff, v27
	s_and_not1_b32 vcc_lo, exec_lo, s26
	v_lshlrev_b32_e32 v24, 16, v21
	v_and_b32_e32 v26, 0xffff, v22
	v_lshlrev_b32_e32 v27, 16, v28
	s_mov_b32 s2, 0
	s_cbranch_vccnz .LBB1667_98
; %bb.90:
	s_waitcnt lgkmcnt(0)
	v_mul_lo_u32 v22, v20, s22
	v_mul_lo_u32 v28, v19, s23
	v_mad_u64_u32 v[20:21], null, v19, s22, 0
	s_mov_b32 s2, -1
	s_mov_b32 s27, exec_lo
	s_delay_alu instid0(VALU_DEP_1) | instskip(NEXT) | instid1(VALU_DEP_1)
	v_add3_u32 v21, v21, v28, v22
	v_lshlrev_b64 v[19:20], 3, v[20:21]
	s_delay_alu instid0(VALU_DEP_1) | instskip(NEXT) | instid1(VALU_DEP_2)
	v_add_co_u32 v19, vcc_lo, s8, v19
	v_add_co_ci_u32_e32 v20, vcc_lo, s9, v20, vcc_lo
	v_add_co_u32 v17, vcc_lo, s8, v17
	v_add_co_ci_u32_e32 v18, vcc_lo, s9, v18, vcc_lo
	s_clause 0x1
	global_load_b64 v[21:22], v[19:20], off
	global_load_b64 v[28:29], v[17:18], off
	s_waitcnt vmcnt(0)
	v_cmpx_eq_u64_e64 v[21:22], v[28:29]
	s_cbranch_execz .LBB1667_97
; %bb.91:
	v_add_co_u32 v17, vcc_lo, v17, 8
	v_add_co_ci_u32_e32 v18, vcc_lo, 0, v18, vcc_lo
	v_add_co_u32 v19, vcc_lo, v19, 8
	v_add_co_ci_u32_e32 v20, vcc_lo, 0, v20, vcc_lo
	s_add_u32 s6, s22, -1
	s_addc_u32 s7, s23, -1
	s_mov_b64 s[18:19], 0
	s_mov_b32 s28, 0
                                        ; implicit-def: $sgpr29
	s_set_inst_prefetch_distance 0x1
	s_branch .LBB1667_94
	.p2align	6
.LBB1667_92:                            ;   in Loop: Header=BB1667_94 Depth=1
	global_load_b64 v[21:22], v[19:20], off
	global_load_b64 v[28:29], v[17:18], off
	v_add_co_u32 v17, vcc_lo, v17, 8
	v_add_co_ci_u32_e32 v18, vcc_lo, 0, v18, vcc_lo
	v_add_co_u32 v19, s2, v19, 8
	s_delay_alu instid0(VALU_DEP_1)
	v_add_co_ci_u32_e64 v20, s2, 0, v20, s2
	s_add_u32 s18, s18, 1
	s_addc_u32 s19, s19, 0
	s_and_not1_b32 s2, s29, exec_lo
	s_waitcnt vmcnt(0)
	v_cmp_ne_u64_e32 vcc_lo, v[21:22], v[28:29]
	s_and_b32 s29, vcc_lo, exec_lo
	s_delay_alu instid0(SALU_CYCLE_1)
	s_or_b32 s29, s2, s29
.LBB1667_93:                            ;   in Loop: Header=BB1667_94 Depth=1
	v_dual_mov_b32 v22, s19 :: v_dual_mov_b32 v21, s18
	s_and_b32 s2, exec_lo, s29
	s_delay_alu instid0(SALU_CYCLE_1) | instskip(NEXT) | instid1(SALU_CYCLE_1)
	s_or_b32 s28, s2, s28
	s_and_not1_b32 exec_lo, exec_lo, s28
	s_cbranch_execz .LBB1667_96
.LBB1667_94:                            ; =>This Inner Loop Header: Depth=1
	s_or_b32 s29, s29, exec_lo
	s_cmp_eq_u64 s[6:7], s[18:19]
	s_cbranch_scc0 .LBB1667_92
; %bb.95:                               ;   in Loop: Header=BB1667_94 Depth=1
	s_mov_b64 s[18:19], s[22:23]
                                        ; implicit-def: $vgpr17_vgpr18
                                        ; implicit-def: $vgpr19_vgpr20
	s_branch .LBB1667_93
.LBB1667_96:
	s_set_inst_prefetch_distance 0x2
	s_or_b32 exec_lo, exec_lo, s28
	v_cmp_gt_i64_e32 vcc_lo, s[22:23], v[21:22]
	s_or_not1_b32 s2, vcc_lo, exec_lo
.LBB1667_97:
	s_or_b32 exec_lo, exec_lo, s27
.LBB1667_98:
	v_or_b32_e32 v17, v23, v24
	s_delay_alu instid0(VALU_DEP_2)
	v_or_b32_e32 v18, v26, v27
	s_and_b32 vcc_lo, exec_lo, s3
	s_cbranch_vccz .LBB1667_190
.LBB1667_99:
	v_or_b32_e32 v17, 7, v39
	s_mov_b32 s3, 0
	s_mov_b32 s27, 0
	s_mov_b32 s28, exec_lo
	s_delay_alu instid0(VALU_DEP_1)
	v_cmpx_gt_u32_e64 s20, v17
	s_cbranch_execz .LBB1667_110
; %bb.100:
	s_and_not1_b32 vcc_lo, exec_lo, s26
	s_mov_b32 s2, 0
	s_cbranch_vccnz .LBB1667_109
; %bb.101:
	v_mul_lo_u32 v21, v2, s22
	v_mul_lo_u32 v22, v1, s23
	v_mad_u64_u32 v[17:18], null, v1, s22, 0
	v_mul_lo_u32 v23, v4, s22
	v_mul_lo_u32 v24, v3, s23
	s_waitcnt lgkmcnt(0)
	v_mad_u64_u32 v[19:20], null, v3, s22, 0
	s_mov_b32 s2, -1
	s_mov_b32 s26, exec_lo
	s_delay_alu instid0(VALU_DEP_4) | instskip(NEXT) | instid1(VALU_DEP_2)
	v_add3_u32 v18, v18, v22, v21
	v_add3_u32 v20, v20, v24, v23
	s_delay_alu instid0(VALU_DEP_2) | instskip(NEXT) | instid1(VALU_DEP_2)
	v_lshlrev_b64 v[17:18], 3, v[17:18]
	v_lshlrev_b64 v[21:22], 3, v[19:20]
	s_delay_alu instid0(VALU_DEP_2) | instskip(NEXT) | instid1(VALU_DEP_3)
	v_add_co_u32 v19, vcc_lo, s8, v17
	v_add_co_ci_u32_e32 v20, vcc_lo, s9, v18, vcc_lo
	s_delay_alu instid0(VALU_DEP_3) | instskip(NEXT) | instid1(VALU_DEP_4)
	v_add_co_u32 v17, vcc_lo, s8, v21
	v_add_co_ci_u32_e32 v18, vcc_lo, s9, v22, vcc_lo
	s_clause 0x1
	global_load_b64 v[21:22], v[19:20], off
	global_load_b64 v[23:24], v[17:18], off
	s_waitcnt vmcnt(0)
	v_cmpx_eq_u64_e64 v[21:22], v[23:24]
	s_cbranch_execz .LBB1667_108
; %bb.102:
	v_add_co_u32 v17, vcc_lo, v17, 8
	v_add_co_ci_u32_e32 v18, vcc_lo, 0, v18, vcc_lo
	v_add_co_u32 v19, vcc_lo, v19, 8
	v_add_co_ci_u32_e32 v20, vcc_lo, 0, v20, vcc_lo
	s_add_u32 s6, s22, -1
	s_addc_u32 s7, s23, -1
	s_mov_b64 s[18:19], 0
                                        ; implicit-def: $sgpr29
	s_set_inst_prefetch_distance 0x1
	s_branch .LBB1667_105
	.p2align	6
.LBB1667_103:                           ;   in Loop: Header=BB1667_105 Depth=1
	global_load_b64 v[21:22], v[19:20], off
	global_load_b64 v[23:24], v[17:18], off
	v_add_co_u32 v17, vcc_lo, v17, 8
	v_add_co_ci_u32_e32 v18, vcc_lo, 0, v18, vcc_lo
	v_add_co_u32 v19, s2, v19, 8
	s_delay_alu instid0(VALU_DEP_1)
	v_add_co_ci_u32_e64 v20, s2, 0, v20, s2
	s_add_u32 s18, s18, 1
	s_addc_u32 s19, s19, 0
	s_and_not1_b32 s2, s29, exec_lo
	s_waitcnt vmcnt(0)
	v_cmp_ne_u64_e32 vcc_lo, v[21:22], v[23:24]
	s_and_b32 s29, vcc_lo, exec_lo
	s_delay_alu instid0(SALU_CYCLE_1)
	s_or_b32 s29, s2, s29
.LBB1667_104:                           ;   in Loop: Header=BB1667_105 Depth=1
	v_dual_mov_b32 v22, s19 :: v_dual_mov_b32 v21, s18
	s_and_b32 s2, exec_lo, s29
	s_delay_alu instid0(SALU_CYCLE_1) | instskip(NEXT) | instid1(SALU_CYCLE_1)
	s_or_b32 s27, s2, s27
	s_and_not1_b32 exec_lo, exec_lo, s27
	s_cbranch_execz .LBB1667_107
.LBB1667_105:                           ; =>This Inner Loop Header: Depth=1
	s_or_b32 s29, s29, exec_lo
	s_cmp_eq_u64 s[6:7], s[18:19]
	s_cbranch_scc0 .LBB1667_103
; %bb.106:                              ;   in Loop: Header=BB1667_105 Depth=1
	s_mov_b64 s[18:19], s[22:23]
                                        ; implicit-def: $vgpr17_vgpr18
                                        ; implicit-def: $vgpr19_vgpr20
	s_branch .LBB1667_104
.LBB1667_107:
	s_set_inst_prefetch_distance 0x2
	s_or_b32 exec_lo, exec_lo, s27
	v_cmp_gt_i64_e32 vcc_lo, s[22:23], v[21:22]
	s_or_not1_b32 s2, vcc_lo, exec_lo
.LBB1667_108:
	s_or_b32 exec_lo, exec_lo, s26
.LBB1667_109:
	s_delay_alu instid0(SALU_CYCLE_1)
	s_and_b32 s27, s2, exec_lo
.LBB1667_110:
	s_or_b32 exec_lo, exec_lo, s28
	v_or_b32_e32 v17, 6, v39
	s_mov_b32 s26, exec_lo
	s_delay_alu instid0(VALU_DEP_1)
	v_cmpx_gt_u32_e64 s20, v17
	s_cbranch_execz .LBB1667_121
; %bb.111:
	v_cmp_ne_u32_e32 vcc_lo, 1, v25
	s_mov_b32 s2, 0
	s_cbranch_vccnz .LBB1667_120
; %bb.112:
	v_mul_lo_u32 v21, v8, s22
	v_mul_lo_u32 v22, v7, s23
	v_mad_u64_u32 v[17:18], null, v7, s22, 0
	v_mul_lo_u32 v23, v2, s22
	v_mul_lo_u32 v24, v1, s23
	s_waitcnt lgkmcnt(0)
	v_mad_u64_u32 v[19:20], null, v1, s22, 0
	s_mov_b32 s2, -1
	s_mov_b32 s3, exec_lo
	s_delay_alu instid0(VALU_DEP_4) | instskip(NEXT) | instid1(VALU_DEP_2)
	v_add3_u32 v18, v18, v22, v21
	v_add3_u32 v20, v20, v24, v23
	s_delay_alu instid0(VALU_DEP_2) | instskip(NEXT) | instid1(VALU_DEP_2)
	v_lshlrev_b64 v[17:18], 3, v[17:18]
	v_lshlrev_b64 v[21:22], 3, v[19:20]
	s_delay_alu instid0(VALU_DEP_2) | instskip(NEXT) | instid1(VALU_DEP_3)
	v_add_co_u32 v19, vcc_lo, s8, v17
	v_add_co_ci_u32_e32 v20, vcc_lo, s9, v18, vcc_lo
	s_delay_alu instid0(VALU_DEP_3) | instskip(NEXT) | instid1(VALU_DEP_4)
	v_add_co_u32 v17, vcc_lo, s8, v21
	v_add_co_ci_u32_e32 v18, vcc_lo, s9, v22, vcc_lo
	s_clause 0x1
	global_load_b64 v[21:22], v[19:20], off
	global_load_b64 v[23:24], v[17:18], off
	s_waitcnt vmcnt(0)
	v_cmpx_eq_u64_e64 v[21:22], v[23:24]
	s_cbranch_execz .LBB1667_119
; %bb.113:
	v_add_co_u32 v17, vcc_lo, v17, 8
	v_add_co_ci_u32_e32 v18, vcc_lo, 0, v18, vcc_lo
	v_add_co_u32 v19, vcc_lo, v19, 8
	v_add_co_ci_u32_e32 v20, vcc_lo, 0, v20, vcc_lo
	s_add_u32 s6, s22, -1
	s_addc_u32 s7, s23, -1
	s_mov_b64 s[18:19], 0
	s_mov_b32 s28, 0
                                        ; implicit-def: $sgpr29
	s_set_inst_prefetch_distance 0x1
	s_branch .LBB1667_116
	.p2align	6
.LBB1667_114:                           ;   in Loop: Header=BB1667_116 Depth=1
	global_load_b64 v[21:22], v[19:20], off
	global_load_b64 v[23:24], v[17:18], off
	v_add_co_u32 v17, vcc_lo, v17, 8
	v_add_co_ci_u32_e32 v18, vcc_lo, 0, v18, vcc_lo
	v_add_co_u32 v19, s2, v19, 8
	s_delay_alu instid0(VALU_DEP_1)
	v_add_co_ci_u32_e64 v20, s2, 0, v20, s2
	s_add_u32 s18, s18, 1
	s_addc_u32 s19, s19, 0
	s_and_not1_b32 s2, s29, exec_lo
	s_waitcnt vmcnt(0)
	v_cmp_ne_u64_e32 vcc_lo, v[21:22], v[23:24]
	s_and_b32 s29, vcc_lo, exec_lo
	s_delay_alu instid0(SALU_CYCLE_1)
	s_or_b32 s29, s2, s29
.LBB1667_115:                           ;   in Loop: Header=BB1667_116 Depth=1
	v_dual_mov_b32 v22, s19 :: v_dual_mov_b32 v21, s18
	s_and_b32 s2, exec_lo, s29
	s_delay_alu instid0(SALU_CYCLE_1) | instskip(NEXT) | instid1(SALU_CYCLE_1)
	s_or_b32 s28, s2, s28
	s_and_not1_b32 exec_lo, exec_lo, s28
	s_cbranch_execz .LBB1667_118
.LBB1667_116:                           ; =>This Inner Loop Header: Depth=1
	s_or_b32 s29, s29, exec_lo
	s_cmp_eq_u64 s[6:7], s[18:19]
	s_cbranch_scc0 .LBB1667_114
; %bb.117:                              ;   in Loop: Header=BB1667_116 Depth=1
	s_mov_b64 s[18:19], s[22:23]
                                        ; implicit-def: $vgpr17_vgpr18
                                        ; implicit-def: $vgpr19_vgpr20
	s_branch .LBB1667_115
.LBB1667_118:
	s_set_inst_prefetch_distance 0x2
	s_or_b32 exec_lo, exec_lo, s28
	v_cmp_gt_i64_e32 vcc_lo, s[22:23], v[21:22]
	s_or_not1_b32 s2, vcc_lo, exec_lo
.LBB1667_119:
	s_or_b32 exec_lo, exec_lo, s3
.LBB1667_120:
	s_delay_alu instid0(SALU_CYCLE_1)
	s_and_b32 s3, s2, exec_lo
.LBB1667_121:
	s_or_b32 exec_lo, exec_lo, s26
	v_or_b32_e32 v17, 5, v39
	s_mov_b32 s28, 0
	s_mov_b32 s26, 0
	s_mov_b32 s29, exec_lo
	s_delay_alu instid0(VALU_DEP_1)
	v_cmpx_gt_u32_e64 s20, v17
	s_cbranch_execz .LBB1667_132
; %bb.122:
	v_cmp_ne_u32_e32 vcc_lo, 1, v25
	s_mov_b32 s2, 0
	s_cbranch_vccnz .LBB1667_131
; %bb.123:
	v_mul_lo_u32 v21, v6, s22
	v_mul_lo_u32 v22, v5, s23
	v_mad_u64_u32 v[17:18], null, v5, s22, 0
	v_mul_lo_u32 v23, v8, s22
	v_mul_lo_u32 v24, v7, s23
	s_waitcnt lgkmcnt(0)
	v_mad_u64_u32 v[19:20], null, v7, s22, 0
	s_mov_b32 s2, -1
	s_mov_b32 s26, exec_lo
	s_delay_alu instid0(VALU_DEP_4) | instskip(NEXT) | instid1(VALU_DEP_2)
	v_add3_u32 v18, v18, v22, v21
	v_add3_u32 v20, v20, v24, v23
	s_delay_alu instid0(VALU_DEP_2) | instskip(NEXT) | instid1(VALU_DEP_2)
	v_lshlrev_b64 v[17:18], 3, v[17:18]
	v_lshlrev_b64 v[21:22], 3, v[19:20]
	s_delay_alu instid0(VALU_DEP_2) | instskip(NEXT) | instid1(VALU_DEP_3)
	v_add_co_u32 v19, vcc_lo, s8, v17
	v_add_co_ci_u32_e32 v20, vcc_lo, s9, v18, vcc_lo
	s_delay_alu instid0(VALU_DEP_3) | instskip(NEXT) | instid1(VALU_DEP_4)
	v_add_co_u32 v17, vcc_lo, s8, v21
	v_add_co_ci_u32_e32 v18, vcc_lo, s9, v22, vcc_lo
	s_clause 0x1
	global_load_b64 v[21:22], v[19:20], off
	global_load_b64 v[23:24], v[17:18], off
	s_waitcnt vmcnt(0)
	v_cmpx_eq_u64_e64 v[21:22], v[23:24]
	s_cbranch_execz .LBB1667_130
; %bb.124:
	v_add_co_u32 v17, vcc_lo, v17, 8
	v_add_co_ci_u32_e32 v18, vcc_lo, 0, v18, vcc_lo
	v_add_co_u32 v19, vcc_lo, v19, 8
	v_add_co_ci_u32_e32 v20, vcc_lo, 0, v20, vcc_lo
	s_add_u32 s6, s22, -1
	s_addc_u32 s7, s23, -1
	s_mov_b64 s[18:19], 0
	s_mov_b32 s30, 0
                                        ; implicit-def: $sgpr31
	s_set_inst_prefetch_distance 0x1
	s_branch .LBB1667_127
	.p2align	6
.LBB1667_125:                           ;   in Loop: Header=BB1667_127 Depth=1
	global_load_b64 v[21:22], v[19:20], off
	global_load_b64 v[23:24], v[17:18], off
	v_add_co_u32 v17, vcc_lo, v17, 8
	v_add_co_ci_u32_e32 v18, vcc_lo, 0, v18, vcc_lo
	v_add_co_u32 v19, s2, v19, 8
	s_delay_alu instid0(VALU_DEP_1)
	v_add_co_ci_u32_e64 v20, s2, 0, v20, s2
	s_add_u32 s18, s18, 1
	s_addc_u32 s19, s19, 0
	s_and_not1_b32 s2, s31, exec_lo
	s_waitcnt vmcnt(0)
	v_cmp_ne_u64_e32 vcc_lo, v[21:22], v[23:24]
	s_and_b32 s31, vcc_lo, exec_lo
	s_delay_alu instid0(SALU_CYCLE_1)
	s_or_b32 s31, s2, s31
.LBB1667_126:                           ;   in Loop: Header=BB1667_127 Depth=1
	v_dual_mov_b32 v22, s19 :: v_dual_mov_b32 v21, s18
	s_and_b32 s2, exec_lo, s31
	s_delay_alu instid0(SALU_CYCLE_1) | instskip(NEXT) | instid1(SALU_CYCLE_1)
	s_or_b32 s30, s2, s30
	s_and_not1_b32 exec_lo, exec_lo, s30
	s_cbranch_execz .LBB1667_129
.LBB1667_127:                           ; =>This Inner Loop Header: Depth=1
	s_or_b32 s31, s31, exec_lo
	s_cmp_eq_u64 s[6:7], s[18:19]
	s_cbranch_scc0 .LBB1667_125
; %bb.128:                              ;   in Loop: Header=BB1667_127 Depth=1
	s_mov_b64 s[18:19], s[22:23]
                                        ; implicit-def: $vgpr17_vgpr18
                                        ; implicit-def: $vgpr19_vgpr20
	s_branch .LBB1667_126
.LBB1667_129:
	s_set_inst_prefetch_distance 0x2
	s_or_b32 exec_lo, exec_lo, s30
	v_cmp_gt_i64_e32 vcc_lo, s[22:23], v[21:22]
	s_or_not1_b32 s2, vcc_lo, exec_lo
.LBB1667_130:
	s_or_b32 exec_lo, exec_lo, s26
.LBB1667_131:
	s_delay_alu instid0(SALU_CYCLE_1)
	s_and_b32 s26, s2, exec_lo
.LBB1667_132:
	s_or_b32 exec_lo, exec_lo, s29
	v_or_b32_e32 v17, 4, v39
	s_mov_b32 s29, exec_lo
	s_delay_alu instid0(VALU_DEP_1)
	v_cmpx_gt_u32_e64 s20, v17
	s_cbranch_execz .LBB1667_143
; %bb.133:
	v_cmp_ne_u32_e32 vcc_lo, 1, v25
	s_mov_b32 s2, 0
	s_cbranch_vccnz .LBB1667_142
; %bb.134:
	v_mul_lo_u32 v21, v12, s22
	v_mul_lo_u32 v22, v11, s23
	v_mad_u64_u32 v[17:18], null, v11, s22, 0
	v_mul_lo_u32 v23, v6, s22
	v_mul_lo_u32 v24, v5, s23
	s_waitcnt lgkmcnt(0)
	v_mad_u64_u32 v[19:20], null, v5, s22, 0
	s_mov_b32 s2, -1
	s_mov_b32 s28, exec_lo
	s_delay_alu instid0(VALU_DEP_4) | instskip(NEXT) | instid1(VALU_DEP_2)
	v_add3_u32 v18, v18, v22, v21
	v_add3_u32 v20, v20, v24, v23
	s_delay_alu instid0(VALU_DEP_2) | instskip(NEXT) | instid1(VALU_DEP_2)
	v_lshlrev_b64 v[17:18], 3, v[17:18]
	v_lshlrev_b64 v[21:22], 3, v[19:20]
	s_delay_alu instid0(VALU_DEP_2) | instskip(NEXT) | instid1(VALU_DEP_3)
	v_add_co_u32 v19, vcc_lo, s8, v17
	v_add_co_ci_u32_e32 v20, vcc_lo, s9, v18, vcc_lo
	s_delay_alu instid0(VALU_DEP_3) | instskip(NEXT) | instid1(VALU_DEP_4)
	v_add_co_u32 v17, vcc_lo, s8, v21
	v_add_co_ci_u32_e32 v18, vcc_lo, s9, v22, vcc_lo
	s_clause 0x1
	global_load_b64 v[21:22], v[19:20], off
	global_load_b64 v[23:24], v[17:18], off
	s_waitcnt vmcnt(0)
	v_cmpx_eq_u64_e64 v[21:22], v[23:24]
	s_cbranch_execz .LBB1667_141
; %bb.135:
	v_add_co_u32 v17, vcc_lo, v17, 8
	v_add_co_ci_u32_e32 v18, vcc_lo, 0, v18, vcc_lo
	v_add_co_u32 v19, vcc_lo, v19, 8
	v_add_co_ci_u32_e32 v20, vcc_lo, 0, v20, vcc_lo
	s_add_u32 s6, s22, -1
	s_addc_u32 s7, s23, -1
	s_mov_b64 s[18:19], 0
	s_mov_b32 s30, 0
                                        ; implicit-def: $sgpr31
	s_set_inst_prefetch_distance 0x1
	s_branch .LBB1667_138
	.p2align	6
.LBB1667_136:                           ;   in Loop: Header=BB1667_138 Depth=1
	global_load_b64 v[21:22], v[19:20], off
	global_load_b64 v[23:24], v[17:18], off
	v_add_co_u32 v17, vcc_lo, v17, 8
	v_add_co_ci_u32_e32 v18, vcc_lo, 0, v18, vcc_lo
	v_add_co_u32 v19, s2, v19, 8
	s_delay_alu instid0(VALU_DEP_1)
	v_add_co_ci_u32_e64 v20, s2, 0, v20, s2
	s_add_u32 s18, s18, 1
	s_addc_u32 s19, s19, 0
	s_and_not1_b32 s2, s31, exec_lo
	s_waitcnt vmcnt(0)
	v_cmp_ne_u64_e32 vcc_lo, v[21:22], v[23:24]
	s_and_b32 s31, vcc_lo, exec_lo
	s_delay_alu instid0(SALU_CYCLE_1)
	s_or_b32 s31, s2, s31
.LBB1667_137:                           ;   in Loop: Header=BB1667_138 Depth=1
	v_dual_mov_b32 v22, s19 :: v_dual_mov_b32 v21, s18
	s_and_b32 s2, exec_lo, s31
	s_delay_alu instid0(SALU_CYCLE_1) | instskip(NEXT) | instid1(SALU_CYCLE_1)
	s_or_b32 s30, s2, s30
	s_and_not1_b32 exec_lo, exec_lo, s30
	s_cbranch_execz .LBB1667_140
.LBB1667_138:                           ; =>This Inner Loop Header: Depth=1
	s_or_b32 s31, s31, exec_lo
	s_cmp_eq_u64 s[6:7], s[18:19]
	s_cbranch_scc0 .LBB1667_136
; %bb.139:                              ;   in Loop: Header=BB1667_138 Depth=1
	s_mov_b64 s[18:19], s[22:23]
                                        ; implicit-def: $vgpr17_vgpr18
                                        ; implicit-def: $vgpr19_vgpr20
	s_branch .LBB1667_137
.LBB1667_140:
	s_set_inst_prefetch_distance 0x2
	s_or_b32 exec_lo, exec_lo, s30
	v_cmp_gt_i64_e32 vcc_lo, s[22:23], v[21:22]
	s_or_not1_b32 s2, vcc_lo, exec_lo
.LBB1667_141:
	s_or_b32 exec_lo, exec_lo, s28
.LBB1667_142:
	s_delay_alu instid0(SALU_CYCLE_1)
	s_and_b32 s28, s2, exec_lo
.LBB1667_143:
	s_or_b32 exec_lo, exec_lo, s29
	v_or_b32_e32 v17, 3, v39
	s_mov_b32 s30, 0
	s_mov_b32 s29, 0
	s_mov_b32 s31, exec_lo
	s_delay_alu instid0(VALU_DEP_1)
	v_cmpx_gt_u32_e64 s20, v17
	s_cbranch_execz .LBB1667_154
; %bb.144:
	v_cmp_ne_u32_e32 vcc_lo, 1, v25
	s_mov_b32 s2, 0
	s_cbranch_vccnz .LBB1667_153
; %bb.145:
	v_mul_lo_u32 v21, v10, s22
	v_mul_lo_u32 v22, v9, s23
	v_mad_u64_u32 v[17:18], null, v9, s22, 0
	v_mul_lo_u32 v23, v12, s22
	v_mul_lo_u32 v24, v11, s23
	s_waitcnt lgkmcnt(0)
	v_mad_u64_u32 v[19:20], null, v11, s22, 0
	s_mov_b32 s2, -1
	s_mov_b32 s29, exec_lo
	s_delay_alu instid0(VALU_DEP_4) | instskip(NEXT) | instid1(VALU_DEP_2)
	v_add3_u32 v18, v18, v22, v21
	v_add3_u32 v20, v20, v24, v23
	s_delay_alu instid0(VALU_DEP_2) | instskip(NEXT) | instid1(VALU_DEP_2)
	v_lshlrev_b64 v[17:18], 3, v[17:18]
	v_lshlrev_b64 v[21:22], 3, v[19:20]
	s_delay_alu instid0(VALU_DEP_2) | instskip(NEXT) | instid1(VALU_DEP_3)
	v_add_co_u32 v19, vcc_lo, s8, v17
	v_add_co_ci_u32_e32 v20, vcc_lo, s9, v18, vcc_lo
	s_delay_alu instid0(VALU_DEP_3) | instskip(NEXT) | instid1(VALU_DEP_4)
	v_add_co_u32 v17, vcc_lo, s8, v21
	v_add_co_ci_u32_e32 v18, vcc_lo, s9, v22, vcc_lo
	s_clause 0x1
	global_load_b64 v[21:22], v[19:20], off
	global_load_b64 v[23:24], v[17:18], off
	s_waitcnt vmcnt(0)
	v_cmpx_eq_u64_e64 v[21:22], v[23:24]
	s_cbranch_execz .LBB1667_152
; %bb.146:
	v_add_co_u32 v17, vcc_lo, v17, 8
	v_add_co_ci_u32_e32 v18, vcc_lo, 0, v18, vcc_lo
	v_add_co_u32 v19, vcc_lo, v19, 8
	v_add_co_ci_u32_e32 v20, vcc_lo, 0, v20, vcc_lo
	s_add_u32 s6, s22, -1
	s_addc_u32 s7, s23, -1
	s_mov_b64 s[18:19], 0
	s_mov_b32 s33, 0
                                        ; implicit-def: $sgpr34
	s_set_inst_prefetch_distance 0x1
	s_branch .LBB1667_149
	.p2align	6
.LBB1667_147:                           ;   in Loop: Header=BB1667_149 Depth=1
	global_load_b64 v[21:22], v[19:20], off
	global_load_b64 v[23:24], v[17:18], off
	v_add_co_u32 v17, vcc_lo, v17, 8
	v_add_co_ci_u32_e32 v18, vcc_lo, 0, v18, vcc_lo
	v_add_co_u32 v19, s2, v19, 8
	s_delay_alu instid0(VALU_DEP_1)
	v_add_co_ci_u32_e64 v20, s2, 0, v20, s2
	s_add_u32 s18, s18, 1
	s_addc_u32 s19, s19, 0
	s_and_not1_b32 s2, s34, exec_lo
	s_waitcnt vmcnt(0)
	v_cmp_ne_u64_e32 vcc_lo, v[21:22], v[23:24]
	s_and_b32 s34, vcc_lo, exec_lo
	s_delay_alu instid0(SALU_CYCLE_1)
	s_or_b32 s34, s2, s34
.LBB1667_148:                           ;   in Loop: Header=BB1667_149 Depth=1
	v_dual_mov_b32 v22, s19 :: v_dual_mov_b32 v21, s18
	s_and_b32 s2, exec_lo, s34
	s_delay_alu instid0(SALU_CYCLE_1) | instskip(NEXT) | instid1(SALU_CYCLE_1)
	s_or_b32 s33, s2, s33
	s_and_not1_b32 exec_lo, exec_lo, s33
	s_cbranch_execz .LBB1667_151
.LBB1667_149:                           ; =>This Inner Loop Header: Depth=1
	s_or_b32 s34, s34, exec_lo
	s_cmp_eq_u64 s[6:7], s[18:19]
	s_cbranch_scc0 .LBB1667_147
; %bb.150:                              ;   in Loop: Header=BB1667_149 Depth=1
	s_mov_b64 s[18:19], s[22:23]
                                        ; implicit-def: $vgpr17_vgpr18
                                        ; implicit-def: $vgpr19_vgpr20
	s_branch .LBB1667_148
.LBB1667_151:
	s_set_inst_prefetch_distance 0x2
	s_or_b32 exec_lo, exec_lo, s33
	v_cmp_gt_i64_e32 vcc_lo, s[22:23], v[21:22]
	s_or_not1_b32 s2, vcc_lo, exec_lo
.LBB1667_152:
	s_or_b32 exec_lo, exec_lo, s29
.LBB1667_153:
	s_delay_alu instid0(SALU_CYCLE_1)
	s_and_b32 s29, s2, exec_lo
.LBB1667_154:
	s_or_b32 exec_lo, exec_lo, s31
	v_or_b32_e32 v17, 2, v39
	s_mov_b32 s31, exec_lo
	s_delay_alu instid0(VALU_DEP_1)
	v_cmpx_gt_u32_e64 s20, v17
	s_cbranch_execz .LBB1667_165
; %bb.155:
	v_cmp_ne_u32_e32 vcc_lo, 1, v25
	s_mov_b32 s2, 0
	s_cbranch_vccnz .LBB1667_164
; %bb.156:
	v_mul_lo_u32 v21, v16, s22
	v_mul_lo_u32 v22, v15, s23
	v_mad_u64_u32 v[17:18], null, v15, s22, 0
	v_mul_lo_u32 v23, v10, s22
	v_mul_lo_u32 v24, v9, s23
	s_waitcnt lgkmcnt(0)
	v_mad_u64_u32 v[19:20], null, v9, s22, 0
	s_mov_b32 s2, -1
	s_mov_b32 s30, exec_lo
	s_delay_alu instid0(VALU_DEP_4) | instskip(NEXT) | instid1(VALU_DEP_2)
	v_add3_u32 v18, v18, v22, v21
	v_add3_u32 v20, v20, v24, v23
	s_delay_alu instid0(VALU_DEP_2) | instskip(NEXT) | instid1(VALU_DEP_2)
	v_lshlrev_b64 v[17:18], 3, v[17:18]
	v_lshlrev_b64 v[21:22], 3, v[19:20]
	s_delay_alu instid0(VALU_DEP_2) | instskip(NEXT) | instid1(VALU_DEP_3)
	v_add_co_u32 v19, vcc_lo, s8, v17
	v_add_co_ci_u32_e32 v20, vcc_lo, s9, v18, vcc_lo
	s_delay_alu instid0(VALU_DEP_3) | instskip(NEXT) | instid1(VALU_DEP_4)
	v_add_co_u32 v17, vcc_lo, s8, v21
	v_add_co_ci_u32_e32 v18, vcc_lo, s9, v22, vcc_lo
	s_clause 0x1
	global_load_b64 v[21:22], v[19:20], off
	global_load_b64 v[23:24], v[17:18], off
	s_waitcnt vmcnt(0)
	v_cmpx_eq_u64_e64 v[21:22], v[23:24]
	s_cbranch_execz .LBB1667_163
; %bb.157:
	v_add_co_u32 v17, vcc_lo, v17, 8
	v_add_co_ci_u32_e32 v18, vcc_lo, 0, v18, vcc_lo
	v_add_co_u32 v19, vcc_lo, v19, 8
	v_add_co_ci_u32_e32 v20, vcc_lo, 0, v20, vcc_lo
	s_add_u32 s6, s22, -1
	s_addc_u32 s7, s23, -1
	s_mov_b64 s[18:19], 0
	s_mov_b32 s33, 0
                                        ; implicit-def: $sgpr34
	s_set_inst_prefetch_distance 0x1
	s_branch .LBB1667_160
	.p2align	6
.LBB1667_158:                           ;   in Loop: Header=BB1667_160 Depth=1
	global_load_b64 v[21:22], v[19:20], off
	global_load_b64 v[23:24], v[17:18], off
	v_add_co_u32 v17, vcc_lo, v17, 8
	v_add_co_ci_u32_e32 v18, vcc_lo, 0, v18, vcc_lo
	v_add_co_u32 v19, s2, v19, 8
	s_delay_alu instid0(VALU_DEP_1)
	v_add_co_ci_u32_e64 v20, s2, 0, v20, s2
	s_add_u32 s18, s18, 1
	s_addc_u32 s19, s19, 0
	s_and_not1_b32 s2, s34, exec_lo
	s_waitcnt vmcnt(0)
	v_cmp_ne_u64_e32 vcc_lo, v[21:22], v[23:24]
	s_and_b32 s34, vcc_lo, exec_lo
	s_delay_alu instid0(SALU_CYCLE_1)
	s_or_b32 s34, s2, s34
.LBB1667_159:                           ;   in Loop: Header=BB1667_160 Depth=1
	v_dual_mov_b32 v22, s19 :: v_dual_mov_b32 v21, s18
	s_and_b32 s2, exec_lo, s34
	s_delay_alu instid0(SALU_CYCLE_1) | instskip(NEXT) | instid1(SALU_CYCLE_1)
	s_or_b32 s33, s2, s33
	s_and_not1_b32 exec_lo, exec_lo, s33
	s_cbranch_execz .LBB1667_162
.LBB1667_160:                           ; =>This Inner Loop Header: Depth=1
	s_or_b32 s34, s34, exec_lo
	s_cmp_eq_u64 s[6:7], s[18:19]
	s_cbranch_scc0 .LBB1667_158
; %bb.161:                              ;   in Loop: Header=BB1667_160 Depth=1
	s_mov_b64 s[18:19], s[22:23]
                                        ; implicit-def: $vgpr17_vgpr18
                                        ; implicit-def: $vgpr19_vgpr20
	s_branch .LBB1667_159
.LBB1667_162:
	s_set_inst_prefetch_distance 0x2
	s_or_b32 exec_lo, exec_lo, s33
	v_cmp_gt_i64_e32 vcc_lo, s[22:23], v[21:22]
	s_or_not1_b32 s2, vcc_lo, exec_lo
.LBB1667_163:
	s_or_b32 exec_lo, exec_lo, s30
.LBB1667_164:
	s_delay_alu instid0(SALU_CYCLE_1)
	s_and_b32 s30, s2, exec_lo
.LBB1667_165:
	s_or_b32 exec_lo, exec_lo, s31
	v_or_b32_e32 v17, 1, v39
	s_mov_b32 s2, 0
	s_mov_b32 s31, exec_lo
	s_delay_alu instid0(VALU_DEP_1)
	v_cmpx_gt_u32_e64 s20, v17
	s_cbranch_execz .LBB1667_176
; %bb.166:
	v_cmp_ne_u32_e32 vcc_lo, 1, v25
	s_cbranch_vccnz .LBB1667_175
; %bb.167:
	v_mul_lo_u32 v21, v14, s22
	v_mul_lo_u32 v22, v13, s23
	v_mad_u64_u32 v[17:18], null, v13, s22, 0
	v_mul_lo_u32 v23, v16, s22
	v_mul_lo_u32 v24, v15, s23
	s_waitcnt lgkmcnt(0)
	v_mad_u64_u32 v[19:20], null, v15, s22, 0
	s_mov_b32 s2, -1
	s_mov_b32 s33, exec_lo
	s_delay_alu instid0(VALU_DEP_4) | instskip(NEXT) | instid1(VALU_DEP_2)
	v_add3_u32 v18, v18, v22, v21
	v_add3_u32 v20, v20, v24, v23
	s_delay_alu instid0(VALU_DEP_2) | instskip(NEXT) | instid1(VALU_DEP_2)
	v_lshlrev_b64 v[17:18], 3, v[17:18]
	v_lshlrev_b64 v[21:22], 3, v[19:20]
	s_delay_alu instid0(VALU_DEP_2) | instskip(NEXT) | instid1(VALU_DEP_3)
	v_add_co_u32 v19, vcc_lo, s8, v17
	v_add_co_ci_u32_e32 v20, vcc_lo, s9, v18, vcc_lo
	s_delay_alu instid0(VALU_DEP_3) | instskip(NEXT) | instid1(VALU_DEP_4)
	v_add_co_u32 v17, vcc_lo, s8, v21
	v_add_co_ci_u32_e32 v18, vcc_lo, s9, v22, vcc_lo
	s_clause 0x1
	global_load_b64 v[21:22], v[19:20], off
	global_load_b64 v[23:24], v[17:18], off
	s_waitcnt vmcnt(0)
	v_cmpx_eq_u64_e64 v[21:22], v[23:24]
	s_cbranch_execz .LBB1667_174
; %bb.168:
	v_add_co_u32 v17, vcc_lo, v17, 8
	v_add_co_ci_u32_e32 v18, vcc_lo, 0, v18, vcc_lo
	v_add_co_u32 v19, vcc_lo, v19, 8
	v_add_co_ci_u32_e32 v20, vcc_lo, 0, v20, vcc_lo
	s_add_u32 s6, s22, -1
	s_addc_u32 s7, s23, -1
	s_mov_b64 s[18:19], 0
	s_mov_b32 s34, 0
                                        ; implicit-def: $sgpr35
	s_set_inst_prefetch_distance 0x1
	s_branch .LBB1667_171
	.p2align	6
.LBB1667_169:                           ;   in Loop: Header=BB1667_171 Depth=1
	global_load_b64 v[21:22], v[19:20], off
	global_load_b64 v[23:24], v[17:18], off
	v_add_co_u32 v17, vcc_lo, v17, 8
	v_add_co_ci_u32_e32 v18, vcc_lo, 0, v18, vcc_lo
	v_add_co_u32 v19, s2, v19, 8
	s_delay_alu instid0(VALU_DEP_1)
	v_add_co_ci_u32_e64 v20, s2, 0, v20, s2
	s_add_u32 s18, s18, 1
	s_addc_u32 s19, s19, 0
	s_and_not1_b32 s2, s35, exec_lo
	s_waitcnt vmcnt(0)
	v_cmp_ne_u64_e32 vcc_lo, v[21:22], v[23:24]
	s_and_b32 s35, vcc_lo, exec_lo
	s_delay_alu instid0(SALU_CYCLE_1)
	s_or_b32 s35, s2, s35
.LBB1667_170:                           ;   in Loop: Header=BB1667_171 Depth=1
	v_dual_mov_b32 v22, s19 :: v_dual_mov_b32 v21, s18
	s_and_b32 s2, exec_lo, s35
	s_delay_alu instid0(SALU_CYCLE_1) | instskip(NEXT) | instid1(SALU_CYCLE_1)
	s_or_b32 s34, s2, s34
	s_and_not1_b32 exec_lo, exec_lo, s34
	s_cbranch_execz .LBB1667_173
.LBB1667_171:                           ; =>This Inner Loop Header: Depth=1
	s_or_b32 s35, s35, exec_lo
	s_cmp_eq_u64 s[6:7], s[18:19]
	s_cbranch_scc0 .LBB1667_169
; %bb.172:                              ;   in Loop: Header=BB1667_171 Depth=1
	s_mov_b64 s[18:19], s[22:23]
                                        ; implicit-def: $vgpr17_vgpr18
                                        ; implicit-def: $vgpr19_vgpr20
	s_branch .LBB1667_170
.LBB1667_173:
	s_set_inst_prefetch_distance 0x2
	s_or_b32 exec_lo, exec_lo, s34
	v_cmp_gt_i64_e32 vcc_lo, s[22:23], v[21:22]
	s_or_not1_b32 s2, vcc_lo, exec_lo
.LBB1667_174:
	s_or_b32 exec_lo, exec_lo, s33
.LBB1667_175:
	s_delay_alu instid0(SALU_CYCLE_1)
	s_and_b32 s2, s2, exec_lo
.LBB1667_176:
	s_or_b32 exec_lo, exec_lo, s31
	s_waitcnt lgkmcnt(0)
	v_dual_mov_b32 v18, s5 :: v_dual_mov_b32 v17, s4
	s_mov_b32 s4, exec_lo
	s_barrier
	buffer_gl0_inv
	v_cmpx_ne_u32_e32 0, v0
	s_cbranch_execz .LBB1667_178
; %bb.177:
	v_add_nc_u32_e32 v17, -8, v39
	ds_load_b64 v[17:18], v17
.LBB1667_178:
	s_or_b32 exec_lo, exec_lo, s4
	v_cndmask_b32_e64 v20, 0, 1, s29
	v_cndmask_b32_e64 v22, 0, 1, s26
	;; [unrolled: 1-line block ×7, first 2 shown]
	v_lshlrev_b16 v20, 8, v20
	v_lshlrev_b16 v22, 8, v22
	v_lshlrev_b16 v23, 8, v23
	s_mov_b32 s2, 0
	v_lshlrev_b16 v26, 8, v26
	v_or_b32_e32 v19, v19, v20
	v_or_b32_e32 v20, v21, v22
	v_or_b32_e32 v21, v24, v23
	s_mov_b32 s3, exec_lo
	v_and_b32_e32 v23, 0xffff, v26
	v_lshlrev_b32_e32 v24, 16, v19
	v_and_b32_e32 v26, 0xffff, v20
	v_lshlrev_b32_e32 v27, 16, v21
	v_cmpx_gt_u32_e64 s20, v39
	s_cbranch_execz .LBB1667_189
; %bb.179:
	v_cmp_ne_u32_e32 vcc_lo, 1, v25
	s_cbranch_vccnz .LBB1667_188
; %bb.180:
	s_waitcnt lgkmcnt(0)
	v_mul_lo_u32 v22, v18, s22
	v_mul_lo_u32 v25, v17, s23
	v_mad_u64_u32 v[18:19], null, v17, s22, 0
	v_mul_lo_u32 v17, v14, s22
	v_mul_lo_u32 v28, v13, s23
	v_mad_u64_u32 v[20:21], null, v13, s22, 0
	s_mov_b32 s2, -1
	s_mov_b32 s18, exec_lo
	s_delay_alu instid0(VALU_DEP_4) | instskip(NEXT) | instid1(VALU_DEP_2)
	v_add3_u32 v19, v19, v25, v22
	v_add3_u32 v21, v21, v28, v17
	s_delay_alu instid0(VALU_DEP_2) | instskip(NEXT) | instid1(VALU_DEP_2)
	v_lshlrev_b64 v[17:18], 3, v[18:19]
	v_lshlrev_b64 v[21:22], 3, v[20:21]
	s_delay_alu instid0(VALU_DEP_2) | instskip(NEXT) | instid1(VALU_DEP_3)
	v_add_co_u32 v19, vcc_lo, s8, v17
	v_add_co_ci_u32_e32 v20, vcc_lo, s9, v18, vcc_lo
	s_delay_alu instid0(VALU_DEP_3) | instskip(NEXT) | instid1(VALU_DEP_4)
	v_add_co_u32 v17, vcc_lo, s8, v21
	v_add_co_ci_u32_e32 v18, vcc_lo, s9, v22, vcc_lo
	s_clause 0x1
	global_load_b64 v[21:22], v[19:20], off
	global_load_b64 v[28:29], v[17:18], off
	s_waitcnt vmcnt(0)
	v_cmpx_eq_u64_e64 v[21:22], v[28:29]
	s_cbranch_execz .LBB1667_187
; %bb.181:
	v_add_co_u32 v17, vcc_lo, v17, 8
	v_add_co_ci_u32_e32 v18, vcc_lo, 0, v18, vcc_lo
	v_add_co_u32 v19, vcc_lo, v19, 8
	v_add_co_ci_u32_e32 v20, vcc_lo, 0, v20, vcc_lo
	s_add_u32 s4, s22, -1
	s_addc_u32 s5, s23, -1
	s_mov_b64 s[6:7], 0
	s_mov_b32 s19, 0
                                        ; implicit-def: $sgpr26
	s_set_inst_prefetch_distance 0x1
	s_branch .LBB1667_184
	.p2align	6
.LBB1667_182:                           ;   in Loop: Header=BB1667_184 Depth=1
	global_load_b64 v[21:22], v[19:20], off
	global_load_b64 v[28:29], v[17:18], off
	v_add_co_u32 v17, vcc_lo, v17, 8
	v_add_co_ci_u32_e32 v18, vcc_lo, 0, v18, vcc_lo
	v_add_co_u32 v19, s2, v19, 8
	s_delay_alu instid0(VALU_DEP_1)
	v_add_co_ci_u32_e64 v20, s2, 0, v20, s2
	s_add_u32 s6, s6, 1
	s_addc_u32 s7, s7, 0
	s_and_not1_b32 s2, s26, exec_lo
	s_waitcnt vmcnt(0)
	v_cmp_ne_u64_e32 vcc_lo, v[21:22], v[28:29]
	s_and_b32 s26, vcc_lo, exec_lo
	s_delay_alu instid0(SALU_CYCLE_1)
	s_or_b32 s26, s2, s26
.LBB1667_183:                           ;   in Loop: Header=BB1667_184 Depth=1
	v_dual_mov_b32 v22, s7 :: v_dual_mov_b32 v21, s6
	s_and_b32 s2, exec_lo, s26
	s_delay_alu instid0(SALU_CYCLE_1) | instskip(NEXT) | instid1(SALU_CYCLE_1)
	s_or_b32 s19, s2, s19
	s_and_not1_b32 exec_lo, exec_lo, s19
	s_cbranch_execz .LBB1667_186
.LBB1667_184:                           ; =>This Inner Loop Header: Depth=1
	s_or_b32 s26, s26, exec_lo
	s_cmp_eq_u64 s[4:5], s[6:7]
	s_cbranch_scc0 .LBB1667_182
; %bb.185:                              ;   in Loop: Header=BB1667_184 Depth=1
	s_mov_b64 s[6:7], s[22:23]
                                        ; implicit-def: $vgpr17_vgpr18
                                        ; implicit-def: $vgpr19_vgpr20
	s_branch .LBB1667_183
.LBB1667_186:
	s_set_inst_prefetch_distance 0x2
	s_or_b32 exec_lo, exec_lo, s19
	v_cmp_gt_i64_e32 vcc_lo, s[22:23], v[21:22]
	s_or_not1_b32 s2, vcc_lo, exec_lo
.LBB1667_187:
	s_or_b32 exec_lo, exec_lo, s18
.LBB1667_188:
	s_delay_alu instid0(SALU_CYCLE_1)
	s_and_b32 s2, s2, exec_lo
.LBB1667_189:
	s_or_b32 exec_lo, exec_lo, s3
	s_waitcnt lgkmcnt(0)
	v_or_b32_e32 v17, v23, v24
	v_or_b32_e32 v18, v26, v27
.LBB1667_190:
	s_mov_b32 s18, -1
	s_cbranch_execnz .LBB1667_359
.LBB1667_191:
	v_cmp_gt_i64_e64 s3, s[22:23], 0
	s_and_b32 vcc_lo, exec_lo, s21
	ds_store_b64 v39, v[3:4]
	s_cbranch_vccz .LBB1667_199
; %bb.192:
	s_waitcnt lgkmcnt(0)
	v_mul_lo_u32 v19, v2, s22
	v_mul_lo_u32 v20, v1, s23
	v_mad_u64_u32 v[17:18], null, v1, s22, 0
	s_mov_b32 s19, 0
	s_and_not1_b32 vcc_lo, exec_lo, s3
	s_mov_b32 s26, 0
	s_delay_alu instid0(VALU_DEP_1) | instskip(NEXT) | instid1(VALU_DEP_1)
	v_add3_u32 v18, v18, v20, v19
	v_lshlrev_b64 v[17:18], 3, v[17:18]
	s_cbranch_vccnz .LBB1667_202
; %bb.193:
	v_mul_lo_u32 v21, v4, s22
	v_mul_lo_u32 v22, v3, s23
	v_mad_u64_u32 v[19:20], null, v3, s22, 0
	s_mov_b32 s26, -1
	s_mov_b32 s27, exec_lo
	s_delay_alu instid0(VALU_DEP_1) | instskip(SKIP_2) | instid1(VALU_DEP_3)
	v_add3_u32 v20, v20, v22, v21
	v_add_co_u32 v21, vcc_lo, s8, v17
	v_add_co_ci_u32_e32 v22, vcc_lo, s9, v18, vcc_lo
	v_lshlrev_b64 v[19:20], 3, v[19:20]
	s_delay_alu instid0(VALU_DEP_1) | instskip(NEXT) | instid1(VALU_DEP_2)
	v_add_co_u32 v19, vcc_lo, s8, v19
	v_add_co_ci_u32_e32 v20, vcc_lo, s9, v20, vcc_lo
	s_clause 0x1
	global_load_b64 v[23:24], v[21:22], off
	global_load_b64 v[25:26], v[19:20], off
	s_waitcnt vmcnt(0)
	v_cmpx_eq_u64_e64 v[23:24], v[25:26]
	s_cbranch_execz .LBB1667_201
; %bb.194:
	v_add_co_u32 v19, vcc_lo, v19, 8
	v_add_co_ci_u32_e32 v20, vcc_lo, 0, v20, vcc_lo
	v_add_co_u32 v21, vcc_lo, v21, 8
	v_add_co_ci_u32_e32 v22, vcc_lo, 0, v22, vcc_lo
	s_add_u32 s4, s22, -1
	s_addc_u32 s5, s23, -1
	s_mov_b64 s[6:7], 0
	s_mov_b32 s26, 0
                                        ; implicit-def: $sgpr28
	s_set_inst_prefetch_distance 0x1
	s_branch .LBB1667_197
	.p2align	6
.LBB1667_195:                           ;   in Loop: Header=BB1667_197 Depth=1
	global_load_b64 v[23:24], v[21:22], off
	global_load_b64 v[25:26], v[19:20], off
	v_add_co_u32 v19, vcc_lo, v19, 8
	v_add_co_ci_u32_e32 v20, vcc_lo, 0, v20, vcc_lo
	v_add_co_u32 v21, s2, v21, 8
	s_delay_alu instid0(VALU_DEP_1)
	v_add_co_ci_u32_e64 v22, s2, 0, v22, s2
	s_add_u32 s6, s6, 1
	s_addc_u32 s7, s7, 0
	s_and_not1_b32 s2, s28, exec_lo
	s_waitcnt vmcnt(0)
	v_cmp_ne_u64_e32 vcc_lo, v[23:24], v[25:26]
	s_and_b32 s28, vcc_lo, exec_lo
	s_delay_alu instid0(SALU_CYCLE_1)
	s_or_b32 s28, s2, s28
.LBB1667_196:                           ;   in Loop: Header=BB1667_197 Depth=1
	v_dual_mov_b32 v24, s7 :: v_dual_mov_b32 v23, s6
	s_and_b32 s2, exec_lo, s28
	s_delay_alu instid0(SALU_CYCLE_1) | instskip(NEXT) | instid1(SALU_CYCLE_1)
	s_or_b32 s26, s2, s26
	s_and_not1_b32 exec_lo, exec_lo, s26
	s_cbranch_execz .LBB1667_200
.LBB1667_197:                           ; =>This Inner Loop Header: Depth=1
	s_or_b32 s28, s28, exec_lo
	s_cmp_eq_u64 s[4:5], s[6:7]
	s_cbranch_scc0 .LBB1667_195
; %bb.198:                              ;   in Loop: Header=BB1667_197 Depth=1
	s_mov_b64 s[6:7], s[22:23]
                                        ; implicit-def: $vgpr19_vgpr20
                                        ; implicit-def: $vgpr21_vgpr22
	s_branch .LBB1667_196
.LBB1667_199:
	s_waitcnt lgkmcnt(0)
                                        ; implicit-def: $sgpr2
                                        ; implicit-def: $vgpr18
	s_cbranch_execnz .LBB1667_268
	s_branch .LBB1667_359
.LBB1667_200:
	s_set_inst_prefetch_distance 0x2
	s_or_b32 exec_lo, exec_lo, s26
	v_cmp_gt_i64_e32 vcc_lo, s[22:23], v[23:24]
	s_or_not1_b32 s26, vcc_lo, exec_lo
.LBB1667_201:
	s_or_b32 exec_lo, exec_lo, s27
.LBB1667_202:
	v_mul_lo_u32 v21, v8, s22
	v_mul_lo_u32 v22, v7, s23
	v_mad_u64_u32 v[19:20], null, v7, s22, 0
	s_and_not1_b32 vcc_lo, exec_lo, s3
	s_delay_alu instid0(VALU_DEP_1) | instskip(NEXT) | instid1(VALU_DEP_1)
	v_add3_u32 v20, v20, v22, v21
	v_lshlrev_b64 v[19:20], 3, v[19:20]
	s_cbranch_vccnz .LBB1667_211
; %bb.203:
	s_delay_alu instid0(VALU_DEP_1) | instskip(NEXT) | instid1(VALU_DEP_2)
	v_add_co_u32 v21, vcc_lo, s8, v19
	v_add_co_ci_u32_e32 v22, vcc_lo, s9, v20, vcc_lo
	v_add_co_u32 v17, vcc_lo, s8, v17
	v_add_co_ci_u32_e32 v18, vcc_lo, s9, v18, vcc_lo
	s_mov_b32 s19, -1
	s_clause 0x1
	global_load_b64 v[23:24], v[21:22], off
	global_load_b64 v[25:26], v[17:18], off
	s_mov_b32 s27, exec_lo
	s_waitcnt vmcnt(0)
	v_cmpx_eq_u64_e64 v[23:24], v[25:26]
	s_cbranch_execz .LBB1667_210
; %bb.204:
	v_add_co_u32 v17, vcc_lo, v17, 8
	v_add_co_ci_u32_e32 v18, vcc_lo, 0, v18, vcc_lo
	v_add_co_u32 v21, vcc_lo, v21, 8
	v_add_co_ci_u32_e32 v22, vcc_lo, 0, v22, vcc_lo
	s_add_u32 s4, s22, -1
	s_addc_u32 s5, s23, -1
	s_mov_b64 s[6:7], 0
	s_mov_b32 s19, 0
                                        ; implicit-def: $sgpr28
	s_set_inst_prefetch_distance 0x1
	s_branch .LBB1667_207
	.p2align	6
.LBB1667_205:                           ;   in Loop: Header=BB1667_207 Depth=1
	global_load_b64 v[23:24], v[21:22], off
	global_load_b64 v[25:26], v[17:18], off
	v_add_co_u32 v17, vcc_lo, v17, 8
	v_add_co_ci_u32_e32 v18, vcc_lo, 0, v18, vcc_lo
	v_add_co_u32 v21, s2, v21, 8
	s_delay_alu instid0(VALU_DEP_1)
	v_add_co_ci_u32_e64 v22, s2, 0, v22, s2
	s_add_u32 s6, s6, 1
	s_addc_u32 s7, s7, 0
	s_and_not1_b32 s2, s28, exec_lo
	s_waitcnt vmcnt(0)
	v_cmp_ne_u64_e32 vcc_lo, v[23:24], v[25:26]
	s_and_b32 s28, vcc_lo, exec_lo
	s_delay_alu instid0(SALU_CYCLE_1)
	s_or_b32 s28, s2, s28
.LBB1667_206:                           ;   in Loop: Header=BB1667_207 Depth=1
	v_dual_mov_b32 v24, s7 :: v_dual_mov_b32 v23, s6
	s_and_b32 s2, exec_lo, s28
	s_delay_alu instid0(SALU_CYCLE_1) | instskip(NEXT) | instid1(SALU_CYCLE_1)
	s_or_b32 s19, s2, s19
	s_and_not1_b32 exec_lo, exec_lo, s19
	s_cbranch_execz .LBB1667_209
.LBB1667_207:                           ; =>This Inner Loop Header: Depth=1
	s_or_b32 s28, s28, exec_lo
	s_cmp_eq_u64 s[4:5], s[6:7]
	s_cbranch_scc0 .LBB1667_205
; %bb.208:                              ;   in Loop: Header=BB1667_207 Depth=1
	s_mov_b64 s[6:7], s[22:23]
                                        ; implicit-def: $vgpr17_vgpr18
                                        ; implicit-def: $vgpr21_vgpr22
	s_branch .LBB1667_206
.LBB1667_209:
	s_set_inst_prefetch_distance 0x2
	s_or_b32 exec_lo, exec_lo, s19
	v_cmp_gt_i64_e32 vcc_lo, s[22:23], v[23:24]
	s_or_not1_b32 s19, vcc_lo, exec_lo
.LBB1667_210:
	s_or_b32 exec_lo, exec_lo, s27
.LBB1667_211:
	v_mul_lo_u32 v21, v6, s22
	v_mul_lo_u32 v22, v5, s23
	v_mad_u64_u32 v[17:18], null, v5, s22, 0
	s_mov_b32 s27, 0
	s_and_not1_b32 vcc_lo, exec_lo, s3
	s_mov_b32 s28, 0
	s_delay_alu instid0(VALU_DEP_1) | instskip(NEXT) | instid1(VALU_DEP_1)
	v_add3_u32 v18, v18, v22, v21
	v_lshlrev_b64 v[21:22], 3, v[17:18]
	s_cbranch_vccnz .LBB1667_220
; %bb.212:
	s_delay_alu instid0(VALU_DEP_1) | instskip(NEXT) | instid1(VALU_DEP_2)
	v_add_co_u32 v23, vcc_lo, s8, v21
	v_add_co_ci_u32_e32 v24, vcc_lo, s9, v22, vcc_lo
	v_add_co_u32 v17, vcc_lo, s8, v19
	v_add_co_ci_u32_e32 v18, vcc_lo, s9, v20, vcc_lo
	s_mov_b32 s28, -1
	s_clause 0x1
	global_load_b64 v[19:20], v[23:24], off
	global_load_b64 v[25:26], v[17:18], off
	s_mov_b32 s29, exec_lo
	s_waitcnt vmcnt(0)
	v_cmpx_eq_u64_e64 v[19:20], v[25:26]
	s_cbranch_execz .LBB1667_219
; %bb.213:
	v_add_co_u32 v17, vcc_lo, v17, 8
	v_add_co_ci_u32_e32 v18, vcc_lo, 0, v18, vcc_lo
	v_add_co_u32 v19, vcc_lo, v23, 8
	v_add_co_ci_u32_e32 v20, vcc_lo, 0, v24, vcc_lo
	s_add_u32 s4, s22, -1
	s_addc_u32 s5, s23, -1
	s_mov_b64 s[6:7], 0
	s_mov_b32 s28, 0
                                        ; implicit-def: $sgpr30
	s_set_inst_prefetch_distance 0x1
	s_branch .LBB1667_216
	.p2align	6
.LBB1667_214:                           ;   in Loop: Header=BB1667_216 Depth=1
	global_load_b64 v[23:24], v[19:20], off
	global_load_b64 v[25:26], v[17:18], off
	v_add_co_u32 v17, vcc_lo, v17, 8
	v_add_co_ci_u32_e32 v18, vcc_lo, 0, v18, vcc_lo
	v_add_co_u32 v19, s2, v19, 8
	s_delay_alu instid0(VALU_DEP_1)
	v_add_co_ci_u32_e64 v20, s2, 0, v20, s2
	s_add_u32 s6, s6, 1
	s_addc_u32 s7, s7, 0
	s_and_not1_b32 s2, s30, exec_lo
	s_waitcnt vmcnt(0)
	v_cmp_ne_u64_e32 vcc_lo, v[23:24], v[25:26]
	s_and_b32 s30, vcc_lo, exec_lo
	s_delay_alu instid0(SALU_CYCLE_1)
	s_or_b32 s30, s2, s30
.LBB1667_215:                           ;   in Loop: Header=BB1667_216 Depth=1
	v_dual_mov_b32 v24, s7 :: v_dual_mov_b32 v23, s6
	s_and_b32 s2, exec_lo, s30
	s_delay_alu instid0(SALU_CYCLE_1) | instskip(NEXT) | instid1(SALU_CYCLE_1)
	s_or_b32 s28, s2, s28
	s_and_not1_b32 exec_lo, exec_lo, s28
	s_cbranch_execz .LBB1667_218
.LBB1667_216:                           ; =>This Inner Loop Header: Depth=1
	s_or_b32 s30, s30, exec_lo
	s_cmp_eq_u64 s[4:5], s[6:7]
	s_cbranch_scc0 .LBB1667_214
; %bb.217:                              ;   in Loop: Header=BB1667_216 Depth=1
	s_mov_b64 s[6:7], s[22:23]
                                        ; implicit-def: $vgpr17_vgpr18
                                        ; implicit-def: $vgpr19_vgpr20
	s_branch .LBB1667_215
.LBB1667_218:
	s_set_inst_prefetch_distance 0x2
	s_or_b32 exec_lo, exec_lo, s28
	v_cmp_gt_i64_e32 vcc_lo, s[22:23], v[23:24]
	s_or_not1_b32 s28, vcc_lo, exec_lo
.LBB1667_219:
	s_or_b32 exec_lo, exec_lo, s29
.LBB1667_220:
	v_mul_lo_u32 v19, v12, s22
	v_mul_lo_u32 v20, v11, s23
	v_mad_u64_u32 v[17:18], null, v11, s22, 0
	s_and_not1_b32 vcc_lo, exec_lo, s3
	s_delay_alu instid0(VALU_DEP_1) | instskip(NEXT) | instid1(VALU_DEP_1)
	v_add3_u32 v18, v18, v20, v19
	v_lshlrev_b64 v[17:18], 3, v[17:18]
	s_cbranch_vccnz .LBB1667_229
; %bb.221:
	s_delay_alu instid0(VALU_DEP_1) | instskip(NEXT) | instid1(VALU_DEP_2)
	v_add_co_u32 v23, vcc_lo, s8, v17
	v_add_co_ci_u32_e32 v24, vcc_lo, s9, v18, vcc_lo
	v_add_co_u32 v19, vcc_lo, s8, v21
	v_add_co_ci_u32_e32 v20, vcc_lo, s9, v22, vcc_lo
	s_mov_b32 s27, -1
	s_clause 0x1
	global_load_b64 v[21:22], v[23:24], off
	global_load_b64 v[25:26], v[19:20], off
	s_mov_b32 s29, exec_lo
	s_waitcnt vmcnt(0)
	v_cmpx_eq_u64_e64 v[21:22], v[25:26]
	s_cbranch_execz .LBB1667_228
; %bb.222:
	v_add_co_u32 v19, vcc_lo, v19, 8
	v_add_co_ci_u32_e32 v20, vcc_lo, 0, v20, vcc_lo
	v_add_co_u32 v21, vcc_lo, v23, 8
	v_add_co_ci_u32_e32 v22, vcc_lo, 0, v24, vcc_lo
	s_add_u32 s4, s22, -1
	s_addc_u32 s5, s23, -1
	s_mov_b64 s[6:7], 0
	s_mov_b32 s27, 0
                                        ; implicit-def: $sgpr30
	s_set_inst_prefetch_distance 0x1
	s_branch .LBB1667_225
	.p2align	6
.LBB1667_223:                           ;   in Loop: Header=BB1667_225 Depth=1
	global_load_b64 v[23:24], v[21:22], off
	global_load_b64 v[25:26], v[19:20], off
	v_add_co_u32 v19, vcc_lo, v19, 8
	v_add_co_ci_u32_e32 v20, vcc_lo, 0, v20, vcc_lo
	v_add_co_u32 v21, s2, v21, 8
	s_delay_alu instid0(VALU_DEP_1)
	v_add_co_ci_u32_e64 v22, s2, 0, v22, s2
	s_add_u32 s6, s6, 1
	s_addc_u32 s7, s7, 0
	s_and_not1_b32 s2, s30, exec_lo
	s_waitcnt vmcnt(0)
	v_cmp_ne_u64_e32 vcc_lo, v[23:24], v[25:26]
	s_and_b32 s30, vcc_lo, exec_lo
	s_delay_alu instid0(SALU_CYCLE_1)
	s_or_b32 s30, s2, s30
.LBB1667_224:                           ;   in Loop: Header=BB1667_225 Depth=1
	v_dual_mov_b32 v24, s7 :: v_dual_mov_b32 v23, s6
	s_and_b32 s2, exec_lo, s30
	s_delay_alu instid0(SALU_CYCLE_1) | instskip(NEXT) | instid1(SALU_CYCLE_1)
	s_or_b32 s27, s2, s27
	s_and_not1_b32 exec_lo, exec_lo, s27
	s_cbranch_execz .LBB1667_227
.LBB1667_225:                           ; =>This Inner Loop Header: Depth=1
	s_or_b32 s30, s30, exec_lo
	s_cmp_eq_u64 s[4:5], s[6:7]
	s_cbranch_scc0 .LBB1667_223
; %bb.226:                              ;   in Loop: Header=BB1667_225 Depth=1
	s_mov_b64 s[6:7], s[22:23]
                                        ; implicit-def: $vgpr19_vgpr20
                                        ; implicit-def: $vgpr21_vgpr22
	s_branch .LBB1667_224
.LBB1667_227:
	s_set_inst_prefetch_distance 0x2
	s_or_b32 exec_lo, exec_lo, s27
	v_cmp_gt_i64_e32 vcc_lo, s[22:23], v[23:24]
	s_or_not1_b32 s27, vcc_lo, exec_lo
.LBB1667_228:
	s_or_b32 exec_lo, exec_lo, s29
.LBB1667_229:
	v_mul_lo_u32 v21, v10, s22
	v_mul_lo_u32 v22, v9, s23
	v_mad_u64_u32 v[19:20], null, v9, s22, 0
	s_mov_b32 s29, 0
	s_and_not1_b32 vcc_lo, exec_lo, s3
	s_mov_b32 s30, 0
	s_delay_alu instid0(VALU_DEP_1) | instskip(NEXT) | instid1(VALU_DEP_1)
	v_add3_u32 v20, v20, v22, v21
	v_lshlrev_b64 v[19:20], 3, v[19:20]
	s_cbranch_vccnz .LBB1667_238
; %bb.230:
	s_delay_alu instid0(VALU_DEP_1) | instskip(NEXT) | instid1(VALU_DEP_2)
	v_add_co_u32 v21, vcc_lo, s8, v19
	v_add_co_ci_u32_e32 v22, vcc_lo, s9, v20, vcc_lo
	v_add_co_u32 v17, vcc_lo, s8, v17
	v_add_co_ci_u32_e32 v18, vcc_lo, s9, v18, vcc_lo
	s_mov_b32 s30, -1
	s_clause 0x1
	global_load_b64 v[23:24], v[21:22], off
	global_load_b64 v[25:26], v[17:18], off
	s_mov_b32 s31, exec_lo
	s_waitcnt vmcnt(0)
	v_cmpx_eq_u64_e64 v[23:24], v[25:26]
	s_cbranch_execz .LBB1667_237
; %bb.231:
	v_add_co_u32 v17, vcc_lo, v17, 8
	v_add_co_ci_u32_e32 v18, vcc_lo, 0, v18, vcc_lo
	v_add_co_u32 v21, vcc_lo, v21, 8
	v_add_co_ci_u32_e32 v22, vcc_lo, 0, v22, vcc_lo
	s_add_u32 s4, s22, -1
	s_addc_u32 s5, s23, -1
	s_mov_b64 s[6:7], 0
	s_mov_b32 s30, 0
                                        ; implicit-def: $sgpr33
	s_set_inst_prefetch_distance 0x1
	s_branch .LBB1667_234
	.p2align	6
.LBB1667_232:                           ;   in Loop: Header=BB1667_234 Depth=1
	global_load_b64 v[23:24], v[21:22], off
	global_load_b64 v[25:26], v[17:18], off
	v_add_co_u32 v17, vcc_lo, v17, 8
	v_add_co_ci_u32_e32 v18, vcc_lo, 0, v18, vcc_lo
	v_add_co_u32 v21, s2, v21, 8
	s_delay_alu instid0(VALU_DEP_1)
	v_add_co_ci_u32_e64 v22, s2, 0, v22, s2
	s_add_u32 s6, s6, 1
	s_addc_u32 s7, s7, 0
	s_and_not1_b32 s2, s33, exec_lo
	s_waitcnt vmcnt(0)
	v_cmp_ne_u64_e32 vcc_lo, v[23:24], v[25:26]
	s_and_b32 s33, vcc_lo, exec_lo
	s_delay_alu instid0(SALU_CYCLE_1)
	s_or_b32 s33, s2, s33
.LBB1667_233:                           ;   in Loop: Header=BB1667_234 Depth=1
	v_dual_mov_b32 v24, s7 :: v_dual_mov_b32 v23, s6
	s_and_b32 s2, exec_lo, s33
	s_delay_alu instid0(SALU_CYCLE_1) | instskip(NEXT) | instid1(SALU_CYCLE_1)
	s_or_b32 s30, s2, s30
	s_and_not1_b32 exec_lo, exec_lo, s30
	s_cbranch_execz .LBB1667_236
.LBB1667_234:                           ; =>This Inner Loop Header: Depth=1
	s_or_b32 s33, s33, exec_lo
	s_cmp_eq_u64 s[4:5], s[6:7]
	s_cbranch_scc0 .LBB1667_232
; %bb.235:                              ;   in Loop: Header=BB1667_234 Depth=1
	s_mov_b64 s[6:7], s[22:23]
                                        ; implicit-def: $vgpr17_vgpr18
                                        ; implicit-def: $vgpr21_vgpr22
	s_branch .LBB1667_233
.LBB1667_236:
	s_set_inst_prefetch_distance 0x2
	s_or_b32 exec_lo, exec_lo, s30
	v_cmp_gt_i64_e32 vcc_lo, s[22:23], v[23:24]
	s_or_not1_b32 s30, vcc_lo, exec_lo
.LBB1667_237:
	s_or_b32 exec_lo, exec_lo, s31
.LBB1667_238:
	v_mul_lo_u32 v21, v16, s22
	v_mul_lo_u32 v22, v15, s23
	v_mad_u64_u32 v[17:18], null, v15, s22, 0
	s_and_not1_b32 vcc_lo, exec_lo, s3
	s_delay_alu instid0(VALU_DEP_1) | instskip(NEXT) | instid1(VALU_DEP_1)
	v_add3_u32 v18, v18, v22, v21
	v_lshlrev_b64 v[17:18], 3, v[17:18]
	s_cbranch_vccnz .LBB1667_247
; %bb.239:
	s_delay_alu instid0(VALU_DEP_1) | instskip(NEXT) | instid1(VALU_DEP_2)
	v_add_co_u32 v21, vcc_lo, s8, v17
	v_add_co_ci_u32_e32 v22, vcc_lo, s9, v18, vcc_lo
	v_add_co_u32 v19, vcc_lo, s8, v19
	v_add_co_ci_u32_e32 v20, vcc_lo, s9, v20, vcc_lo
	s_mov_b32 s29, -1
	s_clause 0x1
	global_load_b64 v[23:24], v[21:22], off
	global_load_b64 v[25:26], v[19:20], off
	s_mov_b32 s31, exec_lo
	s_waitcnt vmcnt(0)
	v_cmpx_eq_u64_e64 v[23:24], v[25:26]
	s_cbranch_execz .LBB1667_246
; %bb.240:
	v_add_co_u32 v19, vcc_lo, v19, 8
	v_add_co_ci_u32_e32 v20, vcc_lo, 0, v20, vcc_lo
	v_add_co_u32 v21, vcc_lo, v21, 8
	v_add_co_ci_u32_e32 v22, vcc_lo, 0, v22, vcc_lo
	s_add_u32 s4, s22, -1
	s_addc_u32 s5, s23, -1
	s_mov_b64 s[6:7], 0
	s_mov_b32 s29, 0
                                        ; implicit-def: $sgpr33
	s_set_inst_prefetch_distance 0x1
	s_branch .LBB1667_243
	.p2align	6
.LBB1667_241:                           ;   in Loop: Header=BB1667_243 Depth=1
	global_load_b64 v[23:24], v[21:22], off
	global_load_b64 v[25:26], v[19:20], off
	v_add_co_u32 v19, vcc_lo, v19, 8
	v_add_co_ci_u32_e32 v20, vcc_lo, 0, v20, vcc_lo
	v_add_co_u32 v21, s2, v21, 8
	s_delay_alu instid0(VALU_DEP_1)
	v_add_co_ci_u32_e64 v22, s2, 0, v22, s2
	s_add_u32 s6, s6, 1
	s_addc_u32 s7, s7, 0
	s_and_not1_b32 s2, s33, exec_lo
	s_waitcnt vmcnt(0)
	v_cmp_ne_u64_e32 vcc_lo, v[23:24], v[25:26]
	s_and_b32 s33, vcc_lo, exec_lo
	s_delay_alu instid0(SALU_CYCLE_1)
	s_or_b32 s33, s2, s33
.LBB1667_242:                           ;   in Loop: Header=BB1667_243 Depth=1
	v_dual_mov_b32 v24, s7 :: v_dual_mov_b32 v23, s6
	s_and_b32 s2, exec_lo, s33
	s_delay_alu instid0(SALU_CYCLE_1) | instskip(NEXT) | instid1(SALU_CYCLE_1)
	s_or_b32 s29, s2, s29
	s_and_not1_b32 exec_lo, exec_lo, s29
	s_cbranch_execz .LBB1667_245
.LBB1667_243:                           ; =>This Inner Loop Header: Depth=1
	s_or_b32 s33, s33, exec_lo
	s_cmp_eq_u64 s[4:5], s[6:7]
	s_cbranch_scc0 .LBB1667_241
; %bb.244:                              ;   in Loop: Header=BB1667_243 Depth=1
	s_mov_b64 s[6:7], s[22:23]
                                        ; implicit-def: $vgpr19_vgpr20
                                        ; implicit-def: $vgpr21_vgpr22
	s_branch .LBB1667_242
.LBB1667_245:
	s_set_inst_prefetch_distance 0x2
	s_or_b32 exec_lo, exec_lo, s29
	v_cmp_gt_i64_e32 vcc_lo, s[22:23], v[23:24]
	s_or_not1_b32 s29, vcc_lo, exec_lo
.LBB1667_246:
	s_or_b32 exec_lo, exec_lo, s31
.LBB1667_247:
	v_mul_lo_u32 v21, v14, s22
	v_mul_lo_u32 v22, v13, s23
	v_mad_u64_u32 v[19:20], null, v13, s22, 0
	s_and_not1_b32 vcc_lo, exec_lo, s3
	s_mov_b32 s2, 0
	s_delay_alu instid0(VALU_DEP_1)
	v_add3_u32 v20, v20, v22, v21
	s_cbranch_vccnz .LBB1667_256
; %bb.248:
	s_delay_alu instid0(VALU_DEP_1) | instskip(SKIP_2) | instid1(VALU_DEP_1)
	v_lshlrev_b64 v[21:22], 3, v[19:20]
	s_mov_b32 s2, -1
	s_mov_b32 s31, exec_lo
	v_add_co_u32 v21, vcc_lo, s8, v21
	s_delay_alu instid0(VALU_DEP_2)
	v_add_co_ci_u32_e32 v22, vcc_lo, s9, v22, vcc_lo
	v_add_co_u32 v17, vcc_lo, s8, v17
	v_add_co_ci_u32_e32 v18, vcc_lo, s9, v18, vcc_lo
	s_clause 0x1
	global_load_b64 v[23:24], v[21:22], off
	global_load_b64 v[25:26], v[17:18], off
	s_waitcnt vmcnt(0)
	v_cmpx_eq_u64_e64 v[23:24], v[25:26]
	s_cbranch_execz .LBB1667_255
; %bb.249:
	v_add_co_u32 v17, vcc_lo, v17, 8
	v_add_co_ci_u32_e32 v18, vcc_lo, 0, v18, vcc_lo
	v_add_co_u32 v21, vcc_lo, v21, 8
	v_add_co_ci_u32_e32 v22, vcc_lo, 0, v22, vcc_lo
	s_add_u32 s4, s22, -1
	s_addc_u32 s5, s23, -1
	s_mov_b64 s[6:7], 0
	s_mov_b32 s33, 0
                                        ; implicit-def: $sgpr34
	s_set_inst_prefetch_distance 0x1
	s_branch .LBB1667_252
	.p2align	6
.LBB1667_250:                           ;   in Loop: Header=BB1667_252 Depth=1
	global_load_b64 v[23:24], v[21:22], off
	global_load_b64 v[25:26], v[17:18], off
	v_add_co_u32 v17, vcc_lo, v17, 8
	v_add_co_ci_u32_e32 v18, vcc_lo, 0, v18, vcc_lo
	v_add_co_u32 v21, s2, v21, 8
	s_delay_alu instid0(VALU_DEP_1)
	v_add_co_ci_u32_e64 v22, s2, 0, v22, s2
	s_add_u32 s6, s6, 1
	s_addc_u32 s7, s7, 0
	s_and_not1_b32 s2, s34, exec_lo
	s_waitcnt vmcnt(0)
	v_cmp_ne_u64_e32 vcc_lo, v[23:24], v[25:26]
	s_and_b32 s34, vcc_lo, exec_lo
	s_delay_alu instid0(SALU_CYCLE_1)
	s_or_b32 s34, s2, s34
.LBB1667_251:                           ;   in Loop: Header=BB1667_252 Depth=1
	v_dual_mov_b32 v24, s7 :: v_dual_mov_b32 v23, s6
	s_and_b32 s2, exec_lo, s34
	s_delay_alu instid0(SALU_CYCLE_1) | instskip(NEXT) | instid1(SALU_CYCLE_1)
	s_or_b32 s33, s2, s33
	s_and_not1_b32 exec_lo, exec_lo, s33
	s_cbranch_execz .LBB1667_254
.LBB1667_252:                           ; =>This Inner Loop Header: Depth=1
	s_or_b32 s34, s34, exec_lo
	s_cmp_eq_u64 s[4:5], s[6:7]
	s_cbranch_scc0 .LBB1667_250
; %bb.253:                              ;   in Loop: Header=BB1667_252 Depth=1
	s_mov_b64 s[6:7], s[22:23]
                                        ; implicit-def: $vgpr17_vgpr18
                                        ; implicit-def: $vgpr21_vgpr22
	s_branch .LBB1667_251
.LBB1667_254:
	s_set_inst_prefetch_distance 0x2
	s_or_b32 exec_lo, exec_lo, s33
	v_cmp_gt_i64_e32 vcc_lo, s[22:23], v[23:24]
	s_or_not1_b32 s2, vcc_lo, exec_lo
.LBB1667_255:
	s_or_b32 exec_lo, exec_lo, s31
.LBB1667_256:
	v_cndmask_b32_e64 v18, 0, 1, s30
	v_cndmask_b32_e64 v21, 0, 1, s28
	;; [unrolled: 1-line block ×7, first 2 shown]
	v_lshlrev_b16 v21, 8, v21
	v_lshlrev_b16 v22, 8, v22
	;; [unrolled: 1-line block ×4, first 2 shown]
	s_delay_alu instid0(VALU_DEP_4) | instskip(NEXT) | instid1(VALU_DEP_4)
	v_or_b32_e32 v21, v24, v21
	v_or_b32_e32 v22, v25, v22
	s_delay_alu instid0(VALU_DEP_4) | instskip(NEXT) | instid1(VALU_DEP_4)
	v_or_b32_e32 v23, 1, v23
	v_or_b32_e32 v17, v17, v18
	s_barrier
	v_and_b32_e32 v18, 0xffff, v21
	v_lshlrev_b32_e32 v21, 16, v22
	v_and_b32_e32 v22, 0xffff, v23
	v_lshlrev_b32_e32 v17, 16, v17
	buffer_gl0_inv
                                        ; implicit-def: $sgpr2
	s_mov_b32 s4, exec_lo
	v_or_b32_e32 v18, v18, v21
	v_or_b32_e32 v17, v22, v17
	v_cmpx_ne_u32_e32 0, v0
	s_xor_b32 s19, exec_lo, s4
	s_cbranch_execz .LBB1667_267
; %bb.257:
	s_and_not1_b32 vcc_lo, exec_lo, s3
	s_mov_b32 s2, 0
	s_cbranch_vccnz .LBB1667_266
; %bb.258:
	v_add_nc_u32_e32 v21, -8, v39
	v_lshlrev_b64 v[19:20], 3, v[19:20]
	s_mov_b32 s2, -1
	s_mov_b32 s26, exec_lo
	ds_load_b64 v[21:22], v21
	s_waitcnt lgkmcnt(0)
	v_mul_lo_u32 v24, v22, s22
	v_mul_lo_u32 v25, v21, s23
	v_mad_u64_u32 v[22:23], null, v21, s22, 0
	s_delay_alu instid0(VALU_DEP_1) | instskip(NEXT) | instid1(VALU_DEP_1)
	v_add3_u32 v23, v23, v25, v24
	v_lshlrev_b64 v[21:22], 3, v[22:23]
	s_delay_alu instid0(VALU_DEP_1) | instskip(NEXT) | instid1(VALU_DEP_2)
	v_add_co_u32 v21, vcc_lo, s8, v21
	v_add_co_ci_u32_e32 v22, vcc_lo, s9, v22, vcc_lo
	v_add_co_u32 v19, vcc_lo, s8, v19
	v_add_co_ci_u32_e32 v20, vcc_lo, s9, v20, vcc_lo
	s_clause 0x1
	global_load_b64 v[23:24], v[21:22], off
	global_load_b64 v[25:26], v[19:20], off
	s_waitcnt vmcnt(0)
	v_cmpx_eq_u64_e64 v[23:24], v[25:26]
	s_cbranch_execz .LBB1667_265
; %bb.259:
	v_add_co_u32 v19, vcc_lo, v19, 8
	v_add_co_ci_u32_e32 v20, vcc_lo, 0, v20, vcc_lo
	v_add_co_u32 v21, vcc_lo, v21, 8
	v_add_co_ci_u32_e32 v22, vcc_lo, 0, v22, vcc_lo
	s_add_u32 s4, s22, -1
	s_addc_u32 s5, s23, -1
	s_mov_b64 s[6:7], 0
	s_mov_b32 s27, 0
                                        ; implicit-def: $sgpr28
	s_set_inst_prefetch_distance 0x1
	s_branch .LBB1667_262
	.p2align	6
.LBB1667_260:                           ;   in Loop: Header=BB1667_262 Depth=1
	global_load_b64 v[23:24], v[21:22], off
	global_load_b64 v[25:26], v[19:20], off
	v_add_co_u32 v19, vcc_lo, v19, 8
	v_add_co_ci_u32_e32 v20, vcc_lo, 0, v20, vcc_lo
	v_add_co_u32 v21, s2, v21, 8
	s_delay_alu instid0(VALU_DEP_1)
	v_add_co_ci_u32_e64 v22, s2, 0, v22, s2
	s_add_u32 s6, s6, 1
	s_addc_u32 s7, s7, 0
	s_and_not1_b32 s2, s28, exec_lo
	s_waitcnt vmcnt(0)
	v_cmp_ne_u64_e32 vcc_lo, v[23:24], v[25:26]
	s_and_b32 s28, vcc_lo, exec_lo
	s_delay_alu instid0(SALU_CYCLE_1)
	s_or_b32 s28, s2, s28
.LBB1667_261:                           ;   in Loop: Header=BB1667_262 Depth=1
	v_dual_mov_b32 v24, s7 :: v_dual_mov_b32 v23, s6
	s_and_b32 s2, exec_lo, s28
	s_delay_alu instid0(SALU_CYCLE_1) | instskip(NEXT) | instid1(SALU_CYCLE_1)
	s_or_b32 s27, s2, s27
	s_and_not1_b32 exec_lo, exec_lo, s27
	s_cbranch_execz .LBB1667_264
.LBB1667_262:                           ; =>This Inner Loop Header: Depth=1
	s_or_b32 s28, s28, exec_lo
	s_cmp_eq_u64 s[4:5], s[6:7]
	s_cbranch_scc0 .LBB1667_260
; %bb.263:                              ;   in Loop: Header=BB1667_262 Depth=1
	s_mov_b64 s[6:7], s[22:23]
                                        ; implicit-def: $vgpr19_vgpr20
                                        ; implicit-def: $vgpr21_vgpr22
	s_branch .LBB1667_261
.LBB1667_264:
	s_set_inst_prefetch_distance 0x2
	s_or_b32 exec_lo, exec_lo, s27
	v_cmp_gt_i64_e32 vcc_lo, s[22:23], v[23:24]
	s_or_not1_b32 s2, vcc_lo, exec_lo
.LBB1667_265:
	s_or_b32 exec_lo, exec_lo, s26
.LBB1667_266:
	s_delay_alu instid0(SALU_CYCLE_1)
	s_and_b32 s2, s2, exec_lo
	s_or_b32 s18, s18, exec_lo
.LBB1667_267:
	s_or_b32 exec_lo, exec_lo, s19
	s_branch .LBB1667_359
.LBB1667_268:
	v_or_b32_e32 v17, 7, v39
	s_mov_b32 s19, 0
	s_mov_b32 s26, 0
	s_mov_b32 s27, exec_lo
	s_delay_alu instid0(VALU_DEP_1)
	v_cmpx_gt_u32_e64 s20, v17
	s_cbranch_execz .LBB1667_279
; %bb.269:
	s_and_not1_b32 vcc_lo, exec_lo, s3
	s_mov_b32 s2, 0
	s_cbranch_vccnz .LBB1667_278
; %bb.270:
	v_mul_lo_u32 v21, v2, s22
	v_mul_lo_u32 v22, v1, s23
	v_mad_u64_u32 v[17:18], null, v1, s22, 0
	v_mul_lo_u32 v23, v4, s22
	v_mul_lo_u32 v24, v3, s23
	v_mad_u64_u32 v[19:20], null, v3, s22, 0
	s_mov_b32 s2, -1
	s_mov_b32 s26, exec_lo
	s_delay_alu instid0(VALU_DEP_4) | instskip(NEXT) | instid1(VALU_DEP_2)
	v_add3_u32 v18, v18, v22, v21
	v_add3_u32 v20, v20, v24, v23
	s_delay_alu instid0(VALU_DEP_2) | instskip(NEXT) | instid1(VALU_DEP_2)
	v_lshlrev_b64 v[17:18], 3, v[17:18]
	v_lshlrev_b64 v[21:22], 3, v[19:20]
	s_delay_alu instid0(VALU_DEP_2) | instskip(NEXT) | instid1(VALU_DEP_3)
	v_add_co_u32 v19, vcc_lo, s8, v17
	v_add_co_ci_u32_e32 v20, vcc_lo, s9, v18, vcc_lo
	s_delay_alu instid0(VALU_DEP_3) | instskip(NEXT) | instid1(VALU_DEP_4)
	v_add_co_u32 v17, vcc_lo, s8, v21
	v_add_co_ci_u32_e32 v18, vcc_lo, s9, v22, vcc_lo
	s_clause 0x1
	global_load_b64 v[21:22], v[19:20], off
	global_load_b64 v[23:24], v[17:18], off
	s_waitcnt vmcnt(0)
	v_cmpx_eq_u64_e64 v[21:22], v[23:24]
	s_cbranch_execz .LBB1667_277
; %bb.271:
	v_add_co_u32 v17, vcc_lo, v17, 8
	v_add_co_ci_u32_e32 v18, vcc_lo, 0, v18, vcc_lo
	v_add_co_u32 v19, vcc_lo, v19, 8
	v_add_co_ci_u32_e32 v20, vcc_lo, 0, v20, vcc_lo
	s_add_u32 s4, s22, -1
	s_addc_u32 s5, s23, -1
	s_mov_b64 s[6:7], 0
	s_mov_b32 s28, 0
                                        ; implicit-def: $sgpr29
	s_set_inst_prefetch_distance 0x1
	s_branch .LBB1667_274
	.p2align	6
.LBB1667_272:                           ;   in Loop: Header=BB1667_274 Depth=1
	global_load_b64 v[21:22], v[19:20], off
	global_load_b64 v[23:24], v[17:18], off
	v_add_co_u32 v17, vcc_lo, v17, 8
	v_add_co_ci_u32_e32 v18, vcc_lo, 0, v18, vcc_lo
	v_add_co_u32 v19, s2, v19, 8
	s_delay_alu instid0(VALU_DEP_1)
	v_add_co_ci_u32_e64 v20, s2, 0, v20, s2
	s_add_u32 s6, s6, 1
	s_addc_u32 s7, s7, 0
	s_and_not1_b32 s2, s29, exec_lo
	s_waitcnt vmcnt(0)
	v_cmp_ne_u64_e32 vcc_lo, v[21:22], v[23:24]
	s_and_b32 s29, vcc_lo, exec_lo
	s_delay_alu instid0(SALU_CYCLE_1)
	s_or_b32 s29, s2, s29
.LBB1667_273:                           ;   in Loop: Header=BB1667_274 Depth=1
	v_dual_mov_b32 v22, s7 :: v_dual_mov_b32 v21, s6
	s_and_b32 s2, exec_lo, s29
	s_delay_alu instid0(SALU_CYCLE_1) | instskip(NEXT) | instid1(SALU_CYCLE_1)
	s_or_b32 s28, s2, s28
	s_and_not1_b32 exec_lo, exec_lo, s28
	s_cbranch_execz .LBB1667_276
.LBB1667_274:                           ; =>This Inner Loop Header: Depth=1
	s_or_b32 s29, s29, exec_lo
	s_cmp_eq_u64 s[4:5], s[6:7]
	s_cbranch_scc0 .LBB1667_272
; %bb.275:                              ;   in Loop: Header=BB1667_274 Depth=1
	s_mov_b64 s[6:7], s[22:23]
                                        ; implicit-def: $vgpr17_vgpr18
                                        ; implicit-def: $vgpr19_vgpr20
	s_branch .LBB1667_273
.LBB1667_276:
	s_set_inst_prefetch_distance 0x2
	s_or_b32 exec_lo, exec_lo, s28
	v_cmp_gt_i64_e32 vcc_lo, s[22:23], v[21:22]
	s_or_not1_b32 s2, vcc_lo, exec_lo
.LBB1667_277:
	s_or_b32 exec_lo, exec_lo, s26
.LBB1667_278:
	s_delay_alu instid0(SALU_CYCLE_1)
	s_and_b32 s26, s2, exec_lo
.LBB1667_279:
	s_or_b32 exec_lo, exec_lo, s27
	v_or_b32_e32 v17, 6, v39
	s_mov_b32 s27, exec_lo
	s_delay_alu instid0(VALU_DEP_1)
	v_cmpx_gt_u32_e64 s20, v17
	s_cbranch_execz .LBB1667_290
; %bb.280:
	s_and_not1_b32 vcc_lo, exec_lo, s3
	s_mov_b32 s2, 0
	s_cbranch_vccnz .LBB1667_289
; %bb.281:
	v_mul_lo_u32 v21, v8, s22
	v_mul_lo_u32 v22, v7, s23
	v_mad_u64_u32 v[17:18], null, v7, s22, 0
	v_mul_lo_u32 v23, v2, s22
	v_mul_lo_u32 v24, v1, s23
	v_mad_u64_u32 v[19:20], null, v1, s22, 0
	s_mov_b32 s2, -1
	s_mov_b32 s19, exec_lo
	s_delay_alu instid0(VALU_DEP_4) | instskip(NEXT) | instid1(VALU_DEP_2)
	v_add3_u32 v18, v18, v22, v21
	v_add3_u32 v20, v20, v24, v23
	s_delay_alu instid0(VALU_DEP_2) | instskip(NEXT) | instid1(VALU_DEP_2)
	v_lshlrev_b64 v[17:18], 3, v[17:18]
	v_lshlrev_b64 v[21:22], 3, v[19:20]
	s_delay_alu instid0(VALU_DEP_2) | instskip(NEXT) | instid1(VALU_DEP_3)
	v_add_co_u32 v19, vcc_lo, s8, v17
	v_add_co_ci_u32_e32 v20, vcc_lo, s9, v18, vcc_lo
	s_delay_alu instid0(VALU_DEP_3) | instskip(NEXT) | instid1(VALU_DEP_4)
	v_add_co_u32 v17, vcc_lo, s8, v21
	v_add_co_ci_u32_e32 v18, vcc_lo, s9, v22, vcc_lo
	s_clause 0x1
	global_load_b64 v[21:22], v[19:20], off
	global_load_b64 v[23:24], v[17:18], off
	s_waitcnt vmcnt(0)
	v_cmpx_eq_u64_e64 v[21:22], v[23:24]
	s_cbranch_execz .LBB1667_288
; %bb.282:
	v_add_co_u32 v17, vcc_lo, v17, 8
	v_add_co_ci_u32_e32 v18, vcc_lo, 0, v18, vcc_lo
	v_add_co_u32 v19, vcc_lo, v19, 8
	v_add_co_ci_u32_e32 v20, vcc_lo, 0, v20, vcc_lo
	s_add_u32 s4, s22, -1
	s_addc_u32 s5, s23, -1
	s_mov_b64 s[6:7], 0
	s_mov_b32 s28, 0
                                        ; implicit-def: $sgpr29
	s_set_inst_prefetch_distance 0x1
	s_branch .LBB1667_285
	.p2align	6
.LBB1667_283:                           ;   in Loop: Header=BB1667_285 Depth=1
	global_load_b64 v[21:22], v[19:20], off
	global_load_b64 v[23:24], v[17:18], off
	v_add_co_u32 v17, vcc_lo, v17, 8
	v_add_co_ci_u32_e32 v18, vcc_lo, 0, v18, vcc_lo
	v_add_co_u32 v19, s2, v19, 8
	s_delay_alu instid0(VALU_DEP_1)
	v_add_co_ci_u32_e64 v20, s2, 0, v20, s2
	s_add_u32 s6, s6, 1
	s_addc_u32 s7, s7, 0
	s_and_not1_b32 s2, s29, exec_lo
	s_waitcnt vmcnt(0)
	v_cmp_ne_u64_e32 vcc_lo, v[21:22], v[23:24]
	s_and_b32 s29, vcc_lo, exec_lo
	s_delay_alu instid0(SALU_CYCLE_1)
	s_or_b32 s29, s2, s29
.LBB1667_284:                           ;   in Loop: Header=BB1667_285 Depth=1
	v_dual_mov_b32 v22, s7 :: v_dual_mov_b32 v21, s6
	s_and_b32 s2, exec_lo, s29
	s_delay_alu instid0(SALU_CYCLE_1) | instskip(NEXT) | instid1(SALU_CYCLE_1)
	s_or_b32 s28, s2, s28
	s_and_not1_b32 exec_lo, exec_lo, s28
	s_cbranch_execz .LBB1667_287
.LBB1667_285:                           ; =>This Inner Loop Header: Depth=1
	s_or_b32 s29, s29, exec_lo
	s_cmp_eq_u64 s[4:5], s[6:7]
	s_cbranch_scc0 .LBB1667_283
; %bb.286:                              ;   in Loop: Header=BB1667_285 Depth=1
	s_mov_b64 s[6:7], s[22:23]
                                        ; implicit-def: $vgpr17_vgpr18
                                        ; implicit-def: $vgpr19_vgpr20
	s_branch .LBB1667_284
.LBB1667_287:
	s_set_inst_prefetch_distance 0x2
	s_or_b32 exec_lo, exec_lo, s28
	v_cmp_gt_i64_e32 vcc_lo, s[22:23], v[21:22]
	s_or_not1_b32 s2, vcc_lo, exec_lo
.LBB1667_288:
	s_or_b32 exec_lo, exec_lo, s19
.LBB1667_289:
	s_delay_alu instid0(SALU_CYCLE_1)
	s_and_b32 s19, s2, exec_lo
.LBB1667_290:
	s_or_b32 exec_lo, exec_lo, s27
	v_or_b32_e32 v17, 5, v39
	s_mov_b32 s27, 0
	s_mov_b32 s28, 0
	s_mov_b32 s29, exec_lo
	s_delay_alu instid0(VALU_DEP_1)
	v_cmpx_gt_u32_e64 s20, v17
	s_cbranch_execz .LBB1667_301
; %bb.291:
	s_and_not1_b32 vcc_lo, exec_lo, s3
	s_mov_b32 s2, 0
	s_cbranch_vccnz .LBB1667_300
; %bb.292:
	v_mul_lo_u32 v21, v6, s22
	v_mul_lo_u32 v22, v5, s23
	v_mad_u64_u32 v[17:18], null, v5, s22, 0
	v_mul_lo_u32 v23, v8, s22
	v_mul_lo_u32 v24, v7, s23
	v_mad_u64_u32 v[19:20], null, v7, s22, 0
	s_mov_b32 s2, -1
	s_mov_b32 s28, exec_lo
	s_delay_alu instid0(VALU_DEP_4) | instskip(NEXT) | instid1(VALU_DEP_2)
	v_add3_u32 v18, v18, v22, v21
	v_add3_u32 v20, v20, v24, v23
	s_delay_alu instid0(VALU_DEP_2) | instskip(NEXT) | instid1(VALU_DEP_2)
	v_lshlrev_b64 v[17:18], 3, v[17:18]
	v_lshlrev_b64 v[21:22], 3, v[19:20]
	s_delay_alu instid0(VALU_DEP_2) | instskip(NEXT) | instid1(VALU_DEP_3)
	v_add_co_u32 v19, vcc_lo, s8, v17
	v_add_co_ci_u32_e32 v20, vcc_lo, s9, v18, vcc_lo
	s_delay_alu instid0(VALU_DEP_3) | instskip(NEXT) | instid1(VALU_DEP_4)
	v_add_co_u32 v17, vcc_lo, s8, v21
	v_add_co_ci_u32_e32 v18, vcc_lo, s9, v22, vcc_lo
	s_clause 0x1
	global_load_b64 v[21:22], v[19:20], off
	global_load_b64 v[23:24], v[17:18], off
	s_waitcnt vmcnt(0)
	v_cmpx_eq_u64_e64 v[21:22], v[23:24]
	s_cbranch_execz .LBB1667_299
; %bb.293:
	v_add_co_u32 v17, vcc_lo, v17, 8
	v_add_co_ci_u32_e32 v18, vcc_lo, 0, v18, vcc_lo
	v_add_co_u32 v19, vcc_lo, v19, 8
	v_add_co_ci_u32_e32 v20, vcc_lo, 0, v20, vcc_lo
	s_add_u32 s4, s22, -1
	s_addc_u32 s5, s23, -1
	s_mov_b64 s[6:7], 0
	s_mov_b32 s30, 0
                                        ; implicit-def: $sgpr31
	s_set_inst_prefetch_distance 0x1
	s_branch .LBB1667_296
	.p2align	6
.LBB1667_294:                           ;   in Loop: Header=BB1667_296 Depth=1
	global_load_b64 v[21:22], v[19:20], off
	global_load_b64 v[23:24], v[17:18], off
	v_add_co_u32 v17, vcc_lo, v17, 8
	v_add_co_ci_u32_e32 v18, vcc_lo, 0, v18, vcc_lo
	v_add_co_u32 v19, s2, v19, 8
	s_delay_alu instid0(VALU_DEP_1)
	v_add_co_ci_u32_e64 v20, s2, 0, v20, s2
	s_add_u32 s6, s6, 1
	s_addc_u32 s7, s7, 0
	s_and_not1_b32 s2, s31, exec_lo
	s_waitcnt vmcnt(0)
	v_cmp_ne_u64_e32 vcc_lo, v[21:22], v[23:24]
	s_and_b32 s31, vcc_lo, exec_lo
	s_delay_alu instid0(SALU_CYCLE_1)
	s_or_b32 s31, s2, s31
.LBB1667_295:                           ;   in Loop: Header=BB1667_296 Depth=1
	v_dual_mov_b32 v22, s7 :: v_dual_mov_b32 v21, s6
	s_and_b32 s2, exec_lo, s31
	s_delay_alu instid0(SALU_CYCLE_1) | instskip(NEXT) | instid1(SALU_CYCLE_1)
	s_or_b32 s30, s2, s30
	s_and_not1_b32 exec_lo, exec_lo, s30
	s_cbranch_execz .LBB1667_298
.LBB1667_296:                           ; =>This Inner Loop Header: Depth=1
	s_or_b32 s31, s31, exec_lo
	s_cmp_eq_u64 s[4:5], s[6:7]
	s_cbranch_scc0 .LBB1667_294
; %bb.297:                              ;   in Loop: Header=BB1667_296 Depth=1
	s_mov_b64 s[6:7], s[22:23]
                                        ; implicit-def: $vgpr17_vgpr18
                                        ; implicit-def: $vgpr19_vgpr20
	s_branch .LBB1667_295
.LBB1667_298:
	s_set_inst_prefetch_distance 0x2
	s_or_b32 exec_lo, exec_lo, s30
	v_cmp_gt_i64_e32 vcc_lo, s[22:23], v[21:22]
	s_or_not1_b32 s2, vcc_lo, exec_lo
.LBB1667_299:
	s_or_b32 exec_lo, exec_lo, s28
.LBB1667_300:
	s_delay_alu instid0(SALU_CYCLE_1)
	s_and_b32 s28, s2, exec_lo
.LBB1667_301:
	s_or_b32 exec_lo, exec_lo, s29
	v_or_b32_e32 v17, 4, v39
	s_mov_b32 s29, exec_lo
	s_delay_alu instid0(VALU_DEP_1)
	v_cmpx_gt_u32_e64 s20, v17
	s_cbranch_execz .LBB1667_312
; %bb.302:
	s_and_not1_b32 vcc_lo, exec_lo, s3
	s_mov_b32 s2, 0
	s_cbranch_vccnz .LBB1667_311
; %bb.303:
	v_mul_lo_u32 v21, v12, s22
	v_mul_lo_u32 v22, v11, s23
	v_mad_u64_u32 v[17:18], null, v11, s22, 0
	v_mul_lo_u32 v23, v6, s22
	v_mul_lo_u32 v24, v5, s23
	v_mad_u64_u32 v[19:20], null, v5, s22, 0
	s_mov_b32 s2, -1
	s_mov_b32 s27, exec_lo
	s_delay_alu instid0(VALU_DEP_4) | instskip(NEXT) | instid1(VALU_DEP_2)
	v_add3_u32 v18, v18, v22, v21
	v_add3_u32 v20, v20, v24, v23
	s_delay_alu instid0(VALU_DEP_2) | instskip(NEXT) | instid1(VALU_DEP_2)
	v_lshlrev_b64 v[17:18], 3, v[17:18]
	v_lshlrev_b64 v[21:22], 3, v[19:20]
	s_delay_alu instid0(VALU_DEP_2) | instskip(NEXT) | instid1(VALU_DEP_3)
	v_add_co_u32 v19, vcc_lo, s8, v17
	v_add_co_ci_u32_e32 v20, vcc_lo, s9, v18, vcc_lo
	s_delay_alu instid0(VALU_DEP_3) | instskip(NEXT) | instid1(VALU_DEP_4)
	v_add_co_u32 v17, vcc_lo, s8, v21
	v_add_co_ci_u32_e32 v18, vcc_lo, s9, v22, vcc_lo
	s_clause 0x1
	global_load_b64 v[21:22], v[19:20], off
	global_load_b64 v[23:24], v[17:18], off
	s_waitcnt vmcnt(0)
	v_cmpx_eq_u64_e64 v[21:22], v[23:24]
	s_cbranch_execz .LBB1667_310
; %bb.304:
	v_add_co_u32 v17, vcc_lo, v17, 8
	v_add_co_ci_u32_e32 v18, vcc_lo, 0, v18, vcc_lo
	v_add_co_u32 v19, vcc_lo, v19, 8
	v_add_co_ci_u32_e32 v20, vcc_lo, 0, v20, vcc_lo
	s_add_u32 s4, s22, -1
	s_addc_u32 s5, s23, -1
	s_mov_b64 s[6:7], 0
	s_mov_b32 s30, 0
                                        ; implicit-def: $sgpr31
	s_set_inst_prefetch_distance 0x1
	s_branch .LBB1667_307
	.p2align	6
.LBB1667_305:                           ;   in Loop: Header=BB1667_307 Depth=1
	global_load_b64 v[21:22], v[19:20], off
	global_load_b64 v[23:24], v[17:18], off
	v_add_co_u32 v17, vcc_lo, v17, 8
	v_add_co_ci_u32_e32 v18, vcc_lo, 0, v18, vcc_lo
	v_add_co_u32 v19, s2, v19, 8
	s_delay_alu instid0(VALU_DEP_1)
	v_add_co_ci_u32_e64 v20, s2, 0, v20, s2
	s_add_u32 s6, s6, 1
	s_addc_u32 s7, s7, 0
	s_and_not1_b32 s2, s31, exec_lo
	s_waitcnt vmcnt(0)
	v_cmp_ne_u64_e32 vcc_lo, v[21:22], v[23:24]
	s_and_b32 s31, vcc_lo, exec_lo
	s_delay_alu instid0(SALU_CYCLE_1)
	s_or_b32 s31, s2, s31
.LBB1667_306:                           ;   in Loop: Header=BB1667_307 Depth=1
	v_dual_mov_b32 v22, s7 :: v_dual_mov_b32 v21, s6
	s_and_b32 s2, exec_lo, s31
	s_delay_alu instid0(SALU_CYCLE_1) | instskip(NEXT) | instid1(SALU_CYCLE_1)
	s_or_b32 s30, s2, s30
	s_and_not1_b32 exec_lo, exec_lo, s30
	s_cbranch_execz .LBB1667_309
.LBB1667_307:                           ; =>This Inner Loop Header: Depth=1
	s_or_b32 s31, s31, exec_lo
	s_cmp_eq_u64 s[4:5], s[6:7]
	s_cbranch_scc0 .LBB1667_305
; %bb.308:                              ;   in Loop: Header=BB1667_307 Depth=1
	s_mov_b64 s[6:7], s[22:23]
                                        ; implicit-def: $vgpr17_vgpr18
                                        ; implicit-def: $vgpr19_vgpr20
	s_branch .LBB1667_306
.LBB1667_309:
	s_set_inst_prefetch_distance 0x2
	s_or_b32 exec_lo, exec_lo, s30
	v_cmp_gt_i64_e32 vcc_lo, s[22:23], v[21:22]
	s_or_not1_b32 s2, vcc_lo, exec_lo
.LBB1667_310:
	s_or_b32 exec_lo, exec_lo, s27
.LBB1667_311:
	s_delay_alu instid0(SALU_CYCLE_1)
	s_and_b32 s27, s2, exec_lo
.LBB1667_312:
	s_or_b32 exec_lo, exec_lo, s29
	v_or_b32_e32 v17, 3, v39
	s_mov_b32 s30, 0
	s_mov_b32 s29, 0
	s_mov_b32 s31, exec_lo
	s_delay_alu instid0(VALU_DEP_1)
	v_cmpx_gt_u32_e64 s20, v17
	s_cbranch_execz .LBB1667_323
; %bb.313:
	s_and_not1_b32 vcc_lo, exec_lo, s3
	s_mov_b32 s2, 0
	s_cbranch_vccnz .LBB1667_322
; %bb.314:
	v_mul_lo_u32 v21, v10, s22
	v_mul_lo_u32 v22, v9, s23
	v_mad_u64_u32 v[17:18], null, v9, s22, 0
	v_mul_lo_u32 v23, v12, s22
	v_mul_lo_u32 v24, v11, s23
	v_mad_u64_u32 v[19:20], null, v11, s22, 0
	s_mov_b32 s2, -1
	s_mov_b32 s29, exec_lo
	s_delay_alu instid0(VALU_DEP_4) | instskip(NEXT) | instid1(VALU_DEP_2)
	v_add3_u32 v18, v18, v22, v21
	v_add3_u32 v20, v20, v24, v23
	s_delay_alu instid0(VALU_DEP_2) | instskip(NEXT) | instid1(VALU_DEP_2)
	v_lshlrev_b64 v[17:18], 3, v[17:18]
	v_lshlrev_b64 v[21:22], 3, v[19:20]
	s_delay_alu instid0(VALU_DEP_2) | instskip(NEXT) | instid1(VALU_DEP_3)
	v_add_co_u32 v19, vcc_lo, s8, v17
	v_add_co_ci_u32_e32 v20, vcc_lo, s9, v18, vcc_lo
	s_delay_alu instid0(VALU_DEP_3) | instskip(NEXT) | instid1(VALU_DEP_4)
	v_add_co_u32 v17, vcc_lo, s8, v21
	v_add_co_ci_u32_e32 v18, vcc_lo, s9, v22, vcc_lo
	s_clause 0x1
	global_load_b64 v[21:22], v[19:20], off
	global_load_b64 v[23:24], v[17:18], off
	s_waitcnt vmcnt(0)
	v_cmpx_eq_u64_e64 v[21:22], v[23:24]
	s_cbranch_execz .LBB1667_321
; %bb.315:
	v_add_co_u32 v17, vcc_lo, v17, 8
	v_add_co_ci_u32_e32 v18, vcc_lo, 0, v18, vcc_lo
	v_add_co_u32 v19, vcc_lo, v19, 8
	v_add_co_ci_u32_e32 v20, vcc_lo, 0, v20, vcc_lo
	s_add_u32 s4, s22, -1
	s_addc_u32 s5, s23, -1
	s_mov_b64 s[6:7], 0
	s_mov_b32 s33, 0
                                        ; implicit-def: $sgpr34
	s_set_inst_prefetch_distance 0x1
	s_branch .LBB1667_318
	.p2align	6
.LBB1667_316:                           ;   in Loop: Header=BB1667_318 Depth=1
	global_load_b64 v[21:22], v[19:20], off
	global_load_b64 v[23:24], v[17:18], off
	v_add_co_u32 v17, vcc_lo, v17, 8
	v_add_co_ci_u32_e32 v18, vcc_lo, 0, v18, vcc_lo
	v_add_co_u32 v19, s2, v19, 8
	s_delay_alu instid0(VALU_DEP_1)
	v_add_co_ci_u32_e64 v20, s2, 0, v20, s2
	s_add_u32 s6, s6, 1
	s_addc_u32 s7, s7, 0
	s_and_not1_b32 s2, s34, exec_lo
	s_waitcnt vmcnt(0)
	v_cmp_ne_u64_e32 vcc_lo, v[21:22], v[23:24]
	s_and_b32 s34, vcc_lo, exec_lo
	s_delay_alu instid0(SALU_CYCLE_1)
	s_or_b32 s34, s2, s34
.LBB1667_317:                           ;   in Loop: Header=BB1667_318 Depth=1
	v_dual_mov_b32 v22, s7 :: v_dual_mov_b32 v21, s6
	s_and_b32 s2, exec_lo, s34
	s_delay_alu instid0(SALU_CYCLE_1) | instskip(NEXT) | instid1(SALU_CYCLE_1)
	s_or_b32 s33, s2, s33
	s_and_not1_b32 exec_lo, exec_lo, s33
	s_cbranch_execz .LBB1667_320
.LBB1667_318:                           ; =>This Inner Loop Header: Depth=1
	s_or_b32 s34, s34, exec_lo
	s_cmp_eq_u64 s[4:5], s[6:7]
	s_cbranch_scc0 .LBB1667_316
; %bb.319:                              ;   in Loop: Header=BB1667_318 Depth=1
	s_mov_b64 s[6:7], s[22:23]
                                        ; implicit-def: $vgpr17_vgpr18
                                        ; implicit-def: $vgpr19_vgpr20
	s_branch .LBB1667_317
.LBB1667_320:
	s_set_inst_prefetch_distance 0x2
	s_or_b32 exec_lo, exec_lo, s33
	v_cmp_gt_i64_e32 vcc_lo, s[22:23], v[21:22]
	s_or_not1_b32 s2, vcc_lo, exec_lo
.LBB1667_321:
	s_or_b32 exec_lo, exec_lo, s29
.LBB1667_322:
	s_delay_alu instid0(SALU_CYCLE_1)
	s_and_b32 s29, s2, exec_lo
.LBB1667_323:
	s_or_b32 exec_lo, exec_lo, s31
	v_or_b32_e32 v17, 2, v39
	s_mov_b32 s31, exec_lo
	s_delay_alu instid0(VALU_DEP_1)
	v_cmpx_gt_u32_e64 s20, v17
	s_cbranch_execz .LBB1667_334
; %bb.324:
	s_and_not1_b32 vcc_lo, exec_lo, s3
	s_mov_b32 s2, 0
	s_cbranch_vccnz .LBB1667_333
; %bb.325:
	v_mul_lo_u32 v21, v16, s22
	v_mul_lo_u32 v22, v15, s23
	v_mad_u64_u32 v[17:18], null, v15, s22, 0
	v_mul_lo_u32 v23, v10, s22
	v_mul_lo_u32 v24, v9, s23
	v_mad_u64_u32 v[19:20], null, v9, s22, 0
	s_mov_b32 s2, -1
	s_mov_b32 s30, exec_lo
	s_delay_alu instid0(VALU_DEP_4) | instskip(NEXT) | instid1(VALU_DEP_2)
	v_add3_u32 v18, v18, v22, v21
	v_add3_u32 v20, v20, v24, v23
	s_delay_alu instid0(VALU_DEP_2) | instskip(NEXT) | instid1(VALU_DEP_2)
	v_lshlrev_b64 v[17:18], 3, v[17:18]
	v_lshlrev_b64 v[21:22], 3, v[19:20]
	s_delay_alu instid0(VALU_DEP_2) | instskip(NEXT) | instid1(VALU_DEP_3)
	v_add_co_u32 v19, vcc_lo, s8, v17
	v_add_co_ci_u32_e32 v20, vcc_lo, s9, v18, vcc_lo
	s_delay_alu instid0(VALU_DEP_3) | instskip(NEXT) | instid1(VALU_DEP_4)
	v_add_co_u32 v17, vcc_lo, s8, v21
	v_add_co_ci_u32_e32 v18, vcc_lo, s9, v22, vcc_lo
	s_clause 0x1
	global_load_b64 v[21:22], v[19:20], off
	global_load_b64 v[23:24], v[17:18], off
	s_waitcnt vmcnt(0)
	v_cmpx_eq_u64_e64 v[21:22], v[23:24]
	s_cbranch_execz .LBB1667_332
; %bb.326:
	v_add_co_u32 v17, vcc_lo, v17, 8
	v_add_co_ci_u32_e32 v18, vcc_lo, 0, v18, vcc_lo
	v_add_co_u32 v19, vcc_lo, v19, 8
	v_add_co_ci_u32_e32 v20, vcc_lo, 0, v20, vcc_lo
	s_add_u32 s4, s22, -1
	s_addc_u32 s5, s23, -1
	s_mov_b64 s[6:7], 0
	s_mov_b32 s33, 0
                                        ; implicit-def: $sgpr34
	s_set_inst_prefetch_distance 0x1
	s_branch .LBB1667_329
	.p2align	6
.LBB1667_327:                           ;   in Loop: Header=BB1667_329 Depth=1
	global_load_b64 v[21:22], v[19:20], off
	global_load_b64 v[23:24], v[17:18], off
	v_add_co_u32 v17, vcc_lo, v17, 8
	v_add_co_ci_u32_e32 v18, vcc_lo, 0, v18, vcc_lo
	v_add_co_u32 v19, s2, v19, 8
	s_delay_alu instid0(VALU_DEP_1)
	v_add_co_ci_u32_e64 v20, s2, 0, v20, s2
	s_add_u32 s6, s6, 1
	s_addc_u32 s7, s7, 0
	s_and_not1_b32 s2, s34, exec_lo
	s_waitcnt vmcnt(0)
	v_cmp_ne_u64_e32 vcc_lo, v[21:22], v[23:24]
	s_and_b32 s34, vcc_lo, exec_lo
	s_delay_alu instid0(SALU_CYCLE_1)
	s_or_b32 s34, s2, s34
.LBB1667_328:                           ;   in Loop: Header=BB1667_329 Depth=1
	v_dual_mov_b32 v22, s7 :: v_dual_mov_b32 v21, s6
	s_and_b32 s2, exec_lo, s34
	s_delay_alu instid0(SALU_CYCLE_1) | instskip(NEXT) | instid1(SALU_CYCLE_1)
	s_or_b32 s33, s2, s33
	s_and_not1_b32 exec_lo, exec_lo, s33
	s_cbranch_execz .LBB1667_331
.LBB1667_329:                           ; =>This Inner Loop Header: Depth=1
	s_or_b32 s34, s34, exec_lo
	s_cmp_eq_u64 s[4:5], s[6:7]
	s_cbranch_scc0 .LBB1667_327
; %bb.330:                              ;   in Loop: Header=BB1667_329 Depth=1
	s_mov_b64 s[6:7], s[22:23]
                                        ; implicit-def: $vgpr17_vgpr18
                                        ; implicit-def: $vgpr19_vgpr20
	s_branch .LBB1667_328
.LBB1667_331:
	s_set_inst_prefetch_distance 0x2
	s_or_b32 exec_lo, exec_lo, s33
	v_cmp_gt_i64_e32 vcc_lo, s[22:23], v[21:22]
	s_or_not1_b32 s2, vcc_lo, exec_lo
.LBB1667_332:
	s_or_b32 exec_lo, exec_lo, s30
.LBB1667_333:
	s_delay_alu instid0(SALU_CYCLE_1)
	s_and_b32 s30, s2, exec_lo
.LBB1667_334:
	s_or_b32 exec_lo, exec_lo, s31
	v_or_b32_e32 v17, 1, v39
	s_mov_b32 s2, 0
	s_mov_b32 s31, exec_lo
	s_delay_alu instid0(VALU_DEP_1)
	v_cmpx_gt_u32_e64 s20, v17
	s_cbranch_execz .LBB1667_345
; %bb.335:
	s_and_not1_b32 vcc_lo, exec_lo, s3
	s_cbranch_vccnz .LBB1667_344
; %bb.336:
	v_mul_lo_u32 v21, v14, s22
	v_mul_lo_u32 v22, v13, s23
	v_mad_u64_u32 v[17:18], null, v13, s22, 0
	v_mul_lo_u32 v23, v16, s22
	v_mul_lo_u32 v24, v15, s23
	v_mad_u64_u32 v[19:20], null, v15, s22, 0
	s_mov_b32 s2, -1
	s_mov_b32 s33, exec_lo
	s_delay_alu instid0(VALU_DEP_4) | instskip(NEXT) | instid1(VALU_DEP_2)
	v_add3_u32 v18, v18, v22, v21
	v_add3_u32 v20, v20, v24, v23
	s_delay_alu instid0(VALU_DEP_2) | instskip(NEXT) | instid1(VALU_DEP_2)
	v_lshlrev_b64 v[17:18], 3, v[17:18]
	v_lshlrev_b64 v[21:22], 3, v[19:20]
	s_delay_alu instid0(VALU_DEP_2) | instskip(NEXT) | instid1(VALU_DEP_3)
	v_add_co_u32 v19, vcc_lo, s8, v17
	v_add_co_ci_u32_e32 v20, vcc_lo, s9, v18, vcc_lo
	s_delay_alu instid0(VALU_DEP_3) | instskip(NEXT) | instid1(VALU_DEP_4)
	v_add_co_u32 v17, vcc_lo, s8, v21
	v_add_co_ci_u32_e32 v18, vcc_lo, s9, v22, vcc_lo
	s_clause 0x1
	global_load_b64 v[21:22], v[19:20], off
	global_load_b64 v[23:24], v[17:18], off
	s_waitcnt vmcnt(0)
	v_cmpx_eq_u64_e64 v[21:22], v[23:24]
	s_cbranch_execz .LBB1667_343
; %bb.337:
	v_add_co_u32 v17, vcc_lo, v17, 8
	v_add_co_ci_u32_e32 v18, vcc_lo, 0, v18, vcc_lo
	v_add_co_u32 v19, vcc_lo, v19, 8
	v_add_co_ci_u32_e32 v20, vcc_lo, 0, v20, vcc_lo
	s_add_u32 s4, s22, -1
	s_addc_u32 s5, s23, -1
	s_mov_b64 s[6:7], 0
	s_mov_b32 s34, 0
                                        ; implicit-def: $sgpr35
	s_set_inst_prefetch_distance 0x1
	s_branch .LBB1667_340
	.p2align	6
.LBB1667_338:                           ;   in Loop: Header=BB1667_340 Depth=1
	global_load_b64 v[21:22], v[19:20], off
	global_load_b64 v[23:24], v[17:18], off
	v_add_co_u32 v17, vcc_lo, v17, 8
	v_add_co_ci_u32_e32 v18, vcc_lo, 0, v18, vcc_lo
	v_add_co_u32 v19, s2, v19, 8
	s_delay_alu instid0(VALU_DEP_1)
	v_add_co_ci_u32_e64 v20, s2, 0, v20, s2
	s_add_u32 s6, s6, 1
	s_addc_u32 s7, s7, 0
	s_and_not1_b32 s2, s35, exec_lo
	s_waitcnt vmcnt(0)
	v_cmp_ne_u64_e32 vcc_lo, v[21:22], v[23:24]
	s_and_b32 s35, vcc_lo, exec_lo
	s_delay_alu instid0(SALU_CYCLE_1)
	s_or_b32 s35, s2, s35
.LBB1667_339:                           ;   in Loop: Header=BB1667_340 Depth=1
	v_dual_mov_b32 v22, s7 :: v_dual_mov_b32 v21, s6
	s_and_b32 s2, exec_lo, s35
	s_delay_alu instid0(SALU_CYCLE_1) | instskip(NEXT) | instid1(SALU_CYCLE_1)
	s_or_b32 s34, s2, s34
	s_and_not1_b32 exec_lo, exec_lo, s34
	s_cbranch_execz .LBB1667_342
.LBB1667_340:                           ; =>This Inner Loop Header: Depth=1
	s_or_b32 s35, s35, exec_lo
	s_cmp_eq_u64 s[4:5], s[6:7]
	s_cbranch_scc0 .LBB1667_338
; %bb.341:                              ;   in Loop: Header=BB1667_340 Depth=1
	s_mov_b64 s[6:7], s[22:23]
                                        ; implicit-def: $vgpr17_vgpr18
                                        ; implicit-def: $vgpr19_vgpr20
	s_branch .LBB1667_339
.LBB1667_342:
	s_set_inst_prefetch_distance 0x2
	s_or_b32 exec_lo, exec_lo, s34
	v_cmp_gt_i64_e32 vcc_lo, s[22:23], v[21:22]
	s_or_not1_b32 s2, vcc_lo, exec_lo
.LBB1667_343:
	s_or_b32 exec_lo, exec_lo, s33
.LBB1667_344:
	s_delay_alu instid0(SALU_CYCLE_1)
	s_and_b32 s2, s2, exec_lo
.LBB1667_345:
	s_or_b32 exec_lo, exec_lo, s31
	v_cndmask_b32_e64 v18, 0, 1, s29
	v_cndmask_b32_e64 v19, 0, 1, s28
	;; [unrolled: 1-line block ×7, first 2 shown]
	v_lshlrev_b16 v19, 8, v19
	v_lshlrev_b16 v20, 8, v20
	;; [unrolled: 1-line block ×4, first 2 shown]
	s_mov_b32 s19, exec_lo
	v_or_b32_e32 v19, v22, v19
	v_or_b32_e32 v20, v23, v20
	;; [unrolled: 1-line block ×4, first 2 shown]
	s_delay_alu instid0(VALU_DEP_4) | instskip(NEXT) | instid1(VALU_DEP_4)
	v_and_b32_e32 v18, 0xffff, v19
	v_lshlrev_b32_e32 v19, 16, v20
	s_delay_alu instid0(VALU_DEP_4) | instskip(NEXT) | instid1(VALU_DEP_4)
	v_and_b32_e32 v20, 0xffff, v21
	v_lshlrev_b32_e32 v17, 16, v17
	s_barrier
	buffer_gl0_inv
	v_or_b32_e32 v18, v18, v19
                                        ; implicit-def: $sgpr2
	v_or_b32_e32 v17, v20, v17
	v_cmpx_ne_u32_e32 0, v0
	s_cbranch_execz .LBB1667_358
; %bb.346:
	s_mov_b32 s2, 0
	s_mov_b32 s26, exec_lo
	v_cmpx_gt_u32_e64 s20, v39
	s_cbranch_execz .LBB1667_357
; %bb.347:
	s_and_not1_b32 vcc_lo, exec_lo, s3
	s_cbranch_vccnz .LBB1667_356
; %bb.348:
	v_add_nc_u32_e32 v19, -8, v39
	v_mul_lo_u32 v26, v13, s23
	v_mad_u64_u32 v[22:23], null, v13, s22, 0
	s_mov_b32 s2, -1
	ds_load_b64 v[19:20], v19
	s_mov_b32 s3, exec_lo
	s_waitcnt lgkmcnt(0)
	v_mul_lo_u32 v24, v20, s22
	v_mul_lo_u32 v25, v19, s23
	v_mad_u64_u32 v[20:21], null, v19, s22, 0
	v_mul_lo_u32 v19, v14, s22
	s_delay_alu instid0(VALU_DEP_2) | instskip(NEXT) | instid1(VALU_DEP_2)
	v_add3_u32 v21, v21, v25, v24
	v_add3_u32 v23, v23, v26, v19
	s_delay_alu instid0(VALU_DEP_2) | instskip(NEXT) | instid1(VALU_DEP_2)
	v_lshlrev_b64 v[19:20], 3, v[20:21]
	v_lshlrev_b64 v[23:24], 3, v[22:23]
	s_delay_alu instid0(VALU_DEP_2) | instskip(NEXT) | instid1(VALU_DEP_3)
	v_add_co_u32 v21, vcc_lo, s8, v19
	v_add_co_ci_u32_e32 v22, vcc_lo, s9, v20, vcc_lo
	s_delay_alu instid0(VALU_DEP_3) | instskip(NEXT) | instid1(VALU_DEP_4)
	v_add_co_u32 v19, vcc_lo, s8, v23
	v_add_co_ci_u32_e32 v20, vcc_lo, s9, v24, vcc_lo
	s_clause 0x1
	global_load_b64 v[23:24], v[21:22], off
	global_load_b64 v[25:26], v[19:20], off
	s_waitcnt vmcnt(0)
	v_cmpx_eq_u64_e64 v[23:24], v[25:26]
	s_cbranch_execz .LBB1667_355
; %bb.349:
	v_add_co_u32 v19, vcc_lo, v19, 8
	v_add_co_ci_u32_e32 v20, vcc_lo, 0, v20, vcc_lo
	v_add_co_u32 v21, vcc_lo, v21, 8
	v_add_co_ci_u32_e32 v22, vcc_lo, 0, v22, vcc_lo
	s_add_u32 s4, s22, -1
	s_addc_u32 s5, s23, -1
	s_mov_b64 s[6:7], 0
	s_mov_b32 s8, 0
                                        ; implicit-def: $sgpr9
	s_set_inst_prefetch_distance 0x1
	s_branch .LBB1667_352
	.p2align	6
.LBB1667_350:                           ;   in Loop: Header=BB1667_352 Depth=1
	global_load_b64 v[23:24], v[21:22], off
	global_load_b64 v[25:26], v[19:20], off
	v_add_co_u32 v19, vcc_lo, v19, 8
	v_add_co_ci_u32_e32 v20, vcc_lo, 0, v20, vcc_lo
	v_add_co_u32 v21, s2, v21, 8
	s_delay_alu instid0(VALU_DEP_1)
	v_add_co_ci_u32_e64 v22, s2, 0, v22, s2
	s_add_u32 s6, s6, 1
	s_addc_u32 s7, s7, 0
	s_and_not1_b32 s2, s9, exec_lo
	s_waitcnt vmcnt(0)
	v_cmp_ne_u64_e32 vcc_lo, v[23:24], v[25:26]
	s_and_b32 s9, vcc_lo, exec_lo
	s_delay_alu instid0(SALU_CYCLE_1)
	s_or_b32 s9, s2, s9
.LBB1667_351:                           ;   in Loop: Header=BB1667_352 Depth=1
	v_dual_mov_b32 v24, s7 :: v_dual_mov_b32 v23, s6
	s_and_b32 s2, exec_lo, s9
	s_delay_alu instid0(SALU_CYCLE_1) | instskip(NEXT) | instid1(SALU_CYCLE_1)
	s_or_b32 s8, s2, s8
	s_and_not1_b32 exec_lo, exec_lo, s8
	s_cbranch_execz .LBB1667_354
.LBB1667_352:                           ; =>This Inner Loop Header: Depth=1
	s_or_b32 s9, s9, exec_lo
	s_cmp_eq_u64 s[4:5], s[6:7]
	s_cbranch_scc0 .LBB1667_350
; %bb.353:                              ;   in Loop: Header=BB1667_352 Depth=1
	s_mov_b64 s[6:7], s[22:23]
                                        ; implicit-def: $vgpr19_vgpr20
                                        ; implicit-def: $vgpr21_vgpr22
	s_branch .LBB1667_351
.LBB1667_354:
	s_set_inst_prefetch_distance 0x2
	s_or_b32 exec_lo, exec_lo, s8
	v_cmp_gt_i64_e32 vcc_lo, s[22:23], v[23:24]
	s_or_not1_b32 s2, vcc_lo, exec_lo
.LBB1667_355:
	s_or_b32 exec_lo, exec_lo, s3
.LBB1667_356:
	s_delay_alu instid0(SALU_CYCLE_1)
	s_and_b32 s2, s2, exec_lo
.LBB1667_357:
	s_or_b32 exec_lo, exec_lo, s26
	s_delay_alu instid0(SALU_CYCLE_1)
	s_and_b32 s2, s2, exec_lo
	s_or_b32 s18, s18, exec_lo
.LBB1667_358:
	s_or_b32 exec_lo, exec_lo, s19
.LBB1667_359:
	s_and_saveexec_b32 s3, s18
	s_cbranch_execz .LBB1667_361
; %bb.360:
	s_waitcnt lgkmcnt(0)
	v_and_b32_e32 v19, 0xffffff00, v17
	v_cndmask_b32_e64 v20, 0, 1, s2
	s_delay_alu instid0(VALU_DEP_1) | instskip(NEXT) | instid1(VALU_DEP_1)
	v_or_b32_e32 v19, v20, v19
	v_and_b32_e32 v19, 0xffff, v19
	s_delay_alu instid0(VALU_DEP_1)
	v_and_or_b32 v17, 0xffff0000, v17, v19
.LBB1667_361:
	s_or_b32 exec_lo, exec_lo, s3
	s_delay_alu instid0(SALU_CYCLE_1)
	s_and_not1_b32 vcc_lo, exec_lo, s24
	s_cbranch_vccnz .LBB1667_363
; %bb.362:
	v_cmp_gt_u32_e32 vcc_lo, s20, v39
	s_waitcnt lgkmcnt(0)
	v_or_b32_e32 v20, 1, v39
	v_and_b32_e32 v21, 0xffffff00, v18
	v_or_b32_e32 v22, 2, v39
	v_cndmask_b32_e32 v19, 0, v17, vcc_lo
	s_delay_alu instid0(VALU_DEP_4) | instskip(SKIP_1) | instid1(VALU_DEP_4)
	v_cmp_gt_u32_e32 vcc_lo, s20, v20
	v_or_b32_e32 v20, 4, v39
	v_cmp_gt_u32_e64 s2, s20, v22
	v_or_b32_e32 v22, 3, v39
	v_and_b32_e32 v19, 0xff, v19
	s_delay_alu instid0(VALU_DEP_2) | instskip(NEXT) | instid1(VALU_DEP_2)
	v_cmp_gt_u32_e64 s3, s20, v22
	v_cndmask_b32_e32 v19, v19, v17, vcc_lo
	v_cmp_gt_u32_e32 vcc_lo, s20, v20
	v_cndmask_b32_e32 v20, v21, v18, vcc_lo
	v_or_b32_e32 v21, 5, v39
	s_delay_alu instid0(VALU_DEP_2) | instskip(SKIP_1) | instid1(VALU_DEP_1)
	v_and_b32_e32 v20, 0xffff00ff, v20
	v_and_b32_e32 v19, 0xffff, v19
	v_cndmask_b32_e64 v19, v19, v17, s2
	s_delay_alu instid0(VALU_DEP_4) | instskip(SKIP_1) | instid1(VALU_DEP_3)
	v_cmp_gt_u32_e64 s2, s20, v21
	v_or_b32_e32 v21, 6, v39
	v_and_b32_e32 v19, 0xffffff, v19
	s_delay_alu instid0(VALU_DEP_3) | instskip(NEXT) | instid1(VALU_DEP_2)
	v_cndmask_b32_e64 v20, v20, v18, s2
	v_cndmask_b32_e64 v19, v19, v17, s3
	s_delay_alu instid0(VALU_DEP_1) | instskip(SKIP_2) | instid1(VALU_DEP_3)
	v_dual_cndmask_b32 v19, v19, v17 :: v_dual_and_b32 v20, 0xff00ffff, v20
	v_cmp_gt_u32_e32 vcc_lo, s20, v21
	v_or_b32_e32 v21, 7, v39
	v_cndmask_b32_e64 v19, v19, v17, s2
	s_delay_alu instid0(VALU_DEP_1) | instskip(NEXT) | instid1(VALU_DEP_1)
	v_dual_cndmask_b32 v20, v20, v18 :: v_dual_cndmask_b32 v19, v19, v17
	v_and_b32_e32 v20, 0xffffff, v20
	s_delay_alu instid0(VALU_DEP_4) | instskip(NEXT) | instid1(VALU_DEP_2)
	v_cmp_gt_u32_e32 vcc_lo, s20, v21
	v_dual_cndmask_b32 v18, v20, v18 :: v_dual_cndmask_b32 v17, v19, v17
.LBB1667_363:
	s_delay_alu instid0(VALU_DEP_1) | instskip(SKIP_1) | instid1(VALU_DEP_2)
	v_and_b32_e32 v26, 0xff, v17
	s_waitcnt lgkmcnt(0)
	v_alignbit_b32 v19, v18, v17, 24
	v_bfe_u32 v28, v17, 8, 8
	v_bfe_u32 v30, v17, 16, 8
	v_and_b32_e32 v34, 0xff, v18
	v_bfe_u32 v36, v18, 8, 8
	v_and_b32_e32 v32, 0xff, v19
	v_add_nc_u32_e32 v19, v28, v26
	v_mbcnt_lo_u32_b32 v41, -1, 0
	v_bfe_u32 v38, v18, 16, 8
	v_lshrrev_b32_e32 v40, 24, v18
	v_lshrrev_b32_e32 v42, 5, v0
	v_add3_u32 v19, v19, v30, v32
	v_and_b32_e32 v20, 15, v41
	v_and_b32_e32 v21, 16, v41
	s_and_b32 vcc_lo, exec_lo, s25
	s_mov_b32 s18, -1
	v_add3_u32 v19, v19, v34, v36
	v_cmp_eq_u32_e64 s4, 0, v20
	v_cmp_lt_u32_e64 s2, 1, v20
	v_cmp_lt_u32_e64 s5, 3, v20
	;; [unrolled: 1-line block ×3, first 2 shown]
	v_add3_u32 v43, v19, v38, v40
	v_or_b32_e32 v19, 31, v0
	v_cmp_eq_u32_e64 s7, 0, v21
	s_barrier
	buffer_gl0_inv
	v_cmp_eq_u32_e64 s6, v19, v0
	s_cbranch_vccz .LBB1667_389
; %bb.364:
	v_mov_b32_dpp v19, v43 row_shr:1 row_mask:0xf bank_mask:0xf
	s_delay_alu instid0(VALU_DEP_1) | instskip(NEXT) | instid1(VALU_DEP_1)
	v_cndmask_b32_e64 v19, v19, 0, s4
	v_add_nc_u32_e32 v19, v19, v43
	s_delay_alu instid0(VALU_DEP_1) | instskip(NEXT) | instid1(VALU_DEP_1)
	v_mov_b32_dpp v20, v19 row_shr:2 row_mask:0xf bank_mask:0xf
	v_cndmask_b32_e64 v20, 0, v20, s2
	s_delay_alu instid0(VALU_DEP_1) | instskip(NEXT) | instid1(VALU_DEP_1)
	v_add_nc_u32_e32 v19, v19, v20
	v_mov_b32_dpp v20, v19 row_shr:4 row_mask:0xf bank_mask:0xf
	s_delay_alu instid0(VALU_DEP_1) | instskip(NEXT) | instid1(VALU_DEP_1)
	v_cndmask_b32_e64 v20, 0, v20, s5
	v_add_nc_u32_e32 v19, v19, v20
	s_delay_alu instid0(VALU_DEP_1) | instskip(NEXT) | instid1(VALU_DEP_1)
	v_mov_b32_dpp v20, v19 row_shr:8 row_mask:0xf bank_mask:0xf
	v_cndmask_b32_e64 v20, 0, v20, s3
	s_delay_alu instid0(VALU_DEP_1) | instskip(SKIP_3) | instid1(VALU_DEP_1)
	v_add_nc_u32_e32 v19, v19, v20
	ds_swizzle_b32 v20, v19 offset:swizzle(BROADCAST,32,15)
	s_waitcnt lgkmcnt(0)
	v_cndmask_b32_e64 v20, v20, 0, s7
	v_add_nc_u32_e32 v19, v19, v20
	s_and_saveexec_b32 s8, s6
	s_cbranch_execz .LBB1667_366
; %bb.365:
	v_lshlrev_b32_e32 v20, 2, v42
	ds_store_b32 v20, v19
.LBB1667_366:
	s_or_b32 exec_lo, exec_lo, s8
	s_delay_alu instid0(SALU_CYCLE_1)
	s_mov_b32 s8, exec_lo
	s_waitcnt lgkmcnt(0)
	s_barrier
	buffer_gl0_inv
	v_cmpx_gt_u32_e32 16, v0
	s_cbranch_execz .LBB1667_368
; %bb.367:
	v_lshlrev_b32_e32 v20, 2, v0
	ds_load_b32 v21, v20
	s_waitcnt lgkmcnt(0)
	v_mov_b32_dpp v22, v21 row_shr:1 row_mask:0xf bank_mask:0xf
	s_delay_alu instid0(VALU_DEP_1) | instskip(NEXT) | instid1(VALU_DEP_1)
	v_cndmask_b32_e64 v22, v22, 0, s4
	v_add_nc_u32_e32 v21, v22, v21
	s_delay_alu instid0(VALU_DEP_1) | instskip(NEXT) | instid1(VALU_DEP_1)
	v_mov_b32_dpp v22, v21 row_shr:2 row_mask:0xf bank_mask:0xf
	v_cndmask_b32_e64 v22, 0, v22, s2
	s_delay_alu instid0(VALU_DEP_1) | instskip(NEXT) | instid1(VALU_DEP_1)
	v_add_nc_u32_e32 v21, v21, v22
	v_mov_b32_dpp v22, v21 row_shr:4 row_mask:0xf bank_mask:0xf
	s_delay_alu instid0(VALU_DEP_1) | instskip(NEXT) | instid1(VALU_DEP_1)
	v_cndmask_b32_e64 v22, 0, v22, s5
	v_add_nc_u32_e32 v21, v21, v22
	s_delay_alu instid0(VALU_DEP_1) | instskip(NEXT) | instid1(VALU_DEP_1)
	v_mov_b32_dpp v22, v21 row_shr:8 row_mask:0xf bank_mask:0xf
	v_cndmask_b32_e64 v22, 0, v22, s3
	s_delay_alu instid0(VALU_DEP_1)
	v_add_nc_u32_e32 v21, v21, v22
	ds_store_b32 v20, v21
.LBB1667_368:
	s_or_b32 exec_lo, exec_lo, s8
	v_cmp_gt_u32_e32 vcc_lo, 32, v0
	s_mov_b32 s9, exec_lo
	s_waitcnt lgkmcnt(0)
	s_barrier
	buffer_gl0_inv
                                        ; implicit-def: $vgpr27
	v_cmpx_lt_u32_e32 31, v0
	s_cbranch_execz .LBB1667_370
; %bb.369:
	v_lshl_add_u32 v20, v42, 2, -4
	ds_load_b32 v27, v20
	s_waitcnt lgkmcnt(0)
	v_add_nc_u32_e32 v19, v27, v19
.LBB1667_370:
	s_or_b32 exec_lo, exec_lo, s9
	v_add_nc_u32_e32 v20, -1, v41
	s_delay_alu instid0(VALU_DEP_1) | instskip(NEXT) | instid1(VALU_DEP_1)
	v_cmp_gt_i32_e64 s8, 0, v20
	v_cndmask_b32_e64 v20, v20, v41, s8
	v_cmp_eq_u32_e64 s8, 0, v41
	s_delay_alu instid0(VALU_DEP_2)
	v_lshlrev_b32_e32 v20, 2, v20
	ds_bpermute_b32 v29, v20, v19
	s_and_saveexec_b32 s9, vcc_lo
	s_cbranch_execz .LBB1667_388
; %bb.371:
	v_mov_b32_e32 v22, 0
	ds_load_b32 v19, v22 offset:60
	s_and_saveexec_b32 s18, s8
	s_cbranch_execz .LBB1667_373
; %bb.372:
	s_add_i32 s22, s15, 32
	s_mov_b32 s23, 0
	v_mov_b32_e32 v20, 1
	s_lshl_b64 s[22:23], s[22:23], 3
	s_delay_alu instid0(SALU_CYCLE_1)
	s_add_u32 s22, s10, s22
	s_addc_u32 s23, s11, s23
	s_waitcnt lgkmcnt(0)
	global_store_b64 v22, v[19:20], s[22:23]
.LBB1667_373:
	s_or_b32 exec_lo, exec_lo, s18
	v_xad_u32 v20, v41, -1, s15
	s_mov_b32 s19, 0
	s_mov_b32 s18, exec_lo
	s_delay_alu instid0(VALU_DEP_1) | instskip(NEXT) | instid1(VALU_DEP_1)
	v_add_nc_u32_e32 v21, 32, v20
	v_lshlrev_b64 v[21:22], 3, v[21:22]
	s_delay_alu instid0(VALU_DEP_1) | instskip(NEXT) | instid1(VALU_DEP_2)
	v_add_co_u32 v24, vcc_lo, s10, v21
	v_add_co_ci_u32_e32 v25, vcc_lo, s11, v22, vcc_lo
	global_load_b64 v[22:23], v[24:25], off glc
	s_waitcnt vmcnt(0)
	v_and_b32_e32 v21, 0xff, v23
	s_delay_alu instid0(VALU_DEP_1)
	v_cmpx_eq_u16_e32 0, v21
	s_cbranch_execz .LBB1667_376
.LBB1667_374:                           ; =>This Inner Loop Header: Depth=1
	global_load_b64 v[22:23], v[24:25], off glc
	s_waitcnt vmcnt(0)
	v_and_b32_e32 v21, 0xff, v23
	s_delay_alu instid0(VALU_DEP_1) | instskip(SKIP_1) | instid1(SALU_CYCLE_1)
	v_cmp_ne_u16_e32 vcc_lo, 0, v21
	s_or_b32 s19, vcc_lo, s19
	s_and_not1_b32 exec_lo, exec_lo, s19
	s_cbranch_execnz .LBB1667_374
; %bb.375:
	s_or_b32 exec_lo, exec_lo, s19
.LBB1667_376:
	s_delay_alu instid0(SALU_CYCLE_1)
	s_or_b32 exec_lo, exec_lo, s18
	v_cmp_ne_u32_e32 vcc_lo, 31, v41
	v_lshlrev_b32_e64 v33, v41, -1
	v_add_nc_u32_e32 v37, 2, v41
	v_add_nc_u32_e32 v46, 4, v41
	;; [unrolled: 1-line block ×3, first 2 shown]
	v_add_co_ci_u32_e32 v21, vcc_lo, 0, v41, vcc_lo
	v_add_nc_u32_e32 v50, 16, v41
	s_delay_alu instid0(VALU_DEP_2)
	v_lshlrev_b32_e32 v31, 2, v21
	v_and_b32_e32 v21, 0xff, v23
	ds_bpermute_b32 v24, v31, v22
	v_cmp_eq_u16_e32 vcc_lo, 2, v21
	v_and_or_b32 v21, vcc_lo, v33, 0x80000000
	v_cmp_gt_u32_e32 vcc_lo, 30, v41
	s_delay_alu instid0(VALU_DEP_2) | instskip(SKIP_1) | instid1(VALU_DEP_2)
	v_ctz_i32_b32_e32 v21, v21
	v_cndmask_b32_e64 v25, 0, 1, vcc_lo
	v_cmp_lt_u32_e32 vcc_lo, v41, v21
	s_waitcnt lgkmcnt(0)
	s_delay_alu instid0(VALU_DEP_2) | instskip(NEXT) | instid1(VALU_DEP_1)
	v_dual_cndmask_b32 v24, 0, v24 :: v_dual_lshlrev_b32 v25, 1, v25
	v_add_lshl_u32 v35, v25, v41, 2
	v_cmp_gt_u32_e32 vcc_lo, 28, v41
	s_delay_alu instid0(VALU_DEP_3) | instskip(SKIP_4) | instid1(VALU_DEP_1)
	v_add_nc_u32_e32 v22, v24, v22
	v_cndmask_b32_e64 v25, 0, 1, vcc_lo
	v_cmp_le_u32_e32 vcc_lo, v37, v21
	ds_bpermute_b32 v24, v35, v22
	v_lshlrev_b32_e32 v25, 2, v25
	v_add_lshl_u32 v44, v25, v41, 2
	s_waitcnt lgkmcnt(0)
	v_cndmask_b32_e32 v24, 0, v24, vcc_lo
	v_cmp_gt_u32_e32 vcc_lo, 24, v41
	s_delay_alu instid0(VALU_DEP_2) | instskip(SKIP_4) | instid1(VALU_DEP_1)
	v_add_nc_u32_e32 v22, v22, v24
	v_cndmask_b32_e64 v25, 0, 1, vcc_lo
	v_cmp_le_u32_e32 vcc_lo, v46, v21
	ds_bpermute_b32 v24, v44, v22
	v_lshlrev_b32_e32 v25, 3, v25
	v_add_lshl_u32 v47, v25, v41, 2
	s_waitcnt lgkmcnt(0)
	v_cndmask_b32_e32 v24, 0, v24, vcc_lo
	v_cmp_gt_u32_e32 vcc_lo, 16, v41
	s_delay_alu instid0(VALU_DEP_2) | instskip(SKIP_4) | instid1(VALU_DEP_1)
	v_add_nc_u32_e32 v22, v22, v24
	v_cndmask_b32_e64 v25, 0, 1, vcc_lo
	v_cmp_le_u32_e32 vcc_lo, v48, v21
	ds_bpermute_b32 v24, v47, v22
	v_lshlrev_b32_e32 v25, 4, v25
	v_add_lshl_u32 v49, v25, v41, 2
	s_waitcnt lgkmcnt(0)
	v_cndmask_b32_e32 v24, 0, v24, vcc_lo
	v_cmp_le_u32_e32 vcc_lo, v50, v21
	s_delay_alu instid0(VALU_DEP_2) | instskip(SKIP_3) | instid1(VALU_DEP_1)
	v_add_nc_u32_e32 v22, v22, v24
	ds_bpermute_b32 v24, v49, v22
	s_waitcnt lgkmcnt(0)
	v_cndmask_b32_e32 v21, 0, v24, vcc_lo
	v_dual_mov_b32 v21, 0 :: v_dual_add_nc_u32 v22, v22, v21
	s_branch .LBB1667_378
.LBB1667_377:                           ;   in Loop: Header=BB1667_378 Depth=1
	s_or_b32 exec_lo, exec_lo, s18
	ds_bpermute_b32 v25, v31, v22
	v_and_b32_e32 v24, 0xff, v23
	v_subrev_nc_u32_e32 v20, 32, v20
	s_delay_alu instid0(VALU_DEP_2) | instskip(SKIP_1) | instid1(VALU_DEP_1)
	v_cmp_eq_u16_e32 vcc_lo, 2, v24
	v_and_or_b32 v24, vcc_lo, v33, 0x80000000
	v_ctz_i32_b32_e32 v24, v24
	s_delay_alu instid0(VALU_DEP_1) | instskip(SKIP_3) | instid1(VALU_DEP_2)
	v_cmp_lt_u32_e32 vcc_lo, v41, v24
	s_waitcnt lgkmcnt(0)
	v_cndmask_b32_e32 v25, 0, v25, vcc_lo
	v_cmp_le_u32_e32 vcc_lo, v37, v24
	v_add_nc_u32_e32 v22, v25, v22
	ds_bpermute_b32 v25, v35, v22
	s_waitcnt lgkmcnt(0)
	v_cndmask_b32_e32 v25, 0, v25, vcc_lo
	v_cmp_le_u32_e32 vcc_lo, v46, v24
	s_delay_alu instid0(VALU_DEP_2) | instskip(SKIP_4) | instid1(VALU_DEP_2)
	v_add_nc_u32_e32 v22, v22, v25
	ds_bpermute_b32 v25, v44, v22
	s_waitcnt lgkmcnt(0)
	v_cndmask_b32_e32 v25, 0, v25, vcc_lo
	v_cmp_le_u32_e32 vcc_lo, v48, v24
	v_add_nc_u32_e32 v22, v22, v25
	ds_bpermute_b32 v25, v47, v22
	s_waitcnt lgkmcnt(0)
	v_cndmask_b32_e32 v25, 0, v25, vcc_lo
	v_cmp_le_u32_e32 vcc_lo, v50, v24
	s_delay_alu instid0(VALU_DEP_2) | instskip(SKIP_3) | instid1(VALU_DEP_1)
	v_add_nc_u32_e32 v22, v22, v25
	ds_bpermute_b32 v25, v49, v22
	s_waitcnt lgkmcnt(0)
	v_cndmask_b32_e32 v24, 0, v25, vcc_lo
	v_add3_u32 v22, v24, v45, v22
.LBB1667_378:                           ; =>This Loop Header: Depth=1
                                        ;     Child Loop BB1667_381 Depth 2
	v_and_b32_e32 v23, 0xff, v23
	s_delay_alu instid0(VALU_DEP_2) | instskip(NEXT) | instid1(VALU_DEP_2)
	v_mov_b32_e32 v45, v22
	v_cmp_ne_u16_e32 vcc_lo, 2, v23
	v_cndmask_b32_e64 v23, 0, 1, vcc_lo
	;;#ASMSTART
	;;#ASMEND
	s_delay_alu instid0(VALU_DEP_1)
	v_cmp_ne_u32_e32 vcc_lo, 0, v23
	s_cmp_lg_u32 vcc_lo, exec_lo
	s_cbranch_scc1 .LBB1667_383
; %bb.379:                              ;   in Loop: Header=BB1667_378 Depth=1
	v_lshlrev_b64 v[22:23], 3, v[20:21]
	s_mov_b32 s18, exec_lo
	s_delay_alu instid0(VALU_DEP_1) | instskip(NEXT) | instid1(VALU_DEP_2)
	v_add_co_u32 v24, vcc_lo, s10, v22
	v_add_co_ci_u32_e32 v25, vcc_lo, s11, v23, vcc_lo
	global_load_b64 v[22:23], v[24:25], off glc
	s_waitcnt vmcnt(0)
	v_and_b32_e32 v51, 0xff, v23
	s_delay_alu instid0(VALU_DEP_1)
	v_cmpx_eq_u16_e32 0, v51
	s_cbranch_execz .LBB1667_377
; %bb.380:                              ;   in Loop: Header=BB1667_378 Depth=1
	s_mov_b32 s19, 0
.LBB1667_381:                           ;   Parent Loop BB1667_378 Depth=1
                                        ; =>  This Inner Loop Header: Depth=2
	global_load_b64 v[22:23], v[24:25], off glc
	s_waitcnt vmcnt(0)
	v_and_b32_e32 v51, 0xff, v23
	s_delay_alu instid0(VALU_DEP_1) | instskip(SKIP_1) | instid1(SALU_CYCLE_1)
	v_cmp_ne_u16_e32 vcc_lo, 0, v51
	s_or_b32 s19, vcc_lo, s19
	s_and_not1_b32 exec_lo, exec_lo, s19
	s_cbranch_execnz .LBB1667_381
; %bb.382:                              ;   in Loop: Header=BB1667_378 Depth=1
	s_or_b32 exec_lo, exec_lo, s19
	s_branch .LBB1667_377
.LBB1667_383:                           ;   in Loop: Header=BB1667_378 Depth=1
                                        ; implicit-def: $vgpr22
                                        ; implicit-def: $vgpr23
	s_cbranch_execz .LBB1667_378
; %bb.384:
	s_and_saveexec_b32 s18, s8
	s_cbranch_execz .LBB1667_386
; %bb.385:
	s_add_i32 s22, s15, 32
	s_mov_b32 s23, 0
	v_dual_mov_b32 v21, 2 :: v_dual_add_nc_u32 v20, v45, v19
	s_lshl_b64 s[22:23], s[22:23], 3
	v_mov_b32_e32 v22, 0
	v_add_nc_u32_e64 v23, 0x8400, 0
	s_add_u32 s22, s10, s22
	s_addc_u32 s23, s11, s23
	global_store_b64 v22, v[20:21], s[22:23]
	ds_store_2addr_b32 v23, v19, v45 offset1:2
.LBB1667_386:
	s_or_b32 exec_lo, exec_lo, s18
	v_cmp_eq_u32_e32 vcc_lo, 0, v0
	s_and_b32 exec_lo, exec_lo, vcc_lo
	s_cbranch_execz .LBB1667_388
; %bb.387:
	v_mov_b32_e32 v19, 0
	ds_store_b32 v19, v45 offset:60
.LBB1667_388:
	s_or_b32 exec_lo, exec_lo, s9
	s_waitcnt lgkmcnt(0)
	v_cndmask_b32_e64 v20, v29, v27, s8
	v_cmp_ne_u32_e32 vcc_lo, 0, v0
	v_mov_b32_e32 v19, 0
	s_waitcnt_vscnt null, 0x0
	s_barrier
	buffer_gl0_inv
	v_cndmask_b32_e32 v20, 0, v20, vcc_lo
	ds_load_b32 v19, v19 offset:60
	s_waitcnt lgkmcnt(0)
	s_barrier
	buffer_gl0_inv
	v_add_nc_u32_e32 v37, v19, v20
	v_add_nc_u32_e64 v19, 0x8400, 0
	s_delay_alu instid0(VALU_DEP_2) | instskip(SKIP_2) | instid1(VALU_DEP_1)
	v_add_nc_u32_e32 v35, v37, v26
	ds_load_2addr_b32 v[19:20], v19 offset1:2
	v_add_nc_u32_e32 v33, v35, v28
	v_add_nc_u32_e32 v31, v33, v30
	s_delay_alu instid0(VALU_DEP_1) | instskip(NEXT) | instid1(VALU_DEP_1)
	v_add_nc_u32_e32 v29, v31, v32
	v_add_nc_u32_e32 v27, v29, v34
	s_delay_alu instid0(VALU_DEP_1) | instskip(NEXT) | instid1(VALU_DEP_1)
	v_add_nc_u32_e32 v25, v27, v36
	v_add_nc_u32_e32 v23, v25, v38
	s_load_b64 s[8:9], s[0:1], 0x28
	v_lshrrev_b64 v[21:22], 24, v[17:18]
	s_branch .LBB1667_399
.LBB1667_389:
                                        ; implicit-def: $vgpr23
                                        ; implicit-def: $vgpr25
                                        ; implicit-def: $vgpr27
                                        ; implicit-def: $vgpr29
                                        ; implicit-def: $vgpr31
                                        ; implicit-def: $vgpr33
                                        ; implicit-def: $vgpr35
                                        ; implicit-def: $vgpr37
                                        ; implicit-def: $vgpr20
	s_load_b64 s[8:9], s[0:1], 0x28
	v_lshrrev_b64 v[21:22], 24, v[17:18]
	s_and_b32 vcc_lo, exec_lo, s18
	s_cbranch_vccz .LBB1667_399
; %bb.390:
	s_waitcnt lgkmcnt(0)
	v_mov_b32_dpp v19, v43 row_shr:1 row_mask:0xf bank_mask:0xf
	s_delay_alu instid0(VALU_DEP_1) | instskip(NEXT) | instid1(VALU_DEP_1)
	v_cndmask_b32_e64 v19, v19, 0, s4
	v_add_nc_u32_e32 v19, v19, v43
	s_delay_alu instid0(VALU_DEP_1) | instskip(NEXT) | instid1(VALU_DEP_1)
	v_mov_b32_dpp v20, v19 row_shr:2 row_mask:0xf bank_mask:0xf
	v_cndmask_b32_e64 v20, 0, v20, s2
	s_delay_alu instid0(VALU_DEP_1) | instskip(NEXT) | instid1(VALU_DEP_1)
	v_add_nc_u32_e32 v19, v19, v20
	v_mov_b32_dpp v20, v19 row_shr:4 row_mask:0xf bank_mask:0xf
	s_delay_alu instid0(VALU_DEP_1) | instskip(NEXT) | instid1(VALU_DEP_1)
	v_cndmask_b32_e64 v20, 0, v20, s5
	v_add_nc_u32_e32 v19, v19, v20
	s_delay_alu instid0(VALU_DEP_1) | instskip(NEXT) | instid1(VALU_DEP_1)
	v_mov_b32_dpp v20, v19 row_shr:8 row_mask:0xf bank_mask:0xf
	v_cndmask_b32_e64 v20, 0, v20, s3
	s_delay_alu instid0(VALU_DEP_1) | instskip(SKIP_3) | instid1(VALU_DEP_1)
	v_add_nc_u32_e32 v19, v19, v20
	ds_swizzle_b32 v20, v19 offset:swizzle(BROADCAST,32,15)
	s_waitcnt lgkmcnt(0)
	v_cndmask_b32_e64 v20, v20, 0, s7
	v_add_nc_u32_e32 v19, v19, v20
	s_and_saveexec_b32 s0, s6
	s_cbranch_execz .LBB1667_392
; %bb.391:
	v_lshlrev_b32_e32 v20, 2, v42
	ds_store_b32 v20, v19
.LBB1667_392:
	s_or_b32 exec_lo, exec_lo, s0
	s_delay_alu instid0(SALU_CYCLE_1)
	s_mov_b32 s0, exec_lo
	s_waitcnt lgkmcnt(0)
	s_barrier
	buffer_gl0_inv
	v_cmpx_gt_u32_e32 16, v0
	s_cbranch_execz .LBB1667_394
; %bb.393:
	v_lshlrev_b32_e32 v20, 2, v0
	ds_load_b32 v22, v20
	s_waitcnt lgkmcnt(0)
	v_mov_b32_dpp v23, v22 row_shr:1 row_mask:0xf bank_mask:0xf
	s_delay_alu instid0(VALU_DEP_1) | instskip(NEXT) | instid1(VALU_DEP_1)
	v_cndmask_b32_e64 v23, v23, 0, s4
	v_add_nc_u32_e32 v22, v23, v22
	s_delay_alu instid0(VALU_DEP_1) | instskip(NEXT) | instid1(VALU_DEP_1)
	v_mov_b32_dpp v23, v22 row_shr:2 row_mask:0xf bank_mask:0xf
	v_cndmask_b32_e64 v23, 0, v23, s2
	s_delay_alu instid0(VALU_DEP_1) | instskip(NEXT) | instid1(VALU_DEP_1)
	v_add_nc_u32_e32 v22, v22, v23
	v_mov_b32_dpp v23, v22 row_shr:4 row_mask:0xf bank_mask:0xf
	s_delay_alu instid0(VALU_DEP_1) | instskip(NEXT) | instid1(VALU_DEP_1)
	v_cndmask_b32_e64 v23, 0, v23, s5
	v_add_nc_u32_e32 v22, v22, v23
	s_delay_alu instid0(VALU_DEP_1) | instskip(NEXT) | instid1(VALU_DEP_1)
	v_mov_b32_dpp v23, v22 row_shr:8 row_mask:0xf bank_mask:0xf
	v_cndmask_b32_e64 v23, 0, v23, s3
	s_delay_alu instid0(VALU_DEP_1)
	v_add_nc_u32_e32 v22, v22, v23
	ds_store_b32 v20, v22
.LBB1667_394:
	s_or_b32 exec_lo, exec_lo, s0
	v_mov_b32_e32 v20, 0
	v_mov_b32_e32 v22, 0
	s_mov_b32 s0, exec_lo
	s_waitcnt lgkmcnt(0)
	s_barrier
	buffer_gl0_inv
	v_cmpx_lt_u32_e32 31, v0
	s_cbranch_execz .LBB1667_396
; %bb.395:
	v_lshl_add_u32 v22, v42, 2, -4
	ds_load_b32 v22, v22
.LBB1667_396:
	s_or_b32 exec_lo, exec_lo, s0
	v_add_nc_u32_e32 v23, -1, v41
	s_waitcnt lgkmcnt(0)
	v_add_nc_u32_e32 v19, v22, v19
	s_delay_alu instid0(VALU_DEP_2) | instskip(SKIP_2) | instid1(VALU_DEP_2)
	v_cmp_gt_i32_e32 vcc_lo, 0, v23
	v_cndmask_b32_e32 v23, v23, v41, vcc_lo
	v_cmp_eq_u32_e32 vcc_lo, 0, v0
	v_lshlrev_b32_e32 v23, 2, v23
	ds_bpermute_b32 v23, v23, v19
	ds_load_b32 v19, v20 offset:60
	s_and_saveexec_b32 s0, vcc_lo
	s_cbranch_execz .LBB1667_398
; %bb.397:
	v_mov_b32_e32 v24, 0
	v_mov_b32_e32 v20, 2
	s_waitcnt lgkmcnt(0)
	global_store_b64 v24, v[19:20], s[10:11] offset:256
.LBB1667_398:
	s_or_b32 exec_lo, exec_lo, s0
	v_cmp_eq_u32_e64 s0, 0, v41
	s_waitcnt lgkmcnt(0)
	s_waitcnt_vscnt null, 0x0
	s_barrier
	buffer_gl0_inv
	v_cndmask_b32_e64 v20, v23, v22, s0
	s_delay_alu instid0(VALU_DEP_1) | instskip(NEXT) | instid1(VALU_DEP_1)
	v_cndmask_b32_e64 v37, v20, 0, vcc_lo
	v_dual_mov_b32 v20, 0 :: v_dual_add_nc_u32 v35, v37, v26
	s_delay_alu instid0(VALU_DEP_1) | instskip(NEXT) | instid1(VALU_DEP_1)
	v_add_nc_u32_e32 v33, v35, v28
	v_add_nc_u32_e32 v31, v33, v30
	s_delay_alu instid0(VALU_DEP_1) | instskip(NEXT) | instid1(VALU_DEP_1)
	v_add_nc_u32_e32 v29, v31, v32
	v_add_nc_u32_e32 v27, v29, v34
	;; [unrolled: 3-line block ×3, first 2 shown]
.LBB1667_399:
	s_waitcnt lgkmcnt(0)
	v_cmp_gt_u32_e32 vcc_lo, 0x201, v19
	v_lshrrev_b32_e32 v43, 8, v17
	v_lshrrev_b32_e32 v42, 16, v17
	;; [unrolled: 1-line block ×4, first 2 shown]
	s_mov_b32 s0, -1
	s_cbranch_vccnz .LBB1667_403
; %bb.400:
	s_and_b32 vcc_lo, exec_lo, s0
	s_cbranch_vccnz .LBB1667_428
.LBB1667_401:
	v_cmp_eq_u32_e32 vcc_lo, 0, v0
	s_and_b32 s0, vcc_lo, s14
	s_delay_alu instid0(SALU_CYCLE_1)
	s_and_saveexec_b32 s1, s0
	s_cbranch_execnz .LBB1667_448
.LBB1667_402:
	s_nop 0
	s_sendmsg sendmsg(MSG_DEALLOC_VGPRS)
	s_endpgm
.LBB1667_403:
	v_add_nc_u32_e32 v24, v20, v19
	s_delay_alu instid0(VALU_DEP_1) | instskip(SKIP_1) | instid1(SALU_CYCLE_1)
	v_cmp_lt_u32_e32 vcc_lo, v37, v24
	s_or_b32 s1, s21, vcc_lo
	s_and_saveexec_b32 s0, s1
	s_cbranch_execz .LBB1667_406
; %bb.404:
	v_and_b32_e32 v26, 1, v17
	s_delay_alu instid0(VALU_DEP_1)
	v_cmp_eq_u32_e32 vcc_lo, 1, v26
	s_and_b32 exec_lo, exec_lo, vcc_lo
	s_cbranch_execz .LBB1667_406
; %bb.405:
	v_mov_b32_e32 v38, 0
	s_lshl_b64 s[2:3], s[12:13], 3
	s_delay_alu instid0(SALU_CYCLE_1) | instskip(SKIP_1) | instid1(VALU_DEP_1)
	s_add_u32 s1, s8, s2
	s_addc_u32 s2, s9, s3
	v_lshlrev_b64 v[44:45], 3, v[37:38]
	s_delay_alu instid0(VALU_DEP_1) | instskip(NEXT) | instid1(VALU_DEP_2)
	v_add_co_u32 v44, vcc_lo, s1, v44
	v_add_co_ci_u32_e32 v45, vcc_lo, s2, v45, vcc_lo
	global_store_b64 v[44:45], v[13:14], off
.LBB1667_406:
	s_or_b32 exec_lo, exec_lo, s0
	v_cmp_lt_u32_e32 vcc_lo, v35, v24
	s_or_b32 s1, s21, vcc_lo
	s_delay_alu instid0(SALU_CYCLE_1)
	s_and_saveexec_b32 s0, s1
	s_cbranch_execz .LBB1667_409
; %bb.407:
	v_and_b32_e32 v26, 1, v43
	s_delay_alu instid0(VALU_DEP_1)
	v_cmp_eq_u32_e32 vcc_lo, 1, v26
	s_and_b32 exec_lo, exec_lo, vcc_lo
	s_cbranch_execz .LBB1667_409
; %bb.408:
	v_mov_b32_e32 v36, 0
	s_lshl_b64 s[2:3], s[12:13], 3
	s_delay_alu instid0(SALU_CYCLE_1) | instskip(SKIP_1) | instid1(VALU_DEP_1)
	s_add_u32 s1, s8, s2
	s_addc_u32 s2, s9, s3
	v_lshlrev_b64 v[44:45], 3, v[35:36]
	s_delay_alu instid0(VALU_DEP_1) | instskip(NEXT) | instid1(VALU_DEP_2)
	v_add_co_u32 v44, vcc_lo, s1, v44
	v_add_co_ci_u32_e32 v45, vcc_lo, s2, v45, vcc_lo
	global_store_b64 v[44:45], v[15:16], off
.LBB1667_409:
	s_or_b32 exec_lo, exec_lo, s0
	v_cmp_lt_u32_e32 vcc_lo, v33, v24
	s_or_b32 s1, s21, vcc_lo
	s_delay_alu instid0(SALU_CYCLE_1)
	;; [unrolled: 24-line block ×7, first 2 shown]
	s_and_saveexec_b32 s0, s1
	s_cbranch_execz .LBB1667_427
; %bb.425:
	v_and_b32_e32 v24, 1, v40
	s_delay_alu instid0(VALU_DEP_1)
	v_cmp_eq_u32_e32 vcc_lo, 1, v24
	s_and_b32 exec_lo, exec_lo, vcc_lo
	s_cbranch_execz .LBB1667_427
; %bb.426:
	v_mov_b32_e32 v24, 0
	s_lshl_b64 s[2:3], s[12:13], 3
	s_delay_alu instid0(SALU_CYCLE_1) | instskip(SKIP_1) | instid1(VALU_DEP_1)
	s_add_u32 s1, s8, s2
	s_addc_u32 s2, s9, s3
	v_lshlrev_b64 v[44:45], 3, v[23:24]
	s_delay_alu instid0(VALU_DEP_1) | instskip(NEXT) | instid1(VALU_DEP_2)
	v_add_co_u32 v44, vcc_lo, s1, v44
	v_add_co_ci_u32_e32 v45, vcc_lo, s2, v45, vcc_lo
	global_store_b64 v[44:45], v[3:4], off
.LBB1667_427:
	s_or_b32 exec_lo, exec_lo, s0
	s_branch .LBB1667_401
.LBB1667_428:
	v_and_b32_e32 v17, 1, v17
	s_mov_b32 s0, exec_lo
	s_delay_alu instid0(VALU_DEP_1)
	v_cmpx_eq_u32_e32 1, v17
	s_cbranch_execz .LBB1667_430
; %bb.429:
	v_sub_nc_u32_e32 v17, v37, v20
	s_delay_alu instid0(VALU_DEP_1)
	v_lshlrev_b32_e32 v17, 3, v17
	ds_store_b64 v17, v[13:14]
.LBB1667_430:
	s_or_b32 exec_lo, exec_lo, s0
	v_and_b32_e32 v13, 1, v43
	s_mov_b32 s0, exec_lo
	s_delay_alu instid0(VALU_DEP_1)
	v_cmpx_eq_u32_e32 1, v13
	s_cbranch_execz .LBB1667_432
; %bb.431:
	v_sub_nc_u32_e32 v13, v35, v20
	s_delay_alu instid0(VALU_DEP_1)
	v_lshlrev_b32_e32 v13, 3, v13
	ds_store_b64 v13, v[15:16]
.LBB1667_432:
	s_or_b32 exec_lo, exec_lo, s0
	;; [unrolled: 12-line block ×8, first 2 shown]
	s_delay_alu instid0(SALU_CYCLE_1)
	s_mov_b32 s1, exec_lo
	s_waitcnt lgkmcnt(0)
	s_waitcnt_vscnt null, 0x0
	s_barrier
	buffer_gl0_inv
	v_cmpx_lt_u32_e64 v0, v19
	s_cbranch_execz .LBB1667_447
; %bb.445:
	v_dual_mov_b32 v2, 0 :: v_dual_mov_b32 v1, v20
	s_lshl_b64 s[2:3], s[12:13], 3
	v_mov_b32_e32 v3, v0
	s_delay_alu instid0(VALU_DEP_2) | instskip(NEXT) | instid1(VALU_DEP_1)
	v_lshlrev_b64 v[1:2], 3, v[1:2]
	v_add_co_u32 v1, vcc_lo, s2, v1
	s_delay_alu instid0(VALU_DEP_2) | instskip(SKIP_1) | instid1(VALU_DEP_2)
	v_add_co_ci_u32_e32 v2, vcc_lo, s3, v2, vcc_lo
	s_mov_b32 s2, 0
	v_add_co_u32 v1, vcc_lo, s8, v1
	s_delay_alu instid0(VALU_DEP_2) | instskip(NEXT) | instid1(VALU_DEP_2)
	v_add_co_ci_u32_e32 v2, vcc_lo, s9, v2, vcc_lo
	v_add_co_u32 v1, vcc_lo, v1, v39
	s_delay_alu instid0(VALU_DEP_2)
	v_add_co_ci_u32_e32 v2, vcc_lo, 0, v2, vcc_lo
	.p2align	6
.LBB1667_446:                           ; =>This Inner Loop Header: Depth=1
	ds_load_b64 v[4:5], v39
	v_add_nc_u32_e32 v3, 0x200, v3
	v_add_nc_u32_e32 v39, 0x1000, v39
	s_delay_alu instid0(VALU_DEP_2) | instskip(SKIP_4) | instid1(VALU_DEP_1)
	v_cmp_ge_u32_e32 vcc_lo, v3, v19
	s_or_b32 s2, vcc_lo, s2
	s_waitcnt lgkmcnt(0)
	global_store_b64 v[1:2], v[4:5], off
	v_add_co_u32 v1, s0, 0x1000, v1
	v_add_co_ci_u32_e64 v2, s0, 0, v2, s0
	s_and_not1_b32 exec_lo, exec_lo, s2
	s_cbranch_execnz .LBB1667_446
.LBB1667_447:
	s_or_b32 exec_lo, exec_lo, s1
	v_cmp_eq_u32_e32 vcc_lo, 0, v0
	s_and_b32 s0, vcc_lo, s14
	s_delay_alu instid0(SALU_CYCLE_1)
	s_and_saveexec_b32 s1, s0
	s_cbranch_execz .LBB1667_402
.LBB1667_448:
	v_add_co_u32 v0, s0, s12, v19
	s_delay_alu instid0(VALU_DEP_1) | instskip(SKIP_1) | instid1(VALU_DEP_3)
	v_add_co_ci_u32_e64 v1, null, s13, 0, s0
	v_mov_b32_e32 v2, 0
	v_add_co_u32 v0, vcc_lo, v0, v20
	s_delay_alu instid0(VALU_DEP_3)
	v_add_co_ci_u32_e32 v1, vcc_lo, 0, v1, vcc_lo
	global_store_b64 v2, v[0:1], s[16:17]
	s_nop 0
	s_sendmsg sendmsg(MSG_DEALLOC_VGPRS)
	s_endpgm
	.section	.rodata,"a",@progbits
	.p2align	6, 0x0
	.amdhsa_kernel _ZN7rocprim17ROCPRIM_400000_NS6detail17trampoline_kernelINS0_14default_configENS1_25partition_config_selectorILNS1_17partition_subalgoE8ElNS0_10empty_typeEbEEZZNS1_14partition_implILS5_8ELb0ES3_jPlPS6_PKS6_NS0_5tupleIJS9_S6_EEENSD_IJSA_SA_EEENS0_18inequality_wrapperIZN2at6native12_GLOBAL__N_124unique_dim_cuda_templateImEESt5tupleIJNSH_6TensorESM_SM_EERKSM_lbbbEUlllE0_EEPmJS6_EEE10hipError_tPvRmT3_T4_T5_T6_T7_T9_mT8_P12ihipStream_tbDpT10_ENKUlT_T0_E_clISt17integral_constantIbLb0EES1C_EEDaS17_S18_EUlS17_E_NS1_11comp_targetILNS1_3genE9ELNS1_11target_archE1100ELNS1_3gpuE3ELNS1_3repE0EEENS1_30default_config_static_selectorELNS0_4arch9wavefront6targetE0EEEvT1_
		.amdhsa_group_segment_fixed_size 33804
		.amdhsa_private_segment_fixed_size 0
		.amdhsa_kernarg_size 120
		.amdhsa_user_sgpr_count 15
		.amdhsa_user_sgpr_dispatch_ptr 0
		.amdhsa_user_sgpr_queue_ptr 0
		.amdhsa_user_sgpr_kernarg_segment_ptr 1
		.amdhsa_user_sgpr_dispatch_id 0
		.amdhsa_user_sgpr_private_segment_size 0
		.amdhsa_wavefront_size32 1
		.amdhsa_uses_dynamic_stack 0
		.amdhsa_enable_private_segment 0
		.amdhsa_system_sgpr_workgroup_id_x 1
		.amdhsa_system_sgpr_workgroup_id_y 0
		.amdhsa_system_sgpr_workgroup_id_z 0
		.amdhsa_system_sgpr_workgroup_info 0
		.amdhsa_system_vgpr_workitem_id 0
		.amdhsa_next_free_vgpr 52
		.amdhsa_next_free_sgpr 36
		.amdhsa_reserve_vcc 1
		.amdhsa_float_round_mode_32 0
		.amdhsa_float_round_mode_16_64 0
		.amdhsa_float_denorm_mode_32 3
		.amdhsa_float_denorm_mode_16_64 3
		.amdhsa_dx10_clamp 1
		.amdhsa_ieee_mode 1
		.amdhsa_fp16_overflow 0
		.amdhsa_workgroup_processor_mode 1
		.amdhsa_memory_ordered 1
		.amdhsa_forward_progress 0
		.amdhsa_shared_vgpr_count 0
		.amdhsa_exception_fp_ieee_invalid_op 0
		.amdhsa_exception_fp_denorm_src 0
		.amdhsa_exception_fp_ieee_div_zero 0
		.amdhsa_exception_fp_ieee_overflow 0
		.amdhsa_exception_fp_ieee_underflow 0
		.amdhsa_exception_fp_ieee_inexact 0
		.amdhsa_exception_int_div_zero 0
	.end_amdhsa_kernel
	.section	.text._ZN7rocprim17ROCPRIM_400000_NS6detail17trampoline_kernelINS0_14default_configENS1_25partition_config_selectorILNS1_17partition_subalgoE8ElNS0_10empty_typeEbEEZZNS1_14partition_implILS5_8ELb0ES3_jPlPS6_PKS6_NS0_5tupleIJS9_S6_EEENSD_IJSA_SA_EEENS0_18inequality_wrapperIZN2at6native12_GLOBAL__N_124unique_dim_cuda_templateImEESt5tupleIJNSH_6TensorESM_SM_EERKSM_lbbbEUlllE0_EEPmJS6_EEE10hipError_tPvRmT3_T4_T5_T6_T7_T9_mT8_P12ihipStream_tbDpT10_ENKUlT_T0_E_clISt17integral_constantIbLb0EES1C_EEDaS17_S18_EUlS17_E_NS1_11comp_targetILNS1_3genE9ELNS1_11target_archE1100ELNS1_3gpuE3ELNS1_3repE0EEENS1_30default_config_static_selectorELNS0_4arch9wavefront6targetE0EEEvT1_,"axG",@progbits,_ZN7rocprim17ROCPRIM_400000_NS6detail17trampoline_kernelINS0_14default_configENS1_25partition_config_selectorILNS1_17partition_subalgoE8ElNS0_10empty_typeEbEEZZNS1_14partition_implILS5_8ELb0ES3_jPlPS6_PKS6_NS0_5tupleIJS9_S6_EEENSD_IJSA_SA_EEENS0_18inequality_wrapperIZN2at6native12_GLOBAL__N_124unique_dim_cuda_templateImEESt5tupleIJNSH_6TensorESM_SM_EERKSM_lbbbEUlllE0_EEPmJS6_EEE10hipError_tPvRmT3_T4_T5_T6_T7_T9_mT8_P12ihipStream_tbDpT10_ENKUlT_T0_E_clISt17integral_constantIbLb0EES1C_EEDaS17_S18_EUlS17_E_NS1_11comp_targetILNS1_3genE9ELNS1_11target_archE1100ELNS1_3gpuE3ELNS1_3repE0EEENS1_30default_config_static_selectorELNS0_4arch9wavefront6targetE0EEEvT1_,comdat
.Lfunc_end1667:
	.size	_ZN7rocprim17ROCPRIM_400000_NS6detail17trampoline_kernelINS0_14default_configENS1_25partition_config_selectorILNS1_17partition_subalgoE8ElNS0_10empty_typeEbEEZZNS1_14partition_implILS5_8ELb0ES3_jPlPS6_PKS6_NS0_5tupleIJS9_S6_EEENSD_IJSA_SA_EEENS0_18inequality_wrapperIZN2at6native12_GLOBAL__N_124unique_dim_cuda_templateImEESt5tupleIJNSH_6TensorESM_SM_EERKSM_lbbbEUlllE0_EEPmJS6_EEE10hipError_tPvRmT3_T4_T5_T6_T7_T9_mT8_P12ihipStream_tbDpT10_ENKUlT_T0_E_clISt17integral_constantIbLb0EES1C_EEDaS17_S18_EUlS17_E_NS1_11comp_targetILNS1_3genE9ELNS1_11target_archE1100ELNS1_3gpuE3ELNS1_3repE0EEENS1_30default_config_static_selectorELNS0_4arch9wavefront6targetE0EEEvT1_, .Lfunc_end1667-_ZN7rocprim17ROCPRIM_400000_NS6detail17trampoline_kernelINS0_14default_configENS1_25partition_config_selectorILNS1_17partition_subalgoE8ElNS0_10empty_typeEbEEZZNS1_14partition_implILS5_8ELb0ES3_jPlPS6_PKS6_NS0_5tupleIJS9_S6_EEENSD_IJSA_SA_EEENS0_18inequality_wrapperIZN2at6native12_GLOBAL__N_124unique_dim_cuda_templateImEESt5tupleIJNSH_6TensorESM_SM_EERKSM_lbbbEUlllE0_EEPmJS6_EEE10hipError_tPvRmT3_T4_T5_T6_T7_T9_mT8_P12ihipStream_tbDpT10_ENKUlT_T0_E_clISt17integral_constantIbLb0EES1C_EEDaS17_S18_EUlS17_E_NS1_11comp_targetILNS1_3genE9ELNS1_11target_archE1100ELNS1_3gpuE3ELNS1_3repE0EEENS1_30default_config_static_selectorELNS0_4arch9wavefront6targetE0EEEvT1_
                                        ; -- End function
	.section	.AMDGPU.csdata,"",@progbits
; Kernel info:
; codeLenInByte = 18232
; NumSgprs: 38
; NumVgprs: 52
; ScratchSize: 0
; MemoryBound: 1
; FloatMode: 240
; IeeeMode: 1
; LDSByteSize: 33804 bytes/workgroup (compile time only)
; SGPRBlocks: 4
; VGPRBlocks: 6
; NumSGPRsForWavesPerEU: 38
; NumVGPRsForWavesPerEU: 52
; Occupancy: 12
; WaveLimiterHint : 1
; COMPUTE_PGM_RSRC2:SCRATCH_EN: 0
; COMPUTE_PGM_RSRC2:USER_SGPR: 15
; COMPUTE_PGM_RSRC2:TRAP_HANDLER: 0
; COMPUTE_PGM_RSRC2:TGID_X_EN: 1
; COMPUTE_PGM_RSRC2:TGID_Y_EN: 0
; COMPUTE_PGM_RSRC2:TGID_Z_EN: 0
; COMPUTE_PGM_RSRC2:TIDIG_COMP_CNT: 0
	.section	.text._ZN7rocprim17ROCPRIM_400000_NS6detail17trampoline_kernelINS0_14default_configENS1_25partition_config_selectorILNS1_17partition_subalgoE8ElNS0_10empty_typeEbEEZZNS1_14partition_implILS5_8ELb0ES3_jPlPS6_PKS6_NS0_5tupleIJS9_S6_EEENSD_IJSA_SA_EEENS0_18inequality_wrapperIZN2at6native12_GLOBAL__N_124unique_dim_cuda_templateImEESt5tupleIJNSH_6TensorESM_SM_EERKSM_lbbbEUlllE0_EEPmJS6_EEE10hipError_tPvRmT3_T4_T5_T6_T7_T9_mT8_P12ihipStream_tbDpT10_ENKUlT_T0_E_clISt17integral_constantIbLb0EES1C_EEDaS17_S18_EUlS17_E_NS1_11comp_targetILNS1_3genE8ELNS1_11target_archE1030ELNS1_3gpuE2ELNS1_3repE0EEENS1_30default_config_static_selectorELNS0_4arch9wavefront6targetE0EEEvT1_,"axG",@progbits,_ZN7rocprim17ROCPRIM_400000_NS6detail17trampoline_kernelINS0_14default_configENS1_25partition_config_selectorILNS1_17partition_subalgoE8ElNS0_10empty_typeEbEEZZNS1_14partition_implILS5_8ELb0ES3_jPlPS6_PKS6_NS0_5tupleIJS9_S6_EEENSD_IJSA_SA_EEENS0_18inequality_wrapperIZN2at6native12_GLOBAL__N_124unique_dim_cuda_templateImEESt5tupleIJNSH_6TensorESM_SM_EERKSM_lbbbEUlllE0_EEPmJS6_EEE10hipError_tPvRmT3_T4_T5_T6_T7_T9_mT8_P12ihipStream_tbDpT10_ENKUlT_T0_E_clISt17integral_constantIbLb0EES1C_EEDaS17_S18_EUlS17_E_NS1_11comp_targetILNS1_3genE8ELNS1_11target_archE1030ELNS1_3gpuE2ELNS1_3repE0EEENS1_30default_config_static_selectorELNS0_4arch9wavefront6targetE0EEEvT1_,comdat
	.globl	_ZN7rocprim17ROCPRIM_400000_NS6detail17trampoline_kernelINS0_14default_configENS1_25partition_config_selectorILNS1_17partition_subalgoE8ElNS0_10empty_typeEbEEZZNS1_14partition_implILS5_8ELb0ES3_jPlPS6_PKS6_NS0_5tupleIJS9_S6_EEENSD_IJSA_SA_EEENS0_18inequality_wrapperIZN2at6native12_GLOBAL__N_124unique_dim_cuda_templateImEESt5tupleIJNSH_6TensorESM_SM_EERKSM_lbbbEUlllE0_EEPmJS6_EEE10hipError_tPvRmT3_T4_T5_T6_T7_T9_mT8_P12ihipStream_tbDpT10_ENKUlT_T0_E_clISt17integral_constantIbLb0EES1C_EEDaS17_S18_EUlS17_E_NS1_11comp_targetILNS1_3genE8ELNS1_11target_archE1030ELNS1_3gpuE2ELNS1_3repE0EEENS1_30default_config_static_selectorELNS0_4arch9wavefront6targetE0EEEvT1_ ; -- Begin function _ZN7rocprim17ROCPRIM_400000_NS6detail17trampoline_kernelINS0_14default_configENS1_25partition_config_selectorILNS1_17partition_subalgoE8ElNS0_10empty_typeEbEEZZNS1_14partition_implILS5_8ELb0ES3_jPlPS6_PKS6_NS0_5tupleIJS9_S6_EEENSD_IJSA_SA_EEENS0_18inequality_wrapperIZN2at6native12_GLOBAL__N_124unique_dim_cuda_templateImEESt5tupleIJNSH_6TensorESM_SM_EERKSM_lbbbEUlllE0_EEPmJS6_EEE10hipError_tPvRmT3_T4_T5_T6_T7_T9_mT8_P12ihipStream_tbDpT10_ENKUlT_T0_E_clISt17integral_constantIbLb0EES1C_EEDaS17_S18_EUlS17_E_NS1_11comp_targetILNS1_3genE8ELNS1_11target_archE1030ELNS1_3gpuE2ELNS1_3repE0EEENS1_30default_config_static_selectorELNS0_4arch9wavefront6targetE0EEEvT1_
	.p2align	8
	.type	_ZN7rocprim17ROCPRIM_400000_NS6detail17trampoline_kernelINS0_14default_configENS1_25partition_config_selectorILNS1_17partition_subalgoE8ElNS0_10empty_typeEbEEZZNS1_14partition_implILS5_8ELb0ES3_jPlPS6_PKS6_NS0_5tupleIJS9_S6_EEENSD_IJSA_SA_EEENS0_18inequality_wrapperIZN2at6native12_GLOBAL__N_124unique_dim_cuda_templateImEESt5tupleIJNSH_6TensorESM_SM_EERKSM_lbbbEUlllE0_EEPmJS6_EEE10hipError_tPvRmT3_T4_T5_T6_T7_T9_mT8_P12ihipStream_tbDpT10_ENKUlT_T0_E_clISt17integral_constantIbLb0EES1C_EEDaS17_S18_EUlS17_E_NS1_11comp_targetILNS1_3genE8ELNS1_11target_archE1030ELNS1_3gpuE2ELNS1_3repE0EEENS1_30default_config_static_selectorELNS0_4arch9wavefront6targetE0EEEvT1_,@function
_ZN7rocprim17ROCPRIM_400000_NS6detail17trampoline_kernelINS0_14default_configENS1_25partition_config_selectorILNS1_17partition_subalgoE8ElNS0_10empty_typeEbEEZZNS1_14partition_implILS5_8ELb0ES3_jPlPS6_PKS6_NS0_5tupleIJS9_S6_EEENSD_IJSA_SA_EEENS0_18inequality_wrapperIZN2at6native12_GLOBAL__N_124unique_dim_cuda_templateImEESt5tupleIJNSH_6TensorESM_SM_EERKSM_lbbbEUlllE0_EEPmJS6_EEE10hipError_tPvRmT3_T4_T5_T6_T7_T9_mT8_P12ihipStream_tbDpT10_ENKUlT_T0_E_clISt17integral_constantIbLb0EES1C_EEDaS17_S18_EUlS17_E_NS1_11comp_targetILNS1_3genE8ELNS1_11target_archE1030ELNS1_3gpuE2ELNS1_3repE0EEENS1_30default_config_static_selectorELNS0_4arch9wavefront6targetE0EEEvT1_: ; @_ZN7rocprim17ROCPRIM_400000_NS6detail17trampoline_kernelINS0_14default_configENS1_25partition_config_selectorILNS1_17partition_subalgoE8ElNS0_10empty_typeEbEEZZNS1_14partition_implILS5_8ELb0ES3_jPlPS6_PKS6_NS0_5tupleIJS9_S6_EEENSD_IJSA_SA_EEENS0_18inequality_wrapperIZN2at6native12_GLOBAL__N_124unique_dim_cuda_templateImEESt5tupleIJNSH_6TensorESM_SM_EERKSM_lbbbEUlllE0_EEPmJS6_EEE10hipError_tPvRmT3_T4_T5_T6_T7_T9_mT8_P12ihipStream_tbDpT10_ENKUlT_T0_E_clISt17integral_constantIbLb0EES1C_EEDaS17_S18_EUlS17_E_NS1_11comp_targetILNS1_3genE8ELNS1_11target_archE1030ELNS1_3gpuE2ELNS1_3repE0EEENS1_30default_config_static_selectorELNS0_4arch9wavefront6targetE0EEEvT1_
; %bb.0:
	.section	.rodata,"a",@progbits
	.p2align	6, 0x0
	.amdhsa_kernel _ZN7rocprim17ROCPRIM_400000_NS6detail17trampoline_kernelINS0_14default_configENS1_25partition_config_selectorILNS1_17partition_subalgoE8ElNS0_10empty_typeEbEEZZNS1_14partition_implILS5_8ELb0ES3_jPlPS6_PKS6_NS0_5tupleIJS9_S6_EEENSD_IJSA_SA_EEENS0_18inequality_wrapperIZN2at6native12_GLOBAL__N_124unique_dim_cuda_templateImEESt5tupleIJNSH_6TensorESM_SM_EERKSM_lbbbEUlllE0_EEPmJS6_EEE10hipError_tPvRmT3_T4_T5_T6_T7_T9_mT8_P12ihipStream_tbDpT10_ENKUlT_T0_E_clISt17integral_constantIbLb0EES1C_EEDaS17_S18_EUlS17_E_NS1_11comp_targetILNS1_3genE8ELNS1_11target_archE1030ELNS1_3gpuE2ELNS1_3repE0EEENS1_30default_config_static_selectorELNS0_4arch9wavefront6targetE0EEEvT1_
		.amdhsa_group_segment_fixed_size 0
		.amdhsa_private_segment_fixed_size 0
		.amdhsa_kernarg_size 120
		.amdhsa_user_sgpr_count 15
		.amdhsa_user_sgpr_dispatch_ptr 0
		.amdhsa_user_sgpr_queue_ptr 0
		.amdhsa_user_sgpr_kernarg_segment_ptr 1
		.amdhsa_user_sgpr_dispatch_id 0
		.amdhsa_user_sgpr_private_segment_size 0
		.amdhsa_wavefront_size32 1
		.amdhsa_uses_dynamic_stack 0
		.amdhsa_enable_private_segment 0
		.amdhsa_system_sgpr_workgroup_id_x 1
		.amdhsa_system_sgpr_workgroup_id_y 0
		.amdhsa_system_sgpr_workgroup_id_z 0
		.amdhsa_system_sgpr_workgroup_info 0
		.amdhsa_system_vgpr_workitem_id 0
		.amdhsa_next_free_vgpr 1
		.amdhsa_next_free_sgpr 1
		.amdhsa_reserve_vcc 0
		.amdhsa_float_round_mode_32 0
		.amdhsa_float_round_mode_16_64 0
		.amdhsa_float_denorm_mode_32 3
		.amdhsa_float_denorm_mode_16_64 3
		.amdhsa_dx10_clamp 1
		.amdhsa_ieee_mode 1
		.amdhsa_fp16_overflow 0
		.amdhsa_workgroup_processor_mode 1
		.amdhsa_memory_ordered 1
		.amdhsa_forward_progress 0
		.amdhsa_shared_vgpr_count 0
		.amdhsa_exception_fp_ieee_invalid_op 0
		.amdhsa_exception_fp_denorm_src 0
		.amdhsa_exception_fp_ieee_div_zero 0
		.amdhsa_exception_fp_ieee_overflow 0
		.amdhsa_exception_fp_ieee_underflow 0
		.amdhsa_exception_fp_ieee_inexact 0
		.amdhsa_exception_int_div_zero 0
	.end_amdhsa_kernel
	.section	.text._ZN7rocprim17ROCPRIM_400000_NS6detail17trampoline_kernelINS0_14default_configENS1_25partition_config_selectorILNS1_17partition_subalgoE8ElNS0_10empty_typeEbEEZZNS1_14partition_implILS5_8ELb0ES3_jPlPS6_PKS6_NS0_5tupleIJS9_S6_EEENSD_IJSA_SA_EEENS0_18inequality_wrapperIZN2at6native12_GLOBAL__N_124unique_dim_cuda_templateImEESt5tupleIJNSH_6TensorESM_SM_EERKSM_lbbbEUlllE0_EEPmJS6_EEE10hipError_tPvRmT3_T4_T5_T6_T7_T9_mT8_P12ihipStream_tbDpT10_ENKUlT_T0_E_clISt17integral_constantIbLb0EES1C_EEDaS17_S18_EUlS17_E_NS1_11comp_targetILNS1_3genE8ELNS1_11target_archE1030ELNS1_3gpuE2ELNS1_3repE0EEENS1_30default_config_static_selectorELNS0_4arch9wavefront6targetE0EEEvT1_,"axG",@progbits,_ZN7rocprim17ROCPRIM_400000_NS6detail17trampoline_kernelINS0_14default_configENS1_25partition_config_selectorILNS1_17partition_subalgoE8ElNS0_10empty_typeEbEEZZNS1_14partition_implILS5_8ELb0ES3_jPlPS6_PKS6_NS0_5tupleIJS9_S6_EEENSD_IJSA_SA_EEENS0_18inequality_wrapperIZN2at6native12_GLOBAL__N_124unique_dim_cuda_templateImEESt5tupleIJNSH_6TensorESM_SM_EERKSM_lbbbEUlllE0_EEPmJS6_EEE10hipError_tPvRmT3_T4_T5_T6_T7_T9_mT8_P12ihipStream_tbDpT10_ENKUlT_T0_E_clISt17integral_constantIbLb0EES1C_EEDaS17_S18_EUlS17_E_NS1_11comp_targetILNS1_3genE8ELNS1_11target_archE1030ELNS1_3gpuE2ELNS1_3repE0EEENS1_30default_config_static_selectorELNS0_4arch9wavefront6targetE0EEEvT1_,comdat
.Lfunc_end1668:
	.size	_ZN7rocprim17ROCPRIM_400000_NS6detail17trampoline_kernelINS0_14default_configENS1_25partition_config_selectorILNS1_17partition_subalgoE8ElNS0_10empty_typeEbEEZZNS1_14partition_implILS5_8ELb0ES3_jPlPS6_PKS6_NS0_5tupleIJS9_S6_EEENSD_IJSA_SA_EEENS0_18inequality_wrapperIZN2at6native12_GLOBAL__N_124unique_dim_cuda_templateImEESt5tupleIJNSH_6TensorESM_SM_EERKSM_lbbbEUlllE0_EEPmJS6_EEE10hipError_tPvRmT3_T4_T5_T6_T7_T9_mT8_P12ihipStream_tbDpT10_ENKUlT_T0_E_clISt17integral_constantIbLb0EES1C_EEDaS17_S18_EUlS17_E_NS1_11comp_targetILNS1_3genE8ELNS1_11target_archE1030ELNS1_3gpuE2ELNS1_3repE0EEENS1_30default_config_static_selectorELNS0_4arch9wavefront6targetE0EEEvT1_, .Lfunc_end1668-_ZN7rocprim17ROCPRIM_400000_NS6detail17trampoline_kernelINS0_14default_configENS1_25partition_config_selectorILNS1_17partition_subalgoE8ElNS0_10empty_typeEbEEZZNS1_14partition_implILS5_8ELb0ES3_jPlPS6_PKS6_NS0_5tupleIJS9_S6_EEENSD_IJSA_SA_EEENS0_18inequality_wrapperIZN2at6native12_GLOBAL__N_124unique_dim_cuda_templateImEESt5tupleIJNSH_6TensorESM_SM_EERKSM_lbbbEUlllE0_EEPmJS6_EEE10hipError_tPvRmT3_T4_T5_T6_T7_T9_mT8_P12ihipStream_tbDpT10_ENKUlT_T0_E_clISt17integral_constantIbLb0EES1C_EEDaS17_S18_EUlS17_E_NS1_11comp_targetILNS1_3genE8ELNS1_11target_archE1030ELNS1_3gpuE2ELNS1_3repE0EEENS1_30default_config_static_selectorELNS0_4arch9wavefront6targetE0EEEvT1_
                                        ; -- End function
	.section	.AMDGPU.csdata,"",@progbits
; Kernel info:
; codeLenInByte = 0
; NumSgprs: 0
; NumVgprs: 0
; ScratchSize: 0
; MemoryBound: 0
; FloatMode: 240
; IeeeMode: 1
; LDSByteSize: 0 bytes/workgroup (compile time only)
; SGPRBlocks: 0
; VGPRBlocks: 0
; NumSGPRsForWavesPerEU: 1
; NumVGPRsForWavesPerEU: 1
; Occupancy: 16
; WaveLimiterHint : 0
; COMPUTE_PGM_RSRC2:SCRATCH_EN: 0
; COMPUTE_PGM_RSRC2:USER_SGPR: 15
; COMPUTE_PGM_RSRC2:TRAP_HANDLER: 0
; COMPUTE_PGM_RSRC2:TGID_X_EN: 1
; COMPUTE_PGM_RSRC2:TGID_Y_EN: 0
; COMPUTE_PGM_RSRC2:TGID_Z_EN: 0
; COMPUTE_PGM_RSRC2:TIDIG_COMP_CNT: 0
	.section	.text._ZN7rocprim17ROCPRIM_400000_NS6detail17trampoline_kernelINS0_14default_configENS1_25partition_config_selectorILNS1_17partition_subalgoE8ElNS0_10empty_typeEbEEZZNS1_14partition_implILS5_8ELb0ES3_jPlPS6_PKS6_NS0_5tupleIJS9_S6_EEENSD_IJSA_SA_EEENS0_18inequality_wrapperIZN2at6native12_GLOBAL__N_124unique_dim_cuda_templateImEESt5tupleIJNSH_6TensorESM_SM_EERKSM_lbbbEUlllE0_EEPmJS6_EEE10hipError_tPvRmT3_T4_T5_T6_T7_T9_mT8_P12ihipStream_tbDpT10_ENKUlT_T0_E_clISt17integral_constantIbLb1EES1C_EEDaS17_S18_EUlS17_E_NS1_11comp_targetILNS1_3genE0ELNS1_11target_archE4294967295ELNS1_3gpuE0ELNS1_3repE0EEENS1_30default_config_static_selectorELNS0_4arch9wavefront6targetE0EEEvT1_,"axG",@progbits,_ZN7rocprim17ROCPRIM_400000_NS6detail17trampoline_kernelINS0_14default_configENS1_25partition_config_selectorILNS1_17partition_subalgoE8ElNS0_10empty_typeEbEEZZNS1_14partition_implILS5_8ELb0ES3_jPlPS6_PKS6_NS0_5tupleIJS9_S6_EEENSD_IJSA_SA_EEENS0_18inequality_wrapperIZN2at6native12_GLOBAL__N_124unique_dim_cuda_templateImEESt5tupleIJNSH_6TensorESM_SM_EERKSM_lbbbEUlllE0_EEPmJS6_EEE10hipError_tPvRmT3_T4_T5_T6_T7_T9_mT8_P12ihipStream_tbDpT10_ENKUlT_T0_E_clISt17integral_constantIbLb1EES1C_EEDaS17_S18_EUlS17_E_NS1_11comp_targetILNS1_3genE0ELNS1_11target_archE4294967295ELNS1_3gpuE0ELNS1_3repE0EEENS1_30default_config_static_selectorELNS0_4arch9wavefront6targetE0EEEvT1_,comdat
	.globl	_ZN7rocprim17ROCPRIM_400000_NS6detail17trampoline_kernelINS0_14default_configENS1_25partition_config_selectorILNS1_17partition_subalgoE8ElNS0_10empty_typeEbEEZZNS1_14partition_implILS5_8ELb0ES3_jPlPS6_PKS6_NS0_5tupleIJS9_S6_EEENSD_IJSA_SA_EEENS0_18inequality_wrapperIZN2at6native12_GLOBAL__N_124unique_dim_cuda_templateImEESt5tupleIJNSH_6TensorESM_SM_EERKSM_lbbbEUlllE0_EEPmJS6_EEE10hipError_tPvRmT3_T4_T5_T6_T7_T9_mT8_P12ihipStream_tbDpT10_ENKUlT_T0_E_clISt17integral_constantIbLb1EES1C_EEDaS17_S18_EUlS17_E_NS1_11comp_targetILNS1_3genE0ELNS1_11target_archE4294967295ELNS1_3gpuE0ELNS1_3repE0EEENS1_30default_config_static_selectorELNS0_4arch9wavefront6targetE0EEEvT1_ ; -- Begin function _ZN7rocprim17ROCPRIM_400000_NS6detail17trampoline_kernelINS0_14default_configENS1_25partition_config_selectorILNS1_17partition_subalgoE8ElNS0_10empty_typeEbEEZZNS1_14partition_implILS5_8ELb0ES3_jPlPS6_PKS6_NS0_5tupleIJS9_S6_EEENSD_IJSA_SA_EEENS0_18inequality_wrapperIZN2at6native12_GLOBAL__N_124unique_dim_cuda_templateImEESt5tupleIJNSH_6TensorESM_SM_EERKSM_lbbbEUlllE0_EEPmJS6_EEE10hipError_tPvRmT3_T4_T5_T6_T7_T9_mT8_P12ihipStream_tbDpT10_ENKUlT_T0_E_clISt17integral_constantIbLb1EES1C_EEDaS17_S18_EUlS17_E_NS1_11comp_targetILNS1_3genE0ELNS1_11target_archE4294967295ELNS1_3gpuE0ELNS1_3repE0EEENS1_30default_config_static_selectorELNS0_4arch9wavefront6targetE0EEEvT1_
	.p2align	8
	.type	_ZN7rocprim17ROCPRIM_400000_NS6detail17trampoline_kernelINS0_14default_configENS1_25partition_config_selectorILNS1_17partition_subalgoE8ElNS0_10empty_typeEbEEZZNS1_14partition_implILS5_8ELb0ES3_jPlPS6_PKS6_NS0_5tupleIJS9_S6_EEENSD_IJSA_SA_EEENS0_18inequality_wrapperIZN2at6native12_GLOBAL__N_124unique_dim_cuda_templateImEESt5tupleIJNSH_6TensorESM_SM_EERKSM_lbbbEUlllE0_EEPmJS6_EEE10hipError_tPvRmT3_T4_T5_T6_T7_T9_mT8_P12ihipStream_tbDpT10_ENKUlT_T0_E_clISt17integral_constantIbLb1EES1C_EEDaS17_S18_EUlS17_E_NS1_11comp_targetILNS1_3genE0ELNS1_11target_archE4294967295ELNS1_3gpuE0ELNS1_3repE0EEENS1_30default_config_static_selectorELNS0_4arch9wavefront6targetE0EEEvT1_,@function
_ZN7rocprim17ROCPRIM_400000_NS6detail17trampoline_kernelINS0_14default_configENS1_25partition_config_selectorILNS1_17partition_subalgoE8ElNS0_10empty_typeEbEEZZNS1_14partition_implILS5_8ELb0ES3_jPlPS6_PKS6_NS0_5tupleIJS9_S6_EEENSD_IJSA_SA_EEENS0_18inequality_wrapperIZN2at6native12_GLOBAL__N_124unique_dim_cuda_templateImEESt5tupleIJNSH_6TensorESM_SM_EERKSM_lbbbEUlllE0_EEPmJS6_EEE10hipError_tPvRmT3_T4_T5_T6_T7_T9_mT8_P12ihipStream_tbDpT10_ENKUlT_T0_E_clISt17integral_constantIbLb1EES1C_EEDaS17_S18_EUlS17_E_NS1_11comp_targetILNS1_3genE0ELNS1_11target_archE4294967295ELNS1_3gpuE0ELNS1_3repE0EEENS1_30default_config_static_selectorELNS0_4arch9wavefront6targetE0EEEvT1_: ; @_ZN7rocprim17ROCPRIM_400000_NS6detail17trampoline_kernelINS0_14default_configENS1_25partition_config_selectorILNS1_17partition_subalgoE8ElNS0_10empty_typeEbEEZZNS1_14partition_implILS5_8ELb0ES3_jPlPS6_PKS6_NS0_5tupleIJS9_S6_EEENSD_IJSA_SA_EEENS0_18inequality_wrapperIZN2at6native12_GLOBAL__N_124unique_dim_cuda_templateImEESt5tupleIJNSH_6TensorESM_SM_EERKSM_lbbbEUlllE0_EEPmJS6_EEE10hipError_tPvRmT3_T4_T5_T6_T7_T9_mT8_P12ihipStream_tbDpT10_ENKUlT_T0_E_clISt17integral_constantIbLb1EES1C_EEDaS17_S18_EUlS17_E_NS1_11comp_targetILNS1_3genE0ELNS1_11target_archE4294967295ELNS1_3gpuE0ELNS1_3repE0EEENS1_30default_config_static_selectorELNS0_4arch9wavefront6targetE0EEEvT1_
; %bb.0:
	.section	.rodata,"a",@progbits
	.p2align	6, 0x0
	.amdhsa_kernel _ZN7rocprim17ROCPRIM_400000_NS6detail17trampoline_kernelINS0_14default_configENS1_25partition_config_selectorILNS1_17partition_subalgoE8ElNS0_10empty_typeEbEEZZNS1_14partition_implILS5_8ELb0ES3_jPlPS6_PKS6_NS0_5tupleIJS9_S6_EEENSD_IJSA_SA_EEENS0_18inequality_wrapperIZN2at6native12_GLOBAL__N_124unique_dim_cuda_templateImEESt5tupleIJNSH_6TensorESM_SM_EERKSM_lbbbEUlllE0_EEPmJS6_EEE10hipError_tPvRmT3_T4_T5_T6_T7_T9_mT8_P12ihipStream_tbDpT10_ENKUlT_T0_E_clISt17integral_constantIbLb1EES1C_EEDaS17_S18_EUlS17_E_NS1_11comp_targetILNS1_3genE0ELNS1_11target_archE4294967295ELNS1_3gpuE0ELNS1_3repE0EEENS1_30default_config_static_selectorELNS0_4arch9wavefront6targetE0EEEvT1_
		.amdhsa_group_segment_fixed_size 0
		.amdhsa_private_segment_fixed_size 0
		.amdhsa_kernarg_size 136
		.amdhsa_user_sgpr_count 15
		.amdhsa_user_sgpr_dispatch_ptr 0
		.amdhsa_user_sgpr_queue_ptr 0
		.amdhsa_user_sgpr_kernarg_segment_ptr 1
		.amdhsa_user_sgpr_dispatch_id 0
		.amdhsa_user_sgpr_private_segment_size 0
		.amdhsa_wavefront_size32 1
		.amdhsa_uses_dynamic_stack 0
		.amdhsa_enable_private_segment 0
		.amdhsa_system_sgpr_workgroup_id_x 1
		.amdhsa_system_sgpr_workgroup_id_y 0
		.amdhsa_system_sgpr_workgroup_id_z 0
		.amdhsa_system_sgpr_workgroup_info 0
		.amdhsa_system_vgpr_workitem_id 0
		.amdhsa_next_free_vgpr 1
		.amdhsa_next_free_sgpr 1
		.amdhsa_reserve_vcc 0
		.amdhsa_float_round_mode_32 0
		.amdhsa_float_round_mode_16_64 0
		.amdhsa_float_denorm_mode_32 3
		.amdhsa_float_denorm_mode_16_64 3
		.amdhsa_dx10_clamp 1
		.amdhsa_ieee_mode 1
		.amdhsa_fp16_overflow 0
		.amdhsa_workgroup_processor_mode 1
		.amdhsa_memory_ordered 1
		.amdhsa_forward_progress 0
		.amdhsa_shared_vgpr_count 0
		.amdhsa_exception_fp_ieee_invalid_op 0
		.amdhsa_exception_fp_denorm_src 0
		.amdhsa_exception_fp_ieee_div_zero 0
		.amdhsa_exception_fp_ieee_overflow 0
		.amdhsa_exception_fp_ieee_underflow 0
		.amdhsa_exception_fp_ieee_inexact 0
		.amdhsa_exception_int_div_zero 0
	.end_amdhsa_kernel
	.section	.text._ZN7rocprim17ROCPRIM_400000_NS6detail17trampoline_kernelINS0_14default_configENS1_25partition_config_selectorILNS1_17partition_subalgoE8ElNS0_10empty_typeEbEEZZNS1_14partition_implILS5_8ELb0ES3_jPlPS6_PKS6_NS0_5tupleIJS9_S6_EEENSD_IJSA_SA_EEENS0_18inequality_wrapperIZN2at6native12_GLOBAL__N_124unique_dim_cuda_templateImEESt5tupleIJNSH_6TensorESM_SM_EERKSM_lbbbEUlllE0_EEPmJS6_EEE10hipError_tPvRmT3_T4_T5_T6_T7_T9_mT8_P12ihipStream_tbDpT10_ENKUlT_T0_E_clISt17integral_constantIbLb1EES1C_EEDaS17_S18_EUlS17_E_NS1_11comp_targetILNS1_3genE0ELNS1_11target_archE4294967295ELNS1_3gpuE0ELNS1_3repE0EEENS1_30default_config_static_selectorELNS0_4arch9wavefront6targetE0EEEvT1_,"axG",@progbits,_ZN7rocprim17ROCPRIM_400000_NS6detail17trampoline_kernelINS0_14default_configENS1_25partition_config_selectorILNS1_17partition_subalgoE8ElNS0_10empty_typeEbEEZZNS1_14partition_implILS5_8ELb0ES3_jPlPS6_PKS6_NS0_5tupleIJS9_S6_EEENSD_IJSA_SA_EEENS0_18inequality_wrapperIZN2at6native12_GLOBAL__N_124unique_dim_cuda_templateImEESt5tupleIJNSH_6TensorESM_SM_EERKSM_lbbbEUlllE0_EEPmJS6_EEE10hipError_tPvRmT3_T4_T5_T6_T7_T9_mT8_P12ihipStream_tbDpT10_ENKUlT_T0_E_clISt17integral_constantIbLb1EES1C_EEDaS17_S18_EUlS17_E_NS1_11comp_targetILNS1_3genE0ELNS1_11target_archE4294967295ELNS1_3gpuE0ELNS1_3repE0EEENS1_30default_config_static_selectorELNS0_4arch9wavefront6targetE0EEEvT1_,comdat
.Lfunc_end1669:
	.size	_ZN7rocprim17ROCPRIM_400000_NS6detail17trampoline_kernelINS0_14default_configENS1_25partition_config_selectorILNS1_17partition_subalgoE8ElNS0_10empty_typeEbEEZZNS1_14partition_implILS5_8ELb0ES3_jPlPS6_PKS6_NS0_5tupleIJS9_S6_EEENSD_IJSA_SA_EEENS0_18inequality_wrapperIZN2at6native12_GLOBAL__N_124unique_dim_cuda_templateImEESt5tupleIJNSH_6TensorESM_SM_EERKSM_lbbbEUlllE0_EEPmJS6_EEE10hipError_tPvRmT3_T4_T5_T6_T7_T9_mT8_P12ihipStream_tbDpT10_ENKUlT_T0_E_clISt17integral_constantIbLb1EES1C_EEDaS17_S18_EUlS17_E_NS1_11comp_targetILNS1_3genE0ELNS1_11target_archE4294967295ELNS1_3gpuE0ELNS1_3repE0EEENS1_30default_config_static_selectorELNS0_4arch9wavefront6targetE0EEEvT1_, .Lfunc_end1669-_ZN7rocprim17ROCPRIM_400000_NS6detail17trampoline_kernelINS0_14default_configENS1_25partition_config_selectorILNS1_17partition_subalgoE8ElNS0_10empty_typeEbEEZZNS1_14partition_implILS5_8ELb0ES3_jPlPS6_PKS6_NS0_5tupleIJS9_S6_EEENSD_IJSA_SA_EEENS0_18inequality_wrapperIZN2at6native12_GLOBAL__N_124unique_dim_cuda_templateImEESt5tupleIJNSH_6TensorESM_SM_EERKSM_lbbbEUlllE0_EEPmJS6_EEE10hipError_tPvRmT3_T4_T5_T6_T7_T9_mT8_P12ihipStream_tbDpT10_ENKUlT_T0_E_clISt17integral_constantIbLb1EES1C_EEDaS17_S18_EUlS17_E_NS1_11comp_targetILNS1_3genE0ELNS1_11target_archE4294967295ELNS1_3gpuE0ELNS1_3repE0EEENS1_30default_config_static_selectorELNS0_4arch9wavefront6targetE0EEEvT1_
                                        ; -- End function
	.section	.AMDGPU.csdata,"",@progbits
; Kernel info:
; codeLenInByte = 0
; NumSgprs: 0
; NumVgprs: 0
; ScratchSize: 0
; MemoryBound: 0
; FloatMode: 240
; IeeeMode: 1
; LDSByteSize: 0 bytes/workgroup (compile time only)
; SGPRBlocks: 0
; VGPRBlocks: 0
; NumSGPRsForWavesPerEU: 1
; NumVGPRsForWavesPerEU: 1
; Occupancy: 16
; WaveLimiterHint : 0
; COMPUTE_PGM_RSRC2:SCRATCH_EN: 0
; COMPUTE_PGM_RSRC2:USER_SGPR: 15
; COMPUTE_PGM_RSRC2:TRAP_HANDLER: 0
; COMPUTE_PGM_RSRC2:TGID_X_EN: 1
; COMPUTE_PGM_RSRC2:TGID_Y_EN: 0
; COMPUTE_PGM_RSRC2:TGID_Z_EN: 0
; COMPUTE_PGM_RSRC2:TIDIG_COMP_CNT: 0
	.section	.text._ZN7rocprim17ROCPRIM_400000_NS6detail17trampoline_kernelINS0_14default_configENS1_25partition_config_selectorILNS1_17partition_subalgoE8ElNS0_10empty_typeEbEEZZNS1_14partition_implILS5_8ELb0ES3_jPlPS6_PKS6_NS0_5tupleIJS9_S6_EEENSD_IJSA_SA_EEENS0_18inequality_wrapperIZN2at6native12_GLOBAL__N_124unique_dim_cuda_templateImEESt5tupleIJNSH_6TensorESM_SM_EERKSM_lbbbEUlllE0_EEPmJS6_EEE10hipError_tPvRmT3_T4_T5_T6_T7_T9_mT8_P12ihipStream_tbDpT10_ENKUlT_T0_E_clISt17integral_constantIbLb1EES1C_EEDaS17_S18_EUlS17_E_NS1_11comp_targetILNS1_3genE5ELNS1_11target_archE942ELNS1_3gpuE9ELNS1_3repE0EEENS1_30default_config_static_selectorELNS0_4arch9wavefront6targetE0EEEvT1_,"axG",@progbits,_ZN7rocprim17ROCPRIM_400000_NS6detail17trampoline_kernelINS0_14default_configENS1_25partition_config_selectorILNS1_17partition_subalgoE8ElNS0_10empty_typeEbEEZZNS1_14partition_implILS5_8ELb0ES3_jPlPS6_PKS6_NS0_5tupleIJS9_S6_EEENSD_IJSA_SA_EEENS0_18inequality_wrapperIZN2at6native12_GLOBAL__N_124unique_dim_cuda_templateImEESt5tupleIJNSH_6TensorESM_SM_EERKSM_lbbbEUlllE0_EEPmJS6_EEE10hipError_tPvRmT3_T4_T5_T6_T7_T9_mT8_P12ihipStream_tbDpT10_ENKUlT_T0_E_clISt17integral_constantIbLb1EES1C_EEDaS17_S18_EUlS17_E_NS1_11comp_targetILNS1_3genE5ELNS1_11target_archE942ELNS1_3gpuE9ELNS1_3repE0EEENS1_30default_config_static_selectorELNS0_4arch9wavefront6targetE0EEEvT1_,comdat
	.globl	_ZN7rocprim17ROCPRIM_400000_NS6detail17trampoline_kernelINS0_14default_configENS1_25partition_config_selectorILNS1_17partition_subalgoE8ElNS0_10empty_typeEbEEZZNS1_14partition_implILS5_8ELb0ES3_jPlPS6_PKS6_NS0_5tupleIJS9_S6_EEENSD_IJSA_SA_EEENS0_18inequality_wrapperIZN2at6native12_GLOBAL__N_124unique_dim_cuda_templateImEESt5tupleIJNSH_6TensorESM_SM_EERKSM_lbbbEUlllE0_EEPmJS6_EEE10hipError_tPvRmT3_T4_T5_T6_T7_T9_mT8_P12ihipStream_tbDpT10_ENKUlT_T0_E_clISt17integral_constantIbLb1EES1C_EEDaS17_S18_EUlS17_E_NS1_11comp_targetILNS1_3genE5ELNS1_11target_archE942ELNS1_3gpuE9ELNS1_3repE0EEENS1_30default_config_static_selectorELNS0_4arch9wavefront6targetE0EEEvT1_ ; -- Begin function _ZN7rocprim17ROCPRIM_400000_NS6detail17trampoline_kernelINS0_14default_configENS1_25partition_config_selectorILNS1_17partition_subalgoE8ElNS0_10empty_typeEbEEZZNS1_14partition_implILS5_8ELb0ES3_jPlPS6_PKS6_NS0_5tupleIJS9_S6_EEENSD_IJSA_SA_EEENS0_18inequality_wrapperIZN2at6native12_GLOBAL__N_124unique_dim_cuda_templateImEESt5tupleIJNSH_6TensorESM_SM_EERKSM_lbbbEUlllE0_EEPmJS6_EEE10hipError_tPvRmT3_T4_T5_T6_T7_T9_mT8_P12ihipStream_tbDpT10_ENKUlT_T0_E_clISt17integral_constantIbLb1EES1C_EEDaS17_S18_EUlS17_E_NS1_11comp_targetILNS1_3genE5ELNS1_11target_archE942ELNS1_3gpuE9ELNS1_3repE0EEENS1_30default_config_static_selectorELNS0_4arch9wavefront6targetE0EEEvT1_
	.p2align	8
	.type	_ZN7rocprim17ROCPRIM_400000_NS6detail17trampoline_kernelINS0_14default_configENS1_25partition_config_selectorILNS1_17partition_subalgoE8ElNS0_10empty_typeEbEEZZNS1_14partition_implILS5_8ELb0ES3_jPlPS6_PKS6_NS0_5tupleIJS9_S6_EEENSD_IJSA_SA_EEENS0_18inequality_wrapperIZN2at6native12_GLOBAL__N_124unique_dim_cuda_templateImEESt5tupleIJNSH_6TensorESM_SM_EERKSM_lbbbEUlllE0_EEPmJS6_EEE10hipError_tPvRmT3_T4_T5_T6_T7_T9_mT8_P12ihipStream_tbDpT10_ENKUlT_T0_E_clISt17integral_constantIbLb1EES1C_EEDaS17_S18_EUlS17_E_NS1_11comp_targetILNS1_3genE5ELNS1_11target_archE942ELNS1_3gpuE9ELNS1_3repE0EEENS1_30default_config_static_selectorELNS0_4arch9wavefront6targetE0EEEvT1_,@function
_ZN7rocprim17ROCPRIM_400000_NS6detail17trampoline_kernelINS0_14default_configENS1_25partition_config_selectorILNS1_17partition_subalgoE8ElNS0_10empty_typeEbEEZZNS1_14partition_implILS5_8ELb0ES3_jPlPS6_PKS6_NS0_5tupleIJS9_S6_EEENSD_IJSA_SA_EEENS0_18inequality_wrapperIZN2at6native12_GLOBAL__N_124unique_dim_cuda_templateImEESt5tupleIJNSH_6TensorESM_SM_EERKSM_lbbbEUlllE0_EEPmJS6_EEE10hipError_tPvRmT3_T4_T5_T6_T7_T9_mT8_P12ihipStream_tbDpT10_ENKUlT_T0_E_clISt17integral_constantIbLb1EES1C_EEDaS17_S18_EUlS17_E_NS1_11comp_targetILNS1_3genE5ELNS1_11target_archE942ELNS1_3gpuE9ELNS1_3repE0EEENS1_30default_config_static_selectorELNS0_4arch9wavefront6targetE0EEEvT1_: ; @_ZN7rocprim17ROCPRIM_400000_NS6detail17trampoline_kernelINS0_14default_configENS1_25partition_config_selectorILNS1_17partition_subalgoE8ElNS0_10empty_typeEbEEZZNS1_14partition_implILS5_8ELb0ES3_jPlPS6_PKS6_NS0_5tupleIJS9_S6_EEENSD_IJSA_SA_EEENS0_18inequality_wrapperIZN2at6native12_GLOBAL__N_124unique_dim_cuda_templateImEESt5tupleIJNSH_6TensorESM_SM_EERKSM_lbbbEUlllE0_EEPmJS6_EEE10hipError_tPvRmT3_T4_T5_T6_T7_T9_mT8_P12ihipStream_tbDpT10_ENKUlT_T0_E_clISt17integral_constantIbLb1EES1C_EEDaS17_S18_EUlS17_E_NS1_11comp_targetILNS1_3genE5ELNS1_11target_archE942ELNS1_3gpuE9ELNS1_3repE0EEENS1_30default_config_static_selectorELNS0_4arch9wavefront6targetE0EEEvT1_
; %bb.0:
	.section	.rodata,"a",@progbits
	.p2align	6, 0x0
	.amdhsa_kernel _ZN7rocprim17ROCPRIM_400000_NS6detail17trampoline_kernelINS0_14default_configENS1_25partition_config_selectorILNS1_17partition_subalgoE8ElNS0_10empty_typeEbEEZZNS1_14partition_implILS5_8ELb0ES3_jPlPS6_PKS6_NS0_5tupleIJS9_S6_EEENSD_IJSA_SA_EEENS0_18inequality_wrapperIZN2at6native12_GLOBAL__N_124unique_dim_cuda_templateImEESt5tupleIJNSH_6TensorESM_SM_EERKSM_lbbbEUlllE0_EEPmJS6_EEE10hipError_tPvRmT3_T4_T5_T6_T7_T9_mT8_P12ihipStream_tbDpT10_ENKUlT_T0_E_clISt17integral_constantIbLb1EES1C_EEDaS17_S18_EUlS17_E_NS1_11comp_targetILNS1_3genE5ELNS1_11target_archE942ELNS1_3gpuE9ELNS1_3repE0EEENS1_30default_config_static_selectorELNS0_4arch9wavefront6targetE0EEEvT1_
		.amdhsa_group_segment_fixed_size 0
		.amdhsa_private_segment_fixed_size 0
		.amdhsa_kernarg_size 136
		.amdhsa_user_sgpr_count 15
		.amdhsa_user_sgpr_dispatch_ptr 0
		.amdhsa_user_sgpr_queue_ptr 0
		.amdhsa_user_sgpr_kernarg_segment_ptr 1
		.amdhsa_user_sgpr_dispatch_id 0
		.amdhsa_user_sgpr_private_segment_size 0
		.amdhsa_wavefront_size32 1
		.amdhsa_uses_dynamic_stack 0
		.amdhsa_enable_private_segment 0
		.amdhsa_system_sgpr_workgroup_id_x 1
		.amdhsa_system_sgpr_workgroup_id_y 0
		.amdhsa_system_sgpr_workgroup_id_z 0
		.amdhsa_system_sgpr_workgroup_info 0
		.amdhsa_system_vgpr_workitem_id 0
		.amdhsa_next_free_vgpr 1
		.amdhsa_next_free_sgpr 1
		.amdhsa_reserve_vcc 0
		.amdhsa_float_round_mode_32 0
		.amdhsa_float_round_mode_16_64 0
		.amdhsa_float_denorm_mode_32 3
		.amdhsa_float_denorm_mode_16_64 3
		.amdhsa_dx10_clamp 1
		.amdhsa_ieee_mode 1
		.amdhsa_fp16_overflow 0
		.amdhsa_workgroup_processor_mode 1
		.amdhsa_memory_ordered 1
		.amdhsa_forward_progress 0
		.amdhsa_shared_vgpr_count 0
		.amdhsa_exception_fp_ieee_invalid_op 0
		.amdhsa_exception_fp_denorm_src 0
		.amdhsa_exception_fp_ieee_div_zero 0
		.amdhsa_exception_fp_ieee_overflow 0
		.amdhsa_exception_fp_ieee_underflow 0
		.amdhsa_exception_fp_ieee_inexact 0
		.amdhsa_exception_int_div_zero 0
	.end_amdhsa_kernel
	.section	.text._ZN7rocprim17ROCPRIM_400000_NS6detail17trampoline_kernelINS0_14default_configENS1_25partition_config_selectorILNS1_17partition_subalgoE8ElNS0_10empty_typeEbEEZZNS1_14partition_implILS5_8ELb0ES3_jPlPS6_PKS6_NS0_5tupleIJS9_S6_EEENSD_IJSA_SA_EEENS0_18inequality_wrapperIZN2at6native12_GLOBAL__N_124unique_dim_cuda_templateImEESt5tupleIJNSH_6TensorESM_SM_EERKSM_lbbbEUlllE0_EEPmJS6_EEE10hipError_tPvRmT3_T4_T5_T6_T7_T9_mT8_P12ihipStream_tbDpT10_ENKUlT_T0_E_clISt17integral_constantIbLb1EES1C_EEDaS17_S18_EUlS17_E_NS1_11comp_targetILNS1_3genE5ELNS1_11target_archE942ELNS1_3gpuE9ELNS1_3repE0EEENS1_30default_config_static_selectorELNS0_4arch9wavefront6targetE0EEEvT1_,"axG",@progbits,_ZN7rocprim17ROCPRIM_400000_NS6detail17trampoline_kernelINS0_14default_configENS1_25partition_config_selectorILNS1_17partition_subalgoE8ElNS0_10empty_typeEbEEZZNS1_14partition_implILS5_8ELb0ES3_jPlPS6_PKS6_NS0_5tupleIJS9_S6_EEENSD_IJSA_SA_EEENS0_18inequality_wrapperIZN2at6native12_GLOBAL__N_124unique_dim_cuda_templateImEESt5tupleIJNSH_6TensorESM_SM_EERKSM_lbbbEUlllE0_EEPmJS6_EEE10hipError_tPvRmT3_T4_T5_T6_T7_T9_mT8_P12ihipStream_tbDpT10_ENKUlT_T0_E_clISt17integral_constantIbLb1EES1C_EEDaS17_S18_EUlS17_E_NS1_11comp_targetILNS1_3genE5ELNS1_11target_archE942ELNS1_3gpuE9ELNS1_3repE0EEENS1_30default_config_static_selectorELNS0_4arch9wavefront6targetE0EEEvT1_,comdat
.Lfunc_end1670:
	.size	_ZN7rocprim17ROCPRIM_400000_NS6detail17trampoline_kernelINS0_14default_configENS1_25partition_config_selectorILNS1_17partition_subalgoE8ElNS0_10empty_typeEbEEZZNS1_14partition_implILS5_8ELb0ES3_jPlPS6_PKS6_NS0_5tupleIJS9_S6_EEENSD_IJSA_SA_EEENS0_18inequality_wrapperIZN2at6native12_GLOBAL__N_124unique_dim_cuda_templateImEESt5tupleIJNSH_6TensorESM_SM_EERKSM_lbbbEUlllE0_EEPmJS6_EEE10hipError_tPvRmT3_T4_T5_T6_T7_T9_mT8_P12ihipStream_tbDpT10_ENKUlT_T0_E_clISt17integral_constantIbLb1EES1C_EEDaS17_S18_EUlS17_E_NS1_11comp_targetILNS1_3genE5ELNS1_11target_archE942ELNS1_3gpuE9ELNS1_3repE0EEENS1_30default_config_static_selectorELNS0_4arch9wavefront6targetE0EEEvT1_, .Lfunc_end1670-_ZN7rocprim17ROCPRIM_400000_NS6detail17trampoline_kernelINS0_14default_configENS1_25partition_config_selectorILNS1_17partition_subalgoE8ElNS0_10empty_typeEbEEZZNS1_14partition_implILS5_8ELb0ES3_jPlPS6_PKS6_NS0_5tupleIJS9_S6_EEENSD_IJSA_SA_EEENS0_18inequality_wrapperIZN2at6native12_GLOBAL__N_124unique_dim_cuda_templateImEESt5tupleIJNSH_6TensorESM_SM_EERKSM_lbbbEUlllE0_EEPmJS6_EEE10hipError_tPvRmT3_T4_T5_T6_T7_T9_mT8_P12ihipStream_tbDpT10_ENKUlT_T0_E_clISt17integral_constantIbLb1EES1C_EEDaS17_S18_EUlS17_E_NS1_11comp_targetILNS1_3genE5ELNS1_11target_archE942ELNS1_3gpuE9ELNS1_3repE0EEENS1_30default_config_static_selectorELNS0_4arch9wavefront6targetE0EEEvT1_
                                        ; -- End function
	.section	.AMDGPU.csdata,"",@progbits
; Kernel info:
; codeLenInByte = 0
; NumSgprs: 0
; NumVgprs: 0
; ScratchSize: 0
; MemoryBound: 0
; FloatMode: 240
; IeeeMode: 1
; LDSByteSize: 0 bytes/workgroup (compile time only)
; SGPRBlocks: 0
; VGPRBlocks: 0
; NumSGPRsForWavesPerEU: 1
; NumVGPRsForWavesPerEU: 1
; Occupancy: 16
; WaveLimiterHint : 0
; COMPUTE_PGM_RSRC2:SCRATCH_EN: 0
; COMPUTE_PGM_RSRC2:USER_SGPR: 15
; COMPUTE_PGM_RSRC2:TRAP_HANDLER: 0
; COMPUTE_PGM_RSRC2:TGID_X_EN: 1
; COMPUTE_PGM_RSRC2:TGID_Y_EN: 0
; COMPUTE_PGM_RSRC2:TGID_Z_EN: 0
; COMPUTE_PGM_RSRC2:TIDIG_COMP_CNT: 0
	.section	.text._ZN7rocprim17ROCPRIM_400000_NS6detail17trampoline_kernelINS0_14default_configENS1_25partition_config_selectorILNS1_17partition_subalgoE8ElNS0_10empty_typeEbEEZZNS1_14partition_implILS5_8ELb0ES3_jPlPS6_PKS6_NS0_5tupleIJS9_S6_EEENSD_IJSA_SA_EEENS0_18inequality_wrapperIZN2at6native12_GLOBAL__N_124unique_dim_cuda_templateImEESt5tupleIJNSH_6TensorESM_SM_EERKSM_lbbbEUlllE0_EEPmJS6_EEE10hipError_tPvRmT3_T4_T5_T6_T7_T9_mT8_P12ihipStream_tbDpT10_ENKUlT_T0_E_clISt17integral_constantIbLb1EES1C_EEDaS17_S18_EUlS17_E_NS1_11comp_targetILNS1_3genE4ELNS1_11target_archE910ELNS1_3gpuE8ELNS1_3repE0EEENS1_30default_config_static_selectorELNS0_4arch9wavefront6targetE0EEEvT1_,"axG",@progbits,_ZN7rocprim17ROCPRIM_400000_NS6detail17trampoline_kernelINS0_14default_configENS1_25partition_config_selectorILNS1_17partition_subalgoE8ElNS0_10empty_typeEbEEZZNS1_14partition_implILS5_8ELb0ES3_jPlPS6_PKS6_NS0_5tupleIJS9_S6_EEENSD_IJSA_SA_EEENS0_18inequality_wrapperIZN2at6native12_GLOBAL__N_124unique_dim_cuda_templateImEESt5tupleIJNSH_6TensorESM_SM_EERKSM_lbbbEUlllE0_EEPmJS6_EEE10hipError_tPvRmT3_T4_T5_T6_T7_T9_mT8_P12ihipStream_tbDpT10_ENKUlT_T0_E_clISt17integral_constantIbLb1EES1C_EEDaS17_S18_EUlS17_E_NS1_11comp_targetILNS1_3genE4ELNS1_11target_archE910ELNS1_3gpuE8ELNS1_3repE0EEENS1_30default_config_static_selectorELNS0_4arch9wavefront6targetE0EEEvT1_,comdat
	.globl	_ZN7rocprim17ROCPRIM_400000_NS6detail17trampoline_kernelINS0_14default_configENS1_25partition_config_selectorILNS1_17partition_subalgoE8ElNS0_10empty_typeEbEEZZNS1_14partition_implILS5_8ELb0ES3_jPlPS6_PKS6_NS0_5tupleIJS9_S6_EEENSD_IJSA_SA_EEENS0_18inequality_wrapperIZN2at6native12_GLOBAL__N_124unique_dim_cuda_templateImEESt5tupleIJNSH_6TensorESM_SM_EERKSM_lbbbEUlllE0_EEPmJS6_EEE10hipError_tPvRmT3_T4_T5_T6_T7_T9_mT8_P12ihipStream_tbDpT10_ENKUlT_T0_E_clISt17integral_constantIbLb1EES1C_EEDaS17_S18_EUlS17_E_NS1_11comp_targetILNS1_3genE4ELNS1_11target_archE910ELNS1_3gpuE8ELNS1_3repE0EEENS1_30default_config_static_selectorELNS0_4arch9wavefront6targetE0EEEvT1_ ; -- Begin function _ZN7rocprim17ROCPRIM_400000_NS6detail17trampoline_kernelINS0_14default_configENS1_25partition_config_selectorILNS1_17partition_subalgoE8ElNS0_10empty_typeEbEEZZNS1_14partition_implILS5_8ELb0ES3_jPlPS6_PKS6_NS0_5tupleIJS9_S6_EEENSD_IJSA_SA_EEENS0_18inequality_wrapperIZN2at6native12_GLOBAL__N_124unique_dim_cuda_templateImEESt5tupleIJNSH_6TensorESM_SM_EERKSM_lbbbEUlllE0_EEPmJS6_EEE10hipError_tPvRmT3_T4_T5_T6_T7_T9_mT8_P12ihipStream_tbDpT10_ENKUlT_T0_E_clISt17integral_constantIbLb1EES1C_EEDaS17_S18_EUlS17_E_NS1_11comp_targetILNS1_3genE4ELNS1_11target_archE910ELNS1_3gpuE8ELNS1_3repE0EEENS1_30default_config_static_selectorELNS0_4arch9wavefront6targetE0EEEvT1_
	.p2align	8
	.type	_ZN7rocprim17ROCPRIM_400000_NS6detail17trampoline_kernelINS0_14default_configENS1_25partition_config_selectorILNS1_17partition_subalgoE8ElNS0_10empty_typeEbEEZZNS1_14partition_implILS5_8ELb0ES3_jPlPS6_PKS6_NS0_5tupleIJS9_S6_EEENSD_IJSA_SA_EEENS0_18inequality_wrapperIZN2at6native12_GLOBAL__N_124unique_dim_cuda_templateImEESt5tupleIJNSH_6TensorESM_SM_EERKSM_lbbbEUlllE0_EEPmJS6_EEE10hipError_tPvRmT3_T4_T5_T6_T7_T9_mT8_P12ihipStream_tbDpT10_ENKUlT_T0_E_clISt17integral_constantIbLb1EES1C_EEDaS17_S18_EUlS17_E_NS1_11comp_targetILNS1_3genE4ELNS1_11target_archE910ELNS1_3gpuE8ELNS1_3repE0EEENS1_30default_config_static_selectorELNS0_4arch9wavefront6targetE0EEEvT1_,@function
_ZN7rocprim17ROCPRIM_400000_NS6detail17trampoline_kernelINS0_14default_configENS1_25partition_config_selectorILNS1_17partition_subalgoE8ElNS0_10empty_typeEbEEZZNS1_14partition_implILS5_8ELb0ES3_jPlPS6_PKS6_NS0_5tupleIJS9_S6_EEENSD_IJSA_SA_EEENS0_18inequality_wrapperIZN2at6native12_GLOBAL__N_124unique_dim_cuda_templateImEESt5tupleIJNSH_6TensorESM_SM_EERKSM_lbbbEUlllE0_EEPmJS6_EEE10hipError_tPvRmT3_T4_T5_T6_T7_T9_mT8_P12ihipStream_tbDpT10_ENKUlT_T0_E_clISt17integral_constantIbLb1EES1C_EEDaS17_S18_EUlS17_E_NS1_11comp_targetILNS1_3genE4ELNS1_11target_archE910ELNS1_3gpuE8ELNS1_3repE0EEENS1_30default_config_static_selectorELNS0_4arch9wavefront6targetE0EEEvT1_: ; @_ZN7rocprim17ROCPRIM_400000_NS6detail17trampoline_kernelINS0_14default_configENS1_25partition_config_selectorILNS1_17partition_subalgoE8ElNS0_10empty_typeEbEEZZNS1_14partition_implILS5_8ELb0ES3_jPlPS6_PKS6_NS0_5tupleIJS9_S6_EEENSD_IJSA_SA_EEENS0_18inequality_wrapperIZN2at6native12_GLOBAL__N_124unique_dim_cuda_templateImEESt5tupleIJNSH_6TensorESM_SM_EERKSM_lbbbEUlllE0_EEPmJS6_EEE10hipError_tPvRmT3_T4_T5_T6_T7_T9_mT8_P12ihipStream_tbDpT10_ENKUlT_T0_E_clISt17integral_constantIbLb1EES1C_EEDaS17_S18_EUlS17_E_NS1_11comp_targetILNS1_3genE4ELNS1_11target_archE910ELNS1_3gpuE8ELNS1_3repE0EEENS1_30default_config_static_selectorELNS0_4arch9wavefront6targetE0EEEvT1_
; %bb.0:
	.section	.rodata,"a",@progbits
	.p2align	6, 0x0
	.amdhsa_kernel _ZN7rocprim17ROCPRIM_400000_NS6detail17trampoline_kernelINS0_14default_configENS1_25partition_config_selectorILNS1_17partition_subalgoE8ElNS0_10empty_typeEbEEZZNS1_14partition_implILS5_8ELb0ES3_jPlPS6_PKS6_NS0_5tupleIJS9_S6_EEENSD_IJSA_SA_EEENS0_18inequality_wrapperIZN2at6native12_GLOBAL__N_124unique_dim_cuda_templateImEESt5tupleIJNSH_6TensorESM_SM_EERKSM_lbbbEUlllE0_EEPmJS6_EEE10hipError_tPvRmT3_T4_T5_T6_T7_T9_mT8_P12ihipStream_tbDpT10_ENKUlT_T0_E_clISt17integral_constantIbLb1EES1C_EEDaS17_S18_EUlS17_E_NS1_11comp_targetILNS1_3genE4ELNS1_11target_archE910ELNS1_3gpuE8ELNS1_3repE0EEENS1_30default_config_static_selectorELNS0_4arch9wavefront6targetE0EEEvT1_
		.amdhsa_group_segment_fixed_size 0
		.amdhsa_private_segment_fixed_size 0
		.amdhsa_kernarg_size 136
		.amdhsa_user_sgpr_count 15
		.amdhsa_user_sgpr_dispatch_ptr 0
		.amdhsa_user_sgpr_queue_ptr 0
		.amdhsa_user_sgpr_kernarg_segment_ptr 1
		.amdhsa_user_sgpr_dispatch_id 0
		.amdhsa_user_sgpr_private_segment_size 0
		.amdhsa_wavefront_size32 1
		.amdhsa_uses_dynamic_stack 0
		.amdhsa_enable_private_segment 0
		.amdhsa_system_sgpr_workgroup_id_x 1
		.amdhsa_system_sgpr_workgroup_id_y 0
		.amdhsa_system_sgpr_workgroup_id_z 0
		.amdhsa_system_sgpr_workgroup_info 0
		.amdhsa_system_vgpr_workitem_id 0
		.amdhsa_next_free_vgpr 1
		.amdhsa_next_free_sgpr 1
		.amdhsa_reserve_vcc 0
		.amdhsa_float_round_mode_32 0
		.amdhsa_float_round_mode_16_64 0
		.amdhsa_float_denorm_mode_32 3
		.amdhsa_float_denorm_mode_16_64 3
		.amdhsa_dx10_clamp 1
		.amdhsa_ieee_mode 1
		.amdhsa_fp16_overflow 0
		.amdhsa_workgroup_processor_mode 1
		.amdhsa_memory_ordered 1
		.amdhsa_forward_progress 0
		.amdhsa_shared_vgpr_count 0
		.amdhsa_exception_fp_ieee_invalid_op 0
		.amdhsa_exception_fp_denorm_src 0
		.amdhsa_exception_fp_ieee_div_zero 0
		.amdhsa_exception_fp_ieee_overflow 0
		.amdhsa_exception_fp_ieee_underflow 0
		.amdhsa_exception_fp_ieee_inexact 0
		.amdhsa_exception_int_div_zero 0
	.end_amdhsa_kernel
	.section	.text._ZN7rocprim17ROCPRIM_400000_NS6detail17trampoline_kernelINS0_14default_configENS1_25partition_config_selectorILNS1_17partition_subalgoE8ElNS0_10empty_typeEbEEZZNS1_14partition_implILS5_8ELb0ES3_jPlPS6_PKS6_NS0_5tupleIJS9_S6_EEENSD_IJSA_SA_EEENS0_18inequality_wrapperIZN2at6native12_GLOBAL__N_124unique_dim_cuda_templateImEESt5tupleIJNSH_6TensorESM_SM_EERKSM_lbbbEUlllE0_EEPmJS6_EEE10hipError_tPvRmT3_T4_T5_T6_T7_T9_mT8_P12ihipStream_tbDpT10_ENKUlT_T0_E_clISt17integral_constantIbLb1EES1C_EEDaS17_S18_EUlS17_E_NS1_11comp_targetILNS1_3genE4ELNS1_11target_archE910ELNS1_3gpuE8ELNS1_3repE0EEENS1_30default_config_static_selectorELNS0_4arch9wavefront6targetE0EEEvT1_,"axG",@progbits,_ZN7rocprim17ROCPRIM_400000_NS6detail17trampoline_kernelINS0_14default_configENS1_25partition_config_selectorILNS1_17partition_subalgoE8ElNS0_10empty_typeEbEEZZNS1_14partition_implILS5_8ELb0ES3_jPlPS6_PKS6_NS0_5tupleIJS9_S6_EEENSD_IJSA_SA_EEENS0_18inequality_wrapperIZN2at6native12_GLOBAL__N_124unique_dim_cuda_templateImEESt5tupleIJNSH_6TensorESM_SM_EERKSM_lbbbEUlllE0_EEPmJS6_EEE10hipError_tPvRmT3_T4_T5_T6_T7_T9_mT8_P12ihipStream_tbDpT10_ENKUlT_T0_E_clISt17integral_constantIbLb1EES1C_EEDaS17_S18_EUlS17_E_NS1_11comp_targetILNS1_3genE4ELNS1_11target_archE910ELNS1_3gpuE8ELNS1_3repE0EEENS1_30default_config_static_selectorELNS0_4arch9wavefront6targetE0EEEvT1_,comdat
.Lfunc_end1671:
	.size	_ZN7rocprim17ROCPRIM_400000_NS6detail17trampoline_kernelINS0_14default_configENS1_25partition_config_selectorILNS1_17partition_subalgoE8ElNS0_10empty_typeEbEEZZNS1_14partition_implILS5_8ELb0ES3_jPlPS6_PKS6_NS0_5tupleIJS9_S6_EEENSD_IJSA_SA_EEENS0_18inequality_wrapperIZN2at6native12_GLOBAL__N_124unique_dim_cuda_templateImEESt5tupleIJNSH_6TensorESM_SM_EERKSM_lbbbEUlllE0_EEPmJS6_EEE10hipError_tPvRmT3_T4_T5_T6_T7_T9_mT8_P12ihipStream_tbDpT10_ENKUlT_T0_E_clISt17integral_constantIbLb1EES1C_EEDaS17_S18_EUlS17_E_NS1_11comp_targetILNS1_3genE4ELNS1_11target_archE910ELNS1_3gpuE8ELNS1_3repE0EEENS1_30default_config_static_selectorELNS0_4arch9wavefront6targetE0EEEvT1_, .Lfunc_end1671-_ZN7rocprim17ROCPRIM_400000_NS6detail17trampoline_kernelINS0_14default_configENS1_25partition_config_selectorILNS1_17partition_subalgoE8ElNS0_10empty_typeEbEEZZNS1_14partition_implILS5_8ELb0ES3_jPlPS6_PKS6_NS0_5tupleIJS9_S6_EEENSD_IJSA_SA_EEENS0_18inequality_wrapperIZN2at6native12_GLOBAL__N_124unique_dim_cuda_templateImEESt5tupleIJNSH_6TensorESM_SM_EERKSM_lbbbEUlllE0_EEPmJS6_EEE10hipError_tPvRmT3_T4_T5_T6_T7_T9_mT8_P12ihipStream_tbDpT10_ENKUlT_T0_E_clISt17integral_constantIbLb1EES1C_EEDaS17_S18_EUlS17_E_NS1_11comp_targetILNS1_3genE4ELNS1_11target_archE910ELNS1_3gpuE8ELNS1_3repE0EEENS1_30default_config_static_selectorELNS0_4arch9wavefront6targetE0EEEvT1_
                                        ; -- End function
	.section	.AMDGPU.csdata,"",@progbits
; Kernel info:
; codeLenInByte = 0
; NumSgprs: 0
; NumVgprs: 0
; ScratchSize: 0
; MemoryBound: 0
; FloatMode: 240
; IeeeMode: 1
; LDSByteSize: 0 bytes/workgroup (compile time only)
; SGPRBlocks: 0
; VGPRBlocks: 0
; NumSGPRsForWavesPerEU: 1
; NumVGPRsForWavesPerEU: 1
; Occupancy: 16
; WaveLimiterHint : 0
; COMPUTE_PGM_RSRC2:SCRATCH_EN: 0
; COMPUTE_PGM_RSRC2:USER_SGPR: 15
; COMPUTE_PGM_RSRC2:TRAP_HANDLER: 0
; COMPUTE_PGM_RSRC2:TGID_X_EN: 1
; COMPUTE_PGM_RSRC2:TGID_Y_EN: 0
; COMPUTE_PGM_RSRC2:TGID_Z_EN: 0
; COMPUTE_PGM_RSRC2:TIDIG_COMP_CNT: 0
	.section	.text._ZN7rocprim17ROCPRIM_400000_NS6detail17trampoline_kernelINS0_14default_configENS1_25partition_config_selectorILNS1_17partition_subalgoE8ElNS0_10empty_typeEbEEZZNS1_14partition_implILS5_8ELb0ES3_jPlPS6_PKS6_NS0_5tupleIJS9_S6_EEENSD_IJSA_SA_EEENS0_18inequality_wrapperIZN2at6native12_GLOBAL__N_124unique_dim_cuda_templateImEESt5tupleIJNSH_6TensorESM_SM_EERKSM_lbbbEUlllE0_EEPmJS6_EEE10hipError_tPvRmT3_T4_T5_T6_T7_T9_mT8_P12ihipStream_tbDpT10_ENKUlT_T0_E_clISt17integral_constantIbLb1EES1C_EEDaS17_S18_EUlS17_E_NS1_11comp_targetILNS1_3genE3ELNS1_11target_archE908ELNS1_3gpuE7ELNS1_3repE0EEENS1_30default_config_static_selectorELNS0_4arch9wavefront6targetE0EEEvT1_,"axG",@progbits,_ZN7rocprim17ROCPRIM_400000_NS6detail17trampoline_kernelINS0_14default_configENS1_25partition_config_selectorILNS1_17partition_subalgoE8ElNS0_10empty_typeEbEEZZNS1_14partition_implILS5_8ELb0ES3_jPlPS6_PKS6_NS0_5tupleIJS9_S6_EEENSD_IJSA_SA_EEENS0_18inequality_wrapperIZN2at6native12_GLOBAL__N_124unique_dim_cuda_templateImEESt5tupleIJNSH_6TensorESM_SM_EERKSM_lbbbEUlllE0_EEPmJS6_EEE10hipError_tPvRmT3_T4_T5_T6_T7_T9_mT8_P12ihipStream_tbDpT10_ENKUlT_T0_E_clISt17integral_constantIbLb1EES1C_EEDaS17_S18_EUlS17_E_NS1_11comp_targetILNS1_3genE3ELNS1_11target_archE908ELNS1_3gpuE7ELNS1_3repE0EEENS1_30default_config_static_selectorELNS0_4arch9wavefront6targetE0EEEvT1_,comdat
	.globl	_ZN7rocprim17ROCPRIM_400000_NS6detail17trampoline_kernelINS0_14default_configENS1_25partition_config_selectorILNS1_17partition_subalgoE8ElNS0_10empty_typeEbEEZZNS1_14partition_implILS5_8ELb0ES3_jPlPS6_PKS6_NS0_5tupleIJS9_S6_EEENSD_IJSA_SA_EEENS0_18inequality_wrapperIZN2at6native12_GLOBAL__N_124unique_dim_cuda_templateImEESt5tupleIJNSH_6TensorESM_SM_EERKSM_lbbbEUlllE0_EEPmJS6_EEE10hipError_tPvRmT3_T4_T5_T6_T7_T9_mT8_P12ihipStream_tbDpT10_ENKUlT_T0_E_clISt17integral_constantIbLb1EES1C_EEDaS17_S18_EUlS17_E_NS1_11comp_targetILNS1_3genE3ELNS1_11target_archE908ELNS1_3gpuE7ELNS1_3repE0EEENS1_30default_config_static_selectorELNS0_4arch9wavefront6targetE0EEEvT1_ ; -- Begin function _ZN7rocprim17ROCPRIM_400000_NS6detail17trampoline_kernelINS0_14default_configENS1_25partition_config_selectorILNS1_17partition_subalgoE8ElNS0_10empty_typeEbEEZZNS1_14partition_implILS5_8ELb0ES3_jPlPS6_PKS6_NS0_5tupleIJS9_S6_EEENSD_IJSA_SA_EEENS0_18inequality_wrapperIZN2at6native12_GLOBAL__N_124unique_dim_cuda_templateImEESt5tupleIJNSH_6TensorESM_SM_EERKSM_lbbbEUlllE0_EEPmJS6_EEE10hipError_tPvRmT3_T4_T5_T6_T7_T9_mT8_P12ihipStream_tbDpT10_ENKUlT_T0_E_clISt17integral_constantIbLb1EES1C_EEDaS17_S18_EUlS17_E_NS1_11comp_targetILNS1_3genE3ELNS1_11target_archE908ELNS1_3gpuE7ELNS1_3repE0EEENS1_30default_config_static_selectorELNS0_4arch9wavefront6targetE0EEEvT1_
	.p2align	8
	.type	_ZN7rocprim17ROCPRIM_400000_NS6detail17trampoline_kernelINS0_14default_configENS1_25partition_config_selectorILNS1_17partition_subalgoE8ElNS0_10empty_typeEbEEZZNS1_14partition_implILS5_8ELb0ES3_jPlPS6_PKS6_NS0_5tupleIJS9_S6_EEENSD_IJSA_SA_EEENS0_18inequality_wrapperIZN2at6native12_GLOBAL__N_124unique_dim_cuda_templateImEESt5tupleIJNSH_6TensorESM_SM_EERKSM_lbbbEUlllE0_EEPmJS6_EEE10hipError_tPvRmT3_T4_T5_T6_T7_T9_mT8_P12ihipStream_tbDpT10_ENKUlT_T0_E_clISt17integral_constantIbLb1EES1C_EEDaS17_S18_EUlS17_E_NS1_11comp_targetILNS1_3genE3ELNS1_11target_archE908ELNS1_3gpuE7ELNS1_3repE0EEENS1_30default_config_static_selectorELNS0_4arch9wavefront6targetE0EEEvT1_,@function
_ZN7rocprim17ROCPRIM_400000_NS6detail17trampoline_kernelINS0_14default_configENS1_25partition_config_selectorILNS1_17partition_subalgoE8ElNS0_10empty_typeEbEEZZNS1_14partition_implILS5_8ELb0ES3_jPlPS6_PKS6_NS0_5tupleIJS9_S6_EEENSD_IJSA_SA_EEENS0_18inequality_wrapperIZN2at6native12_GLOBAL__N_124unique_dim_cuda_templateImEESt5tupleIJNSH_6TensorESM_SM_EERKSM_lbbbEUlllE0_EEPmJS6_EEE10hipError_tPvRmT3_T4_T5_T6_T7_T9_mT8_P12ihipStream_tbDpT10_ENKUlT_T0_E_clISt17integral_constantIbLb1EES1C_EEDaS17_S18_EUlS17_E_NS1_11comp_targetILNS1_3genE3ELNS1_11target_archE908ELNS1_3gpuE7ELNS1_3repE0EEENS1_30default_config_static_selectorELNS0_4arch9wavefront6targetE0EEEvT1_: ; @_ZN7rocprim17ROCPRIM_400000_NS6detail17trampoline_kernelINS0_14default_configENS1_25partition_config_selectorILNS1_17partition_subalgoE8ElNS0_10empty_typeEbEEZZNS1_14partition_implILS5_8ELb0ES3_jPlPS6_PKS6_NS0_5tupleIJS9_S6_EEENSD_IJSA_SA_EEENS0_18inequality_wrapperIZN2at6native12_GLOBAL__N_124unique_dim_cuda_templateImEESt5tupleIJNSH_6TensorESM_SM_EERKSM_lbbbEUlllE0_EEPmJS6_EEE10hipError_tPvRmT3_T4_T5_T6_T7_T9_mT8_P12ihipStream_tbDpT10_ENKUlT_T0_E_clISt17integral_constantIbLb1EES1C_EEDaS17_S18_EUlS17_E_NS1_11comp_targetILNS1_3genE3ELNS1_11target_archE908ELNS1_3gpuE7ELNS1_3repE0EEENS1_30default_config_static_selectorELNS0_4arch9wavefront6targetE0EEEvT1_
; %bb.0:
	.section	.rodata,"a",@progbits
	.p2align	6, 0x0
	.amdhsa_kernel _ZN7rocprim17ROCPRIM_400000_NS6detail17trampoline_kernelINS0_14default_configENS1_25partition_config_selectorILNS1_17partition_subalgoE8ElNS0_10empty_typeEbEEZZNS1_14partition_implILS5_8ELb0ES3_jPlPS6_PKS6_NS0_5tupleIJS9_S6_EEENSD_IJSA_SA_EEENS0_18inequality_wrapperIZN2at6native12_GLOBAL__N_124unique_dim_cuda_templateImEESt5tupleIJNSH_6TensorESM_SM_EERKSM_lbbbEUlllE0_EEPmJS6_EEE10hipError_tPvRmT3_T4_T5_T6_T7_T9_mT8_P12ihipStream_tbDpT10_ENKUlT_T0_E_clISt17integral_constantIbLb1EES1C_EEDaS17_S18_EUlS17_E_NS1_11comp_targetILNS1_3genE3ELNS1_11target_archE908ELNS1_3gpuE7ELNS1_3repE0EEENS1_30default_config_static_selectorELNS0_4arch9wavefront6targetE0EEEvT1_
		.amdhsa_group_segment_fixed_size 0
		.amdhsa_private_segment_fixed_size 0
		.amdhsa_kernarg_size 136
		.amdhsa_user_sgpr_count 15
		.amdhsa_user_sgpr_dispatch_ptr 0
		.amdhsa_user_sgpr_queue_ptr 0
		.amdhsa_user_sgpr_kernarg_segment_ptr 1
		.amdhsa_user_sgpr_dispatch_id 0
		.amdhsa_user_sgpr_private_segment_size 0
		.amdhsa_wavefront_size32 1
		.amdhsa_uses_dynamic_stack 0
		.amdhsa_enable_private_segment 0
		.amdhsa_system_sgpr_workgroup_id_x 1
		.amdhsa_system_sgpr_workgroup_id_y 0
		.amdhsa_system_sgpr_workgroup_id_z 0
		.amdhsa_system_sgpr_workgroup_info 0
		.amdhsa_system_vgpr_workitem_id 0
		.amdhsa_next_free_vgpr 1
		.amdhsa_next_free_sgpr 1
		.amdhsa_reserve_vcc 0
		.amdhsa_float_round_mode_32 0
		.amdhsa_float_round_mode_16_64 0
		.amdhsa_float_denorm_mode_32 3
		.amdhsa_float_denorm_mode_16_64 3
		.amdhsa_dx10_clamp 1
		.amdhsa_ieee_mode 1
		.amdhsa_fp16_overflow 0
		.amdhsa_workgroup_processor_mode 1
		.amdhsa_memory_ordered 1
		.amdhsa_forward_progress 0
		.amdhsa_shared_vgpr_count 0
		.amdhsa_exception_fp_ieee_invalid_op 0
		.amdhsa_exception_fp_denorm_src 0
		.amdhsa_exception_fp_ieee_div_zero 0
		.amdhsa_exception_fp_ieee_overflow 0
		.amdhsa_exception_fp_ieee_underflow 0
		.amdhsa_exception_fp_ieee_inexact 0
		.amdhsa_exception_int_div_zero 0
	.end_amdhsa_kernel
	.section	.text._ZN7rocprim17ROCPRIM_400000_NS6detail17trampoline_kernelINS0_14default_configENS1_25partition_config_selectorILNS1_17partition_subalgoE8ElNS0_10empty_typeEbEEZZNS1_14partition_implILS5_8ELb0ES3_jPlPS6_PKS6_NS0_5tupleIJS9_S6_EEENSD_IJSA_SA_EEENS0_18inequality_wrapperIZN2at6native12_GLOBAL__N_124unique_dim_cuda_templateImEESt5tupleIJNSH_6TensorESM_SM_EERKSM_lbbbEUlllE0_EEPmJS6_EEE10hipError_tPvRmT3_T4_T5_T6_T7_T9_mT8_P12ihipStream_tbDpT10_ENKUlT_T0_E_clISt17integral_constantIbLb1EES1C_EEDaS17_S18_EUlS17_E_NS1_11comp_targetILNS1_3genE3ELNS1_11target_archE908ELNS1_3gpuE7ELNS1_3repE0EEENS1_30default_config_static_selectorELNS0_4arch9wavefront6targetE0EEEvT1_,"axG",@progbits,_ZN7rocprim17ROCPRIM_400000_NS6detail17trampoline_kernelINS0_14default_configENS1_25partition_config_selectorILNS1_17partition_subalgoE8ElNS0_10empty_typeEbEEZZNS1_14partition_implILS5_8ELb0ES3_jPlPS6_PKS6_NS0_5tupleIJS9_S6_EEENSD_IJSA_SA_EEENS0_18inequality_wrapperIZN2at6native12_GLOBAL__N_124unique_dim_cuda_templateImEESt5tupleIJNSH_6TensorESM_SM_EERKSM_lbbbEUlllE0_EEPmJS6_EEE10hipError_tPvRmT3_T4_T5_T6_T7_T9_mT8_P12ihipStream_tbDpT10_ENKUlT_T0_E_clISt17integral_constantIbLb1EES1C_EEDaS17_S18_EUlS17_E_NS1_11comp_targetILNS1_3genE3ELNS1_11target_archE908ELNS1_3gpuE7ELNS1_3repE0EEENS1_30default_config_static_selectorELNS0_4arch9wavefront6targetE0EEEvT1_,comdat
.Lfunc_end1672:
	.size	_ZN7rocprim17ROCPRIM_400000_NS6detail17trampoline_kernelINS0_14default_configENS1_25partition_config_selectorILNS1_17partition_subalgoE8ElNS0_10empty_typeEbEEZZNS1_14partition_implILS5_8ELb0ES3_jPlPS6_PKS6_NS0_5tupleIJS9_S6_EEENSD_IJSA_SA_EEENS0_18inequality_wrapperIZN2at6native12_GLOBAL__N_124unique_dim_cuda_templateImEESt5tupleIJNSH_6TensorESM_SM_EERKSM_lbbbEUlllE0_EEPmJS6_EEE10hipError_tPvRmT3_T4_T5_T6_T7_T9_mT8_P12ihipStream_tbDpT10_ENKUlT_T0_E_clISt17integral_constantIbLb1EES1C_EEDaS17_S18_EUlS17_E_NS1_11comp_targetILNS1_3genE3ELNS1_11target_archE908ELNS1_3gpuE7ELNS1_3repE0EEENS1_30default_config_static_selectorELNS0_4arch9wavefront6targetE0EEEvT1_, .Lfunc_end1672-_ZN7rocprim17ROCPRIM_400000_NS6detail17trampoline_kernelINS0_14default_configENS1_25partition_config_selectorILNS1_17partition_subalgoE8ElNS0_10empty_typeEbEEZZNS1_14partition_implILS5_8ELb0ES3_jPlPS6_PKS6_NS0_5tupleIJS9_S6_EEENSD_IJSA_SA_EEENS0_18inequality_wrapperIZN2at6native12_GLOBAL__N_124unique_dim_cuda_templateImEESt5tupleIJNSH_6TensorESM_SM_EERKSM_lbbbEUlllE0_EEPmJS6_EEE10hipError_tPvRmT3_T4_T5_T6_T7_T9_mT8_P12ihipStream_tbDpT10_ENKUlT_T0_E_clISt17integral_constantIbLb1EES1C_EEDaS17_S18_EUlS17_E_NS1_11comp_targetILNS1_3genE3ELNS1_11target_archE908ELNS1_3gpuE7ELNS1_3repE0EEENS1_30default_config_static_selectorELNS0_4arch9wavefront6targetE0EEEvT1_
                                        ; -- End function
	.section	.AMDGPU.csdata,"",@progbits
; Kernel info:
; codeLenInByte = 0
; NumSgprs: 0
; NumVgprs: 0
; ScratchSize: 0
; MemoryBound: 0
; FloatMode: 240
; IeeeMode: 1
; LDSByteSize: 0 bytes/workgroup (compile time only)
; SGPRBlocks: 0
; VGPRBlocks: 0
; NumSGPRsForWavesPerEU: 1
; NumVGPRsForWavesPerEU: 1
; Occupancy: 16
; WaveLimiterHint : 0
; COMPUTE_PGM_RSRC2:SCRATCH_EN: 0
; COMPUTE_PGM_RSRC2:USER_SGPR: 15
; COMPUTE_PGM_RSRC2:TRAP_HANDLER: 0
; COMPUTE_PGM_RSRC2:TGID_X_EN: 1
; COMPUTE_PGM_RSRC2:TGID_Y_EN: 0
; COMPUTE_PGM_RSRC2:TGID_Z_EN: 0
; COMPUTE_PGM_RSRC2:TIDIG_COMP_CNT: 0
	.section	.text._ZN7rocprim17ROCPRIM_400000_NS6detail17trampoline_kernelINS0_14default_configENS1_25partition_config_selectorILNS1_17partition_subalgoE8ElNS0_10empty_typeEbEEZZNS1_14partition_implILS5_8ELb0ES3_jPlPS6_PKS6_NS0_5tupleIJS9_S6_EEENSD_IJSA_SA_EEENS0_18inequality_wrapperIZN2at6native12_GLOBAL__N_124unique_dim_cuda_templateImEESt5tupleIJNSH_6TensorESM_SM_EERKSM_lbbbEUlllE0_EEPmJS6_EEE10hipError_tPvRmT3_T4_T5_T6_T7_T9_mT8_P12ihipStream_tbDpT10_ENKUlT_T0_E_clISt17integral_constantIbLb1EES1C_EEDaS17_S18_EUlS17_E_NS1_11comp_targetILNS1_3genE2ELNS1_11target_archE906ELNS1_3gpuE6ELNS1_3repE0EEENS1_30default_config_static_selectorELNS0_4arch9wavefront6targetE0EEEvT1_,"axG",@progbits,_ZN7rocprim17ROCPRIM_400000_NS6detail17trampoline_kernelINS0_14default_configENS1_25partition_config_selectorILNS1_17partition_subalgoE8ElNS0_10empty_typeEbEEZZNS1_14partition_implILS5_8ELb0ES3_jPlPS6_PKS6_NS0_5tupleIJS9_S6_EEENSD_IJSA_SA_EEENS0_18inequality_wrapperIZN2at6native12_GLOBAL__N_124unique_dim_cuda_templateImEESt5tupleIJNSH_6TensorESM_SM_EERKSM_lbbbEUlllE0_EEPmJS6_EEE10hipError_tPvRmT3_T4_T5_T6_T7_T9_mT8_P12ihipStream_tbDpT10_ENKUlT_T0_E_clISt17integral_constantIbLb1EES1C_EEDaS17_S18_EUlS17_E_NS1_11comp_targetILNS1_3genE2ELNS1_11target_archE906ELNS1_3gpuE6ELNS1_3repE0EEENS1_30default_config_static_selectorELNS0_4arch9wavefront6targetE0EEEvT1_,comdat
	.globl	_ZN7rocprim17ROCPRIM_400000_NS6detail17trampoline_kernelINS0_14default_configENS1_25partition_config_selectorILNS1_17partition_subalgoE8ElNS0_10empty_typeEbEEZZNS1_14partition_implILS5_8ELb0ES3_jPlPS6_PKS6_NS0_5tupleIJS9_S6_EEENSD_IJSA_SA_EEENS0_18inequality_wrapperIZN2at6native12_GLOBAL__N_124unique_dim_cuda_templateImEESt5tupleIJNSH_6TensorESM_SM_EERKSM_lbbbEUlllE0_EEPmJS6_EEE10hipError_tPvRmT3_T4_T5_T6_T7_T9_mT8_P12ihipStream_tbDpT10_ENKUlT_T0_E_clISt17integral_constantIbLb1EES1C_EEDaS17_S18_EUlS17_E_NS1_11comp_targetILNS1_3genE2ELNS1_11target_archE906ELNS1_3gpuE6ELNS1_3repE0EEENS1_30default_config_static_selectorELNS0_4arch9wavefront6targetE0EEEvT1_ ; -- Begin function _ZN7rocprim17ROCPRIM_400000_NS6detail17trampoline_kernelINS0_14default_configENS1_25partition_config_selectorILNS1_17partition_subalgoE8ElNS0_10empty_typeEbEEZZNS1_14partition_implILS5_8ELb0ES3_jPlPS6_PKS6_NS0_5tupleIJS9_S6_EEENSD_IJSA_SA_EEENS0_18inequality_wrapperIZN2at6native12_GLOBAL__N_124unique_dim_cuda_templateImEESt5tupleIJNSH_6TensorESM_SM_EERKSM_lbbbEUlllE0_EEPmJS6_EEE10hipError_tPvRmT3_T4_T5_T6_T7_T9_mT8_P12ihipStream_tbDpT10_ENKUlT_T0_E_clISt17integral_constantIbLb1EES1C_EEDaS17_S18_EUlS17_E_NS1_11comp_targetILNS1_3genE2ELNS1_11target_archE906ELNS1_3gpuE6ELNS1_3repE0EEENS1_30default_config_static_selectorELNS0_4arch9wavefront6targetE0EEEvT1_
	.p2align	8
	.type	_ZN7rocprim17ROCPRIM_400000_NS6detail17trampoline_kernelINS0_14default_configENS1_25partition_config_selectorILNS1_17partition_subalgoE8ElNS0_10empty_typeEbEEZZNS1_14partition_implILS5_8ELb0ES3_jPlPS6_PKS6_NS0_5tupleIJS9_S6_EEENSD_IJSA_SA_EEENS0_18inequality_wrapperIZN2at6native12_GLOBAL__N_124unique_dim_cuda_templateImEESt5tupleIJNSH_6TensorESM_SM_EERKSM_lbbbEUlllE0_EEPmJS6_EEE10hipError_tPvRmT3_T4_T5_T6_T7_T9_mT8_P12ihipStream_tbDpT10_ENKUlT_T0_E_clISt17integral_constantIbLb1EES1C_EEDaS17_S18_EUlS17_E_NS1_11comp_targetILNS1_3genE2ELNS1_11target_archE906ELNS1_3gpuE6ELNS1_3repE0EEENS1_30default_config_static_selectorELNS0_4arch9wavefront6targetE0EEEvT1_,@function
_ZN7rocprim17ROCPRIM_400000_NS6detail17trampoline_kernelINS0_14default_configENS1_25partition_config_selectorILNS1_17partition_subalgoE8ElNS0_10empty_typeEbEEZZNS1_14partition_implILS5_8ELb0ES3_jPlPS6_PKS6_NS0_5tupleIJS9_S6_EEENSD_IJSA_SA_EEENS0_18inequality_wrapperIZN2at6native12_GLOBAL__N_124unique_dim_cuda_templateImEESt5tupleIJNSH_6TensorESM_SM_EERKSM_lbbbEUlllE0_EEPmJS6_EEE10hipError_tPvRmT3_T4_T5_T6_T7_T9_mT8_P12ihipStream_tbDpT10_ENKUlT_T0_E_clISt17integral_constantIbLb1EES1C_EEDaS17_S18_EUlS17_E_NS1_11comp_targetILNS1_3genE2ELNS1_11target_archE906ELNS1_3gpuE6ELNS1_3repE0EEENS1_30default_config_static_selectorELNS0_4arch9wavefront6targetE0EEEvT1_: ; @_ZN7rocprim17ROCPRIM_400000_NS6detail17trampoline_kernelINS0_14default_configENS1_25partition_config_selectorILNS1_17partition_subalgoE8ElNS0_10empty_typeEbEEZZNS1_14partition_implILS5_8ELb0ES3_jPlPS6_PKS6_NS0_5tupleIJS9_S6_EEENSD_IJSA_SA_EEENS0_18inequality_wrapperIZN2at6native12_GLOBAL__N_124unique_dim_cuda_templateImEESt5tupleIJNSH_6TensorESM_SM_EERKSM_lbbbEUlllE0_EEPmJS6_EEE10hipError_tPvRmT3_T4_T5_T6_T7_T9_mT8_P12ihipStream_tbDpT10_ENKUlT_T0_E_clISt17integral_constantIbLb1EES1C_EEDaS17_S18_EUlS17_E_NS1_11comp_targetILNS1_3genE2ELNS1_11target_archE906ELNS1_3gpuE6ELNS1_3repE0EEENS1_30default_config_static_selectorELNS0_4arch9wavefront6targetE0EEEvT1_
; %bb.0:
	.section	.rodata,"a",@progbits
	.p2align	6, 0x0
	.amdhsa_kernel _ZN7rocprim17ROCPRIM_400000_NS6detail17trampoline_kernelINS0_14default_configENS1_25partition_config_selectorILNS1_17partition_subalgoE8ElNS0_10empty_typeEbEEZZNS1_14partition_implILS5_8ELb0ES3_jPlPS6_PKS6_NS0_5tupleIJS9_S6_EEENSD_IJSA_SA_EEENS0_18inequality_wrapperIZN2at6native12_GLOBAL__N_124unique_dim_cuda_templateImEESt5tupleIJNSH_6TensorESM_SM_EERKSM_lbbbEUlllE0_EEPmJS6_EEE10hipError_tPvRmT3_T4_T5_T6_T7_T9_mT8_P12ihipStream_tbDpT10_ENKUlT_T0_E_clISt17integral_constantIbLb1EES1C_EEDaS17_S18_EUlS17_E_NS1_11comp_targetILNS1_3genE2ELNS1_11target_archE906ELNS1_3gpuE6ELNS1_3repE0EEENS1_30default_config_static_selectorELNS0_4arch9wavefront6targetE0EEEvT1_
		.amdhsa_group_segment_fixed_size 0
		.amdhsa_private_segment_fixed_size 0
		.amdhsa_kernarg_size 136
		.amdhsa_user_sgpr_count 15
		.amdhsa_user_sgpr_dispatch_ptr 0
		.amdhsa_user_sgpr_queue_ptr 0
		.amdhsa_user_sgpr_kernarg_segment_ptr 1
		.amdhsa_user_sgpr_dispatch_id 0
		.amdhsa_user_sgpr_private_segment_size 0
		.amdhsa_wavefront_size32 1
		.amdhsa_uses_dynamic_stack 0
		.amdhsa_enable_private_segment 0
		.amdhsa_system_sgpr_workgroup_id_x 1
		.amdhsa_system_sgpr_workgroup_id_y 0
		.amdhsa_system_sgpr_workgroup_id_z 0
		.amdhsa_system_sgpr_workgroup_info 0
		.amdhsa_system_vgpr_workitem_id 0
		.amdhsa_next_free_vgpr 1
		.amdhsa_next_free_sgpr 1
		.amdhsa_reserve_vcc 0
		.amdhsa_float_round_mode_32 0
		.amdhsa_float_round_mode_16_64 0
		.amdhsa_float_denorm_mode_32 3
		.amdhsa_float_denorm_mode_16_64 3
		.amdhsa_dx10_clamp 1
		.amdhsa_ieee_mode 1
		.amdhsa_fp16_overflow 0
		.amdhsa_workgroup_processor_mode 1
		.amdhsa_memory_ordered 1
		.amdhsa_forward_progress 0
		.amdhsa_shared_vgpr_count 0
		.amdhsa_exception_fp_ieee_invalid_op 0
		.amdhsa_exception_fp_denorm_src 0
		.amdhsa_exception_fp_ieee_div_zero 0
		.amdhsa_exception_fp_ieee_overflow 0
		.amdhsa_exception_fp_ieee_underflow 0
		.amdhsa_exception_fp_ieee_inexact 0
		.amdhsa_exception_int_div_zero 0
	.end_amdhsa_kernel
	.section	.text._ZN7rocprim17ROCPRIM_400000_NS6detail17trampoline_kernelINS0_14default_configENS1_25partition_config_selectorILNS1_17partition_subalgoE8ElNS0_10empty_typeEbEEZZNS1_14partition_implILS5_8ELb0ES3_jPlPS6_PKS6_NS0_5tupleIJS9_S6_EEENSD_IJSA_SA_EEENS0_18inequality_wrapperIZN2at6native12_GLOBAL__N_124unique_dim_cuda_templateImEESt5tupleIJNSH_6TensorESM_SM_EERKSM_lbbbEUlllE0_EEPmJS6_EEE10hipError_tPvRmT3_T4_T5_T6_T7_T9_mT8_P12ihipStream_tbDpT10_ENKUlT_T0_E_clISt17integral_constantIbLb1EES1C_EEDaS17_S18_EUlS17_E_NS1_11comp_targetILNS1_3genE2ELNS1_11target_archE906ELNS1_3gpuE6ELNS1_3repE0EEENS1_30default_config_static_selectorELNS0_4arch9wavefront6targetE0EEEvT1_,"axG",@progbits,_ZN7rocprim17ROCPRIM_400000_NS6detail17trampoline_kernelINS0_14default_configENS1_25partition_config_selectorILNS1_17partition_subalgoE8ElNS0_10empty_typeEbEEZZNS1_14partition_implILS5_8ELb0ES3_jPlPS6_PKS6_NS0_5tupleIJS9_S6_EEENSD_IJSA_SA_EEENS0_18inequality_wrapperIZN2at6native12_GLOBAL__N_124unique_dim_cuda_templateImEESt5tupleIJNSH_6TensorESM_SM_EERKSM_lbbbEUlllE0_EEPmJS6_EEE10hipError_tPvRmT3_T4_T5_T6_T7_T9_mT8_P12ihipStream_tbDpT10_ENKUlT_T0_E_clISt17integral_constantIbLb1EES1C_EEDaS17_S18_EUlS17_E_NS1_11comp_targetILNS1_3genE2ELNS1_11target_archE906ELNS1_3gpuE6ELNS1_3repE0EEENS1_30default_config_static_selectorELNS0_4arch9wavefront6targetE0EEEvT1_,comdat
.Lfunc_end1673:
	.size	_ZN7rocprim17ROCPRIM_400000_NS6detail17trampoline_kernelINS0_14default_configENS1_25partition_config_selectorILNS1_17partition_subalgoE8ElNS0_10empty_typeEbEEZZNS1_14partition_implILS5_8ELb0ES3_jPlPS6_PKS6_NS0_5tupleIJS9_S6_EEENSD_IJSA_SA_EEENS0_18inequality_wrapperIZN2at6native12_GLOBAL__N_124unique_dim_cuda_templateImEESt5tupleIJNSH_6TensorESM_SM_EERKSM_lbbbEUlllE0_EEPmJS6_EEE10hipError_tPvRmT3_T4_T5_T6_T7_T9_mT8_P12ihipStream_tbDpT10_ENKUlT_T0_E_clISt17integral_constantIbLb1EES1C_EEDaS17_S18_EUlS17_E_NS1_11comp_targetILNS1_3genE2ELNS1_11target_archE906ELNS1_3gpuE6ELNS1_3repE0EEENS1_30default_config_static_selectorELNS0_4arch9wavefront6targetE0EEEvT1_, .Lfunc_end1673-_ZN7rocprim17ROCPRIM_400000_NS6detail17trampoline_kernelINS0_14default_configENS1_25partition_config_selectorILNS1_17partition_subalgoE8ElNS0_10empty_typeEbEEZZNS1_14partition_implILS5_8ELb0ES3_jPlPS6_PKS6_NS0_5tupleIJS9_S6_EEENSD_IJSA_SA_EEENS0_18inequality_wrapperIZN2at6native12_GLOBAL__N_124unique_dim_cuda_templateImEESt5tupleIJNSH_6TensorESM_SM_EERKSM_lbbbEUlllE0_EEPmJS6_EEE10hipError_tPvRmT3_T4_T5_T6_T7_T9_mT8_P12ihipStream_tbDpT10_ENKUlT_T0_E_clISt17integral_constantIbLb1EES1C_EEDaS17_S18_EUlS17_E_NS1_11comp_targetILNS1_3genE2ELNS1_11target_archE906ELNS1_3gpuE6ELNS1_3repE0EEENS1_30default_config_static_selectorELNS0_4arch9wavefront6targetE0EEEvT1_
                                        ; -- End function
	.section	.AMDGPU.csdata,"",@progbits
; Kernel info:
; codeLenInByte = 0
; NumSgprs: 0
; NumVgprs: 0
; ScratchSize: 0
; MemoryBound: 0
; FloatMode: 240
; IeeeMode: 1
; LDSByteSize: 0 bytes/workgroup (compile time only)
; SGPRBlocks: 0
; VGPRBlocks: 0
; NumSGPRsForWavesPerEU: 1
; NumVGPRsForWavesPerEU: 1
; Occupancy: 16
; WaveLimiterHint : 0
; COMPUTE_PGM_RSRC2:SCRATCH_EN: 0
; COMPUTE_PGM_RSRC2:USER_SGPR: 15
; COMPUTE_PGM_RSRC2:TRAP_HANDLER: 0
; COMPUTE_PGM_RSRC2:TGID_X_EN: 1
; COMPUTE_PGM_RSRC2:TGID_Y_EN: 0
; COMPUTE_PGM_RSRC2:TGID_Z_EN: 0
; COMPUTE_PGM_RSRC2:TIDIG_COMP_CNT: 0
	.section	.text._ZN7rocprim17ROCPRIM_400000_NS6detail17trampoline_kernelINS0_14default_configENS1_25partition_config_selectorILNS1_17partition_subalgoE8ElNS0_10empty_typeEbEEZZNS1_14partition_implILS5_8ELb0ES3_jPlPS6_PKS6_NS0_5tupleIJS9_S6_EEENSD_IJSA_SA_EEENS0_18inequality_wrapperIZN2at6native12_GLOBAL__N_124unique_dim_cuda_templateImEESt5tupleIJNSH_6TensorESM_SM_EERKSM_lbbbEUlllE0_EEPmJS6_EEE10hipError_tPvRmT3_T4_T5_T6_T7_T9_mT8_P12ihipStream_tbDpT10_ENKUlT_T0_E_clISt17integral_constantIbLb1EES1C_EEDaS17_S18_EUlS17_E_NS1_11comp_targetILNS1_3genE10ELNS1_11target_archE1200ELNS1_3gpuE4ELNS1_3repE0EEENS1_30default_config_static_selectorELNS0_4arch9wavefront6targetE0EEEvT1_,"axG",@progbits,_ZN7rocprim17ROCPRIM_400000_NS6detail17trampoline_kernelINS0_14default_configENS1_25partition_config_selectorILNS1_17partition_subalgoE8ElNS0_10empty_typeEbEEZZNS1_14partition_implILS5_8ELb0ES3_jPlPS6_PKS6_NS0_5tupleIJS9_S6_EEENSD_IJSA_SA_EEENS0_18inequality_wrapperIZN2at6native12_GLOBAL__N_124unique_dim_cuda_templateImEESt5tupleIJNSH_6TensorESM_SM_EERKSM_lbbbEUlllE0_EEPmJS6_EEE10hipError_tPvRmT3_T4_T5_T6_T7_T9_mT8_P12ihipStream_tbDpT10_ENKUlT_T0_E_clISt17integral_constantIbLb1EES1C_EEDaS17_S18_EUlS17_E_NS1_11comp_targetILNS1_3genE10ELNS1_11target_archE1200ELNS1_3gpuE4ELNS1_3repE0EEENS1_30default_config_static_selectorELNS0_4arch9wavefront6targetE0EEEvT1_,comdat
	.globl	_ZN7rocprim17ROCPRIM_400000_NS6detail17trampoline_kernelINS0_14default_configENS1_25partition_config_selectorILNS1_17partition_subalgoE8ElNS0_10empty_typeEbEEZZNS1_14partition_implILS5_8ELb0ES3_jPlPS6_PKS6_NS0_5tupleIJS9_S6_EEENSD_IJSA_SA_EEENS0_18inequality_wrapperIZN2at6native12_GLOBAL__N_124unique_dim_cuda_templateImEESt5tupleIJNSH_6TensorESM_SM_EERKSM_lbbbEUlllE0_EEPmJS6_EEE10hipError_tPvRmT3_T4_T5_T6_T7_T9_mT8_P12ihipStream_tbDpT10_ENKUlT_T0_E_clISt17integral_constantIbLb1EES1C_EEDaS17_S18_EUlS17_E_NS1_11comp_targetILNS1_3genE10ELNS1_11target_archE1200ELNS1_3gpuE4ELNS1_3repE0EEENS1_30default_config_static_selectorELNS0_4arch9wavefront6targetE0EEEvT1_ ; -- Begin function _ZN7rocprim17ROCPRIM_400000_NS6detail17trampoline_kernelINS0_14default_configENS1_25partition_config_selectorILNS1_17partition_subalgoE8ElNS0_10empty_typeEbEEZZNS1_14partition_implILS5_8ELb0ES3_jPlPS6_PKS6_NS0_5tupleIJS9_S6_EEENSD_IJSA_SA_EEENS0_18inequality_wrapperIZN2at6native12_GLOBAL__N_124unique_dim_cuda_templateImEESt5tupleIJNSH_6TensorESM_SM_EERKSM_lbbbEUlllE0_EEPmJS6_EEE10hipError_tPvRmT3_T4_T5_T6_T7_T9_mT8_P12ihipStream_tbDpT10_ENKUlT_T0_E_clISt17integral_constantIbLb1EES1C_EEDaS17_S18_EUlS17_E_NS1_11comp_targetILNS1_3genE10ELNS1_11target_archE1200ELNS1_3gpuE4ELNS1_3repE0EEENS1_30default_config_static_selectorELNS0_4arch9wavefront6targetE0EEEvT1_
	.p2align	8
	.type	_ZN7rocprim17ROCPRIM_400000_NS6detail17trampoline_kernelINS0_14default_configENS1_25partition_config_selectorILNS1_17partition_subalgoE8ElNS0_10empty_typeEbEEZZNS1_14partition_implILS5_8ELb0ES3_jPlPS6_PKS6_NS0_5tupleIJS9_S6_EEENSD_IJSA_SA_EEENS0_18inequality_wrapperIZN2at6native12_GLOBAL__N_124unique_dim_cuda_templateImEESt5tupleIJNSH_6TensorESM_SM_EERKSM_lbbbEUlllE0_EEPmJS6_EEE10hipError_tPvRmT3_T4_T5_T6_T7_T9_mT8_P12ihipStream_tbDpT10_ENKUlT_T0_E_clISt17integral_constantIbLb1EES1C_EEDaS17_S18_EUlS17_E_NS1_11comp_targetILNS1_3genE10ELNS1_11target_archE1200ELNS1_3gpuE4ELNS1_3repE0EEENS1_30default_config_static_selectorELNS0_4arch9wavefront6targetE0EEEvT1_,@function
_ZN7rocprim17ROCPRIM_400000_NS6detail17trampoline_kernelINS0_14default_configENS1_25partition_config_selectorILNS1_17partition_subalgoE8ElNS0_10empty_typeEbEEZZNS1_14partition_implILS5_8ELb0ES3_jPlPS6_PKS6_NS0_5tupleIJS9_S6_EEENSD_IJSA_SA_EEENS0_18inequality_wrapperIZN2at6native12_GLOBAL__N_124unique_dim_cuda_templateImEESt5tupleIJNSH_6TensorESM_SM_EERKSM_lbbbEUlllE0_EEPmJS6_EEE10hipError_tPvRmT3_T4_T5_T6_T7_T9_mT8_P12ihipStream_tbDpT10_ENKUlT_T0_E_clISt17integral_constantIbLb1EES1C_EEDaS17_S18_EUlS17_E_NS1_11comp_targetILNS1_3genE10ELNS1_11target_archE1200ELNS1_3gpuE4ELNS1_3repE0EEENS1_30default_config_static_selectorELNS0_4arch9wavefront6targetE0EEEvT1_: ; @_ZN7rocprim17ROCPRIM_400000_NS6detail17trampoline_kernelINS0_14default_configENS1_25partition_config_selectorILNS1_17partition_subalgoE8ElNS0_10empty_typeEbEEZZNS1_14partition_implILS5_8ELb0ES3_jPlPS6_PKS6_NS0_5tupleIJS9_S6_EEENSD_IJSA_SA_EEENS0_18inequality_wrapperIZN2at6native12_GLOBAL__N_124unique_dim_cuda_templateImEESt5tupleIJNSH_6TensorESM_SM_EERKSM_lbbbEUlllE0_EEPmJS6_EEE10hipError_tPvRmT3_T4_T5_T6_T7_T9_mT8_P12ihipStream_tbDpT10_ENKUlT_T0_E_clISt17integral_constantIbLb1EES1C_EEDaS17_S18_EUlS17_E_NS1_11comp_targetILNS1_3genE10ELNS1_11target_archE1200ELNS1_3gpuE4ELNS1_3repE0EEENS1_30default_config_static_selectorELNS0_4arch9wavefront6targetE0EEEvT1_
; %bb.0:
	.section	.rodata,"a",@progbits
	.p2align	6, 0x0
	.amdhsa_kernel _ZN7rocprim17ROCPRIM_400000_NS6detail17trampoline_kernelINS0_14default_configENS1_25partition_config_selectorILNS1_17partition_subalgoE8ElNS0_10empty_typeEbEEZZNS1_14partition_implILS5_8ELb0ES3_jPlPS6_PKS6_NS0_5tupleIJS9_S6_EEENSD_IJSA_SA_EEENS0_18inequality_wrapperIZN2at6native12_GLOBAL__N_124unique_dim_cuda_templateImEESt5tupleIJNSH_6TensorESM_SM_EERKSM_lbbbEUlllE0_EEPmJS6_EEE10hipError_tPvRmT3_T4_T5_T6_T7_T9_mT8_P12ihipStream_tbDpT10_ENKUlT_T0_E_clISt17integral_constantIbLb1EES1C_EEDaS17_S18_EUlS17_E_NS1_11comp_targetILNS1_3genE10ELNS1_11target_archE1200ELNS1_3gpuE4ELNS1_3repE0EEENS1_30default_config_static_selectorELNS0_4arch9wavefront6targetE0EEEvT1_
		.amdhsa_group_segment_fixed_size 0
		.amdhsa_private_segment_fixed_size 0
		.amdhsa_kernarg_size 136
		.amdhsa_user_sgpr_count 15
		.amdhsa_user_sgpr_dispatch_ptr 0
		.amdhsa_user_sgpr_queue_ptr 0
		.amdhsa_user_sgpr_kernarg_segment_ptr 1
		.amdhsa_user_sgpr_dispatch_id 0
		.amdhsa_user_sgpr_private_segment_size 0
		.amdhsa_wavefront_size32 1
		.amdhsa_uses_dynamic_stack 0
		.amdhsa_enable_private_segment 0
		.amdhsa_system_sgpr_workgroup_id_x 1
		.amdhsa_system_sgpr_workgroup_id_y 0
		.amdhsa_system_sgpr_workgroup_id_z 0
		.amdhsa_system_sgpr_workgroup_info 0
		.amdhsa_system_vgpr_workitem_id 0
		.amdhsa_next_free_vgpr 1
		.amdhsa_next_free_sgpr 1
		.amdhsa_reserve_vcc 0
		.amdhsa_float_round_mode_32 0
		.amdhsa_float_round_mode_16_64 0
		.amdhsa_float_denorm_mode_32 3
		.amdhsa_float_denorm_mode_16_64 3
		.amdhsa_dx10_clamp 1
		.amdhsa_ieee_mode 1
		.amdhsa_fp16_overflow 0
		.amdhsa_workgroup_processor_mode 1
		.amdhsa_memory_ordered 1
		.amdhsa_forward_progress 0
		.amdhsa_shared_vgpr_count 0
		.amdhsa_exception_fp_ieee_invalid_op 0
		.amdhsa_exception_fp_denorm_src 0
		.amdhsa_exception_fp_ieee_div_zero 0
		.amdhsa_exception_fp_ieee_overflow 0
		.amdhsa_exception_fp_ieee_underflow 0
		.amdhsa_exception_fp_ieee_inexact 0
		.amdhsa_exception_int_div_zero 0
	.end_amdhsa_kernel
	.section	.text._ZN7rocprim17ROCPRIM_400000_NS6detail17trampoline_kernelINS0_14default_configENS1_25partition_config_selectorILNS1_17partition_subalgoE8ElNS0_10empty_typeEbEEZZNS1_14partition_implILS5_8ELb0ES3_jPlPS6_PKS6_NS0_5tupleIJS9_S6_EEENSD_IJSA_SA_EEENS0_18inequality_wrapperIZN2at6native12_GLOBAL__N_124unique_dim_cuda_templateImEESt5tupleIJNSH_6TensorESM_SM_EERKSM_lbbbEUlllE0_EEPmJS6_EEE10hipError_tPvRmT3_T4_T5_T6_T7_T9_mT8_P12ihipStream_tbDpT10_ENKUlT_T0_E_clISt17integral_constantIbLb1EES1C_EEDaS17_S18_EUlS17_E_NS1_11comp_targetILNS1_3genE10ELNS1_11target_archE1200ELNS1_3gpuE4ELNS1_3repE0EEENS1_30default_config_static_selectorELNS0_4arch9wavefront6targetE0EEEvT1_,"axG",@progbits,_ZN7rocprim17ROCPRIM_400000_NS6detail17trampoline_kernelINS0_14default_configENS1_25partition_config_selectorILNS1_17partition_subalgoE8ElNS0_10empty_typeEbEEZZNS1_14partition_implILS5_8ELb0ES3_jPlPS6_PKS6_NS0_5tupleIJS9_S6_EEENSD_IJSA_SA_EEENS0_18inequality_wrapperIZN2at6native12_GLOBAL__N_124unique_dim_cuda_templateImEESt5tupleIJNSH_6TensorESM_SM_EERKSM_lbbbEUlllE0_EEPmJS6_EEE10hipError_tPvRmT3_T4_T5_T6_T7_T9_mT8_P12ihipStream_tbDpT10_ENKUlT_T0_E_clISt17integral_constantIbLb1EES1C_EEDaS17_S18_EUlS17_E_NS1_11comp_targetILNS1_3genE10ELNS1_11target_archE1200ELNS1_3gpuE4ELNS1_3repE0EEENS1_30default_config_static_selectorELNS0_4arch9wavefront6targetE0EEEvT1_,comdat
.Lfunc_end1674:
	.size	_ZN7rocprim17ROCPRIM_400000_NS6detail17trampoline_kernelINS0_14default_configENS1_25partition_config_selectorILNS1_17partition_subalgoE8ElNS0_10empty_typeEbEEZZNS1_14partition_implILS5_8ELb0ES3_jPlPS6_PKS6_NS0_5tupleIJS9_S6_EEENSD_IJSA_SA_EEENS0_18inequality_wrapperIZN2at6native12_GLOBAL__N_124unique_dim_cuda_templateImEESt5tupleIJNSH_6TensorESM_SM_EERKSM_lbbbEUlllE0_EEPmJS6_EEE10hipError_tPvRmT3_T4_T5_T6_T7_T9_mT8_P12ihipStream_tbDpT10_ENKUlT_T0_E_clISt17integral_constantIbLb1EES1C_EEDaS17_S18_EUlS17_E_NS1_11comp_targetILNS1_3genE10ELNS1_11target_archE1200ELNS1_3gpuE4ELNS1_3repE0EEENS1_30default_config_static_selectorELNS0_4arch9wavefront6targetE0EEEvT1_, .Lfunc_end1674-_ZN7rocprim17ROCPRIM_400000_NS6detail17trampoline_kernelINS0_14default_configENS1_25partition_config_selectorILNS1_17partition_subalgoE8ElNS0_10empty_typeEbEEZZNS1_14partition_implILS5_8ELb0ES3_jPlPS6_PKS6_NS0_5tupleIJS9_S6_EEENSD_IJSA_SA_EEENS0_18inequality_wrapperIZN2at6native12_GLOBAL__N_124unique_dim_cuda_templateImEESt5tupleIJNSH_6TensorESM_SM_EERKSM_lbbbEUlllE0_EEPmJS6_EEE10hipError_tPvRmT3_T4_T5_T6_T7_T9_mT8_P12ihipStream_tbDpT10_ENKUlT_T0_E_clISt17integral_constantIbLb1EES1C_EEDaS17_S18_EUlS17_E_NS1_11comp_targetILNS1_3genE10ELNS1_11target_archE1200ELNS1_3gpuE4ELNS1_3repE0EEENS1_30default_config_static_selectorELNS0_4arch9wavefront6targetE0EEEvT1_
                                        ; -- End function
	.section	.AMDGPU.csdata,"",@progbits
; Kernel info:
; codeLenInByte = 0
; NumSgprs: 0
; NumVgprs: 0
; ScratchSize: 0
; MemoryBound: 0
; FloatMode: 240
; IeeeMode: 1
; LDSByteSize: 0 bytes/workgroup (compile time only)
; SGPRBlocks: 0
; VGPRBlocks: 0
; NumSGPRsForWavesPerEU: 1
; NumVGPRsForWavesPerEU: 1
; Occupancy: 15
; WaveLimiterHint : 0
; COMPUTE_PGM_RSRC2:SCRATCH_EN: 0
; COMPUTE_PGM_RSRC2:USER_SGPR: 15
; COMPUTE_PGM_RSRC2:TRAP_HANDLER: 0
; COMPUTE_PGM_RSRC2:TGID_X_EN: 1
; COMPUTE_PGM_RSRC2:TGID_Y_EN: 0
; COMPUTE_PGM_RSRC2:TGID_Z_EN: 0
; COMPUTE_PGM_RSRC2:TIDIG_COMP_CNT: 0
	.section	.text._ZN7rocprim17ROCPRIM_400000_NS6detail17trampoline_kernelINS0_14default_configENS1_25partition_config_selectorILNS1_17partition_subalgoE8ElNS0_10empty_typeEbEEZZNS1_14partition_implILS5_8ELb0ES3_jPlPS6_PKS6_NS0_5tupleIJS9_S6_EEENSD_IJSA_SA_EEENS0_18inequality_wrapperIZN2at6native12_GLOBAL__N_124unique_dim_cuda_templateImEESt5tupleIJNSH_6TensorESM_SM_EERKSM_lbbbEUlllE0_EEPmJS6_EEE10hipError_tPvRmT3_T4_T5_T6_T7_T9_mT8_P12ihipStream_tbDpT10_ENKUlT_T0_E_clISt17integral_constantIbLb1EES1C_EEDaS17_S18_EUlS17_E_NS1_11comp_targetILNS1_3genE9ELNS1_11target_archE1100ELNS1_3gpuE3ELNS1_3repE0EEENS1_30default_config_static_selectorELNS0_4arch9wavefront6targetE0EEEvT1_,"axG",@progbits,_ZN7rocprim17ROCPRIM_400000_NS6detail17trampoline_kernelINS0_14default_configENS1_25partition_config_selectorILNS1_17partition_subalgoE8ElNS0_10empty_typeEbEEZZNS1_14partition_implILS5_8ELb0ES3_jPlPS6_PKS6_NS0_5tupleIJS9_S6_EEENSD_IJSA_SA_EEENS0_18inequality_wrapperIZN2at6native12_GLOBAL__N_124unique_dim_cuda_templateImEESt5tupleIJNSH_6TensorESM_SM_EERKSM_lbbbEUlllE0_EEPmJS6_EEE10hipError_tPvRmT3_T4_T5_T6_T7_T9_mT8_P12ihipStream_tbDpT10_ENKUlT_T0_E_clISt17integral_constantIbLb1EES1C_EEDaS17_S18_EUlS17_E_NS1_11comp_targetILNS1_3genE9ELNS1_11target_archE1100ELNS1_3gpuE3ELNS1_3repE0EEENS1_30default_config_static_selectorELNS0_4arch9wavefront6targetE0EEEvT1_,comdat
	.globl	_ZN7rocprim17ROCPRIM_400000_NS6detail17trampoline_kernelINS0_14default_configENS1_25partition_config_selectorILNS1_17partition_subalgoE8ElNS0_10empty_typeEbEEZZNS1_14partition_implILS5_8ELb0ES3_jPlPS6_PKS6_NS0_5tupleIJS9_S6_EEENSD_IJSA_SA_EEENS0_18inequality_wrapperIZN2at6native12_GLOBAL__N_124unique_dim_cuda_templateImEESt5tupleIJNSH_6TensorESM_SM_EERKSM_lbbbEUlllE0_EEPmJS6_EEE10hipError_tPvRmT3_T4_T5_T6_T7_T9_mT8_P12ihipStream_tbDpT10_ENKUlT_T0_E_clISt17integral_constantIbLb1EES1C_EEDaS17_S18_EUlS17_E_NS1_11comp_targetILNS1_3genE9ELNS1_11target_archE1100ELNS1_3gpuE3ELNS1_3repE0EEENS1_30default_config_static_selectorELNS0_4arch9wavefront6targetE0EEEvT1_ ; -- Begin function _ZN7rocprim17ROCPRIM_400000_NS6detail17trampoline_kernelINS0_14default_configENS1_25partition_config_selectorILNS1_17partition_subalgoE8ElNS0_10empty_typeEbEEZZNS1_14partition_implILS5_8ELb0ES3_jPlPS6_PKS6_NS0_5tupleIJS9_S6_EEENSD_IJSA_SA_EEENS0_18inequality_wrapperIZN2at6native12_GLOBAL__N_124unique_dim_cuda_templateImEESt5tupleIJNSH_6TensorESM_SM_EERKSM_lbbbEUlllE0_EEPmJS6_EEE10hipError_tPvRmT3_T4_T5_T6_T7_T9_mT8_P12ihipStream_tbDpT10_ENKUlT_T0_E_clISt17integral_constantIbLb1EES1C_EEDaS17_S18_EUlS17_E_NS1_11comp_targetILNS1_3genE9ELNS1_11target_archE1100ELNS1_3gpuE3ELNS1_3repE0EEENS1_30default_config_static_selectorELNS0_4arch9wavefront6targetE0EEEvT1_
	.p2align	8
	.type	_ZN7rocprim17ROCPRIM_400000_NS6detail17trampoline_kernelINS0_14default_configENS1_25partition_config_selectorILNS1_17partition_subalgoE8ElNS0_10empty_typeEbEEZZNS1_14partition_implILS5_8ELb0ES3_jPlPS6_PKS6_NS0_5tupleIJS9_S6_EEENSD_IJSA_SA_EEENS0_18inequality_wrapperIZN2at6native12_GLOBAL__N_124unique_dim_cuda_templateImEESt5tupleIJNSH_6TensorESM_SM_EERKSM_lbbbEUlllE0_EEPmJS6_EEE10hipError_tPvRmT3_T4_T5_T6_T7_T9_mT8_P12ihipStream_tbDpT10_ENKUlT_T0_E_clISt17integral_constantIbLb1EES1C_EEDaS17_S18_EUlS17_E_NS1_11comp_targetILNS1_3genE9ELNS1_11target_archE1100ELNS1_3gpuE3ELNS1_3repE0EEENS1_30default_config_static_selectorELNS0_4arch9wavefront6targetE0EEEvT1_,@function
_ZN7rocprim17ROCPRIM_400000_NS6detail17trampoline_kernelINS0_14default_configENS1_25partition_config_selectorILNS1_17partition_subalgoE8ElNS0_10empty_typeEbEEZZNS1_14partition_implILS5_8ELb0ES3_jPlPS6_PKS6_NS0_5tupleIJS9_S6_EEENSD_IJSA_SA_EEENS0_18inequality_wrapperIZN2at6native12_GLOBAL__N_124unique_dim_cuda_templateImEESt5tupleIJNSH_6TensorESM_SM_EERKSM_lbbbEUlllE0_EEPmJS6_EEE10hipError_tPvRmT3_T4_T5_T6_T7_T9_mT8_P12ihipStream_tbDpT10_ENKUlT_T0_E_clISt17integral_constantIbLb1EES1C_EEDaS17_S18_EUlS17_E_NS1_11comp_targetILNS1_3genE9ELNS1_11target_archE1100ELNS1_3gpuE3ELNS1_3repE0EEENS1_30default_config_static_selectorELNS0_4arch9wavefront6targetE0EEEvT1_: ; @_ZN7rocprim17ROCPRIM_400000_NS6detail17trampoline_kernelINS0_14default_configENS1_25partition_config_selectorILNS1_17partition_subalgoE8ElNS0_10empty_typeEbEEZZNS1_14partition_implILS5_8ELb0ES3_jPlPS6_PKS6_NS0_5tupleIJS9_S6_EEENSD_IJSA_SA_EEENS0_18inequality_wrapperIZN2at6native12_GLOBAL__N_124unique_dim_cuda_templateImEESt5tupleIJNSH_6TensorESM_SM_EERKSM_lbbbEUlllE0_EEPmJS6_EEE10hipError_tPvRmT3_T4_T5_T6_T7_T9_mT8_P12ihipStream_tbDpT10_ENKUlT_T0_E_clISt17integral_constantIbLb1EES1C_EEDaS17_S18_EUlS17_E_NS1_11comp_targetILNS1_3genE9ELNS1_11target_archE1100ELNS1_3gpuE3ELNS1_3repE0EEENS1_30default_config_static_selectorELNS0_4arch9wavefront6targetE0EEEvT1_
; %bb.0:
	s_clause 0x2
	s_load_b64 s[20:21], s[0:1], 0x28
	s_load_b256 s[8:15], s[0:1], 0x40
	s_load_b128 s[16:19], s[0:1], 0x60
	v_cmp_ne_u32_e64 s3, 0, v0
	v_cmp_eq_u32_e64 s2, 0, v0
	s_delay_alu instid0(VALU_DEP_1)
	s_and_saveexec_b32 s4, s2
	s_cbranch_execz .LBB1675_4
; %bb.1:
	s_mov_b32 s6, exec_lo
	s_mov_b32 s5, exec_lo
	v_mbcnt_lo_u32_b32 v1, s6, 0
                                        ; implicit-def: $vgpr2
	s_delay_alu instid0(VALU_DEP_1)
	v_cmpx_eq_u32_e32 0, v1
	s_cbranch_execz .LBB1675_3
; %bb.2:
	s_load_b64 s[22:23], s[0:1], 0x78
	s_bcnt1_i32_b32 s6, s6
	s_delay_alu instid0(SALU_CYCLE_1)
	v_dual_mov_b32 v2, 0 :: v_dual_mov_b32 v3, s6
	s_waitcnt lgkmcnt(0)
	global_atomic_add_u32 v2, v2, v3, s[22:23] glc
.LBB1675_3:
	s_or_b32 exec_lo, exec_lo, s5
	s_waitcnt vmcnt(0)
	v_readfirstlane_b32 s5, v2
	s_delay_alu instid0(VALU_DEP_1)
	v_dual_mov_b32 v2, 0 :: v_dual_add_nc_u32 v1, s5, v1
	ds_store_b32 v2, v1
.LBB1675_4:
	s_or_b32 exec_lo, exec_lo, s4
	v_dual_mov_b32 v2, 0 :: v_dual_lshlrev_b32 v39, 3, v0
	s_clause 0x1
	s_load_b128 s[4:7], s[0:1], 0x8
	s_load_b32 s0, s[0:1], 0x70
	s_waitcnt lgkmcnt(0)
	s_barrier
	buffer_gl0_inv
	ds_load_b32 v1, v2
	s_waitcnt lgkmcnt(0)
	s_barrier
	buffer_gl0_inv
	global_load_b64 v[3:4], v2, s[10:11]
	v_lshrrev_b32_e32 v19, 2, v0
	v_or_b32_e32 v26, 0x200, v0
	v_or_b32_e32 v25, 0x400, v0
	;; [unrolled: 1-line block ×7, first 2 shown]
	s_lshl_b64 s[10:11], s[6:7], 3
	s_delay_alu instid0(SALU_CYCLE_1)
	s_add_u32 s10, s4, s10
	s_addc_u32 s11, s5, s11
	s_add_i32 s1, s0, -1
	v_readfirstlane_b32 s23, v1
	s_lshl_b32 s4, s1, 12
	v_lshlrev_b32_e32 v1, 12, v1
	s_lshl_b32 s5, s0, 12
	s_add_i32 s0, s6, s4
	s_add_u32 s4, s6, s5
	s_addc_u32 s5, s7, 0
	v_lshlrev_b64 v[1:2], 3, v[1:2]
	v_cmp_ge_u64_e64 s4, s[4:5], s[12:13]
	s_cmp_eq_u32 s23, s1
	s_cselect_b32 s13, -1, 0
	s_delay_alu instid0(VALU_DEP_2) | instskip(NEXT) | instid1(VALU_DEP_2)
	v_add_co_u32 v17, vcc_lo, s10, v1
	s_and_b32 s1, s4, s13
	v_add_co_ci_u32_e32 v18, vcc_lo, s11, v2, vcc_lo
	s_xor_b32 s22, s1, -1
	s_mov_b32 s4, -1
	s_and_b32 vcc_lo, exec_lo, s22
	s_waitcnt vmcnt(0)
	v_readfirstlane_b32 s10, v3
	v_readfirstlane_b32 s11, v4
	s_cbranch_vccz .LBB1675_6
; %bb.5:
	v_add_co_u32 v9, vcc_lo, v17, v39
	v_add_co_ci_u32_e32 v10, vcc_lo, 0, v18, vcc_lo
	v_readfirstlane_b32 s4, v17
	s_delay_alu instid0(VALU_DEP_3) | instskip(NEXT) | instid1(VALU_DEP_3)
	v_add_co_u32 v3, vcc_lo, v9, 0x2000
	v_add_co_ci_u32_e32 v4, vcc_lo, 0, v10, vcc_lo
	v_add_co_u32 v5, vcc_lo, v9, 0x4000
	v_add_co_ci_u32_e32 v6, vcc_lo, 0, v10, vcc_lo
	v_add_co_u32 v7, vcc_lo, v9, 0x6000
	v_readfirstlane_b32 s5, v18
	v_add_co_ci_u32_e32 v8, vcc_lo, 0, v10, vcc_lo
	v_add_co_u32 v9, vcc_lo, 0x7000, v9
	v_add_co_ci_u32_e32 v10, vcc_lo, 0, v10, vcc_lo
	s_clause 0x7
	global_load_b64 v[1:2], v39, s[4:5]
	global_load_b64 v[11:12], v[3:4], off offset:-4096
	global_load_b64 v[3:4], v[3:4], off
	global_load_b64 v[13:14], v[5:6], off offset:-4096
	global_load_b64 v[5:6], v[5:6], off
	;; [unrolled: 2-line block ×3, first 2 shown]
	global_load_b64 v[9:10], v[9:10], off
	v_lshrrev_b32_e32 v28, 2, v26
	v_lshrrev_b32_e32 v29, 2, v25
	;; [unrolled: 1-line block ×4, first 2 shown]
	v_and_b32_e32 v27, 0x78, v19
	v_lshrrev_b32_e32 v32, 2, v22
	v_lshrrev_b32_e32 v33, 2, v21
	;; [unrolled: 1-line block ×3, first 2 shown]
	v_and_b32_e32 v28, 0xf8, v28
	v_and_b32_e32 v29, 0x178, v29
	;; [unrolled: 1-line block ×4, first 2 shown]
	v_add_nc_u32_e32 v27, v27, v39
	v_and_b32_e32 v32, 0x2f8, v32
	v_and_b32_e32 v33, 0x378, v33
	v_and_b32_e32 v34, 0x3f8, v34
	v_add_nc_u32_e32 v28, v28, v39
	v_add_nc_u32_e32 v29, v29, v39
	;; [unrolled: 1-line block ×4, first 2 shown]
	s_mov_b32 s4, 0
	v_add_nc_u32_e32 v32, v32, v39
	v_add_nc_u32_e32 v33, v33, v39
	;; [unrolled: 1-line block ×3, first 2 shown]
	s_waitcnt vmcnt(7)
	ds_store_b64 v27, v[1:2]
	s_waitcnt vmcnt(6)
	ds_store_b64 v28, v[11:12] offset:4096
	s_waitcnt vmcnt(5)
	ds_store_b64 v29, v[3:4] offset:8192
	;; [unrolled: 2-line block ×7, first 2 shown]
	s_waitcnt lgkmcnt(0)
	s_barrier
.LBB1675_6:
	s_and_not1_b32 vcc_lo, exec_lo, s4
	s_sub_i32 s12, s12, s0
	s_cbranch_vccnz .LBB1675_17
; %bb.7:
	s_mov_b32 s0, exec_lo
                                        ; implicit-def: $vgpr1_vgpr2_vgpr3_vgpr4_vgpr5_vgpr6_vgpr7_vgpr8_vgpr9_vgpr10_vgpr11_vgpr12_vgpr13_vgpr14_vgpr15_vgpr16
	v_cmpx_gt_u32_e64 s12, v0
	s_cbranch_execnz .LBB1675_27
; %bb.8:
	s_or_b32 exec_lo, exec_lo, s0
	s_delay_alu instid0(SALU_CYCLE_1)
	s_mov_b32 s0, exec_lo
	v_cmpx_gt_u32_e64 s12, v26
	s_cbranch_execnz .LBB1675_28
.LBB1675_9:
	s_or_b32 exec_lo, exec_lo, s0
	s_delay_alu instid0(SALU_CYCLE_1)
	s_mov_b32 s0, exec_lo
	v_cmpx_gt_u32_e64 s12, v25
	s_cbranch_execnz .LBB1675_29
.LBB1675_10:
	s_or_b32 exec_lo, exec_lo, s0
	s_delay_alu instid0(SALU_CYCLE_1)
	s_mov_b32 s0, exec_lo
	v_cmpx_gt_u32_e64 s12, v24
	s_cbranch_execnz .LBB1675_30
.LBB1675_11:
	s_or_b32 exec_lo, exec_lo, s0
	s_delay_alu instid0(SALU_CYCLE_1)
	s_mov_b32 s0, exec_lo
	v_cmpx_gt_u32_e64 s12, v23
	s_cbranch_execnz .LBB1675_31
.LBB1675_12:
	s_or_b32 exec_lo, exec_lo, s0
	s_delay_alu instid0(SALU_CYCLE_1)
	s_mov_b32 s0, exec_lo
	v_cmpx_gt_u32_e64 s12, v22
	s_cbranch_execnz .LBB1675_32
.LBB1675_13:
	s_or_b32 exec_lo, exec_lo, s0
	s_delay_alu instid0(SALU_CYCLE_1)
	s_mov_b32 s0, exec_lo
	v_cmpx_gt_u32_e64 s12, v21
	s_cbranch_execnz .LBB1675_33
.LBB1675_14:
	s_or_b32 exec_lo, exec_lo, s0
	s_delay_alu instid0(SALU_CYCLE_1)
	s_mov_b32 s0, exec_lo
	v_cmpx_gt_u32_e64 s12, v20
	s_cbranch_execz .LBB1675_16
.LBB1675_15:
	v_lshlrev_b32_e32 v15, 3, v20
	v_readfirstlane_b32 s4, v17
	v_readfirstlane_b32 s5, v18
	global_load_b64 v[15:16], v15, s[4:5]
.LBB1675_16:
	s_or_b32 exec_lo, exec_lo, s0
	v_lshrrev_b32_e32 v26, 2, v26
	v_lshrrev_b32_e32 v25, 2, v25
	;; [unrolled: 1-line block ×4, first 2 shown]
	v_and_b32_e32 v27, 0x78, v19
	v_lshrrev_b32_e32 v22, 2, v22
	v_lshrrev_b32_e32 v21, 2, v21
	;; [unrolled: 1-line block ×3, first 2 shown]
	v_and_b32_e32 v26, 0xf8, v26
	v_and_b32_e32 v25, 0x1f8, v25
	;; [unrolled: 1-line block ×4, first 2 shown]
	v_add_nc_u32_e32 v27, v27, v39
	v_and_b32_e32 v22, 0x3f8, v22
	v_and_b32_e32 v21, 0x3f8, v21
	v_and_b32_e32 v20, 0x3f8, v20
	v_add_nc_u32_e32 v26, v26, v39
	v_add_nc_u32_e32 v25, v25, v39
	;; [unrolled: 1-line block ×7, first 2 shown]
	s_waitcnt vmcnt(0)
	ds_store_b64 v27, v[1:2]
	ds_store_b64 v26, v[3:4] offset:4096
	ds_store_b64 v25, v[5:6] offset:8192
	;; [unrolled: 1-line block ×7, first 2 shown]
	s_waitcnt lgkmcnt(0)
	s_barrier
.LBB1675_17:
	v_add_lshl_u32 v1, v19, v39, 3
	buffer_gl0_inv
	s_cmp_lg_u32 s23, 0
	v_cmp_gt_i64_e64 s26, s[14:15], 0
	s_cselect_b32 s24, -1, 0
	ds_load_2addr_b64 v[13:16], v1 offset1:1
	ds_load_2addr_b64 v[9:12], v1 offset0:2 offset1:3
	ds_load_2addr_b64 v[5:8], v1 offset0:4 offset1:5
	;; [unrolled: 1-line block ×3, first 2 shown]
	s_cmp_lg_u64 s[6:7], 0
	s_mov_b32 s25, 0
	s_cselect_b32 s0, -1, 0
	s_waitcnt lgkmcnt(0)
	s_or_b32 s0, s0, s24
	s_barrier
	s_and_b32 vcc_lo, exec_lo, s0
	buffer_gl0_inv
	s_cbranch_vccz .LBB1675_26
; %bb.18:
	global_load_b64 v[17:18], v[17:18], off offset:-8
	v_cndmask_b32_e64 v27, 0, 1, s26
	s_and_b32 vcc_lo, exec_lo, s22
	ds_store_b64 v39, v[3:4]
	v_cmp_ne_u32_e64 s0, 1, v27
	s_cbranch_vccz .LBB1675_34
; %bb.19:
	v_mul_lo_u32 v21, v2, s14
	v_mul_lo_u32 v22, v1, s15
	v_mad_u64_u32 v[19:20], null, v1, s14, 0
	s_and_b32 vcc_lo, exec_lo, s0
	s_mov_b32 s27, 0
	s_delay_alu instid0(VALU_DEP_1) | instskip(NEXT) | instid1(VALU_DEP_1)
	v_add3_u32 v20, v20, v22, v21
	v_lshlrev_b64 v[19:20], 3, v[19:20]
	s_cbranch_vccnz .LBB1675_37
; %bb.20:
	v_mul_lo_u32 v23, v4, s14
	v_mul_lo_u32 v24, v3, s15
	v_mad_u64_u32 v[21:22], null, v3, s14, 0
	s_mov_b32 s27, -1
	s_mov_b32 s28, exec_lo
	s_delay_alu instid0(VALU_DEP_1) | instskip(SKIP_2) | instid1(VALU_DEP_3)
	v_add3_u32 v22, v22, v24, v23
	v_add_co_u32 v23, vcc_lo, s16, v19
	v_add_co_ci_u32_e32 v24, vcc_lo, s17, v20, vcc_lo
	v_lshlrev_b64 v[21:22], 3, v[21:22]
	s_delay_alu instid0(VALU_DEP_1) | instskip(NEXT) | instid1(VALU_DEP_2)
	v_add_co_u32 v21, vcc_lo, s16, v21
	v_add_co_ci_u32_e32 v22, vcc_lo, s17, v22, vcc_lo
	s_clause 0x1
	global_load_b64 v[25:26], v[23:24], off
	global_load_b64 v[28:29], v[21:22], off
	s_waitcnt vmcnt(0)
	v_cmpx_eq_u64_e64 v[25:26], v[28:29]
	s_cbranch_execz .LBB1675_36
; %bb.21:
	v_add_co_u32 v21, vcc_lo, v21, 8
	v_add_co_ci_u32_e32 v22, vcc_lo, 0, v22, vcc_lo
	v_add_co_u32 v23, vcc_lo, v23, 8
	v_add_co_ci_u32_e32 v24, vcc_lo, 0, v24, vcc_lo
	s_add_u32 s4, s14, -1
	s_addc_u32 s5, s15, -1
	s_mov_b64 s[6:7], 0
	s_mov_b32 s27, 0
                                        ; implicit-def: $sgpr29
	s_set_inst_prefetch_distance 0x1
	s_branch .LBB1675_24
	.p2align	6
.LBB1675_22:                            ;   in Loop: Header=BB1675_24 Depth=1
	global_load_b64 v[25:26], v[23:24], off
	global_load_b64 v[28:29], v[21:22], off
	v_add_co_u32 v21, vcc_lo, v21, 8
	v_add_co_ci_u32_e32 v22, vcc_lo, 0, v22, vcc_lo
	v_add_co_u32 v23, s0, v23, 8
	s_delay_alu instid0(VALU_DEP_1)
	v_add_co_ci_u32_e64 v24, s0, 0, v24, s0
	s_add_u32 s6, s6, 1
	s_addc_u32 s7, s7, 0
	s_and_not1_b32 s0, s29, exec_lo
	s_waitcnt vmcnt(0)
	v_cmp_ne_u64_e32 vcc_lo, v[25:26], v[28:29]
	s_and_b32 s29, vcc_lo, exec_lo
	s_delay_alu instid0(SALU_CYCLE_1)
	s_or_b32 s29, s0, s29
.LBB1675_23:                            ;   in Loop: Header=BB1675_24 Depth=1
	v_dual_mov_b32 v26, s7 :: v_dual_mov_b32 v25, s6
	s_and_b32 s0, exec_lo, s29
	s_delay_alu instid0(SALU_CYCLE_1) | instskip(NEXT) | instid1(SALU_CYCLE_1)
	s_or_b32 s27, s0, s27
	s_and_not1_b32 exec_lo, exec_lo, s27
	s_cbranch_execz .LBB1675_35
.LBB1675_24:                            ; =>This Inner Loop Header: Depth=1
	s_or_b32 s29, s29, exec_lo
	s_cmp_eq_u64 s[4:5], s[6:7]
	s_cbranch_scc0 .LBB1675_22
; %bb.25:                               ;   in Loop: Header=BB1675_24 Depth=1
	s_mov_b64 s[6:7], s[14:15]
                                        ; implicit-def: $vgpr21_vgpr22
                                        ; implicit-def: $vgpr23_vgpr24
	s_branch .LBB1675_23
.LBB1675_26:
                                        ; implicit-def: $sgpr0
                                        ; implicit-def: $vgpr20
	s_branch .LBB1675_195
.LBB1675_27:
	v_readfirstlane_b32 s4, v17
	v_readfirstlane_b32 s5, v18
	global_load_b64 v[1:2], v39, s[4:5]
	s_or_b32 exec_lo, exec_lo, s0
	s_delay_alu instid0(SALU_CYCLE_1)
	s_mov_b32 s0, exec_lo
	v_cmpx_gt_u32_e64 s12, v26
	s_cbranch_execz .LBB1675_9
.LBB1675_28:
	v_lshlrev_b32_e32 v3, 3, v26
	v_readfirstlane_b32 s4, v17
	v_readfirstlane_b32 s5, v18
	global_load_b64 v[3:4], v3, s[4:5]
	s_or_b32 exec_lo, exec_lo, s0
	s_delay_alu instid0(SALU_CYCLE_1)
	s_mov_b32 s0, exec_lo
	v_cmpx_gt_u32_e64 s12, v25
	s_cbranch_execz .LBB1675_10
.LBB1675_29:
	v_lshlrev_b32_e32 v5, 3, v25
	v_readfirstlane_b32 s4, v17
	v_readfirstlane_b32 s5, v18
	global_load_b64 v[5:6], v5, s[4:5]
	s_or_b32 exec_lo, exec_lo, s0
	s_delay_alu instid0(SALU_CYCLE_1)
	s_mov_b32 s0, exec_lo
	v_cmpx_gt_u32_e64 s12, v24
	s_cbranch_execz .LBB1675_11
.LBB1675_30:
	v_lshlrev_b32_e32 v7, 3, v24
	v_readfirstlane_b32 s4, v17
	v_readfirstlane_b32 s5, v18
	global_load_b64 v[7:8], v7, s[4:5]
	s_or_b32 exec_lo, exec_lo, s0
	s_delay_alu instid0(SALU_CYCLE_1)
	s_mov_b32 s0, exec_lo
	v_cmpx_gt_u32_e64 s12, v23
	s_cbranch_execz .LBB1675_12
.LBB1675_31:
	v_lshlrev_b32_e32 v9, 3, v23
	v_readfirstlane_b32 s4, v17
	v_readfirstlane_b32 s5, v18
	global_load_b64 v[9:10], v9, s[4:5]
	s_or_b32 exec_lo, exec_lo, s0
	s_delay_alu instid0(SALU_CYCLE_1)
	s_mov_b32 s0, exec_lo
	v_cmpx_gt_u32_e64 s12, v22
	s_cbranch_execz .LBB1675_13
.LBB1675_32:
	v_lshlrev_b32_e32 v11, 3, v22
	v_readfirstlane_b32 s4, v17
	v_readfirstlane_b32 s5, v18
	global_load_b64 v[11:12], v11, s[4:5]
	s_or_b32 exec_lo, exec_lo, s0
	s_delay_alu instid0(SALU_CYCLE_1)
	s_mov_b32 s0, exec_lo
	v_cmpx_gt_u32_e64 s12, v21
	s_cbranch_execz .LBB1675_14
.LBB1675_33:
	v_lshlrev_b32_e32 v13, 3, v21
	v_readfirstlane_b32 s4, v17
	v_readfirstlane_b32 s5, v18
	global_load_b64 v[13:14], v13, s[4:5]
	s_or_b32 exec_lo, exec_lo, s0
	s_delay_alu instid0(SALU_CYCLE_1)
	s_mov_b32 s0, exec_lo
	v_cmpx_gt_u32_e64 s12, v20
	s_cbranch_execnz .LBB1675_15
	s_branch .LBB1675_16
.LBB1675_34:
                                        ; implicit-def: $sgpr0
                                        ; implicit-def: $vgpr20
	s_cbranch_execnz .LBB1675_103
	s_branch .LBB1675_194
.LBB1675_35:
	s_set_inst_prefetch_distance 0x2
	s_or_b32 exec_lo, exec_lo, s27
	v_cmp_gt_i64_e32 vcc_lo, s[14:15], v[25:26]
	s_or_not1_b32 s27, vcc_lo, exec_lo
.LBB1675_36:
	s_or_b32 exec_lo, exec_lo, s28
.LBB1675_37:
	v_mul_lo_u32 v23, v8, s14
	v_mul_lo_u32 v24, v7, s15
	v_mad_u64_u32 v[21:22], null, v7, s14, 0
	s_and_not1_b32 vcc_lo, exec_lo, s26
	s_delay_alu instid0(VALU_DEP_1) | instskip(NEXT) | instid1(VALU_DEP_1)
	v_add3_u32 v22, v22, v24, v23
	v_lshlrev_b64 v[21:22], 3, v[21:22]
	s_cbranch_vccnz .LBB1675_46
; %bb.38:
	s_delay_alu instid0(VALU_DEP_1) | instskip(NEXT) | instid1(VALU_DEP_2)
	v_add_co_u32 v23, vcc_lo, s16, v21
	v_add_co_ci_u32_e32 v24, vcc_lo, s17, v22, vcc_lo
	v_add_co_u32 v19, vcc_lo, s16, v19
	v_add_co_ci_u32_e32 v20, vcc_lo, s17, v20, vcc_lo
	s_mov_b32 s25, -1
	s_clause 0x1
	global_load_b64 v[25:26], v[23:24], off
	global_load_b64 v[28:29], v[19:20], off
	s_mov_b32 s28, exec_lo
	s_waitcnt vmcnt(0)
	v_cmpx_eq_u64_e64 v[25:26], v[28:29]
	s_cbranch_execz .LBB1675_45
; %bb.39:
	v_add_co_u32 v19, vcc_lo, v19, 8
	v_add_co_ci_u32_e32 v20, vcc_lo, 0, v20, vcc_lo
	v_add_co_u32 v23, vcc_lo, v23, 8
	v_add_co_ci_u32_e32 v24, vcc_lo, 0, v24, vcc_lo
	s_add_u32 s4, s14, -1
	s_addc_u32 s5, s15, -1
	s_mov_b64 s[6:7], 0
	s_mov_b32 s25, 0
                                        ; implicit-def: $sgpr29
	s_set_inst_prefetch_distance 0x1
	s_branch .LBB1675_42
	.p2align	6
.LBB1675_40:                            ;   in Loop: Header=BB1675_42 Depth=1
	global_load_b64 v[25:26], v[23:24], off
	global_load_b64 v[28:29], v[19:20], off
	v_add_co_u32 v19, vcc_lo, v19, 8
	v_add_co_ci_u32_e32 v20, vcc_lo, 0, v20, vcc_lo
	v_add_co_u32 v23, s0, v23, 8
	s_delay_alu instid0(VALU_DEP_1)
	v_add_co_ci_u32_e64 v24, s0, 0, v24, s0
	s_add_u32 s6, s6, 1
	s_addc_u32 s7, s7, 0
	s_and_not1_b32 s0, s29, exec_lo
	s_waitcnt vmcnt(0)
	v_cmp_ne_u64_e32 vcc_lo, v[25:26], v[28:29]
	s_and_b32 s29, vcc_lo, exec_lo
	s_delay_alu instid0(SALU_CYCLE_1)
	s_or_b32 s29, s0, s29
.LBB1675_41:                            ;   in Loop: Header=BB1675_42 Depth=1
	v_dual_mov_b32 v26, s7 :: v_dual_mov_b32 v25, s6
	s_and_b32 s0, exec_lo, s29
	s_delay_alu instid0(SALU_CYCLE_1) | instskip(NEXT) | instid1(SALU_CYCLE_1)
	s_or_b32 s25, s0, s25
	s_and_not1_b32 exec_lo, exec_lo, s25
	s_cbranch_execz .LBB1675_44
.LBB1675_42:                            ; =>This Inner Loop Header: Depth=1
	s_or_b32 s29, s29, exec_lo
	s_cmp_eq_u64 s[4:5], s[6:7]
	s_cbranch_scc0 .LBB1675_40
; %bb.43:                               ;   in Loop: Header=BB1675_42 Depth=1
	s_mov_b64 s[6:7], s[14:15]
                                        ; implicit-def: $vgpr19_vgpr20
                                        ; implicit-def: $vgpr23_vgpr24
	s_branch .LBB1675_41
.LBB1675_44:
	s_set_inst_prefetch_distance 0x2
	s_or_b32 exec_lo, exec_lo, s25
	v_cmp_gt_i64_e32 vcc_lo, s[14:15], v[25:26]
	s_or_not1_b32 s25, vcc_lo, exec_lo
.LBB1675_45:
	s_or_b32 exec_lo, exec_lo, s28
.LBB1675_46:
	v_mul_lo_u32 v23, v6, s14
	v_mul_lo_u32 v24, v5, s15
	v_mad_u64_u32 v[19:20], null, v5, s14, 0
	s_mov_b32 s28, 0
	s_and_not1_b32 vcc_lo, exec_lo, s26
	s_mov_b32 s29, 0
	s_delay_alu instid0(VALU_DEP_1) | instskip(NEXT) | instid1(VALU_DEP_1)
	v_add3_u32 v20, v20, v24, v23
	v_lshlrev_b64 v[23:24], 3, v[19:20]
	s_cbranch_vccnz .LBB1675_55
; %bb.47:
	s_delay_alu instid0(VALU_DEP_1) | instskip(NEXT) | instid1(VALU_DEP_2)
	v_add_co_u32 v25, vcc_lo, s16, v23
	v_add_co_ci_u32_e32 v26, vcc_lo, s17, v24, vcc_lo
	v_add_co_u32 v19, vcc_lo, s16, v21
	v_add_co_ci_u32_e32 v20, vcc_lo, s17, v22, vcc_lo
	s_mov_b32 s29, -1
	s_clause 0x1
	global_load_b64 v[21:22], v[25:26], off
	global_load_b64 v[28:29], v[19:20], off
	s_mov_b32 s30, exec_lo
	s_waitcnt vmcnt(0)
	v_cmpx_eq_u64_e64 v[21:22], v[28:29]
	s_cbranch_execz .LBB1675_54
; %bb.48:
	v_add_co_u32 v19, vcc_lo, v19, 8
	v_add_co_ci_u32_e32 v20, vcc_lo, 0, v20, vcc_lo
	v_add_co_u32 v21, vcc_lo, v25, 8
	v_add_co_ci_u32_e32 v22, vcc_lo, 0, v26, vcc_lo
	s_add_u32 s4, s14, -1
	s_addc_u32 s5, s15, -1
	s_mov_b64 s[6:7], 0
	s_mov_b32 s29, 0
                                        ; implicit-def: $sgpr31
	s_set_inst_prefetch_distance 0x1
	s_branch .LBB1675_51
	.p2align	6
.LBB1675_49:                            ;   in Loop: Header=BB1675_51 Depth=1
	global_load_b64 v[25:26], v[21:22], off
	global_load_b64 v[28:29], v[19:20], off
	v_add_co_u32 v19, vcc_lo, v19, 8
	v_add_co_ci_u32_e32 v20, vcc_lo, 0, v20, vcc_lo
	v_add_co_u32 v21, s0, v21, 8
	s_delay_alu instid0(VALU_DEP_1)
	v_add_co_ci_u32_e64 v22, s0, 0, v22, s0
	s_add_u32 s6, s6, 1
	s_addc_u32 s7, s7, 0
	s_and_not1_b32 s0, s31, exec_lo
	s_waitcnt vmcnt(0)
	v_cmp_ne_u64_e32 vcc_lo, v[25:26], v[28:29]
	s_and_b32 s31, vcc_lo, exec_lo
	s_delay_alu instid0(SALU_CYCLE_1)
	s_or_b32 s31, s0, s31
.LBB1675_50:                            ;   in Loop: Header=BB1675_51 Depth=1
	v_dual_mov_b32 v26, s7 :: v_dual_mov_b32 v25, s6
	s_and_b32 s0, exec_lo, s31
	s_delay_alu instid0(SALU_CYCLE_1) | instskip(NEXT) | instid1(SALU_CYCLE_1)
	s_or_b32 s29, s0, s29
	s_and_not1_b32 exec_lo, exec_lo, s29
	s_cbranch_execz .LBB1675_53
.LBB1675_51:                            ; =>This Inner Loop Header: Depth=1
	s_or_b32 s31, s31, exec_lo
	s_cmp_eq_u64 s[4:5], s[6:7]
	s_cbranch_scc0 .LBB1675_49
; %bb.52:                               ;   in Loop: Header=BB1675_51 Depth=1
	s_mov_b64 s[6:7], s[14:15]
                                        ; implicit-def: $vgpr19_vgpr20
                                        ; implicit-def: $vgpr21_vgpr22
	s_branch .LBB1675_50
.LBB1675_53:
	s_set_inst_prefetch_distance 0x2
	s_or_b32 exec_lo, exec_lo, s29
	v_cmp_gt_i64_e32 vcc_lo, s[14:15], v[25:26]
	s_or_not1_b32 s29, vcc_lo, exec_lo
.LBB1675_54:
	s_or_b32 exec_lo, exec_lo, s30
.LBB1675_55:
	v_mul_lo_u32 v21, v12, s14
	v_mul_lo_u32 v22, v11, s15
	v_mad_u64_u32 v[19:20], null, v11, s14, 0
	s_and_not1_b32 vcc_lo, exec_lo, s26
	s_delay_alu instid0(VALU_DEP_1) | instskip(NEXT) | instid1(VALU_DEP_1)
	v_add3_u32 v20, v20, v22, v21
	v_lshlrev_b64 v[19:20], 3, v[19:20]
	s_cbranch_vccnz .LBB1675_64
; %bb.56:
	s_delay_alu instid0(VALU_DEP_1) | instskip(NEXT) | instid1(VALU_DEP_2)
	v_add_co_u32 v25, vcc_lo, s16, v19
	v_add_co_ci_u32_e32 v26, vcc_lo, s17, v20, vcc_lo
	v_add_co_u32 v21, vcc_lo, s16, v23
	v_add_co_ci_u32_e32 v22, vcc_lo, s17, v24, vcc_lo
	s_mov_b32 s28, -1
	s_clause 0x1
	global_load_b64 v[23:24], v[25:26], off
	global_load_b64 v[28:29], v[21:22], off
	s_mov_b32 s30, exec_lo
	s_waitcnt vmcnt(0)
	v_cmpx_eq_u64_e64 v[23:24], v[28:29]
	s_cbranch_execz .LBB1675_63
; %bb.57:
	v_add_co_u32 v21, vcc_lo, v21, 8
	v_add_co_ci_u32_e32 v22, vcc_lo, 0, v22, vcc_lo
	v_add_co_u32 v23, vcc_lo, v25, 8
	v_add_co_ci_u32_e32 v24, vcc_lo, 0, v26, vcc_lo
	s_add_u32 s4, s14, -1
	s_addc_u32 s5, s15, -1
	s_mov_b64 s[6:7], 0
	s_mov_b32 s28, 0
                                        ; implicit-def: $sgpr31
	s_set_inst_prefetch_distance 0x1
	s_branch .LBB1675_60
	.p2align	6
.LBB1675_58:                            ;   in Loop: Header=BB1675_60 Depth=1
	global_load_b64 v[25:26], v[23:24], off
	global_load_b64 v[28:29], v[21:22], off
	v_add_co_u32 v21, vcc_lo, v21, 8
	v_add_co_ci_u32_e32 v22, vcc_lo, 0, v22, vcc_lo
	v_add_co_u32 v23, s0, v23, 8
	s_delay_alu instid0(VALU_DEP_1)
	v_add_co_ci_u32_e64 v24, s0, 0, v24, s0
	s_add_u32 s6, s6, 1
	s_addc_u32 s7, s7, 0
	s_and_not1_b32 s0, s31, exec_lo
	s_waitcnt vmcnt(0)
	v_cmp_ne_u64_e32 vcc_lo, v[25:26], v[28:29]
	s_and_b32 s31, vcc_lo, exec_lo
	s_delay_alu instid0(SALU_CYCLE_1)
	s_or_b32 s31, s0, s31
.LBB1675_59:                            ;   in Loop: Header=BB1675_60 Depth=1
	v_dual_mov_b32 v26, s7 :: v_dual_mov_b32 v25, s6
	s_and_b32 s0, exec_lo, s31
	s_delay_alu instid0(SALU_CYCLE_1) | instskip(NEXT) | instid1(SALU_CYCLE_1)
	s_or_b32 s28, s0, s28
	s_and_not1_b32 exec_lo, exec_lo, s28
	s_cbranch_execz .LBB1675_62
.LBB1675_60:                            ; =>This Inner Loop Header: Depth=1
	s_or_b32 s31, s31, exec_lo
	s_cmp_eq_u64 s[4:5], s[6:7]
	s_cbranch_scc0 .LBB1675_58
; %bb.61:                               ;   in Loop: Header=BB1675_60 Depth=1
	s_mov_b64 s[6:7], s[14:15]
                                        ; implicit-def: $vgpr21_vgpr22
                                        ; implicit-def: $vgpr23_vgpr24
	s_branch .LBB1675_59
.LBB1675_62:
	s_set_inst_prefetch_distance 0x2
	s_or_b32 exec_lo, exec_lo, s28
	v_cmp_gt_i64_e32 vcc_lo, s[14:15], v[25:26]
	s_or_not1_b32 s28, vcc_lo, exec_lo
.LBB1675_63:
	s_or_b32 exec_lo, exec_lo, s30
.LBB1675_64:
	v_mul_lo_u32 v23, v10, s14
	v_mul_lo_u32 v24, v9, s15
	v_mad_u64_u32 v[21:22], null, v9, s14, 0
	s_mov_b32 s30, 0
	s_and_not1_b32 vcc_lo, exec_lo, s26
	s_mov_b32 s31, 0
	s_delay_alu instid0(VALU_DEP_1) | instskip(NEXT) | instid1(VALU_DEP_1)
	v_add3_u32 v22, v22, v24, v23
	v_lshlrev_b64 v[23:24], 3, v[21:22]
	s_cbranch_vccnz .LBB1675_73
; %bb.65:
	s_delay_alu instid0(VALU_DEP_1) | instskip(NEXT) | instid1(VALU_DEP_2)
	v_add_co_u32 v21, vcc_lo, s16, v23
	v_add_co_ci_u32_e32 v22, vcc_lo, s17, v24, vcc_lo
	v_add_co_u32 v19, vcc_lo, s16, v19
	v_add_co_ci_u32_e32 v20, vcc_lo, s17, v20, vcc_lo
	s_mov_b32 s31, -1
	s_clause 0x1
	global_load_b64 v[25:26], v[21:22], off
	global_load_b64 v[28:29], v[19:20], off
	s_mov_b32 s33, exec_lo
	s_waitcnt vmcnt(0)
	v_cmpx_eq_u64_e64 v[25:26], v[28:29]
	s_cbranch_execz .LBB1675_72
; %bb.66:
	v_add_co_u32 v19, vcc_lo, v19, 8
	v_add_co_ci_u32_e32 v20, vcc_lo, 0, v20, vcc_lo
	v_add_co_u32 v21, vcc_lo, v21, 8
	v_add_co_ci_u32_e32 v22, vcc_lo, 0, v22, vcc_lo
	s_add_u32 s4, s14, -1
	s_addc_u32 s5, s15, -1
	s_mov_b64 s[6:7], 0
	s_mov_b32 s31, 0
                                        ; implicit-def: $sgpr34
	s_set_inst_prefetch_distance 0x1
	s_branch .LBB1675_69
	.p2align	6
.LBB1675_67:                            ;   in Loop: Header=BB1675_69 Depth=1
	global_load_b64 v[25:26], v[21:22], off
	global_load_b64 v[28:29], v[19:20], off
	v_add_co_u32 v19, vcc_lo, v19, 8
	v_add_co_ci_u32_e32 v20, vcc_lo, 0, v20, vcc_lo
	v_add_co_u32 v21, s0, v21, 8
	s_delay_alu instid0(VALU_DEP_1)
	v_add_co_ci_u32_e64 v22, s0, 0, v22, s0
	s_add_u32 s6, s6, 1
	s_addc_u32 s7, s7, 0
	s_and_not1_b32 s0, s34, exec_lo
	s_waitcnt vmcnt(0)
	v_cmp_ne_u64_e32 vcc_lo, v[25:26], v[28:29]
	s_and_b32 s34, vcc_lo, exec_lo
	s_delay_alu instid0(SALU_CYCLE_1)
	s_or_b32 s34, s0, s34
.LBB1675_68:                            ;   in Loop: Header=BB1675_69 Depth=1
	v_dual_mov_b32 v26, s7 :: v_dual_mov_b32 v25, s6
	s_and_b32 s0, exec_lo, s34
	s_delay_alu instid0(SALU_CYCLE_1) | instskip(NEXT) | instid1(SALU_CYCLE_1)
	s_or_b32 s31, s0, s31
	s_and_not1_b32 exec_lo, exec_lo, s31
	s_cbranch_execz .LBB1675_71
.LBB1675_69:                            ; =>This Inner Loop Header: Depth=1
	s_or_b32 s34, s34, exec_lo
	s_cmp_eq_u64 s[4:5], s[6:7]
	s_cbranch_scc0 .LBB1675_67
; %bb.70:                               ;   in Loop: Header=BB1675_69 Depth=1
	s_mov_b64 s[6:7], s[14:15]
                                        ; implicit-def: $vgpr19_vgpr20
                                        ; implicit-def: $vgpr21_vgpr22
	s_branch .LBB1675_68
.LBB1675_71:
	s_set_inst_prefetch_distance 0x2
	s_or_b32 exec_lo, exec_lo, s31
	v_cmp_gt_i64_e32 vcc_lo, s[14:15], v[25:26]
	s_or_not1_b32 s31, vcc_lo, exec_lo
.LBB1675_72:
	s_or_b32 exec_lo, exec_lo, s33
.LBB1675_73:
	v_mul_lo_u32 v21, v16, s14
	v_mul_lo_u32 v22, v15, s15
	v_mad_u64_u32 v[19:20], null, v15, s14, 0
	s_and_not1_b32 vcc_lo, exec_lo, s26
	s_delay_alu instid0(VALU_DEP_1) | instskip(NEXT) | instid1(VALU_DEP_1)
	v_add3_u32 v20, v20, v22, v21
	v_lshlrev_b64 v[21:22], 3, v[19:20]
	s_cbranch_vccnz .LBB1675_82
; %bb.74:
	s_delay_alu instid0(VALU_DEP_1) | instskip(NEXT) | instid1(VALU_DEP_2)
	v_add_co_u32 v25, vcc_lo, s16, v21
	v_add_co_ci_u32_e32 v26, vcc_lo, s17, v22, vcc_lo
	v_add_co_u32 v19, vcc_lo, s16, v23
	v_add_co_ci_u32_e32 v20, vcc_lo, s17, v24, vcc_lo
	s_mov_b32 s30, -1
	s_clause 0x1
	global_load_b64 v[23:24], v[25:26], off
	global_load_b64 v[28:29], v[19:20], off
	s_mov_b32 s33, exec_lo
	s_waitcnt vmcnt(0)
	v_cmpx_eq_u64_e64 v[23:24], v[28:29]
	s_cbranch_execz .LBB1675_81
; %bb.75:
	v_add_co_u32 v19, vcc_lo, v19, 8
	v_add_co_ci_u32_e32 v20, vcc_lo, 0, v20, vcc_lo
	v_add_co_u32 v23, vcc_lo, v25, 8
	v_add_co_ci_u32_e32 v24, vcc_lo, 0, v26, vcc_lo
	s_add_u32 s4, s14, -1
	s_addc_u32 s5, s15, -1
	s_mov_b64 s[6:7], 0
	s_mov_b32 s30, 0
                                        ; implicit-def: $sgpr34
	s_set_inst_prefetch_distance 0x1
	s_branch .LBB1675_78
	.p2align	6
.LBB1675_76:                            ;   in Loop: Header=BB1675_78 Depth=1
	global_load_b64 v[25:26], v[23:24], off
	global_load_b64 v[28:29], v[19:20], off
	v_add_co_u32 v19, vcc_lo, v19, 8
	v_add_co_ci_u32_e32 v20, vcc_lo, 0, v20, vcc_lo
	v_add_co_u32 v23, s0, v23, 8
	s_delay_alu instid0(VALU_DEP_1)
	v_add_co_ci_u32_e64 v24, s0, 0, v24, s0
	s_add_u32 s6, s6, 1
	s_addc_u32 s7, s7, 0
	s_and_not1_b32 s0, s34, exec_lo
	s_waitcnt vmcnt(0)
	v_cmp_ne_u64_e32 vcc_lo, v[25:26], v[28:29]
	s_and_b32 s34, vcc_lo, exec_lo
	s_delay_alu instid0(SALU_CYCLE_1)
	s_or_b32 s34, s0, s34
.LBB1675_77:                            ;   in Loop: Header=BB1675_78 Depth=1
	v_dual_mov_b32 v26, s7 :: v_dual_mov_b32 v25, s6
	s_and_b32 s0, exec_lo, s34
	s_delay_alu instid0(SALU_CYCLE_1) | instskip(NEXT) | instid1(SALU_CYCLE_1)
	s_or_b32 s30, s0, s30
	s_and_not1_b32 exec_lo, exec_lo, s30
	s_cbranch_execz .LBB1675_80
.LBB1675_78:                            ; =>This Inner Loop Header: Depth=1
	s_or_b32 s34, s34, exec_lo
	s_cmp_eq_u64 s[4:5], s[6:7]
	s_cbranch_scc0 .LBB1675_76
; %bb.79:                               ;   in Loop: Header=BB1675_78 Depth=1
	s_mov_b64 s[6:7], s[14:15]
                                        ; implicit-def: $vgpr19_vgpr20
                                        ; implicit-def: $vgpr23_vgpr24
	s_branch .LBB1675_77
.LBB1675_80:
	s_set_inst_prefetch_distance 0x2
	s_or_b32 exec_lo, exec_lo, s30
	v_cmp_gt_i64_e32 vcc_lo, s[14:15], v[25:26]
	s_or_not1_b32 s30, vcc_lo, exec_lo
.LBB1675_81:
	s_or_b32 exec_lo, exec_lo, s33
.LBB1675_82:
	v_mul_lo_u32 v23, v14, s14
	v_mul_lo_u32 v24, v13, s15
	v_mad_u64_u32 v[19:20], null, v13, s14, 0
	s_and_not1_b32 vcc_lo, exec_lo, s26
	s_mov_b32 s0, 0
	s_delay_alu instid0(VALU_DEP_1) | instskip(NEXT) | instid1(VALU_DEP_1)
	v_add3_u32 v20, v20, v24, v23
	v_lshlrev_b64 v[19:20], 3, v[19:20]
	s_cbranch_vccnz .LBB1675_91
; %bb.83:
	s_delay_alu instid0(VALU_DEP_1) | instskip(NEXT) | instid1(VALU_DEP_2)
	v_add_co_u32 v23, vcc_lo, s16, v19
	v_add_co_ci_u32_e32 v24, vcc_lo, s17, v20, vcc_lo
	v_add_co_u32 v21, vcc_lo, s16, v21
	v_add_co_ci_u32_e32 v22, vcc_lo, s17, v22, vcc_lo
	s_mov_b32 s0, -1
	s_clause 0x1
	global_load_b64 v[25:26], v[23:24], off
	global_load_b64 v[28:29], v[21:22], off
	s_mov_b32 s33, exec_lo
	s_waitcnt vmcnt(0)
	v_cmpx_eq_u64_e64 v[25:26], v[28:29]
	s_cbranch_execz .LBB1675_90
; %bb.84:
	v_add_co_u32 v21, vcc_lo, v21, 8
	v_add_co_ci_u32_e32 v22, vcc_lo, 0, v22, vcc_lo
	v_add_co_u32 v23, vcc_lo, v23, 8
	v_add_co_ci_u32_e32 v24, vcc_lo, 0, v24, vcc_lo
	s_add_u32 s4, s14, -1
	s_addc_u32 s5, s15, -1
	s_mov_b64 s[6:7], 0
	s_mov_b32 s34, 0
                                        ; implicit-def: $sgpr35
	s_set_inst_prefetch_distance 0x1
	s_branch .LBB1675_87
	.p2align	6
.LBB1675_85:                            ;   in Loop: Header=BB1675_87 Depth=1
	global_load_b64 v[25:26], v[23:24], off
	global_load_b64 v[28:29], v[21:22], off
	v_add_co_u32 v21, vcc_lo, v21, 8
	v_add_co_ci_u32_e32 v22, vcc_lo, 0, v22, vcc_lo
	v_add_co_u32 v23, s0, v23, 8
	s_delay_alu instid0(VALU_DEP_1)
	v_add_co_ci_u32_e64 v24, s0, 0, v24, s0
	s_add_u32 s6, s6, 1
	s_addc_u32 s7, s7, 0
	s_and_not1_b32 s0, s35, exec_lo
	s_waitcnt vmcnt(0)
	v_cmp_ne_u64_e32 vcc_lo, v[25:26], v[28:29]
	s_and_b32 s35, vcc_lo, exec_lo
	s_delay_alu instid0(SALU_CYCLE_1)
	s_or_b32 s35, s0, s35
.LBB1675_86:                            ;   in Loop: Header=BB1675_87 Depth=1
	v_dual_mov_b32 v26, s7 :: v_dual_mov_b32 v25, s6
	s_and_b32 s0, exec_lo, s35
	s_delay_alu instid0(SALU_CYCLE_1) | instskip(NEXT) | instid1(SALU_CYCLE_1)
	s_or_b32 s34, s0, s34
	s_and_not1_b32 exec_lo, exec_lo, s34
	s_cbranch_execz .LBB1675_89
.LBB1675_87:                            ; =>This Inner Loop Header: Depth=1
	s_or_b32 s35, s35, exec_lo
	s_cmp_eq_u64 s[4:5], s[6:7]
	s_cbranch_scc0 .LBB1675_85
; %bb.88:                               ;   in Loop: Header=BB1675_87 Depth=1
	s_mov_b64 s[6:7], s[14:15]
                                        ; implicit-def: $vgpr21_vgpr22
                                        ; implicit-def: $vgpr23_vgpr24
	s_branch .LBB1675_86
.LBB1675_89:
	s_set_inst_prefetch_distance 0x2
	s_or_b32 exec_lo, exec_lo, s34
	v_cmp_gt_i64_e32 vcc_lo, s[14:15], v[25:26]
	s_or_not1_b32 s0, vcc_lo, exec_lo
.LBB1675_90:
	s_or_b32 exec_lo, exec_lo, s33
.LBB1675_91:
	s_waitcnt vmcnt(0)
	v_dual_mov_b32 v22, v18 :: v_dual_mov_b32 v21, v17
	s_waitcnt lgkmcnt(0)
	s_barrier
	buffer_gl0_inv
	s_and_saveexec_b32 s4, s3
	s_cbranch_execz .LBB1675_93
; %bb.92:
	v_add_nc_u32_e32 v21, -8, v39
	ds_load_b64 v[21:22], v21
.LBB1675_93:
	s_or_b32 exec_lo, exec_lo, s4
	v_cndmask_b32_e64 v24, 0, 1, s31
	v_cndmask_b32_e64 v26, 0, 1, s29
	;; [unrolled: 1-line block ×7, first 2 shown]
	v_lshlrev_b16 v24, 8, v24
	v_lshlrev_b16 v26, 8, v26
	;; [unrolled: 1-line block ×4, first 2 shown]
	s_mov_b32 s25, 0
	v_or_b32_e32 v23, v23, v24
	v_or_b32_e32 v24, v25, v26
	;; [unrolled: 1-line block ×3, first 2 shown]
	v_and_b32_e32 v25, 0xffff, v29
	s_and_not1_b32 vcc_lo, exec_lo, s26
	v_lshlrev_b32_e32 v26, 16, v23
	v_and_b32_e32 v28, 0xffff, v24
	v_lshlrev_b32_e32 v29, 16, v30
	s_mov_b32 s0, 0
	s_cbranch_vccnz .LBB1675_102
; %bb.94:
	s_waitcnt lgkmcnt(0)
	v_mul_lo_u32 v24, v22, s14
	v_mul_lo_u32 v30, v21, s15
	v_mad_u64_u32 v[22:23], null, v21, s14, 0
	s_mov_b32 s0, -1
	s_mov_b32 s27, exec_lo
	s_delay_alu instid0(VALU_DEP_1) | instskip(NEXT) | instid1(VALU_DEP_1)
	v_add3_u32 v23, v23, v30, v24
	v_lshlrev_b64 v[21:22], 3, v[22:23]
	s_delay_alu instid0(VALU_DEP_1) | instskip(NEXT) | instid1(VALU_DEP_2)
	v_add_co_u32 v21, vcc_lo, s16, v21
	v_add_co_ci_u32_e32 v22, vcc_lo, s17, v22, vcc_lo
	v_add_co_u32 v19, vcc_lo, s16, v19
	v_add_co_ci_u32_e32 v20, vcc_lo, s17, v20, vcc_lo
	s_clause 0x1
	global_load_b64 v[23:24], v[21:22], off
	global_load_b64 v[30:31], v[19:20], off
	s_waitcnt vmcnt(0)
	v_cmpx_eq_u64_e64 v[23:24], v[30:31]
	s_cbranch_execz .LBB1675_101
; %bb.95:
	v_add_co_u32 v19, vcc_lo, v19, 8
	v_add_co_ci_u32_e32 v20, vcc_lo, 0, v20, vcc_lo
	v_add_co_u32 v21, vcc_lo, v21, 8
	v_add_co_ci_u32_e32 v22, vcc_lo, 0, v22, vcc_lo
	s_add_u32 s4, s14, -1
	s_addc_u32 s5, s15, -1
	s_mov_b64 s[6:7], 0
	s_mov_b32 s28, 0
                                        ; implicit-def: $sgpr29
	s_set_inst_prefetch_distance 0x1
	s_branch .LBB1675_98
	.p2align	6
.LBB1675_96:                            ;   in Loop: Header=BB1675_98 Depth=1
	global_load_b64 v[23:24], v[21:22], off
	global_load_b64 v[30:31], v[19:20], off
	v_add_co_u32 v19, vcc_lo, v19, 8
	v_add_co_ci_u32_e32 v20, vcc_lo, 0, v20, vcc_lo
	v_add_co_u32 v21, s0, v21, 8
	s_delay_alu instid0(VALU_DEP_1)
	v_add_co_ci_u32_e64 v22, s0, 0, v22, s0
	s_add_u32 s6, s6, 1
	s_addc_u32 s7, s7, 0
	s_and_not1_b32 s0, s29, exec_lo
	s_waitcnt vmcnt(0)
	v_cmp_ne_u64_e32 vcc_lo, v[23:24], v[30:31]
	s_and_b32 s29, vcc_lo, exec_lo
	s_delay_alu instid0(SALU_CYCLE_1)
	s_or_b32 s29, s0, s29
.LBB1675_97:                            ;   in Loop: Header=BB1675_98 Depth=1
	v_dual_mov_b32 v24, s7 :: v_dual_mov_b32 v23, s6
	s_and_b32 s0, exec_lo, s29
	s_delay_alu instid0(SALU_CYCLE_1) | instskip(NEXT) | instid1(SALU_CYCLE_1)
	s_or_b32 s28, s0, s28
	s_and_not1_b32 exec_lo, exec_lo, s28
	s_cbranch_execz .LBB1675_100
.LBB1675_98:                            ; =>This Inner Loop Header: Depth=1
	s_or_b32 s29, s29, exec_lo
	s_cmp_eq_u64 s[4:5], s[6:7]
	s_cbranch_scc0 .LBB1675_96
; %bb.99:                               ;   in Loop: Header=BB1675_98 Depth=1
	s_mov_b64 s[6:7], s[14:15]
                                        ; implicit-def: $vgpr19_vgpr20
                                        ; implicit-def: $vgpr21_vgpr22
	s_branch .LBB1675_97
.LBB1675_100:
	s_set_inst_prefetch_distance 0x2
	s_or_b32 exec_lo, exec_lo, s28
	v_cmp_gt_i64_e32 vcc_lo, s[14:15], v[23:24]
	s_or_not1_b32 s0, vcc_lo, exec_lo
.LBB1675_101:
	s_or_b32 exec_lo, exec_lo, s27
.LBB1675_102:
	v_or_b32_e32 v19, v25, v26
	s_delay_alu instid0(VALU_DEP_2)
	v_or_b32_e32 v20, v28, v29
	s_and_b32 vcc_lo, exec_lo, s25
	s_cbranch_vccz .LBB1675_194
.LBB1675_103:
	v_or_b32_e32 v19, 7, v39
	s_mov_b32 s25, 0
	s_mov_b32 s27, 0
	s_mov_b32 s28, exec_lo
	s_delay_alu instid0(VALU_DEP_1)
	v_cmpx_gt_u32_e64 s12, v19
	s_cbranch_execz .LBB1675_114
; %bb.104:
	s_and_not1_b32 vcc_lo, exec_lo, s26
	s_mov_b32 s0, 0
	s_cbranch_vccnz .LBB1675_113
; %bb.105:
	v_mul_lo_u32 v23, v2, s14
	v_mul_lo_u32 v24, v1, s15
	v_mad_u64_u32 v[19:20], null, v1, s14, 0
	v_mul_lo_u32 v25, v4, s14
	v_mul_lo_u32 v26, v3, s15
	s_waitcnt lgkmcnt(0)
	v_mad_u64_u32 v[21:22], null, v3, s14, 0
	s_mov_b32 s0, -1
	s_mov_b32 s26, exec_lo
	s_delay_alu instid0(VALU_DEP_4) | instskip(NEXT) | instid1(VALU_DEP_2)
	v_add3_u32 v20, v20, v24, v23
	v_add3_u32 v22, v22, v26, v25
	s_delay_alu instid0(VALU_DEP_2) | instskip(NEXT) | instid1(VALU_DEP_2)
	v_lshlrev_b64 v[19:20], 3, v[19:20]
	v_lshlrev_b64 v[23:24], 3, v[21:22]
	s_delay_alu instid0(VALU_DEP_2) | instskip(NEXT) | instid1(VALU_DEP_3)
	v_add_co_u32 v21, vcc_lo, s16, v19
	v_add_co_ci_u32_e32 v22, vcc_lo, s17, v20, vcc_lo
	s_delay_alu instid0(VALU_DEP_3) | instskip(NEXT) | instid1(VALU_DEP_4)
	v_add_co_u32 v19, vcc_lo, s16, v23
	v_add_co_ci_u32_e32 v20, vcc_lo, s17, v24, vcc_lo
	s_clause 0x1
	global_load_b64 v[23:24], v[21:22], off
	global_load_b64 v[25:26], v[19:20], off
	s_waitcnt vmcnt(0)
	v_cmpx_eq_u64_e64 v[23:24], v[25:26]
	s_cbranch_execz .LBB1675_112
; %bb.106:
	v_add_co_u32 v19, vcc_lo, v19, 8
	v_add_co_ci_u32_e32 v20, vcc_lo, 0, v20, vcc_lo
	v_add_co_u32 v21, vcc_lo, v21, 8
	v_add_co_ci_u32_e32 v22, vcc_lo, 0, v22, vcc_lo
	s_add_u32 s4, s14, -1
	s_addc_u32 s5, s15, -1
	s_mov_b64 s[6:7], 0
                                        ; implicit-def: $sgpr29
	s_set_inst_prefetch_distance 0x1
	s_branch .LBB1675_109
	.p2align	6
.LBB1675_107:                           ;   in Loop: Header=BB1675_109 Depth=1
	global_load_b64 v[23:24], v[21:22], off
	global_load_b64 v[25:26], v[19:20], off
	v_add_co_u32 v19, vcc_lo, v19, 8
	v_add_co_ci_u32_e32 v20, vcc_lo, 0, v20, vcc_lo
	v_add_co_u32 v21, s0, v21, 8
	s_delay_alu instid0(VALU_DEP_1)
	v_add_co_ci_u32_e64 v22, s0, 0, v22, s0
	s_add_u32 s6, s6, 1
	s_addc_u32 s7, s7, 0
	s_and_not1_b32 s0, s29, exec_lo
	s_waitcnt vmcnt(0)
	v_cmp_ne_u64_e32 vcc_lo, v[23:24], v[25:26]
	s_and_b32 s29, vcc_lo, exec_lo
	s_delay_alu instid0(SALU_CYCLE_1)
	s_or_b32 s29, s0, s29
.LBB1675_108:                           ;   in Loop: Header=BB1675_109 Depth=1
	v_dual_mov_b32 v24, s7 :: v_dual_mov_b32 v23, s6
	s_and_b32 s0, exec_lo, s29
	s_delay_alu instid0(SALU_CYCLE_1) | instskip(NEXT) | instid1(SALU_CYCLE_1)
	s_or_b32 s27, s0, s27
	s_and_not1_b32 exec_lo, exec_lo, s27
	s_cbranch_execz .LBB1675_111
.LBB1675_109:                           ; =>This Inner Loop Header: Depth=1
	s_or_b32 s29, s29, exec_lo
	s_cmp_eq_u64 s[4:5], s[6:7]
	s_cbranch_scc0 .LBB1675_107
; %bb.110:                              ;   in Loop: Header=BB1675_109 Depth=1
	s_mov_b64 s[6:7], s[14:15]
                                        ; implicit-def: $vgpr19_vgpr20
                                        ; implicit-def: $vgpr21_vgpr22
	s_branch .LBB1675_108
.LBB1675_111:
	s_set_inst_prefetch_distance 0x2
	s_or_b32 exec_lo, exec_lo, s27
	v_cmp_gt_i64_e32 vcc_lo, s[14:15], v[23:24]
	s_or_not1_b32 s0, vcc_lo, exec_lo
.LBB1675_112:
	s_or_b32 exec_lo, exec_lo, s26
.LBB1675_113:
	s_delay_alu instid0(SALU_CYCLE_1)
	s_and_b32 s27, s0, exec_lo
.LBB1675_114:
	s_or_b32 exec_lo, exec_lo, s28
	v_or_b32_e32 v19, 6, v39
	s_mov_b32 s26, exec_lo
	s_delay_alu instid0(VALU_DEP_1)
	v_cmpx_gt_u32_e64 s12, v19
	s_cbranch_execz .LBB1675_125
; %bb.115:
	v_cmp_ne_u32_e32 vcc_lo, 1, v27
	s_mov_b32 s0, 0
	s_cbranch_vccnz .LBB1675_124
; %bb.116:
	v_mul_lo_u32 v23, v8, s14
	v_mul_lo_u32 v24, v7, s15
	v_mad_u64_u32 v[19:20], null, v7, s14, 0
	v_mul_lo_u32 v25, v2, s14
	v_mul_lo_u32 v26, v1, s15
	s_waitcnt lgkmcnt(0)
	v_mad_u64_u32 v[21:22], null, v1, s14, 0
	s_mov_b32 s0, -1
	s_mov_b32 s25, exec_lo
	s_delay_alu instid0(VALU_DEP_4) | instskip(NEXT) | instid1(VALU_DEP_2)
	v_add3_u32 v20, v20, v24, v23
	v_add3_u32 v22, v22, v26, v25
	s_delay_alu instid0(VALU_DEP_2) | instskip(NEXT) | instid1(VALU_DEP_2)
	v_lshlrev_b64 v[19:20], 3, v[19:20]
	v_lshlrev_b64 v[23:24], 3, v[21:22]
	s_delay_alu instid0(VALU_DEP_2) | instskip(NEXT) | instid1(VALU_DEP_3)
	v_add_co_u32 v21, vcc_lo, s16, v19
	v_add_co_ci_u32_e32 v22, vcc_lo, s17, v20, vcc_lo
	s_delay_alu instid0(VALU_DEP_3) | instskip(NEXT) | instid1(VALU_DEP_4)
	v_add_co_u32 v19, vcc_lo, s16, v23
	v_add_co_ci_u32_e32 v20, vcc_lo, s17, v24, vcc_lo
	s_clause 0x1
	global_load_b64 v[23:24], v[21:22], off
	global_load_b64 v[25:26], v[19:20], off
	s_waitcnt vmcnt(0)
	v_cmpx_eq_u64_e64 v[23:24], v[25:26]
	s_cbranch_execz .LBB1675_123
; %bb.117:
	v_add_co_u32 v19, vcc_lo, v19, 8
	v_add_co_ci_u32_e32 v20, vcc_lo, 0, v20, vcc_lo
	v_add_co_u32 v21, vcc_lo, v21, 8
	v_add_co_ci_u32_e32 v22, vcc_lo, 0, v22, vcc_lo
	s_add_u32 s4, s14, -1
	s_addc_u32 s5, s15, -1
	s_mov_b64 s[6:7], 0
	s_mov_b32 s28, 0
                                        ; implicit-def: $sgpr29
	s_set_inst_prefetch_distance 0x1
	s_branch .LBB1675_120
	.p2align	6
.LBB1675_118:                           ;   in Loop: Header=BB1675_120 Depth=1
	global_load_b64 v[23:24], v[21:22], off
	global_load_b64 v[25:26], v[19:20], off
	v_add_co_u32 v19, vcc_lo, v19, 8
	v_add_co_ci_u32_e32 v20, vcc_lo, 0, v20, vcc_lo
	v_add_co_u32 v21, s0, v21, 8
	s_delay_alu instid0(VALU_DEP_1)
	v_add_co_ci_u32_e64 v22, s0, 0, v22, s0
	s_add_u32 s6, s6, 1
	s_addc_u32 s7, s7, 0
	s_and_not1_b32 s0, s29, exec_lo
	s_waitcnt vmcnt(0)
	v_cmp_ne_u64_e32 vcc_lo, v[23:24], v[25:26]
	s_and_b32 s29, vcc_lo, exec_lo
	s_delay_alu instid0(SALU_CYCLE_1)
	s_or_b32 s29, s0, s29
.LBB1675_119:                           ;   in Loop: Header=BB1675_120 Depth=1
	v_dual_mov_b32 v24, s7 :: v_dual_mov_b32 v23, s6
	s_and_b32 s0, exec_lo, s29
	s_delay_alu instid0(SALU_CYCLE_1) | instskip(NEXT) | instid1(SALU_CYCLE_1)
	s_or_b32 s28, s0, s28
	s_and_not1_b32 exec_lo, exec_lo, s28
	s_cbranch_execz .LBB1675_122
.LBB1675_120:                           ; =>This Inner Loop Header: Depth=1
	s_or_b32 s29, s29, exec_lo
	s_cmp_eq_u64 s[4:5], s[6:7]
	s_cbranch_scc0 .LBB1675_118
; %bb.121:                              ;   in Loop: Header=BB1675_120 Depth=1
	s_mov_b64 s[6:7], s[14:15]
                                        ; implicit-def: $vgpr19_vgpr20
                                        ; implicit-def: $vgpr21_vgpr22
	s_branch .LBB1675_119
.LBB1675_122:
	s_set_inst_prefetch_distance 0x2
	s_or_b32 exec_lo, exec_lo, s28
	v_cmp_gt_i64_e32 vcc_lo, s[14:15], v[23:24]
	s_or_not1_b32 s0, vcc_lo, exec_lo
.LBB1675_123:
	s_or_b32 exec_lo, exec_lo, s25
.LBB1675_124:
	s_delay_alu instid0(SALU_CYCLE_1)
	s_and_b32 s25, s0, exec_lo
.LBB1675_125:
	s_or_b32 exec_lo, exec_lo, s26
	v_or_b32_e32 v19, 5, v39
	s_mov_b32 s28, 0
	s_mov_b32 s26, 0
	s_mov_b32 s29, exec_lo
	s_delay_alu instid0(VALU_DEP_1)
	v_cmpx_gt_u32_e64 s12, v19
	s_cbranch_execz .LBB1675_136
; %bb.126:
	v_cmp_ne_u32_e32 vcc_lo, 1, v27
	s_mov_b32 s0, 0
	s_cbranch_vccnz .LBB1675_135
; %bb.127:
	v_mul_lo_u32 v23, v6, s14
	v_mul_lo_u32 v24, v5, s15
	v_mad_u64_u32 v[19:20], null, v5, s14, 0
	v_mul_lo_u32 v25, v8, s14
	v_mul_lo_u32 v26, v7, s15
	s_waitcnt lgkmcnt(0)
	v_mad_u64_u32 v[21:22], null, v7, s14, 0
	s_mov_b32 s0, -1
	s_mov_b32 s26, exec_lo
	s_delay_alu instid0(VALU_DEP_4) | instskip(NEXT) | instid1(VALU_DEP_2)
	v_add3_u32 v20, v20, v24, v23
	v_add3_u32 v22, v22, v26, v25
	s_delay_alu instid0(VALU_DEP_2) | instskip(NEXT) | instid1(VALU_DEP_2)
	v_lshlrev_b64 v[19:20], 3, v[19:20]
	v_lshlrev_b64 v[23:24], 3, v[21:22]
	s_delay_alu instid0(VALU_DEP_2) | instskip(NEXT) | instid1(VALU_DEP_3)
	v_add_co_u32 v21, vcc_lo, s16, v19
	v_add_co_ci_u32_e32 v22, vcc_lo, s17, v20, vcc_lo
	s_delay_alu instid0(VALU_DEP_3) | instskip(NEXT) | instid1(VALU_DEP_4)
	v_add_co_u32 v19, vcc_lo, s16, v23
	v_add_co_ci_u32_e32 v20, vcc_lo, s17, v24, vcc_lo
	s_clause 0x1
	global_load_b64 v[23:24], v[21:22], off
	global_load_b64 v[25:26], v[19:20], off
	s_waitcnt vmcnt(0)
	v_cmpx_eq_u64_e64 v[23:24], v[25:26]
	s_cbranch_execz .LBB1675_134
; %bb.128:
	v_add_co_u32 v19, vcc_lo, v19, 8
	v_add_co_ci_u32_e32 v20, vcc_lo, 0, v20, vcc_lo
	v_add_co_u32 v21, vcc_lo, v21, 8
	v_add_co_ci_u32_e32 v22, vcc_lo, 0, v22, vcc_lo
	s_add_u32 s4, s14, -1
	s_addc_u32 s5, s15, -1
	s_mov_b64 s[6:7], 0
	s_mov_b32 s30, 0
                                        ; implicit-def: $sgpr31
	s_set_inst_prefetch_distance 0x1
	s_branch .LBB1675_131
	.p2align	6
.LBB1675_129:                           ;   in Loop: Header=BB1675_131 Depth=1
	global_load_b64 v[23:24], v[21:22], off
	global_load_b64 v[25:26], v[19:20], off
	v_add_co_u32 v19, vcc_lo, v19, 8
	v_add_co_ci_u32_e32 v20, vcc_lo, 0, v20, vcc_lo
	v_add_co_u32 v21, s0, v21, 8
	s_delay_alu instid0(VALU_DEP_1)
	v_add_co_ci_u32_e64 v22, s0, 0, v22, s0
	s_add_u32 s6, s6, 1
	s_addc_u32 s7, s7, 0
	s_and_not1_b32 s0, s31, exec_lo
	s_waitcnt vmcnt(0)
	v_cmp_ne_u64_e32 vcc_lo, v[23:24], v[25:26]
	s_and_b32 s31, vcc_lo, exec_lo
	s_delay_alu instid0(SALU_CYCLE_1)
	s_or_b32 s31, s0, s31
.LBB1675_130:                           ;   in Loop: Header=BB1675_131 Depth=1
	v_dual_mov_b32 v24, s7 :: v_dual_mov_b32 v23, s6
	s_and_b32 s0, exec_lo, s31
	s_delay_alu instid0(SALU_CYCLE_1) | instskip(NEXT) | instid1(SALU_CYCLE_1)
	s_or_b32 s30, s0, s30
	s_and_not1_b32 exec_lo, exec_lo, s30
	s_cbranch_execz .LBB1675_133
.LBB1675_131:                           ; =>This Inner Loop Header: Depth=1
	s_or_b32 s31, s31, exec_lo
	s_cmp_eq_u64 s[4:5], s[6:7]
	s_cbranch_scc0 .LBB1675_129
; %bb.132:                              ;   in Loop: Header=BB1675_131 Depth=1
	s_mov_b64 s[6:7], s[14:15]
                                        ; implicit-def: $vgpr19_vgpr20
                                        ; implicit-def: $vgpr21_vgpr22
	s_branch .LBB1675_130
.LBB1675_133:
	s_set_inst_prefetch_distance 0x2
	s_or_b32 exec_lo, exec_lo, s30
	v_cmp_gt_i64_e32 vcc_lo, s[14:15], v[23:24]
	s_or_not1_b32 s0, vcc_lo, exec_lo
.LBB1675_134:
	s_or_b32 exec_lo, exec_lo, s26
.LBB1675_135:
	s_delay_alu instid0(SALU_CYCLE_1)
	s_and_b32 s26, s0, exec_lo
.LBB1675_136:
	s_or_b32 exec_lo, exec_lo, s29
	v_or_b32_e32 v19, 4, v39
	s_mov_b32 s29, exec_lo
	s_delay_alu instid0(VALU_DEP_1)
	v_cmpx_gt_u32_e64 s12, v19
	s_cbranch_execz .LBB1675_147
; %bb.137:
	v_cmp_ne_u32_e32 vcc_lo, 1, v27
	s_mov_b32 s0, 0
	s_cbranch_vccnz .LBB1675_146
; %bb.138:
	v_mul_lo_u32 v23, v12, s14
	v_mul_lo_u32 v24, v11, s15
	v_mad_u64_u32 v[19:20], null, v11, s14, 0
	v_mul_lo_u32 v25, v6, s14
	v_mul_lo_u32 v26, v5, s15
	s_waitcnt lgkmcnt(0)
	v_mad_u64_u32 v[21:22], null, v5, s14, 0
	s_mov_b32 s0, -1
	s_mov_b32 s28, exec_lo
	s_delay_alu instid0(VALU_DEP_4) | instskip(NEXT) | instid1(VALU_DEP_2)
	v_add3_u32 v20, v20, v24, v23
	v_add3_u32 v22, v22, v26, v25
	s_delay_alu instid0(VALU_DEP_2) | instskip(NEXT) | instid1(VALU_DEP_2)
	v_lshlrev_b64 v[19:20], 3, v[19:20]
	v_lshlrev_b64 v[23:24], 3, v[21:22]
	s_delay_alu instid0(VALU_DEP_2) | instskip(NEXT) | instid1(VALU_DEP_3)
	v_add_co_u32 v21, vcc_lo, s16, v19
	v_add_co_ci_u32_e32 v22, vcc_lo, s17, v20, vcc_lo
	s_delay_alu instid0(VALU_DEP_3) | instskip(NEXT) | instid1(VALU_DEP_4)
	v_add_co_u32 v19, vcc_lo, s16, v23
	v_add_co_ci_u32_e32 v20, vcc_lo, s17, v24, vcc_lo
	s_clause 0x1
	global_load_b64 v[23:24], v[21:22], off
	global_load_b64 v[25:26], v[19:20], off
	s_waitcnt vmcnt(0)
	v_cmpx_eq_u64_e64 v[23:24], v[25:26]
	s_cbranch_execz .LBB1675_145
; %bb.139:
	v_add_co_u32 v19, vcc_lo, v19, 8
	v_add_co_ci_u32_e32 v20, vcc_lo, 0, v20, vcc_lo
	v_add_co_u32 v21, vcc_lo, v21, 8
	v_add_co_ci_u32_e32 v22, vcc_lo, 0, v22, vcc_lo
	s_add_u32 s4, s14, -1
	s_addc_u32 s5, s15, -1
	s_mov_b64 s[6:7], 0
	s_mov_b32 s30, 0
                                        ; implicit-def: $sgpr31
	s_set_inst_prefetch_distance 0x1
	s_branch .LBB1675_142
	.p2align	6
.LBB1675_140:                           ;   in Loop: Header=BB1675_142 Depth=1
	global_load_b64 v[23:24], v[21:22], off
	global_load_b64 v[25:26], v[19:20], off
	v_add_co_u32 v19, vcc_lo, v19, 8
	v_add_co_ci_u32_e32 v20, vcc_lo, 0, v20, vcc_lo
	v_add_co_u32 v21, s0, v21, 8
	s_delay_alu instid0(VALU_DEP_1)
	v_add_co_ci_u32_e64 v22, s0, 0, v22, s0
	s_add_u32 s6, s6, 1
	s_addc_u32 s7, s7, 0
	s_and_not1_b32 s0, s31, exec_lo
	s_waitcnt vmcnt(0)
	v_cmp_ne_u64_e32 vcc_lo, v[23:24], v[25:26]
	s_and_b32 s31, vcc_lo, exec_lo
	s_delay_alu instid0(SALU_CYCLE_1)
	s_or_b32 s31, s0, s31
.LBB1675_141:                           ;   in Loop: Header=BB1675_142 Depth=1
	v_dual_mov_b32 v24, s7 :: v_dual_mov_b32 v23, s6
	s_and_b32 s0, exec_lo, s31
	s_delay_alu instid0(SALU_CYCLE_1) | instskip(NEXT) | instid1(SALU_CYCLE_1)
	s_or_b32 s30, s0, s30
	s_and_not1_b32 exec_lo, exec_lo, s30
	s_cbranch_execz .LBB1675_144
.LBB1675_142:                           ; =>This Inner Loop Header: Depth=1
	s_or_b32 s31, s31, exec_lo
	s_cmp_eq_u64 s[4:5], s[6:7]
	s_cbranch_scc0 .LBB1675_140
; %bb.143:                              ;   in Loop: Header=BB1675_142 Depth=1
	s_mov_b64 s[6:7], s[14:15]
                                        ; implicit-def: $vgpr19_vgpr20
                                        ; implicit-def: $vgpr21_vgpr22
	s_branch .LBB1675_141
.LBB1675_144:
	s_set_inst_prefetch_distance 0x2
	s_or_b32 exec_lo, exec_lo, s30
	v_cmp_gt_i64_e32 vcc_lo, s[14:15], v[23:24]
	s_or_not1_b32 s0, vcc_lo, exec_lo
.LBB1675_145:
	s_or_b32 exec_lo, exec_lo, s28
.LBB1675_146:
	s_delay_alu instid0(SALU_CYCLE_1)
	s_and_b32 s28, s0, exec_lo
.LBB1675_147:
	s_or_b32 exec_lo, exec_lo, s29
	v_or_b32_e32 v19, 3, v39
	s_mov_b32 s30, 0
	s_mov_b32 s29, 0
	s_mov_b32 s31, exec_lo
	s_delay_alu instid0(VALU_DEP_1)
	v_cmpx_gt_u32_e64 s12, v19
	s_cbranch_execz .LBB1675_158
; %bb.148:
	v_cmp_ne_u32_e32 vcc_lo, 1, v27
	s_mov_b32 s0, 0
	s_cbranch_vccnz .LBB1675_157
; %bb.149:
	v_mul_lo_u32 v23, v10, s14
	v_mul_lo_u32 v24, v9, s15
	v_mad_u64_u32 v[19:20], null, v9, s14, 0
	v_mul_lo_u32 v25, v12, s14
	v_mul_lo_u32 v26, v11, s15
	s_waitcnt lgkmcnt(0)
	v_mad_u64_u32 v[21:22], null, v11, s14, 0
	s_mov_b32 s0, -1
	s_mov_b32 s29, exec_lo
	s_delay_alu instid0(VALU_DEP_4) | instskip(NEXT) | instid1(VALU_DEP_2)
	v_add3_u32 v20, v20, v24, v23
	v_add3_u32 v22, v22, v26, v25
	s_delay_alu instid0(VALU_DEP_2) | instskip(NEXT) | instid1(VALU_DEP_2)
	v_lshlrev_b64 v[19:20], 3, v[19:20]
	v_lshlrev_b64 v[23:24], 3, v[21:22]
	s_delay_alu instid0(VALU_DEP_2) | instskip(NEXT) | instid1(VALU_DEP_3)
	v_add_co_u32 v21, vcc_lo, s16, v19
	v_add_co_ci_u32_e32 v22, vcc_lo, s17, v20, vcc_lo
	s_delay_alu instid0(VALU_DEP_3) | instskip(NEXT) | instid1(VALU_DEP_4)
	v_add_co_u32 v19, vcc_lo, s16, v23
	v_add_co_ci_u32_e32 v20, vcc_lo, s17, v24, vcc_lo
	s_clause 0x1
	global_load_b64 v[23:24], v[21:22], off
	global_load_b64 v[25:26], v[19:20], off
	s_waitcnt vmcnt(0)
	v_cmpx_eq_u64_e64 v[23:24], v[25:26]
	s_cbranch_execz .LBB1675_156
; %bb.150:
	v_add_co_u32 v19, vcc_lo, v19, 8
	v_add_co_ci_u32_e32 v20, vcc_lo, 0, v20, vcc_lo
	v_add_co_u32 v21, vcc_lo, v21, 8
	v_add_co_ci_u32_e32 v22, vcc_lo, 0, v22, vcc_lo
	s_add_u32 s4, s14, -1
	s_addc_u32 s5, s15, -1
	s_mov_b64 s[6:7], 0
	s_mov_b32 s33, 0
                                        ; implicit-def: $sgpr34
	s_set_inst_prefetch_distance 0x1
	s_branch .LBB1675_153
	.p2align	6
.LBB1675_151:                           ;   in Loop: Header=BB1675_153 Depth=1
	global_load_b64 v[23:24], v[21:22], off
	global_load_b64 v[25:26], v[19:20], off
	v_add_co_u32 v19, vcc_lo, v19, 8
	v_add_co_ci_u32_e32 v20, vcc_lo, 0, v20, vcc_lo
	v_add_co_u32 v21, s0, v21, 8
	s_delay_alu instid0(VALU_DEP_1)
	v_add_co_ci_u32_e64 v22, s0, 0, v22, s0
	s_add_u32 s6, s6, 1
	s_addc_u32 s7, s7, 0
	s_and_not1_b32 s0, s34, exec_lo
	s_waitcnt vmcnt(0)
	v_cmp_ne_u64_e32 vcc_lo, v[23:24], v[25:26]
	s_and_b32 s34, vcc_lo, exec_lo
	s_delay_alu instid0(SALU_CYCLE_1)
	s_or_b32 s34, s0, s34
.LBB1675_152:                           ;   in Loop: Header=BB1675_153 Depth=1
	v_dual_mov_b32 v24, s7 :: v_dual_mov_b32 v23, s6
	s_and_b32 s0, exec_lo, s34
	s_delay_alu instid0(SALU_CYCLE_1) | instskip(NEXT) | instid1(SALU_CYCLE_1)
	s_or_b32 s33, s0, s33
	s_and_not1_b32 exec_lo, exec_lo, s33
	s_cbranch_execz .LBB1675_155
.LBB1675_153:                           ; =>This Inner Loop Header: Depth=1
	s_or_b32 s34, s34, exec_lo
	s_cmp_eq_u64 s[4:5], s[6:7]
	s_cbranch_scc0 .LBB1675_151
; %bb.154:                              ;   in Loop: Header=BB1675_153 Depth=1
	s_mov_b64 s[6:7], s[14:15]
                                        ; implicit-def: $vgpr19_vgpr20
                                        ; implicit-def: $vgpr21_vgpr22
	s_branch .LBB1675_152
.LBB1675_155:
	s_set_inst_prefetch_distance 0x2
	s_or_b32 exec_lo, exec_lo, s33
	v_cmp_gt_i64_e32 vcc_lo, s[14:15], v[23:24]
	s_or_not1_b32 s0, vcc_lo, exec_lo
.LBB1675_156:
	s_or_b32 exec_lo, exec_lo, s29
.LBB1675_157:
	s_delay_alu instid0(SALU_CYCLE_1)
	s_and_b32 s29, s0, exec_lo
.LBB1675_158:
	s_or_b32 exec_lo, exec_lo, s31
	v_or_b32_e32 v19, 2, v39
	s_mov_b32 s31, exec_lo
	s_delay_alu instid0(VALU_DEP_1)
	v_cmpx_gt_u32_e64 s12, v19
	s_cbranch_execz .LBB1675_169
; %bb.159:
	v_cmp_ne_u32_e32 vcc_lo, 1, v27
	s_mov_b32 s0, 0
	s_cbranch_vccnz .LBB1675_168
; %bb.160:
	v_mul_lo_u32 v23, v16, s14
	v_mul_lo_u32 v24, v15, s15
	v_mad_u64_u32 v[19:20], null, v15, s14, 0
	v_mul_lo_u32 v25, v10, s14
	v_mul_lo_u32 v26, v9, s15
	s_waitcnt lgkmcnt(0)
	v_mad_u64_u32 v[21:22], null, v9, s14, 0
	s_mov_b32 s0, -1
	s_mov_b32 s30, exec_lo
	s_delay_alu instid0(VALU_DEP_4) | instskip(NEXT) | instid1(VALU_DEP_2)
	v_add3_u32 v20, v20, v24, v23
	v_add3_u32 v22, v22, v26, v25
	s_delay_alu instid0(VALU_DEP_2) | instskip(NEXT) | instid1(VALU_DEP_2)
	v_lshlrev_b64 v[19:20], 3, v[19:20]
	v_lshlrev_b64 v[23:24], 3, v[21:22]
	s_delay_alu instid0(VALU_DEP_2) | instskip(NEXT) | instid1(VALU_DEP_3)
	v_add_co_u32 v21, vcc_lo, s16, v19
	v_add_co_ci_u32_e32 v22, vcc_lo, s17, v20, vcc_lo
	s_delay_alu instid0(VALU_DEP_3) | instskip(NEXT) | instid1(VALU_DEP_4)
	v_add_co_u32 v19, vcc_lo, s16, v23
	v_add_co_ci_u32_e32 v20, vcc_lo, s17, v24, vcc_lo
	s_clause 0x1
	global_load_b64 v[23:24], v[21:22], off
	global_load_b64 v[25:26], v[19:20], off
	s_waitcnt vmcnt(0)
	v_cmpx_eq_u64_e64 v[23:24], v[25:26]
	s_cbranch_execz .LBB1675_167
; %bb.161:
	v_add_co_u32 v19, vcc_lo, v19, 8
	v_add_co_ci_u32_e32 v20, vcc_lo, 0, v20, vcc_lo
	v_add_co_u32 v21, vcc_lo, v21, 8
	v_add_co_ci_u32_e32 v22, vcc_lo, 0, v22, vcc_lo
	s_add_u32 s4, s14, -1
	s_addc_u32 s5, s15, -1
	s_mov_b64 s[6:7], 0
	s_mov_b32 s33, 0
                                        ; implicit-def: $sgpr34
	s_set_inst_prefetch_distance 0x1
	s_branch .LBB1675_164
	.p2align	6
.LBB1675_162:                           ;   in Loop: Header=BB1675_164 Depth=1
	global_load_b64 v[23:24], v[21:22], off
	global_load_b64 v[25:26], v[19:20], off
	v_add_co_u32 v19, vcc_lo, v19, 8
	v_add_co_ci_u32_e32 v20, vcc_lo, 0, v20, vcc_lo
	v_add_co_u32 v21, s0, v21, 8
	s_delay_alu instid0(VALU_DEP_1)
	v_add_co_ci_u32_e64 v22, s0, 0, v22, s0
	s_add_u32 s6, s6, 1
	s_addc_u32 s7, s7, 0
	s_and_not1_b32 s0, s34, exec_lo
	s_waitcnt vmcnt(0)
	v_cmp_ne_u64_e32 vcc_lo, v[23:24], v[25:26]
	s_and_b32 s34, vcc_lo, exec_lo
	s_delay_alu instid0(SALU_CYCLE_1)
	s_or_b32 s34, s0, s34
.LBB1675_163:                           ;   in Loop: Header=BB1675_164 Depth=1
	v_dual_mov_b32 v24, s7 :: v_dual_mov_b32 v23, s6
	s_and_b32 s0, exec_lo, s34
	s_delay_alu instid0(SALU_CYCLE_1) | instskip(NEXT) | instid1(SALU_CYCLE_1)
	s_or_b32 s33, s0, s33
	s_and_not1_b32 exec_lo, exec_lo, s33
	s_cbranch_execz .LBB1675_166
.LBB1675_164:                           ; =>This Inner Loop Header: Depth=1
	s_or_b32 s34, s34, exec_lo
	s_cmp_eq_u64 s[4:5], s[6:7]
	s_cbranch_scc0 .LBB1675_162
; %bb.165:                              ;   in Loop: Header=BB1675_164 Depth=1
	s_mov_b64 s[6:7], s[14:15]
                                        ; implicit-def: $vgpr19_vgpr20
                                        ; implicit-def: $vgpr21_vgpr22
	s_branch .LBB1675_163
.LBB1675_166:
	s_set_inst_prefetch_distance 0x2
	s_or_b32 exec_lo, exec_lo, s33
	v_cmp_gt_i64_e32 vcc_lo, s[14:15], v[23:24]
	s_or_not1_b32 s0, vcc_lo, exec_lo
.LBB1675_167:
	s_or_b32 exec_lo, exec_lo, s30
.LBB1675_168:
	s_delay_alu instid0(SALU_CYCLE_1)
	s_and_b32 s30, s0, exec_lo
.LBB1675_169:
	s_or_b32 exec_lo, exec_lo, s31
	v_or_b32_e32 v19, 1, v39
	s_mov_b32 s0, 0
	s_mov_b32 s31, exec_lo
	s_delay_alu instid0(VALU_DEP_1)
	v_cmpx_gt_u32_e64 s12, v19
	s_cbranch_execz .LBB1675_180
; %bb.170:
	v_cmp_ne_u32_e32 vcc_lo, 1, v27
	s_cbranch_vccnz .LBB1675_179
; %bb.171:
	v_mul_lo_u32 v23, v14, s14
	v_mul_lo_u32 v24, v13, s15
	v_mad_u64_u32 v[19:20], null, v13, s14, 0
	v_mul_lo_u32 v25, v16, s14
	v_mul_lo_u32 v26, v15, s15
	s_waitcnt lgkmcnt(0)
	v_mad_u64_u32 v[21:22], null, v15, s14, 0
	s_mov_b32 s0, -1
	s_mov_b32 s33, exec_lo
	s_delay_alu instid0(VALU_DEP_4) | instskip(NEXT) | instid1(VALU_DEP_2)
	v_add3_u32 v20, v20, v24, v23
	v_add3_u32 v22, v22, v26, v25
	s_delay_alu instid0(VALU_DEP_2) | instskip(NEXT) | instid1(VALU_DEP_2)
	v_lshlrev_b64 v[19:20], 3, v[19:20]
	v_lshlrev_b64 v[23:24], 3, v[21:22]
	s_delay_alu instid0(VALU_DEP_2) | instskip(NEXT) | instid1(VALU_DEP_3)
	v_add_co_u32 v21, vcc_lo, s16, v19
	v_add_co_ci_u32_e32 v22, vcc_lo, s17, v20, vcc_lo
	s_delay_alu instid0(VALU_DEP_3) | instskip(NEXT) | instid1(VALU_DEP_4)
	v_add_co_u32 v19, vcc_lo, s16, v23
	v_add_co_ci_u32_e32 v20, vcc_lo, s17, v24, vcc_lo
	s_clause 0x1
	global_load_b64 v[23:24], v[21:22], off
	global_load_b64 v[25:26], v[19:20], off
	s_waitcnt vmcnt(0)
	v_cmpx_eq_u64_e64 v[23:24], v[25:26]
	s_cbranch_execz .LBB1675_178
; %bb.172:
	v_add_co_u32 v19, vcc_lo, v19, 8
	v_add_co_ci_u32_e32 v20, vcc_lo, 0, v20, vcc_lo
	v_add_co_u32 v21, vcc_lo, v21, 8
	v_add_co_ci_u32_e32 v22, vcc_lo, 0, v22, vcc_lo
	s_add_u32 s4, s14, -1
	s_addc_u32 s5, s15, -1
	s_mov_b64 s[6:7], 0
	s_mov_b32 s34, 0
                                        ; implicit-def: $sgpr35
	s_set_inst_prefetch_distance 0x1
	s_branch .LBB1675_175
	.p2align	6
.LBB1675_173:                           ;   in Loop: Header=BB1675_175 Depth=1
	global_load_b64 v[23:24], v[21:22], off
	global_load_b64 v[25:26], v[19:20], off
	v_add_co_u32 v19, vcc_lo, v19, 8
	v_add_co_ci_u32_e32 v20, vcc_lo, 0, v20, vcc_lo
	v_add_co_u32 v21, s0, v21, 8
	s_delay_alu instid0(VALU_DEP_1)
	v_add_co_ci_u32_e64 v22, s0, 0, v22, s0
	s_add_u32 s6, s6, 1
	s_addc_u32 s7, s7, 0
	s_and_not1_b32 s0, s35, exec_lo
	s_waitcnt vmcnt(0)
	v_cmp_ne_u64_e32 vcc_lo, v[23:24], v[25:26]
	s_and_b32 s35, vcc_lo, exec_lo
	s_delay_alu instid0(SALU_CYCLE_1)
	s_or_b32 s35, s0, s35
.LBB1675_174:                           ;   in Loop: Header=BB1675_175 Depth=1
	v_dual_mov_b32 v24, s7 :: v_dual_mov_b32 v23, s6
	s_and_b32 s0, exec_lo, s35
	s_delay_alu instid0(SALU_CYCLE_1) | instskip(NEXT) | instid1(SALU_CYCLE_1)
	s_or_b32 s34, s0, s34
	s_and_not1_b32 exec_lo, exec_lo, s34
	s_cbranch_execz .LBB1675_177
.LBB1675_175:                           ; =>This Inner Loop Header: Depth=1
	s_or_b32 s35, s35, exec_lo
	s_cmp_eq_u64 s[4:5], s[6:7]
	s_cbranch_scc0 .LBB1675_173
; %bb.176:                              ;   in Loop: Header=BB1675_175 Depth=1
	s_mov_b64 s[6:7], s[14:15]
                                        ; implicit-def: $vgpr19_vgpr20
                                        ; implicit-def: $vgpr21_vgpr22
	s_branch .LBB1675_174
.LBB1675_177:
	s_set_inst_prefetch_distance 0x2
	s_or_b32 exec_lo, exec_lo, s34
	v_cmp_gt_i64_e32 vcc_lo, s[14:15], v[23:24]
	s_or_not1_b32 s0, vcc_lo, exec_lo
.LBB1675_178:
	s_or_b32 exec_lo, exec_lo, s33
.LBB1675_179:
	s_delay_alu instid0(SALU_CYCLE_1)
	s_and_b32 s0, s0, exec_lo
.LBB1675_180:
	s_or_b32 exec_lo, exec_lo, s31
	s_waitcnt vmcnt(0) lgkmcnt(0)
	s_barrier
	buffer_gl0_inv
	s_and_saveexec_b32 s4, s3
	s_cbranch_execz .LBB1675_182
; %bb.181:
	v_add_nc_u32_e32 v17, -8, v39
	ds_load_b64 v[17:18], v17
.LBB1675_182:
	s_or_b32 exec_lo, exec_lo, s4
	v_cndmask_b32_e64 v20, 0, 1, s29
	v_cndmask_b32_e64 v22, 0, 1, s26
	;; [unrolled: 1-line block ×7, first 2 shown]
	v_lshlrev_b16 v20, 8, v20
	v_lshlrev_b16 v22, 8, v22
	;; [unrolled: 1-line block ×3, first 2 shown]
	s_mov_b32 s0, 0
	v_lshlrev_b16 v25, 8, v25
	v_or_b32_e32 v19, v19, v20
	v_or_b32_e32 v20, v21, v22
	;; [unrolled: 1-line block ×3, first 2 shown]
	s_mov_b32 s25, exec_lo
	v_and_b32_e32 v23, 0xffff, v25
	v_lshlrev_b32_e32 v24, 16, v19
	v_and_b32_e32 v25, 0xffff, v20
	v_lshlrev_b32_e32 v26, 16, v21
	v_cmpx_gt_u32_e64 s12, v39
	s_cbranch_execz .LBB1675_193
; %bb.183:
	v_cmp_ne_u32_e32 vcc_lo, 1, v27
	s_cbranch_vccnz .LBB1675_192
; %bb.184:
	s_waitcnt lgkmcnt(0)
	v_mul_lo_u32 v22, v18, s14
	v_mul_lo_u32 v27, v17, s15
	v_mad_u64_u32 v[18:19], null, v17, s14, 0
	v_mul_lo_u32 v17, v14, s14
	v_mul_lo_u32 v28, v13, s15
	v_mad_u64_u32 v[20:21], null, v13, s14, 0
	s_mov_b32 s0, -1
	s_mov_b32 s26, exec_lo
	s_delay_alu instid0(VALU_DEP_4) | instskip(NEXT) | instid1(VALU_DEP_2)
	v_add3_u32 v19, v19, v27, v22
	v_add3_u32 v21, v21, v28, v17
	s_delay_alu instid0(VALU_DEP_2) | instskip(NEXT) | instid1(VALU_DEP_2)
	v_lshlrev_b64 v[17:18], 3, v[18:19]
	v_lshlrev_b64 v[21:22], 3, v[20:21]
	s_delay_alu instid0(VALU_DEP_2) | instskip(NEXT) | instid1(VALU_DEP_3)
	v_add_co_u32 v19, vcc_lo, s16, v17
	v_add_co_ci_u32_e32 v20, vcc_lo, s17, v18, vcc_lo
	s_delay_alu instid0(VALU_DEP_3) | instskip(NEXT) | instid1(VALU_DEP_4)
	v_add_co_u32 v17, vcc_lo, s16, v21
	v_add_co_ci_u32_e32 v18, vcc_lo, s17, v22, vcc_lo
	s_clause 0x1
	global_load_b64 v[21:22], v[19:20], off
	global_load_b64 v[27:28], v[17:18], off
	s_waitcnt vmcnt(0)
	v_cmpx_eq_u64_e64 v[21:22], v[27:28]
	s_cbranch_execz .LBB1675_191
; %bb.185:
	v_add_co_u32 v17, vcc_lo, v17, 8
	v_add_co_ci_u32_e32 v18, vcc_lo, 0, v18, vcc_lo
	v_add_co_u32 v19, vcc_lo, v19, 8
	v_add_co_ci_u32_e32 v20, vcc_lo, 0, v20, vcc_lo
	s_add_u32 s4, s14, -1
	s_addc_u32 s5, s15, -1
	s_mov_b64 s[6:7], 0
	s_mov_b32 s27, 0
                                        ; implicit-def: $sgpr28
	s_set_inst_prefetch_distance 0x1
	s_branch .LBB1675_188
	.p2align	6
.LBB1675_186:                           ;   in Loop: Header=BB1675_188 Depth=1
	global_load_b64 v[21:22], v[19:20], off
	global_load_b64 v[27:28], v[17:18], off
	v_add_co_u32 v17, vcc_lo, v17, 8
	v_add_co_ci_u32_e32 v18, vcc_lo, 0, v18, vcc_lo
	v_add_co_u32 v19, s0, v19, 8
	s_delay_alu instid0(VALU_DEP_1)
	v_add_co_ci_u32_e64 v20, s0, 0, v20, s0
	s_add_u32 s6, s6, 1
	s_addc_u32 s7, s7, 0
	s_and_not1_b32 s0, s28, exec_lo
	s_waitcnt vmcnt(0)
	v_cmp_ne_u64_e32 vcc_lo, v[21:22], v[27:28]
	s_and_b32 s28, vcc_lo, exec_lo
	s_delay_alu instid0(SALU_CYCLE_1)
	s_or_b32 s28, s0, s28
.LBB1675_187:                           ;   in Loop: Header=BB1675_188 Depth=1
	v_dual_mov_b32 v22, s7 :: v_dual_mov_b32 v21, s6
	s_and_b32 s0, exec_lo, s28
	s_delay_alu instid0(SALU_CYCLE_1) | instskip(NEXT) | instid1(SALU_CYCLE_1)
	s_or_b32 s27, s0, s27
	s_and_not1_b32 exec_lo, exec_lo, s27
	s_cbranch_execz .LBB1675_190
.LBB1675_188:                           ; =>This Inner Loop Header: Depth=1
	s_or_b32 s28, s28, exec_lo
	s_cmp_eq_u64 s[4:5], s[6:7]
	s_cbranch_scc0 .LBB1675_186
; %bb.189:                              ;   in Loop: Header=BB1675_188 Depth=1
	s_mov_b64 s[6:7], s[14:15]
                                        ; implicit-def: $vgpr17_vgpr18
                                        ; implicit-def: $vgpr19_vgpr20
	s_branch .LBB1675_187
.LBB1675_190:
	s_set_inst_prefetch_distance 0x2
	s_or_b32 exec_lo, exec_lo, s27
	v_cmp_gt_i64_e32 vcc_lo, s[14:15], v[21:22]
	s_or_not1_b32 s0, vcc_lo, exec_lo
.LBB1675_191:
	s_or_b32 exec_lo, exec_lo, s26
.LBB1675_192:
	s_delay_alu instid0(SALU_CYCLE_1)
	s_and_b32 s0, s0, exec_lo
.LBB1675_193:
	s_or_b32 exec_lo, exec_lo, s25
	v_or_b32_e32 v19, v23, v24
	v_or_b32_e32 v20, v25, v26
.LBB1675_194:
	s_mov_b32 s25, -1
	s_cbranch_execnz .LBB1675_363
.LBB1675_195:
	v_cmp_gt_i64_e64 s26, s[14:15], 0
	s_and_b32 vcc_lo, exec_lo, s22
	ds_store_b64 v39, v[3:4]
	s_cbranch_vccz .LBB1675_203
; %bb.196:
	v_mul_lo_u32 v19, v2, s14
	v_mul_lo_u32 v20, v1, s15
	s_waitcnt vmcnt(0) lgkmcnt(1)
	v_mad_u64_u32 v[17:18], null, v1, s14, 0
	s_mov_b32 s27, 0
	s_and_not1_b32 vcc_lo, exec_lo, s26
	s_mov_b32 s28, 0
	s_delay_alu instid0(VALU_DEP_1) | instskip(NEXT) | instid1(VALU_DEP_1)
	v_add3_u32 v18, v18, v20, v19
	v_lshlrev_b64 v[17:18], 3, v[17:18]
	s_cbranch_vccnz .LBB1675_206
; %bb.197:
	v_mul_lo_u32 v21, v4, s14
	v_mul_lo_u32 v22, v3, s15
	v_mad_u64_u32 v[19:20], null, v3, s14, 0
	s_mov_b32 s28, -1
	s_mov_b32 s29, exec_lo
	s_delay_alu instid0(VALU_DEP_1) | instskip(SKIP_2) | instid1(VALU_DEP_3)
	v_add3_u32 v20, v20, v22, v21
	v_add_co_u32 v21, vcc_lo, s16, v17
	v_add_co_ci_u32_e32 v22, vcc_lo, s17, v18, vcc_lo
	v_lshlrev_b64 v[19:20], 3, v[19:20]
	s_delay_alu instid0(VALU_DEP_1) | instskip(NEXT) | instid1(VALU_DEP_2)
	v_add_co_u32 v19, vcc_lo, s16, v19
	v_add_co_ci_u32_e32 v20, vcc_lo, s17, v20, vcc_lo
	s_clause 0x1
	global_load_b64 v[23:24], v[21:22], off
	global_load_b64 v[25:26], v[19:20], off
	s_waitcnt vmcnt(0)
	v_cmpx_eq_u64_e64 v[23:24], v[25:26]
	s_cbranch_execz .LBB1675_205
; %bb.198:
	v_add_co_u32 v19, vcc_lo, v19, 8
	v_add_co_ci_u32_e32 v20, vcc_lo, 0, v20, vcc_lo
	v_add_co_u32 v21, vcc_lo, v21, 8
	v_add_co_ci_u32_e32 v22, vcc_lo, 0, v22, vcc_lo
	s_add_u32 s4, s14, -1
	s_addc_u32 s5, s15, -1
	s_mov_b64 s[6:7], 0
	s_mov_b32 s28, 0
                                        ; implicit-def: $sgpr30
	s_set_inst_prefetch_distance 0x1
	s_branch .LBB1675_201
	.p2align	6
.LBB1675_199:                           ;   in Loop: Header=BB1675_201 Depth=1
	global_load_b64 v[23:24], v[21:22], off
	global_load_b64 v[25:26], v[19:20], off
	v_add_co_u32 v19, vcc_lo, v19, 8
	v_add_co_ci_u32_e32 v20, vcc_lo, 0, v20, vcc_lo
	v_add_co_u32 v21, s0, v21, 8
	s_delay_alu instid0(VALU_DEP_1)
	v_add_co_ci_u32_e64 v22, s0, 0, v22, s0
	s_add_u32 s6, s6, 1
	s_addc_u32 s7, s7, 0
	s_and_not1_b32 s0, s30, exec_lo
	s_waitcnt vmcnt(0)
	v_cmp_ne_u64_e32 vcc_lo, v[23:24], v[25:26]
	s_and_b32 s30, vcc_lo, exec_lo
	s_delay_alu instid0(SALU_CYCLE_1)
	s_or_b32 s30, s0, s30
.LBB1675_200:                           ;   in Loop: Header=BB1675_201 Depth=1
	v_dual_mov_b32 v24, s7 :: v_dual_mov_b32 v23, s6
	s_and_b32 s0, exec_lo, s30
	s_delay_alu instid0(SALU_CYCLE_1) | instskip(NEXT) | instid1(SALU_CYCLE_1)
	s_or_b32 s28, s0, s28
	s_and_not1_b32 exec_lo, exec_lo, s28
	s_cbranch_execz .LBB1675_204
.LBB1675_201:                           ; =>This Inner Loop Header: Depth=1
	s_or_b32 s30, s30, exec_lo
	s_cmp_eq_u64 s[4:5], s[6:7]
	s_cbranch_scc0 .LBB1675_199
; %bb.202:                              ;   in Loop: Header=BB1675_201 Depth=1
	s_mov_b64 s[6:7], s[14:15]
                                        ; implicit-def: $vgpr19_vgpr20
                                        ; implicit-def: $vgpr21_vgpr22
	s_branch .LBB1675_200
.LBB1675_203:
                                        ; implicit-def: $sgpr0
                                        ; implicit-def: $vgpr20
	s_cbranch_execnz .LBB1675_272
	s_branch .LBB1675_363
.LBB1675_204:
	s_set_inst_prefetch_distance 0x2
	s_or_b32 exec_lo, exec_lo, s28
	v_cmp_gt_i64_e32 vcc_lo, s[14:15], v[23:24]
	s_or_not1_b32 s28, vcc_lo, exec_lo
.LBB1675_205:
	s_or_b32 exec_lo, exec_lo, s29
.LBB1675_206:
	v_mul_lo_u32 v21, v8, s14
	v_mul_lo_u32 v22, v7, s15
	v_mad_u64_u32 v[19:20], null, v7, s14, 0
	s_and_not1_b32 vcc_lo, exec_lo, s26
	s_delay_alu instid0(VALU_DEP_1) | instskip(NEXT) | instid1(VALU_DEP_1)
	v_add3_u32 v20, v20, v22, v21
	v_lshlrev_b64 v[19:20], 3, v[19:20]
	s_cbranch_vccnz .LBB1675_215
; %bb.207:
	s_delay_alu instid0(VALU_DEP_1) | instskip(NEXT) | instid1(VALU_DEP_2)
	v_add_co_u32 v21, vcc_lo, s16, v19
	v_add_co_ci_u32_e32 v22, vcc_lo, s17, v20, vcc_lo
	v_add_co_u32 v17, vcc_lo, s16, v17
	v_add_co_ci_u32_e32 v18, vcc_lo, s17, v18, vcc_lo
	s_mov_b32 s27, -1
	s_clause 0x1
	global_load_b64 v[23:24], v[21:22], off
	global_load_b64 v[25:26], v[17:18], off
	s_mov_b32 s29, exec_lo
	s_waitcnt vmcnt(0)
	v_cmpx_eq_u64_e64 v[23:24], v[25:26]
	s_cbranch_execz .LBB1675_214
; %bb.208:
	v_add_co_u32 v17, vcc_lo, v17, 8
	v_add_co_ci_u32_e32 v18, vcc_lo, 0, v18, vcc_lo
	v_add_co_u32 v21, vcc_lo, v21, 8
	v_add_co_ci_u32_e32 v22, vcc_lo, 0, v22, vcc_lo
	s_add_u32 s4, s14, -1
	s_addc_u32 s5, s15, -1
	s_mov_b64 s[6:7], 0
	s_mov_b32 s27, 0
                                        ; implicit-def: $sgpr30
	s_set_inst_prefetch_distance 0x1
	s_branch .LBB1675_211
	.p2align	6
.LBB1675_209:                           ;   in Loop: Header=BB1675_211 Depth=1
	global_load_b64 v[23:24], v[21:22], off
	global_load_b64 v[25:26], v[17:18], off
	v_add_co_u32 v17, vcc_lo, v17, 8
	v_add_co_ci_u32_e32 v18, vcc_lo, 0, v18, vcc_lo
	v_add_co_u32 v21, s0, v21, 8
	s_delay_alu instid0(VALU_DEP_1)
	v_add_co_ci_u32_e64 v22, s0, 0, v22, s0
	s_add_u32 s6, s6, 1
	s_addc_u32 s7, s7, 0
	s_and_not1_b32 s0, s30, exec_lo
	s_waitcnt vmcnt(0)
	v_cmp_ne_u64_e32 vcc_lo, v[23:24], v[25:26]
	s_and_b32 s30, vcc_lo, exec_lo
	s_delay_alu instid0(SALU_CYCLE_1)
	s_or_b32 s30, s0, s30
.LBB1675_210:                           ;   in Loop: Header=BB1675_211 Depth=1
	v_dual_mov_b32 v24, s7 :: v_dual_mov_b32 v23, s6
	s_and_b32 s0, exec_lo, s30
	s_delay_alu instid0(SALU_CYCLE_1) | instskip(NEXT) | instid1(SALU_CYCLE_1)
	s_or_b32 s27, s0, s27
	s_and_not1_b32 exec_lo, exec_lo, s27
	s_cbranch_execz .LBB1675_213
.LBB1675_211:                           ; =>This Inner Loop Header: Depth=1
	s_or_b32 s30, s30, exec_lo
	s_cmp_eq_u64 s[4:5], s[6:7]
	s_cbranch_scc0 .LBB1675_209
; %bb.212:                              ;   in Loop: Header=BB1675_211 Depth=1
	s_mov_b64 s[6:7], s[14:15]
                                        ; implicit-def: $vgpr17_vgpr18
                                        ; implicit-def: $vgpr21_vgpr22
	s_branch .LBB1675_210
.LBB1675_213:
	s_set_inst_prefetch_distance 0x2
	s_or_b32 exec_lo, exec_lo, s27
	v_cmp_gt_i64_e32 vcc_lo, s[14:15], v[23:24]
	s_or_not1_b32 s27, vcc_lo, exec_lo
.LBB1675_214:
	s_or_b32 exec_lo, exec_lo, s29
.LBB1675_215:
	v_mul_lo_u32 v21, v6, s14
	v_mul_lo_u32 v22, v5, s15
	v_mad_u64_u32 v[17:18], null, v5, s14, 0
	s_mov_b32 s29, 0
	s_and_not1_b32 vcc_lo, exec_lo, s26
	s_mov_b32 s30, 0
	s_delay_alu instid0(VALU_DEP_1) | instskip(NEXT) | instid1(VALU_DEP_1)
	v_add3_u32 v18, v18, v22, v21
	v_lshlrev_b64 v[21:22], 3, v[17:18]
	s_cbranch_vccnz .LBB1675_224
; %bb.216:
	s_delay_alu instid0(VALU_DEP_1) | instskip(NEXT) | instid1(VALU_DEP_2)
	v_add_co_u32 v23, vcc_lo, s16, v21
	v_add_co_ci_u32_e32 v24, vcc_lo, s17, v22, vcc_lo
	v_add_co_u32 v17, vcc_lo, s16, v19
	v_add_co_ci_u32_e32 v18, vcc_lo, s17, v20, vcc_lo
	s_mov_b32 s30, -1
	s_clause 0x1
	global_load_b64 v[19:20], v[23:24], off
	global_load_b64 v[25:26], v[17:18], off
	s_mov_b32 s31, exec_lo
	s_waitcnt vmcnt(0)
	v_cmpx_eq_u64_e64 v[19:20], v[25:26]
	s_cbranch_execz .LBB1675_223
; %bb.217:
	v_add_co_u32 v17, vcc_lo, v17, 8
	v_add_co_ci_u32_e32 v18, vcc_lo, 0, v18, vcc_lo
	v_add_co_u32 v19, vcc_lo, v23, 8
	v_add_co_ci_u32_e32 v20, vcc_lo, 0, v24, vcc_lo
	s_add_u32 s4, s14, -1
	s_addc_u32 s5, s15, -1
	s_mov_b64 s[6:7], 0
	s_mov_b32 s30, 0
                                        ; implicit-def: $sgpr33
	s_set_inst_prefetch_distance 0x1
	s_branch .LBB1675_220
	.p2align	6
.LBB1675_218:                           ;   in Loop: Header=BB1675_220 Depth=1
	global_load_b64 v[23:24], v[19:20], off
	global_load_b64 v[25:26], v[17:18], off
	v_add_co_u32 v17, vcc_lo, v17, 8
	v_add_co_ci_u32_e32 v18, vcc_lo, 0, v18, vcc_lo
	v_add_co_u32 v19, s0, v19, 8
	s_delay_alu instid0(VALU_DEP_1)
	v_add_co_ci_u32_e64 v20, s0, 0, v20, s0
	s_add_u32 s6, s6, 1
	s_addc_u32 s7, s7, 0
	s_and_not1_b32 s0, s33, exec_lo
	s_waitcnt vmcnt(0)
	v_cmp_ne_u64_e32 vcc_lo, v[23:24], v[25:26]
	s_and_b32 s33, vcc_lo, exec_lo
	s_delay_alu instid0(SALU_CYCLE_1)
	s_or_b32 s33, s0, s33
.LBB1675_219:                           ;   in Loop: Header=BB1675_220 Depth=1
	v_dual_mov_b32 v24, s7 :: v_dual_mov_b32 v23, s6
	s_and_b32 s0, exec_lo, s33
	s_delay_alu instid0(SALU_CYCLE_1) | instskip(NEXT) | instid1(SALU_CYCLE_1)
	s_or_b32 s30, s0, s30
	s_and_not1_b32 exec_lo, exec_lo, s30
	s_cbranch_execz .LBB1675_222
.LBB1675_220:                           ; =>This Inner Loop Header: Depth=1
	s_or_b32 s33, s33, exec_lo
	s_cmp_eq_u64 s[4:5], s[6:7]
	s_cbranch_scc0 .LBB1675_218
; %bb.221:                              ;   in Loop: Header=BB1675_220 Depth=1
	s_mov_b64 s[6:7], s[14:15]
                                        ; implicit-def: $vgpr17_vgpr18
                                        ; implicit-def: $vgpr19_vgpr20
	s_branch .LBB1675_219
.LBB1675_222:
	s_set_inst_prefetch_distance 0x2
	s_or_b32 exec_lo, exec_lo, s30
	v_cmp_gt_i64_e32 vcc_lo, s[14:15], v[23:24]
	s_or_not1_b32 s30, vcc_lo, exec_lo
.LBB1675_223:
	s_or_b32 exec_lo, exec_lo, s31
.LBB1675_224:
	v_mul_lo_u32 v19, v12, s14
	v_mul_lo_u32 v20, v11, s15
	v_mad_u64_u32 v[17:18], null, v11, s14, 0
	s_and_not1_b32 vcc_lo, exec_lo, s26
	s_delay_alu instid0(VALU_DEP_1) | instskip(NEXT) | instid1(VALU_DEP_1)
	v_add3_u32 v18, v18, v20, v19
	v_lshlrev_b64 v[17:18], 3, v[17:18]
	s_cbranch_vccnz .LBB1675_233
; %bb.225:
	s_delay_alu instid0(VALU_DEP_1) | instskip(NEXT) | instid1(VALU_DEP_2)
	v_add_co_u32 v23, vcc_lo, s16, v17
	v_add_co_ci_u32_e32 v24, vcc_lo, s17, v18, vcc_lo
	v_add_co_u32 v19, vcc_lo, s16, v21
	v_add_co_ci_u32_e32 v20, vcc_lo, s17, v22, vcc_lo
	s_mov_b32 s29, -1
	s_clause 0x1
	global_load_b64 v[21:22], v[23:24], off
	global_load_b64 v[25:26], v[19:20], off
	s_mov_b32 s31, exec_lo
	s_waitcnt vmcnt(0)
	v_cmpx_eq_u64_e64 v[21:22], v[25:26]
	s_cbranch_execz .LBB1675_232
; %bb.226:
	v_add_co_u32 v19, vcc_lo, v19, 8
	v_add_co_ci_u32_e32 v20, vcc_lo, 0, v20, vcc_lo
	v_add_co_u32 v21, vcc_lo, v23, 8
	v_add_co_ci_u32_e32 v22, vcc_lo, 0, v24, vcc_lo
	s_add_u32 s4, s14, -1
	s_addc_u32 s5, s15, -1
	s_mov_b64 s[6:7], 0
	s_mov_b32 s29, 0
                                        ; implicit-def: $sgpr33
	s_set_inst_prefetch_distance 0x1
	s_branch .LBB1675_229
	.p2align	6
.LBB1675_227:                           ;   in Loop: Header=BB1675_229 Depth=1
	global_load_b64 v[23:24], v[21:22], off
	global_load_b64 v[25:26], v[19:20], off
	v_add_co_u32 v19, vcc_lo, v19, 8
	v_add_co_ci_u32_e32 v20, vcc_lo, 0, v20, vcc_lo
	v_add_co_u32 v21, s0, v21, 8
	s_delay_alu instid0(VALU_DEP_1)
	v_add_co_ci_u32_e64 v22, s0, 0, v22, s0
	s_add_u32 s6, s6, 1
	s_addc_u32 s7, s7, 0
	s_and_not1_b32 s0, s33, exec_lo
	s_waitcnt vmcnt(0)
	v_cmp_ne_u64_e32 vcc_lo, v[23:24], v[25:26]
	s_and_b32 s33, vcc_lo, exec_lo
	s_delay_alu instid0(SALU_CYCLE_1)
	s_or_b32 s33, s0, s33
.LBB1675_228:                           ;   in Loop: Header=BB1675_229 Depth=1
	v_dual_mov_b32 v24, s7 :: v_dual_mov_b32 v23, s6
	s_and_b32 s0, exec_lo, s33
	s_delay_alu instid0(SALU_CYCLE_1) | instskip(NEXT) | instid1(SALU_CYCLE_1)
	s_or_b32 s29, s0, s29
	s_and_not1_b32 exec_lo, exec_lo, s29
	s_cbranch_execz .LBB1675_231
.LBB1675_229:                           ; =>This Inner Loop Header: Depth=1
	s_or_b32 s33, s33, exec_lo
	s_cmp_eq_u64 s[4:5], s[6:7]
	s_cbranch_scc0 .LBB1675_227
; %bb.230:                              ;   in Loop: Header=BB1675_229 Depth=1
	s_mov_b64 s[6:7], s[14:15]
                                        ; implicit-def: $vgpr19_vgpr20
                                        ; implicit-def: $vgpr21_vgpr22
	s_branch .LBB1675_228
.LBB1675_231:
	s_set_inst_prefetch_distance 0x2
	s_or_b32 exec_lo, exec_lo, s29
	v_cmp_gt_i64_e32 vcc_lo, s[14:15], v[23:24]
	s_or_not1_b32 s29, vcc_lo, exec_lo
.LBB1675_232:
	s_or_b32 exec_lo, exec_lo, s31
.LBB1675_233:
	v_mul_lo_u32 v21, v10, s14
	v_mul_lo_u32 v22, v9, s15
	v_mad_u64_u32 v[19:20], null, v9, s14, 0
	s_mov_b32 s31, 0
	s_and_not1_b32 vcc_lo, exec_lo, s26
	s_mov_b32 s33, 0
	s_delay_alu instid0(VALU_DEP_1) | instskip(NEXT) | instid1(VALU_DEP_1)
	v_add3_u32 v20, v20, v22, v21
	v_lshlrev_b64 v[21:22], 3, v[19:20]
	s_cbranch_vccnz .LBB1675_242
; %bb.234:
	s_delay_alu instid0(VALU_DEP_1) | instskip(NEXT) | instid1(VALU_DEP_2)
	v_add_co_u32 v19, vcc_lo, s16, v21
	v_add_co_ci_u32_e32 v20, vcc_lo, s17, v22, vcc_lo
	v_add_co_u32 v17, vcc_lo, s16, v17
	v_add_co_ci_u32_e32 v18, vcc_lo, s17, v18, vcc_lo
	s_mov_b32 s33, -1
	s_clause 0x1
	global_load_b64 v[23:24], v[19:20], off
	global_load_b64 v[25:26], v[17:18], off
	s_mov_b32 s34, exec_lo
	s_waitcnt vmcnt(0)
	v_cmpx_eq_u64_e64 v[23:24], v[25:26]
	s_cbranch_execz .LBB1675_241
; %bb.235:
	v_add_co_u32 v17, vcc_lo, v17, 8
	v_add_co_ci_u32_e32 v18, vcc_lo, 0, v18, vcc_lo
	v_add_co_u32 v19, vcc_lo, v19, 8
	v_add_co_ci_u32_e32 v20, vcc_lo, 0, v20, vcc_lo
	s_add_u32 s4, s14, -1
	s_addc_u32 s5, s15, -1
	s_mov_b64 s[6:7], 0
	s_mov_b32 s33, 0
                                        ; implicit-def: $sgpr35
	s_set_inst_prefetch_distance 0x1
	s_branch .LBB1675_238
	.p2align	6
.LBB1675_236:                           ;   in Loop: Header=BB1675_238 Depth=1
	global_load_b64 v[23:24], v[19:20], off
	global_load_b64 v[25:26], v[17:18], off
	v_add_co_u32 v17, vcc_lo, v17, 8
	v_add_co_ci_u32_e32 v18, vcc_lo, 0, v18, vcc_lo
	v_add_co_u32 v19, s0, v19, 8
	s_delay_alu instid0(VALU_DEP_1)
	v_add_co_ci_u32_e64 v20, s0, 0, v20, s0
	s_add_u32 s6, s6, 1
	s_addc_u32 s7, s7, 0
	s_and_not1_b32 s0, s35, exec_lo
	s_waitcnt vmcnt(0)
	v_cmp_ne_u64_e32 vcc_lo, v[23:24], v[25:26]
	s_and_b32 s35, vcc_lo, exec_lo
	s_delay_alu instid0(SALU_CYCLE_1)
	s_or_b32 s35, s0, s35
.LBB1675_237:                           ;   in Loop: Header=BB1675_238 Depth=1
	v_dual_mov_b32 v24, s7 :: v_dual_mov_b32 v23, s6
	s_and_b32 s0, exec_lo, s35
	s_delay_alu instid0(SALU_CYCLE_1) | instskip(NEXT) | instid1(SALU_CYCLE_1)
	s_or_b32 s33, s0, s33
	s_and_not1_b32 exec_lo, exec_lo, s33
	s_cbranch_execz .LBB1675_240
.LBB1675_238:                           ; =>This Inner Loop Header: Depth=1
	s_or_b32 s35, s35, exec_lo
	s_cmp_eq_u64 s[4:5], s[6:7]
	s_cbranch_scc0 .LBB1675_236
; %bb.239:                              ;   in Loop: Header=BB1675_238 Depth=1
	s_mov_b64 s[6:7], s[14:15]
                                        ; implicit-def: $vgpr17_vgpr18
                                        ; implicit-def: $vgpr19_vgpr20
	s_branch .LBB1675_237
.LBB1675_240:
	s_set_inst_prefetch_distance 0x2
	s_or_b32 exec_lo, exec_lo, s33
	v_cmp_gt_i64_e32 vcc_lo, s[14:15], v[23:24]
	s_or_not1_b32 s33, vcc_lo, exec_lo
.LBB1675_241:
	s_or_b32 exec_lo, exec_lo, s34
.LBB1675_242:
	v_mul_lo_u32 v19, v16, s14
	v_mul_lo_u32 v20, v15, s15
	v_mad_u64_u32 v[17:18], null, v15, s14, 0
	s_and_not1_b32 vcc_lo, exec_lo, s26
	s_delay_alu instid0(VALU_DEP_1) | instskip(NEXT) | instid1(VALU_DEP_1)
	v_add3_u32 v18, v18, v20, v19
	v_lshlrev_b64 v[19:20], 3, v[17:18]
	s_cbranch_vccnz .LBB1675_251
; %bb.243:
	s_delay_alu instid0(VALU_DEP_1) | instskip(NEXT) | instid1(VALU_DEP_2)
	v_add_co_u32 v23, vcc_lo, s16, v19
	v_add_co_ci_u32_e32 v24, vcc_lo, s17, v20, vcc_lo
	v_add_co_u32 v17, vcc_lo, s16, v21
	v_add_co_ci_u32_e32 v18, vcc_lo, s17, v22, vcc_lo
	s_mov_b32 s31, -1
	s_clause 0x1
	global_load_b64 v[21:22], v[23:24], off
	global_load_b64 v[25:26], v[17:18], off
	s_mov_b32 s34, exec_lo
	s_waitcnt vmcnt(0)
	v_cmpx_eq_u64_e64 v[21:22], v[25:26]
	s_cbranch_execz .LBB1675_250
; %bb.244:
	v_add_co_u32 v17, vcc_lo, v17, 8
	v_add_co_ci_u32_e32 v18, vcc_lo, 0, v18, vcc_lo
	v_add_co_u32 v21, vcc_lo, v23, 8
	v_add_co_ci_u32_e32 v22, vcc_lo, 0, v24, vcc_lo
	s_add_u32 s4, s14, -1
	s_addc_u32 s5, s15, -1
	s_mov_b64 s[6:7], 0
	s_mov_b32 s31, 0
                                        ; implicit-def: $sgpr35
	s_set_inst_prefetch_distance 0x1
	s_branch .LBB1675_247
	.p2align	6
.LBB1675_245:                           ;   in Loop: Header=BB1675_247 Depth=1
	global_load_b64 v[23:24], v[21:22], off
	global_load_b64 v[25:26], v[17:18], off
	v_add_co_u32 v17, vcc_lo, v17, 8
	v_add_co_ci_u32_e32 v18, vcc_lo, 0, v18, vcc_lo
	v_add_co_u32 v21, s0, v21, 8
	s_delay_alu instid0(VALU_DEP_1)
	v_add_co_ci_u32_e64 v22, s0, 0, v22, s0
	s_add_u32 s6, s6, 1
	s_addc_u32 s7, s7, 0
	s_and_not1_b32 s0, s35, exec_lo
	s_waitcnt vmcnt(0)
	v_cmp_ne_u64_e32 vcc_lo, v[23:24], v[25:26]
	s_and_b32 s35, vcc_lo, exec_lo
	s_delay_alu instid0(SALU_CYCLE_1)
	s_or_b32 s35, s0, s35
.LBB1675_246:                           ;   in Loop: Header=BB1675_247 Depth=1
	v_dual_mov_b32 v24, s7 :: v_dual_mov_b32 v23, s6
	s_and_b32 s0, exec_lo, s35
	s_delay_alu instid0(SALU_CYCLE_1) | instskip(NEXT) | instid1(SALU_CYCLE_1)
	s_or_b32 s31, s0, s31
	s_and_not1_b32 exec_lo, exec_lo, s31
	s_cbranch_execz .LBB1675_249
.LBB1675_247:                           ; =>This Inner Loop Header: Depth=1
	s_or_b32 s35, s35, exec_lo
	s_cmp_eq_u64 s[4:5], s[6:7]
	s_cbranch_scc0 .LBB1675_245
; %bb.248:                              ;   in Loop: Header=BB1675_247 Depth=1
	s_mov_b64 s[6:7], s[14:15]
                                        ; implicit-def: $vgpr17_vgpr18
                                        ; implicit-def: $vgpr21_vgpr22
	s_branch .LBB1675_246
.LBB1675_249:
	s_set_inst_prefetch_distance 0x2
	s_or_b32 exec_lo, exec_lo, s31
	v_cmp_gt_i64_e32 vcc_lo, s[14:15], v[23:24]
	s_or_not1_b32 s31, vcc_lo, exec_lo
.LBB1675_250:
	s_or_b32 exec_lo, exec_lo, s34
.LBB1675_251:
	v_mul_lo_u32 v21, v14, s14
	v_mul_lo_u32 v22, v13, s15
	v_mad_u64_u32 v[17:18], null, v13, s14, 0
	s_and_not1_b32 vcc_lo, exec_lo, s26
	s_mov_b32 s0, 0
	s_delay_alu instid0(VALU_DEP_1)
	v_add3_u32 v18, v18, v22, v21
	s_cbranch_vccnz .LBB1675_260
; %bb.252:
	s_delay_alu instid0(VALU_DEP_1) | instskip(SKIP_2) | instid1(VALU_DEP_1)
	v_lshlrev_b64 v[21:22], 3, v[17:18]
	s_mov_b32 s0, -1
	s_mov_b32 s34, exec_lo
	v_add_co_u32 v21, vcc_lo, s16, v21
	s_delay_alu instid0(VALU_DEP_2)
	v_add_co_ci_u32_e32 v22, vcc_lo, s17, v22, vcc_lo
	v_add_co_u32 v19, vcc_lo, s16, v19
	v_add_co_ci_u32_e32 v20, vcc_lo, s17, v20, vcc_lo
	s_clause 0x1
	global_load_b64 v[23:24], v[21:22], off
	global_load_b64 v[25:26], v[19:20], off
	s_waitcnt vmcnt(0)
	v_cmpx_eq_u64_e64 v[23:24], v[25:26]
	s_cbranch_execz .LBB1675_259
; %bb.253:
	v_add_co_u32 v19, vcc_lo, v19, 8
	v_add_co_ci_u32_e32 v20, vcc_lo, 0, v20, vcc_lo
	v_add_co_u32 v21, vcc_lo, v21, 8
	v_add_co_ci_u32_e32 v22, vcc_lo, 0, v22, vcc_lo
	s_add_u32 s4, s14, -1
	s_addc_u32 s5, s15, -1
	s_mov_b64 s[6:7], 0
	s_mov_b32 s35, 0
                                        ; implicit-def: $sgpr36
	s_set_inst_prefetch_distance 0x1
	s_branch .LBB1675_256
	.p2align	6
.LBB1675_254:                           ;   in Loop: Header=BB1675_256 Depth=1
	global_load_b64 v[23:24], v[21:22], off
	global_load_b64 v[25:26], v[19:20], off
	v_add_co_u32 v19, vcc_lo, v19, 8
	v_add_co_ci_u32_e32 v20, vcc_lo, 0, v20, vcc_lo
	v_add_co_u32 v21, s0, v21, 8
	s_delay_alu instid0(VALU_DEP_1)
	v_add_co_ci_u32_e64 v22, s0, 0, v22, s0
	s_add_u32 s6, s6, 1
	s_addc_u32 s7, s7, 0
	s_and_not1_b32 s0, s36, exec_lo
	s_waitcnt vmcnt(0)
	v_cmp_ne_u64_e32 vcc_lo, v[23:24], v[25:26]
	s_and_b32 s36, vcc_lo, exec_lo
	s_delay_alu instid0(SALU_CYCLE_1)
	s_or_b32 s36, s0, s36
.LBB1675_255:                           ;   in Loop: Header=BB1675_256 Depth=1
	v_dual_mov_b32 v24, s7 :: v_dual_mov_b32 v23, s6
	s_and_b32 s0, exec_lo, s36
	s_delay_alu instid0(SALU_CYCLE_1) | instskip(NEXT) | instid1(SALU_CYCLE_1)
	s_or_b32 s35, s0, s35
	s_and_not1_b32 exec_lo, exec_lo, s35
	s_cbranch_execz .LBB1675_258
.LBB1675_256:                           ; =>This Inner Loop Header: Depth=1
	s_or_b32 s36, s36, exec_lo
	s_cmp_eq_u64 s[4:5], s[6:7]
	s_cbranch_scc0 .LBB1675_254
; %bb.257:                              ;   in Loop: Header=BB1675_256 Depth=1
	s_mov_b64 s[6:7], s[14:15]
                                        ; implicit-def: $vgpr19_vgpr20
                                        ; implicit-def: $vgpr21_vgpr22
	s_branch .LBB1675_255
.LBB1675_258:
	s_set_inst_prefetch_distance 0x2
	s_or_b32 exec_lo, exec_lo, s35
	v_cmp_gt_i64_e32 vcc_lo, s[14:15], v[23:24]
	s_or_not1_b32 s0, vcc_lo, exec_lo
.LBB1675_259:
	s_or_b32 exec_lo, exec_lo, s34
.LBB1675_260:
	v_cndmask_b32_e64 v20, 0, 1, s33
	v_cndmask_b32_e64 v21, 0, 1, s30
	;; [unrolled: 1-line block ×7, first 2 shown]
	v_lshlrev_b16 v21, 8, v21
	v_lshlrev_b16 v22, 8, v22
	;; [unrolled: 1-line block ×4, first 2 shown]
	s_waitcnt lgkmcnt(0)
	v_or_b32_e32 v21, v24, v21
	v_or_b32_e32 v22, v25, v22
	;; [unrolled: 1-line block ×4, first 2 shown]
	s_barrier
	v_and_b32_e32 v20, 0xffff, v21
	v_lshlrev_b32_e32 v21, 16, v22
	v_and_b32_e32 v22, 0xffff, v23
	v_lshlrev_b32_e32 v19, 16, v19
	buffer_gl0_inv
                                        ; implicit-def: $sgpr0
	v_or_b32_e32 v20, v20, v21
	v_or_b32_e32 v19, v22, v19
	s_and_saveexec_b32 s4, s3
	s_delay_alu instid0(SALU_CYCLE_1)
	s_xor_b32 s27, exec_lo, s4
	s_cbranch_execz .LBB1675_271
; %bb.261:
	s_and_not1_b32 vcc_lo, exec_lo, s26
	s_mov_b32 s0, 0
	s_cbranch_vccnz .LBB1675_270
; %bb.262:
	v_add_nc_u32_e32 v21, -8, v39
	v_lshlrev_b64 v[17:18], 3, v[17:18]
	s_mov_b32 s0, -1
	s_mov_b32 s28, exec_lo
	ds_load_b64 v[21:22], v21
	s_waitcnt lgkmcnt(0)
	v_mul_lo_u32 v24, v22, s14
	v_mul_lo_u32 v25, v21, s15
	v_mad_u64_u32 v[22:23], null, v21, s14, 0
	s_delay_alu instid0(VALU_DEP_1) | instskip(NEXT) | instid1(VALU_DEP_1)
	v_add3_u32 v23, v23, v25, v24
	v_lshlrev_b64 v[21:22], 3, v[22:23]
	s_delay_alu instid0(VALU_DEP_1) | instskip(NEXT) | instid1(VALU_DEP_2)
	v_add_co_u32 v21, vcc_lo, s16, v21
	v_add_co_ci_u32_e32 v22, vcc_lo, s17, v22, vcc_lo
	v_add_co_u32 v17, vcc_lo, s16, v17
	v_add_co_ci_u32_e32 v18, vcc_lo, s17, v18, vcc_lo
	s_clause 0x1
	global_load_b64 v[23:24], v[21:22], off
	global_load_b64 v[25:26], v[17:18], off
	s_waitcnt vmcnt(0)
	v_cmpx_eq_u64_e64 v[23:24], v[25:26]
	s_cbranch_execz .LBB1675_269
; %bb.263:
	v_add_co_u32 v17, vcc_lo, v17, 8
	v_add_co_ci_u32_e32 v18, vcc_lo, 0, v18, vcc_lo
	v_add_co_u32 v21, vcc_lo, v21, 8
	v_add_co_ci_u32_e32 v22, vcc_lo, 0, v22, vcc_lo
	s_add_u32 s4, s14, -1
	s_addc_u32 s5, s15, -1
	s_mov_b64 s[6:7], 0
	s_mov_b32 s29, 0
                                        ; implicit-def: $sgpr30
	s_set_inst_prefetch_distance 0x1
	s_branch .LBB1675_266
	.p2align	6
.LBB1675_264:                           ;   in Loop: Header=BB1675_266 Depth=1
	global_load_b64 v[23:24], v[21:22], off
	global_load_b64 v[25:26], v[17:18], off
	v_add_co_u32 v17, vcc_lo, v17, 8
	v_add_co_ci_u32_e32 v18, vcc_lo, 0, v18, vcc_lo
	v_add_co_u32 v21, s0, v21, 8
	s_delay_alu instid0(VALU_DEP_1)
	v_add_co_ci_u32_e64 v22, s0, 0, v22, s0
	s_add_u32 s6, s6, 1
	s_addc_u32 s7, s7, 0
	s_and_not1_b32 s0, s30, exec_lo
	s_waitcnt vmcnt(0)
	v_cmp_ne_u64_e32 vcc_lo, v[23:24], v[25:26]
	s_and_b32 s30, vcc_lo, exec_lo
	s_delay_alu instid0(SALU_CYCLE_1)
	s_or_b32 s30, s0, s30
.LBB1675_265:                           ;   in Loop: Header=BB1675_266 Depth=1
	v_dual_mov_b32 v24, s7 :: v_dual_mov_b32 v23, s6
	s_and_b32 s0, exec_lo, s30
	s_delay_alu instid0(SALU_CYCLE_1) | instskip(NEXT) | instid1(SALU_CYCLE_1)
	s_or_b32 s29, s0, s29
	s_and_not1_b32 exec_lo, exec_lo, s29
	s_cbranch_execz .LBB1675_268
.LBB1675_266:                           ; =>This Inner Loop Header: Depth=1
	s_or_b32 s30, s30, exec_lo
	s_cmp_eq_u64 s[4:5], s[6:7]
	s_cbranch_scc0 .LBB1675_264
; %bb.267:                              ;   in Loop: Header=BB1675_266 Depth=1
	s_mov_b64 s[6:7], s[14:15]
                                        ; implicit-def: $vgpr17_vgpr18
                                        ; implicit-def: $vgpr21_vgpr22
	s_branch .LBB1675_265
.LBB1675_268:
	s_set_inst_prefetch_distance 0x2
	s_or_b32 exec_lo, exec_lo, s29
	v_cmp_gt_i64_e32 vcc_lo, s[14:15], v[23:24]
	s_or_not1_b32 s0, vcc_lo, exec_lo
.LBB1675_269:
	s_or_b32 exec_lo, exec_lo, s28
.LBB1675_270:
	s_delay_alu instid0(SALU_CYCLE_1)
	s_and_b32 s0, s0, exec_lo
	s_or_b32 s25, s25, exec_lo
.LBB1675_271:
	s_or_b32 exec_lo, exec_lo, s27
	s_branch .LBB1675_363
.LBB1675_272:
	s_waitcnt vmcnt(0) lgkmcnt(1)
	v_or_b32_e32 v17, 7, v39
	s_mov_b32 s27, 0
	s_mov_b32 s28, 0
	s_mov_b32 s29, exec_lo
	s_delay_alu instid0(VALU_DEP_1)
	v_cmpx_gt_u32_e64 s12, v17
	s_cbranch_execz .LBB1675_283
; %bb.273:
	s_and_not1_b32 vcc_lo, exec_lo, s26
	s_mov_b32 s0, 0
	s_cbranch_vccnz .LBB1675_282
; %bb.274:
	v_mul_lo_u32 v21, v2, s14
	v_mul_lo_u32 v22, v1, s15
	v_mad_u64_u32 v[17:18], null, v1, s14, 0
	v_mul_lo_u32 v23, v4, s14
	v_mul_lo_u32 v24, v3, s15
	v_mad_u64_u32 v[19:20], null, v3, s14, 0
	s_mov_b32 s0, -1
	s_mov_b32 s28, exec_lo
	s_delay_alu instid0(VALU_DEP_4) | instskip(NEXT) | instid1(VALU_DEP_2)
	v_add3_u32 v18, v18, v22, v21
	v_add3_u32 v20, v20, v24, v23
	s_delay_alu instid0(VALU_DEP_2) | instskip(NEXT) | instid1(VALU_DEP_2)
	v_lshlrev_b64 v[17:18], 3, v[17:18]
	v_lshlrev_b64 v[21:22], 3, v[19:20]
	s_delay_alu instid0(VALU_DEP_2) | instskip(NEXT) | instid1(VALU_DEP_3)
	v_add_co_u32 v19, vcc_lo, s16, v17
	v_add_co_ci_u32_e32 v20, vcc_lo, s17, v18, vcc_lo
	s_delay_alu instid0(VALU_DEP_3) | instskip(NEXT) | instid1(VALU_DEP_4)
	v_add_co_u32 v17, vcc_lo, s16, v21
	v_add_co_ci_u32_e32 v18, vcc_lo, s17, v22, vcc_lo
	s_clause 0x1
	global_load_b64 v[21:22], v[19:20], off
	global_load_b64 v[23:24], v[17:18], off
	s_waitcnt vmcnt(0)
	v_cmpx_eq_u64_e64 v[21:22], v[23:24]
	s_cbranch_execz .LBB1675_281
; %bb.275:
	v_add_co_u32 v17, vcc_lo, v17, 8
	v_add_co_ci_u32_e32 v18, vcc_lo, 0, v18, vcc_lo
	v_add_co_u32 v19, vcc_lo, v19, 8
	v_add_co_ci_u32_e32 v20, vcc_lo, 0, v20, vcc_lo
	s_add_u32 s4, s14, -1
	s_addc_u32 s5, s15, -1
	s_mov_b64 s[6:7], 0
	s_mov_b32 s30, 0
                                        ; implicit-def: $sgpr31
	s_set_inst_prefetch_distance 0x1
	s_branch .LBB1675_278
	.p2align	6
.LBB1675_276:                           ;   in Loop: Header=BB1675_278 Depth=1
	global_load_b64 v[21:22], v[19:20], off
	global_load_b64 v[23:24], v[17:18], off
	v_add_co_u32 v17, vcc_lo, v17, 8
	v_add_co_ci_u32_e32 v18, vcc_lo, 0, v18, vcc_lo
	v_add_co_u32 v19, s0, v19, 8
	s_delay_alu instid0(VALU_DEP_1)
	v_add_co_ci_u32_e64 v20, s0, 0, v20, s0
	s_add_u32 s6, s6, 1
	s_addc_u32 s7, s7, 0
	s_and_not1_b32 s0, s31, exec_lo
	s_waitcnt vmcnt(0)
	v_cmp_ne_u64_e32 vcc_lo, v[21:22], v[23:24]
	s_and_b32 s31, vcc_lo, exec_lo
	s_delay_alu instid0(SALU_CYCLE_1)
	s_or_b32 s31, s0, s31
.LBB1675_277:                           ;   in Loop: Header=BB1675_278 Depth=1
	v_dual_mov_b32 v22, s7 :: v_dual_mov_b32 v21, s6
	s_and_b32 s0, exec_lo, s31
	s_delay_alu instid0(SALU_CYCLE_1) | instskip(NEXT) | instid1(SALU_CYCLE_1)
	s_or_b32 s30, s0, s30
	s_and_not1_b32 exec_lo, exec_lo, s30
	s_cbranch_execz .LBB1675_280
.LBB1675_278:                           ; =>This Inner Loop Header: Depth=1
	s_or_b32 s31, s31, exec_lo
	s_cmp_eq_u64 s[4:5], s[6:7]
	s_cbranch_scc0 .LBB1675_276
; %bb.279:                              ;   in Loop: Header=BB1675_278 Depth=1
	s_mov_b64 s[6:7], s[14:15]
                                        ; implicit-def: $vgpr17_vgpr18
                                        ; implicit-def: $vgpr19_vgpr20
	s_branch .LBB1675_277
.LBB1675_280:
	s_set_inst_prefetch_distance 0x2
	s_or_b32 exec_lo, exec_lo, s30
	v_cmp_gt_i64_e32 vcc_lo, s[14:15], v[21:22]
	s_or_not1_b32 s0, vcc_lo, exec_lo
.LBB1675_281:
	s_or_b32 exec_lo, exec_lo, s28
.LBB1675_282:
	s_delay_alu instid0(SALU_CYCLE_1)
	s_and_b32 s28, s0, exec_lo
.LBB1675_283:
	s_or_b32 exec_lo, exec_lo, s29
	v_or_b32_e32 v17, 6, v39
	s_mov_b32 s29, exec_lo
	s_delay_alu instid0(VALU_DEP_1)
	v_cmpx_gt_u32_e64 s12, v17
	s_cbranch_execz .LBB1675_294
; %bb.284:
	s_and_not1_b32 vcc_lo, exec_lo, s26
	s_mov_b32 s0, 0
	s_cbranch_vccnz .LBB1675_293
; %bb.285:
	v_mul_lo_u32 v21, v8, s14
	v_mul_lo_u32 v22, v7, s15
	v_mad_u64_u32 v[17:18], null, v7, s14, 0
	v_mul_lo_u32 v23, v2, s14
	v_mul_lo_u32 v24, v1, s15
	v_mad_u64_u32 v[19:20], null, v1, s14, 0
	s_mov_b32 s0, -1
	s_mov_b32 s27, exec_lo
	s_delay_alu instid0(VALU_DEP_4) | instskip(NEXT) | instid1(VALU_DEP_2)
	v_add3_u32 v18, v18, v22, v21
	v_add3_u32 v20, v20, v24, v23
	s_delay_alu instid0(VALU_DEP_2) | instskip(NEXT) | instid1(VALU_DEP_2)
	v_lshlrev_b64 v[17:18], 3, v[17:18]
	v_lshlrev_b64 v[21:22], 3, v[19:20]
	s_delay_alu instid0(VALU_DEP_2) | instskip(NEXT) | instid1(VALU_DEP_3)
	v_add_co_u32 v19, vcc_lo, s16, v17
	v_add_co_ci_u32_e32 v20, vcc_lo, s17, v18, vcc_lo
	s_delay_alu instid0(VALU_DEP_3) | instskip(NEXT) | instid1(VALU_DEP_4)
	v_add_co_u32 v17, vcc_lo, s16, v21
	v_add_co_ci_u32_e32 v18, vcc_lo, s17, v22, vcc_lo
	s_clause 0x1
	global_load_b64 v[21:22], v[19:20], off
	global_load_b64 v[23:24], v[17:18], off
	s_waitcnt vmcnt(0)
	v_cmpx_eq_u64_e64 v[21:22], v[23:24]
	s_cbranch_execz .LBB1675_292
; %bb.286:
	v_add_co_u32 v17, vcc_lo, v17, 8
	v_add_co_ci_u32_e32 v18, vcc_lo, 0, v18, vcc_lo
	v_add_co_u32 v19, vcc_lo, v19, 8
	v_add_co_ci_u32_e32 v20, vcc_lo, 0, v20, vcc_lo
	s_add_u32 s4, s14, -1
	s_addc_u32 s5, s15, -1
	s_mov_b64 s[6:7], 0
	s_mov_b32 s30, 0
                                        ; implicit-def: $sgpr31
	s_set_inst_prefetch_distance 0x1
	s_branch .LBB1675_289
	.p2align	6
.LBB1675_287:                           ;   in Loop: Header=BB1675_289 Depth=1
	global_load_b64 v[21:22], v[19:20], off
	global_load_b64 v[23:24], v[17:18], off
	v_add_co_u32 v17, vcc_lo, v17, 8
	v_add_co_ci_u32_e32 v18, vcc_lo, 0, v18, vcc_lo
	v_add_co_u32 v19, s0, v19, 8
	s_delay_alu instid0(VALU_DEP_1)
	v_add_co_ci_u32_e64 v20, s0, 0, v20, s0
	s_add_u32 s6, s6, 1
	s_addc_u32 s7, s7, 0
	s_and_not1_b32 s0, s31, exec_lo
	s_waitcnt vmcnt(0)
	v_cmp_ne_u64_e32 vcc_lo, v[21:22], v[23:24]
	s_and_b32 s31, vcc_lo, exec_lo
	s_delay_alu instid0(SALU_CYCLE_1)
	s_or_b32 s31, s0, s31
.LBB1675_288:                           ;   in Loop: Header=BB1675_289 Depth=1
	v_dual_mov_b32 v22, s7 :: v_dual_mov_b32 v21, s6
	s_and_b32 s0, exec_lo, s31
	s_delay_alu instid0(SALU_CYCLE_1) | instskip(NEXT) | instid1(SALU_CYCLE_1)
	s_or_b32 s30, s0, s30
	s_and_not1_b32 exec_lo, exec_lo, s30
	s_cbranch_execz .LBB1675_291
.LBB1675_289:                           ; =>This Inner Loop Header: Depth=1
	s_or_b32 s31, s31, exec_lo
	s_cmp_eq_u64 s[4:5], s[6:7]
	s_cbranch_scc0 .LBB1675_287
; %bb.290:                              ;   in Loop: Header=BB1675_289 Depth=1
	s_mov_b64 s[6:7], s[14:15]
                                        ; implicit-def: $vgpr17_vgpr18
                                        ; implicit-def: $vgpr19_vgpr20
	s_branch .LBB1675_288
.LBB1675_291:
	s_set_inst_prefetch_distance 0x2
	s_or_b32 exec_lo, exec_lo, s30
	v_cmp_gt_i64_e32 vcc_lo, s[14:15], v[21:22]
	s_or_not1_b32 s0, vcc_lo, exec_lo
.LBB1675_292:
	s_or_b32 exec_lo, exec_lo, s27
.LBB1675_293:
	s_delay_alu instid0(SALU_CYCLE_1)
	s_and_b32 s27, s0, exec_lo
.LBB1675_294:
	s_or_b32 exec_lo, exec_lo, s29
	v_or_b32_e32 v17, 5, v39
	s_mov_b32 s29, 0
	s_mov_b32 s30, 0
	s_mov_b32 s31, exec_lo
	s_delay_alu instid0(VALU_DEP_1)
	v_cmpx_gt_u32_e64 s12, v17
	s_cbranch_execz .LBB1675_305
; %bb.295:
	s_and_not1_b32 vcc_lo, exec_lo, s26
	s_mov_b32 s0, 0
	s_cbranch_vccnz .LBB1675_304
; %bb.296:
	v_mul_lo_u32 v21, v6, s14
	v_mul_lo_u32 v22, v5, s15
	v_mad_u64_u32 v[17:18], null, v5, s14, 0
	v_mul_lo_u32 v23, v8, s14
	v_mul_lo_u32 v24, v7, s15
	v_mad_u64_u32 v[19:20], null, v7, s14, 0
	s_mov_b32 s0, -1
	s_mov_b32 s30, exec_lo
	s_delay_alu instid0(VALU_DEP_4) | instskip(NEXT) | instid1(VALU_DEP_2)
	v_add3_u32 v18, v18, v22, v21
	v_add3_u32 v20, v20, v24, v23
	s_delay_alu instid0(VALU_DEP_2) | instskip(NEXT) | instid1(VALU_DEP_2)
	v_lshlrev_b64 v[17:18], 3, v[17:18]
	v_lshlrev_b64 v[21:22], 3, v[19:20]
	s_delay_alu instid0(VALU_DEP_2) | instskip(NEXT) | instid1(VALU_DEP_3)
	v_add_co_u32 v19, vcc_lo, s16, v17
	v_add_co_ci_u32_e32 v20, vcc_lo, s17, v18, vcc_lo
	s_delay_alu instid0(VALU_DEP_3) | instskip(NEXT) | instid1(VALU_DEP_4)
	v_add_co_u32 v17, vcc_lo, s16, v21
	v_add_co_ci_u32_e32 v18, vcc_lo, s17, v22, vcc_lo
	s_clause 0x1
	global_load_b64 v[21:22], v[19:20], off
	global_load_b64 v[23:24], v[17:18], off
	s_waitcnt vmcnt(0)
	v_cmpx_eq_u64_e64 v[21:22], v[23:24]
	s_cbranch_execz .LBB1675_303
; %bb.297:
	v_add_co_u32 v17, vcc_lo, v17, 8
	v_add_co_ci_u32_e32 v18, vcc_lo, 0, v18, vcc_lo
	v_add_co_u32 v19, vcc_lo, v19, 8
	v_add_co_ci_u32_e32 v20, vcc_lo, 0, v20, vcc_lo
	s_add_u32 s4, s14, -1
	s_addc_u32 s5, s15, -1
	s_mov_b64 s[6:7], 0
	s_mov_b32 s33, 0
                                        ; implicit-def: $sgpr34
	s_set_inst_prefetch_distance 0x1
	s_branch .LBB1675_300
	.p2align	6
.LBB1675_298:                           ;   in Loop: Header=BB1675_300 Depth=1
	global_load_b64 v[21:22], v[19:20], off
	global_load_b64 v[23:24], v[17:18], off
	v_add_co_u32 v17, vcc_lo, v17, 8
	v_add_co_ci_u32_e32 v18, vcc_lo, 0, v18, vcc_lo
	v_add_co_u32 v19, s0, v19, 8
	s_delay_alu instid0(VALU_DEP_1)
	v_add_co_ci_u32_e64 v20, s0, 0, v20, s0
	s_add_u32 s6, s6, 1
	s_addc_u32 s7, s7, 0
	s_and_not1_b32 s0, s34, exec_lo
	s_waitcnt vmcnt(0)
	v_cmp_ne_u64_e32 vcc_lo, v[21:22], v[23:24]
	s_and_b32 s34, vcc_lo, exec_lo
	s_delay_alu instid0(SALU_CYCLE_1)
	s_or_b32 s34, s0, s34
.LBB1675_299:                           ;   in Loop: Header=BB1675_300 Depth=1
	v_dual_mov_b32 v22, s7 :: v_dual_mov_b32 v21, s6
	s_and_b32 s0, exec_lo, s34
	s_delay_alu instid0(SALU_CYCLE_1) | instskip(NEXT) | instid1(SALU_CYCLE_1)
	s_or_b32 s33, s0, s33
	s_and_not1_b32 exec_lo, exec_lo, s33
	s_cbranch_execz .LBB1675_302
.LBB1675_300:                           ; =>This Inner Loop Header: Depth=1
	s_or_b32 s34, s34, exec_lo
	s_cmp_eq_u64 s[4:5], s[6:7]
	s_cbranch_scc0 .LBB1675_298
; %bb.301:                              ;   in Loop: Header=BB1675_300 Depth=1
	s_mov_b64 s[6:7], s[14:15]
                                        ; implicit-def: $vgpr17_vgpr18
                                        ; implicit-def: $vgpr19_vgpr20
	s_branch .LBB1675_299
.LBB1675_302:
	s_set_inst_prefetch_distance 0x2
	s_or_b32 exec_lo, exec_lo, s33
	v_cmp_gt_i64_e32 vcc_lo, s[14:15], v[21:22]
	s_or_not1_b32 s0, vcc_lo, exec_lo
.LBB1675_303:
	s_or_b32 exec_lo, exec_lo, s30
.LBB1675_304:
	s_delay_alu instid0(SALU_CYCLE_1)
	s_and_b32 s30, s0, exec_lo
.LBB1675_305:
	s_or_b32 exec_lo, exec_lo, s31
	v_or_b32_e32 v17, 4, v39
	s_mov_b32 s31, exec_lo
	s_delay_alu instid0(VALU_DEP_1)
	v_cmpx_gt_u32_e64 s12, v17
	s_cbranch_execz .LBB1675_316
; %bb.306:
	s_and_not1_b32 vcc_lo, exec_lo, s26
	s_mov_b32 s0, 0
	s_cbranch_vccnz .LBB1675_315
; %bb.307:
	v_mul_lo_u32 v21, v12, s14
	v_mul_lo_u32 v22, v11, s15
	v_mad_u64_u32 v[17:18], null, v11, s14, 0
	v_mul_lo_u32 v23, v6, s14
	v_mul_lo_u32 v24, v5, s15
	v_mad_u64_u32 v[19:20], null, v5, s14, 0
	s_mov_b32 s0, -1
	s_mov_b32 s29, exec_lo
	s_delay_alu instid0(VALU_DEP_4) | instskip(NEXT) | instid1(VALU_DEP_2)
	v_add3_u32 v18, v18, v22, v21
	v_add3_u32 v20, v20, v24, v23
	s_delay_alu instid0(VALU_DEP_2) | instskip(NEXT) | instid1(VALU_DEP_2)
	v_lshlrev_b64 v[17:18], 3, v[17:18]
	v_lshlrev_b64 v[21:22], 3, v[19:20]
	s_delay_alu instid0(VALU_DEP_2) | instskip(NEXT) | instid1(VALU_DEP_3)
	v_add_co_u32 v19, vcc_lo, s16, v17
	v_add_co_ci_u32_e32 v20, vcc_lo, s17, v18, vcc_lo
	s_delay_alu instid0(VALU_DEP_3) | instskip(NEXT) | instid1(VALU_DEP_4)
	v_add_co_u32 v17, vcc_lo, s16, v21
	v_add_co_ci_u32_e32 v18, vcc_lo, s17, v22, vcc_lo
	s_clause 0x1
	global_load_b64 v[21:22], v[19:20], off
	global_load_b64 v[23:24], v[17:18], off
	s_waitcnt vmcnt(0)
	v_cmpx_eq_u64_e64 v[21:22], v[23:24]
	s_cbranch_execz .LBB1675_314
; %bb.308:
	v_add_co_u32 v17, vcc_lo, v17, 8
	v_add_co_ci_u32_e32 v18, vcc_lo, 0, v18, vcc_lo
	v_add_co_u32 v19, vcc_lo, v19, 8
	v_add_co_ci_u32_e32 v20, vcc_lo, 0, v20, vcc_lo
	s_add_u32 s4, s14, -1
	s_addc_u32 s5, s15, -1
	s_mov_b64 s[6:7], 0
	s_mov_b32 s33, 0
                                        ; implicit-def: $sgpr34
	s_set_inst_prefetch_distance 0x1
	s_branch .LBB1675_311
	.p2align	6
.LBB1675_309:                           ;   in Loop: Header=BB1675_311 Depth=1
	global_load_b64 v[21:22], v[19:20], off
	global_load_b64 v[23:24], v[17:18], off
	v_add_co_u32 v17, vcc_lo, v17, 8
	v_add_co_ci_u32_e32 v18, vcc_lo, 0, v18, vcc_lo
	v_add_co_u32 v19, s0, v19, 8
	s_delay_alu instid0(VALU_DEP_1)
	v_add_co_ci_u32_e64 v20, s0, 0, v20, s0
	s_add_u32 s6, s6, 1
	s_addc_u32 s7, s7, 0
	s_and_not1_b32 s0, s34, exec_lo
	s_waitcnt vmcnt(0)
	v_cmp_ne_u64_e32 vcc_lo, v[21:22], v[23:24]
	s_and_b32 s34, vcc_lo, exec_lo
	s_delay_alu instid0(SALU_CYCLE_1)
	s_or_b32 s34, s0, s34
.LBB1675_310:                           ;   in Loop: Header=BB1675_311 Depth=1
	v_dual_mov_b32 v22, s7 :: v_dual_mov_b32 v21, s6
	s_and_b32 s0, exec_lo, s34
	s_delay_alu instid0(SALU_CYCLE_1) | instskip(NEXT) | instid1(SALU_CYCLE_1)
	s_or_b32 s33, s0, s33
	s_and_not1_b32 exec_lo, exec_lo, s33
	s_cbranch_execz .LBB1675_313
.LBB1675_311:                           ; =>This Inner Loop Header: Depth=1
	s_or_b32 s34, s34, exec_lo
	s_cmp_eq_u64 s[4:5], s[6:7]
	s_cbranch_scc0 .LBB1675_309
; %bb.312:                              ;   in Loop: Header=BB1675_311 Depth=1
	s_mov_b64 s[6:7], s[14:15]
                                        ; implicit-def: $vgpr17_vgpr18
                                        ; implicit-def: $vgpr19_vgpr20
	s_branch .LBB1675_310
.LBB1675_313:
	s_set_inst_prefetch_distance 0x2
	s_or_b32 exec_lo, exec_lo, s33
	v_cmp_gt_i64_e32 vcc_lo, s[14:15], v[21:22]
	s_or_not1_b32 s0, vcc_lo, exec_lo
.LBB1675_314:
	s_or_b32 exec_lo, exec_lo, s29
.LBB1675_315:
	s_delay_alu instid0(SALU_CYCLE_1)
	s_and_b32 s29, s0, exec_lo
.LBB1675_316:
	s_or_b32 exec_lo, exec_lo, s31
	v_or_b32_e32 v17, 3, v39
	s_mov_b32 s33, 0
	s_mov_b32 s31, 0
	s_mov_b32 s34, exec_lo
	s_delay_alu instid0(VALU_DEP_1)
	v_cmpx_gt_u32_e64 s12, v17
	s_cbranch_execz .LBB1675_327
; %bb.317:
	s_and_not1_b32 vcc_lo, exec_lo, s26
	s_mov_b32 s0, 0
	s_cbranch_vccnz .LBB1675_326
; %bb.318:
	v_mul_lo_u32 v21, v10, s14
	v_mul_lo_u32 v22, v9, s15
	v_mad_u64_u32 v[17:18], null, v9, s14, 0
	v_mul_lo_u32 v23, v12, s14
	v_mul_lo_u32 v24, v11, s15
	v_mad_u64_u32 v[19:20], null, v11, s14, 0
	s_mov_b32 s0, -1
	s_mov_b32 s31, exec_lo
	s_delay_alu instid0(VALU_DEP_4) | instskip(NEXT) | instid1(VALU_DEP_2)
	v_add3_u32 v18, v18, v22, v21
	v_add3_u32 v20, v20, v24, v23
	s_delay_alu instid0(VALU_DEP_2) | instskip(NEXT) | instid1(VALU_DEP_2)
	v_lshlrev_b64 v[17:18], 3, v[17:18]
	v_lshlrev_b64 v[21:22], 3, v[19:20]
	s_delay_alu instid0(VALU_DEP_2) | instskip(NEXT) | instid1(VALU_DEP_3)
	v_add_co_u32 v19, vcc_lo, s16, v17
	v_add_co_ci_u32_e32 v20, vcc_lo, s17, v18, vcc_lo
	s_delay_alu instid0(VALU_DEP_3) | instskip(NEXT) | instid1(VALU_DEP_4)
	v_add_co_u32 v17, vcc_lo, s16, v21
	v_add_co_ci_u32_e32 v18, vcc_lo, s17, v22, vcc_lo
	s_clause 0x1
	global_load_b64 v[21:22], v[19:20], off
	global_load_b64 v[23:24], v[17:18], off
	s_waitcnt vmcnt(0)
	v_cmpx_eq_u64_e64 v[21:22], v[23:24]
	s_cbranch_execz .LBB1675_325
; %bb.319:
	v_add_co_u32 v17, vcc_lo, v17, 8
	v_add_co_ci_u32_e32 v18, vcc_lo, 0, v18, vcc_lo
	v_add_co_u32 v19, vcc_lo, v19, 8
	v_add_co_ci_u32_e32 v20, vcc_lo, 0, v20, vcc_lo
	s_add_u32 s4, s14, -1
	s_addc_u32 s5, s15, -1
	s_mov_b64 s[6:7], 0
	s_mov_b32 s35, 0
                                        ; implicit-def: $sgpr36
	s_set_inst_prefetch_distance 0x1
	s_branch .LBB1675_322
	.p2align	6
.LBB1675_320:                           ;   in Loop: Header=BB1675_322 Depth=1
	global_load_b64 v[21:22], v[19:20], off
	global_load_b64 v[23:24], v[17:18], off
	v_add_co_u32 v17, vcc_lo, v17, 8
	v_add_co_ci_u32_e32 v18, vcc_lo, 0, v18, vcc_lo
	v_add_co_u32 v19, s0, v19, 8
	s_delay_alu instid0(VALU_DEP_1)
	v_add_co_ci_u32_e64 v20, s0, 0, v20, s0
	s_add_u32 s6, s6, 1
	s_addc_u32 s7, s7, 0
	s_and_not1_b32 s0, s36, exec_lo
	s_waitcnt vmcnt(0)
	v_cmp_ne_u64_e32 vcc_lo, v[21:22], v[23:24]
	s_and_b32 s36, vcc_lo, exec_lo
	s_delay_alu instid0(SALU_CYCLE_1)
	s_or_b32 s36, s0, s36
.LBB1675_321:                           ;   in Loop: Header=BB1675_322 Depth=1
	v_dual_mov_b32 v22, s7 :: v_dual_mov_b32 v21, s6
	s_and_b32 s0, exec_lo, s36
	s_delay_alu instid0(SALU_CYCLE_1) | instskip(NEXT) | instid1(SALU_CYCLE_1)
	s_or_b32 s35, s0, s35
	s_and_not1_b32 exec_lo, exec_lo, s35
	s_cbranch_execz .LBB1675_324
.LBB1675_322:                           ; =>This Inner Loop Header: Depth=1
	s_or_b32 s36, s36, exec_lo
	s_cmp_eq_u64 s[4:5], s[6:7]
	s_cbranch_scc0 .LBB1675_320
; %bb.323:                              ;   in Loop: Header=BB1675_322 Depth=1
	s_mov_b64 s[6:7], s[14:15]
                                        ; implicit-def: $vgpr17_vgpr18
                                        ; implicit-def: $vgpr19_vgpr20
	s_branch .LBB1675_321
.LBB1675_324:
	s_set_inst_prefetch_distance 0x2
	s_or_b32 exec_lo, exec_lo, s35
	v_cmp_gt_i64_e32 vcc_lo, s[14:15], v[21:22]
	s_or_not1_b32 s0, vcc_lo, exec_lo
.LBB1675_325:
	s_or_b32 exec_lo, exec_lo, s31
.LBB1675_326:
	s_delay_alu instid0(SALU_CYCLE_1)
	s_and_b32 s31, s0, exec_lo
.LBB1675_327:
	s_or_b32 exec_lo, exec_lo, s34
	v_or_b32_e32 v17, 2, v39
	s_mov_b32 s34, exec_lo
	s_delay_alu instid0(VALU_DEP_1)
	v_cmpx_gt_u32_e64 s12, v17
	s_cbranch_execz .LBB1675_338
; %bb.328:
	s_and_not1_b32 vcc_lo, exec_lo, s26
	s_mov_b32 s0, 0
	s_cbranch_vccnz .LBB1675_337
; %bb.329:
	v_mul_lo_u32 v21, v16, s14
	v_mul_lo_u32 v22, v15, s15
	v_mad_u64_u32 v[17:18], null, v15, s14, 0
	v_mul_lo_u32 v23, v10, s14
	v_mul_lo_u32 v24, v9, s15
	v_mad_u64_u32 v[19:20], null, v9, s14, 0
	s_mov_b32 s0, -1
	s_mov_b32 s33, exec_lo
	s_delay_alu instid0(VALU_DEP_4) | instskip(NEXT) | instid1(VALU_DEP_2)
	v_add3_u32 v18, v18, v22, v21
	v_add3_u32 v20, v20, v24, v23
	s_delay_alu instid0(VALU_DEP_2) | instskip(NEXT) | instid1(VALU_DEP_2)
	v_lshlrev_b64 v[17:18], 3, v[17:18]
	v_lshlrev_b64 v[21:22], 3, v[19:20]
	s_delay_alu instid0(VALU_DEP_2) | instskip(NEXT) | instid1(VALU_DEP_3)
	v_add_co_u32 v19, vcc_lo, s16, v17
	v_add_co_ci_u32_e32 v20, vcc_lo, s17, v18, vcc_lo
	s_delay_alu instid0(VALU_DEP_3) | instskip(NEXT) | instid1(VALU_DEP_4)
	v_add_co_u32 v17, vcc_lo, s16, v21
	v_add_co_ci_u32_e32 v18, vcc_lo, s17, v22, vcc_lo
	s_clause 0x1
	global_load_b64 v[21:22], v[19:20], off
	global_load_b64 v[23:24], v[17:18], off
	s_waitcnt vmcnt(0)
	v_cmpx_eq_u64_e64 v[21:22], v[23:24]
	s_cbranch_execz .LBB1675_336
; %bb.330:
	v_add_co_u32 v17, vcc_lo, v17, 8
	v_add_co_ci_u32_e32 v18, vcc_lo, 0, v18, vcc_lo
	v_add_co_u32 v19, vcc_lo, v19, 8
	v_add_co_ci_u32_e32 v20, vcc_lo, 0, v20, vcc_lo
	s_add_u32 s4, s14, -1
	s_addc_u32 s5, s15, -1
	s_mov_b64 s[6:7], 0
	s_mov_b32 s35, 0
                                        ; implicit-def: $sgpr36
	s_set_inst_prefetch_distance 0x1
	s_branch .LBB1675_333
	.p2align	6
.LBB1675_331:                           ;   in Loop: Header=BB1675_333 Depth=1
	global_load_b64 v[21:22], v[19:20], off
	global_load_b64 v[23:24], v[17:18], off
	v_add_co_u32 v17, vcc_lo, v17, 8
	v_add_co_ci_u32_e32 v18, vcc_lo, 0, v18, vcc_lo
	v_add_co_u32 v19, s0, v19, 8
	s_delay_alu instid0(VALU_DEP_1)
	v_add_co_ci_u32_e64 v20, s0, 0, v20, s0
	s_add_u32 s6, s6, 1
	s_addc_u32 s7, s7, 0
	s_and_not1_b32 s0, s36, exec_lo
	s_waitcnt vmcnt(0)
	v_cmp_ne_u64_e32 vcc_lo, v[21:22], v[23:24]
	s_and_b32 s36, vcc_lo, exec_lo
	s_delay_alu instid0(SALU_CYCLE_1)
	s_or_b32 s36, s0, s36
.LBB1675_332:                           ;   in Loop: Header=BB1675_333 Depth=1
	v_dual_mov_b32 v22, s7 :: v_dual_mov_b32 v21, s6
	s_and_b32 s0, exec_lo, s36
	s_delay_alu instid0(SALU_CYCLE_1) | instskip(NEXT) | instid1(SALU_CYCLE_1)
	s_or_b32 s35, s0, s35
	s_and_not1_b32 exec_lo, exec_lo, s35
	s_cbranch_execz .LBB1675_335
.LBB1675_333:                           ; =>This Inner Loop Header: Depth=1
	s_or_b32 s36, s36, exec_lo
	s_cmp_eq_u64 s[4:5], s[6:7]
	s_cbranch_scc0 .LBB1675_331
; %bb.334:                              ;   in Loop: Header=BB1675_333 Depth=1
	s_mov_b64 s[6:7], s[14:15]
                                        ; implicit-def: $vgpr17_vgpr18
                                        ; implicit-def: $vgpr19_vgpr20
	s_branch .LBB1675_332
.LBB1675_335:
	s_set_inst_prefetch_distance 0x2
	s_or_b32 exec_lo, exec_lo, s35
	v_cmp_gt_i64_e32 vcc_lo, s[14:15], v[21:22]
	s_or_not1_b32 s0, vcc_lo, exec_lo
.LBB1675_336:
	s_or_b32 exec_lo, exec_lo, s33
.LBB1675_337:
	s_delay_alu instid0(SALU_CYCLE_1)
	s_and_b32 s33, s0, exec_lo
.LBB1675_338:
	s_or_b32 exec_lo, exec_lo, s34
	v_or_b32_e32 v17, 1, v39
	s_mov_b32 s0, 0
	s_mov_b32 s34, exec_lo
	s_delay_alu instid0(VALU_DEP_1)
	v_cmpx_gt_u32_e64 s12, v17
	s_cbranch_execz .LBB1675_349
; %bb.339:
	s_and_not1_b32 vcc_lo, exec_lo, s26
	s_cbranch_vccnz .LBB1675_348
; %bb.340:
	v_mul_lo_u32 v21, v14, s14
	v_mul_lo_u32 v22, v13, s15
	v_mad_u64_u32 v[17:18], null, v13, s14, 0
	v_mul_lo_u32 v23, v16, s14
	v_mul_lo_u32 v24, v15, s15
	v_mad_u64_u32 v[19:20], null, v15, s14, 0
	s_mov_b32 s0, -1
	s_mov_b32 s35, exec_lo
	s_delay_alu instid0(VALU_DEP_4) | instskip(NEXT) | instid1(VALU_DEP_2)
	v_add3_u32 v18, v18, v22, v21
	v_add3_u32 v20, v20, v24, v23
	s_delay_alu instid0(VALU_DEP_2) | instskip(NEXT) | instid1(VALU_DEP_2)
	v_lshlrev_b64 v[17:18], 3, v[17:18]
	v_lshlrev_b64 v[21:22], 3, v[19:20]
	s_delay_alu instid0(VALU_DEP_2) | instskip(NEXT) | instid1(VALU_DEP_3)
	v_add_co_u32 v19, vcc_lo, s16, v17
	v_add_co_ci_u32_e32 v20, vcc_lo, s17, v18, vcc_lo
	s_delay_alu instid0(VALU_DEP_3) | instskip(NEXT) | instid1(VALU_DEP_4)
	v_add_co_u32 v17, vcc_lo, s16, v21
	v_add_co_ci_u32_e32 v18, vcc_lo, s17, v22, vcc_lo
	s_clause 0x1
	global_load_b64 v[21:22], v[19:20], off
	global_load_b64 v[23:24], v[17:18], off
	s_waitcnt vmcnt(0)
	v_cmpx_eq_u64_e64 v[21:22], v[23:24]
	s_cbranch_execz .LBB1675_347
; %bb.341:
	v_add_co_u32 v17, vcc_lo, v17, 8
	v_add_co_ci_u32_e32 v18, vcc_lo, 0, v18, vcc_lo
	v_add_co_u32 v19, vcc_lo, v19, 8
	v_add_co_ci_u32_e32 v20, vcc_lo, 0, v20, vcc_lo
	s_add_u32 s4, s14, -1
	s_addc_u32 s5, s15, -1
	s_mov_b64 s[6:7], 0
	s_mov_b32 s36, 0
                                        ; implicit-def: $sgpr37
	s_set_inst_prefetch_distance 0x1
	s_branch .LBB1675_344
	.p2align	6
.LBB1675_342:                           ;   in Loop: Header=BB1675_344 Depth=1
	global_load_b64 v[21:22], v[19:20], off
	global_load_b64 v[23:24], v[17:18], off
	v_add_co_u32 v17, vcc_lo, v17, 8
	v_add_co_ci_u32_e32 v18, vcc_lo, 0, v18, vcc_lo
	v_add_co_u32 v19, s0, v19, 8
	s_delay_alu instid0(VALU_DEP_1)
	v_add_co_ci_u32_e64 v20, s0, 0, v20, s0
	s_add_u32 s6, s6, 1
	s_addc_u32 s7, s7, 0
	s_and_not1_b32 s0, s37, exec_lo
	s_waitcnt vmcnt(0)
	v_cmp_ne_u64_e32 vcc_lo, v[21:22], v[23:24]
	s_and_b32 s37, vcc_lo, exec_lo
	s_delay_alu instid0(SALU_CYCLE_1)
	s_or_b32 s37, s0, s37
.LBB1675_343:                           ;   in Loop: Header=BB1675_344 Depth=1
	v_dual_mov_b32 v22, s7 :: v_dual_mov_b32 v21, s6
	s_and_b32 s0, exec_lo, s37
	s_delay_alu instid0(SALU_CYCLE_1) | instskip(NEXT) | instid1(SALU_CYCLE_1)
	s_or_b32 s36, s0, s36
	s_and_not1_b32 exec_lo, exec_lo, s36
	s_cbranch_execz .LBB1675_346
.LBB1675_344:                           ; =>This Inner Loop Header: Depth=1
	s_or_b32 s37, s37, exec_lo
	s_cmp_eq_u64 s[4:5], s[6:7]
	s_cbranch_scc0 .LBB1675_342
; %bb.345:                              ;   in Loop: Header=BB1675_344 Depth=1
	s_mov_b64 s[6:7], s[14:15]
                                        ; implicit-def: $vgpr17_vgpr18
                                        ; implicit-def: $vgpr19_vgpr20
	s_branch .LBB1675_343
.LBB1675_346:
	s_set_inst_prefetch_distance 0x2
	s_or_b32 exec_lo, exec_lo, s36
	v_cmp_gt_i64_e32 vcc_lo, s[14:15], v[21:22]
	s_or_not1_b32 s0, vcc_lo, exec_lo
.LBB1675_347:
	s_or_b32 exec_lo, exec_lo, s35
.LBB1675_348:
	s_delay_alu instid0(SALU_CYCLE_1)
	s_and_b32 s0, s0, exec_lo
.LBB1675_349:
	s_or_b32 exec_lo, exec_lo, s34
	v_cndmask_b32_e64 v18, 0, 1, s31
	v_cndmask_b32_e64 v19, 0, 1, s30
	;; [unrolled: 1-line block ×7, first 2 shown]
	v_lshlrev_b16 v19, 8, v19
	v_lshlrev_b16 v20, 8, v20
	v_lshlrev_b16 v21, 8, v21
	v_lshlrev_b16 v18, 8, v18
	s_waitcnt lgkmcnt(0)
	v_or_b32_e32 v19, v22, v19
	v_or_b32_e32 v20, v23, v20
	;; [unrolled: 1-line block ×4, first 2 shown]
	s_barrier
	v_and_b32_e32 v18, 0xffff, v19
	v_lshlrev_b32_e32 v19, 16, v20
	v_and_b32_e32 v21, 0xffff, v21
	v_lshlrev_b32_e32 v17, 16, v17
	buffer_gl0_inv
                                        ; implicit-def: $sgpr0
	v_or_b32_e32 v20, v18, v19
	v_or_b32_e32 v19, v21, v17
	s_and_saveexec_b32 s27, s3
	s_cbranch_execz .LBB1675_362
; %bb.350:
	s_mov_b32 s0, 0
	s_mov_b32 s3, exec_lo
	v_cmpx_gt_u32_e64 s12, v39
	s_cbranch_execz .LBB1675_361
; %bb.351:
	s_and_not1_b32 vcc_lo, exec_lo, s26
	s_cbranch_vccnz .LBB1675_360
; %bb.352:
	v_add_nc_u32_e32 v17, -8, v39
	v_mul_lo_u32 v25, v14, s14
	v_mul_lo_u32 v26, v13, s15
	s_mov_b32 s0, -1
	ds_load_b64 v[17:18], v17
	s_waitcnt lgkmcnt(0)
	v_mul_lo_u32 v23, v18, s14
	v_mul_lo_u32 v24, v17, s15
	v_mad_u64_u32 v[21:22], null, v17, s14, 0
	v_mad_u64_u32 v[17:18], null, v13, s14, 0
	s_delay_alu instid0(VALU_DEP_2) | instskip(NEXT) | instid1(VALU_DEP_2)
	v_add3_u32 v22, v22, v24, v23
	v_add3_u32 v18, v18, v26, v25
	s_delay_alu instid0(VALU_DEP_2) | instskip(NEXT) | instid1(VALU_DEP_2)
	v_lshlrev_b64 v[21:22], 3, v[21:22]
	v_lshlrev_b64 v[17:18], 3, v[17:18]
	s_delay_alu instid0(VALU_DEP_2) | instskip(NEXT) | instid1(VALU_DEP_3)
	v_add_co_u32 v21, vcc_lo, s16, v21
	v_add_co_ci_u32_e32 v22, vcc_lo, s17, v22, vcc_lo
	s_delay_alu instid0(VALU_DEP_3) | instskip(NEXT) | instid1(VALU_DEP_4)
	v_add_co_u32 v17, vcc_lo, s16, v17
	v_add_co_ci_u32_e32 v18, vcc_lo, s17, v18, vcc_lo
	s_clause 0x1
	global_load_b64 v[23:24], v[21:22], off
	global_load_b64 v[25:26], v[17:18], off
	s_mov_b32 s16, exec_lo
	s_waitcnt vmcnt(0)
	v_cmpx_eq_u64_e64 v[23:24], v[25:26]
	s_cbranch_execz .LBB1675_359
; %bb.353:
	v_add_co_u32 v17, vcc_lo, v17, 8
	v_add_co_ci_u32_e32 v18, vcc_lo, 0, v18, vcc_lo
	v_add_co_u32 v21, vcc_lo, v21, 8
	v_add_co_ci_u32_e32 v22, vcc_lo, 0, v22, vcc_lo
	s_add_u32 s4, s14, -1
	s_addc_u32 s5, s15, -1
	s_mov_b64 s[6:7], 0
	s_mov_b32 s17, 0
                                        ; implicit-def: $sgpr26
	s_set_inst_prefetch_distance 0x1
	s_branch .LBB1675_356
	.p2align	6
.LBB1675_354:                           ;   in Loop: Header=BB1675_356 Depth=1
	global_load_b64 v[23:24], v[21:22], off
	global_load_b64 v[25:26], v[17:18], off
	v_add_co_u32 v17, vcc_lo, v17, 8
	v_add_co_ci_u32_e32 v18, vcc_lo, 0, v18, vcc_lo
	v_add_co_u32 v21, s0, v21, 8
	s_delay_alu instid0(VALU_DEP_1)
	v_add_co_ci_u32_e64 v22, s0, 0, v22, s0
	s_add_u32 s6, s6, 1
	s_addc_u32 s7, s7, 0
	s_and_not1_b32 s0, s26, exec_lo
	s_waitcnt vmcnt(0)
	v_cmp_ne_u64_e32 vcc_lo, v[23:24], v[25:26]
	s_and_b32 s26, vcc_lo, exec_lo
	s_delay_alu instid0(SALU_CYCLE_1)
	s_or_b32 s26, s0, s26
.LBB1675_355:                           ;   in Loop: Header=BB1675_356 Depth=1
	v_dual_mov_b32 v24, s7 :: v_dual_mov_b32 v23, s6
	s_and_b32 s0, exec_lo, s26
	s_delay_alu instid0(SALU_CYCLE_1) | instskip(NEXT) | instid1(SALU_CYCLE_1)
	s_or_b32 s17, s0, s17
	s_and_not1_b32 exec_lo, exec_lo, s17
	s_cbranch_execz .LBB1675_358
.LBB1675_356:                           ; =>This Inner Loop Header: Depth=1
	s_or_b32 s26, s26, exec_lo
	s_cmp_eq_u64 s[4:5], s[6:7]
	s_cbranch_scc0 .LBB1675_354
; %bb.357:                              ;   in Loop: Header=BB1675_356 Depth=1
	s_mov_b64 s[6:7], s[14:15]
                                        ; implicit-def: $vgpr17_vgpr18
                                        ; implicit-def: $vgpr21_vgpr22
	s_branch .LBB1675_355
.LBB1675_358:
	s_set_inst_prefetch_distance 0x2
	s_or_b32 exec_lo, exec_lo, s17
	v_cmp_gt_i64_e32 vcc_lo, s[14:15], v[23:24]
	s_or_not1_b32 s0, vcc_lo, exec_lo
.LBB1675_359:
	s_or_b32 exec_lo, exec_lo, s16
.LBB1675_360:
	s_delay_alu instid0(SALU_CYCLE_1)
	s_and_b32 s0, s0, exec_lo
.LBB1675_361:
	s_or_b32 exec_lo, exec_lo, s3
	s_delay_alu instid0(SALU_CYCLE_1)
	s_and_b32 s0, s0, exec_lo
	s_or_b32 s25, s25, exec_lo
.LBB1675_362:
	s_or_b32 exec_lo, exec_lo, s27
.LBB1675_363:
	s_and_saveexec_b32 s3, s25
	s_cbranch_execz .LBB1675_365
; %bb.364:
	s_waitcnt vmcnt(0) lgkmcnt(0)
	v_and_b32_e32 v17, 0xffffff00, v19
	v_cndmask_b32_e64 v18, 0, 1, s0
	s_delay_alu instid0(VALU_DEP_1) | instskip(NEXT) | instid1(VALU_DEP_1)
	v_or_b32_e32 v17, v18, v17
	v_and_b32_e32 v17, 0xffff, v17
	s_delay_alu instid0(VALU_DEP_1)
	v_and_or_b32 v19, 0xffff0000, v19, v17
.LBB1675_365:
	s_or_b32 exec_lo, exec_lo, s3
	s_delay_alu instid0(SALU_CYCLE_1)
	s_and_not1_b32 vcc_lo, exec_lo, s1
	s_cbranch_vccnz .LBB1675_367
; %bb.366:
	v_cmp_gt_u32_e32 vcc_lo, s12, v39
	s_waitcnt vmcnt(0) lgkmcnt(0)
	v_or_b32_e32 v18, 1, v39
	v_and_b32_e32 v21, 0xffffff00, v20
	v_or_b32_e32 v22, 2, v39
	v_cndmask_b32_e32 v17, 0, v19, vcc_lo
	s_delay_alu instid0(VALU_DEP_4) | instskip(SKIP_1) | instid1(VALU_DEP_4)
	v_cmp_gt_u32_e32 vcc_lo, s12, v18
	v_or_b32_e32 v18, 4, v39
	v_cmp_gt_u32_e64 s0, s12, v22
	v_or_b32_e32 v22, 3, v39
	v_and_b32_e32 v17, 0xff, v17
	s_delay_alu instid0(VALU_DEP_2) | instskip(NEXT) | instid1(VALU_DEP_2)
	v_cmp_gt_u32_e64 s1, s12, v22
	v_cndmask_b32_e32 v17, v17, v19, vcc_lo
	v_cmp_gt_u32_e32 vcc_lo, s12, v18
	v_cndmask_b32_e32 v18, v21, v20, vcc_lo
	v_or_b32_e32 v21, 5, v39
	s_delay_alu instid0(VALU_DEP_2) | instskip(SKIP_1) | instid1(VALU_DEP_1)
	v_and_b32_e32 v18, 0xffff00ff, v18
	v_and_b32_e32 v17, 0xffff, v17
	v_cndmask_b32_e64 v17, v17, v19, s0
	s_delay_alu instid0(VALU_DEP_4) | instskip(SKIP_1) | instid1(VALU_DEP_3)
	v_cmp_gt_u32_e64 s0, s12, v21
	v_or_b32_e32 v21, 6, v39
	v_and_b32_e32 v17, 0xffffff, v17
	s_delay_alu instid0(VALU_DEP_3) | instskip(NEXT) | instid1(VALU_DEP_2)
	v_cndmask_b32_e64 v18, v18, v20, s0
	v_cndmask_b32_e64 v17, v17, v19, s1
	s_delay_alu instid0(VALU_DEP_1) | instskip(SKIP_2) | instid1(VALU_DEP_3)
	v_dual_cndmask_b32 v17, v17, v19 :: v_dual_and_b32 v18, 0xff00ffff, v18
	v_cmp_gt_u32_e32 vcc_lo, s12, v21
	v_or_b32_e32 v21, 7, v39
	v_cndmask_b32_e64 v17, v17, v19, s0
	s_delay_alu instid0(VALU_DEP_1) | instskip(NEXT) | instid1(VALU_DEP_1)
	v_dual_cndmask_b32 v18, v18, v20 :: v_dual_cndmask_b32 v17, v17, v19
	v_and_b32_e32 v18, 0xffffff, v18
	s_delay_alu instid0(VALU_DEP_4) | instskip(NEXT) | instid1(VALU_DEP_2)
	v_cmp_gt_u32_e32 vcc_lo, s12, v21
	v_dual_cndmask_b32 v20, v18, v20 :: v_dual_cndmask_b32 v19, v17, v19
.LBB1675_367:
	s_delay_alu instid0(VALU_DEP_1) | instskip(SKIP_1) | instid1(VALU_DEP_2)
	v_and_b32_e32 v28, 0xff, v19
	s_waitcnt vmcnt(0) lgkmcnt(0)
	v_alignbit_b32 v17, v20, v19, 24
	v_bfe_u32 v30, v19, 8, 8
	v_bfe_u32 v32, v19, 16, 8
	v_and_b32_e32 v36, 0xff, v20
	v_bfe_u32 v38, v20, 8, 8
	v_and_b32_e32 v34, 0xff, v17
	v_add_nc_u32_e32 v17, v30, v28
	v_mbcnt_lo_u32_b32 v42, -1, 0
	v_bfe_u32 v41, v20, 16, 8
	v_lshrrev_b32_e32 v40, 24, v20
	v_lshrrev_b32_e32 v43, 5, v0
	v_add3_u32 v17, v17, v32, v34
	v_and_b32_e32 v18, 15, v42
	v_and_b32_e32 v21, 16, v42
	s_and_b32 vcc_lo, exec_lo, s24
	s_mov_b32 s7, -1
	v_add3_u32 v17, v17, v36, v38
	v_cmp_eq_u32_e64 s3, 0, v18
	v_cmp_lt_u32_e64 s0, 1, v18
	v_cmp_lt_u32_e64 s4, 3, v18
	;; [unrolled: 1-line block ×3, first 2 shown]
	v_add3_u32 v44, v17, v41, v40
	v_or_b32_e32 v17, 31, v0
	v_cmp_eq_u32_e64 s6, 0, v21
	s_barrier
	buffer_gl0_inv
	v_cmp_eq_u32_e64 s5, v17, v0
	s_cbranch_vccz .LBB1675_398
; %bb.368:
	v_mov_b32_dpp v17, v44 row_shr:1 row_mask:0xf bank_mask:0xf
	s_delay_alu instid0(VALU_DEP_1) | instskip(NEXT) | instid1(VALU_DEP_1)
	v_cndmask_b32_e64 v17, v17, 0, s3
	v_add_nc_u32_e32 v17, v17, v44
	s_delay_alu instid0(VALU_DEP_1) | instskip(NEXT) | instid1(VALU_DEP_1)
	v_mov_b32_dpp v18, v17 row_shr:2 row_mask:0xf bank_mask:0xf
	v_cndmask_b32_e64 v18, 0, v18, s0
	s_delay_alu instid0(VALU_DEP_1) | instskip(NEXT) | instid1(VALU_DEP_1)
	v_add_nc_u32_e32 v17, v17, v18
	v_mov_b32_dpp v18, v17 row_shr:4 row_mask:0xf bank_mask:0xf
	s_delay_alu instid0(VALU_DEP_1) | instskip(NEXT) | instid1(VALU_DEP_1)
	v_cndmask_b32_e64 v18, 0, v18, s4
	v_add_nc_u32_e32 v17, v17, v18
	s_delay_alu instid0(VALU_DEP_1) | instskip(NEXT) | instid1(VALU_DEP_1)
	v_mov_b32_dpp v18, v17 row_shr:8 row_mask:0xf bank_mask:0xf
	v_cndmask_b32_e64 v18, 0, v18, s1
	s_delay_alu instid0(VALU_DEP_1) | instskip(SKIP_3) | instid1(VALU_DEP_1)
	v_add_nc_u32_e32 v17, v17, v18
	ds_swizzle_b32 v18, v17 offset:swizzle(BROADCAST,32,15)
	s_waitcnt lgkmcnt(0)
	v_cndmask_b32_e64 v18, v18, 0, s6
	v_add_nc_u32_e32 v17, v17, v18
	s_and_saveexec_b32 s7, s5
	s_cbranch_execz .LBB1675_370
; %bb.369:
	v_lshlrev_b32_e32 v18, 2, v43
	ds_store_b32 v18, v17
.LBB1675_370:
	s_or_b32 exec_lo, exec_lo, s7
	s_delay_alu instid0(SALU_CYCLE_1)
	s_mov_b32 s7, exec_lo
	s_waitcnt lgkmcnt(0)
	s_barrier
	buffer_gl0_inv
	v_cmpx_gt_u32_e32 16, v0
	s_cbranch_execz .LBB1675_372
; %bb.371:
	v_lshlrev_b32_e32 v18, 2, v0
	ds_load_b32 v21, v18
	s_waitcnt lgkmcnt(0)
	v_mov_b32_dpp v22, v21 row_shr:1 row_mask:0xf bank_mask:0xf
	s_delay_alu instid0(VALU_DEP_1) | instskip(NEXT) | instid1(VALU_DEP_1)
	v_cndmask_b32_e64 v22, v22, 0, s3
	v_add_nc_u32_e32 v21, v22, v21
	s_delay_alu instid0(VALU_DEP_1) | instskip(NEXT) | instid1(VALU_DEP_1)
	v_mov_b32_dpp v22, v21 row_shr:2 row_mask:0xf bank_mask:0xf
	v_cndmask_b32_e64 v22, 0, v22, s0
	s_delay_alu instid0(VALU_DEP_1) | instskip(NEXT) | instid1(VALU_DEP_1)
	v_add_nc_u32_e32 v21, v21, v22
	v_mov_b32_dpp v22, v21 row_shr:4 row_mask:0xf bank_mask:0xf
	s_delay_alu instid0(VALU_DEP_1) | instskip(NEXT) | instid1(VALU_DEP_1)
	v_cndmask_b32_e64 v22, 0, v22, s4
	v_add_nc_u32_e32 v21, v21, v22
	s_delay_alu instid0(VALU_DEP_1) | instskip(NEXT) | instid1(VALU_DEP_1)
	v_mov_b32_dpp v22, v21 row_shr:8 row_mask:0xf bank_mask:0xf
	v_cndmask_b32_e64 v22, 0, v22, s1
	s_delay_alu instid0(VALU_DEP_1)
	v_add_nc_u32_e32 v21, v21, v22
	ds_store_b32 v18, v21
.LBB1675_372:
	s_or_b32 exec_lo, exec_lo, s7
	v_cmp_gt_u32_e32 vcc_lo, 32, v0
	s_mov_b32 s12, exec_lo
	s_waitcnt lgkmcnt(0)
	s_barrier
	buffer_gl0_inv
                                        ; implicit-def: $vgpr27
	v_cmpx_lt_u32_e32 31, v0
	s_cbranch_execz .LBB1675_374
; %bb.373:
	v_lshl_add_u32 v18, v43, 2, -4
	ds_load_b32 v27, v18
	s_waitcnt lgkmcnt(0)
	v_add_nc_u32_e32 v17, v27, v17
.LBB1675_374:
	s_or_b32 exec_lo, exec_lo, s12
	v_add_nc_u32_e32 v18, -1, v42
	s_delay_alu instid0(VALU_DEP_1) | instskip(NEXT) | instid1(VALU_DEP_1)
	v_cmp_gt_i32_e64 s7, 0, v18
	v_cndmask_b32_e64 v18, v18, v42, s7
	v_cmp_eq_u32_e64 s7, 0, v42
	s_delay_alu instid0(VALU_DEP_2)
	v_lshlrev_b32_e32 v18, 2, v18
	ds_bpermute_b32 v29, v18, v17
	s_and_saveexec_b32 s12, vcc_lo
	s_cbranch_execz .LBB1675_397
; %bb.375:
	v_mov_b32_e32 v23, 0
	ds_load_b32 v17, v23 offset:60
	s_and_saveexec_b32 s14, s7
	s_cbranch_execz .LBB1675_377
; %bb.376:
	s_add_i32 s16, s23, 32
	s_mov_b32 s17, 0
	v_mov_b32_e32 v18, 1
	s_lshl_b64 s[16:17], s[16:17], 3
	s_delay_alu instid0(SALU_CYCLE_1)
	s_add_u32 s16, s18, s16
	s_addc_u32 s17, s19, s17
	s_waitcnt lgkmcnt(0)
	global_store_b64 v23, v[17:18], s[16:17]
.LBB1675_377:
	s_or_b32 exec_lo, exec_lo, s14
	v_xad_u32 v21, v42, -1, s23
	s_mov_b32 s15, 0
	s_mov_b32 s14, exec_lo
	s_delay_alu instid0(VALU_DEP_1) | instskip(NEXT) | instid1(VALU_DEP_1)
	v_add_nc_u32_e32 v22, 32, v21
	v_lshlrev_b64 v[22:23], 3, v[22:23]
	s_delay_alu instid0(VALU_DEP_1) | instskip(NEXT) | instid1(VALU_DEP_2)
	v_add_co_u32 v25, vcc_lo, s18, v22
	v_add_co_ci_u32_e32 v26, vcc_lo, s19, v23, vcc_lo
	global_load_b64 v[23:24], v[25:26], off glc
	s_waitcnt vmcnt(0)
	v_and_b32_e32 v18, 0xff, v24
	s_delay_alu instid0(VALU_DEP_1)
	v_cmpx_eq_u16_e32 0, v18
	s_cbranch_execz .LBB1675_383
; %bb.378:
	s_mov_b32 s16, 1
	.p2align	6
.LBB1675_379:                           ; =>This Loop Header: Depth=1
                                        ;     Child Loop BB1675_380 Depth 2
	s_delay_alu instid0(SALU_CYCLE_1)
	s_max_u32 s17, s16, 1
.LBB1675_380:                           ;   Parent Loop BB1675_379 Depth=1
                                        ; =>  This Inner Loop Header: Depth=2
	s_delay_alu instid0(SALU_CYCLE_1)
	s_add_i32 s17, s17, -1
	s_sleep 1
	s_cmp_eq_u32 s17, 0
	s_cbranch_scc0 .LBB1675_380
; %bb.381:                              ;   in Loop: Header=BB1675_379 Depth=1
	global_load_b64 v[23:24], v[25:26], off glc
	s_cmp_lt_u32 s16, 32
	s_cselect_b32 s17, -1, 0
	s_delay_alu instid0(SALU_CYCLE_1) | instskip(SKIP_3) | instid1(VALU_DEP_1)
	s_cmp_lg_u32 s17, 0
	s_addc_u32 s16, s16, 0
	s_waitcnt vmcnt(0)
	v_and_b32_e32 v18, 0xff, v24
	v_cmp_ne_u16_e32 vcc_lo, 0, v18
	s_or_b32 s15, vcc_lo, s15
	s_delay_alu instid0(SALU_CYCLE_1)
	s_and_not1_b32 exec_lo, exec_lo, s15
	s_cbranch_execnz .LBB1675_379
; %bb.382:
	s_or_b32 exec_lo, exec_lo, s15
.LBB1675_383:
	s_delay_alu instid0(SALU_CYCLE_1)
	s_or_b32 exec_lo, exec_lo, s14
	v_cmp_ne_u32_e32 vcc_lo, 31, v42
	v_and_b32_e32 v22, 0xff, v24
	v_lshlrev_b32_e64 v31, v42, -1
	v_add_nc_u32_e32 v35, 2, v42
	v_add_nc_u32_e32 v45, 4, v42
	v_add_co_ci_u32_e32 v18, vcc_lo, 0, v42, vcc_lo
	v_cmp_eq_u16_e32 vcc_lo, 2, v22
	v_add_nc_u32_e32 v48, 8, v42
	v_add_nc_u32_e32 v50, 16, v42
	v_and_or_b32 v22, vcc_lo, v31, 0x80000000
	v_cmp_gt_u32_e32 vcc_lo, 30, v42
	s_delay_alu instid0(VALU_DEP_2) | instskip(SKIP_1) | instid1(VALU_DEP_2)
	v_ctz_i32_b32_e32 v22, v22
	v_cndmask_b32_e64 v26, 0, 1, vcc_lo
	v_cmp_lt_u32_e32 vcc_lo, v42, v22
	v_lshlrev_b32_e32 v18, 2, v18
	s_delay_alu instid0(VALU_DEP_3)
	v_lshlrev_b32_e32 v26, 1, v26
	ds_bpermute_b32 v25, v18, v23
	v_add_lshl_u32 v33, v26, v42, 2
	s_waitcnt lgkmcnt(0)
	v_cndmask_b32_e32 v25, 0, v25, vcc_lo
	v_cmp_gt_u32_e32 vcc_lo, 28, v42
	s_delay_alu instid0(VALU_DEP_2) | instskip(SKIP_4) | instid1(VALU_DEP_1)
	v_add_nc_u32_e32 v23, v25, v23
	v_cndmask_b32_e64 v26, 0, 1, vcc_lo
	v_cmp_le_u32_e32 vcc_lo, v35, v22
	ds_bpermute_b32 v25, v33, v23
	v_lshlrev_b32_e32 v26, 2, v26
	v_add_lshl_u32 v37, v26, v42, 2
	s_waitcnt lgkmcnt(0)
	v_cndmask_b32_e32 v25, 0, v25, vcc_lo
	v_cmp_gt_u32_e32 vcc_lo, 24, v42
	s_delay_alu instid0(VALU_DEP_2) | instskip(SKIP_4) | instid1(VALU_DEP_1)
	v_add_nc_u32_e32 v23, v23, v25
	v_cndmask_b32_e64 v26, 0, 1, vcc_lo
	v_cmp_le_u32_e32 vcc_lo, v45, v22
	ds_bpermute_b32 v25, v37, v23
	v_lshlrev_b32_e32 v26, 3, v26
	;; [unrolled: 10-line block ×3, first 2 shown]
	v_add_lshl_u32 v49, v26, v42, 2
	s_waitcnt lgkmcnt(0)
	v_cndmask_b32_e32 v25, 0, v25, vcc_lo
	v_cmp_le_u32_e32 vcc_lo, v50, v22
	s_delay_alu instid0(VALU_DEP_2) | instskip(SKIP_3) | instid1(VALU_DEP_1)
	v_add_nc_u32_e32 v23, v23, v25
	ds_bpermute_b32 v25, v49, v23
	s_waitcnt lgkmcnt(0)
	v_cndmask_b32_e32 v22, 0, v25, vcc_lo
	v_dual_mov_b32 v22, 0 :: v_dual_add_nc_u32 v23, v23, v22
	s_branch .LBB1675_385
.LBB1675_384:                           ;   in Loop: Header=BB1675_385 Depth=1
	s_or_b32 exec_lo, exec_lo, s14
	ds_bpermute_b32 v26, v18, v23
	v_and_b32_e32 v25, 0xff, v24
	v_subrev_nc_u32_e32 v21, 32, v21
	s_delay_alu instid0(VALU_DEP_2) | instskip(SKIP_1) | instid1(VALU_DEP_1)
	v_cmp_eq_u16_e32 vcc_lo, 2, v25
	v_and_or_b32 v25, vcc_lo, v31, 0x80000000
	v_ctz_i32_b32_e32 v25, v25
	s_delay_alu instid0(VALU_DEP_1) | instskip(SKIP_3) | instid1(VALU_DEP_2)
	v_cmp_lt_u32_e32 vcc_lo, v42, v25
	s_waitcnt lgkmcnt(0)
	v_cndmask_b32_e32 v26, 0, v26, vcc_lo
	v_cmp_le_u32_e32 vcc_lo, v35, v25
	v_add_nc_u32_e32 v23, v26, v23
	ds_bpermute_b32 v26, v33, v23
	s_waitcnt lgkmcnt(0)
	v_cndmask_b32_e32 v26, 0, v26, vcc_lo
	v_cmp_le_u32_e32 vcc_lo, v45, v25
	s_delay_alu instid0(VALU_DEP_2) | instskip(SKIP_4) | instid1(VALU_DEP_2)
	v_add_nc_u32_e32 v23, v23, v26
	ds_bpermute_b32 v26, v37, v23
	s_waitcnt lgkmcnt(0)
	v_cndmask_b32_e32 v26, 0, v26, vcc_lo
	v_cmp_le_u32_e32 vcc_lo, v48, v25
	v_add_nc_u32_e32 v23, v23, v26
	ds_bpermute_b32 v26, v47, v23
	s_waitcnt lgkmcnt(0)
	v_cndmask_b32_e32 v26, 0, v26, vcc_lo
	v_cmp_le_u32_e32 vcc_lo, v50, v25
	s_delay_alu instid0(VALU_DEP_2) | instskip(SKIP_3) | instid1(VALU_DEP_1)
	v_add_nc_u32_e32 v23, v23, v26
	ds_bpermute_b32 v26, v49, v23
	s_waitcnt lgkmcnt(0)
	v_cndmask_b32_e32 v25, 0, v26, vcc_lo
	v_add3_u32 v23, v25, v46, v23
.LBB1675_385:                           ; =>This Loop Header: Depth=1
                                        ;     Child Loop BB1675_388 Depth 2
                                        ;       Child Loop BB1675_389 Depth 3
	v_and_b32_e32 v24, 0xff, v24
	s_delay_alu instid0(VALU_DEP_2) | instskip(NEXT) | instid1(VALU_DEP_2)
	v_mov_b32_e32 v46, v23
	v_cmp_ne_u16_e32 vcc_lo, 2, v24
	v_cndmask_b32_e64 v24, 0, 1, vcc_lo
	;;#ASMSTART
	;;#ASMEND
	s_delay_alu instid0(VALU_DEP_1)
	v_cmp_ne_u32_e32 vcc_lo, 0, v24
	s_cmp_lg_u32 vcc_lo, exec_lo
	s_cbranch_scc1 .LBB1675_392
; %bb.386:                              ;   in Loop: Header=BB1675_385 Depth=1
	v_lshlrev_b64 v[23:24], 3, v[21:22]
	s_mov_b32 s14, exec_lo
	s_delay_alu instid0(VALU_DEP_1) | instskip(NEXT) | instid1(VALU_DEP_2)
	v_add_co_u32 v25, vcc_lo, s18, v23
	v_add_co_ci_u32_e32 v26, vcc_lo, s19, v24, vcc_lo
	global_load_b64 v[23:24], v[25:26], off glc
	s_waitcnt vmcnt(0)
	v_and_b32_e32 v51, 0xff, v24
	s_delay_alu instid0(VALU_DEP_1)
	v_cmpx_eq_u16_e32 0, v51
	s_cbranch_execz .LBB1675_384
; %bb.387:                              ;   in Loop: Header=BB1675_385 Depth=1
	s_mov_b32 s16, 1
	s_mov_b32 s15, 0
	.p2align	6
.LBB1675_388:                           ;   Parent Loop BB1675_385 Depth=1
                                        ; =>  This Loop Header: Depth=2
                                        ;       Child Loop BB1675_389 Depth 3
	s_max_u32 s17, s16, 1
.LBB1675_389:                           ;   Parent Loop BB1675_385 Depth=1
                                        ;     Parent Loop BB1675_388 Depth=2
                                        ; =>    This Inner Loop Header: Depth=3
	s_delay_alu instid0(SALU_CYCLE_1)
	s_add_i32 s17, s17, -1
	s_sleep 1
	s_cmp_eq_u32 s17, 0
	s_cbranch_scc0 .LBB1675_389
; %bb.390:                              ;   in Loop: Header=BB1675_388 Depth=2
	global_load_b64 v[23:24], v[25:26], off glc
	s_cmp_lt_u32 s16, 32
	s_cselect_b32 s17, -1, 0
	s_delay_alu instid0(SALU_CYCLE_1) | instskip(SKIP_3) | instid1(VALU_DEP_1)
	s_cmp_lg_u32 s17, 0
	s_addc_u32 s16, s16, 0
	s_waitcnt vmcnt(0)
	v_and_b32_e32 v51, 0xff, v24
	v_cmp_ne_u16_e32 vcc_lo, 0, v51
	s_or_b32 s15, vcc_lo, s15
	s_delay_alu instid0(SALU_CYCLE_1)
	s_and_not1_b32 exec_lo, exec_lo, s15
	s_cbranch_execnz .LBB1675_388
; %bb.391:                              ;   in Loop: Header=BB1675_385 Depth=1
	s_or_b32 exec_lo, exec_lo, s15
	s_branch .LBB1675_384
.LBB1675_392:                           ;   in Loop: Header=BB1675_385 Depth=1
                                        ; implicit-def: $vgpr23
                                        ; implicit-def: $vgpr24
	s_cbranch_execz .LBB1675_385
; %bb.393:
	s_and_saveexec_b32 s14, s7
	s_cbranch_execz .LBB1675_395
; %bb.394:
	s_add_i32 s16, s23, 32
	s_mov_b32 s17, 0
	v_dual_mov_b32 v22, 2 :: v_dual_add_nc_u32 v21, v46, v17
	s_lshl_b64 s[16:17], s[16:17], 3
	v_mov_b32_e32 v18, 0
	v_add_nc_u32_e64 v23, 0x8400, 0
	s_add_u32 s16, s18, s16
	s_addc_u32 s17, s19, s17
	global_store_b64 v18, v[21:22], s[16:17]
	ds_store_2addr_b32 v23, v17, v46 offset1:2
.LBB1675_395:
	s_or_b32 exec_lo, exec_lo, s14
	s_delay_alu instid0(SALU_CYCLE_1)
	s_and_b32 exec_lo, exec_lo, s2
	s_cbranch_execz .LBB1675_397
; %bb.396:
	v_mov_b32_e32 v17, 0
	ds_store_b32 v17, v46 offset:60
.LBB1675_397:
	s_or_b32 exec_lo, exec_lo, s12
	v_mov_b32_e32 v17, 0
	s_waitcnt lgkmcnt(0)
	s_waitcnt_vscnt null, 0x0
	s_barrier
	buffer_gl0_inv
	v_cndmask_b32_e64 v18, v29, v27, s7
	ds_load_b32 v17, v17 offset:60
	s_waitcnt lgkmcnt(0)
	s_barrier
	buffer_gl0_inv
	v_cndmask_b32_e64 v18, v18, 0, s2
	s_delay_alu instid0(VALU_DEP_1) | instskip(SKIP_1) | instid1(VALU_DEP_2)
	v_add_nc_u32_e32 v37, v17, v18
	v_add_nc_u32_e64 v17, 0x8400, 0
	v_add_nc_u32_e32 v35, v37, v28
	ds_load_2addr_b32 v[17:18], v17 offset1:2
	v_add_nc_u32_e32 v33, v35, v30
	s_delay_alu instid0(VALU_DEP_1) | instskip(NEXT) | instid1(VALU_DEP_1)
	v_add_nc_u32_e32 v31, v33, v32
	v_add_nc_u32_e32 v29, v31, v34
	s_delay_alu instid0(VALU_DEP_1) | instskip(NEXT) | instid1(VALU_DEP_1)
	v_add_nc_u32_e32 v27, v29, v36
	v_add_nc_u32_e32 v25, v27, v38
	s_delay_alu instid0(VALU_DEP_1)
	v_add_nc_u32_e32 v23, v25, v41
	v_lshrrev_b64 v[21:22], 24, v[19:20]
	s_branch .LBB1675_408
.LBB1675_398:
                                        ; implicit-def: $vgpr23
                                        ; implicit-def: $vgpr25
                                        ; implicit-def: $vgpr27
                                        ; implicit-def: $vgpr29
                                        ; implicit-def: $vgpr31
                                        ; implicit-def: $vgpr33
                                        ; implicit-def: $vgpr35
                                        ; implicit-def: $vgpr37
                                        ; implicit-def: $vgpr18
	v_lshrrev_b64 v[21:22], 24, v[19:20]
	s_and_b32 vcc_lo, exec_lo, s7
	s_cbranch_vccz .LBB1675_408
; %bb.399:
	s_waitcnt lgkmcnt(0)
	v_mov_b32_dpp v17, v44 row_shr:1 row_mask:0xf bank_mask:0xf
	s_delay_alu instid0(VALU_DEP_1) | instskip(NEXT) | instid1(VALU_DEP_1)
	v_cndmask_b32_e64 v17, v17, 0, s3
	v_add_nc_u32_e32 v17, v17, v44
	s_delay_alu instid0(VALU_DEP_1) | instskip(NEXT) | instid1(VALU_DEP_1)
	v_mov_b32_dpp v18, v17 row_shr:2 row_mask:0xf bank_mask:0xf
	v_cndmask_b32_e64 v18, 0, v18, s0
	s_delay_alu instid0(VALU_DEP_1) | instskip(NEXT) | instid1(VALU_DEP_1)
	v_add_nc_u32_e32 v17, v17, v18
	v_mov_b32_dpp v18, v17 row_shr:4 row_mask:0xf bank_mask:0xf
	s_delay_alu instid0(VALU_DEP_1) | instskip(NEXT) | instid1(VALU_DEP_1)
	v_cndmask_b32_e64 v18, 0, v18, s4
	v_add_nc_u32_e32 v17, v17, v18
	s_delay_alu instid0(VALU_DEP_1) | instskip(NEXT) | instid1(VALU_DEP_1)
	v_mov_b32_dpp v18, v17 row_shr:8 row_mask:0xf bank_mask:0xf
	v_cndmask_b32_e64 v18, 0, v18, s1
	s_delay_alu instid0(VALU_DEP_1) | instskip(SKIP_3) | instid1(VALU_DEP_1)
	v_add_nc_u32_e32 v17, v17, v18
	ds_swizzle_b32 v18, v17 offset:swizzle(BROADCAST,32,15)
	s_waitcnt lgkmcnt(0)
	v_cndmask_b32_e64 v18, v18, 0, s6
	v_add_nc_u32_e32 v17, v17, v18
	s_and_saveexec_b32 s6, s5
	s_cbranch_execz .LBB1675_401
; %bb.400:
	v_lshlrev_b32_e32 v18, 2, v43
	ds_store_b32 v18, v17
.LBB1675_401:
	s_or_b32 exec_lo, exec_lo, s6
	s_delay_alu instid0(SALU_CYCLE_1)
	s_mov_b32 s5, exec_lo
	s_waitcnt lgkmcnt(0)
	s_barrier
	buffer_gl0_inv
	v_cmpx_gt_u32_e32 16, v0
	s_cbranch_execz .LBB1675_403
; %bb.402:
	v_lshlrev_b32_e32 v18, 2, v0
	ds_load_b32 v22, v18
	s_waitcnt lgkmcnt(0)
	v_mov_b32_dpp v23, v22 row_shr:1 row_mask:0xf bank_mask:0xf
	s_delay_alu instid0(VALU_DEP_1) | instskip(NEXT) | instid1(VALU_DEP_1)
	v_cndmask_b32_e64 v23, v23, 0, s3
	v_add_nc_u32_e32 v22, v23, v22
	s_delay_alu instid0(VALU_DEP_1) | instskip(NEXT) | instid1(VALU_DEP_1)
	v_mov_b32_dpp v23, v22 row_shr:2 row_mask:0xf bank_mask:0xf
	v_cndmask_b32_e64 v23, 0, v23, s0
	s_delay_alu instid0(VALU_DEP_1) | instskip(NEXT) | instid1(VALU_DEP_1)
	v_add_nc_u32_e32 v22, v22, v23
	v_mov_b32_dpp v23, v22 row_shr:4 row_mask:0xf bank_mask:0xf
	s_delay_alu instid0(VALU_DEP_1) | instskip(NEXT) | instid1(VALU_DEP_1)
	v_cndmask_b32_e64 v23, 0, v23, s4
	v_add_nc_u32_e32 v22, v22, v23
	s_delay_alu instid0(VALU_DEP_1) | instskip(NEXT) | instid1(VALU_DEP_1)
	v_mov_b32_dpp v23, v22 row_shr:8 row_mask:0xf bank_mask:0xf
	v_cndmask_b32_e64 v23, 0, v23, s1
	s_delay_alu instid0(VALU_DEP_1)
	v_add_nc_u32_e32 v22, v22, v23
	ds_store_b32 v18, v22
.LBB1675_403:
	s_or_b32 exec_lo, exec_lo, s5
	v_mov_b32_e32 v18, 0
	v_mov_b32_e32 v22, 0
	s_mov_b32 s0, exec_lo
	s_waitcnt lgkmcnt(0)
	s_barrier
	buffer_gl0_inv
	v_cmpx_lt_u32_e32 31, v0
	s_cbranch_execz .LBB1675_405
; %bb.404:
	v_lshl_add_u32 v22, v43, 2, -4
	ds_load_b32 v22, v22
.LBB1675_405:
	s_or_b32 exec_lo, exec_lo, s0
	v_add_nc_u32_e32 v23, -1, v42
	s_waitcnt lgkmcnt(0)
	v_add_nc_u32_e32 v17, v22, v17
	s_delay_alu instid0(VALU_DEP_2) | instskip(SKIP_1) | instid1(VALU_DEP_1)
	v_cmp_gt_i32_e32 vcc_lo, 0, v23
	v_cndmask_b32_e32 v23, v23, v42, vcc_lo
	v_lshlrev_b32_e32 v23, 2, v23
	ds_bpermute_b32 v23, v23, v17
	ds_load_b32 v17, v18 offset:60
	s_and_saveexec_b32 s0, s2
	s_cbranch_execz .LBB1675_407
; %bb.406:
	v_mov_b32_e32 v24, 0
	v_mov_b32_e32 v18, 2
	s_waitcnt lgkmcnt(0)
	global_store_b64 v24, v[17:18], s[18:19] offset:256
.LBB1675_407:
	s_or_b32 exec_lo, exec_lo, s0
	v_cmp_eq_u32_e32 vcc_lo, 0, v42
	s_waitcnt lgkmcnt(0)
	s_waitcnt_vscnt null, 0x0
	s_barrier
	buffer_gl0_inv
	v_cndmask_b32_e32 v18, v23, v22, vcc_lo
	s_delay_alu instid0(VALU_DEP_1) | instskip(NEXT) | instid1(VALU_DEP_1)
	v_cndmask_b32_e64 v37, v18, 0, s2
	v_dual_mov_b32 v18, 0 :: v_dual_add_nc_u32 v35, v37, v28
	s_delay_alu instid0(VALU_DEP_1) | instskip(NEXT) | instid1(VALU_DEP_1)
	v_add_nc_u32_e32 v33, v35, v30
	v_add_nc_u32_e32 v31, v33, v32
	s_delay_alu instid0(VALU_DEP_1) | instskip(NEXT) | instid1(VALU_DEP_1)
	v_add_nc_u32_e32 v29, v31, v34
	v_add_nc_u32_e32 v27, v29, v36
	;; [unrolled: 3-line block ×3, first 2 shown]
.LBB1675_408:
	s_waitcnt lgkmcnt(0)
	v_cmp_gt_u32_e32 vcc_lo, 0x201, v17
	v_lshrrev_b32_e32 v43, 8, v19
	v_lshrrev_b32_e32 v42, 16, v19
	;; [unrolled: 1-line block ×4, first 2 shown]
	s_mov_b32 s0, -1
	s_cbranch_vccnz .LBB1675_412
; %bb.409:
	s_and_b32 vcc_lo, exec_lo, s0
	s_cbranch_vccnz .LBB1675_437
.LBB1675_410:
	s_and_b32 s0, s2, s13
	s_delay_alu instid0(SALU_CYCLE_1)
	s_and_saveexec_b32 s1, s0
	s_cbranch_execnz .LBB1675_457
.LBB1675_411:
	s_nop 0
	s_sendmsg sendmsg(MSG_DEALLOC_VGPRS)
	s_endpgm
.LBB1675_412:
	v_add_nc_u32_e32 v24, v18, v17
	s_delay_alu instid0(VALU_DEP_1) | instskip(SKIP_1) | instid1(SALU_CYCLE_1)
	v_cmp_lt_u32_e32 vcc_lo, v37, v24
	s_or_b32 s1, s22, vcc_lo
	s_and_saveexec_b32 s0, s1
	s_cbranch_execz .LBB1675_415
; %bb.413:
	v_and_b32_e32 v26, 1, v19
	s_delay_alu instid0(VALU_DEP_1)
	v_cmp_eq_u32_e32 vcc_lo, 1, v26
	s_and_b32 exec_lo, exec_lo, vcc_lo
	s_cbranch_execz .LBB1675_415
; %bb.414:
	v_mov_b32_e32 v38, 0
	s_lshl_b64 s[4:5], s[10:11], 3
	s_delay_alu instid0(SALU_CYCLE_1) | instskip(SKIP_1) | instid1(VALU_DEP_1)
	s_add_u32 s1, s20, s4
	s_addc_u32 s3, s21, s5
	v_lshlrev_b64 v[44:45], 3, v[37:38]
	s_delay_alu instid0(VALU_DEP_1) | instskip(NEXT) | instid1(VALU_DEP_2)
	v_add_co_u32 v44, vcc_lo, s1, v44
	v_add_co_ci_u32_e32 v45, vcc_lo, s3, v45, vcc_lo
	global_store_b64 v[44:45], v[13:14], off
.LBB1675_415:
	s_or_b32 exec_lo, exec_lo, s0
	v_cmp_lt_u32_e32 vcc_lo, v35, v24
	s_or_b32 s1, s22, vcc_lo
	s_delay_alu instid0(SALU_CYCLE_1)
	s_and_saveexec_b32 s0, s1
	s_cbranch_execz .LBB1675_418
; %bb.416:
	v_and_b32_e32 v26, 1, v43
	s_delay_alu instid0(VALU_DEP_1)
	v_cmp_eq_u32_e32 vcc_lo, 1, v26
	s_and_b32 exec_lo, exec_lo, vcc_lo
	s_cbranch_execz .LBB1675_418
; %bb.417:
	v_mov_b32_e32 v36, 0
	s_lshl_b64 s[4:5], s[10:11], 3
	s_delay_alu instid0(SALU_CYCLE_1) | instskip(SKIP_1) | instid1(VALU_DEP_1)
	s_add_u32 s1, s20, s4
	s_addc_u32 s3, s21, s5
	v_lshlrev_b64 v[44:45], 3, v[35:36]
	s_delay_alu instid0(VALU_DEP_1) | instskip(NEXT) | instid1(VALU_DEP_2)
	v_add_co_u32 v44, vcc_lo, s1, v44
	v_add_co_ci_u32_e32 v45, vcc_lo, s3, v45, vcc_lo
	global_store_b64 v[44:45], v[15:16], off
.LBB1675_418:
	s_or_b32 exec_lo, exec_lo, s0
	v_cmp_lt_u32_e32 vcc_lo, v33, v24
	s_or_b32 s1, s22, vcc_lo
	s_delay_alu instid0(SALU_CYCLE_1)
	;; [unrolled: 24-line block ×7, first 2 shown]
	s_and_saveexec_b32 s0, s1
	s_cbranch_execz .LBB1675_436
; %bb.434:
	v_and_b32_e32 v24, 1, v40
	s_delay_alu instid0(VALU_DEP_1)
	v_cmp_eq_u32_e32 vcc_lo, 1, v24
	s_and_b32 exec_lo, exec_lo, vcc_lo
	s_cbranch_execz .LBB1675_436
; %bb.435:
	v_mov_b32_e32 v24, 0
	s_lshl_b64 s[4:5], s[10:11], 3
	s_delay_alu instid0(SALU_CYCLE_1) | instskip(SKIP_1) | instid1(VALU_DEP_1)
	s_add_u32 s1, s20, s4
	s_addc_u32 s3, s21, s5
	v_lshlrev_b64 v[44:45], 3, v[23:24]
	s_delay_alu instid0(VALU_DEP_1) | instskip(NEXT) | instid1(VALU_DEP_2)
	v_add_co_u32 v44, vcc_lo, s1, v44
	v_add_co_ci_u32_e32 v45, vcc_lo, s3, v45, vcc_lo
	global_store_b64 v[44:45], v[3:4], off
.LBB1675_436:
	s_or_b32 exec_lo, exec_lo, s0
	s_branch .LBB1675_410
.LBB1675_437:
	v_and_b32_e32 v19, 1, v19
	s_mov_b32 s0, exec_lo
	s_delay_alu instid0(VALU_DEP_1)
	v_cmpx_eq_u32_e32 1, v19
	s_cbranch_execz .LBB1675_439
; %bb.438:
	v_sub_nc_u32_e32 v19, v37, v18
	s_delay_alu instid0(VALU_DEP_1)
	v_lshlrev_b32_e32 v19, 3, v19
	ds_store_b64 v19, v[13:14]
.LBB1675_439:
	s_or_b32 exec_lo, exec_lo, s0
	v_and_b32_e32 v13, 1, v43
	s_mov_b32 s0, exec_lo
	s_delay_alu instid0(VALU_DEP_1)
	v_cmpx_eq_u32_e32 1, v13
	s_cbranch_execz .LBB1675_441
; %bb.440:
	v_sub_nc_u32_e32 v13, v35, v18
	s_delay_alu instid0(VALU_DEP_1)
	v_lshlrev_b32_e32 v13, 3, v13
	ds_store_b64 v13, v[15:16]
.LBB1675_441:
	s_or_b32 exec_lo, exec_lo, s0
	;; [unrolled: 12-line block ×8, first 2 shown]
	s_delay_alu instid0(SALU_CYCLE_1)
	s_mov_b32 s1, exec_lo
	s_waitcnt lgkmcnt(0)
	s_waitcnt_vscnt null, 0x0
	s_barrier
	buffer_gl0_inv
	v_cmpx_lt_u32_e64 v0, v17
	s_cbranch_execz .LBB1675_456
; %bb.454:
	v_dual_mov_b32 v2, 0 :: v_dual_mov_b32 v1, v18
	s_lshl_b64 s[4:5], s[10:11], 3
	s_mov_b32 s3, 0
	s_delay_alu instid0(VALU_DEP_1) | instskip(NEXT) | instid1(VALU_DEP_1)
	v_lshlrev_b64 v[1:2], 3, v[1:2]
	v_add_co_u32 v1, vcc_lo, s4, v1
	s_delay_alu instid0(VALU_DEP_2) | instskip(NEXT) | instid1(VALU_DEP_2)
	v_add_co_ci_u32_e32 v2, vcc_lo, s5, v2, vcc_lo
	v_add_co_u32 v1, vcc_lo, s20, v1
	s_delay_alu instid0(VALU_DEP_2) | instskip(NEXT) | instid1(VALU_DEP_2)
	v_add_co_ci_u32_e32 v2, vcc_lo, s21, v2, vcc_lo
	v_add_co_u32 v1, vcc_lo, v1, v39
	s_delay_alu instid0(VALU_DEP_2)
	v_add_co_ci_u32_e32 v2, vcc_lo, 0, v2, vcc_lo
	.p2align	6
.LBB1675_455:                           ; =>This Inner Loop Header: Depth=1
	ds_load_b64 v[3:4], v39
	v_add_nc_u32_e32 v0, 0x200, v0
	v_add_nc_u32_e32 v39, 0x1000, v39
	s_delay_alu instid0(VALU_DEP_2) | instskip(SKIP_4) | instid1(VALU_DEP_1)
	v_cmp_ge_u32_e32 vcc_lo, v0, v17
	s_or_b32 s3, vcc_lo, s3
	s_waitcnt lgkmcnt(0)
	global_store_b64 v[1:2], v[3:4], off
	v_add_co_u32 v1, s0, 0x1000, v1
	v_add_co_ci_u32_e64 v2, s0, 0, v2, s0
	s_and_not1_b32 exec_lo, exec_lo, s3
	s_cbranch_execnz .LBB1675_455
.LBB1675_456:
	s_or_b32 exec_lo, exec_lo, s1
	s_and_b32 s0, s2, s13
	s_delay_alu instid0(SALU_CYCLE_1)
	s_and_saveexec_b32 s1, s0
	s_cbranch_execz .LBB1675_411
.LBB1675_457:
	v_add_co_u32 v0, s0, s10, v17
	s_delay_alu instid0(VALU_DEP_1) | instskip(SKIP_1) | instid1(VALU_DEP_3)
	v_add_co_ci_u32_e64 v1, null, s11, 0, s0
	v_mov_b32_e32 v2, 0
	v_add_co_u32 v0, vcc_lo, v0, v18
	s_delay_alu instid0(VALU_DEP_3)
	v_add_co_ci_u32_e32 v1, vcc_lo, 0, v1, vcc_lo
	global_store_b64 v2, v[0:1], s[8:9]
	s_nop 0
	s_sendmsg sendmsg(MSG_DEALLOC_VGPRS)
	s_endpgm
	.section	.rodata,"a",@progbits
	.p2align	6, 0x0
	.amdhsa_kernel _ZN7rocprim17ROCPRIM_400000_NS6detail17trampoline_kernelINS0_14default_configENS1_25partition_config_selectorILNS1_17partition_subalgoE8ElNS0_10empty_typeEbEEZZNS1_14partition_implILS5_8ELb0ES3_jPlPS6_PKS6_NS0_5tupleIJS9_S6_EEENSD_IJSA_SA_EEENS0_18inequality_wrapperIZN2at6native12_GLOBAL__N_124unique_dim_cuda_templateImEESt5tupleIJNSH_6TensorESM_SM_EERKSM_lbbbEUlllE0_EEPmJS6_EEE10hipError_tPvRmT3_T4_T5_T6_T7_T9_mT8_P12ihipStream_tbDpT10_ENKUlT_T0_E_clISt17integral_constantIbLb1EES1C_EEDaS17_S18_EUlS17_E_NS1_11comp_targetILNS1_3genE9ELNS1_11target_archE1100ELNS1_3gpuE3ELNS1_3repE0EEENS1_30default_config_static_selectorELNS0_4arch9wavefront6targetE0EEEvT1_
		.amdhsa_group_segment_fixed_size 33804
		.amdhsa_private_segment_fixed_size 0
		.amdhsa_kernarg_size 136
		.amdhsa_user_sgpr_count 15
		.amdhsa_user_sgpr_dispatch_ptr 0
		.amdhsa_user_sgpr_queue_ptr 0
		.amdhsa_user_sgpr_kernarg_segment_ptr 1
		.amdhsa_user_sgpr_dispatch_id 0
		.amdhsa_user_sgpr_private_segment_size 0
		.amdhsa_wavefront_size32 1
		.amdhsa_uses_dynamic_stack 0
		.amdhsa_enable_private_segment 0
		.amdhsa_system_sgpr_workgroup_id_x 1
		.amdhsa_system_sgpr_workgroup_id_y 0
		.amdhsa_system_sgpr_workgroup_id_z 0
		.amdhsa_system_sgpr_workgroup_info 0
		.amdhsa_system_vgpr_workitem_id 0
		.amdhsa_next_free_vgpr 52
		.amdhsa_next_free_sgpr 38
		.amdhsa_reserve_vcc 1
		.amdhsa_float_round_mode_32 0
		.amdhsa_float_round_mode_16_64 0
		.amdhsa_float_denorm_mode_32 3
		.amdhsa_float_denorm_mode_16_64 3
		.amdhsa_dx10_clamp 1
		.amdhsa_ieee_mode 1
		.amdhsa_fp16_overflow 0
		.amdhsa_workgroup_processor_mode 1
		.amdhsa_memory_ordered 1
		.amdhsa_forward_progress 0
		.amdhsa_shared_vgpr_count 0
		.amdhsa_exception_fp_ieee_invalid_op 0
		.amdhsa_exception_fp_denorm_src 0
		.amdhsa_exception_fp_ieee_div_zero 0
		.amdhsa_exception_fp_ieee_overflow 0
		.amdhsa_exception_fp_ieee_underflow 0
		.amdhsa_exception_fp_ieee_inexact 0
		.amdhsa_exception_int_div_zero 0
	.end_amdhsa_kernel
	.section	.text._ZN7rocprim17ROCPRIM_400000_NS6detail17trampoline_kernelINS0_14default_configENS1_25partition_config_selectorILNS1_17partition_subalgoE8ElNS0_10empty_typeEbEEZZNS1_14partition_implILS5_8ELb0ES3_jPlPS6_PKS6_NS0_5tupleIJS9_S6_EEENSD_IJSA_SA_EEENS0_18inequality_wrapperIZN2at6native12_GLOBAL__N_124unique_dim_cuda_templateImEESt5tupleIJNSH_6TensorESM_SM_EERKSM_lbbbEUlllE0_EEPmJS6_EEE10hipError_tPvRmT3_T4_T5_T6_T7_T9_mT8_P12ihipStream_tbDpT10_ENKUlT_T0_E_clISt17integral_constantIbLb1EES1C_EEDaS17_S18_EUlS17_E_NS1_11comp_targetILNS1_3genE9ELNS1_11target_archE1100ELNS1_3gpuE3ELNS1_3repE0EEENS1_30default_config_static_selectorELNS0_4arch9wavefront6targetE0EEEvT1_,"axG",@progbits,_ZN7rocprim17ROCPRIM_400000_NS6detail17trampoline_kernelINS0_14default_configENS1_25partition_config_selectorILNS1_17partition_subalgoE8ElNS0_10empty_typeEbEEZZNS1_14partition_implILS5_8ELb0ES3_jPlPS6_PKS6_NS0_5tupleIJS9_S6_EEENSD_IJSA_SA_EEENS0_18inequality_wrapperIZN2at6native12_GLOBAL__N_124unique_dim_cuda_templateImEESt5tupleIJNSH_6TensorESM_SM_EERKSM_lbbbEUlllE0_EEPmJS6_EEE10hipError_tPvRmT3_T4_T5_T6_T7_T9_mT8_P12ihipStream_tbDpT10_ENKUlT_T0_E_clISt17integral_constantIbLb1EES1C_EEDaS17_S18_EUlS17_E_NS1_11comp_targetILNS1_3genE9ELNS1_11target_archE1100ELNS1_3gpuE3ELNS1_3repE0EEENS1_30default_config_static_selectorELNS0_4arch9wavefront6targetE0EEEvT1_,comdat
.Lfunc_end1675:
	.size	_ZN7rocprim17ROCPRIM_400000_NS6detail17trampoline_kernelINS0_14default_configENS1_25partition_config_selectorILNS1_17partition_subalgoE8ElNS0_10empty_typeEbEEZZNS1_14partition_implILS5_8ELb0ES3_jPlPS6_PKS6_NS0_5tupleIJS9_S6_EEENSD_IJSA_SA_EEENS0_18inequality_wrapperIZN2at6native12_GLOBAL__N_124unique_dim_cuda_templateImEESt5tupleIJNSH_6TensorESM_SM_EERKSM_lbbbEUlllE0_EEPmJS6_EEE10hipError_tPvRmT3_T4_T5_T6_T7_T9_mT8_P12ihipStream_tbDpT10_ENKUlT_T0_E_clISt17integral_constantIbLb1EES1C_EEDaS17_S18_EUlS17_E_NS1_11comp_targetILNS1_3genE9ELNS1_11target_archE1100ELNS1_3gpuE3ELNS1_3repE0EEENS1_30default_config_static_selectorELNS0_4arch9wavefront6targetE0EEEvT1_, .Lfunc_end1675-_ZN7rocprim17ROCPRIM_400000_NS6detail17trampoline_kernelINS0_14default_configENS1_25partition_config_selectorILNS1_17partition_subalgoE8ElNS0_10empty_typeEbEEZZNS1_14partition_implILS5_8ELb0ES3_jPlPS6_PKS6_NS0_5tupleIJS9_S6_EEENSD_IJSA_SA_EEENS0_18inequality_wrapperIZN2at6native12_GLOBAL__N_124unique_dim_cuda_templateImEESt5tupleIJNSH_6TensorESM_SM_EERKSM_lbbbEUlllE0_EEPmJS6_EEE10hipError_tPvRmT3_T4_T5_T6_T7_T9_mT8_P12ihipStream_tbDpT10_ENKUlT_T0_E_clISt17integral_constantIbLb1EES1C_EEDaS17_S18_EUlS17_E_NS1_11comp_targetILNS1_3genE9ELNS1_11target_archE1100ELNS1_3gpuE3ELNS1_3repE0EEENS1_30default_config_static_selectorELNS0_4arch9wavefront6targetE0EEEvT1_
                                        ; -- End function
	.section	.AMDGPU.csdata,"",@progbits
; Kernel info:
; codeLenInByte = 18520
; NumSgprs: 40
; NumVgprs: 52
; ScratchSize: 0
; MemoryBound: 1
; FloatMode: 240
; IeeeMode: 1
; LDSByteSize: 33804 bytes/workgroup (compile time only)
; SGPRBlocks: 4
; VGPRBlocks: 6
; NumSGPRsForWavesPerEU: 40
; NumVGPRsForWavesPerEU: 52
; Occupancy: 12
; WaveLimiterHint : 1
; COMPUTE_PGM_RSRC2:SCRATCH_EN: 0
; COMPUTE_PGM_RSRC2:USER_SGPR: 15
; COMPUTE_PGM_RSRC2:TRAP_HANDLER: 0
; COMPUTE_PGM_RSRC2:TGID_X_EN: 1
; COMPUTE_PGM_RSRC2:TGID_Y_EN: 0
; COMPUTE_PGM_RSRC2:TGID_Z_EN: 0
; COMPUTE_PGM_RSRC2:TIDIG_COMP_CNT: 0
	.section	.text._ZN7rocprim17ROCPRIM_400000_NS6detail17trampoline_kernelINS0_14default_configENS1_25partition_config_selectorILNS1_17partition_subalgoE8ElNS0_10empty_typeEbEEZZNS1_14partition_implILS5_8ELb0ES3_jPlPS6_PKS6_NS0_5tupleIJS9_S6_EEENSD_IJSA_SA_EEENS0_18inequality_wrapperIZN2at6native12_GLOBAL__N_124unique_dim_cuda_templateImEESt5tupleIJNSH_6TensorESM_SM_EERKSM_lbbbEUlllE0_EEPmJS6_EEE10hipError_tPvRmT3_T4_T5_T6_T7_T9_mT8_P12ihipStream_tbDpT10_ENKUlT_T0_E_clISt17integral_constantIbLb1EES1C_EEDaS17_S18_EUlS17_E_NS1_11comp_targetILNS1_3genE8ELNS1_11target_archE1030ELNS1_3gpuE2ELNS1_3repE0EEENS1_30default_config_static_selectorELNS0_4arch9wavefront6targetE0EEEvT1_,"axG",@progbits,_ZN7rocprim17ROCPRIM_400000_NS6detail17trampoline_kernelINS0_14default_configENS1_25partition_config_selectorILNS1_17partition_subalgoE8ElNS0_10empty_typeEbEEZZNS1_14partition_implILS5_8ELb0ES3_jPlPS6_PKS6_NS0_5tupleIJS9_S6_EEENSD_IJSA_SA_EEENS0_18inequality_wrapperIZN2at6native12_GLOBAL__N_124unique_dim_cuda_templateImEESt5tupleIJNSH_6TensorESM_SM_EERKSM_lbbbEUlllE0_EEPmJS6_EEE10hipError_tPvRmT3_T4_T5_T6_T7_T9_mT8_P12ihipStream_tbDpT10_ENKUlT_T0_E_clISt17integral_constantIbLb1EES1C_EEDaS17_S18_EUlS17_E_NS1_11comp_targetILNS1_3genE8ELNS1_11target_archE1030ELNS1_3gpuE2ELNS1_3repE0EEENS1_30default_config_static_selectorELNS0_4arch9wavefront6targetE0EEEvT1_,comdat
	.globl	_ZN7rocprim17ROCPRIM_400000_NS6detail17trampoline_kernelINS0_14default_configENS1_25partition_config_selectorILNS1_17partition_subalgoE8ElNS0_10empty_typeEbEEZZNS1_14partition_implILS5_8ELb0ES3_jPlPS6_PKS6_NS0_5tupleIJS9_S6_EEENSD_IJSA_SA_EEENS0_18inequality_wrapperIZN2at6native12_GLOBAL__N_124unique_dim_cuda_templateImEESt5tupleIJNSH_6TensorESM_SM_EERKSM_lbbbEUlllE0_EEPmJS6_EEE10hipError_tPvRmT3_T4_T5_T6_T7_T9_mT8_P12ihipStream_tbDpT10_ENKUlT_T0_E_clISt17integral_constantIbLb1EES1C_EEDaS17_S18_EUlS17_E_NS1_11comp_targetILNS1_3genE8ELNS1_11target_archE1030ELNS1_3gpuE2ELNS1_3repE0EEENS1_30default_config_static_selectorELNS0_4arch9wavefront6targetE0EEEvT1_ ; -- Begin function _ZN7rocprim17ROCPRIM_400000_NS6detail17trampoline_kernelINS0_14default_configENS1_25partition_config_selectorILNS1_17partition_subalgoE8ElNS0_10empty_typeEbEEZZNS1_14partition_implILS5_8ELb0ES3_jPlPS6_PKS6_NS0_5tupleIJS9_S6_EEENSD_IJSA_SA_EEENS0_18inequality_wrapperIZN2at6native12_GLOBAL__N_124unique_dim_cuda_templateImEESt5tupleIJNSH_6TensorESM_SM_EERKSM_lbbbEUlllE0_EEPmJS6_EEE10hipError_tPvRmT3_T4_T5_T6_T7_T9_mT8_P12ihipStream_tbDpT10_ENKUlT_T0_E_clISt17integral_constantIbLb1EES1C_EEDaS17_S18_EUlS17_E_NS1_11comp_targetILNS1_3genE8ELNS1_11target_archE1030ELNS1_3gpuE2ELNS1_3repE0EEENS1_30default_config_static_selectorELNS0_4arch9wavefront6targetE0EEEvT1_
	.p2align	8
	.type	_ZN7rocprim17ROCPRIM_400000_NS6detail17trampoline_kernelINS0_14default_configENS1_25partition_config_selectorILNS1_17partition_subalgoE8ElNS0_10empty_typeEbEEZZNS1_14partition_implILS5_8ELb0ES3_jPlPS6_PKS6_NS0_5tupleIJS9_S6_EEENSD_IJSA_SA_EEENS0_18inequality_wrapperIZN2at6native12_GLOBAL__N_124unique_dim_cuda_templateImEESt5tupleIJNSH_6TensorESM_SM_EERKSM_lbbbEUlllE0_EEPmJS6_EEE10hipError_tPvRmT3_T4_T5_T6_T7_T9_mT8_P12ihipStream_tbDpT10_ENKUlT_T0_E_clISt17integral_constantIbLb1EES1C_EEDaS17_S18_EUlS17_E_NS1_11comp_targetILNS1_3genE8ELNS1_11target_archE1030ELNS1_3gpuE2ELNS1_3repE0EEENS1_30default_config_static_selectorELNS0_4arch9wavefront6targetE0EEEvT1_,@function
_ZN7rocprim17ROCPRIM_400000_NS6detail17trampoline_kernelINS0_14default_configENS1_25partition_config_selectorILNS1_17partition_subalgoE8ElNS0_10empty_typeEbEEZZNS1_14partition_implILS5_8ELb0ES3_jPlPS6_PKS6_NS0_5tupleIJS9_S6_EEENSD_IJSA_SA_EEENS0_18inequality_wrapperIZN2at6native12_GLOBAL__N_124unique_dim_cuda_templateImEESt5tupleIJNSH_6TensorESM_SM_EERKSM_lbbbEUlllE0_EEPmJS6_EEE10hipError_tPvRmT3_T4_T5_T6_T7_T9_mT8_P12ihipStream_tbDpT10_ENKUlT_T0_E_clISt17integral_constantIbLb1EES1C_EEDaS17_S18_EUlS17_E_NS1_11comp_targetILNS1_3genE8ELNS1_11target_archE1030ELNS1_3gpuE2ELNS1_3repE0EEENS1_30default_config_static_selectorELNS0_4arch9wavefront6targetE0EEEvT1_: ; @_ZN7rocprim17ROCPRIM_400000_NS6detail17trampoline_kernelINS0_14default_configENS1_25partition_config_selectorILNS1_17partition_subalgoE8ElNS0_10empty_typeEbEEZZNS1_14partition_implILS5_8ELb0ES3_jPlPS6_PKS6_NS0_5tupleIJS9_S6_EEENSD_IJSA_SA_EEENS0_18inequality_wrapperIZN2at6native12_GLOBAL__N_124unique_dim_cuda_templateImEESt5tupleIJNSH_6TensorESM_SM_EERKSM_lbbbEUlllE0_EEPmJS6_EEE10hipError_tPvRmT3_T4_T5_T6_T7_T9_mT8_P12ihipStream_tbDpT10_ENKUlT_T0_E_clISt17integral_constantIbLb1EES1C_EEDaS17_S18_EUlS17_E_NS1_11comp_targetILNS1_3genE8ELNS1_11target_archE1030ELNS1_3gpuE2ELNS1_3repE0EEENS1_30default_config_static_selectorELNS0_4arch9wavefront6targetE0EEEvT1_
; %bb.0:
	.section	.rodata,"a",@progbits
	.p2align	6, 0x0
	.amdhsa_kernel _ZN7rocprim17ROCPRIM_400000_NS6detail17trampoline_kernelINS0_14default_configENS1_25partition_config_selectorILNS1_17partition_subalgoE8ElNS0_10empty_typeEbEEZZNS1_14partition_implILS5_8ELb0ES3_jPlPS6_PKS6_NS0_5tupleIJS9_S6_EEENSD_IJSA_SA_EEENS0_18inequality_wrapperIZN2at6native12_GLOBAL__N_124unique_dim_cuda_templateImEESt5tupleIJNSH_6TensorESM_SM_EERKSM_lbbbEUlllE0_EEPmJS6_EEE10hipError_tPvRmT3_T4_T5_T6_T7_T9_mT8_P12ihipStream_tbDpT10_ENKUlT_T0_E_clISt17integral_constantIbLb1EES1C_EEDaS17_S18_EUlS17_E_NS1_11comp_targetILNS1_3genE8ELNS1_11target_archE1030ELNS1_3gpuE2ELNS1_3repE0EEENS1_30default_config_static_selectorELNS0_4arch9wavefront6targetE0EEEvT1_
		.amdhsa_group_segment_fixed_size 0
		.amdhsa_private_segment_fixed_size 0
		.amdhsa_kernarg_size 136
		.amdhsa_user_sgpr_count 15
		.amdhsa_user_sgpr_dispatch_ptr 0
		.amdhsa_user_sgpr_queue_ptr 0
		.amdhsa_user_sgpr_kernarg_segment_ptr 1
		.amdhsa_user_sgpr_dispatch_id 0
		.amdhsa_user_sgpr_private_segment_size 0
		.amdhsa_wavefront_size32 1
		.amdhsa_uses_dynamic_stack 0
		.amdhsa_enable_private_segment 0
		.amdhsa_system_sgpr_workgroup_id_x 1
		.amdhsa_system_sgpr_workgroup_id_y 0
		.amdhsa_system_sgpr_workgroup_id_z 0
		.amdhsa_system_sgpr_workgroup_info 0
		.amdhsa_system_vgpr_workitem_id 0
		.amdhsa_next_free_vgpr 1
		.amdhsa_next_free_sgpr 1
		.amdhsa_reserve_vcc 0
		.amdhsa_float_round_mode_32 0
		.amdhsa_float_round_mode_16_64 0
		.amdhsa_float_denorm_mode_32 3
		.amdhsa_float_denorm_mode_16_64 3
		.amdhsa_dx10_clamp 1
		.amdhsa_ieee_mode 1
		.amdhsa_fp16_overflow 0
		.amdhsa_workgroup_processor_mode 1
		.amdhsa_memory_ordered 1
		.amdhsa_forward_progress 0
		.amdhsa_shared_vgpr_count 0
		.amdhsa_exception_fp_ieee_invalid_op 0
		.amdhsa_exception_fp_denorm_src 0
		.amdhsa_exception_fp_ieee_div_zero 0
		.amdhsa_exception_fp_ieee_overflow 0
		.amdhsa_exception_fp_ieee_underflow 0
		.amdhsa_exception_fp_ieee_inexact 0
		.amdhsa_exception_int_div_zero 0
	.end_amdhsa_kernel
	.section	.text._ZN7rocprim17ROCPRIM_400000_NS6detail17trampoline_kernelINS0_14default_configENS1_25partition_config_selectorILNS1_17partition_subalgoE8ElNS0_10empty_typeEbEEZZNS1_14partition_implILS5_8ELb0ES3_jPlPS6_PKS6_NS0_5tupleIJS9_S6_EEENSD_IJSA_SA_EEENS0_18inequality_wrapperIZN2at6native12_GLOBAL__N_124unique_dim_cuda_templateImEESt5tupleIJNSH_6TensorESM_SM_EERKSM_lbbbEUlllE0_EEPmJS6_EEE10hipError_tPvRmT3_T4_T5_T6_T7_T9_mT8_P12ihipStream_tbDpT10_ENKUlT_T0_E_clISt17integral_constantIbLb1EES1C_EEDaS17_S18_EUlS17_E_NS1_11comp_targetILNS1_3genE8ELNS1_11target_archE1030ELNS1_3gpuE2ELNS1_3repE0EEENS1_30default_config_static_selectorELNS0_4arch9wavefront6targetE0EEEvT1_,"axG",@progbits,_ZN7rocprim17ROCPRIM_400000_NS6detail17trampoline_kernelINS0_14default_configENS1_25partition_config_selectorILNS1_17partition_subalgoE8ElNS0_10empty_typeEbEEZZNS1_14partition_implILS5_8ELb0ES3_jPlPS6_PKS6_NS0_5tupleIJS9_S6_EEENSD_IJSA_SA_EEENS0_18inequality_wrapperIZN2at6native12_GLOBAL__N_124unique_dim_cuda_templateImEESt5tupleIJNSH_6TensorESM_SM_EERKSM_lbbbEUlllE0_EEPmJS6_EEE10hipError_tPvRmT3_T4_T5_T6_T7_T9_mT8_P12ihipStream_tbDpT10_ENKUlT_T0_E_clISt17integral_constantIbLb1EES1C_EEDaS17_S18_EUlS17_E_NS1_11comp_targetILNS1_3genE8ELNS1_11target_archE1030ELNS1_3gpuE2ELNS1_3repE0EEENS1_30default_config_static_selectorELNS0_4arch9wavefront6targetE0EEEvT1_,comdat
.Lfunc_end1676:
	.size	_ZN7rocprim17ROCPRIM_400000_NS6detail17trampoline_kernelINS0_14default_configENS1_25partition_config_selectorILNS1_17partition_subalgoE8ElNS0_10empty_typeEbEEZZNS1_14partition_implILS5_8ELb0ES3_jPlPS6_PKS6_NS0_5tupleIJS9_S6_EEENSD_IJSA_SA_EEENS0_18inequality_wrapperIZN2at6native12_GLOBAL__N_124unique_dim_cuda_templateImEESt5tupleIJNSH_6TensorESM_SM_EERKSM_lbbbEUlllE0_EEPmJS6_EEE10hipError_tPvRmT3_T4_T5_T6_T7_T9_mT8_P12ihipStream_tbDpT10_ENKUlT_T0_E_clISt17integral_constantIbLb1EES1C_EEDaS17_S18_EUlS17_E_NS1_11comp_targetILNS1_3genE8ELNS1_11target_archE1030ELNS1_3gpuE2ELNS1_3repE0EEENS1_30default_config_static_selectorELNS0_4arch9wavefront6targetE0EEEvT1_, .Lfunc_end1676-_ZN7rocprim17ROCPRIM_400000_NS6detail17trampoline_kernelINS0_14default_configENS1_25partition_config_selectorILNS1_17partition_subalgoE8ElNS0_10empty_typeEbEEZZNS1_14partition_implILS5_8ELb0ES3_jPlPS6_PKS6_NS0_5tupleIJS9_S6_EEENSD_IJSA_SA_EEENS0_18inequality_wrapperIZN2at6native12_GLOBAL__N_124unique_dim_cuda_templateImEESt5tupleIJNSH_6TensorESM_SM_EERKSM_lbbbEUlllE0_EEPmJS6_EEE10hipError_tPvRmT3_T4_T5_T6_T7_T9_mT8_P12ihipStream_tbDpT10_ENKUlT_T0_E_clISt17integral_constantIbLb1EES1C_EEDaS17_S18_EUlS17_E_NS1_11comp_targetILNS1_3genE8ELNS1_11target_archE1030ELNS1_3gpuE2ELNS1_3repE0EEENS1_30default_config_static_selectorELNS0_4arch9wavefront6targetE0EEEvT1_
                                        ; -- End function
	.section	.AMDGPU.csdata,"",@progbits
; Kernel info:
; codeLenInByte = 0
; NumSgprs: 0
; NumVgprs: 0
; ScratchSize: 0
; MemoryBound: 0
; FloatMode: 240
; IeeeMode: 1
; LDSByteSize: 0 bytes/workgroup (compile time only)
; SGPRBlocks: 0
; VGPRBlocks: 0
; NumSGPRsForWavesPerEU: 1
; NumVGPRsForWavesPerEU: 1
; Occupancy: 16
; WaveLimiterHint : 0
; COMPUTE_PGM_RSRC2:SCRATCH_EN: 0
; COMPUTE_PGM_RSRC2:USER_SGPR: 15
; COMPUTE_PGM_RSRC2:TRAP_HANDLER: 0
; COMPUTE_PGM_RSRC2:TGID_X_EN: 1
; COMPUTE_PGM_RSRC2:TGID_Y_EN: 0
; COMPUTE_PGM_RSRC2:TGID_Z_EN: 0
; COMPUTE_PGM_RSRC2:TIDIG_COMP_CNT: 0
	.section	.text._ZN7rocprim17ROCPRIM_400000_NS6detail17trampoline_kernelINS0_14default_configENS1_25partition_config_selectorILNS1_17partition_subalgoE8ElNS0_10empty_typeEbEEZZNS1_14partition_implILS5_8ELb0ES3_jPlPS6_PKS6_NS0_5tupleIJS9_S6_EEENSD_IJSA_SA_EEENS0_18inequality_wrapperIZN2at6native12_GLOBAL__N_124unique_dim_cuda_templateImEESt5tupleIJNSH_6TensorESM_SM_EERKSM_lbbbEUlllE0_EEPmJS6_EEE10hipError_tPvRmT3_T4_T5_T6_T7_T9_mT8_P12ihipStream_tbDpT10_ENKUlT_T0_E_clISt17integral_constantIbLb1EES1B_IbLb0EEEEDaS17_S18_EUlS17_E_NS1_11comp_targetILNS1_3genE0ELNS1_11target_archE4294967295ELNS1_3gpuE0ELNS1_3repE0EEENS1_30default_config_static_selectorELNS0_4arch9wavefront6targetE0EEEvT1_,"axG",@progbits,_ZN7rocprim17ROCPRIM_400000_NS6detail17trampoline_kernelINS0_14default_configENS1_25partition_config_selectorILNS1_17partition_subalgoE8ElNS0_10empty_typeEbEEZZNS1_14partition_implILS5_8ELb0ES3_jPlPS6_PKS6_NS0_5tupleIJS9_S6_EEENSD_IJSA_SA_EEENS0_18inequality_wrapperIZN2at6native12_GLOBAL__N_124unique_dim_cuda_templateImEESt5tupleIJNSH_6TensorESM_SM_EERKSM_lbbbEUlllE0_EEPmJS6_EEE10hipError_tPvRmT3_T4_T5_T6_T7_T9_mT8_P12ihipStream_tbDpT10_ENKUlT_T0_E_clISt17integral_constantIbLb1EES1B_IbLb0EEEEDaS17_S18_EUlS17_E_NS1_11comp_targetILNS1_3genE0ELNS1_11target_archE4294967295ELNS1_3gpuE0ELNS1_3repE0EEENS1_30default_config_static_selectorELNS0_4arch9wavefront6targetE0EEEvT1_,comdat
	.globl	_ZN7rocprim17ROCPRIM_400000_NS6detail17trampoline_kernelINS0_14default_configENS1_25partition_config_selectorILNS1_17partition_subalgoE8ElNS0_10empty_typeEbEEZZNS1_14partition_implILS5_8ELb0ES3_jPlPS6_PKS6_NS0_5tupleIJS9_S6_EEENSD_IJSA_SA_EEENS0_18inequality_wrapperIZN2at6native12_GLOBAL__N_124unique_dim_cuda_templateImEESt5tupleIJNSH_6TensorESM_SM_EERKSM_lbbbEUlllE0_EEPmJS6_EEE10hipError_tPvRmT3_T4_T5_T6_T7_T9_mT8_P12ihipStream_tbDpT10_ENKUlT_T0_E_clISt17integral_constantIbLb1EES1B_IbLb0EEEEDaS17_S18_EUlS17_E_NS1_11comp_targetILNS1_3genE0ELNS1_11target_archE4294967295ELNS1_3gpuE0ELNS1_3repE0EEENS1_30default_config_static_selectorELNS0_4arch9wavefront6targetE0EEEvT1_ ; -- Begin function _ZN7rocprim17ROCPRIM_400000_NS6detail17trampoline_kernelINS0_14default_configENS1_25partition_config_selectorILNS1_17partition_subalgoE8ElNS0_10empty_typeEbEEZZNS1_14partition_implILS5_8ELb0ES3_jPlPS6_PKS6_NS0_5tupleIJS9_S6_EEENSD_IJSA_SA_EEENS0_18inequality_wrapperIZN2at6native12_GLOBAL__N_124unique_dim_cuda_templateImEESt5tupleIJNSH_6TensorESM_SM_EERKSM_lbbbEUlllE0_EEPmJS6_EEE10hipError_tPvRmT3_T4_T5_T6_T7_T9_mT8_P12ihipStream_tbDpT10_ENKUlT_T0_E_clISt17integral_constantIbLb1EES1B_IbLb0EEEEDaS17_S18_EUlS17_E_NS1_11comp_targetILNS1_3genE0ELNS1_11target_archE4294967295ELNS1_3gpuE0ELNS1_3repE0EEENS1_30default_config_static_selectorELNS0_4arch9wavefront6targetE0EEEvT1_
	.p2align	8
	.type	_ZN7rocprim17ROCPRIM_400000_NS6detail17trampoline_kernelINS0_14default_configENS1_25partition_config_selectorILNS1_17partition_subalgoE8ElNS0_10empty_typeEbEEZZNS1_14partition_implILS5_8ELb0ES3_jPlPS6_PKS6_NS0_5tupleIJS9_S6_EEENSD_IJSA_SA_EEENS0_18inequality_wrapperIZN2at6native12_GLOBAL__N_124unique_dim_cuda_templateImEESt5tupleIJNSH_6TensorESM_SM_EERKSM_lbbbEUlllE0_EEPmJS6_EEE10hipError_tPvRmT3_T4_T5_T6_T7_T9_mT8_P12ihipStream_tbDpT10_ENKUlT_T0_E_clISt17integral_constantIbLb1EES1B_IbLb0EEEEDaS17_S18_EUlS17_E_NS1_11comp_targetILNS1_3genE0ELNS1_11target_archE4294967295ELNS1_3gpuE0ELNS1_3repE0EEENS1_30default_config_static_selectorELNS0_4arch9wavefront6targetE0EEEvT1_,@function
_ZN7rocprim17ROCPRIM_400000_NS6detail17trampoline_kernelINS0_14default_configENS1_25partition_config_selectorILNS1_17partition_subalgoE8ElNS0_10empty_typeEbEEZZNS1_14partition_implILS5_8ELb0ES3_jPlPS6_PKS6_NS0_5tupleIJS9_S6_EEENSD_IJSA_SA_EEENS0_18inequality_wrapperIZN2at6native12_GLOBAL__N_124unique_dim_cuda_templateImEESt5tupleIJNSH_6TensorESM_SM_EERKSM_lbbbEUlllE0_EEPmJS6_EEE10hipError_tPvRmT3_T4_T5_T6_T7_T9_mT8_P12ihipStream_tbDpT10_ENKUlT_T0_E_clISt17integral_constantIbLb1EES1B_IbLb0EEEEDaS17_S18_EUlS17_E_NS1_11comp_targetILNS1_3genE0ELNS1_11target_archE4294967295ELNS1_3gpuE0ELNS1_3repE0EEENS1_30default_config_static_selectorELNS0_4arch9wavefront6targetE0EEEvT1_: ; @_ZN7rocprim17ROCPRIM_400000_NS6detail17trampoline_kernelINS0_14default_configENS1_25partition_config_selectorILNS1_17partition_subalgoE8ElNS0_10empty_typeEbEEZZNS1_14partition_implILS5_8ELb0ES3_jPlPS6_PKS6_NS0_5tupleIJS9_S6_EEENSD_IJSA_SA_EEENS0_18inequality_wrapperIZN2at6native12_GLOBAL__N_124unique_dim_cuda_templateImEESt5tupleIJNSH_6TensorESM_SM_EERKSM_lbbbEUlllE0_EEPmJS6_EEE10hipError_tPvRmT3_T4_T5_T6_T7_T9_mT8_P12ihipStream_tbDpT10_ENKUlT_T0_E_clISt17integral_constantIbLb1EES1B_IbLb0EEEEDaS17_S18_EUlS17_E_NS1_11comp_targetILNS1_3genE0ELNS1_11target_archE4294967295ELNS1_3gpuE0ELNS1_3repE0EEENS1_30default_config_static_selectorELNS0_4arch9wavefront6targetE0EEEvT1_
; %bb.0:
	.section	.rodata,"a",@progbits
	.p2align	6, 0x0
	.amdhsa_kernel _ZN7rocprim17ROCPRIM_400000_NS6detail17trampoline_kernelINS0_14default_configENS1_25partition_config_selectorILNS1_17partition_subalgoE8ElNS0_10empty_typeEbEEZZNS1_14partition_implILS5_8ELb0ES3_jPlPS6_PKS6_NS0_5tupleIJS9_S6_EEENSD_IJSA_SA_EEENS0_18inequality_wrapperIZN2at6native12_GLOBAL__N_124unique_dim_cuda_templateImEESt5tupleIJNSH_6TensorESM_SM_EERKSM_lbbbEUlllE0_EEPmJS6_EEE10hipError_tPvRmT3_T4_T5_T6_T7_T9_mT8_P12ihipStream_tbDpT10_ENKUlT_T0_E_clISt17integral_constantIbLb1EES1B_IbLb0EEEEDaS17_S18_EUlS17_E_NS1_11comp_targetILNS1_3genE0ELNS1_11target_archE4294967295ELNS1_3gpuE0ELNS1_3repE0EEENS1_30default_config_static_selectorELNS0_4arch9wavefront6targetE0EEEvT1_
		.amdhsa_group_segment_fixed_size 0
		.amdhsa_private_segment_fixed_size 0
		.amdhsa_kernarg_size 120
		.amdhsa_user_sgpr_count 15
		.amdhsa_user_sgpr_dispatch_ptr 0
		.amdhsa_user_sgpr_queue_ptr 0
		.amdhsa_user_sgpr_kernarg_segment_ptr 1
		.amdhsa_user_sgpr_dispatch_id 0
		.amdhsa_user_sgpr_private_segment_size 0
		.amdhsa_wavefront_size32 1
		.amdhsa_uses_dynamic_stack 0
		.amdhsa_enable_private_segment 0
		.amdhsa_system_sgpr_workgroup_id_x 1
		.amdhsa_system_sgpr_workgroup_id_y 0
		.amdhsa_system_sgpr_workgroup_id_z 0
		.amdhsa_system_sgpr_workgroup_info 0
		.amdhsa_system_vgpr_workitem_id 0
		.amdhsa_next_free_vgpr 1
		.amdhsa_next_free_sgpr 1
		.amdhsa_reserve_vcc 0
		.amdhsa_float_round_mode_32 0
		.amdhsa_float_round_mode_16_64 0
		.amdhsa_float_denorm_mode_32 3
		.amdhsa_float_denorm_mode_16_64 3
		.amdhsa_dx10_clamp 1
		.amdhsa_ieee_mode 1
		.amdhsa_fp16_overflow 0
		.amdhsa_workgroup_processor_mode 1
		.amdhsa_memory_ordered 1
		.amdhsa_forward_progress 0
		.amdhsa_shared_vgpr_count 0
		.amdhsa_exception_fp_ieee_invalid_op 0
		.amdhsa_exception_fp_denorm_src 0
		.amdhsa_exception_fp_ieee_div_zero 0
		.amdhsa_exception_fp_ieee_overflow 0
		.amdhsa_exception_fp_ieee_underflow 0
		.amdhsa_exception_fp_ieee_inexact 0
		.amdhsa_exception_int_div_zero 0
	.end_amdhsa_kernel
	.section	.text._ZN7rocprim17ROCPRIM_400000_NS6detail17trampoline_kernelINS0_14default_configENS1_25partition_config_selectorILNS1_17partition_subalgoE8ElNS0_10empty_typeEbEEZZNS1_14partition_implILS5_8ELb0ES3_jPlPS6_PKS6_NS0_5tupleIJS9_S6_EEENSD_IJSA_SA_EEENS0_18inequality_wrapperIZN2at6native12_GLOBAL__N_124unique_dim_cuda_templateImEESt5tupleIJNSH_6TensorESM_SM_EERKSM_lbbbEUlllE0_EEPmJS6_EEE10hipError_tPvRmT3_T4_T5_T6_T7_T9_mT8_P12ihipStream_tbDpT10_ENKUlT_T0_E_clISt17integral_constantIbLb1EES1B_IbLb0EEEEDaS17_S18_EUlS17_E_NS1_11comp_targetILNS1_3genE0ELNS1_11target_archE4294967295ELNS1_3gpuE0ELNS1_3repE0EEENS1_30default_config_static_selectorELNS0_4arch9wavefront6targetE0EEEvT1_,"axG",@progbits,_ZN7rocprim17ROCPRIM_400000_NS6detail17trampoline_kernelINS0_14default_configENS1_25partition_config_selectorILNS1_17partition_subalgoE8ElNS0_10empty_typeEbEEZZNS1_14partition_implILS5_8ELb0ES3_jPlPS6_PKS6_NS0_5tupleIJS9_S6_EEENSD_IJSA_SA_EEENS0_18inequality_wrapperIZN2at6native12_GLOBAL__N_124unique_dim_cuda_templateImEESt5tupleIJNSH_6TensorESM_SM_EERKSM_lbbbEUlllE0_EEPmJS6_EEE10hipError_tPvRmT3_T4_T5_T6_T7_T9_mT8_P12ihipStream_tbDpT10_ENKUlT_T0_E_clISt17integral_constantIbLb1EES1B_IbLb0EEEEDaS17_S18_EUlS17_E_NS1_11comp_targetILNS1_3genE0ELNS1_11target_archE4294967295ELNS1_3gpuE0ELNS1_3repE0EEENS1_30default_config_static_selectorELNS0_4arch9wavefront6targetE0EEEvT1_,comdat
.Lfunc_end1677:
	.size	_ZN7rocprim17ROCPRIM_400000_NS6detail17trampoline_kernelINS0_14default_configENS1_25partition_config_selectorILNS1_17partition_subalgoE8ElNS0_10empty_typeEbEEZZNS1_14partition_implILS5_8ELb0ES3_jPlPS6_PKS6_NS0_5tupleIJS9_S6_EEENSD_IJSA_SA_EEENS0_18inequality_wrapperIZN2at6native12_GLOBAL__N_124unique_dim_cuda_templateImEESt5tupleIJNSH_6TensorESM_SM_EERKSM_lbbbEUlllE0_EEPmJS6_EEE10hipError_tPvRmT3_T4_T5_T6_T7_T9_mT8_P12ihipStream_tbDpT10_ENKUlT_T0_E_clISt17integral_constantIbLb1EES1B_IbLb0EEEEDaS17_S18_EUlS17_E_NS1_11comp_targetILNS1_3genE0ELNS1_11target_archE4294967295ELNS1_3gpuE0ELNS1_3repE0EEENS1_30default_config_static_selectorELNS0_4arch9wavefront6targetE0EEEvT1_, .Lfunc_end1677-_ZN7rocprim17ROCPRIM_400000_NS6detail17trampoline_kernelINS0_14default_configENS1_25partition_config_selectorILNS1_17partition_subalgoE8ElNS0_10empty_typeEbEEZZNS1_14partition_implILS5_8ELb0ES3_jPlPS6_PKS6_NS0_5tupleIJS9_S6_EEENSD_IJSA_SA_EEENS0_18inequality_wrapperIZN2at6native12_GLOBAL__N_124unique_dim_cuda_templateImEESt5tupleIJNSH_6TensorESM_SM_EERKSM_lbbbEUlllE0_EEPmJS6_EEE10hipError_tPvRmT3_T4_T5_T6_T7_T9_mT8_P12ihipStream_tbDpT10_ENKUlT_T0_E_clISt17integral_constantIbLb1EES1B_IbLb0EEEEDaS17_S18_EUlS17_E_NS1_11comp_targetILNS1_3genE0ELNS1_11target_archE4294967295ELNS1_3gpuE0ELNS1_3repE0EEENS1_30default_config_static_selectorELNS0_4arch9wavefront6targetE0EEEvT1_
                                        ; -- End function
	.section	.AMDGPU.csdata,"",@progbits
; Kernel info:
; codeLenInByte = 0
; NumSgprs: 0
; NumVgprs: 0
; ScratchSize: 0
; MemoryBound: 0
; FloatMode: 240
; IeeeMode: 1
; LDSByteSize: 0 bytes/workgroup (compile time only)
; SGPRBlocks: 0
; VGPRBlocks: 0
; NumSGPRsForWavesPerEU: 1
; NumVGPRsForWavesPerEU: 1
; Occupancy: 16
; WaveLimiterHint : 0
; COMPUTE_PGM_RSRC2:SCRATCH_EN: 0
; COMPUTE_PGM_RSRC2:USER_SGPR: 15
; COMPUTE_PGM_RSRC2:TRAP_HANDLER: 0
; COMPUTE_PGM_RSRC2:TGID_X_EN: 1
; COMPUTE_PGM_RSRC2:TGID_Y_EN: 0
; COMPUTE_PGM_RSRC2:TGID_Z_EN: 0
; COMPUTE_PGM_RSRC2:TIDIG_COMP_CNT: 0
	.section	.text._ZN7rocprim17ROCPRIM_400000_NS6detail17trampoline_kernelINS0_14default_configENS1_25partition_config_selectorILNS1_17partition_subalgoE8ElNS0_10empty_typeEbEEZZNS1_14partition_implILS5_8ELb0ES3_jPlPS6_PKS6_NS0_5tupleIJS9_S6_EEENSD_IJSA_SA_EEENS0_18inequality_wrapperIZN2at6native12_GLOBAL__N_124unique_dim_cuda_templateImEESt5tupleIJNSH_6TensorESM_SM_EERKSM_lbbbEUlllE0_EEPmJS6_EEE10hipError_tPvRmT3_T4_T5_T6_T7_T9_mT8_P12ihipStream_tbDpT10_ENKUlT_T0_E_clISt17integral_constantIbLb1EES1B_IbLb0EEEEDaS17_S18_EUlS17_E_NS1_11comp_targetILNS1_3genE5ELNS1_11target_archE942ELNS1_3gpuE9ELNS1_3repE0EEENS1_30default_config_static_selectorELNS0_4arch9wavefront6targetE0EEEvT1_,"axG",@progbits,_ZN7rocprim17ROCPRIM_400000_NS6detail17trampoline_kernelINS0_14default_configENS1_25partition_config_selectorILNS1_17partition_subalgoE8ElNS0_10empty_typeEbEEZZNS1_14partition_implILS5_8ELb0ES3_jPlPS6_PKS6_NS0_5tupleIJS9_S6_EEENSD_IJSA_SA_EEENS0_18inequality_wrapperIZN2at6native12_GLOBAL__N_124unique_dim_cuda_templateImEESt5tupleIJNSH_6TensorESM_SM_EERKSM_lbbbEUlllE0_EEPmJS6_EEE10hipError_tPvRmT3_T4_T5_T6_T7_T9_mT8_P12ihipStream_tbDpT10_ENKUlT_T0_E_clISt17integral_constantIbLb1EES1B_IbLb0EEEEDaS17_S18_EUlS17_E_NS1_11comp_targetILNS1_3genE5ELNS1_11target_archE942ELNS1_3gpuE9ELNS1_3repE0EEENS1_30default_config_static_selectorELNS0_4arch9wavefront6targetE0EEEvT1_,comdat
	.globl	_ZN7rocprim17ROCPRIM_400000_NS6detail17trampoline_kernelINS0_14default_configENS1_25partition_config_selectorILNS1_17partition_subalgoE8ElNS0_10empty_typeEbEEZZNS1_14partition_implILS5_8ELb0ES3_jPlPS6_PKS6_NS0_5tupleIJS9_S6_EEENSD_IJSA_SA_EEENS0_18inequality_wrapperIZN2at6native12_GLOBAL__N_124unique_dim_cuda_templateImEESt5tupleIJNSH_6TensorESM_SM_EERKSM_lbbbEUlllE0_EEPmJS6_EEE10hipError_tPvRmT3_T4_T5_T6_T7_T9_mT8_P12ihipStream_tbDpT10_ENKUlT_T0_E_clISt17integral_constantIbLb1EES1B_IbLb0EEEEDaS17_S18_EUlS17_E_NS1_11comp_targetILNS1_3genE5ELNS1_11target_archE942ELNS1_3gpuE9ELNS1_3repE0EEENS1_30default_config_static_selectorELNS0_4arch9wavefront6targetE0EEEvT1_ ; -- Begin function _ZN7rocprim17ROCPRIM_400000_NS6detail17trampoline_kernelINS0_14default_configENS1_25partition_config_selectorILNS1_17partition_subalgoE8ElNS0_10empty_typeEbEEZZNS1_14partition_implILS5_8ELb0ES3_jPlPS6_PKS6_NS0_5tupleIJS9_S6_EEENSD_IJSA_SA_EEENS0_18inequality_wrapperIZN2at6native12_GLOBAL__N_124unique_dim_cuda_templateImEESt5tupleIJNSH_6TensorESM_SM_EERKSM_lbbbEUlllE0_EEPmJS6_EEE10hipError_tPvRmT3_T4_T5_T6_T7_T9_mT8_P12ihipStream_tbDpT10_ENKUlT_T0_E_clISt17integral_constantIbLb1EES1B_IbLb0EEEEDaS17_S18_EUlS17_E_NS1_11comp_targetILNS1_3genE5ELNS1_11target_archE942ELNS1_3gpuE9ELNS1_3repE0EEENS1_30default_config_static_selectorELNS0_4arch9wavefront6targetE0EEEvT1_
	.p2align	8
	.type	_ZN7rocprim17ROCPRIM_400000_NS6detail17trampoline_kernelINS0_14default_configENS1_25partition_config_selectorILNS1_17partition_subalgoE8ElNS0_10empty_typeEbEEZZNS1_14partition_implILS5_8ELb0ES3_jPlPS6_PKS6_NS0_5tupleIJS9_S6_EEENSD_IJSA_SA_EEENS0_18inequality_wrapperIZN2at6native12_GLOBAL__N_124unique_dim_cuda_templateImEESt5tupleIJNSH_6TensorESM_SM_EERKSM_lbbbEUlllE0_EEPmJS6_EEE10hipError_tPvRmT3_T4_T5_T6_T7_T9_mT8_P12ihipStream_tbDpT10_ENKUlT_T0_E_clISt17integral_constantIbLb1EES1B_IbLb0EEEEDaS17_S18_EUlS17_E_NS1_11comp_targetILNS1_3genE5ELNS1_11target_archE942ELNS1_3gpuE9ELNS1_3repE0EEENS1_30default_config_static_selectorELNS0_4arch9wavefront6targetE0EEEvT1_,@function
_ZN7rocprim17ROCPRIM_400000_NS6detail17trampoline_kernelINS0_14default_configENS1_25partition_config_selectorILNS1_17partition_subalgoE8ElNS0_10empty_typeEbEEZZNS1_14partition_implILS5_8ELb0ES3_jPlPS6_PKS6_NS0_5tupleIJS9_S6_EEENSD_IJSA_SA_EEENS0_18inequality_wrapperIZN2at6native12_GLOBAL__N_124unique_dim_cuda_templateImEESt5tupleIJNSH_6TensorESM_SM_EERKSM_lbbbEUlllE0_EEPmJS6_EEE10hipError_tPvRmT3_T4_T5_T6_T7_T9_mT8_P12ihipStream_tbDpT10_ENKUlT_T0_E_clISt17integral_constantIbLb1EES1B_IbLb0EEEEDaS17_S18_EUlS17_E_NS1_11comp_targetILNS1_3genE5ELNS1_11target_archE942ELNS1_3gpuE9ELNS1_3repE0EEENS1_30default_config_static_selectorELNS0_4arch9wavefront6targetE0EEEvT1_: ; @_ZN7rocprim17ROCPRIM_400000_NS6detail17trampoline_kernelINS0_14default_configENS1_25partition_config_selectorILNS1_17partition_subalgoE8ElNS0_10empty_typeEbEEZZNS1_14partition_implILS5_8ELb0ES3_jPlPS6_PKS6_NS0_5tupleIJS9_S6_EEENSD_IJSA_SA_EEENS0_18inequality_wrapperIZN2at6native12_GLOBAL__N_124unique_dim_cuda_templateImEESt5tupleIJNSH_6TensorESM_SM_EERKSM_lbbbEUlllE0_EEPmJS6_EEE10hipError_tPvRmT3_T4_T5_T6_T7_T9_mT8_P12ihipStream_tbDpT10_ENKUlT_T0_E_clISt17integral_constantIbLb1EES1B_IbLb0EEEEDaS17_S18_EUlS17_E_NS1_11comp_targetILNS1_3genE5ELNS1_11target_archE942ELNS1_3gpuE9ELNS1_3repE0EEENS1_30default_config_static_selectorELNS0_4arch9wavefront6targetE0EEEvT1_
; %bb.0:
	.section	.rodata,"a",@progbits
	.p2align	6, 0x0
	.amdhsa_kernel _ZN7rocprim17ROCPRIM_400000_NS6detail17trampoline_kernelINS0_14default_configENS1_25partition_config_selectorILNS1_17partition_subalgoE8ElNS0_10empty_typeEbEEZZNS1_14partition_implILS5_8ELb0ES3_jPlPS6_PKS6_NS0_5tupleIJS9_S6_EEENSD_IJSA_SA_EEENS0_18inequality_wrapperIZN2at6native12_GLOBAL__N_124unique_dim_cuda_templateImEESt5tupleIJNSH_6TensorESM_SM_EERKSM_lbbbEUlllE0_EEPmJS6_EEE10hipError_tPvRmT3_T4_T5_T6_T7_T9_mT8_P12ihipStream_tbDpT10_ENKUlT_T0_E_clISt17integral_constantIbLb1EES1B_IbLb0EEEEDaS17_S18_EUlS17_E_NS1_11comp_targetILNS1_3genE5ELNS1_11target_archE942ELNS1_3gpuE9ELNS1_3repE0EEENS1_30default_config_static_selectorELNS0_4arch9wavefront6targetE0EEEvT1_
		.amdhsa_group_segment_fixed_size 0
		.amdhsa_private_segment_fixed_size 0
		.amdhsa_kernarg_size 120
		.amdhsa_user_sgpr_count 15
		.amdhsa_user_sgpr_dispatch_ptr 0
		.amdhsa_user_sgpr_queue_ptr 0
		.amdhsa_user_sgpr_kernarg_segment_ptr 1
		.amdhsa_user_sgpr_dispatch_id 0
		.amdhsa_user_sgpr_private_segment_size 0
		.amdhsa_wavefront_size32 1
		.amdhsa_uses_dynamic_stack 0
		.amdhsa_enable_private_segment 0
		.amdhsa_system_sgpr_workgroup_id_x 1
		.amdhsa_system_sgpr_workgroup_id_y 0
		.amdhsa_system_sgpr_workgroup_id_z 0
		.amdhsa_system_sgpr_workgroup_info 0
		.amdhsa_system_vgpr_workitem_id 0
		.amdhsa_next_free_vgpr 1
		.amdhsa_next_free_sgpr 1
		.amdhsa_reserve_vcc 0
		.amdhsa_float_round_mode_32 0
		.amdhsa_float_round_mode_16_64 0
		.amdhsa_float_denorm_mode_32 3
		.amdhsa_float_denorm_mode_16_64 3
		.amdhsa_dx10_clamp 1
		.amdhsa_ieee_mode 1
		.amdhsa_fp16_overflow 0
		.amdhsa_workgroup_processor_mode 1
		.amdhsa_memory_ordered 1
		.amdhsa_forward_progress 0
		.amdhsa_shared_vgpr_count 0
		.amdhsa_exception_fp_ieee_invalid_op 0
		.amdhsa_exception_fp_denorm_src 0
		.amdhsa_exception_fp_ieee_div_zero 0
		.amdhsa_exception_fp_ieee_overflow 0
		.amdhsa_exception_fp_ieee_underflow 0
		.amdhsa_exception_fp_ieee_inexact 0
		.amdhsa_exception_int_div_zero 0
	.end_amdhsa_kernel
	.section	.text._ZN7rocprim17ROCPRIM_400000_NS6detail17trampoline_kernelINS0_14default_configENS1_25partition_config_selectorILNS1_17partition_subalgoE8ElNS0_10empty_typeEbEEZZNS1_14partition_implILS5_8ELb0ES3_jPlPS6_PKS6_NS0_5tupleIJS9_S6_EEENSD_IJSA_SA_EEENS0_18inequality_wrapperIZN2at6native12_GLOBAL__N_124unique_dim_cuda_templateImEESt5tupleIJNSH_6TensorESM_SM_EERKSM_lbbbEUlllE0_EEPmJS6_EEE10hipError_tPvRmT3_T4_T5_T6_T7_T9_mT8_P12ihipStream_tbDpT10_ENKUlT_T0_E_clISt17integral_constantIbLb1EES1B_IbLb0EEEEDaS17_S18_EUlS17_E_NS1_11comp_targetILNS1_3genE5ELNS1_11target_archE942ELNS1_3gpuE9ELNS1_3repE0EEENS1_30default_config_static_selectorELNS0_4arch9wavefront6targetE0EEEvT1_,"axG",@progbits,_ZN7rocprim17ROCPRIM_400000_NS6detail17trampoline_kernelINS0_14default_configENS1_25partition_config_selectorILNS1_17partition_subalgoE8ElNS0_10empty_typeEbEEZZNS1_14partition_implILS5_8ELb0ES3_jPlPS6_PKS6_NS0_5tupleIJS9_S6_EEENSD_IJSA_SA_EEENS0_18inequality_wrapperIZN2at6native12_GLOBAL__N_124unique_dim_cuda_templateImEESt5tupleIJNSH_6TensorESM_SM_EERKSM_lbbbEUlllE0_EEPmJS6_EEE10hipError_tPvRmT3_T4_T5_T6_T7_T9_mT8_P12ihipStream_tbDpT10_ENKUlT_T0_E_clISt17integral_constantIbLb1EES1B_IbLb0EEEEDaS17_S18_EUlS17_E_NS1_11comp_targetILNS1_3genE5ELNS1_11target_archE942ELNS1_3gpuE9ELNS1_3repE0EEENS1_30default_config_static_selectorELNS0_4arch9wavefront6targetE0EEEvT1_,comdat
.Lfunc_end1678:
	.size	_ZN7rocprim17ROCPRIM_400000_NS6detail17trampoline_kernelINS0_14default_configENS1_25partition_config_selectorILNS1_17partition_subalgoE8ElNS0_10empty_typeEbEEZZNS1_14partition_implILS5_8ELb0ES3_jPlPS6_PKS6_NS0_5tupleIJS9_S6_EEENSD_IJSA_SA_EEENS0_18inequality_wrapperIZN2at6native12_GLOBAL__N_124unique_dim_cuda_templateImEESt5tupleIJNSH_6TensorESM_SM_EERKSM_lbbbEUlllE0_EEPmJS6_EEE10hipError_tPvRmT3_T4_T5_T6_T7_T9_mT8_P12ihipStream_tbDpT10_ENKUlT_T0_E_clISt17integral_constantIbLb1EES1B_IbLb0EEEEDaS17_S18_EUlS17_E_NS1_11comp_targetILNS1_3genE5ELNS1_11target_archE942ELNS1_3gpuE9ELNS1_3repE0EEENS1_30default_config_static_selectorELNS0_4arch9wavefront6targetE0EEEvT1_, .Lfunc_end1678-_ZN7rocprim17ROCPRIM_400000_NS6detail17trampoline_kernelINS0_14default_configENS1_25partition_config_selectorILNS1_17partition_subalgoE8ElNS0_10empty_typeEbEEZZNS1_14partition_implILS5_8ELb0ES3_jPlPS6_PKS6_NS0_5tupleIJS9_S6_EEENSD_IJSA_SA_EEENS0_18inequality_wrapperIZN2at6native12_GLOBAL__N_124unique_dim_cuda_templateImEESt5tupleIJNSH_6TensorESM_SM_EERKSM_lbbbEUlllE0_EEPmJS6_EEE10hipError_tPvRmT3_T4_T5_T6_T7_T9_mT8_P12ihipStream_tbDpT10_ENKUlT_T0_E_clISt17integral_constantIbLb1EES1B_IbLb0EEEEDaS17_S18_EUlS17_E_NS1_11comp_targetILNS1_3genE5ELNS1_11target_archE942ELNS1_3gpuE9ELNS1_3repE0EEENS1_30default_config_static_selectorELNS0_4arch9wavefront6targetE0EEEvT1_
                                        ; -- End function
	.section	.AMDGPU.csdata,"",@progbits
; Kernel info:
; codeLenInByte = 0
; NumSgprs: 0
; NumVgprs: 0
; ScratchSize: 0
; MemoryBound: 0
; FloatMode: 240
; IeeeMode: 1
; LDSByteSize: 0 bytes/workgroup (compile time only)
; SGPRBlocks: 0
; VGPRBlocks: 0
; NumSGPRsForWavesPerEU: 1
; NumVGPRsForWavesPerEU: 1
; Occupancy: 16
; WaveLimiterHint : 0
; COMPUTE_PGM_RSRC2:SCRATCH_EN: 0
; COMPUTE_PGM_RSRC2:USER_SGPR: 15
; COMPUTE_PGM_RSRC2:TRAP_HANDLER: 0
; COMPUTE_PGM_RSRC2:TGID_X_EN: 1
; COMPUTE_PGM_RSRC2:TGID_Y_EN: 0
; COMPUTE_PGM_RSRC2:TGID_Z_EN: 0
; COMPUTE_PGM_RSRC2:TIDIG_COMP_CNT: 0
	.section	.text._ZN7rocprim17ROCPRIM_400000_NS6detail17trampoline_kernelINS0_14default_configENS1_25partition_config_selectorILNS1_17partition_subalgoE8ElNS0_10empty_typeEbEEZZNS1_14partition_implILS5_8ELb0ES3_jPlPS6_PKS6_NS0_5tupleIJS9_S6_EEENSD_IJSA_SA_EEENS0_18inequality_wrapperIZN2at6native12_GLOBAL__N_124unique_dim_cuda_templateImEESt5tupleIJNSH_6TensorESM_SM_EERKSM_lbbbEUlllE0_EEPmJS6_EEE10hipError_tPvRmT3_T4_T5_T6_T7_T9_mT8_P12ihipStream_tbDpT10_ENKUlT_T0_E_clISt17integral_constantIbLb1EES1B_IbLb0EEEEDaS17_S18_EUlS17_E_NS1_11comp_targetILNS1_3genE4ELNS1_11target_archE910ELNS1_3gpuE8ELNS1_3repE0EEENS1_30default_config_static_selectorELNS0_4arch9wavefront6targetE0EEEvT1_,"axG",@progbits,_ZN7rocprim17ROCPRIM_400000_NS6detail17trampoline_kernelINS0_14default_configENS1_25partition_config_selectorILNS1_17partition_subalgoE8ElNS0_10empty_typeEbEEZZNS1_14partition_implILS5_8ELb0ES3_jPlPS6_PKS6_NS0_5tupleIJS9_S6_EEENSD_IJSA_SA_EEENS0_18inequality_wrapperIZN2at6native12_GLOBAL__N_124unique_dim_cuda_templateImEESt5tupleIJNSH_6TensorESM_SM_EERKSM_lbbbEUlllE0_EEPmJS6_EEE10hipError_tPvRmT3_T4_T5_T6_T7_T9_mT8_P12ihipStream_tbDpT10_ENKUlT_T0_E_clISt17integral_constantIbLb1EES1B_IbLb0EEEEDaS17_S18_EUlS17_E_NS1_11comp_targetILNS1_3genE4ELNS1_11target_archE910ELNS1_3gpuE8ELNS1_3repE0EEENS1_30default_config_static_selectorELNS0_4arch9wavefront6targetE0EEEvT1_,comdat
	.globl	_ZN7rocprim17ROCPRIM_400000_NS6detail17trampoline_kernelINS0_14default_configENS1_25partition_config_selectorILNS1_17partition_subalgoE8ElNS0_10empty_typeEbEEZZNS1_14partition_implILS5_8ELb0ES3_jPlPS6_PKS6_NS0_5tupleIJS9_S6_EEENSD_IJSA_SA_EEENS0_18inequality_wrapperIZN2at6native12_GLOBAL__N_124unique_dim_cuda_templateImEESt5tupleIJNSH_6TensorESM_SM_EERKSM_lbbbEUlllE0_EEPmJS6_EEE10hipError_tPvRmT3_T4_T5_T6_T7_T9_mT8_P12ihipStream_tbDpT10_ENKUlT_T0_E_clISt17integral_constantIbLb1EES1B_IbLb0EEEEDaS17_S18_EUlS17_E_NS1_11comp_targetILNS1_3genE4ELNS1_11target_archE910ELNS1_3gpuE8ELNS1_3repE0EEENS1_30default_config_static_selectorELNS0_4arch9wavefront6targetE0EEEvT1_ ; -- Begin function _ZN7rocprim17ROCPRIM_400000_NS6detail17trampoline_kernelINS0_14default_configENS1_25partition_config_selectorILNS1_17partition_subalgoE8ElNS0_10empty_typeEbEEZZNS1_14partition_implILS5_8ELb0ES3_jPlPS6_PKS6_NS0_5tupleIJS9_S6_EEENSD_IJSA_SA_EEENS0_18inequality_wrapperIZN2at6native12_GLOBAL__N_124unique_dim_cuda_templateImEESt5tupleIJNSH_6TensorESM_SM_EERKSM_lbbbEUlllE0_EEPmJS6_EEE10hipError_tPvRmT3_T4_T5_T6_T7_T9_mT8_P12ihipStream_tbDpT10_ENKUlT_T0_E_clISt17integral_constantIbLb1EES1B_IbLb0EEEEDaS17_S18_EUlS17_E_NS1_11comp_targetILNS1_3genE4ELNS1_11target_archE910ELNS1_3gpuE8ELNS1_3repE0EEENS1_30default_config_static_selectorELNS0_4arch9wavefront6targetE0EEEvT1_
	.p2align	8
	.type	_ZN7rocprim17ROCPRIM_400000_NS6detail17trampoline_kernelINS0_14default_configENS1_25partition_config_selectorILNS1_17partition_subalgoE8ElNS0_10empty_typeEbEEZZNS1_14partition_implILS5_8ELb0ES3_jPlPS6_PKS6_NS0_5tupleIJS9_S6_EEENSD_IJSA_SA_EEENS0_18inequality_wrapperIZN2at6native12_GLOBAL__N_124unique_dim_cuda_templateImEESt5tupleIJNSH_6TensorESM_SM_EERKSM_lbbbEUlllE0_EEPmJS6_EEE10hipError_tPvRmT3_T4_T5_T6_T7_T9_mT8_P12ihipStream_tbDpT10_ENKUlT_T0_E_clISt17integral_constantIbLb1EES1B_IbLb0EEEEDaS17_S18_EUlS17_E_NS1_11comp_targetILNS1_3genE4ELNS1_11target_archE910ELNS1_3gpuE8ELNS1_3repE0EEENS1_30default_config_static_selectorELNS0_4arch9wavefront6targetE0EEEvT1_,@function
_ZN7rocprim17ROCPRIM_400000_NS6detail17trampoline_kernelINS0_14default_configENS1_25partition_config_selectorILNS1_17partition_subalgoE8ElNS0_10empty_typeEbEEZZNS1_14partition_implILS5_8ELb0ES3_jPlPS6_PKS6_NS0_5tupleIJS9_S6_EEENSD_IJSA_SA_EEENS0_18inequality_wrapperIZN2at6native12_GLOBAL__N_124unique_dim_cuda_templateImEESt5tupleIJNSH_6TensorESM_SM_EERKSM_lbbbEUlllE0_EEPmJS6_EEE10hipError_tPvRmT3_T4_T5_T6_T7_T9_mT8_P12ihipStream_tbDpT10_ENKUlT_T0_E_clISt17integral_constantIbLb1EES1B_IbLb0EEEEDaS17_S18_EUlS17_E_NS1_11comp_targetILNS1_3genE4ELNS1_11target_archE910ELNS1_3gpuE8ELNS1_3repE0EEENS1_30default_config_static_selectorELNS0_4arch9wavefront6targetE0EEEvT1_: ; @_ZN7rocprim17ROCPRIM_400000_NS6detail17trampoline_kernelINS0_14default_configENS1_25partition_config_selectorILNS1_17partition_subalgoE8ElNS0_10empty_typeEbEEZZNS1_14partition_implILS5_8ELb0ES3_jPlPS6_PKS6_NS0_5tupleIJS9_S6_EEENSD_IJSA_SA_EEENS0_18inequality_wrapperIZN2at6native12_GLOBAL__N_124unique_dim_cuda_templateImEESt5tupleIJNSH_6TensorESM_SM_EERKSM_lbbbEUlllE0_EEPmJS6_EEE10hipError_tPvRmT3_T4_T5_T6_T7_T9_mT8_P12ihipStream_tbDpT10_ENKUlT_T0_E_clISt17integral_constantIbLb1EES1B_IbLb0EEEEDaS17_S18_EUlS17_E_NS1_11comp_targetILNS1_3genE4ELNS1_11target_archE910ELNS1_3gpuE8ELNS1_3repE0EEENS1_30default_config_static_selectorELNS0_4arch9wavefront6targetE0EEEvT1_
; %bb.0:
	.section	.rodata,"a",@progbits
	.p2align	6, 0x0
	.amdhsa_kernel _ZN7rocprim17ROCPRIM_400000_NS6detail17trampoline_kernelINS0_14default_configENS1_25partition_config_selectorILNS1_17partition_subalgoE8ElNS0_10empty_typeEbEEZZNS1_14partition_implILS5_8ELb0ES3_jPlPS6_PKS6_NS0_5tupleIJS9_S6_EEENSD_IJSA_SA_EEENS0_18inequality_wrapperIZN2at6native12_GLOBAL__N_124unique_dim_cuda_templateImEESt5tupleIJNSH_6TensorESM_SM_EERKSM_lbbbEUlllE0_EEPmJS6_EEE10hipError_tPvRmT3_T4_T5_T6_T7_T9_mT8_P12ihipStream_tbDpT10_ENKUlT_T0_E_clISt17integral_constantIbLb1EES1B_IbLb0EEEEDaS17_S18_EUlS17_E_NS1_11comp_targetILNS1_3genE4ELNS1_11target_archE910ELNS1_3gpuE8ELNS1_3repE0EEENS1_30default_config_static_selectorELNS0_4arch9wavefront6targetE0EEEvT1_
		.amdhsa_group_segment_fixed_size 0
		.amdhsa_private_segment_fixed_size 0
		.amdhsa_kernarg_size 120
		.amdhsa_user_sgpr_count 15
		.amdhsa_user_sgpr_dispatch_ptr 0
		.amdhsa_user_sgpr_queue_ptr 0
		.amdhsa_user_sgpr_kernarg_segment_ptr 1
		.amdhsa_user_sgpr_dispatch_id 0
		.amdhsa_user_sgpr_private_segment_size 0
		.amdhsa_wavefront_size32 1
		.amdhsa_uses_dynamic_stack 0
		.amdhsa_enable_private_segment 0
		.amdhsa_system_sgpr_workgroup_id_x 1
		.amdhsa_system_sgpr_workgroup_id_y 0
		.amdhsa_system_sgpr_workgroup_id_z 0
		.amdhsa_system_sgpr_workgroup_info 0
		.amdhsa_system_vgpr_workitem_id 0
		.amdhsa_next_free_vgpr 1
		.amdhsa_next_free_sgpr 1
		.amdhsa_reserve_vcc 0
		.amdhsa_float_round_mode_32 0
		.amdhsa_float_round_mode_16_64 0
		.amdhsa_float_denorm_mode_32 3
		.amdhsa_float_denorm_mode_16_64 3
		.amdhsa_dx10_clamp 1
		.amdhsa_ieee_mode 1
		.amdhsa_fp16_overflow 0
		.amdhsa_workgroup_processor_mode 1
		.amdhsa_memory_ordered 1
		.amdhsa_forward_progress 0
		.amdhsa_shared_vgpr_count 0
		.amdhsa_exception_fp_ieee_invalid_op 0
		.amdhsa_exception_fp_denorm_src 0
		.amdhsa_exception_fp_ieee_div_zero 0
		.amdhsa_exception_fp_ieee_overflow 0
		.amdhsa_exception_fp_ieee_underflow 0
		.amdhsa_exception_fp_ieee_inexact 0
		.amdhsa_exception_int_div_zero 0
	.end_amdhsa_kernel
	.section	.text._ZN7rocprim17ROCPRIM_400000_NS6detail17trampoline_kernelINS0_14default_configENS1_25partition_config_selectorILNS1_17partition_subalgoE8ElNS0_10empty_typeEbEEZZNS1_14partition_implILS5_8ELb0ES3_jPlPS6_PKS6_NS0_5tupleIJS9_S6_EEENSD_IJSA_SA_EEENS0_18inequality_wrapperIZN2at6native12_GLOBAL__N_124unique_dim_cuda_templateImEESt5tupleIJNSH_6TensorESM_SM_EERKSM_lbbbEUlllE0_EEPmJS6_EEE10hipError_tPvRmT3_T4_T5_T6_T7_T9_mT8_P12ihipStream_tbDpT10_ENKUlT_T0_E_clISt17integral_constantIbLb1EES1B_IbLb0EEEEDaS17_S18_EUlS17_E_NS1_11comp_targetILNS1_3genE4ELNS1_11target_archE910ELNS1_3gpuE8ELNS1_3repE0EEENS1_30default_config_static_selectorELNS0_4arch9wavefront6targetE0EEEvT1_,"axG",@progbits,_ZN7rocprim17ROCPRIM_400000_NS6detail17trampoline_kernelINS0_14default_configENS1_25partition_config_selectorILNS1_17partition_subalgoE8ElNS0_10empty_typeEbEEZZNS1_14partition_implILS5_8ELb0ES3_jPlPS6_PKS6_NS0_5tupleIJS9_S6_EEENSD_IJSA_SA_EEENS0_18inequality_wrapperIZN2at6native12_GLOBAL__N_124unique_dim_cuda_templateImEESt5tupleIJNSH_6TensorESM_SM_EERKSM_lbbbEUlllE0_EEPmJS6_EEE10hipError_tPvRmT3_T4_T5_T6_T7_T9_mT8_P12ihipStream_tbDpT10_ENKUlT_T0_E_clISt17integral_constantIbLb1EES1B_IbLb0EEEEDaS17_S18_EUlS17_E_NS1_11comp_targetILNS1_3genE4ELNS1_11target_archE910ELNS1_3gpuE8ELNS1_3repE0EEENS1_30default_config_static_selectorELNS0_4arch9wavefront6targetE0EEEvT1_,comdat
.Lfunc_end1679:
	.size	_ZN7rocprim17ROCPRIM_400000_NS6detail17trampoline_kernelINS0_14default_configENS1_25partition_config_selectorILNS1_17partition_subalgoE8ElNS0_10empty_typeEbEEZZNS1_14partition_implILS5_8ELb0ES3_jPlPS6_PKS6_NS0_5tupleIJS9_S6_EEENSD_IJSA_SA_EEENS0_18inequality_wrapperIZN2at6native12_GLOBAL__N_124unique_dim_cuda_templateImEESt5tupleIJNSH_6TensorESM_SM_EERKSM_lbbbEUlllE0_EEPmJS6_EEE10hipError_tPvRmT3_T4_T5_T6_T7_T9_mT8_P12ihipStream_tbDpT10_ENKUlT_T0_E_clISt17integral_constantIbLb1EES1B_IbLb0EEEEDaS17_S18_EUlS17_E_NS1_11comp_targetILNS1_3genE4ELNS1_11target_archE910ELNS1_3gpuE8ELNS1_3repE0EEENS1_30default_config_static_selectorELNS0_4arch9wavefront6targetE0EEEvT1_, .Lfunc_end1679-_ZN7rocprim17ROCPRIM_400000_NS6detail17trampoline_kernelINS0_14default_configENS1_25partition_config_selectorILNS1_17partition_subalgoE8ElNS0_10empty_typeEbEEZZNS1_14partition_implILS5_8ELb0ES3_jPlPS6_PKS6_NS0_5tupleIJS9_S6_EEENSD_IJSA_SA_EEENS0_18inequality_wrapperIZN2at6native12_GLOBAL__N_124unique_dim_cuda_templateImEESt5tupleIJNSH_6TensorESM_SM_EERKSM_lbbbEUlllE0_EEPmJS6_EEE10hipError_tPvRmT3_T4_T5_T6_T7_T9_mT8_P12ihipStream_tbDpT10_ENKUlT_T0_E_clISt17integral_constantIbLb1EES1B_IbLb0EEEEDaS17_S18_EUlS17_E_NS1_11comp_targetILNS1_3genE4ELNS1_11target_archE910ELNS1_3gpuE8ELNS1_3repE0EEENS1_30default_config_static_selectorELNS0_4arch9wavefront6targetE0EEEvT1_
                                        ; -- End function
	.section	.AMDGPU.csdata,"",@progbits
; Kernel info:
; codeLenInByte = 0
; NumSgprs: 0
; NumVgprs: 0
; ScratchSize: 0
; MemoryBound: 0
; FloatMode: 240
; IeeeMode: 1
; LDSByteSize: 0 bytes/workgroup (compile time only)
; SGPRBlocks: 0
; VGPRBlocks: 0
; NumSGPRsForWavesPerEU: 1
; NumVGPRsForWavesPerEU: 1
; Occupancy: 16
; WaveLimiterHint : 0
; COMPUTE_PGM_RSRC2:SCRATCH_EN: 0
; COMPUTE_PGM_RSRC2:USER_SGPR: 15
; COMPUTE_PGM_RSRC2:TRAP_HANDLER: 0
; COMPUTE_PGM_RSRC2:TGID_X_EN: 1
; COMPUTE_PGM_RSRC2:TGID_Y_EN: 0
; COMPUTE_PGM_RSRC2:TGID_Z_EN: 0
; COMPUTE_PGM_RSRC2:TIDIG_COMP_CNT: 0
	.section	.text._ZN7rocprim17ROCPRIM_400000_NS6detail17trampoline_kernelINS0_14default_configENS1_25partition_config_selectorILNS1_17partition_subalgoE8ElNS0_10empty_typeEbEEZZNS1_14partition_implILS5_8ELb0ES3_jPlPS6_PKS6_NS0_5tupleIJS9_S6_EEENSD_IJSA_SA_EEENS0_18inequality_wrapperIZN2at6native12_GLOBAL__N_124unique_dim_cuda_templateImEESt5tupleIJNSH_6TensorESM_SM_EERKSM_lbbbEUlllE0_EEPmJS6_EEE10hipError_tPvRmT3_T4_T5_T6_T7_T9_mT8_P12ihipStream_tbDpT10_ENKUlT_T0_E_clISt17integral_constantIbLb1EES1B_IbLb0EEEEDaS17_S18_EUlS17_E_NS1_11comp_targetILNS1_3genE3ELNS1_11target_archE908ELNS1_3gpuE7ELNS1_3repE0EEENS1_30default_config_static_selectorELNS0_4arch9wavefront6targetE0EEEvT1_,"axG",@progbits,_ZN7rocprim17ROCPRIM_400000_NS6detail17trampoline_kernelINS0_14default_configENS1_25partition_config_selectorILNS1_17partition_subalgoE8ElNS0_10empty_typeEbEEZZNS1_14partition_implILS5_8ELb0ES3_jPlPS6_PKS6_NS0_5tupleIJS9_S6_EEENSD_IJSA_SA_EEENS0_18inequality_wrapperIZN2at6native12_GLOBAL__N_124unique_dim_cuda_templateImEESt5tupleIJNSH_6TensorESM_SM_EERKSM_lbbbEUlllE0_EEPmJS6_EEE10hipError_tPvRmT3_T4_T5_T6_T7_T9_mT8_P12ihipStream_tbDpT10_ENKUlT_T0_E_clISt17integral_constantIbLb1EES1B_IbLb0EEEEDaS17_S18_EUlS17_E_NS1_11comp_targetILNS1_3genE3ELNS1_11target_archE908ELNS1_3gpuE7ELNS1_3repE0EEENS1_30default_config_static_selectorELNS0_4arch9wavefront6targetE0EEEvT1_,comdat
	.globl	_ZN7rocprim17ROCPRIM_400000_NS6detail17trampoline_kernelINS0_14default_configENS1_25partition_config_selectorILNS1_17partition_subalgoE8ElNS0_10empty_typeEbEEZZNS1_14partition_implILS5_8ELb0ES3_jPlPS6_PKS6_NS0_5tupleIJS9_S6_EEENSD_IJSA_SA_EEENS0_18inequality_wrapperIZN2at6native12_GLOBAL__N_124unique_dim_cuda_templateImEESt5tupleIJNSH_6TensorESM_SM_EERKSM_lbbbEUlllE0_EEPmJS6_EEE10hipError_tPvRmT3_T4_T5_T6_T7_T9_mT8_P12ihipStream_tbDpT10_ENKUlT_T0_E_clISt17integral_constantIbLb1EES1B_IbLb0EEEEDaS17_S18_EUlS17_E_NS1_11comp_targetILNS1_3genE3ELNS1_11target_archE908ELNS1_3gpuE7ELNS1_3repE0EEENS1_30default_config_static_selectorELNS0_4arch9wavefront6targetE0EEEvT1_ ; -- Begin function _ZN7rocprim17ROCPRIM_400000_NS6detail17trampoline_kernelINS0_14default_configENS1_25partition_config_selectorILNS1_17partition_subalgoE8ElNS0_10empty_typeEbEEZZNS1_14partition_implILS5_8ELb0ES3_jPlPS6_PKS6_NS0_5tupleIJS9_S6_EEENSD_IJSA_SA_EEENS0_18inequality_wrapperIZN2at6native12_GLOBAL__N_124unique_dim_cuda_templateImEESt5tupleIJNSH_6TensorESM_SM_EERKSM_lbbbEUlllE0_EEPmJS6_EEE10hipError_tPvRmT3_T4_T5_T6_T7_T9_mT8_P12ihipStream_tbDpT10_ENKUlT_T0_E_clISt17integral_constantIbLb1EES1B_IbLb0EEEEDaS17_S18_EUlS17_E_NS1_11comp_targetILNS1_3genE3ELNS1_11target_archE908ELNS1_3gpuE7ELNS1_3repE0EEENS1_30default_config_static_selectorELNS0_4arch9wavefront6targetE0EEEvT1_
	.p2align	8
	.type	_ZN7rocprim17ROCPRIM_400000_NS6detail17trampoline_kernelINS0_14default_configENS1_25partition_config_selectorILNS1_17partition_subalgoE8ElNS0_10empty_typeEbEEZZNS1_14partition_implILS5_8ELb0ES3_jPlPS6_PKS6_NS0_5tupleIJS9_S6_EEENSD_IJSA_SA_EEENS0_18inequality_wrapperIZN2at6native12_GLOBAL__N_124unique_dim_cuda_templateImEESt5tupleIJNSH_6TensorESM_SM_EERKSM_lbbbEUlllE0_EEPmJS6_EEE10hipError_tPvRmT3_T4_T5_T6_T7_T9_mT8_P12ihipStream_tbDpT10_ENKUlT_T0_E_clISt17integral_constantIbLb1EES1B_IbLb0EEEEDaS17_S18_EUlS17_E_NS1_11comp_targetILNS1_3genE3ELNS1_11target_archE908ELNS1_3gpuE7ELNS1_3repE0EEENS1_30default_config_static_selectorELNS0_4arch9wavefront6targetE0EEEvT1_,@function
_ZN7rocprim17ROCPRIM_400000_NS6detail17trampoline_kernelINS0_14default_configENS1_25partition_config_selectorILNS1_17partition_subalgoE8ElNS0_10empty_typeEbEEZZNS1_14partition_implILS5_8ELb0ES3_jPlPS6_PKS6_NS0_5tupleIJS9_S6_EEENSD_IJSA_SA_EEENS0_18inequality_wrapperIZN2at6native12_GLOBAL__N_124unique_dim_cuda_templateImEESt5tupleIJNSH_6TensorESM_SM_EERKSM_lbbbEUlllE0_EEPmJS6_EEE10hipError_tPvRmT3_T4_T5_T6_T7_T9_mT8_P12ihipStream_tbDpT10_ENKUlT_T0_E_clISt17integral_constantIbLb1EES1B_IbLb0EEEEDaS17_S18_EUlS17_E_NS1_11comp_targetILNS1_3genE3ELNS1_11target_archE908ELNS1_3gpuE7ELNS1_3repE0EEENS1_30default_config_static_selectorELNS0_4arch9wavefront6targetE0EEEvT1_: ; @_ZN7rocprim17ROCPRIM_400000_NS6detail17trampoline_kernelINS0_14default_configENS1_25partition_config_selectorILNS1_17partition_subalgoE8ElNS0_10empty_typeEbEEZZNS1_14partition_implILS5_8ELb0ES3_jPlPS6_PKS6_NS0_5tupleIJS9_S6_EEENSD_IJSA_SA_EEENS0_18inequality_wrapperIZN2at6native12_GLOBAL__N_124unique_dim_cuda_templateImEESt5tupleIJNSH_6TensorESM_SM_EERKSM_lbbbEUlllE0_EEPmJS6_EEE10hipError_tPvRmT3_T4_T5_T6_T7_T9_mT8_P12ihipStream_tbDpT10_ENKUlT_T0_E_clISt17integral_constantIbLb1EES1B_IbLb0EEEEDaS17_S18_EUlS17_E_NS1_11comp_targetILNS1_3genE3ELNS1_11target_archE908ELNS1_3gpuE7ELNS1_3repE0EEENS1_30default_config_static_selectorELNS0_4arch9wavefront6targetE0EEEvT1_
; %bb.0:
	.section	.rodata,"a",@progbits
	.p2align	6, 0x0
	.amdhsa_kernel _ZN7rocprim17ROCPRIM_400000_NS6detail17trampoline_kernelINS0_14default_configENS1_25partition_config_selectorILNS1_17partition_subalgoE8ElNS0_10empty_typeEbEEZZNS1_14partition_implILS5_8ELb0ES3_jPlPS6_PKS6_NS0_5tupleIJS9_S6_EEENSD_IJSA_SA_EEENS0_18inequality_wrapperIZN2at6native12_GLOBAL__N_124unique_dim_cuda_templateImEESt5tupleIJNSH_6TensorESM_SM_EERKSM_lbbbEUlllE0_EEPmJS6_EEE10hipError_tPvRmT3_T4_T5_T6_T7_T9_mT8_P12ihipStream_tbDpT10_ENKUlT_T0_E_clISt17integral_constantIbLb1EES1B_IbLb0EEEEDaS17_S18_EUlS17_E_NS1_11comp_targetILNS1_3genE3ELNS1_11target_archE908ELNS1_3gpuE7ELNS1_3repE0EEENS1_30default_config_static_selectorELNS0_4arch9wavefront6targetE0EEEvT1_
		.amdhsa_group_segment_fixed_size 0
		.amdhsa_private_segment_fixed_size 0
		.amdhsa_kernarg_size 120
		.amdhsa_user_sgpr_count 15
		.amdhsa_user_sgpr_dispatch_ptr 0
		.amdhsa_user_sgpr_queue_ptr 0
		.amdhsa_user_sgpr_kernarg_segment_ptr 1
		.amdhsa_user_sgpr_dispatch_id 0
		.amdhsa_user_sgpr_private_segment_size 0
		.amdhsa_wavefront_size32 1
		.amdhsa_uses_dynamic_stack 0
		.amdhsa_enable_private_segment 0
		.amdhsa_system_sgpr_workgroup_id_x 1
		.amdhsa_system_sgpr_workgroup_id_y 0
		.amdhsa_system_sgpr_workgroup_id_z 0
		.amdhsa_system_sgpr_workgroup_info 0
		.amdhsa_system_vgpr_workitem_id 0
		.amdhsa_next_free_vgpr 1
		.amdhsa_next_free_sgpr 1
		.amdhsa_reserve_vcc 0
		.amdhsa_float_round_mode_32 0
		.amdhsa_float_round_mode_16_64 0
		.amdhsa_float_denorm_mode_32 3
		.amdhsa_float_denorm_mode_16_64 3
		.amdhsa_dx10_clamp 1
		.amdhsa_ieee_mode 1
		.amdhsa_fp16_overflow 0
		.amdhsa_workgroup_processor_mode 1
		.amdhsa_memory_ordered 1
		.amdhsa_forward_progress 0
		.amdhsa_shared_vgpr_count 0
		.amdhsa_exception_fp_ieee_invalid_op 0
		.amdhsa_exception_fp_denorm_src 0
		.amdhsa_exception_fp_ieee_div_zero 0
		.amdhsa_exception_fp_ieee_overflow 0
		.amdhsa_exception_fp_ieee_underflow 0
		.amdhsa_exception_fp_ieee_inexact 0
		.amdhsa_exception_int_div_zero 0
	.end_amdhsa_kernel
	.section	.text._ZN7rocprim17ROCPRIM_400000_NS6detail17trampoline_kernelINS0_14default_configENS1_25partition_config_selectorILNS1_17partition_subalgoE8ElNS0_10empty_typeEbEEZZNS1_14partition_implILS5_8ELb0ES3_jPlPS6_PKS6_NS0_5tupleIJS9_S6_EEENSD_IJSA_SA_EEENS0_18inequality_wrapperIZN2at6native12_GLOBAL__N_124unique_dim_cuda_templateImEESt5tupleIJNSH_6TensorESM_SM_EERKSM_lbbbEUlllE0_EEPmJS6_EEE10hipError_tPvRmT3_T4_T5_T6_T7_T9_mT8_P12ihipStream_tbDpT10_ENKUlT_T0_E_clISt17integral_constantIbLb1EES1B_IbLb0EEEEDaS17_S18_EUlS17_E_NS1_11comp_targetILNS1_3genE3ELNS1_11target_archE908ELNS1_3gpuE7ELNS1_3repE0EEENS1_30default_config_static_selectorELNS0_4arch9wavefront6targetE0EEEvT1_,"axG",@progbits,_ZN7rocprim17ROCPRIM_400000_NS6detail17trampoline_kernelINS0_14default_configENS1_25partition_config_selectorILNS1_17partition_subalgoE8ElNS0_10empty_typeEbEEZZNS1_14partition_implILS5_8ELb0ES3_jPlPS6_PKS6_NS0_5tupleIJS9_S6_EEENSD_IJSA_SA_EEENS0_18inequality_wrapperIZN2at6native12_GLOBAL__N_124unique_dim_cuda_templateImEESt5tupleIJNSH_6TensorESM_SM_EERKSM_lbbbEUlllE0_EEPmJS6_EEE10hipError_tPvRmT3_T4_T5_T6_T7_T9_mT8_P12ihipStream_tbDpT10_ENKUlT_T0_E_clISt17integral_constantIbLb1EES1B_IbLb0EEEEDaS17_S18_EUlS17_E_NS1_11comp_targetILNS1_3genE3ELNS1_11target_archE908ELNS1_3gpuE7ELNS1_3repE0EEENS1_30default_config_static_selectorELNS0_4arch9wavefront6targetE0EEEvT1_,comdat
.Lfunc_end1680:
	.size	_ZN7rocprim17ROCPRIM_400000_NS6detail17trampoline_kernelINS0_14default_configENS1_25partition_config_selectorILNS1_17partition_subalgoE8ElNS0_10empty_typeEbEEZZNS1_14partition_implILS5_8ELb0ES3_jPlPS6_PKS6_NS0_5tupleIJS9_S6_EEENSD_IJSA_SA_EEENS0_18inequality_wrapperIZN2at6native12_GLOBAL__N_124unique_dim_cuda_templateImEESt5tupleIJNSH_6TensorESM_SM_EERKSM_lbbbEUlllE0_EEPmJS6_EEE10hipError_tPvRmT3_T4_T5_T6_T7_T9_mT8_P12ihipStream_tbDpT10_ENKUlT_T0_E_clISt17integral_constantIbLb1EES1B_IbLb0EEEEDaS17_S18_EUlS17_E_NS1_11comp_targetILNS1_3genE3ELNS1_11target_archE908ELNS1_3gpuE7ELNS1_3repE0EEENS1_30default_config_static_selectorELNS0_4arch9wavefront6targetE0EEEvT1_, .Lfunc_end1680-_ZN7rocprim17ROCPRIM_400000_NS6detail17trampoline_kernelINS0_14default_configENS1_25partition_config_selectorILNS1_17partition_subalgoE8ElNS0_10empty_typeEbEEZZNS1_14partition_implILS5_8ELb0ES3_jPlPS6_PKS6_NS0_5tupleIJS9_S6_EEENSD_IJSA_SA_EEENS0_18inequality_wrapperIZN2at6native12_GLOBAL__N_124unique_dim_cuda_templateImEESt5tupleIJNSH_6TensorESM_SM_EERKSM_lbbbEUlllE0_EEPmJS6_EEE10hipError_tPvRmT3_T4_T5_T6_T7_T9_mT8_P12ihipStream_tbDpT10_ENKUlT_T0_E_clISt17integral_constantIbLb1EES1B_IbLb0EEEEDaS17_S18_EUlS17_E_NS1_11comp_targetILNS1_3genE3ELNS1_11target_archE908ELNS1_3gpuE7ELNS1_3repE0EEENS1_30default_config_static_selectorELNS0_4arch9wavefront6targetE0EEEvT1_
                                        ; -- End function
	.section	.AMDGPU.csdata,"",@progbits
; Kernel info:
; codeLenInByte = 0
; NumSgprs: 0
; NumVgprs: 0
; ScratchSize: 0
; MemoryBound: 0
; FloatMode: 240
; IeeeMode: 1
; LDSByteSize: 0 bytes/workgroup (compile time only)
; SGPRBlocks: 0
; VGPRBlocks: 0
; NumSGPRsForWavesPerEU: 1
; NumVGPRsForWavesPerEU: 1
; Occupancy: 16
; WaveLimiterHint : 0
; COMPUTE_PGM_RSRC2:SCRATCH_EN: 0
; COMPUTE_PGM_RSRC2:USER_SGPR: 15
; COMPUTE_PGM_RSRC2:TRAP_HANDLER: 0
; COMPUTE_PGM_RSRC2:TGID_X_EN: 1
; COMPUTE_PGM_RSRC2:TGID_Y_EN: 0
; COMPUTE_PGM_RSRC2:TGID_Z_EN: 0
; COMPUTE_PGM_RSRC2:TIDIG_COMP_CNT: 0
	.section	.text._ZN7rocprim17ROCPRIM_400000_NS6detail17trampoline_kernelINS0_14default_configENS1_25partition_config_selectorILNS1_17partition_subalgoE8ElNS0_10empty_typeEbEEZZNS1_14partition_implILS5_8ELb0ES3_jPlPS6_PKS6_NS0_5tupleIJS9_S6_EEENSD_IJSA_SA_EEENS0_18inequality_wrapperIZN2at6native12_GLOBAL__N_124unique_dim_cuda_templateImEESt5tupleIJNSH_6TensorESM_SM_EERKSM_lbbbEUlllE0_EEPmJS6_EEE10hipError_tPvRmT3_T4_T5_T6_T7_T9_mT8_P12ihipStream_tbDpT10_ENKUlT_T0_E_clISt17integral_constantIbLb1EES1B_IbLb0EEEEDaS17_S18_EUlS17_E_NS1_11comp_targetILNS1_3genE2ELNS1_11target_archE906ELNS1_3gpuE6ELNS1_3repE0EEENS1_30default_config_static_selectorELNS0_4arch9wavefront6targetE0EEEvT1_,"axG",@progbits,_ZN7rocprim17ROCPRIM_400000_NS6detail17trampoline_kernelINS0_14default_configENS1_25partition_config_selectorILNS1_17partition_subalgoE8ElNS0_10empty_typeEbEEZZNS1_14partition_implILS5_8ELb0ES3_jPlPS6_PKS6_NS0_5tupleIJS9_S6_EEENSD_IJSA_SA_EEENS0_18inequality_wrapperIZN2at6native12_GLOBAL__N_124unique_dim_cuda_templateImEESt5tupleIJNSH_6TensorESM_SM_EERKSM_lbbbEUlllE0_EEPmJS6_EEE10hipError_tPvRmT3_T4_T5_T6_T7_T9_mT8_P12ihipStream_tbDpT10_ENKUlT_T0_E_clISt17integral_constantIbLb1EES1B_IbLb0EEEEDaS17_S18_EUlS17_E_NS1_11comp_targetILNS1_3genE2ELNS1_11target_archE906ELNS1_3gpuE6ELNS1_3repE0EEENS1_30default_config_static_selectorELNS0_4arch9wavefront6targetE0EEEvT1_,comdat
	.globl	_ZN7rocprim17ROCPRIM_400000_NS6detail17trampoline_kernelINS0_14default_configENS1_25partition_config_selectorILNS1_17partition_subalgoE8ElNS0_10empty_typeEbEEZZNS1_14partition_implILS5_8ELb0ES3_jPlPS6_PKS6_NS0_5tupleIJS9_S6_EEENSD_IJSA_SA_EEENS0_18inequality_wrapperIZN2at6native12_GLOBAL__N_124unique_dim_cuda_templateImEESt5tupleIJNSH_6TensorESM_SM_EERKSM_lbbbEUlllE0_EEPmJS6_EEE10hipError_tPvRmT3_T4_T5_T6_T7_T9_mT8_P12ihipStream_tbDpT10_ENKUlT_T0_E_clISt17integral_constantIbLb1EES1B_IbLb0EEEEDaS17_S18_EUlS17_E_NS1_11comp_targetILNS1_3genE2ELNS1_11target_archE906ELNS1_3gpuE6ELNS1_3repE0EEENS1_30default_config_static_selectorELNS0_4arch9wavefront6targetE0EEEvT1_ ; -- Begin function _ZN7rocprim17ROCPRIM_400000_NS6detail17trampoline_kernelINS0_14default_configENS1_25partition_config_selectorILNS1_17partition_subalgoE8ElNS0_10empty_typeEbEEZZNS1_14partition_implILS5_8ELb0ES3_jPlPS6_PKS6_NS0_5tupleIJS9_S6_EEENSD_IJSA_SA_EEENS0_18inequality_wrapperIZN2at6native12_GLOBAL__N_124unique_dim_cuda_templateImEESt5tupleIJNSH_6TensorESM_SM_EERKSM_lbbbEUlllE0_EEPmJS6_EEE10hipError_tPvRmT3_T4_T5_T6_T7_T9_mT8_P12ihipStream_tbDpT10_ENKUlT_T0_E_clISt17integral_constantIbLb1EES1B_IbLb0EEEEDaS17_S18_EUlS17_E_NS1_11comp_targetILNS1_3genE2ELNS1_11target_archE906ELNS1_3gpuE6ELNS1_3repE0EEENS1_30default_config_static_selectorELNS0_4arch9wavefront6targetE0EEEvT1_
	.p2align	8
	.type	_ZN7rocprim17ROCPRIM_400000_NS6detail17trampoline_kernelINS0_14default_configENS1_25partition_config_selectorILNS1_17partition_subalgoE8ElNS0_10empty_typeEbEEZZNS1_14partition_implILS5_8ELb0ES3_jPlPS6_PKS6_NS0_5tupleIJS9_S6_EEENSD_IJSA_SA_EEENS0_18inequality_wrapperIZN2at6native12_GLOBAL__N_124unique_dim_cuda_templateImEESt5tupleIJNSH_6TensorESM_SM_EERKSM_lbbbEUlllE0_EEPmJS6_EEE10hipError_tPvRmT3_T4_T5_T6_T7_T9_mT8_P12ihipStream_tbDpT10_ENKUlT_T0_E_clISt17integral_constantIbLb1EES1B_IbLb0EEEEDaS17_S18_EUlS17_E_NS1_11comp_targetILNS1_3genE2ELNS1_11target_archE906ELNS1_3gpuE6ELNS1_3repE0EEENS1_30default_config_static_selectorELNS0_4arch9wavefront6targetE0EEEvT1_,@function
_ZN7rocprim17ROCPRIM_400000_NS6detail17trampoline_kernelINS0_14default_configENS1_25partition_config_selectorILNS1_17partition_subalgoE8ElNS0_10empty_typeEbEEZZNS1_14partition_implILS5_8ELb0ES3_jPlPS6_PKS6_NS0_5tupleIJS9_S6_EEENSD_IJSA_SA_EEENS0_18inequality_wrapperIZN2at6native12_GLOBAL__N_124unique_dim_cuda_templateImEESt5tupleIJNSH_6TensorESM_SM_EERKSM_lbbbEUlllE0_EEPmJS6_EEE10hipError_tPvRmT3_T4_T5_T6_T7_T9_mT8_P12ihipStream_tbDpT10_ENKUlT_T0_E_clISt17integral_constantIbLb1EES1B_IbLb0EEEEDaS17_S18_EUlS17_E_NS1_11comp_targetILNS1_3genE2ELNS1_11target_archE906ELNS1_3gpuE6ELNS1_3repE0EEENS1_30default_config_static_selectorELNS0_4arch9wavefront6targetE0EEEvT1_: ; @_ZN7rocprim17ROCPRIM_400000_NS6detail17trampoline_kernelINS0_14default_configENS1_25partition_config_selectorILNS1_17partition_subalgoE8ElNS0_10empty_typeEbEEZZNS1_14partition_implILS5_8ELb0ES3_jPlPS6_PKS6_NS0_5tupleIJS9_S6_EEENSD_IJSA_SA_EEENS0_18inequality_wrapperIZN2at6native12_GLOBAL__N_124unique_dim_cuda_templateImEESt5tupleIJNSH_6TensorESM_SM_EERKSM_lbbbEUlllE0_EEPmJS6_EEE10hipError_tPvRmT3_T4_T5_T6_T7_T9_mT8_P12ihipStream_tbDpT10_ENKUlT_T0_E_clISt17integral_constantIbLb1EES1B_IbLb0EEEEDaS17_S18_EUlS17_E_NS1_11comp_targetILNS1_3genE2ELNS1_11target_archE906ELNS1_3gpuE6ELNS1_3repE0EEENS1_30default_config_static_selectorELNS0_4arch9wavefront6targetE0EEEvT1_
; %bb.0:
	.section	.rodata,"a",@progbits
	.p2align	6, 0x0
	.amdhsa_kernel _ZN7rocprim17ROCPRIM_400000_NS6detail17trampoline_kernelINS0_14default_configENS1_25partition_config_selectorILNS1_17partition_subalgoE8ElNS0_10empty_typeEbEEZZNS1_14partition_implILS5_8ELb0ES3_jPlPS6_PKS6_NS0_5tupleIJS9_S6_EEENSD_IJSA_SA_EEENS0_18inequality_wrapperIZN2at6native12_GLOBAL__N_124unique_dim_cuda_templateImEESt5tupleIJNSH_6TensorESM_SM_EERKSM_lbbbEUlllE0_EEPmJS6_EEE10hipError_tPvRmT3_T4_T5_T6_T7_T9_mT8_P12ihipStream_tbDpT10_ENKUlT_T0_E_clISt17integral_constantIbLb1EES1B_IbLb0EEEEDaS17_S18_EUlS17_E_NS1_11comp_targetILNS1_3genE2ELNS1_11target_archE906ELNS1_3gpuE6ELNS1_3repE0EEENS1_30default_config_static_selectorELNS0_4arch9wavefront6targetE0EEEvT1_
		.amdhsa_group_segment_fixed_size 0
		.amdhsa_private_segment_fixed_size 0
		.amdhsa_kernarg_size 120
		.amdhsa_user_sgpr_count 15
		.amdhsa_user_sgpr_dispatch_ptr 0
		.amdhsa_user_sgpr_queue_ptr 0
		.amdhsa_user_sgpr_kernarg_segment_ptr 1
		.amdhsa_user_sgpr_dispatch_id 0
		.amdhsa_user_sgpr_private_segment_size 0
		.amdhsa_wavefront_size32 1
		.amdhsa_uses_dynamic_stack 0
		.amdhsa_enable_private_segment 0
		.amdhsa_system_sgpr_workgroup_id_x 1
		.amdhsa_system_sgpr_workgroup_id_y 0
		.amdhsa_system_sgpr_workgroup_id_z 0
		.amdhsa_system_sgpr_workgroup_info 0
		.amdhsa_system_vgpr_workitem_id 0
		.amdhsa_next_free_vgpr 1
		.amdhsa_next_free_sgpr 1
		.amdhsa_reserve_vcc 0
		.amdhsa_float_round_mode_32 0
		.amdhsa_float_round_mode_16_64 0
		.amdhsa_float_denorm_mode_32 3
		.amdhsa_float_denorm_mode_16_64 3
		.amdhsa_dx10_clamp 1
		.amdhsa_ieee_mode 1
		.amdhsa_fp16_overflow 0
		.amdhsa_workgroup_processor_mode 1
		.amdhsa_memory_ordered 1
		.amdhsa_forward_progress 0
		.amdhsa_shared_vgpr_count 0
		.amdhsa_exception_fp_ieee_invalid_op 0
		.amdhsa_exception_fp_denorm_src 0
		.amdhsa_exception_fp_ieee_div_zero 0
		.amdhsa_exception_fp_ieee_overflow 0
		.amdhsa_exception_fp_ieee_underflow 0
		.amdhsa_exception_fp_ieee_inexact 0
		.amdhsa_exception_int_div_zero 0
	.end_amdhsa_kernel
	.section	.text._ZN7rocprim17ROCPRIM_400000_NS6detail17trampoline_kernelINS0_14default_configENS1_25partition_config_selectorILNS1_17partition_subalgoE8ElNS0_10empty_typeEbEEZZNS1_14partition_implILS5_8ELb0ES3_jPlPS6_PKS6_NS0_5tupleIJS9_S6_EEENSD_IJSA_SA_EEENS0_18inequality_wrapperIZN2at6native12_GLOBAL__N_124unique_dim_cuda_templateImEESt5tupleIJNSH_6TensorESM_SM_EERKSM_lbbbEUlllE0_EEPmJS6_EEE10hipError_tPvRmT3_T4_T5_T6_T7_T9_mT8_P12ihipStream_tbDpT10_ENKUlT_T0_E_clISt17integral_constantIbLb1EES1B_IbLb0EEEEDaS17_S18_EUlS17_E_NS1_11comp_targetILNS1_3genE2ELNS1_11target_archE906ELNS1_3gpuE6ELNS1_3repE0EEENS1_30default_config_static_selectorELNS0_4arch9wavefront6targetE0EEEvT1_,"axG",@progbits,_ZN7rocprim17ROCPRIM_400000_NS6detail17trampoline_kernelINS0_14default_configENS1_25partition_config_selectorILNS1_17partition_subalgoE8ElNS0_10empty_typeEbEEZZNS1_14partition_implILS5_8ELb0ES3_jPlPS6_PKS6_NS0_5tupleIJS9_S6_EEENSD_IJSA_SA_EEENS0_18inequality_wrapperIZN2at6native12_GLOBAL__N_124unique_dim_cuda_templateImEESt5tupleIJNSH_6TensorESM_SM_EERKSM_lbbbEUlllE0_EEPmJS6_EEE10hipError_tPvRmT3_T4_T5_T6_T7_T9_mT8_P12ihipStream_tbDpT10_ENKUlT_T0_E_clISt17integral_constantIbLb1EES1B_IbLb0EEEEDaS17_S18_EUlS17_E_NS1_11comp_targetILNS1_3genE2ELNS1_11target_archE906ELNS1_3gpuE6ELNS1_3repE0EEENS1_30default_config_static_selectorELNS0_4arch9wavefront6targetE0EEEvT1_,comdat
.Lfunc_end1681:
	.size	_ZN7rocprim17ROCPRIM_400000_NS6detail17trampoline_kernelINS0_14default_configENS1_25partition_config_selectorILNS1_17partition_subalgoE8ElNS0_10empty_typeEbEEZZNS1_14partition_implILS5_8ELb0ES3_jPlPS6_PKS6_NS0_5tupleIJS9_S6_EEENSD_IJSA_SA_EEENS0_18inequality_wrapperIZN2at6native12_GLOBAL__N_124unique_dim_cuda_templateImEESt5tupleIJNSH_6TensorESM_SM_EERKSM_lbbbEUlllE0_EEPmJS6_EEE10hipError_tPvRmT3_T4_T5_T6_T7_T9_mT8_P12ihipStream_tbDpT10_ENKUlT_T0_E_clISt17integral_constantIbLb1EES1B_IbLb0EEEEDaS17_S18_EUlS17_E_NS1_11comp_targetILNS1_3genE2ELNS1_11target_archE906ELNS1_3gpuE6ELNS1_3repE0EEENS1_30default_config_static_selectorELNS0_4arch9wavefront6targetE0EEEvT1_, .Lfunc_end1681-_ZN7rocprim17ROCPRIM_400000_NS6detail17trampoline_kernelINS0_14default_configENS1_25partition_config_selectorILNS1_17partition_subalgoE8ElNS0_10empty_typeEbEEZZNS1_14partition_implILS5_8ELb0ES3_jPlPS6_PKS6_NS0_5tupleIJS9_S6_EEENSD_IJSA_SA_EEENS0_18inequality_wrapperIZN2at6native12_GLOBAL__N_124unique_dim_cuda_templateImEESt5tupleIJNSH_6TensorESM_SM_EERKSM_lbbbEUlllE0_EEPmJS6_EEE10hipError_tPvRmT3_T4_T5_T6_T7_T9_mT8_P12ihipStream_tbDpT10_ENKUlT_T0_E_clISt17integral_constantIbLb1EES1B_IbLb0EEEEDaS17_S18_EUlS17_E_NS1_11comp_targetILNS1_3genE2ELNS1_11target_archE906ELNS1_3gpuE6ELNS1_3repE0EEENS1_30default_config_static_selectorELNS0_4arch9wavefront6targetE0EEEvT1_
                                        ; -- End function
	.section	.AMDGPU.csdata,"",@progbits
; Kernel info:
; codeLenInByte = 0
; NumSgprs: 0
; NumVgprs: 0
; ScratchSize: 0
; MemoryBound: 0
; FloatMode: 240
; IeeeMode: 1
; LDSByteSize: 0 bytes/workgroup (compile time only)
; SGPRBlocks: 0
; VGPRBlocks: 0
; NumSGPRsForWavesPerEU: 1
; NumVGPRsForWavesPerEU: 1
; Occupancy: 16
; WaveLimiterHint : 0
; COMPUTE_PGM_RSRC2:SCRATCH_EN: 0
; COMPUTE_PGM_RSRC2:USER_SGPR: 15
; COMPUTE_PGM_RSRC2:TRAP_HANDLER: 0
; COMPUTE_PGM_RSRC2:TGID_X_EN: 1
; COMPUTE_PGM_RSRC2:TGID_Y_EN: 0
; COMPUTE_PGM_RSRC2:TGID_Z_EN: 0
; COMPUTE_PGM_RSRC2:TIDIG_COMP_CNT: 0
	.section	.text._ZN7rocprim17ROCPRIM_400000_NS6detail17trampoline_kernelINS0_14default_configENS1_25partition_config_selectorILNS1_17partition_subalgoE8ElNS0_10empty_typeEbEEZZNS1_14partition_implILS5_8ELb0ES3_jPlPS6_PKS6_NS0_5tupleIJS9_S6_EEENSD_IJSA_SA_EEENS0_18inequality_wrapperIZN2at6native12_GLOBAL__N_124unique_dim_cuda_templateImEESt5tupleIJNSH_6TensorESM_SM_EERKSM_lbbbEUlllE0_EEPmJS6_EEE10hipError_tPvRmT3_T4_T5_T6_T7_T9_mT8_P12ihipStream_tbDpT10_ENKUlT_T0_E_clISt17integral_constantIbLb1EES1B_IbLb0EEEEDaS17_S18_EUlS17_E_NS1_11comp_targetILNS1_3genE10ELNS1_11target_archE1200ELNS1_3gpuE4ELNS1_3repE0EEENS1_30default_config_static_selectorELNS0_4arch9wavefront6targetE0EEEvT1_,"axG",@progbits,_ZN7rocprim17ROCPRIM_400000_NS6detail17trampoline_kernelINS0_14default_configENS1_25partition_config_selectorILNS1_17partition_subalgoE8ElNS0_10empty_typeEbEEZZNS1_14partition_implILS5_8ELb0ES3_jPlPS6_PKS6_NS0_5tupleIJS9_S6_EEENSD_IJSA_SA_EEENS0_18inequality_wrapperIZN2at6native12_GLOBAL__N_124unique_dim_cuda_templateImEESt5tupleIJNSH_6TensorESM_SM_EERKSM_lbbbEUlllE0_EEPmJS6_EEE10hipError_tPvRmT3_T4_T5_T6_T7_T9_mT8_P12ihipStream_tbDpT10_ENKUlT_T0_E_clISt17integral_constantIbLb1EES1B_IbLb0EEEEDaS17_S18_EUlS17_E_NS1_11comp_targetILNS1_3genE10ELNS1_11target_archE1200ELNS1_3gpuE4ELNS1_3repE0EEENS1_30default_config_static_selectorELNS0_4arch9wavefront6targetE0EEEvT1_,comdat
	.globl	_ZN7rocprim17ROCPRIM_400000_NS6detail17trampoline_kernelINS0_14default_configENS1_25partition_config_selectorILNS1_17partition_subalgoE8ElNS0_10empty_typeEbEEZZNS1_14partition_implILS5_8ELb0ES3_jPlPS6_PKS6_NS0_5tupleIJS9_S6_EEENSD_IJSA_SA_EEENS0_18inequality_wrapperIZN2at6native12_GLOBAL__N_124unique_dim_cuda_templateImEESt5tupleIJNSH_6TensorESM_SM_EERKSM_lbbbEUlllE0_EEPmJS6_EEE10hipError_tPvRmT3_T4_T5_T6_T7_T9_mT8_P12ihipStream_tbDpT10_ENKUlT_T0_E_clISt17integral_constantIbLb1EES1B_IbLb0EEEEDaS17_S18_EUlS17_E_NS1_11comp_targetILNS1_3genE10ELNS1_11target_archE1200ELNS1_3gpuE4ELNS1_3repE0EEENS1_30default_config_static_selectorELNS0_4arch9wavefront6targetE0EEEvT1_ ; -- Begin function _ZN7rocprim17ROCPRIM_400000_NS6detail17trampoline_kernelINS0_14default_configENS1_25partition_config_selectorILNS1_17partition_subalgoE8ElNS0_10empty_typeEbEEZZNS1_14partition_implILS5_8ELb0ES3_jPlPS6_PKS6_NS0_5tupleIJS9_S6_EEENSD_IJSA_SA_EEENS0_18inequality_wrapperIZN2at6native12_GLOBAL__N_124unique_dim_cuda_templateImEESt5tupleIJNSH_6TensorESM_SM_EERKSM_lbbbEUlllE0_EEPmJS6_EEE10hipError_tPvRmT3_T4_T5_T6_T7_T9_mT8_P12ihipStream_tbDpT10_ENKUlT_T0_E_clISt17integral_constantIbLb1EES1B_IbLb0EEEEDaS17_S18_EUlS17_E_NS1_11comp_targetILNS1_3genE10ELNS1_11target_archE1200ELNS1_3gpuE4ELNS1_3repE0EEENS1_30default_config_static_selectorELNS0_4arch9wavefront6targetE0EEEvT1_
	.p2align	8
	.type	_ZN7rocprim17ROCPRIM_400000_NS6detail17trampoline_kernelINS0_14default_configENS1_25partition_config_selectorILNS1_17partition_subalgoE8ElNS0_10empty_typeEbEEZZNS1_14partition_implILS5_8ELb0ES3_jPlPS6_PKS6_NS0_5tupleIJS9_S6_EEENSD_IJSA_SA_EEENS0_18inequality_wrapperIZN2at6native12_GLOBAL__N_124unique_dim_cuda_templateImEESt5tupleIJNSH_6TensorESM_SM_EERKSM_lbbbEUlllE0_EEPmJS6_EEE10hipError_tPvRmT3_T4_T5_T6_T7_T9_mT8_P12ihipStream_tbDpT10_ENKUlT_T0_E_clISt17integral_constantIbLb1EES1B_IbLb0EEEEDaS17_S18_EUlS17_E_NS1_11comp_targetILNS1_3genE10ELNS1_11target_archE1200ELNS1_3gpuE4ELNS1_3repE0EEENS1_30default_config_static_selectorELNS0_4arch9wavefront6targetE0EEEvT1_,@function
_ZN7rocprim17ROCPRIM_400000_NS6detail17trampoline_kernelINS0_14default_configENS1_25partition_config_selectorILNS1_17partition_subalgoE8ElNS0_10empty_typeEbEEZZNS1_14partition_implILS5_8ELb0ES3_jPlPS6_PKS6_NS0_5tupleIJS9_S6_EEENSD_IJSA_SA_EEENS0_18inequality_wrapperIZN2at6native12_GLOBAL__N_124unique_dim_cuda_templateImEESt5tupleIJNSH_6TensorESM_SM_EERKSM_lbbbEUlllE0_EEPmJS6_EEE10hipError_tPvRmT3_T4_T5_T6_T7_T9_mT8_P12ihipStream_tbDpT10_ENKUlT_T0_E_clISt17integral_constantIbLb1EES1B_IbLb0EEEEDaS17_S18_EUlS17_E_NS1_11comp_targetILNS1_3genE10ELNS1_11target_archE1200ELNS1_3gpuE4ELNS1_3repE0EEENS1_30default_config_static_selectorELNS0_4arch9wavefront6targetE0EEEvT1_: ; @_ZN7rocprim17ROCPRIM_400000_NS6detail17trampoline_kernelINS0_14default_configENS1_25partition_config_selectorILNS1_17partition_subalgoE8ElNS0_10empty_typeEbEEZZNS1_14partition_implILS5_8ELb0ES3_jPlPS6_PKS6_NS0_5tupleIJS9_S6_EEENSD_IJSA_SA_EEENS0_18inequality_wrapperIZN2at6native12_GLOBAL__N_124unique_dim_cuda_templateImEESt5tupleIJNSH_6TensorESM_SM_EERKSM_lbbbEUlllE0_EEPmJS6_EEE10hipError_tPvRmT3_T4_T5_T6_T7_T9_mT8_P12ihipStream_tbDpT10_ENKUlT_T0_E_clISt17integral_constantIbLb1EES1B_IbLb0EEEEDaS17_S18_EUlS17_E_NS1_11comp_targetILNS1_3genE10ELNS1_11target_archE1200ELNS1_3gpuE4ELNS1_3repE0EEENS1_30default_config_static_selectorELNS0_4arch9wavefront6targetE0EEEvT1_
; %bb.0:
	.section	.rodata,"a",@progbits
	.p2align	6, 0x0
	.amdhsa_kernel _ZN7rocprim17ROCPRIM_400000_NS6detail17trampoline_kernelINS0_14default_configENS1_25partition_config_selectorILNS1_17partition_subalgoE8ElNS0_10empty_typeEbEEZZNS1_14partition_implILS5_8ELb0ES3_jPlPS6_PKS6_NS0_5tupleIJS9_S6_EEENSD_IJSA_SA_EEENS0_18inequality_wrapperIZN2at6native12_GLOBAL__N_124unique_dim_cuda_templateImEESt5tupleIJNSH_6TensorESM_SM_EERKSM_lbbbEUlllE0_EEPmJS6_EEE10hipError_tPvRmT3_T4_T5_T6_T7_T9_mT8_P12ihipStream_tbDpT10_ENKUlT_T0_E_clISt17integral_constantIbLb1EES1B_IbLb0EEEEDaS17_S18_EUlS17_E_NS1_11comp_targetILNS1_3genE10ELNS1_11target_archE1200ELNS1_3gpuE4ELNS1_3repE0EEENS1_30default_config_static_selectorELNS0_4arch9wavefront6targetE0EEEvT1_
		.amdhsa_group_segment_fixed_size 0
		.amdhsa_private_segment_fixed_size 0
		.amdhsa_kernarg_size 120
		.amdhsa_user_sgpr_count 15
		.amdhsa_user_sgpr_dispatch_ptr 0
		.amdhsa_user_sgpr_queue_ptr 0
		.amdhsa_user_sgpr_kernarg_segment_ptr 1
		.amdhsa_user_sgpr_dispatch_id 0
		.amdhsa_user_sgpr_private_segment_size 0
		.amdhsa_wavefront_size32 1
		.amdhsa_uses_dynamic_stack 0
		.amdhsa_enable_private_segment 0
		.amdhsa_system_sgpr_workgroup_id_x 1
		.amdhsa_system_sgpr_workgroup_id_y 0
		.amdhsa_system_sgpr_workgroup_id_z 0
		.amdhsa_system_sgpr_workgroup_info 0
		.amdhsa_system_vgpr_workitem_id 0
		.amdhsa_next_free_vgpr 1
		.amdhsa_next_free_sgpr 1
		.amdhsa_reserve_vcc 0
		.amdhsa_float_round_mode_32 0
		.amdhsa_float_round_mode_16_64 0
		.amdhsa_float_denorm_mode_32 3
		.amdhsa_float_denorm_mode_16_64 3
		.amdhsa_dx10_clamp 1
		.amdhsa_ieee_mode 1
		.amdhsa_fp16_overflow 0
		.amdhsa_workgroup_processor_mode 1
		.amdhsa_memory_ordered 1
		.amdhsa_forward_progress 0
		.amdhsa_shared_vgpr_count 0
		.amdhsa_exception_fp_ieee_invalid_op 0
		.amdhsa_exception_fp_denorm_src 0
		.amdhsa_exception_fp_ieee_div_zero 0
		.amdhsa_exception_fp_ieee_overflow 0
		.amdhsa_exception_fp_ieee_underflow 0
		.amdhsa_exception_fp_ieee_inexact 0
		.amdhsa_exception_int_div_zero 0
	.end_amdhsa_kernel
	.section	.text._ZN7rocprim17ROCPRIM_400000_NS6detail17trampoline_kernelINS0_14default_configENS1_25partition_config_selectorILNS1_17partition_subalgoE8ElNS0_10empty_typeEbEEZZNS1_14partition_implILS5_8ELb0ES3_jPlPS6_PKS6_NS0_5tupleIJS9_S6_EEENSD_IJSA_SA_EEENS0_18inequality_wrapperIZN2at6native12_GLOBAL__N_124unique_dim_cuda_templateImEESt5tupleIJNSH_6TensorESM_SM_EERKSM_lbbbEUlllE0_EEPmJS6_EEE10hipError_tPvRmT3_T4_T5_T6_T7_T9_mT8_P12ihipStream_tbDpT10_ENKUlT_T0_E_clISt17integral_constantIbLb1EES1B_IbLb0EEEEDaS17_S18_EUlS17_E_NS1_11comp_targetILNS1_3genE10ELNS1_11target_archE1200ELNS1_3gpuE4ELNS1_3repE0EEENS1_30default_config_static_selectorELNS0_4arch9wavefront6targetE0EEEvT1_,"axG",@progbits,_ZN7rocprim17ROCPRIM_400000_NS6detail17trampoline_kernelINS0_14default_configENS1_25partition_config_selectorILNS1_17partition_subalgoE8ElNS0_10empty_typeEbEEZZNS1_14partition_implILS5_8ELb0ES3_jPlPS6_PKS6_NS0_5tupleIJS9_S6_EEENSD_IJSA_SA_EEENS0_18inequality_wrapperIZN2at6native12_GLOBAL__N_124unique_dim_cuda_templateImEESt5tupleIJNSH_6TensorESM_SM_EERKSM_lbbbEUlllE0_EEPmJS6_EEE10hipError_tPvRmT3_T4_T5_T6_T7_T9_mT8_P12ihipStream_tbDpT10_ENKUlT_T0_E_clISt17integral_constantIbLb1EES1B_IbLb0EEEEDaS17_S18_EUlS17_E_NS1_11comp_targetILNS1_3genE10ELNS1_11target_archE1200ELNS1_3gpuE4ELNS1_3repE0EEENS1_30default_config_static_selectorELNS0_4arch9wavefront6targetE0EEEvT1_,comdat
.Lfunc_end1682:
	.size	_ZN7rocprim17ROCPRIM_400000_NS6detail17trampoline_kernelINS0_14default_configENS1_25partition_config_selectorILNS1_17partition_subalgoE8ElNS0_10empty_typeEbEEZZNS1_14partition_implILS5_8ELb0ES3_jPlPS6_PKS6_NS0_5tupleIJS9_S6_EEENSD_IJSA_SA_EEENS0_18inequality_wrapperIZN2at6native12_GLOBAL__N_124unique_dim_cuda_templateImEESt5tupleIJNSH_6TensorESM_SM_EERKSM_lbbbEUlllE0_EEPmJS6_EEE10hipError_tPvRmT3_T4_T5_T6_T7_T9_mT8_P12ihipStream_tbDpT10_ENKUlT_T0_E_clISt17integral_constantIbLb1EES1B_IbLb0EEEEDaS17_S18_EUlS17_E_NS1_11comp_targetILNS1_3genE10ELNS1_11target_archE1200ELNS1_3gpuE4ELNS1_3repE0EEENS1_30default_config_static_selectorELNS0_4arch9wavefront6targetE0EEEvT1_, .Lfunc_end1682-_ZN7rocprim17ROCPRIM_400000_NS6detail17trampoline_kernelINS0_14default_configENS1_25partition_config_selectorILNS1_17partition_subalgoE8ElNS0_10empty_typeEbEEZZNS1_14partition_implILS5_8ELb0ES3_jPlPS6_PKS6_NS0_5tupleIJS9_S6_EEENSD_IJSA_SA_EEENS0_18inequality_wrapperIZN2at6native12_GLOBAL__N_124unique_dim_cuda_templateImEESt5tupleIJNSH_6TensorESM_SM_EERKSM_lbbbEUlllE0_EEPmJS6_EEE10hipError_tPvRmT3_T4_T5_T6_T7_T9_mT8_P12ihipStream_tbDpT10_ENKUlT_T0_E_clISt17integral_constantIbLb1EES1B_IbLb0EEEEDaS17_S18_EUlS17_E_NS1_11comp_targetILNS1_3genE10ELNS1_11target_archE1200ELNS1_3gpuE4ELNS1_3repE0EEENS1_30default_config_static_selectorELNS0_4arch9wavefront6targetE0EEEvT1_
                                        ; -- End function
	.section	.AMDGPU.csdata,"",@progbits
; Kernel info:
; codeLenInByte = 0
; NumSgprs: 0
; NumVgprs: 0
; ScratchSize: 0
; MemoryBound: 0
; FloatMode: 240
; IeeeMode: 1
; LDSByteSize: 0 bytes/workgroup (compile time only)
; SGPRBlocks: 0
; VGPRBlocks: 0
; NumSGPRsForWavesPerEU: 1
; NumVGPRsForWavesPerEU: 1
; Occupancy: 15
; WaveLimiterHint : 0
; COMPUTE_PGM_RSRC2:SCRATCH_EN: 0
; COMPUTE_PGM_RSRC2:USER_SGPR: 15
; COMPUTE_PGM_RSRC2:TRAP_HANDLER: 0
; COMPUTE_PGM_RSRC2:TGID_X_EN: 1
; COMPUTE_PGM_RSRC2:TGID_Y_EN: 0
; COMPUTE_PGM_RSRC2:TGID_Z_EN: 0
; COMPUTE_PGM_RSRC2:TIDIG_COMP_CNT: 0
	.section	.text._ZN7rocprim17ROCPRIM_400000_NS6detail17trampoline_kernelINS0_14default_configENS1_25partition_config_selectorILNS1_17partition_subalgoE8ElNS0_10empty_typeEbEEZZNS1_14partition_implILS5_8ELb0ES3_jPlPS6_PKS6_NS0_5tupleIJS9_S6_EEENSD_IJSA_SA_EEENS0_18inequality_wrapperIZN2at6native12_GLOBAL__N_124unique_dim_cuda_templateImEESt5tupleIJNSH_6TensorESM_SM_EERKSM_lbbbEUlllE0_EEPmJS6_EEE10hipError_tPvRmT3_T4_T5_T6_T7_T9_mT8_P12ihipStream_tbDpT10_ENKUlT_T0_E_clISt17integral_constantIbLb1EES1B_IbLb0EEEEDaS17_S18_EUlS17_E_NS1_11comp_targetILNS1_3genE9ELNS1_11target_archE1100ELNS1_3gpuE3ELNS1_3repE0EEENS1_30default_config_static_selectorELNS0_4arch9wavefront6targetE0EEEvT1_,"axG",@progbits,_ZN7rocprim17ROCPRIM_400000_NS6detail17trampoline_kernelINS0_14default_configENS1_25partition_config_selectorILNS1_17partition_subalgoE8ElNS0_10empty_typeEbEEZZNS1_14partition_implILS5_8ELb0ES3_jPlPS6_PKS6_NS0_5tupleIJS9_S6_EEENSD_IJSA_SA_EEENS0_18inequality_wrapperIZN2at6native12_GLOBAL__N_124unique_dim_cuda_templateImEESt5tupleIJNSH_6TensorESM_SM_EERKSM_lbbbEUlllE0_EEPmJS6_EEE10hipError_tPvRmT3_T4_T5_T6_T7_T9_mT8_P12ihipStream_tbDpT10_ENKUlT_T0_E_clISt17integral_constantIbLb1EES1B_IbLb0EEEEDaS17_S18_EUlS17_E_NS1_11comp_targetILNS1_3genE9ELNS1_11target_archE1100ELNS1_3gpuE3ELNS1_3repE0EEENS1_30default_config_static_selectorELNS0_4arch9wavefront6targetE0EEEvT1_,comdat
	.globl	_ZN7rocprim17ROCPRIM_400000_NS6detail17trampoline_kernelINS0_14default_configENS1_25partition_config_selectorILNS1_17partition_subalgoE8ElNS0_10empty_typeEbEEZZNS1_14partition_implILS5_8ELb0ES3_jPlPS6_PKS6_NS0_5tupleIJS9_S6_EEENSD_IJSA_SA_EEENS0_18inequality_wrapperIZN2at6native12_GLOBAL__N_124unique_dim_cuda_templateImEESt5tupleIJNSH_6TensorESM_SM_EERKSM_lbbbEUlllE0_EEPmJS6_EEE10hipError_tPvRmT3_T4_T5_T6_T7_T9_mT8_P12ihipStream_tbDpT10_ENKUlT_T0_E_clISt17integral_constantIbLb1EES1B_IbLb0EEEEDaS17_S18_EUlS17_E_NS1_11comp_targetILNS1_3genE9ELNS1_11target_archE1100ELNS1_3gpuE3ELNS1_3repE0EEENS1_30default_config_static_selectorELNS0_4arch9wavefront6targetE0EEEvT1_ ; -- Begin function _ZN7rocprim17ROCPRIM_400000_NS6detail17trampoline_kernelINS0_14default_configENS1_25partition_config_selectorILNS1_17partition_subalgoE8ElNS0_10empty_typeEbEEZZNS1_14partition_implILS5_8ELb0ES3_jPlPS6_PKS6_NS0_5tupleIJS9_S6_EEENSD_IJSA_SA_EEENS0_18inequality_wrapperIZN2at6native12_GLOBAL__N_124unique_dim_cuda_templateImEESt5tupleIJNSH_6TensorESM_SM_EERKSM_lbbbEUlllE0_EEPmJS6_EEE10hipError_tPvRmT3_T4_T5_T6_T7_T9_mT8_P12ihipStream_tbDpT10_ENKUlT_T0_E_clISt17integral_constantIbLb1EES1B_IbLb0EEEEDaS17_S18_EUlS17_E_NS1_11comp_targetILNS1_3genE9ELNS1_11target_archE1100ELNS1_3gpuE3ELNS1_3repE0EEENS1_30default_config_static_selectorELNS0_4arch9wavefront6targetE0EEEvT1_
	.p2align	8
	.type	_ZN7rocprim17ROCPRIM_400000_NS6detail17trampoline_kernelINS0_14default_configENS1_25partition_config_selectorILNS1_17partition_subalgoE8ElNS0_10empty_typeEbEEZZNS1_14partition_implILS5_8ELb0ES3_jPlPS6_PKS6_NS0_5tupleIJS9_S6_EEENSD_IJSA_SA_EEENS0_18inequality_wrapperIZN2at6native12_GLOBAL__N_124unique_dim_cuda_templateImEESt5tupleIJNSH_6TensorESM_SM_EERKSM_lbbbEUlllE0_EEPmJS6_EEE10hipError_tPvRmT3_T4_T5_T6_T7_T9_mT8_P12ihipStream_tbDpT10_ENKUlT_T0_E_clISt17integral_constantIbLb1EES1B_IbLb0EEEEDaS17_S18_EUlS17_E_NS1_11comp_targetILNS1_3genE9ELNS1_11target_archE1100ELNS1_3gpuE3ELNS1_3repE0EEENS1_30default_config_static_selectorELNS0_4arch9wavefront6targetE0EEEvT1_,@function
_ZN7rocprim17ROCPRIM_400000_NS6detail17trampoline_kernelINS0_14default_configENS1_25partition_config_selectorILNS1_17partition_subalgoE8ElNS0_10empty_typeEbEEZZNS1_14partition_implILS5_8ELb0ES3_jPlPS6_PKS6_NS0_5tupleIJS9_S6_EEENSD_IJSA_SA_EEENS0_18inequality_wrapperIZN2at6native12_GLOBAL__N_124unique_dim_cuda_templateImEESt5tupleIJNSH_6TensorESM_SM_EERKSM_lbbbEUlllE0_EEPmJS6_EEE10hipError_tPvRmT3_T4_T5_T6_T7_T9_mT8_P12ihipStream_tbDpT10_ENKUlT_T0_E_clISt17integral_constantIbLb1EES1B_IbLb0EEEEDaS17_S18_EUlS17_E_NS1_11comp_targetILNS1_3genE9ELNS1_11target_archE1100ELNS1_3gpuE3ELNS1_3repE0EEENS1_30default_config_static_selectorELNS0_4arch9wavefront6targetE0EEEvT1_: ; @_ZN7rocprim17ROCPRIM_400000_NS6detail17trampoline_kernelINS0_14default_configENS1_25partition_config_selectorILNS1_17partition_subalgoE8ElNS0_10empty_typeEbEEZZNS1_14partition_implILS5_8ELb0ES3_jPlPS6_PKS6_NS0_5tupleIJS9_S6_EEENSD_IJSA_SA_EEENS0_18inequality_wrapperIZN2at6native12_GLOBAL__N_124unique_dim_cuda_templateImEESt5tupleIJNSH_6TensorESM_SM_EERKSM_lbbbEUlllE0_EEPmJS6_EEE10hipError_tPvRmT3_T4_T5_T6_T7_T9_mT8_P12ihipStream_tbDpT10_ENKUlT_T0_E_clISt17integral_constantIbLb1EES1B_IbLb0EEEEDaS17_S18_EUlS17_E_NS1_11comp_targetILNS1_3genE9ELNS1_11target_archE1100ELNS1_3gpuE3ELNS1_3repE0EEENS1_30default_config_static_selectorELNS0_4arch9wavefront6targetE0EEEvT1_
; %bb.0:
	s_clause 0x3
	s_load_b128 s[4:7], s[0:1], 0x8
	s_load_b256 s[16:23], s[0:1], 0x40
	s_load_b32 s14, s[0:1], 0x70
	s_load_b128 s[8:11], s[0:1], 0x60
	s_mov_b32 s3, 0
	v_lshlrev_b32_e32 v39, 3, v0
	v_lshrrev_b32_e32 v17, 2, v0
	v_or_b32_e32 v24, 0x200, v0
	v_or_b32_e32 v22, 0x400, v0
	;; [unrolled: 1-line block ×7, first 2 shown]
	s_waitcnt lgkmcnt(0)
	s_lshl_b64 s[24:25], s[6:7], 3
	s_load_b64 s[12:13], s[18:19], 0x0
	s_add_u32 s26, s4, s24
	s_addc_u32 s5, s5, s25
	s_add_i32 s24, s14, -1
	s_lshl_b32 s14, s14, 12
	s_lshl_b32 s4, s24, 12
	;; [unrolled: 1-line block ×3, first 2 shown]
	s_add_i32 s4, s6, s4
	s_add_u32 s18, s6, s14
	s_addc_u32 s19, s7, 0
	s_cmp_eq_u32 s15, s24
	v_cmp_ge_u64_e64 s18, s[18:19], s[20:21]
	s_cselect_b32 s14, -1, 0
	s_lshl_b64 s[2:3], s[2:3], 3
	s_delay_alu instid0(VALU_DEP_1) | instskip(NEXT) | instid1(SALU_CYCLE_1)
	s_and_b32 s24, s14, s18
	s_xor_b32 s21, s24, -1
	s_add_u32 s2, s26, s2
	s_addc_u32 s3, s5, s3
	s_and_b32 vcc_lo, exec_lo, s21
	s_mov_b32 s5, -1
	s_cbranch_vccz .LBB1683_2
; %bb.1:
	v_add_co_u32 v9, s5, s2, v39
	s_delay_alu instid0(VALU_DEP_1)
	v_add_co_ci_u32_e64 v10, null, s3, 0, s5
	global_load_b64 v[1:2], v39, s[2:3]
	v_add_co_u32 v3, vcc_lo, v9, 0x2000
	v_add_co_ci_u32_e32 v4, vcc_lo, 0, v10, vcc_lo
	v_add_co_u32 v5, vcc_lo, v9, 0x4000
	v_add_co_ci_u32_e32 v6, vcc_lo, 0, v10, vcc_lo
	;; [unrolled: 2-line block ×4, first 2 shown]
	s_clause 0x6
	global_load_b64 v[11:12], v[3:4], off offset:-4096
	global_load_b64 v[3:4], v[3:4], off
	global_load_b64 v[13:14], v[5:6], off offset:-4096
	global_load_b64 v[5:6], v[5:6], off
	;; [unrolled: 2-line block ×3, first 2 shown]
	global_load_b64 v[9:10], v[9:10], off
	v_lshrrev_b32_e32 v26, 2, v24
	v_lshrrev_b32_e32 v27, 2, v22
	;; [unrolled: 1-line block ×4, first 2 shown]
	v_and_b32_e32 v25, 0x78, v17
	v_lshrrev_b32_e32 v30, 2, v20
	v_lshrrev_b32_e32 v31, 2, v19
	;; [unrolled: 1-line block ×3, first 2 shown]
	v_and_b32_e32 v26, 0xf8, v26
	v_and_b32_e32 v27, 0x178, v27
	;; [unrolled: 1-line block ×4, first 2 shown]
	v_add_nc_u32_e32 v25, v25, v39
	v_and_b32_e32 v30, 0x2f8, v30
	v_and_b32_e32 v31, 0x378, v31
	;; [unrolled: 1-line block ×3, first 2 shown]
	v_add_nc_u32_e32 v26, v26, v39
	v_add_nc_u32_e32 v27, v27, v39
	;; [unrolled: 1-line block ×4, first 2 shown]
	s_mov_b32 s5, 0
	v_add_nc_u32_e32 v30, v30, v39
	v_add_nc_u32_e32 v31, v31, v39
	;; [unrolled: 1-line block ×3, first 2 shown]
	s_waitcnt vmcnt(7)
	ds_store_b64 v25, v[1:2]
	s_waitcnt vmcnt(6)
	ds_store_b64 v26, v[11:12] offset:4096
	s_waitcnt vmcnt(5)
	ds_store_b64 v27, v[3:4] offset:8192
	;; [unrolled: 2-line block ×7, first 2 shown]
	s_waitcnt lgkmcnt(0)
	s_barrier
.LBB1683_2:
	s_and_not1_b32 vcc_lo, exec_lo, s5
	s_sub_i32 s20, s20, s4
	s_cbranch_vccnz .LBB1683_13
; %bb.3:
	s_mov_b32 s4, exec_lo
                                        ; implicit-def: $vgpr1_vgpr2_vgpr3_vgpr4_vgpr5_vgpr6_vgpr7_vgpr8_vgpr9_vgpr10_vgpr11_vgpr12_vgpr13_vgpr14_vgpr15_vgpr16
	v_cmpx_gt_u32_e64 s20, v0
	s_cbranch_execnz .LBB1683_23
; %bb.4:
	s_or_b32 exec_lo, exec_lo, s4
	s_delay_alu instid0(SALU_CYCLE_1)
	s_mov_b32 s4, exec_lo
	v_cmpx_gt_u32_e64 s20, v24
	s_cbranch_execnz .LBB1683_24
.LBB1683_5:
	s_or_b32 exec_lo, exec_lo, s4
	s_delay_alu instid0(SALU_CYCLE_1)
	s_mov_b32 s4, exec_lo
	v_cmpx_gt_u32_e64 s20, v22
	s_cbranch_execnz .LBB1683_25
.LBB1683_6:
	s_or_b32 exec_lo, exec_lo, s4
	s_delay_alu instid0(SALU_CYCLE_1)
	s_mov_b32 s4, exec_lo
	v_cmpx_gt_u32_e64 s20, v23
	s_cbranch_execnz .LBB1683_26
.LBB1683_7:
	s_or_b32 exec_lo, exec_lo, s4
	s_delay_alu instid0(SALU_CYCLE_1)
	s_mov_b32 s4, exec_lo
	v_cmpx_gt_u32_e64 s20, v21
	s_cbranch_execnz .LBB1683_27
.LBB1683_8:
	s_or_b32 exec_lo, exec_lo, s4
	s_delay_alu instid0(SALU_CYCLE_1)
	s_mov_b32 s4, exec_lo
	v_cmpx_gt_u32_e64 s20, v20
	s_cbranch_execnz .LBB1683_28
.LBB1683_9:
	s_or_b32 exec_lo, exec_lo, s4
	s_delay_alu instid0(SALU_CYCLE_1)
	s_mov_b32 s4, exec_lo
	v_cmpx_gt_u32_e64 s20, v19
	s_cbranch_execnz .LBB1683_29
.LBB1683_10:
	s_or_b32 exec_lo, exec_lo, s4
	s_delay_alu instid0(SALU_CYCLE_1)
	s_mov_b32 s4, exec_lo
	v_cmpx_gt_u32_e64 s20, v18
	s_cbranch_execz .LBB1683_12
.LBB1683_11:
	v_lshlrev_b32_e32 v15, 3, v18
	global_load_b64 v[15:16], v15, s[2:3]
.LBB1683_12:
	s_or_b32 exec_lo, exec_lo, s4
	v_lshrrev_b32_e32 v24, 2, v24
	v_lshrrev_b32_e32 v22, 2, v22
	;; [unrolled: 1-line block ×4, first 2 shown]
	v_and_b32_e32 v25, 0x78, v17
	v_lshrrev_b32_e32 v20, 2, v20
	v_lshrrev_b32_e32 v19, 2, v19
	;; [unrolled: 1-line block ×3, first 2 shown]
	v_and_b32_e32 v24, 0xf8, v24
	v_and_b32_e32 v22, 0x1f8, v22
	;; [unrolled: 1-line block ×4, first 2 shown]
	v_add_nc_u32_e32 v25, v25, v39
	v_and_b32_e32 v20, 0x3f8, v20
	v_and_b32_e32 v19, 0x3f8, v19
	;; [unrolled: 1-line block ×3, first 2 shown]
	v_add_nc_u32_e32 v24, v24, v39
	v_add_nc_u32_e32 v22, v22, v39
	;; [unrolled: 1-line block ×7, first 2 shown]
	s_waitcnt vmcnt(0)
	ds_store_b64 v25, v[1:2]
	ds_store_b64 v24, v[3:4] offset:4096
	ds_store_b64 v22, v[5:6] offset:8192
	;; [unrolled: 1-line block ×7, first 2 shown]
	s_waitcnt lgkmcnt(0)
	s_barrier
.LBB1683_13:
	v_add_lshl_u32 v1, v17, v39, 3
	s_waitcnt lgkmcnt(0)
	buffer_gl0_inv
	s_cmp_lg_u32 s15, 0
	v_cmp_gt_i64_e64 s26, s[22:23], 0
	s_cselect_b32 s25, -1, 0
	ds_load_2addr_b64 v[13:16], v1 offset1:1
	ds_load_2addr_b64 v[9:12], v1 offset0:2 offset1:3
	ds_load_2addr_b64 v[5:8], v1 offset0:4 offset1:5
	;; [unrolled: 1-line block ×3, first 2 shown]
	s_cmp_lg_u64 s[6:7], 0
	s_mov_b32 s18, 0
	s_cselect_b32 s4, -1, 0
	s_waitcnt lgkmcnt(0)
	s_or_b32 s4, s25, s4
	s_barrier
	s_and_b32 vcc_lo, exec_lo, s4
	buffer_gl0_inv
	s_cbranch_vccz .LBB1683_22
; %bb.14:
	s_add_u32 s2, s2, -8
	s_addc_u32 s3, s3, -1
	v_cndmask_b32_e64 v25, 0, 1, s26
	s_load_b64 s[4:5], s[2:3], 0x0
	s_and_b32 vcc_lo, exec_lo, s21
	ds_store_b64 v39, v[3:4]
	v_cmp_ne_u32_e64 s2, 1, v25
	s_cbranch_vccz .LBB1683_30
; %bb.15:
	v_mul_lo_u32 v19, v2, s22
	v_mul_lo_u32 v20, v1, s23
	v_mad_u64_u32 v[17:18], null, v1, s22, 0
	s_mov_b32 s3, 0
	s_and_b32 vcc_lo, exec_lo, s2
	s_mov_b32 s27, 0
	s_delay_alu instid0(VALU_DEP_1) | instskip(NEXT) | instid1(VALU_DEP_1)
	v_add3_u32 v18, v18, v20, v19
	v_lshlrev_b64 v[17:18], 3, v[17:18]
	s_cbranch_vccnz .LBB1683_33
; %bb.16:
	v_mul_lo_u32 v21, v4, s22
	v_mul_lo_u32 v22, v3, s23
	v_mad_u64_u32 v[19:20], null, v3, s22, 0
	s_mov_b32 s27, -1
	s_mov_b32 s28, exec_lo
	s_delay_alu instid0(VALU_DEP_1) | instskip(SKIP_2) | instid1(VALU_DEP_3)
	v_add3_u32 v20, v20, v22, v21
	v_add_co_u32 v21, vcc_lo, s8, v17
	v_add_co_ci_u32_e32 v22, vcc_lo, s9, v18, vcc_lo
	v_lshlrev_b64 v[19:20], 3, v[19:20]
	s_delay_alu instid0(VALU_DEP_1) | instskip(NEXT) | instid1(VALU_DEP_2)
	v_add_co_u32 v19, vcc_lo, s8, v19
	v_add_co_ci_u32_e32 v20, vcc_lo, s9, v20, vcc_lo
	s_clause 0x1
	global_load_b64 v[23:24], v[21:22], off
	global_load_b64 v[26:27], v[19:20], off
	s_waitcnt vmcnt(0)
	v_cmpx_eq_u64_e64 v[23:24], v[26:27]
	s_cbranch_execz .LBB1683_32
; %bb.17:
	v_add_co_u32 v19, vcc_lo, v19, 8
	v_add_co_ci_u32_e32 v20, vcc_lo, 0, v20, vcc_lo
	v_add_co_u32 v21, vcc_lo, v21, 8
	v_add_co_ci_u32_e32 v22, vcc_lo, 0, v22, vcc_lo
	s_add_u32 s6, s22, -1
	s_addc_u32 s7, s23, -1
	s_mov_b64 s[18:19], 0
	s_mov_b32 s27, 0
                                        ; implicit-def: $sgpr29
	s_set_inst_prefetch_distance 0x1
	s_branch .LBB1683_20
	.p2align	6
.LBB1683_18:                            ;   in Loop: Header=BB1683_20 Depth=1
	global_load_b64 v[23:24], v[21:22], off
	global_load_b64 v[26:27], v[19:20], off
	v_add_co_u32 v19, vcc_lo, v19, 8
	v_add_co_ci_u32_e32 v20, vcc_lo, 0, v20, vcc_lo
	v_add_co_u32 v21, s2, v21, 8
	s_delay_alu instid0(VALU_DEP_1)
	v_add_co_ci_u32_e64 v22, s2, 0, v22, s2
	s_add_u32 s18, s18, 1
	s_addc_u32 s19, s19, 0
	s_and_not1_b32 s2, s29, exec_lo
	s_waitcnt vmcnt(0)
	v_cmp_ne_u64_e32 vcc_lo, v[23:24], v[26:27]
	s_and_b32 s29, vcc_lo, exec_lo
	s_delay_alu instid0(SALU_CYCLE_1)
	s_or_b32 s29, s2, s29
.LBB1683_19:                            ;   in Loop: Header=BB1683_20 Depth=1
	v_dual_mov_b32 v24, s19 :: v_dual_mov_b32 v23, s18
	s_and_b32 s2, exec_lo, s29
	s_delay_alu instid0(SALU_CYCLE_1) | instskip(NEXT) | instid1(SALU_CYCLE_1)
	s_or_b32 s27, s2, s27
	s_and_not1_b32 exec_lo, exec_lo, s27
	s_cbranch_execz .LBB1683_31
.LBB1683_20:                            ; =>This Inner Loop Header: Depth=1
	s_or_b32 s29, s29, exec_lo
	s_cmp_eq_u64 s[6:7], s[18:19]
	s_cbranch_scc0 .LBB1683_18
; %bb.21:                               ;   in Loop: Header=BB1683_20 Depth=1
	s_mov_b64 s[18:19], s[22:23]
                                        ; implicit-def: $vgpr19_vgpr20
                                        ; implicit-def: $vgpr21_vgpr22
	s_branch .LBB1683_19
.LBB1683_22:
                                        ; implicit-def: $sgpr2
                                        ; implicit-def: $vgpr18
	s_branch .LBB1683_191
.LBB1683_23:
	global_load_b64 v[1:2], v39, s[2:3]
	s_or_b32 exec_lo, exec_lo, s4
	s_delay_alu instid0(SALU_CYCLE_1)
	s_mov_b32 s4, exec_lo
	v_cmpx_gt_u32_e64 s20, v24
	s_cbranch_execz .LBB1683_5
.LBB1683_24:
	v_lshlrev_b32_e32 v3, 3, v24
	global_load_b64 v[3:4], v3, s[2:3]
	s_or_b32 exec_lo, exec_lo, s4
	s_delay_alu instid0(SALU_CYCLE_1)
	s_mov_b32 s4, exec_lo
	v_cmpx_gt_u32_e64 s20, v22
	s_cbranch_execz .LBB1683_6
.LBB1683_25:
	v_lshlrev_b32_e32 v5, 3, v22
	global_load_b64 v[5:6], v5, s[2:3]
	s_or_b32 exec_lo, exec_lo, s4
	s_delay_alu instid0(SALU_CYCLE_1)
	s_mov_b32 s4, exec_lo
	v_cmpx_gt_u32_e64 s20, v23
	s_cbranch_execz .LBB1683_7
.LBB1683_26:
	v_lshlrev_b32_e32 v7, 3, v23
	global_load_b64 v[7:8], v7, s[2:3]
	s_or_b32 exec_lo, exec_lo, s4
	s_delay_alu instid0(SALU_CYCLE_1)
	s_mov_b32 s4, exec_lo
	v_cmpx_gt_u32_e64 s20, v21
	s_cbranch_execz .LBB1683_8
.LBB1683_27:
	v_lshlrev_b32_e32 v9, 3, v21
	global_load_b64 v[9:10], v9, s[2:3]
	s_or_b32 exec_lo, exec_lo, s4
	s_delay_alu instid0(SALU_CYCLE_1)
	s_mov_b32 s4, exec_lo
	v_cmpx_gt_u32_e64 s20, v20
	s_cbranch_execz .LBB1683_9
.LBB1683_28:
	v_lshlrev_b32_e32 v11, 3, v20
	global_load_b64 v[11:12], v11, s[2:3]
	s_or_b32 exec_lo, exec_lo, s4
	s_delay_alu instid0(SALU_CYCLE_1)
	s_mov_b32 s4, exec_lo
	v_cmpx_gt_u32_e64 s20, v19
	s_cbranch_execz .LBB1683_10
.LBB1683_29:
	v_lshlrev_b32_e32 v13, 3, v19
	global_load_b64 v[13:14], v13, s[2:3]
	s_or_b32 exec_lo, exec_lo, s4
	s_delay_alu instid0(SALU_CYCLE_1)
	s_mov_b32 s4, exec_lo
	v_cmpx_gt_u32_e64 s20, v18
	s_cbranch_execnz .LBB1683_11
	s_branch .LBB1683_12
.LBB1683_30:
                                        ; implicit-def: $sgpr2
                                        ; implicit-def: $vgpr18
	s_cbranch_execnz .LBB1683_99
	s_branch .LBB1683_190
.LBB1683_31:
	s_set_inst_prefetch_distance 0x2
	s_or_b32 exec_lo, exec_lo, s27
	v_cmp_gt_i64_e32 vcc_lo, s[22:23], v[23:24]
	s_or_not1_b32 s27, vcc_lo, exec_lo
.LBB1683_32:
	s_or_b32 exec_lo, exec_lo, s28
.LBB1683_33:
	v_mul_lo_u32 v21, v8, s22
	v_mul_lo_u32 v22, v7, s23
	v_mad_u64_u32 v[19:20], null, v7, s22, 0
	s_and_not1_b32 vcc_lo, exec_lo, s26
	s_delay_alu instid0(VALU_DEP_1) | instskip(NEXT) | instid1(VALU_DEP_1)
	v_add3_u32 v20, v20, v22, v21
	v_lshlrev_b64 v[19:20], 3, v[19:20]
	s_cbranch_vccnz .LBB1683_42
; %bb.34:
	s_delay_alu instid0(VALU_DEP_1) | instskip(NEXT) | instid1(VALU_DEP_2)
	v_add_co_u32 v21, vcc_lo, s8, v19
	v_add_co_ci_u32_e32 v22, vcc_lo, s9, v20, vcc_lo
	v_add_co_u32 v17, vcc_lo, s8, v17
	v_add_co_ci_u32_e32 v18, vcc_lo, s9, v18, vcc_lo
	s_mov_b32 s3, -1
	s_clause 0x1
	global_load_b64 v[23:24], v[21:22], off
	global_load_b64 v[26:27], v[17:18], off
	s_mov_b32 s28, exec_lo
	s_waitcnt vmcnt(0)
	v_cmpx_eq_u64_e64 v[23:24], v[26:27]
	s_cbranch_execz .LBB1683_41
; %bb.35:
	v_add_co_u32 v17, vcc_lo, v17, 8
	v_add_co_ci_u32_e32 v18, vcc_lo, 0, v18, vcc_lo
	v_add_co_u32 v21, vcc_lo, v21, 8
	v_add_co_ci_u32_e32 v22, vcc_lo, 0, v22, vcc_lo
	s_add_u32 s6, s22, -1
	s_addc_u32 s7, s23, -1
	s_mov_b64 s[18:19], 0
	s_mov_b32 s3, 0
                                        ; implicit-def: $sgpr29
	s_set_inst_prefetch_distance 0x1
	s_branch .LBB1683_38
	.p2align	6
.LBB1683_36:                            ;   in Loop: Header=BB1683_38 Depth=1
	global_load_b64 v[23:24], v[21:22], off
	global_load_b64 v[26:27], v[17:18], off
	v_add_co_u32 v17, vcc_lo, v17, 8
	v_add_co_ci_u32_e32 v18, vcc_lo, 0, v18, vcc_lo
	v_add_co_u32 v21, s2, v21, 8
	s_delay_alu instid0(VALU_DEP_1)
	v_add_co_ci_u32_e64 v22, s2, 0, v22, s2
	s_add_u32 s18, s18, 1
	s_addc_u32 s19, s19, 0
	s_and_not1_b32 s2, s29, exec_lo
	s_waitcnt vmcnt(0)
	v_cmp_ne_u64_e32 vcc_lo, v[23:24], v[26:27]
	s_and_b32 s29, vcc_lo, exec_lo
	s_delay_alu instid0(SALU_CYCLE_1)
	s_or_b32 s29, s2, s29
.LBB1683_37:                            ;   in Loop: Header=BB1683_38 Depth=1
	v_dual_mov_b32 v24, s19 :: v_dual_mov_b32 v23, s18
	s_and_b32 s2, exec_lo, s29
	s_delay_alu instid0(SALU_CYCLE_1) | instskip(NEXT) | instid1(SALU_CYCLE_1)
	s_or_b32 s3, s2, s3
	s_and_not1_b32 exec_lo, exec_lo, s3
	s_cbranch_execz .LBB1683_40
.LBB1683_38:                            ; =>This Inner Loop Header: Depth=1
	s_or_b32 s29, s29, exec_lo
	s_cmp_eq_u64 s[6:7], s[18:19]
	s_cbranch_scc0 .LBB1683_36
; %bb.39:                               ;   in Loop: Header=BB1683_38 Depth=1
	s_mov_b64 s[18:19], s[22:23]
                                        ; implicit-def: $vgpr17_vgpr18
                                        ; implicit-def: $vgpr21_vgpr22
	s_branch .LBB1683_37
.LBB1683_40:
	s_set_inst_prefetch_distance 0x2
	s_or_b32 exec_lo, exec_lo, s3
	v_cmp_gt_i64_e32 vcc_lo, s[22:23], v[23:24]
	s_or_not1_b32 s3, vcc_lo, exec_lo
.LBB1683_41:
	s_or_b32 exec_lo, exec_lo, s28
.LBB1683_42:
	v_mul_lo_u32 v21, v6, s22
	v_mul_lo_u32 v22, v5, s23
	v_mad_u64_u32 v[17:18], null, v5, s22, 0
	s_mov_b32 s28, 0
	s_and_not1_b32 vcc_lo, exec_lo, s26
	s_mov_b32 s29, 0
	s_delay_alu instid0(VALU_DEP_1) | instskip(NEXT) | instid1(VALU_DEP_1)
	v_add3_u32 v18, v18, v22, v21
	v_lshlrev_b64 v[21:22], 3, v[17:18]
	s_cbranch_vccnz .LBB1683_51
; %bb.43:
	s_delay_alu instid0(VALU_DEP_1) | instskip(NEXT) | instid1(VALU_DEP_2)
	v_add_co_u32 v23, vcc_lo, s8, v21
	v_add_co_ci_u32_e32 v24, vcc_lo, s9, v22, vcc_lo
	v_add_co_u32 v17, vcc_lo, s8, v19
	v_add_co_ci_u32_e32 v18, vcc_lo, s9, v20, vcc_lo
	s_mov_b32 s29, -1
	s_clause 0x1
	global_load_b64 v[19:20], v[23:24], off
	global_load_b64 v[26:27], v[17:18], off
	s_mov_b32 s30, exec_lo
	s_waitcnt vmcnt(0)
	v_cmpx_eq_u64_e64 v[19:20], v[26:27]
	s_cbranch_execz .LBB1683_50
; %bb.44:
	v_add_co_u32 v17, vcc_lo, v17, 8
	v_add_co_ci_u32_e32 v18, vcc_lo, 0, v18, vcc_lo
	v_add_co_u32 v19, vcc_lo, v23, 8
	v_add_co_ci_u32_e32 v20, vcc_lo, 0, v24, vcc_lo
	s_add_u32 s6, s22, -1
	s_addc_u32 s7, s23, -1
	s_mov_b64 s[18:19], 0
	s_mov_b32 s29, 0
                                        ; implicit-def: $sgpr31
	s_set_inst_prefetch_distance 0x1
	s_branch .LBB1683_47
	.p2align	6
.LBB1683_45:                            ;   in Loop: Header=BB1683_47 Depth=1
	global_load_b64 v[23:24], v[19:20], off
	global_load_b64 v[26:27], v[17:18], off
	v_add_co_u32 v17, vcc_lo, v17, 8
	v_add_co_ci_u32_e32 v18, vcc_lo, 0, v18, vcc_lo
	v_add_co_u32 v19, s2, v19, 8
	s_delay_alu instid0(VALU_DEP_1)
	v_add_co_ci_u32_e64 v20, s2, 0, v20, s2
	s_add_u32 s18, s18, 1
	s_addc_u32 s19, s19, 0
	s_and_not1_b32 s2, s31, exec_lo
	s_waitcnt vmcnt(0)
	v_cmp_ne_u64_e32 vcc_lo, v[23:24], v[26:27]
	s_and_b32 s31, vcc_lo, exec_lo
	s_delay_alu instid0(SALU_CYCLE_1)
	s_or_b32 s31, s2, s31
.LBB1683_46:                            ;   in Loop: Header=BB1683_47 Depth=1
	v_dual_mov_b32 v24, s19 :: v_dual_mov_b32 v23, s18
	s_and_b32 s2, exec_lo, s31
	s_delay_alu instid0(SALU_CYCLE_1) | instskip(NEXT) | instid1(SALU_CYCLE_1)
	s_or_b32 s29, s2, s29
	s_and_not1_b32 exec_lo, exec_lo, s29
	s_cbranch_execz .LBB1683_49
.LBB1683_47:                            ; =>This Inner Loop Header: Depth=1
	s_or_b32 s31, s31, exec_lo
	s_cmp_eq_u64 s[6:7], s[18:19]
	s_cbranch_scc0 .LBB1683_45
; %bb.48:                               ;   in Loop: Header=BB1683_47 Depth=1
	s_mov_b64 s[18:19], s[22:23]
                                        ; implicit-def: $vgpr17_vgpr18
                                        ; implicit-def: $vgpr19_vgpr20
	s_branch .LBB1683_46
.LBB1683_49:
	s_set_inst_prefetch_distance 0x2
	s_or_b32 exec_lo, exec_lo, s29
	v_cmp_gt_i64_e32 vcc_lo, s[22:23], v[23:24]
	s_or_not1_b32 s29, vcc_lo, exec_lo
.LBB1683_50:
	s_or_b32 exec_lo, exec_lo, s30
.LBB1683_51:
	v_mul_lo_u32 v19, v12, s22
	v_mul_lo_u32 v20, v11, s23
	v_mad_u64_u32 v[17:18], null, v11, s22, 0
	s_and_not1_b32 vcc_lo, exec_lo, s26
	s_delay_alu instid0(VALU_DEP_1) | instskip(NEXT) | instid1(VALU_DEP_1)
	v_add3_u32 v18, v18, v20, v19
	v_lshlrev_b64 v[17:18], 3, v[17:18]
	s_cbranch_vccnz .LBB1683_60
; %bb.52:
	s_delay_alu instid0(VALU_DEP_1) | instskip(NEXT) | instid1(VALU_DEP_2)
	v_add_co_u32 v23, vcc_lo, s8, v17
	v_add_co_ci_u32_e32 v24, vcc_lo, s9, v18, vcc_lo
	v_add_co_u32 v19, vcc_lo, s8, v21
	v_add_co_ci_u32_e32 v20, vcc_lo, s9, v22, vcc_lo
	s_mov_b32 s28, -1
	s_clause 0x1
	global_load_b64 v[21:22], v[23:24], off
	global_load_b64 v[26:27], v[19:20], off
	s_mov_b32 s30, exec_lo
	s_waitcnt vmcnt(0)
	v_cmpx_eq_u64_e64 v[21:22], v[26:27]
	s_cbranch_execz .LBB1683_59
; %bb.53:
	v_add_co_u32 v19, vcc_lo, v19, 8
	v_add_co_ci_u32_e32 v20, vcc_lo, 0, v20, vcc_lo
	v_add_co_u32 v21, vcc_lo, v23, 8
	v_add_co_ci_u32_e32 v22, vcc_lo, 0, v24, vcc_lo
	s_add_u32 s6, s22, -1
	s_addc_u32 s7, s23, -1
	s_mov_b64 s[18:19], 0
	s_mov_b32 s28, 0
                                        ; implicit-def: $sgpr31
	s_set_inst_prefetch_distance 0x1
	s_branch .LBB1683_56
	.p2align	6
.LBB1683_54:                            ;   in Loop: Header=BB1683_56 Depth=1
	global_load_b64 v[23:24], v[21:22], off
	global_load_b64 v[26:27], v[19:20], off
	v_add_co_u32 v19, vcc_lo, v19, 8
	v_add_co_ci_u32_e32 v20, vcc_lo, 0, v20, vcc_lo
	v_add_co_u32 v21, s2, v21, 8
	s_delay_alu instid0(VALU_DEP_1)
	v_add_co_ci_u32_e64 v22, s2, 0, v22, s2
	s_add_u32 s18, s18, 1
	s_addc_u32 s19, s19, 0
	s_and_not1_b32 s2, s31, exec_lo
	s_waitcnt vmcnt(0)
	v_cmp_ne_u64_e32 vcc_lo, v[23:24], v[26:27]
	s_and_b32 s31, vcc_lo, exec_lo
	s_delay_alu instid0(SALU_CYCLE_1)
	s_or_b32 s31, s2, s31
.LBB1683_55:                            ;   in Loop: Header=BB1683_56 Depth=1
	v_dual_mov_b32 v24, s19 :: v_dual_mov_b32 v23, s18
	s_and_b32 s2, exec_lo, s31
	s_delay_alu instid0(SALU_CYCLE_1) | instskip(NEXT) | instid1(SALU_CYCLE_1)
	s_or_b32 s28, s2, s28
	s_and_not1_b32 exec_lo, exec_lo, s28
	s_cbranch_execz .LBB1683_58
.LBB1683_56:                            ; =>This Inner Loop Header: Depth=1
	s_or_b32 s31, s31, exec_lo
	s_cmp_eq_u64 s[6:7], s[18:19]
	s_cbranch_scc0 .LBB1683_54
; %bb.57:                               ;   in Loop: Header=BB1683_56 Depth=1
	s_mov_b64 s[18:19], s[22:23]
                                        ; implicit-def: $vgpr19_vgpr20
                                        ; implicit-def: $vgpr21_vgpr22
	s_branch .LBB1683_55
.LBB1683_58:
	s_set_inst_prefetch_distance 0x2
	s_or_b32 exec_lo, exec_lo, s28
	v_cmp_gt_i64_e32 vcc_lo, s[22:23], v[23:24]
	s_or_not1_b32 s28, vcc_lo, exec_lo
.LBB1683_59:
	s_or_b32 exec_lo, exec_lo, s30
.LBB1683_60:
	v_mul_lo_u32 v21, v10, s22
	v_mul_lo_u32 v22, v9, s23
	v_mad_u64_u32 v[19:20], null, v9, s22, 0
	s_mov_b32 s30, 0
	s_and_not1_b32 vcc_lo, exec_lo, s26
	s_mov_b32 s31, 0
	s_delay_alu instid0(VALU_DEP_1) | instskip(NEXT) | instid1(VALU_DEP_1)
	v_add3_u32 v20, v20, v22, v21
	v_lshlrev_b64 v[21:22], 3, v[19:20]
	s_cbranch_vccnz .LBB1683_69
; %bb.61:
	s_delay_alu instid0(VALU_DEP_1) | instskip(NEXT) | instid1(VALU_DEP_2)
	v_add_co_u32 v19, vcc_lo, s8, v21
	v_add_co_ci_u32_e32 v20, vcc_lo, s9, v22, vcc_lo
	v_add_co_u32 v17, vcc_lo, s8, v17
	v_add_co_ci_u32_e32 v18, vcc_lo, s9, v18, vcc_lo
	s_mov_b32 s31, -1
	s_clause 0x1
	global_load_b64 v[23:24], v[19:20], off
	global_load_b64 v[26:27], v[17:18], off
	s_mov_b32 s33, exec_lo
	s_waitcnt vmcnt(0)
	v_cmpx_eq_u64_e64 v[23:24], v[26:27]
	s_cbranch_execz .LBB1683_68
; %bb.62:
	v_add_co_u32 v17, vcc_lo, v17, 8
	v_add_co_ci_u32_e32 v18, vcc_lo, 0, v18, vcc_lo
	v_add_co_u32 v19, vcc_lo, v19, 8
	v_add_co_ci_u32_e32 v20, vcc_lo, 0, v20, vcc_lo
	s_add_u32 s6, s22, -1
	s_addc_u32 s7, s23, -1
	s_mov_b64 s[18:19], 0
	s_mov_b32 s31, 0
                                        ; implicit-def: $sgpr34
	s_set_inst_prefetch_distance 0x1
	s_branch .LBB1683_65
	.p2align	6
.LBB1683_63:                            ;   in Loop: Header=BB1683_65 Depth=1
	global_load_b64 v[23:24], v[19:20], off
	global_load_b64 v[26:27], v[17:18], off
	v_add_co_u32 v17, vcc_lo, v17, 8
	v_add_co_ci_u32_e32 v18, vcc_lo, 0, v18, vcc_lo
	v_add_co_u32 v19, s2, v19, 8
	s_delay_alu instid0(VALU_DEP_1)
	v_add_co_ci_u32_e64 v20, s2, 0, v20, s2
	s_add_u32 s18, s18, 1
	s_addc_u32 s19, s19, 0
	s_and_not1_b32 s2, s34, exec_lo
	s_waitcnt vmcnt(0)
	v_cmp_ne_u64_e32 vcc_lo, v[23:24], v[26:27]
	s_and_b32 s34, vcc_lo, exec_lo
	s_delay_alu instid0(SALU_CYCLE_1)
	s_or_b32 s34, s2, s34
.LBB1683_64:                            ;   in Loop: Header=BB1683_65 Depth=1
	v_dual_mov_b32 v24, s19 :: v_dual_mov_b32 v23, s18
	s_and_b32 s2, exec_lo, s34
	s_delay_alu instid0(SALU_CYCLE_1) | instskip(NEXT) | instid1(SALU_CYCLE_1)
	s_or_b32 s31, s2, s31
	s_and_not1_b32 exec_lo, exec_lo, s31
	s_cbranch_execz .LBB1683_67
.LBB1683_65:                            ; =>This Inner Loop Header: Depth=1
	s_or_b32 s34, s34, exec_lo
	s_cmp_eq_u64 s[6:7], s[18:19]
	s_cbranch_scc0 .LBB1683_63
; %bb.66:                               ;   in Loop: Header=BB1683_65 Depth=1
	s_mov_b64 s[18:19], s[22:23]
                                        ; implicit-def: $vgpr17_vgpr18
                                        ; implicit-def: $vgpr19_vgpr20
	s_branch .LBB1683_64
.LBB1683_67:
	s_set_inst_prefetch_distance 0x2
	s_or_b32 exec_lo, exec_lo, s31
	v_cmp_gt_i64_e32 vcc_lo, s[22:23], v[23:24]
	s_or_not1_b32 s31, vcc_lo, exec_lo
.LBB1683_68:
	s_or_b32 exec_lo, exec_lo, s33
.LBB1683_69:
	v_mul_lo_u32 v19, v16, s22
	v_mul_lo_u32 v20, v15, s23
	v_mad_u64_u32 v[17:18], null, v15, s22, 0
	s_and_not1_b32 vcc_lo, exec_lo, s26
	s_delay_alu instid0(VALU_DEP_1) | instskip(NEXT) | instid1(VALU_DEP_1)
	v_add3_u32 v18, v18, v20, v19
	v_lshlrev_b64 v[19:20], 3, v[17:18]
	s_cbranch_vccnz .LBB1683_78
; %bb.70:
	s_delay_alu instid0(VALU_DEP_1) | instskip(NEXT) | instid1(VALU_DEP_2)
	v_add_co_u32 v23, vcc_lo, s8, v19
	v_add_co_ci_u32_e32 v24, vcc_lo, s9, v20, vcc_lo
	v_add_co_u32 v17, vcc_lo, s8, v21
	v_add_co_ci_u32_e32 v18, vcc_lo, s9, v22, vcc_lo
	s_mov_b32 s30, -1
	s_clause 0x1
	global_load_b64 v[21:22], v[23:24], off
	global_load_b64 v[26:27], v[17:18], off
	s_mov_b32 s33, exec_lo
	s_waitcnt vmcnt(0)
	v_cmpx_eq_u64_e64 v[21:22], v[26:27]
	s_cbranch_execz .LBB1683_77
; %bb.71:
	v_add_co_u32 v17, vcc_lo, v17, 8
	v_add_co_ci_u32_e32 v18, vcc_lo, 0, v18, vcc_lo
	v_add_co_u32 v21, vcc_lo, v23, 8
	v_add_co_ci_u32_e32 v22, vcc_lo, 0, v24, vcc_lo
	s_add_u32 s6, s22, -1
	s_addc_u32 s7, s23, -1
	s_mov_b64 s[18:19], 0
	s_mov_b32 s30, 0
                                        ; implicit-def: $sgpr34
	s_set_inst_prefetch_distance 0x1
	s_branch .LBB1683_74
	.p2align	6
.LBB1683_72:                            ;   in Loop: Header=BB1683_74 Depth=1
	global_load_b64 v[23:24], v[21:22], off
	global_load_b64 v[26:27], v[17:18], off
	v_add_co_u32 v17, vcc_lo, v17, 8
	v_add_co_ci_u32_e32 v18, vcc_lo, 0, v18, vcc_lo
	v_add_co_u32 v21, s2, v21, 8
	s_delay_alu instid0(VALU_DEP_1)
	v_add_co_ci_u32_e64 v22, s2, 0, v22, s2
	s_add_u32 s18, s18, 1
	s_addc_u32 s19, s19, 0
	s_and_not1_b32 s2, s34, exec_lo
	s_waitcnt vmcnt(0)
	v_cmp_ne_u64_e32 vcc_lo, v[23:24], v[26:27]
	s_and_b32 s34, vcc_lo, exec_lo
	s_delay_alu instid0(SALU_CYCLE_1)
	s_or_b32 s34, s2, s34
.LBB1683_73:                            ;   in Loop: Header=BB1683_74 Depth=1
	v_dual_mov_b32 v24, s19 :: v_dual_mov_b32 v23, s18
	s_and_b32 s2, exec_lo, s34
	s_delay_alu instid0(SALU_CYCLE_1) | instskip(NEXT) | instid1(SALU_CYCLE_1)
	s_or_b32 s30, s2, s30
	s_and_not1_b32 exec_lo, exec_lo, s30
	s_cbranch_execz .LBB1683_76
.LBB1683_74:                            ; =>This Inner Loop Header: Depth=1
	s_or_b32 s34, s34, exec_lo
	s_cmp_eq_u64 s[6:7], s[18:19]
	s_cbranch_scc0 .LBB1683_72
; %bb.75:                               ;   in Loop: Header=BB1683_74 Depth=1
	s_mov_b64 s[18:19], s[22:23]
                                        ; implicit-def: $vgpr17_vgpr18
                                        ; implicit-def: $vgpr21_vgpr22
	s_branch .LBB1683_73
.LBB1683_76:
	s_set_inst_prefetch_distance 0x2
	s_or_b32 exec_lo, exec_lo, s30
	v_cmp_gt_i64_e32 vcc_lo, s[22:23], v[23:24]
	s_or_not1_b32 s30, vcc_lo, exec_lo
.LBB1683_77:
	s_or_b32 exec_lo, exec_lo, s33
.LBB1683_78:
	v_mul_lo_u32 v21, v14, s22
	v_mul_lo_u32 v22, v13, s23
	v_mad_u64_u32 v[17:18], null, v13, s22, 0
	s_and_not1_b32 vcc_lo, exec_lo, s26
	s_mov_b32 s2, 0
	s_delay_alu instid0(VALU_DEP_1) | instskip(NEXT) | instid1(VALU_DEP_1)
	v_add3_u32 v18, v18, v22, v21
	v_lshlrev_b64 v[17:18], 3, v[17:18]
	s_cbranch_vccnz .LBB1683_87
; %bb.79:
	s_delay_alu instid0(VALU_DEP_1) | instskip(NEXT) | instid1(VALU_DEP_2)
	v_add_co_u32 v21, vcc_lo, s8, v17
	v_add_co_ci_u32_e32 v22, vcc_lo, s9, v18, vcc_lo
	v_add_co_u32 v19, vcc_lo, s8, v19
	v_add_co_ci_u32_e32 v20, vcc_lo, s9, v20, vcc_lo
	s_mov_b32 s2, -1
	s_clause 0x1
	global_load_b64 v[23:24], v[21:22], off
	global_load_b64 v[26:27], v[19:20], off
	s_mov_b32 s33, exec_lo
	s_waitcnt vmcnt(0)
	v_cmpx_eq_u64_e64 v[23:24], v[26:27]
	s_cbranch_execz .LBB1683_86
; %bb.80:
	v_add_co_u32 v19, vcc_lo, v19, 8
	v_add_co_ci_u32_e32 v20, vcc_lo, 0, v20, vcc_lo
	v_add_co_u32 v21, vcc_lo, v21, 8
	v_add_co_ci_u32_e32 v22, vcc_lo, 0, v22, vcc_lo
	s_add_u32 s6, s22, -1
	s_addc_u32 s7, s23, -1
	s_mov_b64 s[18:19], 0
	s_mov_b32 s34, 0
                                        ; implicit-def: $sgpr35
	s_set_inst_prefetch_distance 0x1
	s_branch .LBB1683_83
	.p2align	6
.LBB1683_81:                            ;   in Loop: Header=BB1683_83 Depth=1
	global_load_b64 v[23:24], v[21:22], off
	global_load_b64 v[26:27], v[19:20], off
	v_add_co_u32 v19, vcc_lo, v19, 8
	v_add_co_ci_u32_e32 v20, vcc_lo, 0, v20, vcc_lo
	v_add_co_u32 v21, s2, v21, 8
	s_delay_alu instid0(VALU_DEP_1)
	v_add_co_ci_u32_e64 v22, s2, 0, v22, s2
	s_add_u32 s18, s18, 1
	s_addc_u32 s19, s19, 0
	s_and_not1_b32 s2, s35, exec_lo
	s_waitcnt vmcnt(0)
	v_cmp_ne_u64_e32 vcc_lo, v[23:24], v[26:27]
	s_and_b32 s35, vcc_lo, exec_lo
	s_delay_alu instid0(SALU_CYCLE_1)
	s_or_b32 s35, s2, s35
.LBB1683_82:                            ;   in Loop: Header=BB1683_83 Depth=1
	v_dual_mov_b32 v24, s19 :: v_dual_mov_b32 v23, s18
	s_and_b32 s2, exec_lo, s35
	s_delay_alu instid0(SALU_CYCLE_1) | instskip(NEXT) | instid1(SALU_CYCLE_1)
	s_or_b32 s34, s2, s34
	s_and_not1_b32 exec_lo, exec_lo, s34
	s_cbranch_execz .LBB1683_85
.LBB1683_83:                            ; =>This Inner Loop Header: Depth=1
	s_or_b32 s35, s35, exec_lo
	s_cmp_eq_u64 s[6:7], s[18:19]
	s_cbranch_scc0 .LBB1683_81
; %bb.84:                               ;   in Loop: Header=BB1683_83 Depth=1
	s_mov_b64 s[18:19], s[22:23]
                                        ; implicit-def: $vgpr19_vgpr20
                                        ; implicit-def: $vgpr21_vgpr22
	s_branch .LBB1683_82
.LBB1683_85:
	s_set_inst_prefetch_distance 0x2
	s_or_b32 exec_lo, exec_lo, s34
	v_cmp_gt_i64_e32 vcc_lo, s[22:23], v[23:24]
	s_or_not1_b32 s2, vcc_lo, exec_lo
.LBB1683_86:
	s_or_b32 exec_lo, exec_lo, s33
.LBB1683_87:
	s_waitcnt lgkmcnt(0)
	v_dual_mov_b32 v20, s5 :: v_dual_mov_b32 v19, s4
	s_mov_b32 s6, exec_lo
	s_barrier
	buffer_gl0_inv
	v_cmpx_ne_u32_e32 0, v0
	s_cbranch_execz .LBB1683_89
; %bb.88:
	v_add_nc_u32_e32 v19, -8, v39
	ds_load_b64 v[19:20], v19
.LBB1683_89:
	s_or_b32 exec_lo, exec_lo, s6
	v_cndmask_b32_e64 v22, 0, 1, s31
	v_cndmask_b32_e64 v24, 0, 1, s29
	;; [unrolled: 1-line block ×7, first 2 shown]
	v_lshlrev_b16 v22, 8, v22
	v_lshlrev_b16 v24, 8, v24
	;; [unrolled: 1-line block ×4, first 2 shown]
	s_mov_b32 s3, 0
	v_or_b32_e32 v21, v21, v22
	v_or_b32_e32 v22, v23, v24
	;; [unrolled: 1-line block ×3, first 2 shown]
	v_and_b32_e32 v23, 0xffff, v27
	s_and_not1_b32 vcc_lo, exec_lo, s26
	v_lshlrev_b32_e32 v24, 16, v21
	v_and_b32_e32 v26, 0xffff, v22
	v_lshlrev_b32_e32 v27, 16, v28
	s_mov_b32 s2, 0
	s_cbranch_vccnz .LBB1683_98
; %bb.90:
	s_waitcnt lgkmcnt(0)
	v_mul_lo_u32 v22, v20, s22
	v_mul_lo_u32 v28, v19, s23
	v_mad_u64_u32 v[20:21], null, v19, s22, 0
	s_mov_b32 s2, -1
	s_mov_b32 s27, exec_lo
	s_delay_alu instid0(VALU_DEP_1) | instskip(NEXT) | instid1(VALU_DEP_1)
	v_add3_u32 v21, v21, v28, v22
	v_lshlrev_b64 v[19:20], 3, v[20:21]
	s_delay_alu instid0(VALU_DEP_1) | instskip(NEXT) | instid1(VALU_DEP_2)
	v_add_co_u32 v19, vcc_lo, s8, v19
	v_add_co_ci_u32_e32 v20, vcc_lo, s9, v20, vcc_lo
	v_add_co_u32 v17, vcc_lo, s8, v17
	v_add_co_ci_u32_e32 v18, vcc_lo, s9, v18, vcc_lo
	s_clause 0x1
	global_load_b64 v[21:22], v[19:20], off
	global_load_b64 v[28:29], v[17:18], off
	s_waitcnt vmcnt(0)
	v_cmpx_eq_u64_e64 v[21:22], v[28:29]
	s_cbranch_execz .LBB1683_97
; %bb.91:
	v_add_co_u32 v17, vcc_lo, v17, 8
	v_add_co_ci_u32_e32 v18, vcc_lo, 0, v18, vcc_lo
	v_add_co_u32 v19, vcc_lo, v19, 8
	v_add_co_ci_u32_e32 v20, vcc_lo, 0, v20, vcc_lo
	s_add_u32 s6, s22, -1
	s_addc_u32 s7, s23, -1
	s_mov_b64 s[18:19], 0
	s_mov_b32 s28, 0
                                        ; implicit-def: $sgpr29
	s_set_inst_prefetch_distance 0x1
	s_branch .LBB1683_94
	.p2align	6
.LBB1683_92:                            ;   in Loop: Header=BB1683_94 Depth=1
	global_load_b64 v[21:22], v[19:20], off
	global_load_b64 v[28:29], v[17:18], off
	v_add_co_u32 v17, vcc_lo, v17, 8
	v_add_co_ci_u32_e32 v18, vcc_lo, 0, v18, vcc_lo
	v_add_co_u32 v19, s2, v19, 8
	s_delay_alu instid0(VALU_DEP_1)
	v_add_co_ci_u32_e64 v20, s2, 0, v20, s2
	s_add_u32 s18, s18, 1
	s_addc_u32 s19, s19, 0
	s_and_not1_b32 s2, s29, exec_lo
	s_waitcnt vmcnt(0)
	v_cmp_ne_u64_e32 vcc_lo, v[21:22], v[28:29]
	s_and_b32 s29, vcc_lo, exec_lo
	s_delay_alu instid0(SALU_CYCLE_1)
	s_or_b32 s29, s2, s29
.LBB1683_93:                            ;   in Loop: Header=BB1683_94 Depth=1
	v_dual_mov_b32 v22, s19 :: v_dual_mov_b32 v21, s18
	s_and_b32 s2, exec_lo, s29
	s_delay_alu instid0(SALU_CYCLE_1) | instskip(NEXT) | instid1(SALU_CYCLE_1)
	s_or_b32 s28, s2, s28
	s_and_not1_b32 exec_lo, exec_lo, s28
	s_cbranch_execz .LBB1683_96
.LBB1683_94:                            ; =>This Inner Loop Header: Depth=1
	s_or_b32 s29, s29, exec_lo
	s_cmp_eq_u64 s[6:7], s[18:19]
	s_cbranch_scc0 .LBB1683_92
; %bb.95:                               ;   in Loop: Header=BB1683_94 Depth=1
	s_mov_b64 s[18:19], s[22:23]
                                        ; implicit-def: $vgpr17_vgpr18
                                        ; implicit-def: $vgpr19_vgpr20
	s_branch .LBB1683_93
.LBB1683_96:
	s_set_inst_prefetch_distance 0x2
	s_or_b32 exec_lo, exec_lo, s28
	v_cmp_gt_i64_e32 vcc_lo, s[22:23], v[21:22]
	s_or_not1_b32 s2, vcc_lo, exec_lo
.LBB1683_97:
	s_or_b32 exec_lo, exec_lo, s27
.LBB1683_98:
	v_or_b32_e32 v17, v23, v24
	s_delay_alu instid0(VALU_DEP_2)
	v_or_b32_e32 v18, v26, v27
	s_and_b32 vcc_lo, exec_lo, s3
	s_cbranch_vccz .LBB1683_190
.LBB1683_99:
	v_or_b32_e32 v17, 7, v39
	s_mov_b32 s3, 0
	s_mov_b32 s27, 0
	s_mov_b32 s28, exec_lo
	s_delay_alu instid0(VALU_DEP_1)
	v_cmpx_gt_u32_e64 s20, v17
	s_cbranch_execz .LBB1683_110
; %bb.100:
	s_and_not1_b32 vcc_lo, exec_lo, s26
	s_mov_b32 s2, 0
	s_cbranch_vccnz .LBB1683_109
; %bb.101:
	v_mul_lo_u32 v21, v2, s22
	v_mul_lo_u32 v22, v1, s23
	v_mad_u64_u32 v[17:18], null, v1, s22, 0
	v_mul_lo_u32 v23, v4, s22
	v_mul_lo_u32 v24, v3, s23
	s_waitcnt lgkmcnt(0)
	v_mad_u64_u32 v[19:20], null, v3, s22, 0
	s_mov_b32 s2, -1
	s_mov_b32 s26, exec_lo
	s_delay_alu instid0(VALU_DEP_4) | instskip(NEXT) | instid1(VALU_DEP_2)
	v_add3_u32 v18, v18, v22, v21
	v_add3_u32 v20, v20, v24, v23
	s_delay_alu instid0(VALU_DEP_2) | instskip(NEXT) | instid1(VALU_DEP_2)
	v_lshlrev_b64 v[17:18], 3, v[17:18]
	v_lshlrev_b64 v[21:22], 3, v[19:20]
	s_delay_alu instid0(VALU_DEP_2) | instskip(NEXT) | instid1(VALU_DEP_3)
	v_add_co_u32 v19, vcc_lo, s8, v17
	v_add_co_ci_u32_e32 v20, vcc_lo, s9, v18, vcc_lo
	s_delay_alu instid0(VALU_DEP_3) | instskip(NEXT) | instid1(VALU_DEP_4)
	v_add_co_u32 v17, vcc_lo, s8, v21
	v_add_co_ci_u32_e32 v18, vcc_lo, s9, v22, vcc_lo
	s_clause 0x1
	global_load_b64 v[21:22], v[19:20], off
	global_load_b64 v[23:24], v[17:18], off
	s_waitcnt vmcnt(0)
	v_cmpx_eq_u64_e64 v[21:22], v[23:24]
	s_cbranch_execz .LBB1683_108
; %bb.102:
	v_add_co_u32 v17, vcc_lo, v17, 8
	v_add_co_ci_u32_e32 v18, vcc_lo, 0, v18, vcc_lo
	v_add_co_u32 v19, vcc_lo, v19, 8
	v_add_co_ci_u32_e32 v20, vcc_lo, 0, v20, vcc_lo
	s_add_u32 s6, s22, -1
	s_addc_u32 s7, s23, -1
	s_mov_b64 s[18:19], 0
                                        ; implicit-def: $sgpr29
	s_set_inst_prefetch_distance 0x1
	s_branch .LBB1683_105
	.p2align	6
.LBB1683_103:                           ;   in Loop: Header=BB1683_105 Depth=1
	global_load_b64 v[21:22], v[19:20], off
	global_load_b64 v[23:24], v[17:18], off
	v_add_co_u32 v17, vcc_lo, v17, 8
	v_add_co_ci_u32_e32 v18, vcc_lo, 0, v18, vcc_lo
	v_add_co_u32 v19, s2, v19, 8
	s_delay_alu instid0(VALU_DEP_1)
	v_add_co_ci_u32_e64 v20, s2, 0, v20, s2
	s_add_u32 s18, s18, 1
	s_addc_u32 s19, s19, 0
	s_and_not1_b32 s2, s29, exec_lo
	s_waitcnt vmcnt(0)
	v_cmp_ne_u64_e32 vcc_lo, v[21:22], v[23:24]
	s_and_b32 s29, vcc_lo, exec_lo
	s_delay_alu instid0(SALU_CYCLE_1)
	s_or_b32 s29, s2, s29
.LBB1683_104:                           ;   in Loop: Header=BB1683_105 Depth=1
	v_dual_mov_b32 v22, s19 :: v_dual_mov_b32 v21, s18
	s_and_b32 s2, exec_lo, s29
	s_delay_alu instid0(SALU_CYCLE_1) | instskip(NEXT) | instid1(SALU_CYCLE_1)
	s_or_b32 s27, s2, s27
	s_and_not1_b32 exec_lo, exec_lo, s27
	s_cbranch_execz .LBB1683_107
.LBB1683_105:                           ; =>This Inner Loop Header: Depth=1
	s_or_b32 s29, s29, exec_lo
	s_cmp_eq_u64 s[6:7], s[18:19]
	s_cbranch_scc0 .LBB1683_103
; %bb.106:                              ;   in Loop: Header=BB1683_105 Depth=1
	s_mov_b64 s[18:19], s[22:23]
                                        ; implicit-def: $vgpr17_vgpr18
                                        ; implicit-def: $vgpr19_vgpr20
	s_branch .LBB1683_104
.LBB1683_107:
	s_set_inst_prefetch_distance 0x2
	s_or_b32 exec_lo, exec_lo, s27
	v_cmp_gt_i64_e32 vcc_lo, s[22:23], v[21:22]
	s_or_not1_b32 s2, vcc_lo, exec_lo
.LBB1683_108:
	s_or_b32 exec_lo, exec_lo, s26
.LBB1683_109:
	s_delay_alu instid0(SALU_CYCLE_1)
	s_and_b32 s27, s2, exec_lo
.LBB1683_110:
	s_or_b32 exec_lo, exec_lo, s28
	v_or_b32_e32 v17, 6, v39
	s_mov_b32 s26, exec_lo
	s_delay_alu instid0(VALU_DEP_1)
	v_cmpx_gt_u32_e64 s20, v17
	s_cbranch_execz .LBB1683_121
; %bb.111:
	v_cmp_ne_u32_e32 vcc_lo, 1, v25
	s_mov_b32 s2, 0
	s_cbranch_vccnz .LBB1683_120
; %bb.112:
	v_mul_lo_u32 v21, v8, s22
	v_mul_lo_u32 v22, v7, s23
	v_mad_u64_u32 v[17:18], null, v7, s22, 0
	v_mul_lo_u32 v23, v2, s22
	v_mul_lo_u32 v24, v1, s23
	s_waitcnt lgkmcnt(0)
	v_mad_u64_u32 v[19:20], null, v1, s22, 0
	s_mov_b32 s2, -1
	s_mov_b32 s3, exec_lo
	s_delay_alu instid0(VALU_DEP_4) | instskip(NEXT) | instid1(VALU_DEP_2)
	v_add3_u32 v18, v18, v22, v21
	v_add3_u32 v20, v20, v24, v23
	s_delay_alu instid0(VALU_DEP_2) | instskip(NEXT) | instid1(VALU_DEP_2)
	v_lshlrev_b64 v[17:18], 3, v[17:18]
	v_lshlrev_b64 v[21:22], 3, v[19:20]
	s_delay_alu instid0(VALU_DEP_2) | instskip(NEXT) | instid1(VALU_DEP_3)
	v_add_co_u32 v19, vcc_lo, s8, v17
	v_add_co_ci_u32_e32 v20, vcc_lo, s9, v18, vcc_lo
	s_delay_alu instid0(VALU_DEP_3) | instskip(NEXT) | instid1(VALU_DEP_4)
	v_add_co_u32 v17, vcc_lo, s8, v21
	v_add_co_ci_u32_e32 v18, vcc_lo, s9, v22, vcc_lo
	s_clause 0x1
	global_load_b64 v[21:22], v[19:20], off
	global_load_b64 v[23:24], v[17:18], off
	s_waitcnt vmcnt(0)
	v_cmpx_eq_u64_e64 v[21:22], v[23:24]
	s_cbranch_execz .LBB1683_119
; %bb.113:
	v_add_co_u32 v17, vcc_lo, v17, 8
	v_add_co_ci_u32_e32 v18, vcc_lo, 0, v18, vcc_lo
	v_add_co_u32 v19, vcc_lo, v19, 8
	v_add_co_ci_u32_e32 v20, vcc_lo, 0, v20, vcc_lo
	s_add_u32 s6, s22, -1
	s_addc_u32 s7, s23, -1
	s_mov_b64 s[18:19], 0
	s_mov_b32 s28, 0
                                        ; implicit-def: $sgpr29
	s_set_inst_prefetch_distance 0x1
	s_branch .LBB1683_116
	.p2align	6
.LBB1683_114:                           ;   in Loop: Header=BB1683_116 Depth=1
	global_load_b64 v[21:22], v[19:20], off
	global_load_b64 v[23:24], v[17:18], off
	v_add_co_u32 v17, vcc_lo, v17, 8
	v_add_co_ci_u32_e32 v18, vcc_lo, 0, v18, vcc_lo
	v_add_co_u32 v19, s2, v19, 8
	s_delay_alu instid0(VALU_DEP_1)
	v_add_co_ci_u32_e64 v20, s2, 0, v20, s2
	s_add_u32 s18, s18, 1
	s_addc_u32 s19, s19, 0
	s_and_not1_b32 s2, s29, exec_lo
	s_waitcnt vmcnt(0)
	v_cmp_ne_u64_e32 vcc_lo, v[21:22], v[23:24]
	s_and_b32 s29, vcc_lo, exec_lo
	s_delay_alu instid0(SALU_CYCLE_1)
	s_or_b32 s29, s2, s29
.LBB1683_115:                           ;   in Loop: Header=BB1683_116 Depth=1
	v_dual_mov_b32 v22, s19 :: v_dual_mov_b32 v21, s18
	s_and_b32 s2, exec_lo, s29
	s_delay_alu instid0(SALU_CYCLE_1) | instskip(NEXT) | instid1(SALU_CYCLE_1)
	s_or_b32 s28, s2, s28
	s_and_not1_b32 exec_lo, exec_lo, s28
	s_cbranch_execz .LBB1683_118
.LBB1683_116:                           ; =>This Inner Loop Header: Depth=1
	s_or_b32 s29, s29, exec_lo
	s_cmp_eq_u64 s[6:7], s[18:19]
	s_cbranch_scc0 .LBB1683_114
; %bb.117:                              ;   in Loop: Header=BB1683_116 Depth=1
	s_mov_b64 s[18:19], s[22:23]
                                        ; implicit-def: $vgpr17_vgpr18
                                        ; implicit-def: $vgpr19_vgpr20
	s_branch .LBB1683_115
.LBB1683_118:
	s_set_inst_prefetch_distance 0x2
	s_or_b32 exec_lo, exec_lo, s28
	v_cmp_gt_i64_e32 vcc_lo, s[22:23], v[21:22]
	s_or_not1_b32 s2, vcc_lo, exec_lo
.LBB1683_119:
	s_or_b32 exec_lo, exec_lo, s3
.LBB1683_120:
	s_delay_alu instid0(SALU_CYCLE_1)
	s_and_b32 s3, s2, exec_lo
.LBB1683_121:
	s_or_b32 exec_lo, exec_lo, s26
	v_or_b32_e32 v17, 5, v39
	s_mov_b32 s28, 0
	s_mov_b32 s26, 0
	s_mov_b32 s29, exec_lo
	s_delay_alu instid0(VALU_DEP_1)
	v_cmpx_gt_u32_e64 s20, v17
	s_cbranch_execz .LBB1683_132
; %bb.122:
	v_cmp_ne_u32_e32 vcc_lo, 1, v25
	s_mov_b32 s2, 0
	s_cbranch_vccnz .LBB1683_131
; %bb.123:
	v_mul_lo_u32 v21, v6, s22
	v_mul_lo_u32 v22, v5, s23
	v_mad_u64_u32 v[17:18], null, v5, s22, 0
	v_mul_lo_u32 v23, v8, s22
	v_mul_lo_u32 v24, v7, s23
	s_waitcnt lgkmcnt(0)
	v_mad_u64_u32 v[19:20], null, v7, s22, 0
	s_mov_b32 s2, -1
	s_mov_b32 s26, exec_lo
	s_delay_alu instid0(VALU_DEP_4) | instskip(NEXT) | instid1(VALU_DEP_2)
	v_add3_u32 v18, v18, v22, v21
	v_add3_u32 v20, v20, v24, v23
	s_delay_alu instid0(VALU_DEP_2) | instskip(NEXT) | instid1(VALU_DEP_2)
	v_lshlrev_b64 v[17:18], 3, v[17:18]
	v_lshlrev_b64 v[21:22], 3, v[19:20]
	s_delay_alu instid0(VALU_DEP_2) | instskip(NEXT) | instid1(VALU_DEP_3)
	v_add_co_u32 v19, vcc_lo, s8, v17
	v_add_co_ci_u32_e32 v20, vcc_lo, s9, v18, vcc_lo
	s_delay_alu instid0(VALU_DEP_3) | instskip(NEXT) | instid1(VALU_DEP_4)
	v_add_co_u32 v17, vcc_lo, s8, v21
	v_add_co_ci_u32_e32 v18, vcc_lo, s9, v22, vcc_lo
	s_clause 0x1
	global_load_b64 v[21:22], v[19:20], off
	global_load_b64 v[23:24], v[17:18], off
	s_waitcnt vmcnt(0)
	v_cmpx_eq_u64_e64 v[21:22], v[23:24]
	s_cbranch_execz .LBB1683_130
; %bb.124:
	v_add_co_u32 v17, vcc_lo, v17, 8
	v_add_co_ci_u32_e32 v18, vcc_lo, 0, v18, vcc_lo
	v_add_co_u32 v19, vcc_lo, v19, 8
	v_add_co_ci_u32_e32 v20, vcc_lo, 0, v20, vcc_lo
	s_add_u32 s6, s22, -1
	s_addc_u32 s7, s23, -1
	s_mov_b64 s[18:19], 0
	s_mov_b32 s30, 0
                                        ; implicit-def: $sgpr31
	s_set_inst_prefetch_distance 0x1
	s_branch .LBB1683_127
	.p2align	6
.LBB1683_125:                           ;   in Loop: Header=BB1683_127 Depth=1
	global_load_b64 v[21:22], v[19:20], off
	global_load_b64 v[23:24], v[17:18], off
	v_add_co_u32 v17, vcc_lo, v17, 8
	v_add_co_ci_u32_e32 v18, vcc_lo, 0, v18, vcc_lo
	v_add_co_u32 v19, s2, v19, 8
	s_delay_alu instid0(VALU_DEP_1)
	v_add_co_ci_u32_e64 v20, s2, 0, v20, s2
	s_add_u32 s18, s18, 1
	s_addc_u32 s19, s19, 0
	s_and_not1_b32 s2, s31, exec_lo
	s_waitcnt vmcnt(0)
	v_cmp_ne_u64_e32 vcc_lo, v[21:22], v[23:24]
	s_and_b32 s31, vcc_lo, exec_lo
	s_delay_alu instid0(SALU_CYCLE_1)
	s_or_b32 s31, s2, s31
.LBB1683_126:                           ;   in Loop: Header=BB1683_127 Depth=1
	v_dual_mov_b32 v22, s19 :: v_dual_mov_b32 v21, s18
	s_and_b32 s2, exec_lo, s31
	s_delay_alu instid0(SALU_CYCLE_1) | instskip(NEXT) | instid1(SALU_CYCLE_1)
	s_or_b32 s30, s2, s30
	s_and_not1_b32 exec_lo, exec_lo, s30
	s_cbranch_execz .LBB1683_129
.LBB1683_127:                           ; =>This Inner Loop Header: Depth=1
	s_or_b32 s31, s31, exec_lo
	s_cmp_eq_u64 s[6:7], s[18:19]
	s_cbranch_scc0 .LBB1683_125
; %bb.128:                              ;   in Loop: Header=BB1683_127 Depth=1
	s_mov_b64 s[18:19], s[22:23]
                                        ; implicit-def: $vgpr17_vgpr18
                                        ; implicit-def: $vgpr19_vgpr20
	s_branch .LBB1683_126
.LBB1683_129:
	s_set_inst_prefetch_distance 0x2
	s_or_b32 exec_lo, exec_lo, s30
	v_cmp_gt_i64_e32 vcc_lo, s[22:23], v[21:22]
	s_or_not1_b32 s2, vcc_lo, exec_lo
.LBB1683_130:
	s_or_b32 exec_lo, exec_lo, s26
.LBB1683_131:
	s_delay_alu instid0(SALU_CYCLE_1)
	s_and_b32 s26, s2, exec_lo
.LBB1683_132:
	s_or_b32 exec_lo, exec_lo, s29
	v_or_b32_e32 v17, 4, v39
	s_mov_b32 s29, exec_lo
	s_delay_alu instid0(VALU_DEP_1)
	v_cmpx_gt_u32_e64 s20, v17
	s_cbranch_execz .LBB1683_143
; %bb.133:
	v_cmp_ne_u32_e32 vcc_lo, 1, v25
	s_mov_b32 s2, 0
	s_cbranch_vccnz .LBB1683_142
; %bb.134:
	v_mul_lo_u32 v21, v12, s22
	v_mul_lo_u32 v22, v11, s23
	v_mad_u64_u32 v[17:18], null, v11, s22, 0
	v_mul_lo_u32 v23, v6, s22
	v_mul_lo_u32 v24, v5, s23
	s_waitcnt lgkmcnt(0)
	v_mad_u64_u32 v[19:20], null, v5, s22, 0
	s_mov_b32 s2, -1
	s_mov_b32 s28, exec_lo
	s_delay_alu instid0(VALU_DEP_4) | instskip(NEXT) | instid1(VALU_DEP_2)
	v_add3_u32 v18, v18, v22, v21
	v_add3_u32 v20, v20, v24, v23
	s_delay_alu instid0(VALU_DEP_2) | instskip(NEXT) | instid1(VALU_DEP_2)
	v_lshlrev_b64 v[17:18], 3, v[17:18]
	v_lshlrev_b64 v[21:22], 3, v[19:20]
	s_delay_alu instid0(VALU_DEP_2) | instskip(NEXT) | instid1(VALU_DEP_3)
	v_add_co_u32 v19, vcc_lo, s8, v17
	v_add_co_ci_u32_e32 v20, vcc_lo, s9, v18, vcc_lo
	s_delay_alu instid0(VALU_DEP_3) | instskip(NEXT) | instid1(VALU_DEP_4)
	v_add_co_u32 v17, vcc_lo, s8, v21
	v_add_co_ci_u32_e32 v18, vcc_lo, s9, v22, vcc_lo
	s_clause 0x1
	global_load_b64 v[21:22], v[19:20], off
	global_load_b64 v[23:24], v[17:18], off
	s_waitcnt vmcnt(0)
	v_cmpx_eq_u64_e64 v[21:22], v[23:24]
	s_cbranch_execz .LBB1683_141
; %bb.135:
	v_add_co_u32 v17, vcc_lo, v17, 8
	v_add_co_ci_u32_e32 v18, vcc_lo, 0, v18, vcc_lo
	v_add_co_u32 v19, vcc_lo, v19, 8
	v_add_co_ci_u32_e32 v20, vcc_lo, 0, v20, vcc_lo
	s_add_u32 s6, s22, -1
	s_addc_u32 s7, s23, -1
	s_mov_b64 s[18:19], 0
	s_mov_b32 s30, 0
                                        ; implicit-def: $sgpr31
	s_set_inst_prefetch_distance 0x1
	s_branch .LBB1683_138
	.p2align	6
.LBB1683_136:                           ;   in Loop: Header=BB1683_138 Depth=1
	global_load_b64 v[21:22], v[19:20], off
	global_load_b64 v[23:24], v[17:18], off
	v_add_co_u32 v17, vcc_lo, v17, 8
	v_add_co_ci_u32_e32 v18, vcc_lo, 0, v18, vcc_lo
	v_add_co_u32 v19, s2, v19, 8
	s_delay_alu instid0(VALU_DEP_1)
	v_add_co_ci_u32_e64 v20, s2, 0, v20, s2
	s_add_u32 s18, s18, 1
	s_addc_u32 s19, s19, 0
	s_and_not1_b32 s2, s31, exec_lo
	s_waitcnt vmcnt(0)
	v_cmp_ne_u64_e32 vcc_lo, v[21:22], v[23:24]
	s_and_b32 s31, vcc_lo, exec_lo
	s_delay_alu instid0(SALU_CYCLE_1)
	s_or_b32 s31, s2, s31
.LBB1683_137:                           ;   in Loop: Header=BB1683_138 Depth=1
	v_dual_mov_b32 v22, s19 :: v_dual_mov_b32 v21, s18
	s_and_b32 s2, exec_lo, s31
	s_delay_alu instid0(SALU_CYCLE_1) | instskip(NEXT) | instid1(SALU_CYCLE_1)
	s_or_b32 s30, s2, s30
	s_and_not1_b32 exec_lo, exec_lo, s30
	s_cbranch_execz .LBB1683_140
.LBB1683_138:                           ; =>This Inner Loop Header: Depth=1
	s_or_b32 s31, s31, exec_lo
	s_cmp_eq_u64 s[6:7], s[18:19]
	s_cbranch_scc0 .LBB1683_136
; %bb.139:                              ;   in Loop: Header=BB1683_138 Depth=1
	s_mov_b64 s[18:19], s[22:23]
                                        ; implicit-def: $vgpr17_vgpr18
                                        ; implicit-def: $vgpr19_vgpr20
	s_branch .LBB1683_137
.LBB1683_140:
	s_set_inst_prefetch_distance 0x2
	s_or_b32 exec_lo, exec_lo, s30
	v_cmp_gt_i64_e32 vcc_lo, s[22:23], v[21:22]
	s_or_not1_b32 s2, vcc_lo, exec_lo
.LBB1683_141:
	s_or_b32 exec_lo, exec_lo, s28
.LBB1683_142:
	s_delay_alu instid0(SALU_CYCLE_1)
	s_and_b32 s28, s2, exec_lo
.LBB1683_143:
	s_or_b32 exec_lo, exec_lo, s29
	v_or_b32_e32 v17, 3, v39
	s_mov_b32 s30, 0
	s_mov_b32 s29, 0
	s_mov_b32 s31, exec_lo
	s_delay_alu instid0(VALU_DEP_1)
	v_cmpx_gt_u32_e64 s20, v17
	s_cbranch_execz .LBB1683_154
; %bb.144:
	v_cmp_ne_u32_e32 vcc_lo, 1, v25
	s_mov_b32 s2, 0
	s_cbranch_vccnz .LBB1683_153
; %bb.145:
	v_mul_lo_u32 v21, v10, s22
	v_mul_lo_u32 v22, v9, s23
	v_mad_u64_u32 v[17:18], null, v9, s22, 0
	v_mul_lo_u32 v23, v12, s22
	v_mul_lo_u32 v24, v11, s23
	s_waitcnt lgkmcnt(0)
	v_mad_u64_u32 v[19:20], null, v11, s22, 0
	s_mov_b32 s2, -1
	s_mov_b32 s29, exec_lo
	s_delay_alu instid0(VALU_DEP_4) | instskip(NEXT) | instid1(VALU_DEP_2)
	v_add3_u32 v18, v18, v22, v21
	v_add3_u32 v20, v20, v24, v23
	s_delay_alu instid0(VALU_DEP_2) | instskip(NEXT) | instid1(VALU_DEP_2)
	v_lshlrev_b64 v[17:18], 3, v[17:18]
	v_lshlrev_b64 v[21:22], 3, v[19:20]
	s_delay_alu instid0(VALU_DEP_2) | instskip(NEXT) | instid1(VALU_DEP_3)
	v_add_co_u32 v19, vcc_lo, s8, v17
	v_add_co_ci_u32_e32 v20, vcc_lo, s9, v18, vcc_lo
	s_delay_alu instid0(VALU_DEP_3) | instskip(NEXT) | instid1(VALU_DEP_4)
	v_add_co_u32 v17, vcc_lo, s8, v21
	v_add_co_ci_u32_e32 v18, vcc_lo, s9, v22, vcc_lo
	s_clause 0x1
	global_load_b64 v[21:22], v[19:20], off
	global_load_b64 v[23:24], v[17:18], off
	s_waitcnt vmcnt(0)
	v_cmpx_eq_u64_e64 v[21:22], v[23:24]
	s_cbranch_execz .LBB1683_152
; %bb.146:
	v_add_co_u32 v17, vcc_lo, v17, 8
	v_add_co_ci_u32_e32 v18, vcc_lo, 0, v18, vcc_lo
	v_add_co_u32 v19, vcc_lo, v19, 8
	v_add_co_ci_u32_e32 v20, vcc_lo, 0, v20, vcc_lo
	s_add_u32 s6, s22, -1
	s_addc_u32 s7, s23, -1
	s_mov_b64 s[18:19], 0
	s_mov_b32 s33, 0
                                        ; implicit-def: $sgpr34
	s_set_inst_prefetch_distance 0x1
	s_branch .LBB1683_149
	.p2align	6
.LBB1683_147:                           ;   in Loop: Header=BB1683_149 Depth=1
	global_load_b64 v[21:22], v[19:20], off
	global_load_b64 v[23:24], v[17:18], off
	v_add_co_u32 v17, vcc_lo, v17, 8
	v_add_co_ci_u32_e32 v18, vcc_lo, 0, v18, vcc_lo
	v_add_co_u32 v19, s2, v19, 8
	s_delay_alu instid0(VALU_DEP_1)
	v_add_co_ci_u32_e64 v20, s2, 0, v20, s2
	s_add_u32 s18, s18, 1
	s_addc_u32 s19, s19, 0
	s_and_not1_b32 s2, s34, exec_lo
	s_waitcnt vmcnt(0)
	v_cmp_ne_u64_e32 vcc_lo, v[21:22], v[23:24]
	s_and_b32 s34, vcc_lo, exec_lo
	s_delay_alu instid0(SALU_CYCLE_1)
	s_or_b32 s34, s2, s34
.LBB1683_148:                           ;   in Loop: Header=BB1683_149 Depth=1
	v_dual_mov_b32 v22, s19 :: v_dual_mov_b32 v21, s18
	s_and_b32 s2, exec_lo, s34
	s_delay_alu instid0(SALU_CYCLE_1) | instskip(NEXT) | instid1(SALU_CYCLE_1)
	s_or_b32 s33, s2, s33
	s_and_not1_b32 exec_lo, exec_lo, s33
	s_cbranch_execz .LBB1683_151
.LBB1683_149:                           ; =>This Inner Loop Header: Depth=1
	s_or_b32 s34, s34, exec_lo
	s_cmp_eq_u64 s[6:7], s[18:19]
	s_cbranch_scc0 .LBB1683_147
; %bb.150:                              ;   in Loop: Header=BB1683_149 Depth=1
	s_mov_b64 s[18:19], s[22:23]
                                        ; implicit-def: $vgpr17_vgpr18
                                        ; implicit-def: $vgpr19_vgpr20
	s_branch .LBB1683_148
.LBB1683_151:
	s_set_inst_prefetch_distance 0x2
	s_or_b32 exec_lo, exec_lo, s33
	v_cmp_gt_i64_e32 vcc_lo, s[22:23], v[21:22]
	s_or_not1_b32 s2, vcc_lo, exec_lo
.LBB1683_152:
	s_or_b32 exec_lo, exec_lo, s29
.LBB1683_153:
	s_delay_alu instid0(SALU_CYCLE_1)
	s_and_b32 s29, s2, exec_lo
.LBB1683_154:
	s_or_b32 exec_lo, exec_lo, s31
	v_or_b32_e32 v17, 2, v39
	s_mov_b32 s31, exec_lo
	s_delay_alu instid0(VALU_DEP_1)
	v_cmpx_gt_u32_e64 s20, v17
	s_cbranch_execz .LBB1683_165
; %bb.155:
	v_cmp_ne_u32_e32 vcc_lo, 1, v25
	s_mov_b32 s2, 0
	s_cbranch_vccnz .LBB1683_164
; %bb.156:
	v_mul_lo_u32 v21, v16, s22
	v_mul_lo_u32 v22, v15, s23
	v_mad_u64_u32 v[17:18], null, v15, s22, 0
	v_mul_lo_u32 v23, v10, s22
	v_mul_lo_u32 v24, v9, s23
	s_waitcnt lgkmcnt(0)
	v_mad_u64_u32 v[19:20], null, v9, s22, 0
	s_mov_b32 s2, -1
	s_mov_b32 s30, exec_lo
	s_delay_alu instid0(VALU_DEP_4) | instskip(NEXT) | instid1(VALU_DEP_2)
	v_add3_u32 v18, v18, v22, v21
	v_add3_u32 v20, v20, v24, v23
	s_delay_alu instid0(VALU_DEP_2) | instskip(NEXT) | instid1(VALU_DEP_2)
	v_lshlrev_b64 v[17:18], 3, v[17:18]
	v_lshlrev_b64 v[21:22], 3, v[19:20]
	s_delay_alu instid0(VALU_DEP_2) | instskip(NEXT) | instid1(VALU_DEP_3)
	v_add_co_u32 v19, vcc_lo, s8, v17
	v_add_co_ci_u32_e32 v20, vcc_lo, s9, v18, vcc_lo
	s_delay_alu instid0(VALU_DEP_3) | instskip(NEXT) | instid1(VALU_DEP_4)
	v_add_co_u32 v17, vcc_lo, s8, v21
	v_add_co_ci_u32_e32 v18, vcc_lo, s9, v22, vcc_lo
	s_clause 0x1
	global_load_b64 v[21:22], v[19:20], off
	global_load_b64 v[23:24], v[17:18], off
	s_waitcnt vmcnt(0)
	v_cmpx_eq_u64_e64 v[21:22], v[23:24]
	s_cbranch_execz .LBB1683_163
; %bb.157:
	v_add_co_u32 v17, vcc_lo, v17, 8
	v_add_co_ci_u32_e32 v18, vcc_lo, 0, v18, vcc_lo
	v_add_co_u32 v19, vcc_lo, v19, 8
	v_add_co_ci_u32_e32 v20, vcc_lo, 0, v20, vcc_lo
	s_add_u32 s6, s22, -1
	s_addc_u32 s7, s23, -1
	s_mov_b64 s[18:19], 0
	s_mov_b32 s33, 0
                                        ; implicit-def: $sgpr34
	s_set_inst_prefetch_distance 0x1
	s_branch .LBB1683_160
	.p2align	6
.LBB1683_158:                           ;   in Loop: Header=BB1683_160 Depth=1
	global_load_b64 v[21:22], v[19:20], off
	global_load_b64 v[23:24], v[17:18], off
	v_add_co_u32 v17, vcc_lo, v17, 8
	v_add_co_ci_u32_e32 v18, vcc_lo, 0, v18, vcc_lo
	v_add_co_u32 v19, s2, v19, 8
	s_delay_alu instid0(VALU_DEP_1)
	v_add_co_ci_u32_e64 v20, s2, 0, v20, s2
	s_add_u32 s18, s18, 1
	s_addc_u32 s19, s19, 0
	s_and_not1_b32 s2, s34, exec_lo
	s_waitcnt vmcnt(0)
	v_cmp_ne_u64_e32 vcc_lo, v[21:22], v[23:24]
	s_and_b32 s34, vcc_lo, exec_lo
	s_delay_alu instid0(SALU_CYCLE_1)
	s_or_b32 s34, s2, s34
.LBB1683_159:                           ;   in Loop: Header=BB1683_160 Depth=1
	v_dual_mov_b32 v22, s19 :: v_dual_mov_b32 v21, s18
	s_and_b32 s2, exec_lo, s34
	s_delay_alu instid0(SALU_CYCLE_1) | instskip(NEXT) | instid1(SALU_CYCLE_1)
	s_or_b32 s33, s2, s33
	s_and_not1_b32 exec_lo, exec_lo, s33
	s_cbranch_execz .LBB1683_162
.LBB1683_160:                           ; =>This Inner Loop Header: Depth=1
	s_or_b32 s34, s34, exec_lo
	s_cmp_eq_u64 s[6:7], s[18:19]
	s_cbranch_scc0 .LBB1683_158
; %bb.161:                              ;   in Loop: Header=BB1683_160 Depth=1
	s_mov_b64 s[18:19], s[22:23]
                                        ; implicit-def: $vgpr17_vgpr18
                                        ; implicit-def: $vgpr19_vgpr20
	s_branch .LBB1683_159
.LBB1683_162:
	s_set_inst_prefetch_distance 0x2
	s_or_b32 exec_lo, exec_lo, s33
	v_cmp_gt_i64_e32 vcc_lo, s[22:23], v[21:22]
	s_or_not1_b32 s2, vcc_lo, exec_lo
.LBB1683_163:
	s_or_b32 exec_lo, exec_lo, s30
.LBB1683_164:
	s_delay_alu instid0(SALU_CYCLE_1)
	s_and_b32 s30, s2, exec_lo
.LBB1683_165:
	s_or_b32 exec_lo, exec_lo, s31
	v_or_b32_e32 v17, 1, v39
	s_mov_b32 s2, 0
	s_mov_b32 s31, exec_lo
	s_delay_alu instid0(VALU_DEP_1)
	v_cmpx_gt_u32_e64 s20, v17
	s_cbranch_execz .LBB1683_176
; %bb.166:
	v_cmp_ne_u32_e32 vcc_lo, 1, v25
	s_cbranch_vccnz .LBB1683_175
; %bb.167:
	v_mul_lo_u32 v21, v14, s22
	v_mul_lo_u32 v22, v13, s23
	v_mad_u64_u32 v[17:18], null, v13, s22, 0
	v_mul_lo_u32 v23, v16, s22
	v_mul_lo_u32 v24, v15, s23
	s_waitcnt lgkmcnt(0)
	v_mad_u64_u32 v[19:20], null, v15, s22, 0
	s_mov_b32 s2, -1
	s_mov_b32 s33, exec_lo
	s_delay_alu instid0(VALU_DEP_4) | instskip(NEXT) | instid1(VALU_DEP_2)
	v_add3_u32 v18, v18, v22, v21
	v_add3_u32 v20, v20, v24, v23
	s_delay_alu instid0(VALU_DEP_2) | instskip(NEXT) | instid1(VALU_DEP_2)
	v_lshlrev_b64 v[17:18], 3, v[17:18]
	v_lshlrev_b64 v[21:22], 3, v[19:20]
	s_delay_alu instid0(VALU_DEP_2) | instskip(NEXT) | instid1(VALU_DEP_3)
	v_add_co_u32 v19, vcc_lo, s8, v17
	v_add_co_ci_u32_e32 v20, vcc_lo, s9, v18, vcc_lo
	s_delay_alu instid0(VALU_DEP_3) | instskip(NEXT) | instid1(VALU_DEP_4)
	v_add_co_u32 v17, vcc_lo, s8, v21
	v_add_co_ci_u32_e32 v18, vcc_lo, s9, v22, vcc_lo
	s_clause 0x1
	global_load_b64 v[21:22], v[19:20], off
	global_load_b64 v[23:24], v[17:18], off
	s_waitcnt vmcnt(0)
	v_cmpx_eq_u64_e64 v[21:22], v[23:24]
	s_cbranch_execz .LBB1683_174
; %bb.168:
	v_add_co_u32 v17, vcc_lo, v17, 8
	v_add_co_ci_u32_e32 v18, vcc_lo, 0, v18, vcc_lo
	v_add_co_u32 v19, vcc_lo, v19, 8
	v_add_co_ci_u32_e32 v20, vcc_lo, 0, v20, vcc_lo
	s_add_u32 s6, s22, -1
	s_addc_u32 s7, s23, -1
	s_mov_b64 s[18:19], 0
	s_mov_b32 s34, 0
                                        ; implicit-def: $sgpr35
	s_set_inst_prefetch_distance 0x1
	s_branch .LBB1683_171
	.p2align	6
.LBB1683_169:                           ;   in Loop: Header=BB1683_171 Depth=1
	global_load_b64 v[21:22], v[19:20], off
	global_load_b64 v[23:24], v[17:18], off
	v_add_co_u32 v17, vcc_lo, v17, 8
	v_add_co_ci_u32_e32 v18, vcc_lo, 0, v18, vcc_lo
	v_add_co_u32 v19, s2, v19, 8
	s_delay_alu instid0(VALU_DEP_1)
	v_add_co_ci_u32_e64 v20, s2, 0, v20, s2
	s_add_u32 s18, s18, 1
	s_addc_u32 s19, s19, 0
	s_and_not1_b32 s2, s35, exec_lo
	s_waitcnt vmcnt(0)
	v_cmp_ne_u64_e32 vcc_lo, v[21:22], v[23:24]
	s_and_b32 s35, vcc_lo, exec_lo
	s_delay_alu instid0(SALU_CYCLE_1)
	s_or_b32 s35, s2, s35
.LBB1683_170:                           ;   in Loop: Header=BB1683_171 Depth=1
	v_dual_mov_b32 v22, s19 :: v_dual_mov_b32 v21, s18
	s_and_b32 s2, exec_lo, s35
	s_delay_alu instid0(SALU_CYCLE_1) | instskip(NEXT) | instid1(SALU_CYCLE_1)
	s_or_b32 s34, s2, s34
	s_and_not1_b32 exec_lo, exec_lo, s34
	s_cbranch_execz .LBB1683_173
.LBB1683_171:                           ; =>This Inner Loop Header: Depth=1
	s_or_b32 s35, s35, exec_lo
	s_cmp_eq_u64 s[6:7], s[18:19]
	s_cbranch_scc0 .LBB1683_169
; %bb.172:                              ;   in Loop: Header=BB1683_171 Depth=1
	s_mov_b64 s[18:19], s[22:23]
                                        ; implicit-def: $vgpr17_vgpr18
                                        ; implicit-def: $vgpr19_vgpr20
	s_branch .LBB1683_170
.LBB1683_173:
	s_set_inst_prefetch_distance 0x2
	s_or_b32 exec_lo, exec_lo, s34
	v_cmp_gt_i64_e32 vcc_lo, s[22:23], v[21:22]
	s_or_not1_b32 s2, vcc_lo, exec_lo
.LBB1683_174:
	s_or_b32 exec_lo, exec_lo, s33
.LBB1683_175:
	s_delay_alu instid0(SALU_CYCLE_1)
	s_and_b32 s2, s2, exec_lo
.LBB1683_176:
	s_or_b32 exec_lo, exec_lo, s31
	s_waitcnt lgkmcnt(0)
	v_dual_mov_b32 v18, s5 :: v_dual_mov_b32 v17, s4
	s_mov_b32 s4, exec_lo
	s_barrier
	buffer_gl0_inv
	v_cmpx_ne_u32_e32 0, v0
	s_cbranch_execz .LBB1683_178
; %bb.177:
	v_add_nc_u32_e32 v17, -8, v39
	ds_load_b64 v[17:18], v17
.LBB1683_178:
	s_or_b32 exec_lo, exec_lo, s4
	v_cndmask_b32_e64 v20, 0, 1, s29
	v_cndmask_b32_e64 v22, 0, 1, s26
	;; [unrolled: 1-line block ×7, first 2 shown]
	v_lshlrev_b16 v20, 8, v20
	v_lshlrev_b16 v22, 8, v22
	;; [unrolled: 1-line block ×3, first 2 shown]
	s_mov_b32 s2, 0
	v_lshlrev_b16 v26, 8, v26
	v_or_b32_e32 v19, v19, v20
	v_or_b32_e32 v20, v21, v22
	;; [unrolled: 1-line block ×3, first 2 shown]
	s_mov_b32 s3, exec_lo
	v_and_b32_e32 v23, 0xffff, v26
	v_lshlrev_b32_e32 v24, 16, v19
	v_and_b32_e32 v26, 0xffff, v20
	v_lshlrev_b32_e32 v27, 16, v21
	v_cmpx_gt_u32_e64 s20, v39
	s_cbranch_execz .LBB1683_189
; %bb.179:
	v_cmp_ne_u32_e32 vcc_lo, 1, v25
	s_cbranch_vccnz .LBB1683_188
; %bb.180:
	s_waitcnt lgkmcnt(0)
	v_mul_lo_u32 v22, v18, s22
	v_mul_lo_u32 v25, v17, s23
	v_mad_u64_u32 v[18:19], null, v17, s22, 0
	v_mul_lo_u32 v17, v14, s22
	v_mul_lo_u32 v28, v13, s23
	v_mad_u64_u32 v[20:21], null, v13, s22, 0
	s_mov_b32 s2, -1
	s_mov_b32 s18, exec_lo
	s_delay_alu instid0(VALU_DEP_4) | instskip(NEXT) | instid1(VALU_DEP_2)
	v_add3_u32 v19, v19, v25, v22
	v_add3_u32 v21, v21, v28, v17
	s_delay_alu instid0(VALU_DEP_2) | instskip(NEXT) | instid1(VALU_DEP_2)
	v_lshlrev_b64 v[17:18], 3, v[18:19]
	v_lshlrev_b64 v[21:22], 3, v[20:21]
	s_delay_alu instid0(VALU_DEP_2) | instskip(NEXT) | instid1(VALU_DEP_3)
	v_add_co_u32 v19, vcc_lo, s8, v17
	v_add_co_ci_u32_e32 v20, vcc_lo, s9, v18, vcc_lo
	s_delay_alu instid0(VALU_DEP_3) | instskip(NEXT) | instid1(VALU_DEP_4)
	v_add_co_u32 v17, vcc_lo, s8, v21
	v_add_co_ci_u32_e32 v18, vcc_lo, s9, v22, vcc_lo
	s_clause 0x1
	global_load_b64 v[21:22], v[19:20], off
	global_load_b64 v[28:29], v[17:18], off
	s_waitcnt vmcnt(0)
	v_cmpx_eq_u64_e64 v[21:22], v[28:29]
	s_cbranch_execz .LBB1683_187
; %bb.181:
	v_add_co_u32 v17, vcc_lo, v17, 8
	v_add_co_ci_u32_e32 v18, vcc_lo, 0, v18, vcc_lo
	v_add_co_u32 v19, vcc_lo, v19, 8
	v_add_co_ci_u32_e32 v20, vcc_lo, 0, v20, vcc_lo
	s_add_u32 s4, s22, -1
	s_addc_u32 s5, s23, -1
	s_mov_b64 s[6:7], 0
	s_mov_b32 s19, 0
                                        ; implicit-def: $sgpr26
	s_set_inst_prefetch_distance 0x1
	s_branch .LBB1683_184
	.p2align	6
.LBB1683_182:                           ;   in Loop: Header=BB1683_184 Depth=1
	global_load_b64 v[21:22], v[19:20], off
	global_load_b64 v[28:29], v[17:18], off
	v_add_co_u32 v17, vcc_lo, v17, 8
	v_add_co_ci_u32_e32 v18, vcc_lo, 0, v18, vcc_lo
	v_add_co_u32 v19, s2, v19, 8
	s_delay_alu instid0(VALU_DEP_1)
	v_add_co_ci_u32_e64 v20, s2, 0, v20, s2
	s_add_u32 s6, s6, 1
	s_addc_u32 s7, s7, 0
	s_and_not1_b32 s2, s26, exec_lo
	s_waitcnt vmcnt(0)
	v_cmp_ne_u64_e32 vcc_lo, v[21:22], v[28:29]
	s_and_b32 s26, vcc_lo, exec_lo
	s_delay_alu instid0(SALU_CYCLE_1)
	s_or_b32 s26, s2, s26
.LBB1683_183:                           ;   in Loop: Header=BB1683_184 Depth=1
	v_dual_mov_b32 v22, s7 :: v_dual_mov_b32 v21, s6
	s_and_b32 s2, exec_lo, s26
	s_delay_alu instid0(SALU_CYCLE_1) | instskip(NEXT) | instid1(SALU_CYCLE_1)
	s_or_b32 s19, s2, s19
	s_and_not1_b32 exec_lo, exec_lo, s19
	s_cbranch_execz .LBB1683_186
.LBB1683_184:                           ; =>This Inner Loop Header: Depth=1
	s_or_b32 s26, s26, exec_lo
	s_cmp_eq_u64 s[4:5], s[6:7]
	s_cbranch_scc0 .LBB1683_182
; %bb.185:                              ;   in Loop: Header=BB1683_184 Depth=1
	s_mov_b64 s[6:7], s[22:23]
                                        ; implicit-def: $vgpr17_vgpr18
                                        ; implicit-def: $vgpr19_vgpr20
	s_branch .LBB1683_183
.LBB1683_186:
	s_set_inst_prefetch_distance 0x2
	s_or_b32 exec_lo, exec_lo, s19
	v_cmp_gt_i64_e32 vcc_lo, s[22:23], v[21:22]
	s_or_not1_b32 s2, vcc_lo, exec_lo
.LBB1683_187:
	s_or_b32 exec_lo, exec_lo, s18
.LBB1683_188:
	s_delay_alu instid0(SALU_CYCLE_1)
	s_and_b32 s2, s2, exec_lo
.LBB1683_189:
	s_or_b32 exec_lo, exec_lo, s3
	s_waitcnt lgkmcnt(0)
	v_or_b32_e32 v17, v23, v24
	v_or_b32_e32 v18, v26, v27
.LBB1683_190:
	s_mov_b32 s18, -1
	s_cbranch_execnz .LBB1683_359
.LBB1683_191:
	v_cmp_gt_i64_e64 s3, s[22:23], 0
	s_and_b32 vcc_lo, exec_lo, s21
	ds_store_b64 v39, v[3:4]
	s_cbranch_vccz .LBB1683_199
; %bb.192:
	s_waitcnt lgkmcnt(0)
	v_mul_lo_u32 v19, v2, s22
	v_mul_lo_u32 v20, v1, s23
	v_mad_u64_u32 v[17:18], null, v1, s22, 0
	s_mov_b32 s19, 0
	s_and_not1_b32 vcc_lo, exec_lo, s3
	s_mov_b32 s26, 0
	s_delay_alu instid0(VALU_DEP_1) | instskip(NEXT) | instid1(VALU_DEP_1)
	v_add3_u32 v18, v18, v20, v19
	v_lshlrev_b64 v[17:18], 3, v[17:18]
	s_cbranch_vccnz .LBB1683_202
; %bb.193:
	v_mul_lo_u32 v21, v4, s22
	v_mul_lo_u32 v22, v3, s23
	v_mad_u64_u32 v[19:20], null, v3, s22, 0
	s_mov_b32 s26, -1
	s_mov_b32 s27, exec_lo
	s_delay_alu instid0(VALU_DEP_1) | instskip(SKIP_2) | instid1(VALU_DEP_3)
	v_add3_u32 v20, v20, v22, v21
	v_add_co_u32 v21, vcc_lo, s8, v17
	v_add_co_ci_u32_e32 v22, vcc_lo, s9, v18, vcc_lo
	v_lshlrev_b64 v[19:20], 3, v[19:20]
	s_delay_alu instid0(VALU_DEP_1) | instskip(NEXT) | instid1(VALU_DEP_2)
	v_add_co_u32 v19, vcc_lo, s8, v19
	v_add_co_ci_u32_e32 v20, vcc_lo, s9, v20, vcc_lo
	s_clause 0x1
	global_load_b64 v[23:24], v[21:22], off
	global_load_b64 v[25:26], v[19:20], off
	s_waitcnt vmcnt(0)
	v_cmpx_eq_u64_e64 v[23:24], v[25:26]
	s_cbranch_execz .LBB1683_201
; %bb.194:
	v_add_co_u32 v19, vcc_lo, v19, 8
	v_add_co_ci_u32_e32 v20, vcc_lo, 0, v20, vcc_lo
	v_add_co_u32 v21, vcc_lo, v21, 8
	v_add_co_ci_u32_e32 v22, vcc_lo, 0, v22, vcc_lo
	s_add_u32 s4, s22, -1
	s_addc_u32 s5, s23, -1
	s_mov_b64 s[6:7], 0
	s_mov_b32 s26, 0
                                        ; implicit-def: $sgpr28
	s_set_inst_prefetch_distance 0x1
	s_branch .LBB1683_197
	.p2align	6
.LBB1683_195:                           ;   in Loop: Header=BB1683_197 Depth=1
	global_load_b64 v[23:24], v[21:22], off
	global_load_b64 v[25:26], v[19:20], off
	v_add_co_u32 v19, vcc_lo, v19, 8
	v_add_co_ci_u32_e32 v20, vcc_lo, 0, v20, vcc_lo
	v_add_co_u32 v21, s2, v21, 8
	s_delay_alu instid0(VALU_DEP_1)
	v_add_co_ci_u32_e64 v22, s2, 0, v22, s2
	s_add_u32 s6, s6, 1
	s_addc_u32 s7, s7, 0
	s_and_not1_b32 s2, s28, exec_lo
	s_waitcnt vmcnt(0)
	v_cmp_ne_u64_e32 vcc_lo, v[23:24], v[25:26]
	s_and_b32 s28, vcc_lo, exec_lo
	s_delay_alu instid0(SALU_CYCLE_1)
	s_or_b32 s28, s2, s28
.LBB1683_196:                           ;   in Loop: Header=BB1683_197 Depth=1
	v_dual_mov_b32 v24, s7 :: v_dual_mov_b32 v23, s6
	s_and_b32 s2, exec_lo, s28
	s_delay_alu instid0(SALU_CYCLE_1) | instskip(NEXT) | instid1(SALU_CYCLE_1)
	s_or_b32 s26, s2, s26
	s_and_not1_b32 exec_lo, exec_lo, s26
	s_cbranch_execz .LBB1683_200
.LBB1683_197:                           ; =>This Inner Loop Header: Depth=1
	s_or_b32 s28, s28, exec_lo
	s_cmp_eq_u64 s[4:5], s[6:7]
	s_cbranch_scc0 .LBB1683_195
; %bb.198:                              ;   in Loop: Header=BB1683_197 Depth=1
	s_mov_b64 s[6:7], s[22:23]
                                        ; implicit-def: $vgpr19_vgpr20
                                        ; implicit-def: $vgpr21_vgpr22
	s_branch .LBB1683_196
.LBB1683_199:
	s_waitcnt lgkmcnt(0)
                                        ; implicit-def: $sgpr2
                                        ; implicit-def: $vgpr18
	s_cbranch_execnz .LBB1683_268
	s_branch .LBB1683_359
.LBB1683_200:
	s_set_inst_prefetch_distance 0x2
	s_or_b32 exec_lo, exec_lo, s26
	v_cmp_gt_i64_e32 vcc_lo, s[22:23], v[23:24]
	s_or_not1_b32 s26, vcc_lo, exec_lo
.LBB1683_201:
	s_or_b32 exec_lo, exec_lo, s27
.LBB1683_202:
	v_mul_lo_u32 v21, v8, s22
	v_mul_lo_u32 v22, v7, s23
	v_mad_u64_u32 v[19:20], null, v7, s22, 0
	s_and_not1_b32 vcc_lo, exec_lo, s3
	s_delay_alu instid0(VALU_DEP_1) | instskip(NEXT) | instid1(VALU_DEP_1)
	v_add3_u32 v20, v20, v22, v21
	v_lshlrev_b64 v[19:20], 3, v[19:20]
	s_cbranch_vccnz .LBB1683_211
; %bb.203:
	s_delay_alu instid0(VALU_DEP_1) | instskip(NEXT) | instid1(VALU_DEP_2)
	v_add_co_u32 v21, vcc_lo, s8, v19
	v_add_co_ci_u32_e32 v22, vcc_lo, s9, v20, vcc_lo
	v_add_co_u32 v17, vcc_lo, s8, v17
	v_add_co_ci_u32_e32 v18, vcc_lo, s9, v18, vcc_lo
	s_mov_b32 s19, -1
	s_clause 0x1
	global_load_b64 v[23:24], v[21:22], off
	global_load_b64 v[25:26], v[17:18], off
	s_mov_b32 s27, exec_lo
	s_waitcnt vmcnt(0)
	v_cmpx_eq_u64_e64 v[23:24], v[25:26]
	s_cbranch_execz .LBB1683_210
; %bb.204:
	v_add_co_u32 v17, vcc_lo, v17, 8
	v_add_co_ci_u32_e32 v18, vcc_lo, 0, v18, vcc_lo
	v_add_co_u32 v21, vcc_lo, v21, 8
	v_add_co_ci_u32_e32 v22, vcc_lo, 0, v22, vcc_lo
	s_add_u32 s4, s22, -1
	s_addc_u32 s5, s23, -1
	s_mov_b64 s[6:7], 0
	s_mov_b32 s19, 0
                                        ; implicit-def: $sgpr28
	s_set_inst_prefetch_distance 0x1
	s_branch .LBB1683_207
	.p2align	6
.LBB1683_205:                           ;   in Loop: Header=BB1683_207 Depth=1
	global_load_b64 v[23:24], v[21:22], off
	global_load_b64 v[25:26], v[17:18], off
	v_add_co_u32 v17, vcc_lo, v17, 8
	v_add_co_ci_u32_e32 v18, vcc_lo, 0, v18, vcc_lo
	v_add_co_u32 v21, s2, v21, 8
	s_delay_alu instid0(VALU_DEP_1)
	v_add_co_ci_u32_e64 v22, s2, 0, v22, s2
	s_add_u32 s6, s6, 1
	s_addc_u32 s7, s7, 0
	s_and_not1_b32 s2, s28, exec_lo
	s_waitcnt vmcnt(0)
	v_cmp_ne_u64_e32 vcc_lo, v[23:24], v[25:26]
	s_and_b32 s28, vcc_lo, exec_lo
	s_delay_alu instid0(SALU_CYCLE_1)
	s_or_b32 s28, s2, s28
.LBB1683_206:                           ;   in Loop: Header=BB1683_207 Depth=1
	v_dual_mov_b32 v24, s7 :: v_dual_mov_b32 v23, s6
	s_and_b32 s2, exec_lo, s28
	s_delay_alu instid0(SALU_CYCLE_1) | instskip(NEXT) | instid1(SALU_CYCLE_1)
	s_or_b32 s19, s2, s19
	s_and_not1_b32 exec_lo, exec_lo, s19
	s_cbranch_execz .LBB1683_209
.LBB1683_207:                           ; =>This Inner Loop Header: Depth=1
	s_or_b32 s28, s28, exec_lo
	s_cmp_eq_u64 s[4:5], s[6:7]
	s_cbranch_scc0 .LBB1683_205
; %bb.208:                              ;   in Loop: Header=BB1683_207 Depth=1
	s_mov_b64 s[6:7], s[22:23]
                                        ; implicit-def: $vgpr17_vgpr18
                                        ; implicit-def: $vgpr21_vgpr22
	s_branch .LBB1683_206
.LBB1683_209:
	s_set_inst_prefetch_distance 0x2
	s_or_b32 exec_lo, exec_lo, s19
	v_cmp_gt_i64_e32 vcc_lo, s[22:23], v[23:24]
	s_or_not1_b32 s19, vcc_lo, exec_lo
.LBB1683_210:
	s_or_b32 exec_lo, exec_lo, s27
.LBB1683_211:
	v_mul_lo_u32 v21, v6, s22
	v_mul_lo_u32 v22, v5, s23
	v_mad_u64_u32 v[17:18], null, v5, s22, 0
	s_mov_b32 s27, 0
	s_and_not1_b32 vcc_lo, exec_lo, s3
	s_mov_b32 s28, 0
	s_delay_alu instid0(VALU_DEP_1) | instskip(NEXT) | instid1(VALU_DEP_1)
	v_add3_u32 v18, v18, v22, v21
	v_lshlrev_b64 v[21:22], 3, v[17:18]
	s_cbranch_vccnz .LBB1683_220
; %bb.212:
	s_delay_alu instid0(VALU_DEP_1) | instskip(NEXT) | instid1(VALU_DEP_2)
	v_add_co_u32 v23, vcc_lo, s8, v21
	v_add_co_ci_u32_e32 v24, vcc_lo, s9, v22, vcc_lo
	v_add_co_u32 v17, vcc_lo, s8, v19
	v_add_co_ci_u32_e32 v18, vcc_lo, s9, v20, vcc_lo
	s_mov_b32 s28, -1
	s_clause 0x1
	global_load_b64 v[19:20], v[23:24], off
	global_load_b64 v[25:26], v[17:18], off
	s_mov_b32 s29, exec_lo
	s_waitcnt vmcnt(0)
	v_cmpx_eq_u64_e64 v[19:20], v[25:26]
	s_cbranch_execz .LBB1683_219
; %bb.213:
	v_add_co_u32 v17, vcc_lo, v17, 8
	v_add_co_ci_u32_e32 v18, vcc_lo, 0, v18, vcc_lo
	v_add_co_u32 v19, vcc_lo, v23, 8
	v_add_co_ci_u32_e32 v20, vcc_lo, 0, v24, vcc_lo
	s_add_u32 s4, s22, -1
	s_addc_u32 s5, s23, -1
	s_mov_b64 s[6:7], 0
	s_mov_b32 s28, 0
                                        ; implicit-def: $sgpr30
	s_set_inst_prefetch_distance 0x1
	s_branch .LBB1683_216
	.p2align	6
.LBB1683_214:                           ;   in Loop: Header=BB1683_216 Depth=1
	global_load_b64 v[23:24], v[19:20], off
	global_load_b64 v[25:26], v[17:18], off
	v_add_co_u32 v17, vcc_lo, v17, 8
	v_add_co_ci_u32_e32 v18, vcc_lo, 0, v18, vcc_lo
	v_add_co_u32 v19, s2, v19, 8
	s_delay_alu instid0(VALU_DEP_1)
	v_add_co_ci_u32_e64 v20, s2, 0, v20, s2
	s_add_u32 s6, s6, 1
	s_addc_u32 s7, s7, 0
	s_and_not1_b32 s2, s30, exec_lo
	s_waitcnt vmcnt(0)
	v_cmp_ne_u64_e32 vcc_lo, v[23:24], v[25:26]
	s_and_b32 s30, vcc_lo, exec_lo
	s_delay_alu instid0(SALU_CYCLE_1)
	s_or_b32 s30, s2, s30
.LBB1683_215:                           ;   in Loop: Header=BB1683_216 Depth=1
	v_dual_mov_b32 v24, s7 :: v_dual_mov_b32 v23, s6
	s_and_b32 s2, exec_lo, s30
	s_delay_alu instid0(SALU_CYCLE_1) | instskip(NEXT) | instid1(SALU_CYCLE_1)
	s_or_b32 s28, s2, s28
	s_and_not1_b32 exec_lo, exec_lo, s28
	s_cbranch_execz .LBB1683_218
.LBB1683_216:                           ; =>This Inner Loop Header: Depth=1
	s_or_b32 s30, s30, exec_lo
	s_cmp_eq_u64 s[4:5], s[6:7]
	s_cbranch_scc0 .LBB1683_214
; %bb.217:                              ;   in Loop: Header=BB1683_216 Depth=1
	s_mov_b64 s[6:7], s[22:23]
                                        ; implicit-def: $vgpr17_vgpr18
                                        ; implicit-def: $vgpr19_vgpr20
	s_branch .LBB1683_215
.LBB1683_218:
	s_set_inst_prefetch_distance 0x2
	s_or_b32 exec_lo, exec_lo, s28
	v_cmp_gt_i64_e32 vcc_lo, s[22:23], v[23:24]
	s_or_not1_b32 s28, vcc_lo, exec_lo
.LBB1683_219:
	s_or_b32 exec_lo, exec_lo, s29
.LBB1683_220:
	v_mul_lo_u32 v19, v12, s22
	v_mul_lo_u32 v20, v11, s23
	v_mad_u64_u32 v[17:18], null, v11, s22, 0
	s_and_not1_b32 vcc_lo, exec_lo, s3
	s_delay_alu instid0(VALU_DEP_1) | instskip(NEXT) | instid1(VALU_DEP_1)
	v_add3_u32 v18, v18, v20, v19
	v_lshlrev_b64 v[17:18], 3, v[17:18]
	s_cbranch_vccnz .LBB1683_229
; %bb.221:
	s_delay_alu instid0(VALU_DEP_1) | instskip(NEXT) | instid1(VALU_DEP_2)
	v_add_co_u32 v23, vcc_lo, s8, v17
	v_add_co_ci_u32_e32 v24, vcc_lo, s9, v18, vcc_lo
	v_add_co_u32 v19, vcc_lo, s8, v21
	v_add_co_ci_u32_e32 v20, vcc_lo, s9, v22, vcc_lo
	s_mov_b32 s27, -1
	s_clause 0x1
	global_load_b64 v[21:22], v[23:24], off
	global_load_b64 v[25:26], v[19:20], off
	s_mov_b32 s29, exec_lo
	s_waitcnt vmcnt(0)
	v_cmpx_eq_u64_e64 v[21:22], v[25:26]
	s_cbranch_execz .LBB1683_228
; %bb.222:
	v_add_co_u32 v19, vcc_lo, v19, 8
	v_add_co_ci_u32_e32 v20, vcc_lo, 0, v20, vcc_lo
	v_add_co_u32 v21, vcc_lo, v23, 8
	v_add_co_ci_u32_e32 v22, vcc_lo, 0, v24, vcc_lo
	s_add_u32 s4, s22, -1
	s_addc_u32 s5, s23, -1
	s_mov_b64 s[6:7], 0
	s_mov_b32 s27, 0
                                        ; implicit-def: $sgpr30
	s_set_inst_prefetch_distance 0x1
	s_branch .LBB1683_225
	.p2align	6
.LBB1683_223:                           ;   in Loop: Header=BB1683_225 Depth=1
	global_load_b64 v[23:24], v[21:22], off
	global_load_b64 v[25:26], v[19:20], off
	v_add_co_u32 v19, vcc_lo, v19, 8
	v_add_co_ci_u32_e32 v20, vcc_lo, 0, v20, vcc_lo
	v_add_co_u32 v21, s2, v21, 8
	s_delay_alu instid0(VALU_DEP_1)
	v_add_co_ci_u32_e64 v22, s2, 0, v22, s2
	s_add_u32 s6, s6, 1
	s_addc_u32 s7, s7, 0
	s_and_not1_b32 s2, s30, exec_lo
	s_waitcnt vmcnt(0)
	v_cmp_ne_u64_e32 vcc_lo, v[23:24], v[25:26]
	s_and_b32 s30, vcc_lo, exec_lo
	s_delay_alu instid0(SALU_CYCLE_1)
	s_or_b32 s30, s2, s30
.LBB1683_224:                           ;   in Loop: Header=BB1683_225 Depth=1
	v_dual_mov_b32 v24, s7 :: v_dual_mov_b32 v23, s6
	s_and_b32 s2, exec_lo, s30
	s_delay_alu instid0(SALU_CYCLE_1) | instskip(NEXT) | instid1(SALU_CYCLE_1)
	s_or_b32 s27, s2, s27
	s_and_not1_b32 exec_lo, exec_lo, s27
	s_cbranch_execz .LBB1683_227
.LBB1683_225:                           ; =>This Inner Loop Header: Depth=1
	s_or_b32 s30, s30, exec_lo
	s_cmp_eq_u64 s[4:5], s[6:7]
	s_cbranch_scc0 .LBB1683_223
; %bb.226:                              ;   in Loop: Header=BB1683_225 Depth=1
	s_mov_b64 s[6:7], s[22:23]
                                        ; implicit-def: $vgpr19_vgpr20
                                        ; implicit-def: $vgpr21_vgpr22
	s_branch .LBB1683_224
.LBB1683_227:
	s_set_inst_prefetch_distance 0x2
	s_or_b32 exec_lo, exec_lo, s27
	v_cmp_gt_i64_e32 vcc_lo, s[22:23], v[23:24]
	s_or_not1_b32 s27, vcc_lo, exec_lo
.LBB1683_228:
	s_or_b32 exec_lo, exec_lo, s29
.LBB1683_229:
	v_mul_lo_u32 v21, v10, s22
	v_mul_lo_u32 v22, v9, s23
	v_mad_u64_u32 v[19:20], null, v9, s22, 0
	s_mov_b32 s29, 0
	s_and_not1_b32 vcc_lo, exec_lo, s3
	s_mov_b32 s30, 0
	s_delay_alu instid0(VALU_DEP_1) | instskip(NEXT) | instid1(VALU_DEP_1)
	v_add3_u32 v20, v20, v22, v21
	v_lshlrev_b64 v[19:20], 3, v[19:20]
	s_cbranch_vccnz .LBB1683_238
; %bb.230:
	s_delay_alu instid0(VALU_DEP_1) | instskip(NEXT) | instid1(VALU_DEP_2)
	v_add_co_u32 v21, vcc_lo, s8, v19
	v_add_co_ci_u32_e32 v22, vcc_lo, s9, v20, vcc_lo
	v_add_co_u32 v17, vcc_lo, s8, v17
	v_add_co_ci_u32_e32 v18, vcc_lo, s9, v18, vcc_lo
	s_mov_b32 s30, -1
	s_clause 0x1
	global_load_b64 v[23:24], v[21:22], off
	global_load_b64 v[25:26], v[17:18], off
	s_mov_b32 s31, exec_lo
	s_waitcnt vmcnt(0)
	v_cmpx_eq_u64_e64 v[23:24], v[25:26]
	s_cbranch_execz .LBB1683_237
; %bb.231:
	v_add_co_u32 v17, vcc_lo, v17, 8
	v_add_co_ci_u32_e32 v18, vcc_lo, 0, v18, vcc_lo
	v_add_co_u32 v21, vcc_lo, v21, 8
	v_add_co_ci_u32_e32 v22, vcc_lo, 0, v22, vcc_lo
	s_add_u32 s4, s22, -1
	s_addc_u32 s5, s23, -1
	s_mov_b64 s[6:7], 0
	s_mov_b32 s30, 0
                                        ; implicit-def: $sgpr33
	s_set_inst_prefetch_distance 0x1
	s_branch .LBB1683_234
	.p2align	6
.LBB1683_232:                           ;   in Loop: Header=BB1683_234 Depth=1
	global_load_b64 v[23:24], v[21:22], off
	global_load_b64 v[25:26], v[17:18], off
	v_add_co_u32 v17, vcc_lo, v17, 8
	v_add_co_ci_u32_e32 v18, vcc_lo, 0, v18, vcc_lo
	v_add_co_u32 v21, s2, v21, 8
	s_delay_alu instid0(VALU_DEP_1)
	v_add_co_ci_u32_e64 v22, s2, 0, v22, s2
	s_add_u32 s6, s6, 1
	s_addc_u32 s7, s7, 0
	s_and_not1_b32 s2, s33, exec_lo
	s_waitcnt vmcnt(0)
	v_cmp_ne_u64_e32 vcc_lo, v[23:24], v[25:26]
	s_and_b32 s33, vcc_lo, exec_lo
	s_delay_alu instid0(SALU_CYCLE_1)
	s_or_b32 s33, s2, s33
.LBB1683_233:                           ;   in Loop: Header=BB1683_234 Depth=1
	v_dual_mov_b32 v24, s7 :: v_dual_mov_b32 v23, s6
	s_and_b32 s2, exec_lo, s33
	s_delay_alu instid0(SALU_CYCLE_1) | instskip(NEXT) | instid1(SALU_CYCLE_1)
	s_or_b32 s30, s2, s30
	s_and_not1_b32 exec_lo, exec_lo, s30
	s_cbranch_execz .LBB1683_236
.LBB1683_234:                           ; =>This Inner Loop Header: Depth=1
	s_or_b32 s33, s33, exec_lo
	s_cmp_eq_u64 s[4:5], s[6:7]
	s_cbranch_scc0 .LBB1683_232
; %bb.235:                              ;   in Loop: Header=BB1683_234 Depth=1
	s_mov_b64 s[6:7], s[22:23]
                                        ; implicit-def: $vgpr17_vgpr18
                                        ; implicit-def: $vgpr21_vgpr22
	s_branch .LBB1683_233
.LBB1683_236:
	s_set_inst_prefetch_distance 0x2
	s_or_b32 exec_lo, exec_lo, s30
	v_cmp_gt_i64_e32 vcc_lo, s[22:23], v[23:24]
	s_or_not1_b32 s30, vcc_lo, exec_lo
.LBB1683_237:
	s_or_b32 exec_lo, exec_lo, s31
.LBB1683_238:
	v_mul_lo_u32 v21, v16, s22
	v_mul_lo_u32 v22, v15, s23
	v_mad_u64_u32 v[17:18], null, v15, s22, 0
	s_and_not1_b32 vcc_lo, exec_lo, s3
	s_delay_alu instid0(VALU_DEP_1) | instskip(NEXT) | instid1(VALU_DEP_1)
	v_add3_u32 v18, v18, v22, v21
	v_lshlrev_b64 v[17:18], 3, v[17:18]
	s_cbranch_vccnz .LBB1683_247
; %bb.239:
	s_delay_alu instid0(VALU_DEP_1) | instskip(NEXT) | instid1(VALU_DEP_2)
	v_add_co_u32 v21, vcc_lo, s8, v17
	v_add_co_ci_u32_e32 v22, vcc_lo, s9, v18, vcc_lo
	v_add_co_u32 v19, vcc_lo, s8, v19
	v_add_co_ci_u32_e32 v20, vcc_lo, s9, v20, vcc_lo
	s_mov_b32 s29, -1
	s_clause 0x1
	global_load_b64 v[23:24], v[21:22], off
	global_load_b64 v[25:26], v[19:20], off
	s_mov_b32 s31, exec_lo
	s_waitcnt vmcnt(0)
	v_cmpx_eq_u64_e64 v[23:24], v[25:26]
	s_cbranch_execz .LBB1683_246
; %bb.240:
	v_add_co_u32 v19, vcc_lo, v19, 8
	v_add_co_ci_u32_e32 v20, vcc_lo, 0, v20, vcc_lo
	v_add_co_u32 v21, vcc_lo, v21, 8
	v_add_co_ci_u32_e32 v22, vcc_lo, 0, v22, vcc_lo
	s_add_u32 s4, s22, -1
	s_addc_u32 s5, s23, -1
	s_mov_b64 s[6:7], 0
	s_mov_b32 s29, 0
                                        ; implicit-def: $sgpr33
	s_set_inst_prefetch_distance 0x1
	s_branch .LBB1683_243
	.p2align	6
.LBB1683_241:                           ;   in Loop: Header=BB1683_243 Depth=1
	global_load_b64 v[23:24], v[21:22], off
	global_load_b64 v[25:26], v[19:20], off
	v_add_co_u32 v19, vcc_lo, v19, 8
	v_add_co_ci_u32_e32 v20, vcc_lo, 0, v20, vcc_lo
	v_add_co_u32 v21, s2, v21, 8
	s_delay_alu instid0(VALU_DEP_1)
	v_add_co_ci_u32_e64 v22, s2, 0, v22, s2
	s_add_u32 s6, s6, 1
	s_addc_u32 s7, s7, 0
	s_and_not1_b32 s2, s33, exec_lo
	s_waitcnt vmcnt(0)
	v_cmp_ne_u64_e32 vcc_lo, v[23:24], v[25:26]
	s_and_b32 s33, vcc_lo, exec_lo
	s_delay_alu instid0(SALU_CYCLE_1)
	s_or_b32 s33, s2, s33
.LBB1683_242:                           ;   in Loop: Header=BB1683_243 Depth=1
	v_dual_mov_b32 v24, s7 :: v_dual_mov_b32 v23, s6
	s_and_b32 s2, exec_lo, s33
	s_delay_alu instid0(SALU_CYCLE_1) | instskip(NEXT) | instid1(SALU_CYCLE_1)
	s_or_b32 s29, s2, s29
	s_and_not1_b32 exec_lo, exec_lo, s29
	s_cbranch_execz .LBB1683_245
.LBB1683_243:                           ; =>This Inner Loop Header: Depth=1
	s_or_b32 s33, s33, exec_lo
	s_cmp_eq_u64 s[4:5], s[6:7]
	s_cbranch_scc0 .LBB1683_241
; %bb.244:                              ;   in Loop: Header=BB1683_243 Depth=1
	s_mov_b64 s[6:7], s[22:23]
                                        ; implicit-def: $vgpr19_vgpr20
                                        ; implicit-def: $vgpr21_vgpr22
	s_branch .LBB1683_242
.LBB1683_245:
	s_set_inst_prefetch_distance 0x2
	s_or_b32 exec_lo, exec_lo, s29
	v_cmp_gt_i64_e32 vcc_lo, s[22:23], v[23:24]
	s_or_not1_b32 s29, vcc_lo, exec_lo
.LBB1683_246:
	s_or_b32 exec_lo, exec_lo, s31
.LBB1683_247:
	v_mul_lo_u32 v21, v14, s22
	v_mul_lo_u32 v22, v13, s23
	v_mad_u64_u32 v[19:20], null, v13, s22, 0
	s_and_not1_b32 vcc_lo, exec_lo, s3
	s_mov_b32 s2, 0
	s_delay_alu instid0(VALU_DEP_1)
	v_add3_u32 v20, v20, v22, v21
	s_cbranch_vccnz .LBB1683_256
; %bb.248:
	s_delay_alu instid0(VALU_DEP_1) | instskip(SKIP_2) | instid1(VALU_DEP_1)
	v_lshlrev_b64 v[21:22], 3, v[19:20]
	s_mov_b32 s2, -1
	s_mov_b32 s31, exec_lo
	v_add_co_u32 v21, vcc_lo, s8, v21
	s_delay_alu instid0(VALU_DEP_2)
	v_add_co_ci_u32_e32 v22, vcc_lo, s9, v22, vcc_lo
	v_add_co_u32 v17, vcc_lo, s8, v17
	v_add_co_ci_u32_e32 v18, vcc_lo, s9, v18, vcc_lo
	s_clause 0x1
	global_load_b64 v[23:24], v[21:22], off
	global_load_b64 v[25:26], v[17:18], off
	s_waitcnt vmcnt(0)
	v_cmpx_eq_u64_e64 v[23:24], v[25:26]
	s_cbranch_execz .LBB1683_255
; %bb.249:
	v_add_co_u32 v17, vcc_lo, v17, 8
	v_add_co_ci_u32_e32 v18, vcc_lo, 0, v18, vcc_lo
	v_add_co_u32 v21, vcc_lo, v21, 8
	v_add_co_ci_u32_e32 v22, vcc_lo, 0, v22, vcc_lo
	s_add_u32 s4, s22, -1
	s_addc_u32 s5, s23, -1
	s_mov_b64 s[6:7], 0
	s_mov_b32 s33, 0
                                        ; implicit-def: $sgpr34
	s_set_inst_prefetch_distance 0x1
	s_branch .LBB1683_252
	.p2align	6
.LBB1683_250:                           ;   in Loop: Header=BB1683_252 Depth=1
	global_load_b64 v[23:24], v[21:22], off
	global_load_b64 v[25:26], v[17:18], off
	v_add_co_u32 v17, vcc_lo, v17, 8
	v_add_co_ci_u32_e32 v18, vcc_lo, 0, v18, vcc_lo
	v_add_co_u32 v21, s2, v21, 8
	s_delay_alu instid0(VALU_DEP_1)
	v_add_co_ci_u32_e64 v22, s2, 0, v22, s2
	s_add_u32 s6, s6, 1
	s_addc_u32 s7, s7, 0
	s_and_not1_b32 s2, s34, exec_lo
	s_waitcnt vmcnt(0)
	v_cmp_ne_u64_e32 vcc_lo, v[23:24], v[25:26]
	s_and_b32 s34, vcc_lo, exec_lo
	s_delay_alu instid0(SALU_CYCLE_1)
	s_or_b32 s34, s2, s34
.LBB1683_251:                           ;   in Loop: Header=BB1683_252 Depth=1
	v_dual_mov_b32 v24, s7 :: v_dual_mov_b32 v23, s6
	s_and_b32 s2, exec_lo, s34
	s_delay_alu instid0(SALU_CYCLE_1) | instskip(NEXT) | instid1(SALU_CYCLE_1)
	s_or_b32 s33, s2, s33
	s_and_not1_b32 exec_lo, exec_lo, s33
	s_cbranch_execz .LBB1683_254
.LBB1683_252:                           ; =>This Inner Loop Header: Depth=1
	s_or_b32 s34, s34, exec_lo
	s_cmp_eq_u64 s[4:5], s[6:7]
	s_cbranch_scc0 .LBB1683_250
; %bb.253:                              ;   in Loop: Header=BB1683_252 Depth=1
	s_mov_b64 s[6:7], s[22:23]
                                        ; implicit-def: $vgpr17_vgpr18
                                        ; implicit-def: $vgpr21_vgpr22
	s_branch .LBB1683_251
.LBB1683_254:
	s_set_inst_prefetch_distance 0x2
	s_or_b32 exec_lo, exec_lo, s33
	v_cmp_gt_i64_e32 vcc_lo, s[22:23], v[23:24]
	s_or_not1_b32 s2, vcc_lo, exec_lo
.LBB1683_255:
	s_or_b32 exec_lo, exec_lo, s31
.LBB1683_256:
	v_cndmask_b32_e64 v18, 0, 1, s30
	v_cndmask_b32_e64 v21, 0, 1, s28
	;; [unrolled: 1-line block ×7, first 2 shown]
	v_lshlrev_b16 v21, 8, v21
	v_lshlrev_b16 v22, 8, v22
	;; [unrolled: 1-line block ×4, first 2 shown]
	s_delay_alu instid0(VALU_DEP_4) | instskip(NEXT) | instid1(VALU_DEP_4)
	v_or_b32_e32 v21, v24, v21
	v_or_b32_e32 v22, v25, v22
	s_delay_alu instid0(VALU_DEP_4) | instskip(NEXT) | instid1(VALU_DEP_4)
	v_or_b32_e32 v23, 1, v23
	v_or_b32_e32 v17, v17, v18
	s_barrier
	v_and_b32_e32 v18, 0xffff, v21
	v_lshlrev_b32_e32 v21, 16, v22
	v_and_b32_e32 v22, 0xffff, v23
	v_lshlrev_b32_e32 v17, 16, v17
	buffer_gl0_inv
                                        ; implicit-def: $sgpr2
	s_mov_b32 s4, exec_lo
	v_or_b32_e32 v18, v18, v21
	v_or_b32_e32 v17, v22, v17
	v_cmpx_ne_u32_e32 0, v0
	s_xor_b32 s19, exec_lo, s4
	s_cbranch_execz .LBB1683_267
; %bb.257:
	s_and_not1_b32 vcc_lo, exec_lo, s3
	s_mov_b32 s2, 0
	s_cbranch_vccnz .LBB1683_266
; %bb.258:
	v_add_nc_u32_e32 v21, -8, v39
	v_lshlrev_b64 v[19:20], 3, v[19:20]
	s_mov_b32 s2, -1
	s_mov_b32 s26, exec_lo
	ds_load_b64 v[21:22], v21
	s_waitcnt lgkmcnt(0)
	v_mul_lo_u32 v24, v22, s22
	v_mul_lo_u32 v25, v21, s23
	v_mad_u64_u32 v[22:23], null, v21, s22, 0
	s_delay_alu instid0(VALU_DEP_1) | instskip(NEXT) | instid1(VALU_DEP_1)
	v_add3_u32 v23, v23, v25, v24
	v_lshlrev_b64 v[21:22], 3, v[22:23]
	s_delay_alu instid0(VALU_DEP_1) | instskip(NEXT) | instid1(VALU_DEP_2)
	v_add_co_u32 v21, vcc_lo, s8, v21
	v_add_co_ci_u32_e32 v22, vcc_lo, s9, v22, vcc_lo
	v_add_co_u32 v19, vcc_lo, s8, v19
	v_add_co_ci_u32_e32 v20, vcc_lo, s9, v20, vcc_lo
	s_clause 0x1
	global_load_b64 v[23:24], v[21:22], off
	global_load_b64 v[25:26], v[19:20], off
	s_waitcnt vmcnt(0)
	v_cmpx_eq_u64_e64 v[23:24], v[25:26]
	s_cbranch_execz .LBB1683_265
; %bb.259:
	v_add_co_u32 v19, vcc_lo, v19, 8
	v_add_co_ci_u32_e32 v20, vcc_lo, 0, v20, vcc_lo
	v_add_co_u32 v21, vcc_lo, v21, 8
	v_add_co_ci_u32_e32 v22, vcc_lo, 0, v22, vcc_lo
	s_add_u32 s4, s22, -1
	s_addc_u32 s5, s23, -1
	s_mov_b64 s[6:7], 0
	s_mov_b32 s27, 0
                                        ; implicit-def: $sgpr28
	s_set_inst_prefetch_distance 0x1
	s_branch .LBB1683_262
	.p2align	6
.LBB1683_260:                           ;   in Loop: Header=BB1683_262 Depth=1
	global_load_b64 v[23:24], v[21:22], off
	global_load_b64 v[25:26], v[19:20], off
	v_add_co_u32 v19, vcc_lo, v19, 8
	v_add_co_ci_u32_e32 v20, vcc_lo, 0, v20, vcc_lo
	v_add_co_u32 v21, s2, v21, 8
	s_delay_alu instid0(VALU_DEP_1)
	v_add_co_ci_u32_e64 v22, s2, 0, v22, s2
	s_add_u32 s6, s6, 1
	s_addc_u32 s7, s7, 0
	s_and_not1_b32 s2, s28, exec_lo
	s_waitcnt vmcnt(0)
	v_cmp_ne_u64_e32 vcc_lo, v[23:24], v[25:26]
	s_and_b32 s28, vcc_lo, exec_lo
	s_delay_alu instid0(SALU_CYCLE_1)
	s_or_b32 s28, s2, s28
.LBB1683_261:                           ;   in Loop: Header=BB1683_262 Depth=1
	v_dual_mov_b32 v24, s7 :: v_dual_mov_b32 v23, s6
	s_and_b32 s2, exec_lo, s28
	s_delay_alu instid0(SALU_CYCLE_1) | instskip(NEXT) | instid1(SALU_CYCLE_1)
	s_or_b32 s27, s2, s27
	s_and_not1_b32 exec_lo, exec_lo, s27
	s_cbranch_execz .LBB1683_264
.LBB1683_262:                           ; =>This Inner Loop Header: Depth=1
	s_or_b32 s28, s28, exec_lo
	s_cmp_eq_u64 s[4:5], s[6:7]
	s_cbranch_scc0 .LBB1683_260
; %bb.263:                              ;   in Loop: Header=BB1683_262 Depth=1
	s_mov_b64 s[6:7], s[22:23]
                                        ; implicit-def: $vgpr19_vgpr20
                                        ; implicit-def: $vgpr21_vgpr22
	s_branch .LBB1683_261
.LBB1683_264:
	s_set_inst_prefetch_distance 0x2
	s_or_b32 exec_lo, exec_lo, s27
	v_cmp_gt_i64_e32 vcc_lo, s[22:23], v[23:24]
	s_or_not1_b32 s2, vcc_lo, exec_lo
.LBB1683_265:
	s_or_b32 exec_lo, exec_lo, s26
.LBB1683_266:
	s_delay_alu instid0(SALU_CYCLE_1)
	s_and_b32 s2, s2, exec_lo
	s_or_b32 s18, s18, exec_lo
.LBB1683_267:
	s_or_b32 exec_lo, exec_lo, s19
	s_branch .LBB1683_359
.LBB1683_268:
	v_or_b32_e32 v17, 7, v39
	s_mov_b32 s19, 0
	s_mov_b32 s26, 0
	s_mov_b32 s27, exec_lo
	s_delay_alu instid0(VALU_DEP_1)
	v_cmpx_gt_u32_e64 s20, v17
	s_cbranch_execz .LBB1683_279
; %bb.269:
	s_and_not1_b32 vcc_lo, exec_lo, s3
	s_mov_b32 s2, 0
	s_cbranch_vccnz .LBB1683_278
; %bb.270:
	v_mul_lo_u32 v21, v2, s22
	v_mul_lo_u32 v22, v1, s23
	v_mad_u64_u32 v[17:18], null, v1, s22, 0
	v_mul_lo_u32 v23, v4, s22
	v_mul_lo_u32 v24, v3, s23
	v_mad_u64_u32 v[19:20], null, v3, s22, 0
	s_mov_b32 s2, -1
	s_mov_b32 s26, exec_lo
	s_delay_alu instid0(VALU_DEP_4) | instskip(NEXT) | instid1(VALU_DEP_2)
	v_add3_u32 v18, v18, v22, v21
	v_add3_u32 v20, v20, v24, v23
	s_delay_alu instid0(VALU_DEP_2) | instskip(NEXT) | instid1(VALU_DEP_2)
	v_lshlrev_b64 v[17:18], 3, v[17:18]
	v_lshlrev_b64 v[21:22], 3, v[19:20]
	s_delay_alu instid0(VALU_DEP_2) | instskip(NEXT) | instid1(VALU_DEP_3)
	v_add_co_u32 v19, vcc_lo, s8, v17
	v_add_co_ci_u32_e32 v20, vcc_lo, s9, v18, vcc_lo
	s_delay_alu instid0(VALU_DEP_3) | instskip(NEXT) | instid1(VALU_DEP_4)
	v_add_co_u32 v17, vcc_lo, s8, v21
	v_add_co_ci_u32_e32 v18, vcc_lo, s9, v22, vcc_lo
	s_clause 0x1
	global_load_b64 v[21:22], v[19:20], off
	global_load_b64 v[23:24], v[17:18], off
	s_waitcnt vmcnt(0)
	v_cmpx_eq_u64_e64 v[21:22], v[23:24]
	s_cbranch_execz .LBB1683_277
; %bb.271:
	v_add_co_u32 v17, vcc_lo, v17, 8
	v_add_co_ci_u32_e32 v18, vcc_lo, 0, v18, vcc_lo
	v_add_co_u32 v19, vcc_lo, v19, 8
	v_add_co_ci_u32_e32 v20, vcc_lo, 0, v20, vcc_lo
	s_add_u32 s4, s22, -1
	s_addc_u32 s5, s23, -1
	s_mov_b64 s[6:7], 0
	s_mov_b32 s28, 0
                                        ; implicit-def: $sgpr29
	s_set_inst_prefetch_distance 0x1
	s_branch .LBB1683_274
	.p2align	6
.LBB1683_272:                           ;   in Loop: Header=BB1683_274 Depth=1
	global_load_b64 v[21:22], v[19:20], off
	global_load_b64 v[23:24], v[17:18], off
	v_add_co_u32 v17, vcc_lo, v17, 8
	v_add_co_ci_u32_e32 v18, vcc_lo, 0, v18, vcc_lo
	v_add_co_u32 v19, s2, v19, 8
	s_delay_alu instid0(VALU_DEP_1)
	v_add_co_ci_u32_e64 v20, s2, 0, v20, s2
	s_add_u32 s6, s6, 1
	s_addc_u32 s7, s7, 0
	s_and_not1_b32 s2, s29, exec_lo
	s_waitcnt vmcnt(0)
	v_cmp_ne_u64_e32 vcc_lo, v[21:22], v[23:24]
	s_and_b32 s29, vcc_lo, exec_lo
	s_delay_alu instid0(SALU_CYCLE_1)
	s_or_b32 s29, s2, s29
.LBB1683_273:                           ;   in Loop: Header=BB1683_274 Depth=1
	v_dual_mov_b32 v22, s7 :: v_dual_mov_b32 v21, s6
	s_and_b32 s2, exec_lo, s29
	s_delay_alu instid0(SALU_CYCLE_1) | instskip(NEXT) | instid1(SALU_CYCLE_1)
	s_or_b32 s28, s2, s28
	s_and_not1_b32 exec_lo, exec_lo, s28
	s_cbranch_execz .LBB1683_276
.LBB1683_274:                           ; =>This Inner Loop Header: Depth=1
	s_or_b32 s29, s29, exec_lo
	s_cmp_eq_u64 s[4:5], s[6:7]
	s_cbranch_scc0 .LBB1683_272
; %bb.275:                              ;   in Loop: Header=BB1683_274 Depth=1
	s_mov_b64 s[6:7], s[22:23]
                                        ; implicit-def: $vgpr17_vgpr18
                                        ; implicit-def: $vgpr19_vgpr20
	s_branch .LBB1683_273
.LBB1683_276:
	s_set_inst_prefetch_distance 0x2
	s_or_b32 exec_lo, exec_lo, s28
	v_cmp_gt_i64_e32 vcc_lo, s[22:23], v[21:22]
	s_or_not1_b32 s2, vcc_lo, exec_lo
.LBB1683_277:
	s_or_b32 exec_lo, exec_lo, s26
.LBB1683_278:
	s_delay_alu instid0(SALU_CYCLE_1)
	s_and_b32 s26, s2, exec_lo
.LBB1683_279:
	s_or_b32 exec_lo, exec_lo, s27
	v_or_b32_e32 v17, 6, v39
	s_mov_b32 s27, exec_lo
	s_delay_alu instid0(VALU_DEP_1)
	v_cmpx_gt_u32_e64 s20, v17
	s_cbranch_execz .LBB1683_290
; %bb.280:
	s_and_not1_b32 vcc_lo, exec_lo, s3
	s_mov_b32 s2, 0
	s_cbranch_vccnz .LBB1683_289
; %bb.281:
	v_mul_lo_u32 v21, v8, s22
	v_mul_lo_u32 v22, v7, s23
	v_mad_u64_u32 v[17:18], null, v7, s22, 0
	v_mul_lo_u32 v23, v2, s22
	v_mul_lo_u32 v24, v1, s23
	v_mad_u64_u32 v[19:20], null, v1, s22, 0
	s_mov_b32 s2, -1
	s_mov_b32 s19, exec_lo
	s_delay_alu instid0(VALU_DEP_4) | instskip(NEXT) | instid1(VALU_DEP_2)
	v_add3_u32 v18, v18, v22, v21
	v_add3_u32 v20, v20, v24, v23
	s_delay_alu instid0(VALU_DEP_2) | instskip(NEXT) | instid1(VALU_DEP_2)
	v_lshlrev_b64 v[17:18], 3, v[17:18]
	v_lshlrev_b64 v[21:22], 3, v[19:20]
	s_delay_alu instid0(VALU_DEP_2) | instskip(NEXT) | instid1(VALU_DEP_3)
	v_add_co_u32 v19, vcc_lo, s8, v17
	v_add_co_ci_u32_e32 v20, vcc_lo, s9, v18, vcc_lo
	s_delay_alu instid0(VALU_DEP_3) | instskip(NEXT) | instid1(VALU_DEP_4)
	v_add_co_u32 v17, vcc_lo, s8, v21
	v_add_co_ci_u32_e32 v18, vcc_lo, s9, v22, vcc_lo
	s_clause 0x1
	global_load_b64 v[21:22], v[19:20], off
	global_load_b64 v[23:24], v[17:18], off
	s_waitcnt vmcnt(0)
	v_cmpx_eq_u64_e64 v[21:22], v[23:24]
	s_cbranch_execz .LBB1683_288
; %bb.282:
	v_add_co_u32 v17, vcc_lo, v17, 8
	v_add_co_ci_u32_e32 v18, vcc_lo, 0, v18, vcc_lo
	v_add_co_u32 v19, vcc_lo, v19, 8
	v_add_co_ci_u32_e32 v20, vcc_lo, 0, v20, vcc_lo
	s_add_u32 s4, s22, -1
	s_addc_u32 s5, s23, -1
	s_mov_b64 s[6:7], 0
	s_mov_b32 s28, 0
                                        ; implicit-def: $sgpr29
	s_set_inst_prefetch_distance 0x1
	s_branch .LBB1683_285
	.p2align	6
.LBB1683_283:                           ;   in Loop: Header=BB1683_285 Depth=1
	global_load_b64 v[21:22], v[19:20], off
	global_load_b64 v[23:24], v[17:18], off
	v_add_co_u32 v17, vcc_lo, v17, 8
	v_add_co_ci_u32_e32 v18, vcc_lo, 0, v18, vcc_lo
	v_add_co_u32 v19, s2, v19, 8
	s_delay_alu instid0(VALU_DEP_1)
	v_add_co_ci_u32_e64 v20, s2, 0, v20, s2
	s_add_u32 s6, s6, 1
	s_addc_u32 s7, s7, 0
	s_and_not1_b32 s2, s29, exec_lo
	s_waitcnt vmcnt(0)
	v_cmp_ne_u64_e32 vcc_lo, v[21:22], v[23:24]
	s_and_b32 s29, vcc_lo, exec_lo
	s_delay_alu instid0(SALU_CYCLE_1)
	s_or_b32 s29, s2, s29
.LBB1683_284:                           ;   in Loop: Header=BB1683_285 Depth=1
	v_dual_mov_b32 v22, s7 :: v_dual_mov_b32 v21, s6
	s_and_b32 s2, exec_lo, s29
	s_delay_alu instid0(SALU_CYCLE_1) | instskip(NEXT) | instid1(SALU_CYCLE_1)
	s_or_b32 s28, s2, s28
	s_and_not1_b32 exec_lo, exec_lo, s28
	s_cbranch_execz .LBB1683_287
.LBB1683_285:                           ; =>This Inner Loop Header: Depth=1
	s_or_b32 s29, s29, exec_lo
	s_cmp_eq_u64 s[4:5], s[6:7]
	s_cbranch_scc0 .LBB1683_283
; %bb.286:                              ;   in Loop: Header=BB1683_285 Depth=1
	s_mov_b64 s[6:7], s[22:23]
                                        ; implicit-def: $vgpr17_vgpr18
                                        ; implicit-def: $vgpr19_vgpr20
	s_branch .LBB1683_284
.LBB1683_287:
	s_set_inst_prefetch_distance 0x2
	s_or_b32 exec_lo, exec_lo, s28
	v_cmp_gt_i64_e32 vcc_lo, s[22:23], v[21:22]
	s_or_not1_b32 s2, vcc_lo, exec_lo
.LBB1683_288:
	s_or_b32 exec_lo, exec_lo, s19
.LBB1683_289:
	s_delay_alu instid0(SALU_CYCLE_1)
	s_and_b32 s19, s2, exec_lo
.LBB1683_290:
	s_or_b32 exec_lo, exec_lo, s27
	v_or_b32_e32 v17, 5, v39
	s_mov_b32 s27, 0
	s_mov_b32 s28, 0
	s_mov_b32 s29, exec_lo
	s_delay_alu instid0(VALU_DEP_1)
	v_cmpx_gt_u32_e64 s20, v17
	s_cbranch_execz .LBB1683_301
; %bb.291:
	s_and_not1_b32 vcc_lo, exec_lo, s3
	s_mov_b32 s2, 0
	s_cbranch_vccnz .LBB1683_300
; %bb.292:
	v_mul_lo_u32 v21, v6, s22
	v_mul_lo_u32 v22, v5, s23
	v_mad_u64_u32 v[17:18], null, v5, s22, 0
	v_mul_lo_u32 v23, v8, s22
	v_mul_lo_u32 v24, v7, s23
	v_mad_u64_u32 v[19:20], null, v7, s22, 0
	s_mov_b32 s2, -1
	s_mov_b32 s28, exec_lo
	s_delay_alu instid0(VALU_DEP_4) | instskip(NEXT) | instid1(VALU_DEP_2)
	v_add3_u32 v18, v18, v22, v21
	v_add3_u32 v20, v20, v24, v23
	s_delay_alu instid0(VALU_DEP_2) | instskip(NEXT) | instid1(VALU_DEP_2)
	v_lshlrev_b64 v[17:18], 3, v[17:18]
	v_lshlrev_b64 v[21:22], 3, v[19:20]
	s_delay_alu instid0(VALU_DEP_2) | instskip(NEXT) | instid1(VALU_DEP_3)
	v_add_co_u32 v19, vcc_lo, s8, v17
	v_add_co_ci_u32_e32 v20, vcc_lo, s9, v18, vcc_lo
	s_delay_alu instid0(VALU_DEP_3) | instskip(NEXT) | instid1(VALU_DEP_4)
	v_add_co_u32 v17, vcc_lo, s8, v21
	v_add_co_ci_u32_e32 v18, vcc_lo, s9, v22, vcc_lo
	s_clause 0x1
	global_load_b64 v[21:22], v[19:20], off
	global_load_b64 v[23:24], v[17:18], off
	s_waitcnt vmcnt(0)
	v_cmpx_eq_u64_e64 v[21:22], v[23:24]
	s_cbranch_execz .LBB1683_299
; %bb.293:
	v_add_co_u32 v17, vcc_lo, v17, 8
	v_add_co_ci_u32_e32 v18, vcc_lo, 0, v18, vcc_lo
	v_add_co_u32 v19, vcc_lo, v19, 8
	v_add_co_ci_u32_e32 v20, vcc_lo, 0, v20, vcc_lo
	s_add_u32 s4, s22, -1
	s_addc_u32 s5, s23, -1
	s_mov_b64 s[6:7], 0
	s_mov_b32 s30, 0
                                        ; implicit-def: $sgpr31
	s_set_inst_prefetch_distance 0x1
	s_branch .LBB1683_296
	.p2align	6
.LBB1683_294:                           ;   in Loop: Header=BB1683_296 Depth=1
	global_load_b64 v[21:22], v[19:20], off
	global_load_b64 v[23:24], v[17:18], off
	v_add_co_u32 v17, vcc_lo, v17, 8
	v_add_co_ci_u32_e32 v18, vcc_lo, 0, v18, vcc_lo
	v_add_co_u32 v19, s2, v19, 8
	s_delay_alu instid0(VALU_DEP_1)
	v_add_co_ci_u32_e64 v20, s2, 0, v20, s2
	s_add_u32 s6, s6, 1
	s_addc_u32 s7, s7, 0
	s_and_not1_b32 s2, s31, exec_lo
	s_waitcnt vmcnt(0)
	v_cmp_ne_u64_e32 vcc_lo, v[21:22], v[23:24]
	s_and_b32 s31, vcc_lo, exec_lo
	s_delay_alu instid0(SALU_CYCLE_1)
	s_or_b32 s31, s2, s31
.LBB1683_295:                           ;   in Loop: Header=BB1683_296 Depth=1
	v_dual_mov_b32 v22, s7 :: v_dual_mov_b32 v21, s6
	s_and_b32 s2, exec_lo, s31
	s_delay_alu instid0(SALU_CYCLE_1) | instskip(NEXT) | instid1(SALU_CYCLE_1)
	s_or_b32 s30, s2, s30
	s_and_not1_b32 exec_lo, exec_lo, s30
	s_cbranch_execz .LBB1683_298
.LBB1683_296:                           ; =>This Inner Loop Header: Depth=1
	s_or_b32 s31, s31, exec_lo
	s_cmp_eq_u64 s[4:5], s[6:7]
	s_cbranch_scc0 .LBB1683_294
; %bb.297:                              ;   in Loop: Header=BB1683_296 Depth=1
	s_mov_b64 s[6:7], s[22:23]
                                        ; implicit-def: $vgpr17_vgpr18
                                        ; implicit-def: $vgpr19_vgpr20
	s_branch .LBB1683_295
.LBB1683_298:
	s_set_inst_prefetch_distance 0x2
	s_or_b32 exec_lo, exec_lo, s30
	v_cmp_gt_i64_e32 vcc_lo, s[22:23], v[21:22]
	s_or_not1_b32 s2, vcc_lo, exec_lo
.LBB1683_299:
	s_or_b32 exec_lo, exec_lo, s28
.LBB1683_300:
	s_delay_alu instid0(SALU_CYCLE_1)
	s_and_b32 s28, s2, exec_lo
.LBB1683_301:
	s_or_b32 exec_lo, exec_lo, s29
	v_or_b32_e32 v17, 4, v39
	s_mov_b32 s29, exec_lo
	s_delay_alu instid0(VALU_DEP_1)
	v_cmpx_gt_u32_e64 s20, v17
	s_cbranch_execz .LBB1683_312
; %bb.302:
	s_and_not1_b32 vcc_lo, exec_lo, s3
	s_mov_b32 s2, 0
	s_cbranch_vccnz .LBB1683_311
; %bb.303:
	v_mul_lo_u32 v21, v12, s22
	v_mul_lo_u32 v22, v11, s23
	v_mad_u64_u32 v[17:18], null, v11, s22, 0
	v_mul_lo_u32 v23, v6, s22
	v_mul_lo_u32 v24, v5, s23
	v_mad_u64_u32 v[19:20], null, v5, s22, 0
	s_mov_b32 s2, -1
	s_mov_b32 s27, exec_lo
	s_delay_alu instid0(VALU_DEP_4) | instskip(NEXT) | instid1(VALU_DEP_2)
	v_add3_u32 v18, v18, v22, v21
	v_add3_u32 v20, v20, v24, v23
	s_delay_alu instid0(VALU_DEP_2) | instskip(NEXT) | instid1(VALU_DEP_2)
	v_lshlrev_b64 v[17:18], 3, v[17:18]
	v_lshlrev_b64 v[21:22], 3, v[19:20]
	s_delay_alu instid0(VALU_DEP_2) | instskip(NEXT) | instid1(VALU_DEP_3)
	v_add_co_u32 v19, vcc_lo, s8, v17
	v_add_co_ci_u32_e32 v20, vcc_lo, s9, v18, vcc_lo
	s_delay_alu instid0(VALU_DEP_3) | instskip(NEXT) | instid1(VALU_DEP_4)
	v_add_co_u32 v17, vcc_lo, s8, v21
	v_add_co_ci_u32_e32 v18, vcc_lo, s9, v22, vcc_lo
	s_clause 0x1
	global_load_b64 v[21:22], v[19:20], off
	global_load_b64 v[23:24], v[17:18], off
	s_waitcnt vmcnt(0)
	v_cmpx_eq_u64_e64 v[21:22], v[23:24]
	s_cbranch_execz .LBB1683_310
; %bb.304:
	v_add_co_u32 v17, vcc_lo, v17, 8
	v_add_co_ci_u32_e32 v18, vcc_lo, 0, v18, vcc_lo
	v_add_co_u32 v19, vcc_lo, v19, 8
	v_add_co_ci_u32_e32 v20, vcc_lo, 0, v20, vcc_lo
	s_add_u32 s4, s22, -1
	s_addc_u32 s5, s23, -1
	s_mov_b64 s[6:7], 0
	s_mov_b32 s30, 0
                                        ; implicit-def: $sgpr31
	s_set_inst_prefetch_distance 0x1
	s_branch .LBB1683_307
	.p2align	6
.LBB1683_305:                           ;   in Loop: Header=BB1683_307 Depth=1
	global_load_b64 v[21:22], v[19:20], off
	global_load_b64 v[23:24], v[17:18], off
	v_add_co_u32 v17, vcc_lo, v17, 8
	v_add_co_ci_u32_e32 v18, vcc_lo, 0, v18, vcc_lo
	v_add_co_u32 v19, s2, v19, 8
	s_delay_alu instid0(VALU_DEP_1)
	v_add_co_ci_u32_e64 v20, s2, 0, v20, s2
	s_add_u32 s6, s6, 1
	s_addc_u32 s7, s7, 0
	s_and_not1_b32 s2, s31, exec_lo
	s_waitcnt vmcnt(0)
	v_cmp_ne_u64_e32 vcc_lo, v[21:22], v[23:24]
	s_and_b32 s31, vcc_lo, exec_lo
	s_delay_alu instid0(SALU_CYCLE_1)
	s_or_b32 s31, s2, s31
.LBB1683_306:                           ;   in Loop: Header=BB1683_307 Depth=1
	v_dual_mov_b32 v22, s7 :: v_dual_mov_b32 v21, s6
	s_and_b32 s2, exec_lo, s31
	s_delay_alu instid0(SALU_CYCLE_1) | instskip(NEXT) | instid1(SALU_CYCLE_1)
	s_or_b32 s30, s2, s30
	s_and_not1_b32 exec_lo, exec_lo, s30
	s_cbranch_execz .LBB1683_309
.LBB1683_307:                           ; =>This Inner Loop Header: Depth=1
	s_or_b32 s31, s31, exec_lo
	s_cmp_eq_u64 s[4:5], s[6:7]
	s_cbranch_scc0 .LBB1683_305
; %bb.308:                              ;   in Loop: Header=BB1683_307 Depth=1
	s_mov_b64 s[6:7], s[22:23]
                                        ; implicit-def: $vgpr17_vgpr18
                                        ; implicit-def: $vgpr19_vgpr20
	s_branch .LBB1683_306
.LBB1683_309:
	s_set_inst_prefetch_distance 0x2
	s_or_b32 exec_lo, exec_lo, s30
	v_cmp_gt_i64_e32 vcc_lo, s[22:23], v[21:22]
	s_or_not1_b32 s2, vcc_lo, exec_lo
.LBB1683_310:
	s_or_b32 exec_lo, exec_lo, s27
.LBB1683_311:
	s_delay_alu instid0(SALU_CYCLE_1)
	s_and_b32 s27, s2, exec_lo
.LBB1683_312:
	s_or_b32 exec_lo, exec_lo, s29
	v_or_b32_e32 v17, 3, v39
	s_mov_b32 s30, 0
	s_mov_b32 s29, 0
	s_mov_b32 s31, exec_lo
	s_delay_alu instid0(VALU_DEP_1)
	v_cmpx_gt_u32_e64 s20, v17
	s_cbranch_execz .LBB1683_323
; %bb.313:
	s_and_not1_b32 vcc_lo, exec_lo, s3
	s_mov_b32 s2, 0
	s_cbranch_vccnz .LBB1683_322
; %bb.314:
	v_mul_lo_u32 v21, v10, s22
	v_mul_lo_u32 v22, v9, s23
	v_mad_u64_u32 v[17:18], null, v9, s22, 0
	v_mul_lo_u32 v23, v12, s22
	v_mul_lo_u32 v24, v11, s23
	v_mad_u64_u32 v[19:20], null, v11, s22, 0
	s_mov_b32 s2, -1
	s_mov_b32 s29, exec_lo
	s_delay_alu instid0(VALU_DEP_4) | instskip(NEXT) | instid1(VALU_DEP_2)
	v_add3_u32 v18, v18, v22, v21
	v_add3_u32 v20, v20, v24, v23
	s_delay_alu instid0(VALU_DEP_2) | instskip(NEXT) | instid1(VALU_DEP_2)
	v_lshlrev_b64 v[17:18], 3, v[17:18]
	v_lshlrev_b64 v[21:22], 3, v[19:20]
	s_delay_alu instid0(VALU_DEP_2) | instskip(NEXT) | instid1(VALU_DEP_3)
	v_add_co_u32 v19, vcc_lo, s8, v17
	v_add_co_ci_u32_e32 v20, vcc_lo, s9, v18, vcc_lo
	s_delay_alu instid0(VALU_DEP_3) | instskip(NEXT) | instid1(VALU_DEP_4)
	v_add_co_u32 v17, vcc_lo, s8, v21
	v_add_co_ci_u32_e32 v18, vcc_lo, s9, v22, vcc_lo
	s_clause 0x1
	global_load_b64 v[21:22], v[19:20], off
	global_load_b64 v[23:24], v[17:18], off
	s_waitcnt vmcnt(0)
	v_cmpx_eq_u64_e64 v[21:22], v[23:24]
	s_cbranch_execz .LBB1683_321
; %bb.315:
	v_add_co_u32 v17, vcc_lo, v17, 8
	v_add_co_ci_u32_e32 v18, vcc_lo, 0, v18, vcc_lo
	v_add_co_u32 v19, vcc_lo, v19, 8
	v_add_co_ci_u32_e32 v20, vcc_lo, 0, v20, vcc_lo
	s_add_u32 s4, s22, -1
	s_addc_u32 s5, s23, -1
	s_mov_b64 s[6:7], 0
	s_mov_b32 s33, 0
                                        ; implicit-def: $sgpr34
	s_set_inst_prefetch_distance 0x1
	s_branch .LBB1683_318
	.p2align	6
.LBB1683_316:                           ;   in Loop: Header=BB1683_318 Depth=1
	global_load_b64 v[21:22], v[19:20], off
	global_load_b64 v[23:24], v[17:18], off
	v_add_co_u32 v17, vcc_lo, v17, 8
	v_add_co_ci_u32_e32 v18, vcc_lo, 0, v18, vcc_lo
	v_add_co_u32 v19, s2, v19, 8
	s_delay_alu instid0(VALU_DEP_1)
	v_add_co_ci_u32_e64 v20, s2, 0, v20, s2
	s_add_u32 s6, s6, 1
	s_addc_u32 s7, s7, 0
	s_and_not1_b32 s2, s34, exec_lo
	s_waitcnt vmcnt(0)
	v_cmp_ne_u64_e32 vcc_lo, v[21:22], v[23:24]
	s_and_b32 s34, vcc_lo, exec_lo
	s_delay_alu instid0(SALU_CYCLE_1)
	s_or_b32 s34, s2, s34
.LBB1683_317:                           ;   in Loop: Header=BB1683_318 Depth=1
	v_dual_mov_b32 v22, s7 :: v_dual_mov_b32 v21, s6
	s_and_b32 s2, exec_lo, s34
	s_delay_alu instid0(SALU_CYCLE_1) | instskip(NEXT) | instid1(SALU_CYCLE_1)
	s_or_b32 s33, s2, s33
	s_and_not1_b32 exec_lo, exec_lo, s33
	s_cbranch_execz .LBB1683_320
.LBB1683_318:                           ; =>This Inner Loop Header: Depth=1
	s_or_b32 s34, s34, exec_lo
	s_cmp_eq_u64 s[4:5], s[6:7]
	s_cbranch_scc0 .LBB1683_316
; %bb.319:                              ;   in Loop: Header=BB1683_318 Depth=1
	s_mov_b64 s[6:7], s[22:23]
                                        ; implicit-def: $vgpr17_vgpr18
                                        ; implicit-def: $vgpr19_vgpr20
	s_branch .LBB1683_317
.LBB1683_320:
	s_set_inst_prefetch_distance 0x2
	s_or_b32 exec_lo, exec_lo, s33
	v_cmp_gt_i64_e32 vcc_lo, s[22:23], v[21:22]
	s_or_not1_b32 s2, vcc_lo, exec_lo
.LBB1683_321:
	s_or_b32 exec_lo, exec_lo, s29
.LBB1683_322:
	s_delay_alu instid0(SALU_CYCLE_1)
	s_and_b32 s29, s2, exec_lo
.LBB1683_323:
	s_or_b32 exec_lo, exec_lo, s31
	v_or_b32_e32 v17, 2, v39
	s_mov_b32 s31, exec_lo
	s_delay_alu instid0(VALU_DEP_1)
	v_cmpx_gt_u32_e64 s20, v17
	s_cbranch_execz .LBB1683_334
; %bb.324:
	s_and_not1_b32 vcc_lo, exec_lo, s3
	s_mov_b32 s2, 0
	s_cbranch_vccnz .LBB1683_333
; %bb.325:
	v_mul_lo_u32 v21, v16, s22
	v_mul_lo_u32 v22, v15, s23
	v_mad_u64_u32 v[17:18], null, v15, s22, 0
	v_mul_lo_u32 v23, v10, s22
	v_mul_lo_u32 v24, v9, s23
	v_mad_u64_u32 v[19:20], null, v9, s22, 0
	s_mov_b32 s2, -1
	s_mov_b32 s30, exec_lo
	s_delay_alu instid0(VALU_DEP_4) | instskip(NEXT) | instid1(VALU_DEP_2)
	v_add3_u32 v18, v18, v22, v21
	v_add3_u32 v20, v20, v24, v23
	s_delay_alu instid0(VALU_DEP_2) | instskip(NEXT) | instid1(VALU_DEP_2)
	v_lshlrev_b64 v[17:18], 3, v[17:18]
	v_lshlrev_b64 v[21:22], 3, v[19:20]
	s_delay_alu instid0(VALU_DEP_2) | instskip(NEXT) | instid1(VALU_DEP_3)
	v_add_co_u32 v19, vcc_lo, s8, v17
	v_add_co_ci_u32_e32 v20, vcc_lo, s9, v18, vcc_lo
	s_delay_alu instid0(VALU_DEP_3) | instskip(NEXT) | instid1(VALU_DEP_4)
	v_add_co_u32 v17, vcc_lo, s8, v21
	v_add_co_ci_u32_e32 v18, vcc_lo, s9, v22, vcc_lo
	s_clause 0x1
	global_load_b64 v[21:22], v[19:20], off
	global_load_b64 v[23:24], v[17:18], off
	s_waitcnt vmcnt(0)
	v_cmpx_eq_u64_e64 v[21:22], v[23:24]
	s_cbranch_execz .LBB1683_332
; %bb.326:
	v_add_co_u32 v17, vcc_lo, v17, 8
	v_add_co_ci_u32_e32 v18, vcc_lo, 0, v18, vcc_lo
	v_add_co_u32 v19, vcc_lo, v19, 8
	v_add_co_ci_u32_e32 v20, vcc_lo, 0, v20, vcc_lo
	s_add_u32 s4, s22, -1
	s_addc_u32 s5, s23, -1
	s_mov_b64 s[6:7], 0
	s_mov_b32 s33, 0
                                        ; implicit-def: $sgpr34
	s_set_inst_prefetch_distance 0x1
	s_branch .LBB1683_329
	.p2align	6
.LBB1683_327:                           ;   in Loop: Header=BB1683_329 Depth=1
	global_load_b64 v[21:22], v[19:20], off
	global_load_b64 v[23:24], v[17:18], off
	v_add_co_u32 v17, vcc_lo, v17, 8
	v_add_co_ci_u32_e32 v18, vcc_lo, 0, v18, vcc_lo
	v_add_co_u32 v19, s2, v19, 8
	s_delay_alu instid0(VALU_DEP_1)
	v_add_co_ci_u32_e64 v20, s2, 0, v20, s2
	s_add_u32 s6, s6, 1
	s_addc_u32 s7, s7, 0
	s_and_not1_b32 s2, s34, exec_lo
	s_waitcnt vmcnt(0)
	v_cmp_ne_u64_e32 vcc_lo, v[21:22], v[23:24]
	s_and_b32 s34, vcc_lo, exec_lo
	s_delay_alu instid0(SALU_CYCLE_1)
	s_or_b32 s34, s2, s34
.LBB1683_328:                           ;   in Loop: Header=BB1683_329 Depth=1
	v_dual_mov_b32 v22, s7 :: v_dual_mov_b32 v21, s6
	s_and_b32 s2, exec_lo, s34
	s_delay_alu instid0(SALU_CYCLE_1) | instskip(NEXT) | instid1(SALU_CYCLE_1)
	s_or_b32 s33, s2, s33
	s_and_not1_b32 exec_lo, exec_lo, s33
	s_cbranch_execz .LBB1683_331
.LBB1683_329:                           ; =>This Inner Loop Header: Depth=1
	s_or_b32 s34, s34, exec_lo
	s_cmp_eq_u64 s[4:5], s[6:7]
	s_cbranch_scc0 .LBB1683_327
; %bb.330:                              ;   in Loop: Header=BB1683_329 Depth=1
	s_mov_b64 s[6:7], s[22:23]
                                        ; implicit-def: $vgpr17_vgpr18
                                        ; implicit-def: $vgpr19_vgpr20
	s_branch .LBB1683_328
.LBB1683_331:
	s_set_inst_prefetch_distance 0x2
	s_or_b32 exec_lo, exec_lo, s33
	v_cmp_gt_i64_e32 vcc_lo, s[22:23], v[21:22]
	s_or_not1_b32 s2, vcc_lo, exec_lo
.LBB1683_332:
	s_or_b32 exec_lo, exec_lo, s30
.LBB1683_333:
	s_delay_alu instid0(SALU_CYCLE_1)
	s_and_b32 s30, s2, exec_lo
.LBB1683_334:
	s_or_b32 exec_lo, exec_lo, s31
	v_or_b32_e32 v17, 1, v39
	s_mov_b32 s2, 0
	s_mov_b32 s31, exec_lo
	s_delay_alu instid0(VALU_DEP_1)
	v_cmpx_gt_u32_e64 s20, v17
	s_cbranch_execz .LBB1683_345
; %bb.335:
	s_and_not1_b32 vcc_lo, exec_lo, s3
	s_cbranch_vccnz .LBB1683_344
; %bb.336:
	v_mul_lo_u32 v21, v14, s22
	v_mul_lo_u32 v22, v13, s23
	v_mad_u64_u32 v[17:18], null, v13, s22, 0
	v_mul_lo_u32 v23, v16, s22
	v_mul_lo_u32 v24, v15, s23
	v_mad_u64_u32 v[19:20], null, v15, s22, 0
	s_mov_b32 s2, -1
	s_mov_b32 s33, exec_lo
	s_delay_alu instid0(VALU_DEP_4) | instskip(NEXT) | instid1(VALU_DEP_2)
	v_add3_u32 v18, v18, v22, v21
	v_add3_u32 v20, v20, v24, v23
	s_delay_alu instid0(VALU_DEP_2) | instskip(NEXT) | instid1(VALU_DEP_2)
	v_lshlrev_b64 v[17:18], 3, v[17:18]
	v_lshlrev_b64 v[21:22], 3, v[19:20]
	s_delay_alu instid0(VALU_DEP_2) | instskip(NEXT) | instid1(VALU_DEP_3)
	v_add_co_u32 v19, vcc_lo, s8, v17
	v_add_co_ci_u32_e32 v20, vcc_lo, s9, v18, vcc_lo
	s_delay_alu instid0(VALU_DEP_3) | instskip(NEXT) | instid1(VALU_DEP_4)
	v_add_co_u32 v17, vcc_lo, s8, v21
	v_add_co_ci_u32_e32 v18, vcc_lo, s9, v22, vcc_lo
	s_clause 0x1
	global_load_b64 v[21:22], v[19:20], off
	global_load_b64 v[23:24], v[17:18], off
	s_waitcnt vmcnt(0)
	v_cmpx_eq_u64_e64 v[21:22], v[23:24]
	s_cbranch_execz .LBB1683_343
; %bb.337:
	v_add_co_u32 v17, vcc_lo, v17, 8
	v_add_co_ci_u32_e32 v18, vcc_lo, 0, v18, vcc_lo
	v_add_co_u32 v19, vcc_lo, v19, 8
	v_add_co_ci_u32_e32 v20, vcc_lo, 0, v20, vcc_lo
	s_add_u32 s4, s22, -1
	s_addc_u32 s5, s23, -1
	s_mov_b64 s[6:7], 0
	s_mov_b32 s34, 0
                                        ; implicit-def: $sgpr35
	s_set_inst_prefetch_distance 0x1
	s_branch .LBB1683_340
	.p2align	6
.LBB1683_338:                           ;   in Loop: Header=BB1683_340 Depth=1
	global_load_b64 v[21:22], v[19:20], off
	global_load_b64 v[23:24], v[17:18], off
	v_add_co_u32 v17, vcc_lo, v17, 8
	v_add_co_ci_u32_e32 v18, vcc_lo, 0, v18, vcc_lo
	v_add_co_u32 v19, s2, v19, 8
	s_delay_alu instid0(VALU_DEP_1)
	v_add_co_ci_u32_e64 v20, s2, 0, v20, s2
	s_add_u32 s6, s6, 1
	s_addc_u32 s7, s7, 0
	s_and_not1_b32 s2, s35, exec_lo
	s_waitcnt vmcnt(0)
	v_cmp_ne_u64_e32 vcc_lo, v[21:22], v[23:24]
	s_and_b32 s35, vcc_lo, exec_lo
	s_delay_alu instid0(SALU_CYCLE_1)
	s_or_b32 s35, s2, s35
.LBB1683_339:                           ;   in Loop: Header=BB1683_340 Depth=1
	v_dual_mov_b32 v22, s7 :: v_dual_mov_b32 v21, s6
	s_and_b32 s2, exec_lo, s35
	s_delay_alu instid0(SALU_CYCLE_1) | instskip(NEXT) | instid1(SALU_CYCLE_1)
	s_or_b32 s34, s2, s34
	s_and_not1_b32 exec_lo, exec_lo, s34
	s_cbranch_execz .LBB1683_342
.LBB1683_340:                           ; =>This Inner Loop Header: Depth=1
	s_or_b32 s35, s35, exec_lo
	s_cmp_eq_u64 s[4:5], s[6:7]
	s_cbranch_scc0 .LBB1683_338
; %bb.341:                              ;   in Loop: Header=BB1683_340 Depth=1
	s_mov_b64 s[6:7], s[22:23]
                                        ; implicit-def: $vgpr17_vgpr18
                                        ; implicit-def: $vgpr19_vgpr20
	s_branch .LBB1683_339
.LBB1683_342:
	s_set_inst_prefetch_distance 0x2
	s_or_b32 exec_lo, exec_lo, s34
	v_cmp_gt_i64_e32 vcc_lo, s[22:23], v[21:22]
	s_or_not1_b32 s2, vcc_lo, exec_lo
.LBB1683_343:
	s_or_b32 exec_lo, exec_lo, s33
.LBB1683_344:
	s_delay_alu instid0(SALU_CYCLE_1)
	s_and_b32 s2, s2, exec_lo
.LBB1683_345:
	s_or_b32 exec_lo, exec_lo, s31
	v_cndmask_b32_e64 v18, 0, 1, s29
	v_cndmask_b32_e64 v19, 0, 1, s28
	;; [unrolled: 1-line block ×7, first 2 shown]
	v_lshlrev_b16 v19, 8, v19
	v_lshlrev_b16 v20, 8, v20
	;; [unrolled: 1-line block ×4, first 2 shown]
	s_mov_b32 s19, exec_lo
	v_or_b32_e32 v19, v22, v19
	v_or_b32_e32 v20, v23, v20
	;; [unrolled: 1-line block ×4, first 2 shown]
	s_delay_alu instid0(VALU_DEP_4) | instskip(NEXT) | instid1(VALU_DEP_4)
	v_and_b32_e32 v18, 0xffff, v19
	v_lshlrev_b32_e32 v19, 16, v20
	s_delay_alu instid0(VALU_DEP_4) | instskip(NEXT) | instid1(VALU_DEP_4)
	v_and_b32_e32 v20, 0xffff, v21
	v_lshlrev_b32_e32 v17, 16, v17
	s_barrier
	buffer_gl0_inv
	v_or_b32_e32 v18, v18, v19
                                        ; implicit-def: $sgpr2
	v_or_b32_e32 v17, v20, v17
	v_cmpx_ne_u32_e32 0, v0
	s_cbranch_execz .LBB1683_358
; %bb.346:
	s_mov_b32 s2, 0
	s_mov_b32 s26, exec_lo
	v_cmpx_gt_u32_e64 s20, v39
	s_cbranch_execz .LBB1683_357
; %bb.347:
	s_and_not1_b32 vcc_lo, exec_lo, s3
	s_cbranch_vccnz .LBB1683_356
; %bb.348:
	v_add_nc_u32_e32 v19, -8, v39
	v_mul_lo_u32 v26, v13, s23
	v_mad_u64_u32 v[22:23], null, v13, s22, 0
	s_mov_b32 s2, -1
	ds_load_b64 v[19:20], v19
	s_mov_b32 s3, exec_lo
	s_waitcnt lgkmcnt(0)
	v_mul_lo_u32 v24, v20, s22
	v_mul_lo_u32 v25, v19, s23
	v_mad_u64_u32 v[20:21], null, v19, s22, 0
	v_mul_lo_u32 v19, v14, s22
	s_delay_alu instid0(VALU_DEP_2) | instskip(NEXT) | instid1(VALU_DEP_2)
	v_add3_u32 v21, v21, v25, v24
	v_add3_u32 v23, v23, v26, v19
	s_delay_alu instid0(VALU_DEP_2) | instskip(NEXT) | instid1(VALU_DEP_2)
	v_lshlrev_b64 v[19:20], 3, v[20:21]
	v_lshlrev_b64 v[23:24], 3, v[22:23]
	s_delay_alu instid0(VALU_DEP_2) | instskip(NEXT) | instid1(VALU_DEP_3)
	v_add_co_u32 v21, vcc_lo, s8, v19
	v_add_co_ci_u32_e32 v22, vcc_lo, s9, v20, vcc_lo
	s_delay_alu instid0(VALU_DEP_3) | instskip(NEXT) | instid1(VALU_DEP_4)
	v_add_co_u32 v19, vcc_lo, s8, v23
	v_add_co_ci_u32_e32 v20, vcc_lo, s9, v24, vcc_lo
	s_clause 0x1
	global_load_b64 v[23:24], v[21:22], off
	global_load_b64 v[25:26], v[19:20], off
	s_waitcnt vmcnt(0)
	v_cmpx_eq_u64_e64 v[23:24], v[25:26]
	s_cbranch_execz .LBB1683_355
; %bb.349:
	v_add_co_u32 v19, vcc_lo, v19, 8
	v_add_co_ci_u32_e32 v20, vcc_lo, 0, v20, vcc_lo
	v_add_co_u32 v21, vcc_lo, v21, 8
	v_add_co_ci_u32_e32 v22, vcc_lo, 0, v22, vcc_lo
	s_add_u32 s4, s22, -1
	s_addc_u32 s5, s23, -1
	s_mov_b64 s[6:7], 0
	s_mov_b32 s8, 0
                                        ; implicit-def: $sgpr9
	s_set_inst_prefetch_distance 0x1
	s_branch .LBB1683_352
	.p2align	6
.LBB1683_350:                           ;   in Loop: Header=BB1683_352 Depth=1
	global_load_b64 v[23:24], v[21:22], off
	global_load_b64 v[25:26], v[19:20], off
	v_add_co_u32 v19, vcc_lo, v19, 8
	v_add_co_ci_u32_e32 v20, vcc_lo, 0, v20, vcc_lo
	v_add_co_u32 v21, s2, v21, 8
	s_delay_alu instid0(VALU_DEP_1)
	v_add_co_ci_u32_e64 v22, s2, 0, v22, s2
	s_add_u32 s6, s6, 1
	s_addc_u32 s7, s7, 0
	s_and_not1_b32 s2, s9, exec_lo
	s_waitcnt vmcnt(0)
	v_cmp_ne_u64_e32 vcc_lo, v[23:24], v[25:26]
	s_and_b32 s9, vcc_lo, exec_lo
	s_delay_alu instid0(SALU_CYCLE_1)
	s_or_b32 s9, s2, s9
.LBB1683_351:                           ;   in Loop: Header=BB1683_352 Depth=1
	v_dual_mov_b32 v24, s7 :: v_dual_mov_b32 v23, s6
	s_and_b32 s2, exec_lo, s9
	s_delay_alu instid0(SALU_CYCLE_1) | instskip(NEXT) | instid1(SALU_CYCLE_1)
	s_or_b32 s8, s2, s8
	s_and_not1_b32 exec_lo, exec_lo, s8
	s_cbranch_execz .LBB1683_354
.LBB1683_352:                           ; =>This Inner Loop Header: Depth=1
	s_or_b32 s9, s9, exec_lo
	s_cmp_eq_u64 s[4:5], s[6:7]
	s_cbranch_scc0 .LBB1683_350
; %bb.353:                              ;   in Loop: Header=BB1683_352 Depth=1
	s_mov_b64 s[6:7], s[22:23]
                                        ; implicit-def: $vgpr19_vgpr20
                                        ; implicit-def: $vgpr21_vgpr22
	s_branch .LBB1683_351
.LBB1683_354:
	s_set_inst_prefetch_distance 0x2
	s_or_b32 exec_lo, exec_lo, s8
	v_cmp_gt_i64_e32 vcc_lo, s[22:23], v[23:24]
	s_or_not1_b32 s2, vcc_lo, exec_lo
.LBB1683_355:
	s_or_b32 exec_lo, exec_lo, s3
.LBB1683_356:
	s_delay_alu instid0(SALU_CYCLE_1)
	s_and_b32 s2, s2, exec_lo
.LBB1683_357:
	s_or_b32 exec_lo, exec_lo, s26
	s_delay_alu instid0(SALU_CYCLE_1)
	s_and_b32 s2, s2, exec_lo
	s_or_b32 s18, s18, exec_lo
.LBB1683_358:
	s_or_b32 exec_lo, exec_lo, s19
.LBB1683_359:
	s_and_saveexec_b32 s3, s18
	s_cbranch_execz .LBB1683_361
; %bb.360:
	s_waitcnt lgkmcnt(0)
	v_and_b32_e32 v19, 0xffffff00, v17
	v_cndmask_b32_e64 v20, 0, 1, s2
	s_delay_alu instid0(VALU_DEP_1) | instskip(NEXT) | instid1(VALU_DEP_1)
	v_or_b32_e32 v19, v20, v19
	v_and_b32_e32 v19, 0xffff, v19
	s_delay_alu instid0(VALU_DEP_1)
	v_and_or_b32 v17, 0xffff0000, v17, v19
.LBB1683_361:
	s_or_b32 exec_lo, exec_lo, s3
	s_delay_alu instid0(SALU_CYCLE_1)
	s_and_not1_b32 vcc_lo, exec_lo, s24
	s_cbranch_vccnz .LBB1683_363
; %bb.362:
	v_cmp_gt_u32_e32 vcc_lo, s20, v39
	s_waitcnt lgkmcnt(0)
	v_or_b32_e32 v20, 1, v39
	v_and_b32_e32 v21, 0xffffff00, v18
	v_or_b32_e32 v22, 2, v39
	v_cndmask_b32_e32 v19, 0, v17, vcc_lo
	s_delay_alu instid0(VALU_DEP_4) | instskip(SKIP_1) | instid1(VALU_DEP_4)
	v_cmp_gt_u32_e32 vcc_lo, s20, v20
	v_or_b32_e32 v20, 4, v39
	v_cmp_gt_u32_e64 s2, s20, v22
	v_or_b32_e32 v22, 3, v39
	v_and_b32_e32 v19, 0xff, v19
	s_delay_alu instid0(VALU_DEP_2) | instskip(NEXT) | instid1(VALU_DEP_2)
	v_cmp_gt_u32_e64 s3, s20, v22
	v_cndmask_b32_e32 v19, v19, v17, vcc_lo
	v_cmp_gt_u32_e32 vcc_lo, s20, v20
	v_cndmask_b32_e32 v20, v21, v18, vcc_lo
	v_or_b32_e32 v21, 5, v39
	s_delay_alu instid0(VALU_DEP_2) | instskip(SKIP_1) | instid1(VALU_DEP_1)
	v_and_b32_e32 v20, 0xffff00ff, v20
	v_and_b32_e32 v19, 0xffff, v19
	v_cndmask_b32_e64 v19, v19, v17, s2
	s_delay_alu instid0(VALU_DEP_4) | instskip(SKIP_1) | instid1(VALU_DEP_3)
	v_cmp_gt_u32_e64 s2, s20, v21
	v_or_b32_e32 v21, 6, v39
	v_and_b32_e32 v19, 0xffffff, v19
	s_delay_alu instid0(VALU_DEP_3) | instskip(NEXT) | instid1(VALU_DEP_2)
	v_cndmask_b32_e64 v20, v20, v18, s2
	v_cndmask_b32_e64 v19, v19, v17, s3
	s_delay_alu instid0(VALU_DEP_1) | instskip(SKIP_2) | instid1(VALU_DEP_3)
	v_dual_cndmask_b32 v19, v19, v17 :: v_dual_and_b32 v20, 0xff00ffff, v20
	v_cmp_gt_u32_e32 vcc_lo, s20, v21
	v_or_b32_e32 v21, 7, v39
	v_cndmask_b32_e64 v19, v19, v17, s2
	s_delay_alu instid0(VALU_DEP_1) | instskip(NEXT) | instid1(VALU_DEP_1)
	v_dual_cndmask_b32 v20, v20, v18 :: v_dual_cndmask_b32 v19, v19, v17
	v_and_b32_e32 v20, 0xffffff, v20
	s_delay_alu instid0(VALU_DEP_4) | instskip(NEXT) | instid1(VALU_DEP_2)
	v_cmp_gt_u32_e32 vcc_lo, s20, v21
	v_dual_cndmask_b32 v18, v20, v18 :: v_dual_cndmask_b32 v17, v19, v17
.LBB1683_363:
	s_delay_alu instid0(VALU_DEP_1) | instskip(SKIP_1) | instid1(VALU_DEP_2)
	v_and_b32_e32 v26, 0xff, v17
	s_waitcnt lgkmcnt(0)
	v_alignbit_b32 v19, v18, v17, 24
	v_bfe_u32 v28, v17, 8, 8
	v_bfe_u32 v30, v17, 16, 8
	v_and_b32_e32 v34, 0xff, v18
	v_bfe_u32 v36, v18, 8, 8
	v_and_b32_e32 v32, 0xff, v19
	v_add_nc_u32_e32 v19, v28, v26
	v_mbcnt_lo_u32_b32 v41, -1, 0
	v_bfe_u32 v38, v18, 16, 8
	v_lshrrev_b32_e32 v40, 24, v18
	v_lshrrev_b32_e32 v42, 5, v0
	v_add3_u32 v19, v19, v30, v32
	v_and_b32_e32 v20, 15, v41
	v_and_b32_e32 v21, 16, v41
	s_and_b32 vcc_lo, exec_lo, s25
	s_mov_b32 s18, -1
	v_add3_u32 v19, v19, v34, v36
	v_cmp_eq_u32_e64 s4, 0, v20
	v_cmp_lt_u32_e64 s2, 1, v20
	v_cmp_lt_u32_e64 s5, 3, v20
	;; [unrolled: 1-line block ×3, first 2 shown]
	v_add3_u32 v43, v19, v38, v40
	v_or_b32_e32 v19, 31, v0
	v_cmp_eq_u32_e64 s7, 0, v21
	s_barrier
	buffer_gl0_inv
	v_cmp_eq_u32_e64 s6, v19, v0
	s_cbranch_vccz .LBB1683_394
; %bb.364:
	v_mov_b32_dpp v19, v43 row_shr:1 row_mask:0xf bank_mask:0xf
	s_delay_alu instid0(VALU_DEP_1) | instskip(NEXT) | instid1(VALU_DEP_1)
	v_cndmask_b32_e64 v19, v19, 0, s4
	v_add_nc_u32_e32 v19, v19, v43
	s_delay_alu instid0(VALU_DEP_1) | instskip(NEXT) | instid1(VALU_DEP_1)
	v_mov_b32_dpp v20, v19 row_shr:2 row_mask:0xf bank_mask:0xf
	v_cndmask_b32_e64 v20, 0, v20, s2
	s_delay_alu instid0(VALU_DEP_1) | instskip(NEXT) | instid1(VALU_DEP_1)
	v_add_nc_u32_e32 v19, v19, v20
	v_mov_b32_dpp v20, v19 row_shr:4 row_mask:0xf bank_mask:0xf
	s_delay_alu instid0(VALU_DEP_1) | instskip(NEXT) | instid1(VALU_DEP_1)
	v_cndmask_b32_e64 v20, 0, v20, s5
	v_add_nc_u32_e32 v19, v19, v20
	s_delay_alu instid0(VALU_DEP_1) | instskip(NEXT) | instid1(VALU_DEP_1)
	v_mov_b32_dpp v20, v19 row_shr:8 row_mask:0xf bank_mask:0xf
	v_cndmask_b32_e64 v20, 0, v20, s3
	s_delay_alu instid0(VALU_DEP_1) | instskip(SKIP_3) | instid1(VALU_DEP_1)
	v_add_nc_u32_e32 v19, v19, v20
	ds_swizzle_b32 v20, v19 offset:swizzle(BROADCAST,32,15)
	s_waitcnt lgkmcnt(0)
	v_cndmask_b32_e64 v20, v20, 0, s7
	v_add_nc_u32_e32 v19, v19, v20
	s_and_saveexec_b32 s8, s6
	s_cbranch_execz .LBB1683_366
; %bb.365:
	v_lshlrev_b32_e32 v20, 2, v42
	ds_store_b32 v20, v19
.LBB1683_366:
	s_or_b32 exec_lo, exec_lo, s8
	s_delay_alu instid0(SALU_CYCLE_1)
	s_mov_b32 s8, exec_lo
	s_waitcnt lgkmcnt(0)
	s_barrier
	buffer_gl0_inv
	v_cmpx_gt_u32_e32 16, v0
	s_cbranch_execz .LBB1683_368
; %bb.367:
	v_lshlrev_b32_e32 v20, 2, v0
	ds_load_b32 v21, v20
	s_waitcnt lgkmcnt(0)
	v_mov_b32_dpp v22, v21 row_shr:1 row_mask:0xf bank_mask:0xf
	s_delay_alu instid0(VALU_DEP_1) | instskip(NEXT) | instid1(VALU_DEP_1)
	v_cndmask_b32_e64 v22, v22, 0, s4
	v_add_nc_u32_e32 v21, v22, v21
	s_delay_alu instid0(VALU_DEP_1) | instskip(NEXT) | instid1(VALU_DEP_1)
	v_mov_b32_dpp v22, v21 row_shr:2 row_mask:0xf bank_mask:0xf
	v_cndmask_b32_e64 v22, 0, v22, s2
	s_delay_alu instid0(VALU_DEP_1) | instskip(NEXT) | instid1(VALU_DEP_1)
	v_add_nc_u32_e32 v21, v21, v22
	v_mov_b32_dpp v22, v21 row_shr:4 row_mask:0xf bank_mask:0xf
	s_delay_alu instid0(VALU_DEP_1) | instskip(NEXT) | instid1(VALU_DEP_1)
	v_cndmask_b32_e64 v22, 0, v22, s5
	v_add_nc_u32_e32 v21, v21, v22
	s_delay_alu instid0(VALU_DEP_1) | instskip(NEXT) | instid1(VALU_DEP_1)
	v_mov_b32_dpp v22, v21 row_shr:8 row_mask:0xf bank_mask:0xf
	v_cndmask_b32_e64 v22, 0, v22, s3
	s_delay_alu instid0(VALU_DEP_1)
	v_add_nc_u32_e32 v21, v21, v22
	ds_store_b32 v20, v21
.LBB1683_368:
	s_or_b32 exec_lo, exec_lo, s8
	v_cmp_gt_u32_e32 vcc_lo, 32, v0
	s_mov_b32 s9, exec_lo
	s_waitcnt lgkmcnt(0)
	s_barrier
	buffer_gl0_inv
                                        ; implicit-def: $vgpr27
	v_cmpx_lt_u32_e32 31, v0
	s_cbranch_execz .LBB1683_370
; %bb.369:
	v_lshl_add_u32 v20, v42, 2, -4
	ds_load_b32 v27, v20
	s_waitcnt lgkmcnt(0)
	v_add_nc_u32_e32 v19, v27, v19
.LBB1683_370:
	s_or_b32 exec_lo, exec_lo, s9
	v_add_nc_u32_e32 v20, -1, v41
	s_delay_alu instid0(VALU_DEP_1) | instskip(NEXT) | instid1(VALU_DEP_1)
	v_cmp_gt_i32_e64 s8, 0, v20
	v_cndmask_b32_e64 v20, v20, v41, s8
	v_cmp_eq_u32_e64 s8, 0, v41
	s_delay_alu instid0(VALU_DEP_2)
	v_lshlrev_b32_e32 v20, 2, v20
	ds_bpermute_b32 v29, v20, v19
	s_and_saveexec_b32 s9, vcc_lo
	s_cbranch_execz .LBB1683_393
; %bb.371:
	v_mov_b32_e32 v22, 0
	ds_load_b32 v19, v22 offset:60
	s_and_saveexec_b32 s18, s8
	s_cbranch_execz .LBB1683_373
; %bb.372:
	s_add_i32 s22, s15, 32
	s_mov_b32 s23, 0
	v_mov_b32_e32 v20, 1
	s_lshl_b64 s[22:23], s[22:23], 3
	s_delay_alu instid0(SALU_CYCLE_1)
	s_add_u32 s22, s10, s22
	s_addc_u32 s23, s11, s23
	s_waitcnt lgkmcnt(0)
	global_store_b64 v22, v[19:20], s[22:23]
.LBB1683_373:
	s_or_b32 exec_lo, exec_lo, s18
	v_xad_u32 v20, v41, -1, s15
	s_mov_b32 s19, 0
	s_mov_b32 s18, exec_lo
	s_delay_alu instid0(VALU_DEP_1) | instskip(NEXT) | instid1(VALU_DEP_1)
	v_add_nc_u32_e32 v21, 32, v20
	v_lshlrev_b64 v[21:22], 3, v[21:22]
	s_delay_alu instid0(VALU_DEP_1) | instskip(NEXT) | instid1(VALU_DEP_2)
	v_add_co_u32 v24, vcc_lo, s10, v21
	v_add_co_ci_u32_e32 v25, vcc_lo, s11, v22, vcc_lo
	global_load_b64 v[22:23], v[24:25], off glc
	s_waitcnt vmcnt(0)
	v_and_b32_e32 v21, 0xff, v23
	s_delay_alu instid0(VALU_DEP_1)
	v_cmpx_eq_u16_e32 0, v21
	s_cbranch_execz .LBB1683_379
; %bb.374:
	s_mov_b32 s20, 1
	.p2align	6
.LBB1683_375:                           ; =>This Loop Header: Depth=1
                                        ;     Child Loop BB1683_376 Depth 2
	s_delay_alu instid0(SALU_CYCLE_1)
	s_max_u32 s22, s20, 1
.LBB1683_376:                           ;   Parent Loop BB1683_375 Depth=1
                                        ; =>  This Inner Loop Header: Depth=2
	s_delay_alu instid0(SALU_CYCLE_1)
	s_add_i32 s22, s22, -1
	s_sleep 1
	s_cmp_eq_u32 s22, 0
	s_cbranch_scc0 .LBB1683_376
; %bb.377:                              ;   in Loop: Header=BB1683_375 Depth=1
	global_load_b64 v[22:23], v[24:25], off glc
	s_cmp_lt_u32 s20, 32
	s_cselect_b32 s22, -1, 0
	s_delay_alu instid0(SALU_CYCLE_1) | instskip(SKIP_3) | instid1(VALU_DEP_1)
	s_cmp_lg_u32 s22, 0
	s_addc_u32 s20, s20, 0
	s_waitcnt vmcnt(0)
	v_and_b32_e32 v21, 0xff, v23
	v_cmp_ne_u16_e32 vcc_lo, 0, v21
	s_or_b32 s19, vcc_lo, s19
	s_delay_alu instid0(SALU_CYCLE_1)
	s_and_not1_b32 exec_lo, exec_lo, s19
	s_cbranch_execnz .LBB1683_375
; %bb.378:
	s_or_b32 exec_lo, exec_lo, s19
.LBB1683_379:
	s_delay_alu instid0(SALU_CYCLE_1)
	s_or_b32 exec_lo, exec_lo, s18
	v_cmp_ne_u32_e32 vcc_lo, 31, v41
	v_lshlrev_b32_e64 v33, v41, -1
	v_add_nc_u32_e32 v37, 2, v41
	v_add_nc_u32_e32 v46, 4, v41
	;; [unrolled: 1-line block ×3, first 2 shown]
	v_add_co_ci_u32_e32 v21, vcc_lo, 0, v41, vcc_lo
	v_add_nc_u32_e32 v50, 16, v41
	s_delay_alu instid0(VALU_DEP_2)
	v_lshlrev_b32_e32 v31, 2, v21
	v_and_b32_e32 v21, 0xff, v23
	ds_bpermute_b32 v24, v31, v22
	v_cmp_eq_u16_e32 vcc_lo, 2, v21
	v_and_or_b32 v21, vcc_lo, v33, 0x80000000
	v_cmp_gt_u32_e32 vcc_lo, 30, v41
	s_delay_alu instid0(VALU_DEP_2) | instskip(SKIP_1) | instid1(VALU_DEP_2)
	v_ctz_i32_b32_e32 v21, v21
	v_cndmask_b32_e64 v25, 0, 1, vcc_lo
	v_cmp_lt_u32_e32 vcc_lo, v41, v21
	s_waitcnt lgkmcnt(0)
	s_delay_alu instid0(VALU_DEP_2) | instskip(NEXT) | instid1(VALU_DEP_1)
	v_dual_cndmask_b32 v24, 0, v24 :: v_dual_lshlrev_b32 v25, 1, v25
	v_add_lshl_u32 v35, v25, v41, 2
	v_cmp_gt_u32_e32 vcc_lo, 28, v41
	s_delay_alu instid0(VALU_DEP_3) | instskip(SKIP_4) | instid1(VALU_DEP_1)
	v_add_nc_u32_e32 v22, v24, v22
	v_cndmask_b32_e64 v25, 0, 1, vcc_lo
	v_cmp_le_u32_e32 vcc_lo, v37, v21
	ds_bpermute_b32 v24, v35, v22
	v_lshlrev_b32_e32 v25, 2, v25
	v_add_lshl_u32 v44, v25, v41, 2
	s_waitcnt lgkmcnt(0)
	v_cndmask_b32_e32 v24, 0, v24, vcc_lo
	v_cmp_gt_u32_e32 vcc_lo, 24, v41
	s_delay_alu instid0(VALU_DEP_2) | instskip(SKIP_4) | instid1(VALU_DEP_1)
	v_add_nc_u32_e32 v22, v22, v24
	v_cndmask_b32_e64 v25, 0, 1, vcc_lo
	v_cmp_le_u32_e32 vcc_lo, v46, v21
	ds_bpermute_b32 v24, v44, v22
	v_lshlrev_b32_e32 v25, 3, v25
	v_add_lshl_u32 v47, v25, v41, 2
	s_waitcnt lgkmcnt(0)
	v_cndmask_b32_e32 v24, 0, v24, vcc_lo
	v_cmp_gt_u32_e32 vcc_lo, 16, v41
	s_delay_alu instid0(VALU_DEP_2) | instskip(SKIP_4) | instid1(VALU_DEP_1)
	v_add_nc_u32_e32 v22, v22, v24
	v_cndmask_b32_e64 v25, 0, 1, vcc_lo
	v_cmp_le_u32_e32 vcc_lo, v48, v21
	ds_bpermute_b32 v24, v47, v22
	v_lshlrev_b32_e32 v25, 4, v25
	v_add_lshl_u32 v49, v25, v41, 2
	s_waitcnt lgkmcnt(0)
	v_cndmask_b32_e32 v24, 0, v24, vcc_lo
	v_cmp_le_u32_e32 vcc_lo, v50, v21
	s_delay_alu instid0(VALU_DEP_2) | instskip(SKIP_3) | instid1(VALU_DEP_1)
	v_add_nc_u32_e32 v22, v22, v24
	ds_bpermute_b32 v24, v49, v22
	s_waitcnt lgkmcnt(0)
	v_cndmask_b32_e32 v21, 0, v24, vcc_lo
	v_dual_mov_b32 v21, 0 :: v_dual_add_nc_u32 v22, v22, v21
	s_branch .LBB1683_381
.LBB1683_380:                           ;   in Loop: Header=BB1683_381 Depth=1
	s_or_b32 exec_lo, exec_lo, s18
	ds_bpermute_b32 v25, v31, v22
	v_and_b32_e32 v24, 0xff, v23
	v_subrev_nc_u32_e32 v20, 32, v20
	s_delay_alu instid0(VALU_DEP_2) | instskip(SKIP_1) | instid1(VALU_DEP_1)
	v_cmp_eq_u16_e32 vcc_lo, 2, v24
	v_and_or_b32 v24, vcc_lo, v33, 0x80000000
	v_ctz_i32_b32_e32 v24, v24
	s_delay_alu instid0(VALU_DEP_1) | instskip(SKIP_3) | instid1(VALU_DEP_2)
	v_cmp_lt_u32_e32 vcc_lo, v41, v24
	s_waitcnt lgkmcnt(0)
	v_cndmask_b32_e32 v25, 0, v25, vcc_lo
	v_cmp_le_u32_e32 vcc_lo, v37, v24
	v_add_nc_u32_e32 v22, v25, v22
	ds_bpermute_b32 v25, v35, v22
	s_waitcnt lgkmcnt(0)
	v_cndmask_b32_e32 v25, 0, v25, vcc_lo
	v_cmp_le_u32_e32 vcc_lo, v46, v24
	s_delay_alu instid0(VALU_DEP_2) | instskip(SKIP_4) | instid1(VALU_DEP_2)
	v_add_nc_u32_e32 v22, v22, v25
	ds_bpermute_b32 v25, v44, v22
	s_waitcnt lgkmcnt(0)
	v_cndmask_b32_e32 v25, 0, v25, vcc_lo
	v_cmp_le_u32_e32 vcc_lo, v48, v24
	v_add_nc_u32_e32 v22, v22, v25
	ds_bpermute_b32 v25, v47, v22
	s_waitcnt lgkmcnt(0)
	v_cndmask_b32_e32 v25, 0, v25, vcc_lo
	v_cmp_le_u32_e32 vcc_lo, v50, v24
	s_delay_alu instid0(VALU_DEP_2) | instskip(SKIP_3) | instid1(VALU_DEP_1)
	v_add_nc_u32_e32 v22, v22, v25
	ds_bpermute_b32 v25, v49, v22
	s_waitcnt lgkmcnt(0)
	v_cndmask_b32_e32 v24, 0, v25, vcc_lo
	v_add3_u32 v22, v24, v45, v22
.LBB1683_381:                           ; =>This Loop Header: Depth=1
                                        ;     Child Loop BB1683_384 Depth 2
                                        ;       Child Loop BB1683_385 Depth 3
	v_and_b32_e32 v23, 0xff, v23
	s_delay_alu instid0(VALU_DEP_2) | instskip(NEXT) | instid1(VALU_DEP_2)
	v_mov_b32_e32 v45, v22
	v_cmp_ne_u16_e32 vcc_lo, 2, v23
	v_cndmask_b32_e64 v23, 0, 1, vcc_lo
	;;#ASMSTART
	;;#ASMEND
	s_delay_alu instid0(VALU_DEP_1)
	v_cmp_ne_u32_e32 vcc_lo, 0, v23
	s_cmp_lg_u32 vcc_lo, exec_lo
	s_cbranch_scc1 .LBB1683_388
; %bb.382:                              ;   in Loop: Header=BB1683_381 Depth=1
	v_lshlrev_b64 v[22:23], 3, v[20:21]
	s_mov_b32 s18, exec_lo
	s_delay_alu instid0(VALU_DEP_1) | instskip(NEXT) | instid1(VALU_DEP_2)
	v_add_co_u32 v24, vcc_lo, s10, v22
	v_add_co_ci_u32_e32 v25, vcc_lo, s11, v23, vcc_lo
	global_load_b64 v[22:23], v[24:25], off glc
	s_waitcnt vmcnt(0)
	v_and_b32_e32 v51, 0xff, v23
	s_delay_alu instid0(VALU_DEP_1)
	v_cmpx_eq_u16_e32 0, v51
	s_cbranch_execz .LBB1683_380
; %bb.383:                              ;   in Loop: Header=BB1683_381 Depth=1
	s_mov_b32 s20, 1
	s_mov_b32 s19, 0
	.p2align	6
.LBB1683_384:                           ;   Parent Loop BB1683_381 Depth=1
                                        ; =>  This Loop Header: Depth=2
                                        ;       Child Loop BB1683_385 Depth 3
	s_max_u32 s22, s20, 1
.LBB1683_385:                           ;   Parent Loop BB1683_381 Depth=1
                                        ;     Parent Loop BB1683_384 Depth=2
                                        ; =>    This Inner Loop Header: Depth=3
	s_delay_alu instid0(SALU_CYCLE_1)
	s_add_i32 s22, s22, -1
	s_sleep 1
	s_cmp_eq_u32 s22, 0
	s_cbranch_scc0 .LBB1683_385
; %bb.386:                              ;   in Loop: Header=BB1683_384 Depth=2
	global_load_b64 v[22:23], v[24:25], off glc
	s_cmp_lt_u32 s20, 32
	s_cselect_b32 s22, -1, 0
	s_delay_alu instid0(SALU_CYCLE_1) | instskip(SKIP_3) | instid1(VALU_DEP_1)
	s_cmp_lg_u32 s22, 0
	s_addc_u32 s20, s20, 0
	s_waitcnt vmcnt(0)
	v_and_b32_e32 v51, 0xff, v23
	v_cmp_ne_u16_e32 vcc_lo, 0, v51
	s_or_b32 s19, vcc_lo, s19
	s_delay_alu instid0(SALU_CYCLE_1)
	s_and_not1_b32 exec_lo, exec_lo, s19
	s_cbranch_execnz .LBB1683_384
; %bb.387:                              ;   in Loop: Header=BB1683_381 Depth=1
	s_or_b32 exec_lo, exec_lo, s19
	s_branch .LBB1683_380
.LBB1683_388:                           ;   in Loop: Header=BB1683_381 Depth=1
                                        ; implicit-def: $vgpr22
                                        ; implicit-def: $vgpr23
	s_cbranch_execz .LBB1683_381
; %bb.389:
	s_and_saveexec_b32 s18, s8
	s_cbranch_execz .LBB1683_391
; %bb.390:
	s_add_i32 s22, s15, 32
	s_mov_b32 s23, 0
	v_dual_mov_b32 v21, 2 :: v_dual_add_nc_u32 v20, v45, v19
	s_lshl_b64 s[22:23], s[22:23], 3
	v_mov_b32_e32 v22, 0
	v_add_nc_u32_e64 v23, 0x8400, 0
	s_add_u32 s22, s10, s22
	s_addc_u32 s23, s11, s23
	global_store_b64 v22, v[20:21], s[22:23]
	ds_store_2addr_b32 v23, v19, v45 offset1:2
.LBB1683_391:
	s_or_b32 exec_lo, exec_lo, s18
	v_cmp_eq_u32_e32 vcc_lo, 0, v0
	s_and_b32 exec_lo, exec_lo, vcc_lo
	s_cbranch_execz .LBB1683_393
; %bb.392:
	v_mov_b32_e32 v19, 0
	ds_store_b32 v19, v45 offset:60
.LBB1683_393:
	s_or_b32 exec_lo, exec_lo, s9
	s_waitcnt lgkmcnt(0)
	v_cndmask_b32_e64 v20, v29, v27, s8
	v_cmp_ne_u32_e32 vcc_lo, 0, v0
	v_mov_b32_e32 v19, 0
	s_waitcnt_vscnt null, 0x0
	s_barrier
	buffer_gl0_inv
	v_cndmask_b32_e32 v20, 0, v20, vcc_lo
	ds_load_b32 v19, v19 offset:60
	s_waitcnt lgkmcnt(0)
	s_barrier
	buffer_gl0_inv
	v_add_nc_u32_e32 v37, v19, v20
	v_add_nc_u32_e64 v19, 0x8400, 0
	s_delay_alu instid0(VALU_DEP_2) | instskip(SKIP_2) | instid1(VALU_DEP_1)
	v_add_nc_u32_e32 v35, v37, v26
	ds_load_2addr_b32 v[19:20], v19 offset1:2
	v_add_nc_u32_e32 v33, v35, v28
	v_add_nc_u32_e32 v31, v33, v30
	s_delay_alu instid0(VALU_DEP_1) | instskip(NEXT) | instid1(VALU_DEP_1)
	v_add_nc_u32_e32 v29, v31, v32
	v_add_nc_u32_e32 v27, v29, v34
	s_delay_alu instid0(VALU_DEP_1) | instskip(NEXT) | instid1(VALU_DEP_1)
	v_add_nc_u32_e32 v25, v27, v36
	v_add_nc_u32_e32 v23, v25, v38
	s_load_b64 s[8:9], s[0:1], 0x28
	v_lshrrev_b64 v[21:22], 24, v[17:18]
	s_branch .LBB1683_404
.LBB1683_394:
                                        ; implicit-def: $vgpr23
                                        ; implicit-def: $vgpr25
                                        ; implicit-def: $vgpr27
                                        ; implicit-def: $vgpr29
                                        ; implicit-def: $vgpr31
                                        ; implicit-def: $vgpr33
                                        ; implicit-def: $vgpr35
                                        ; implicit-def: $vgpr37
                                        ; implicit-def: $vgpr20
	s_load_b64 s[8:9], s[0:1], 0x28
	v_lshrrev_b64 v[21:22], 24, v[17:18]
	s_and_b32 vcc_lo, exec_lo, s18
	s_cbranch_vccz .LBB1683_404
; %bb.395:
	s_waitcnt lgkmcnt(0)
	v_mov_b32_dpp v19, v43 row_shr:1 row_mask:0xf bank_mask:0xf
	s_delay_alu instid0(VALU_DEP_1) | instskip(NEXT) | instid1(VALU_DEP_1)
	v_cndmask_b32_e64 v19, v19, 0, s4
	v_add_nc_u32_e32 v19, v19, v43
	s_delay_alu instid0(VALU_DEP_1) | instskip(NEXT) | instid1(VALU_DEP_1)
	v_mov_b32_dpp v20, v19 row_shr:2 row_mask:0xf bank_mask:0xf
	v_cndmask_b32_e64 v20, 0, v20, s2
	s_delay_alu instid0(VALU_DEP_1) | instskip(NEXT) | instid1(VALU_DEP_1)
	v_add_nc_u32_e32 v19, v19, v20
	v_mov_b32_dpp v20, v19 row_shr:4 row_mask:0xf bank_mask:0xf
	s_delay_alu instid0(VALU_DEP_1) | instskip(NEXT) | instid1(VALU_DEP_1)
	v_cndmask_b32_e64 v20, 0, v20, s5
	v_add_nc_u32_e32 v19, v19, v20
	s_delay_alu instid0(VALU_DEP_1) | instskip(NEXT) | instid1(VALU_DEP_1)
	v_mov_b32_dpp v20, v19 row_shr:8 row_mask:0xf bank_mask:0xf
	v_cndmask_b32_e64 v20, 0, v20, s3
	s_delay_alu instid0(VALU_DEP_1) | instskip(SKIP_3) | instid1(VALU_DEP_1)
	v_add_nc_u32_e32 v19, v19, v20
	ds_swizzle_b32 v20, v19 offset:swizzle(BROADCAST,32,15)
	s_waitcnt lgkmcnt(0)
	v_cndmask_b32_e64 v20, v20, 0, s7
	v_add_nc_u32_e32 v19, v19, v20
	s_and_saveexec_b32 s0, s6
	s_cbranch_execz .LBB1683_397
; %bb.396:
	v_lshlrev_b32_e32 v20, 2, v42
	ds_store_b32 v20, v19
.LBB1683_397:
	s_or_b32 exec_lo, exec_lo, s0
	s_delay_alu instid0(SALU_CYCLE_1)
	s_mov_b32 s0, exec_lo
	s_waitcnt lgkmcnt(0)
	s_barrier
	buffer_gl0_inv
	v_cmpx_gt_u32_e32 16, v0
	s_cbranch_execz .LBB1683_399
; %bb.398:
	v_lshlrev_b32_e32 v20, 2, v0
	ds_load_b32 v22, v20
	s_waitcnt lgkmcnt(0)
	v_mov_b32_dpp v23, v22 row_shr:1 row_mask:0xf bank_mask:0xf
	s_delay_alu instid0(VALU_DEP_1) | instskip(NEXT) | instid1(VALU_DEP_1)
	v_cndmask_b32_e64 v23, v23, 0, s4
	v_add_nc_u32_e32 v22, v23, v22
	s_delay_alu instid0(VALU_DEP_1) | instskip(NEXT) | instid1(VALU_DEP_1)
	v_mov_b32_dpp v23, v22 row_shr:2 row_mask:0xf bank_mask:0xf
	v_cndmask_b32_e64 v23, 0, v23, s2
	s_delay_alu instid0(VALU_DEP_1) | instskip(NEXT) | instid1(VALU_DEP_1)
	v_add_nc_u32_e32 v22, v22, v23
	v_mov_b32_dpp v23, v22 row_shr:4 row_mask:0xf bank_mask:0xf
	s_delay_alu instid0(VALU_DEP_1) | instskip(NEXT) | instid1(VALU_DEP_1)
	v_cndmask_b32_e64 v23, 0, v23, s5
	v_add_nc_u32_e32 v22, v22, v23
	s_delay_alu instid0(VALU_DEP_1) | instskip(NEXT) | instid1(VALU_DEP_1)
	v_mov_b32_dpp v23, v22 row_shr:8 row_mask:0xf bank_mask:0xf
	v_cndmask_b32_e64 v23, 0, v23, s3
	s_delay_alu instid0(VALU_DEP_1)
	v_add_nc_u32_e32 v22, v22, v23
	ds_store_b32 v20, v22
.LBB1683_399:
	s_or_b32 exec_lo, exec_lo, s0
	v_mov_b32_e32 v20, 0
	v_mov_b32_e32 v22, 0
	s_mov_b32 s0, exec_lo
	s_waitcnt lgkmcnt(0)
	s_barrier
	buffer_gl0_inv
	v_cmpx_lt_u32_e32 31, v0
	s_cbranch_execz .LBB1683_401
; %bb.400:
	v_lshl_add_u32 v22, v42, 2, -4
	ds_load_b32 v22, v22
.LBB1683_401:
	s_or_b32 exec_lo, exec_lo, s0
	v_add_nc_u32_e32 v23, -1, v41
	s_waitcnt lgkmcnt(0)
	v_add_nc_u32_e32 v19, v22, v19
	s_delay_alu instid0(VALU_DEP_2) | instskip(SKIP_2) | instid1(VALU_DEP_2)
	v_cmp_gt_i32_e32 vcc_lo, 0, v23
	v_cndmask_b32_e32 v23, v23, v41, vcc_lo
	v_cmp_eq_u32_e32 vcc_lo, 0, v0
	v_lshlrev_b32_e32 v23, 2, v23
	ds_bpermute_b32 v23, v23, v19
	ds_load_b32 v19, v20 offset:60
	s_and_saveexec_b32 s0, vcc_lo
	s_cbranch_execz .LBB1683_403
; %bb.402:
	v_mov_b32_e32 v24, 0
	v_mov_b32_e32 v20, 2
	s_waitcnt lgkmcnt(0)
	global_store_b64 v24, v[19:20], s[10:11] offset:256
.LBB1683_403:
	s_or_b32 exec_lo, exec_lo, s0
	v_cmp_eq_u32_e64 s0, 0, v41
	s_waitcnt lgkmcnt(0)
	s_waitcnt_vscnt null, 0x0
	s_barrier
	buffer_gl0_inv
	v_cndmask_b32_e64 v20, v23, v22, s0
	s_delay_alu instid0(VALU_DEP_1) | instskip(NEXT) | instid1(VALU_DEP_1)
	v_cndmask_b32_e64 v37, v20, 0, vcc_lo
	v_dual_mov_b32 v20, 0 :: v_dual_add_nc_u32 v35, v37, v26
	s_delay_alu instid0(VALU_DEP_1) | instskip(NEXT) | instid1(VALU_DEP_1)
	v_add_nc_u32_e32 v33, v35, v28
	v_add_nc_u32_e32 v31, v33, v30
	s_delay_alu instid0(VALU_DEP_1) | instskip(NEXT) | instid1(VALU_DEP_1)
	v_add_nc_u32_e32 v29, v31, v32
	v_add_nc_u32_e32 v27, v29, v34
	;; [unrolled: 3-line block ×3, first 2 shown]
.LBB1683_404:
	s_waitcnt lgkmcnt(0)
	v_cmp_gt_u32_e32 vcc_lo, 0x201, v19
	v_lshrrev_b32_e32 v43, 8, v17
	v_lshrrev_b32_e32 v42, 16, v17
	;; [unrolled: 1-line block ×4, first 2 shown]
	s_mov_b32 s0, -1
	s_cbranch_vccnz .LBB1683_408
; %bb.405:
	s_and_b32 vcc_lo, exec_lo, s0
	s_cbranch_vccnz .LBB1683_433
.LBB1683_406:
	v_cmp_eq_u32_e32 vcc_lo, 0, v0
	s_and_b32 s0, vcc_lo, s14
	s_delay_alu instid0(SALU_CYCLE_1)
	s_and_saveexec_b32 s1, s0
	s_cbranch_execnz .LBB1683_453
.LBB1683_407:
	s_nop 0
	s_sendmsg sendmsg(MSG_DEALLOC_VGPRS)
	s_endpgm
.LBB1683_408:
	v_add_nc_u32_e32 v24, v20, v19
	s_delay_alu instid0(VALU_DEP_1) | instskip(SKIP_1) | instid1(SALU_CYCLE_1)
	v_cmp_lt_u32_e32 vcc_lo, v37, v24
	s_or_b32 s1, s21, vcc_lo
	s_and_saveexec_b32 s0, s1
	s_cbranch_execz .LBB1683_411
; %bb.409:
	v_and_b32_e32 v26, 1, v17
	s_delay_alu instid0(VALU_DEP_1)
	v_cmp_eq_u32_e32 vcc_lo, 1, v26
	s_and_b32 exec_lo, exec_lo, vcc_lo
	s_cbranch_execz .LBB1683_411
; %bb.410:
	v_mov_b32_e32 v38, 0
	s_lshl_b64 s[2:3], s[12:13], 3
	s_delay_alu instid0(SALU_CYCLE_1) | instskip(SKIP_1) | instid1(VALU_DEP_1)
	s_add_u32 s1, s8, s2
	s_addc_u32 s2, s9, s3
	v_lshlrev_b64 v[44:45], 3, v[37:38]
	s_delay_alu instid0(VALU_DEP_1) | instskip(NEXT) | instid1(VALU_DEP_2)
	v_add_co_u32 v44, vcc_lo, s1, v44
	v_add_co_ci_u32_e32 v45, vcc_lo, s2, v45, vcc_lo
	global_store_b64 v[44:45], v[13:14], off
.LBB1683_411:
	s_or_b32 exec_lo, exec_lo, s0
	v_cmp_lt_u32_e32 vcc_lo, v35, v24
	s_or_b32 s1, s21, vcc_lo
	s_delay_alu instid0(SALU_CYCLE_1)
	s_and_saveexec_b32 s0, s1
	s_cbranch_execz .LBB1683_414
; %bb.412:
	v_and_b32_e32 v26, 1, v43
	s_delay_alu instid0(VALU_DEP_1)
	v_cmp_eq_u32_e32 vcc_lo, 1, v26
	s_and_b32 exec_lo, exec_lo, vcc_lo
	s_cbranch_execz .LBB1683_414
; %bb.413:
	v_mov_b32_e32 v36, 0
	s_lshl_b64 s[2:3], s[12:13], 3
	s_delay_alu instid0(SALU_CYCLE_1) | instskip(SKIP_1) | instid1(VALU_DEP_1)
	s_add_u32 s1, s8, s2
	s_addc_u32 s2, s9, s3
	v_lshlrev_b64 v[44:45], 3, v[35:36]
	s_delay_alu instid0(VALU_DEP_1) | instskip(NEXT) | instid1(VALU_DEP_2)
	v_add_co_u32 v44, vcc_lo, s1, v44
	v_add_co_ci_u32_e32 v45, vcc_lo, s2, v45, vcc_lo
	global_store_b64 v[44:45], v[15:16], off
.LBB1683_414:
	s_or_b32 exec_lo, exec_lo, s0
	v_cmp_lt_u32_e32 vcc_lo, v33, v24
	s_or_b32 s1, s21, vcc_lo
	s_delay_alu instid0(SALU_CYCLE_1)
	;; [unrolled: 24-line block ×7, first 2 shown]
	s_and_saveexec_b32 s0, s1
	s_cbranch_execz .LBB1683_432
; %bb.430:
	v_and_b32_e32 v24, 1, v40
	s_delay_alu instid0(VALU_DEP_1)
	v_cmp_eq_u32_e32 vcc_lo, 1, v24
	s_and_b32 exec_lo, exec_lo, vcc_lo
	s_cbranch_execz .LBB1683_432
; %bb.431:
	v_mov_b32_e32 v24, 0
	s_lshl_b64 s[2:3], s[12:13], 3
	s_delay_alu instid0(SALU_CYCLE_1) | instskip(SKIP_1) | instid1(VALU_DEP_1)
	s_add_u32 s1, s8, s2
	s_addc_u32 s2, s9, s3
	v_lshlrev_b64 v[44:45], 3, v[23:24]
	s_delay_alu instid0(VALU_DEP_1) | instskip(NEXT) | instid1(VALU_DEP_2)
	v_add_co_u32 v44, vcc_lo, s1, v44
	v_add_co_ci_u32_e32 v45, vcc_lo, s2, v45, vcc_lo
	global_store_b64 v[44:45], v[3:4], off
.LBB1683_432:
	s_or_b32 exec_lo, exec_lo, s0
	s_branch .LBB1683_406
.LBB1683_433:
	v_and_b32_e32 v17, 1, v17
	s_mov_b32 s0, exec_lo
	s_delay_alu instid0(VALU_DEP_1)
	v_cmpx_eq_u32_e32 1, v17
	s_cbranch_execz .LBB1683_435
; %bb.434:
	v_sub_nc_u32_e32 v17, v37, v20
	s_delay_alu instid0(VALU_DEP_1)
	v_lshlrev_b32_e32 v17, 3, v17
	ds_store_b64 v17, v[13:14]
.LBB1683_435:
	s_or_b32 exec_lo, exec_lo, s0
	v_and_b32_e32 v13, 1, v43
	s_mov_b32 s0, exec_lo
	s_delay_alu instid0(VALU_DEP_1)
	v_cmpx_eq_u32_e32 1, v13
	s_cbranch_execz .LBB1683_437
; %bb.436:
	v_sub_nc_u32_e32 v13, v35, v20
	s_delay_alu instid0(VALU_DEP_1)
	v_lshlrev_b32_e32 v13, 3, v13
	ds_store_b64 v13, v[15:16]
.LBB1683_437:
	s_or_b32 exec_lo, exec_lo, s0
	;; [unrolled: 12-line block ×8, first 2 shown]
	s_delay_alu instid0(SALU_CYCLE_1)
	s_mov_b32 s1, exec_lo
	s_waitcnt lgkmcnt(0)
	s_waitcnt_vscnt null, 0x0
	s_barrier
	buffer_gl0_inv
	v_cmpx_lt_u32_e64 v0, v19
	s_cbranch_execz .LBB1683_452
; %bb.450:
	v_dual_mov_b32 v2, 0 :: v_dual_mov_b32 v1, v20
	s_lshl_b64 s[2:3], s[12:13], 3
	v_mov_b32_e32 v3, v0
	s_delay_alu instid0(VALU_DEP_2) | instskip(NEXT) | instid1(VALU_DEP_1)
	v_lshlrev_b64 v[1:2], 3, v[1:2]
	v_add_co_u32 v1, vcc_lo, s2, v1
	s_delay_alu instid0(VALU_DEP_2) | instskip(SKIP_1) | instid1(VALU_DEP_2)
	v_add_co_ci_u32_e32 v2, vcc_lo, s3, v2, vcc_lo
	s_mov_b32 s2, 0
	v_add_co_u32 v1, vcc_lo, s8, v1
	s_delay_alu instid0(VALU_DEP_2) | instskip(NEXT) | instid1(VALU_DEP_2)
	v_add_co_ci_u32_e32 v2, vcc_lo, s9, v2, vcc_lo
	v_add_co_u32 v1, vcc_lo, v1, v39
	s_delay_alu instid0(VALU_DEP_2)
	v_add_co_ci_u32_e32 v2, vcc_lo, 0, v2, vcc_lo
	.p2align	6
.LBB1683_451:                           ; =>This Inner Loop Header: Depth=1
	ds_load_b64 v[4:5], v39
	v_add_nc_u32_e32 v3, 0x200, v3
	v_add_nc_u32_e32 v39, 0x1000, v39
	s_delay_alu instid0(VALU_DEP_2) | instskip(SKIP_4) | instid1(VALU_DEP_1)
	v_cmp_ge_u32_e32 vcc_lo, v3, v19
	s_or_b32 s2, vcc_lo, s2
	s_waitcnt lgkmcnt(0)
	global_store_b64 v[1:2], v[4:5], off
	v_add_co_u32 v1, s0, 0x1000, v1
	v_add_co_ci_u32_e64 v2, s0, 0, v2, s0
	s_and_not1_b32 exec_lo, exec_lo, s2
	s_cbranch_execnz .LBB1683_451
.LBB1683_452:
	s_or_b32 exec_lo, exec_lo, s1
	v_cmp_eq_u32_e32 vcc_lo, 0, v0
	s_and_b32 s0, vcc_lo, s14
	s_delay_alu instid0(SALU_CYCLE_1)
	s_and_saveexec_b32 s1, s0
	s_cbranch_execz .LBB1683_407
.LBB1683_453:
	v_add_co_u32 v0, s0, s12, v19
	s_delay_alu instid0(VALU_DEP_1) | instskip(SKIP_1) | instid1(VALU_DEP_3)
	v_add_co_ci_u32_e64 v1, null, s13, 0, s0
	v_mov_b32_e32 v2, 0
	v_add_co_u32 v0, vcc_lo, v0, v20
	s_delay_alu instid0(VALU_DEP_3)
	v_add_co_ci_u32_e32 v1, vcc_lo, 0, v1, vcc_lo
	global_store_b64 v2, v[0:1], s[16:17]
	s_nop 0
	s_sendmsg sendmsg(MSG_DEALLOC_VGPRS)
	s_endpgm
	.section	.rodata,"a",@progbits
	.p2align	6, 0x0
	.amdhsa_kernel _ZN7rocprim17ROCPRIM_400000_NS6detail17trampoline_kernelINS0_14default_configENS1_25partition_config_selectorILNS1_17partition_subalgoE8ElNS0_10empty_typeEbEEZZNS1_14partition_implILS5_8ELb0ES3_jPlPS6_PKS6_NS0_5tupleIJS9_S6_EEENSD_IJSA_SA_EEENS0_18inequality_wrapperIZN2at6native12_GLOBAL__N_124unique_dim_cuda_templateImEESt5tupleIJNSH_6TensorESM_SM_EERKSM_lbbbEUlllE0_EEPmJS6_EEE10hipError_tPvRmT3_T4_T5_T6_T7_T9_mT8_P12ihipStream_tbDpT10_ENKUlT_T0_E_clISt17integral_constantIbLb1EES1B_IbLb0EEEEDaS17_S18_EUlS17_E_NS1_11comp_targetILNS1_3genE9ELNS1_11target_archE1100ELNS1_3gpuE3ELNS1_3repE0EEENS1_30default_config_static_selectorELNS0_4arch9wavefront6targetE0EEEvT1_
		.amdhsa_group_segment_fixed_size 33804
		.amdhsa_private_segment_fixed_size 0
		.amdhsa_kernarg_size 120
		.amdhsa_user_sgpr_count 15
		.amdhsa_user_sgpr_dispatch_ptr 0
		.amdhsa_user_sgpr_queue_ptr 0
		.amdhsa_user_sgpr_kernarg_segment_ptr 1
		.amdhsa_user_sgpr_dispatch_id 0
		.amdhsa_user_sgpr_private_segment_size 0
		.amdhsa_wavefront_size32 1
		.amdhsa_uses_dynamic_stack 0
		.amdhsa_enable_private_segment 0
		.amdhsa_system_sgpr_workgroup_id_x 1
		.amdhsa_system_sgpr_workgroup_id_y 0
		.amdhsa_system_sgpr_workgroup_id_z 0
		.amdhsa_system_sgpr_workgroup_info 0
		.amdhsa_system_vgpr_workitem_id 0
		.amdhsa_next_free_vgpr 52
		.amdhsa_next_free_sgpr 36
		.amdhsa_reserve_vcc 1
		.amdhsa_float_round_mode_32 0
		.amdhsa_float_round_mode_16_64 0
		.amdhsa_float_denorm_mode_32 3
		.amdhsa_float_denorm_mode_16_64 3
		.amdhsa_dx10_clamp 1
		.amdhsa_ieee_mode 1
		.amdhsa_fp16_overflow 0
		.amdhsa_workgroup_processor_mode 1
		.amdhsa_memory_ordered 1
		.amdhsa_forward_progress 0
		.amdhsa_shared_vgpr_count 0
		.amdhsa_exception_fp_ieee_invalid_op 0
		.amdhsa_exception_fp_denorm_src 0
		.amdhsa_exception_fp_ieee_div_zero 0
		.amdhsa_exception_fp_ieee_overflow 0
		.amdhsa_exception_fp_ieee_underflow 0
		.amdhsa_exception_fp_ieee_inexact 0
		.amdhsa_exception_int_div_zero 0
	.end_amdhsa_kernel
	.section	.text._ZN7rocprim17ROCPRIM_400000_NS6detail17trampoline_kernelINS0_14default_configENS1_25partition_config_selectorILNS1_17partition_subalgoE8ElNS0_10empty_typeEbEEZZNS1_14partition_implILS5_8ELb0ES3_jPlPS6_PKS6_NS0_5tupleIJS9_S6_EEENSD_IJSA_SA_EEENS0_18inequality_wrapperIZN2at6native12_GLOBAL__N_124unique_dim_cuda_templateImEESt5tupleIJNSH_6TensorESM_SM_EERKSM_lbbbEUlllE0_EEPmJS6_EEE10hipError_tPvRmT3_T4_T5_T6_T7_T9_mT8_P12ihipStream_tbDpT10_ENKUlT_T0_E_clISt17integral_constantIbLb1EES1B_IbLb0EEEEDaS17_S18_EUlS17_E_NS1_11comp_targetILNS1_3genE9ELNS1_11target_archE1100ELNS1_3gpuE3ELNS1_3repE0EEENS1_30default_config_static_selectorELNS0_4arch9wavefront6targetE0EEEvT1_,"axG",@progbits,_ZN7rocprim17ROCPRIM_400000_NS6detail17trampoline_kernelINS0_14default_configENS1_25partition_config_selectorILNS1_17partition_subalgoE8ElNS0_10empty_typeEbEEZZNS1_14partition_implILS5_8ELb0ES3_jPlPS6_PKS6_NS0_5tupleIJS9_S6_EEENSD_IJSA_SA_EEENS0_18inequality_wrapperIZN2at6native12_GLOBAL__N_124unique_dim_cuda_templateImEESt5tupleIJNSH_6TensorESM_SM_EERKSM_lbbbEUlllE0_EEPmJS6_EEE10hipError_tPvRmT3_T4_T5_T6_T7_T9_mT8_P12ihipStream_tbDpT10_ENKUlT_T0_E_clISt17integral_constantIbLb1EES1B_IbLb0EEEEDaS17_S18_EUlS17_E_NS1_11comp_targetILNS1_3genE9ELNS1_11target_archE1100ELNS1_3gpuE3ELNS1_3repE0EEENS1_30default_config_static_selectorELNS0_4arch9wavefront6targetE0EEEvT1_,comdat
.Lfunc_end1683:
	.size	_ZN7rocprim17ROCPRIM_400000_NS6detail17trampoline_kernelINS0_14default_configENS1_25partition_config_selectorILNS1_17partition_subalgoE8ElNS0_10empty_typeEbEEZZNS1_14partition_implILS5_8ELb0ES3_jPlPS6_PKS6_NS0_5tupleIJS9_S6_EEENSD_IJSA_SA_EEENS0_18inequality_wrapperIZN2at6native12_GLOBAL__N_124unique_dim_cuda_templateImEESt5tupleIJNSH_6TensorESM_SM_EERKSM_lbbbEUlllE0_EEPmJS6_EEE10hipError_tPvRmT3_T4_T5_T6_T7_T9_mT8_P12ihipStream_tbDpT10_ENKUlT_T0_E_clISt17integral_constantIbLb1EES1B_IbLb0EEEEDaS17_S18_EUlS17_E_NS1_11comp_targetILNS1_3genE9ELNS1_11target_archE1100ELNS1_3gpuE3ELNS1_3repE0EEENS1_30default_config_static_selectorELNS0_4arch9wavefront6targetE0EEEvT1_, .Lfunc_end1683-_ZN7rocprim17ROCPRIM_400000_NS6detail17trampoline_kernelINS0_14default_configENS1_25partition_config_selectorILNS1_17partition_subalgoE8ElNS0_10empty_typeEbEEZZNS1_14partition_implILS5_8ELb0ES3_jPlPS6_PKS6_NS0_5tupleIJS9_S6_EEENSD_IJSA_SA_EEENS0_18inequality_wrapperIZN2at6native12_GLOBAL__N_124unique_dim_cuda_templateImEESt5tupleIJNSH_6TensorESM_SM_EERKSM_lbbbEUlllE0_EEPmJS6_EEE10hipError_tPvRmT3_T4_T5_T6_T7_T9_mT8_P12ihipStream_tbDpT10_ENKUlT_T0_E_clISt17integral_constantIbLb1EES1B_IbLb0EEEEDaS17_S18_EUlS17_E_NS1_11comp_targetILNS1_3genE9ELNS1_11target_archE1100ELNS1_3gpuE3ELNS1_3repE0EEENS1_30default_config_static_selectorELNS0_4arch9wavefront6targetE0EEEvT1_
                                        ; -- End function
	.section	.AMDGPU.csdata,"",@progbits
; Kernel info:
; codeLenInByte = 18332
; NumSgprs: 38
; NumVgprs: 52
; ScratchSize: 0
; MemoryBound: 1
; FloatMode: 240
; IeeeMode: 1
; LDSByteSize: 33804 bytes/workgroup (compile time only)
; SGPRBlocks: 4
; VGPRBlocks: 6
; NumSGPRsForWavesPerEU: 38
; NumVGPRsForWavesPerEU: 52
; Occupancy: 12
; WaveLimiterHint : 1
; COMPUTE_PGM_RSRC2:SCRATCH_EN: 0
; COMPUTE_PGM_RSRC2:USER_SGPR: 15
; COMPUTE_PGM_RSRC2:TRAP_HANDLER: 0
; COMPUTE_PGM_RSRC2:TGID_X_EN: 1
; COMPUTE_PGM_RSRC2:TGID_Y_EN: 0
; COMPUTE_PGM_RSRC2:TGID_Z_EN: 0
; COMPUTE_PGM_RSRC2:TIDIG_COMP_CNT: 0
	.section	.text._ZN7rocprim17ROCPRIM_400000_NS6detail17trampoline_kernelINS0_14default_configENS1_25partition_config_selectorILNS1_17partition_subalgoE8ElNS0_10empty_typeEbEEZZNS1_14partition_implILS5_8ELb0ES3_jPlPS6_PKS6_NS0_5tupleIJS9_S6_EEENSD_IJSA_SA_EEENS0_18inequality_wrapperIZN2at6native12_GLOBAL__N_124unique_dim_cuda_templateImEESt5tupleIJNSH_6TensorESM_SM_EERKSM_lbbbEUlllE0_EEPmJS6_EEE10hipError_tPvRmT3_T4_T5_T6_T7_T9_mT8_P12ihipStream_tbDpT10_ENKUlT_T0_E_clISt17integral_constantIbLb1EES1B_IbLb0EEEEDaS17_S18_EUlS17_E_NS1_11comp_targetILNS1_3genE8ELNS1_11target_archE1030ELNS1_3gpuE2ELNS1_3repE0EEENS1_30default_config_static_selectorELNS0_4arch9wavefront6targetE0EEEvT1_,"axG",@progbits,_ZN7rocprim17ROCPRIM_400000_NS6detail17trampoline_kernelINS0_14default_configENS1_25partition_config_selectorILNS1_17partition_subalgoE8ElNS0_10empty_typeEbEEZZNS1_14partition_implILS5_8ELb0ES3_jPlPS6_PKS6_NS0_5tupleIJS9_S6_EEENSD_IJSA_SA_EEENS0_18inequality_wrapperIZN2at6native12_GLOBAL__N_124unique_dim_cuda_templateImEESt5tupleIJNSH_6TensorESM_SM_EERKSM_lbbbEUlllE0_EEPmJS6_EEE10hipError_tPvRmT3_T4_T5_T6_T7_T9_mT8_P12ihipStream_tbDpT10_ENKUlT_T0_E_clISt17integral_constantIbLb1EES1B_IbLb0EEEEDaS17_S18_EUlS17_E_NS1_11comp_targetILNS1_3genE8ELNS1_11target_archE1030ELNS1_3gpuE2ELNS1_3repE0EEENS1_30default_config_static_selectorELNS0_4arch9wavefront6targetE0EEEvT1_,comdat
	.globl	_ZN7rocprim17ROCPRIM_400000_NS6detail17trampoline_kernelINS0_14default_configENS1_25partition_config_selectorILNS1_17partition_subalgoE8ElNS0_10empty_typeEbEEZZNS1_14partition_implILS5_8ELb0ES3_jPlPS6_PKS6_NS0_5tupleIJS9_S6_EEENSD_IJSA_SA_EEENS0_18inequality_wrapperIZN2at6native12_GLOBAL__N_124unique_dim_cuda_templateImEESt5tupleIJNSH_6TensorESM_SM_EERKSM_lbbbEUlllE0_EEPmJS6_EEE10hipError_tPvRmT3_T4_T5_T6_T7_T9_mT8_P12ihipStream_tbDpT10_ENKUlT_T0_E_clISt17integral_constantIbLb1EES1B_IbLb0EEEEDaS17_S18_EUlS17_E_NS1_11comp_targetILNS1_3genE8ELNS1_11target_archE1030ELNS1_3gpuE2ELNS1_3repE0EEENS1_30default_config_static_selectorELNS0_4arch9wavefront6targetE0EEEvT1_ ; -- Begin function _ZN7rocprim17ROCPRIM_400000_NS6detail17trampoline_kernelINS0_14default_configENS1_25partition_config_selectorILNS1_17partition_subalgoE8ElNS0_10empty_typeEbEEZZNS1_14partition_implILS5_8ELb0ES3_jPlPS6_PKS6_NS0_5tupleIJS9_S6_EEENSD_IJSA_SA_EEENS0_18inequality_wrapperIZN2at6native12_GLOBAL__N_124unique_dim_cuda_templateImEESt5tupleIJNSH_6TensorESM_SM_EERKSM_lbbbEUlllE0_EEPmJS6_EEE10hipError_tPvRmT3_T4_T5_T6_T7_T9_mT8_P12ihipStream_tbDpT10_ENKUlT_T0_E_clISt17integral_constantIbLb1EES1B_IbLb0EEEEDaS17_S18_EUlS17_E_NS1_11comp_targetILNS1_3genE8ELNS1_11target_archE1030ELNS1_3gpuE2ELNS1_3repE0EEENS1_30default_config_static_selectorELNS0_4arch9wavefront6targetE0EEEvT1_
	.p2align	8
	.type	_ZN7rocprim17ROCPRIM_400000_NS6detail17trampoline_kernelINS0_14default_configENS1_25partition_config_selectorILNS1_17partition_subalgoE8ElNS0_10empty_typeEbEEZZNS1_14partition_implILS5_8ELb0ES3_jPlPS6_PKS6_NS0_5tupleIJS9_S6_EEENSD_IJSA_SA_EEENS0_18inequality_wrapperIZN2at6native12_GLOBAL__N_124unique_dim_cuda_templateImEESt5tupleIJNSH_6TensorESM_SM_EERKSM_lbbbEUlllE0_EEPmJS6_EEE10hipError_tPvRmT3_T4_T5_T6_T7_T9_mT8_P12ihipStream_tbDpT10_ENKUlT_T0_E_clISt17integral_constantIbLb1EES1B_IbLb0EEEEDaS17_S18_EUlS17_E_NS1_11comp_targetILNS1_3genE8ELNS1_11target_archE1030ELNS1_3gpuE2ELNS1_3repE0EEENS1_30default_config_static_selectorELNS0_4arch9wavefront6targetE0EEEvT1_,@function
_ZN7rocprim17ROCPRIM_400000_NS6detail17trampoline_kernelINS0_14default_configENS1_25partition_config_selectorILNS1_17partition_subalgoE8ElNS0_10empty_typeEbEEZZNS1_14partition_implILS5_8ELb0ES3_jPlPS6_PKS6_NS0_5tupleIJS9_S6_EEENSD_IJSA_SA_EEENS0_18inequality_wrapperIZN2at6native12_GLOBAL__N_124unique_dim_cuda_templateImEESt5tupleIJNSH_6TensorESM_SM_EERKSM_lbbbEUlllE0_EEPmJS6_EEE10hipError_tPvRmT3_T4_T5_T6_T7_T9_mT8_P12ihipStream_tbDpT10_ENKUlT_T0_E_clISt17integral_constantIbLb1EES1B_IbLb0EEEEDaS17_S18_EUlS17_E_NS1_11comp_targetILNS1_3genE8ELNS1_11target_archE1030ELNS1_3gpuE2ELNS1_3repE0EEENS1_30default_config_static_selectorELNS0_4arch9wavefront6targetE0EEEvT1_: ; @_ZN7rocprim17ROCPRIM_400000_NS6detail17trampoline_kernelINS0_14default_configENS1_25partition_config_selectorILNS1_17partition_subalgoE8ElNS0_10empty_typeEbEEZZNS1_14partition_implILS5_8ELb0ES3_jPlPS6_PKS6_NS0_5tupleIJS9_S6_EEENSD_IJSA_SA_EEENS0_18inequality_wrapperIZN2at6native12_GLOBAL__N_124unique_dim_cuda_templateImEESt5tupleIJNSH_6TensorESM_SM_EERKSM_lbbbEUlllE0_EEPmJS6_EEE10hipError_tPvRmT3_T4_T5_T6_T7_T9_mT8_P12ihipStream_tbDpT10_ENKUlT_T0_E_clISt17integral_constantIbLb1EES1B_IbLb0EEEEDaS17_S18_EUlS17_E_NS1_11comp_targetILNS1_3genE8ELNS1_11target_archE1030ELNS1_3gpuE2ELNS1_3repE0EEENS1_30default_config_static_selectorELNS0_4arch9wavefront6targetE0EEEvT1_
; %bb.0:
	.section	.rodata,"a",@progbits
	.p2align	6, 0x0
	.amdhsa_kernel _ZN7rocprim17ROCPRIM_400000_NS6detail17trampoline_kernelINS0_14default_configENS1_25partition_config_selectorILNS1_17partition_subalgoE8ElNS0_10empty_typeEbEEZZNS1_14partition_implILS5_8ELb0ES3_jPlPS6_PKS6_NS0_5tupleIJS9_S6_EEENSD_IJSA_SA_EEENS0_18inequality_wrapperIZN2at6native12_GLOBAL__N_124unique_dim_cuda_templateImEESt5tupleIJNSH_6TensorESM_SM_EERKSM_lbbbEUlllE0_EEPmJS6_EEE10hipError_tPvRmT3_T4_T5_T6_T7_T9_mT8_P12ihipStream_tbDpT10_ENKUlT_T0_E_clISt17integral_constantIbLb1EES1B_IbLb0EEEEDaS17_S18_EUlS17_E_NS1_11comp_targetILNS1_3genE8ELNS1_11target_archE1030ELNS1_3gpuE2ELNS1_3repE0EEENS1_30default_config_static_selectorELNS0_4arch9wavefront6targetE0EEEvT1_
		.amdhsa_group_segment_fixed_size 0
		.amdhsa_private_segment_fixed_size 0
		.amdhsa_kernarg_size 120
		.amdhsa_user_sgpr_count 15
		.amdhsa_user_sgpr_dispatch_ptr 0
		.amdhsa_user_sgpr_queue_ptr 0
		.amdhsa_user_sgpr_kernarg_segment_ptr 1
		.amdhsa_user_sgpr_dispatch_id 0
		.amdhsa_user_sgpr_private_segment_size 0
		.amdhsa_wavefront_size32 1
		.amdhsa_uses_dynamic_stack 0
		.amdhsa_enable_private_segment 0
		.amdhsa_system_sgpr_workgroup_id_x 1
		.amdhsa_system_sgpr_workgroup_id_y 0
		.amdhsa_system_sgpr_workgroup_id_z 0
		.amdhsa_system_sgpr_workgroup_info 0
		.amdhsa_system_vgpr_workitem_id 0
		.amdhsa_next_free_vgpr 1
		.amdhsa_next_free_sgpr 1
		.amdhsa_reserve_vcc 0
		.amdhsa_float_round_mode_32 0
		.amdhsa_float_round_mode_16_64 0
		.amdhsa_float_denorm_mode_32 3
		.amdhsa_float_denorm_mode_16_64 3
		.amdhsa_dx10_clamp 1
		.amdhsa_ieee_mode 1
		.amdhsa_fp16_overflow 0
		.amdhsa_workgroup_processor_mode 1
		.amdhsa_memory_ordered 1
		.amdhsa_forward_progress 0
		.amdhsa_shared_vgpr_count 0
		.amdhsa_exception_fp_ieee_invalid_op 0
		.amdhsa_exception_fp_denorm_src 0
		.amdhsa_exception_fp_ieee_div_zero 0
		.amdhsa_exception_fp_ieee_overflow 0
		.amdhsa_exception_fp_ieee_underflow 0
		.amdhsa_exception_fp_ieee_inexact 0
		.amdhsa_exception_int_div_zero 0
	.end_amdhsa_kernel
	.section	.text._ZN7rocprim17ROCPRIM_400000_NS6detail17trampoline_kernelINS0_14default_configENS1_25partition_config_selectorILNS1_17partition_subalgoE8ElNS0_10empty_typeEbEEZZNS1_14partition_implILS5_8ELb0ES3_jPlPS6_PKS6_NS0_5tupleIJS9_S6_EEENSD_IJSA_SA_EEENS0_18inequality_wrapperIZN2at6native12_GLOBAL__N_124unique_dim_cuda_templateImEESt5tupleIJNSH_6TensorESM_SM_EERKSM_lbbbEUlllE0_EEPmJS6_EEE10hipError_tPvRmT3_T4_T5_T6_T7_T9_mT8_P12ihipStream_tbDpT10_ENKUlT_T0_E_clISt17integral_constantIbLb1EES1B_IbLb0EEEEDaS17_S18_EUlS17_E_NS1_11comp_targetILNS1_3genE8ELNS1_11target_archE1030ELNS1_3gpuE2ELNS1_3repE0EEENS1_30default_config_static_selectorELNS0_4arch9wavefront6targetE0EEEvT1_,"axG",@progbits,_ZN7rocprim17ROCPRIM_400000_NS6detail17trampoline_kernelINS0_14default_configENS1_25partition_config_selectorILNS1_17partition_subalgoE8ElNS0_10empty_typeEbEEZZNS1_14partition_implILS5_8ELb0ES3_jPlPS6_PKS6_NS0_5tupleIJS9_S6_EEENSD_IJSA_SA_EEENS0_18inequality_wrapperIZN2at6native12_GLOBAL__N_124unique_dim_cuda_templateImEESt5tupleIJNSH_6TensorESM_SM_EERKSM_lbbbEUlllE0_EEPmJS6_EEE10hipError_tPvRmT3_T4_T5_T6_T7_T9_mT8_P12ihipStream_tbDpT10_ENKUlT_T0_E_clISt17integral_constantIbLb1EES1B_IbLb0EEEEDaS17_S18_EUlS17_E_NS1_11comp_targetILNS1_3genE8ELNS1_11target_archE1030ELNS1_3gpuE2ELNS1_3repE0EEENS1_30default_config_static_selectorELNS0_4arch9wavefront6targetE0EEEvT1_,comdat
.Lfunc_end1684:
	.size	_ZN7rocprim17ROCPRIM_400000_NS6detail17trampoline_kernelINS0_14default_configENS1_25partition_config_selectorILNS1_17partition_subalgoE8ElNS0_10empty_typeEbEEZZNS1_14partition_implILS5_8ELb0ES3_jPlPS6_PKS6_NS0_5tupleIJS9_S6_EEENSD_IJSA_SA_EEENS0_18inequality_wrapperIZN2at6native12_GLOBAL__N_124unique_dim_cuda_templateImEESt5tupleIJNSH_6TensorESM_SM_EERKSM_lbbbEUlllE0_EEPmJS6_EEE10hipError_tPvRmT3_T4_T5_T6_T7_T9_mT8_P12ihipStream_tbDpT10_ENKUlT_T0_E_clISt17integral_constantIbLb1EES1B_IbLb0EEEEDaS17_S18_EUlS17_E_NS1_11comp_targetILNS1_3genE8ELNS1_11target_archE1030ELNS1_3gpuE2ELNS1_3repE0EEENS1_30default_config_static_selectorELNS0_4arch9wavefront6targetE0EEEvT1_, .Lfunc_end1684-_ZN7rocprim17ROCPRIM_400000_NS6detail17trampoline_kernelINS0_14default_configENS1_25partition_config_selectorILNS1_17partition_subalgoE8ElNS0_10empty_typeEbEEZZNS1_14partition_implILS5_8ELb0ES3_jPlPS6_PKS6_NS0_5tupleIJS9_S6_EEENSD_IJSA_SA_EEENS0_18inequality_wrapperIZN2at6native12_GLOBAL__N_124unique_dim_cuda_templateImEESt5tupleIJNSH_6TensorESM_SM_EERKSM_lbbbEUlllE0_EEPmJS6_EEE10hipError_tPvRmT3_T4_T5_T6_T7_T9_mT8_P12ihipStream_tbDpT10_ENKUlT_T0_E_clISt17integral_constantIbLb1EES1B_IbLb0EEEEDaS17_S18_EUlS17_E_NS1_11comp_targetILNS1_3genE8ELNS1_11target_archE1030ELNS1_3gpuE2ELNS1_3repE0EEENS1_30default_config_static_selectorELNS0_4arch9wavefront6targetE0EEEvT1_
                                        ; -- End function
	.section	.AMDGPU.csdata,"",@progbits
; Kernel info:
; codeLenInByte = 0
; NumSgprs: 0
; NumVgprs: 0
; ScratchSize: 0
; MemoryBound: 0
; FloatMode: 240
; IeeeMode: 1
; LDSByteSize: 0 bytes/workgroup (compile time only)
; SGPRBlocks: 0
; VGPRBlocks: 0
; NumSGPRsForWavesPerEU: 1
; NumVGPRsForWavesPerEU: 1
; Occupancy: 16
; WaveLimiterHint : 0
; COMPUTE_PGM_RSRC2:SCRATCH_EN: 0
; COMPUTE_PGM_RSRC2:USER_SGPR: 15
; COMPUTE_PGM_RSRC2:TRAP_HANDLER: 0
; COMPUTE_PGM_RSRC2:TGID_X_EN: 1
; COMPUTE_PGM_RSRC2:TGID_Y_EN: 0
; COMPUTE_PGM_RSRC2:TGID_Z_EN: 0
; COMPUTE_PGM_RSRC2:TIDIG_COMP_CNT: 0
	.section	.text._ZN7rocprim17ROCPRIM_400000_NS6detail17trampoline_kernelINS0_14default_configENS1_25partition_config_selectorILNS1_17partition_subalgoE8ElNS0_10empty_typeEbEEZZNS1_14partition_implILS5_8ELb0ES3_jPlPS6_PKS6_NS0_5tupleIJS9_S6_EEENSD_IJSA_SA_EEENS0_18inequality_wrapperIZN2at6native12_GLOBAL__N_124unique_dim_cuda_templateImEESt5tupleIJNSH_6TensorESM_SM_EERKSM_lbbbEUlllE0_EEPmJS6_EEE10hipError_tPvRmT3_T4_T5_T6_T7_T9_mT8_P12ihipStream_tbDpT10_ENKUlT_T0_E_clISt17integral_constantIbLb0EES1B_IbLb1EEEEDaS17_S18_EUlS17_E_NS1_11comp_targetILNS1_3genE0ELNS1_11target_archE4294967295ELNS1_3gpuE0ELNS1_3repE0EEENS1_30default_config_static_selectorELNS0_4arch9wavefront6targetE0EEEvT1_,"axG",@progbits,_ZN7rocprim17ROCPRIM_400000_NS6detail17trampoline_kernelINS0_14default_configENS1_25partition_config_selectorILNS1_17partition_subalgoE8ElNS0_10empty_typeEbEEZZNS1_14partition_implILS5_8ELb0ES3_jPlPS6_PKS6_NS0_5tupleIJS9_S6_EEENSD_IJSA_SA_EEENS0_18inequality_wrapperIZN2at6native12_GLOBAL__N_124unique_dim_cuda_templateImEESt5tupleIJNSH_6TensorESM_SM_EERKSM_lbbbEUlllE0_EEPmJS6_EEE10hipError_tPvRmT3_T4_T5_T6_T7_T9_mT8_P12ihipStream_tbDpT10_ENKUlT_T0_E_clISt17integral_constantIbLb0EES1B_IbLb1EEEEDaS17_S18_EUlS17_E_NS1_11comp_targetILNS1_3genE0ELNS1_11target_archE4294967295ELNS1_3gpuE0ELNS1_3repE0EEENS1_30default_config_static_selectorELNS0_4arch9wavefront6targetE0EEEvT1_,comdat
	.globl	_ZN7rocprim17ROCPRIM_400000_NS6detail17trampoline_kernelINS0_14default_configENS1_25partition_config_selectorILNS1_17partition_subalgoE8ElNS0_10empty_typeEbEEZZNS1_14partition_implILS5_8ELb0ES3_jPlPS6_PKS6_NS0_5tupleIJS9_S6_EEENSD_IJSA_SA_EEENS0_18inequality_wrapperIZN2at6native12_GLOBAL__N_124unique_dim_cuda_templateImEESt5tupleIJNSH_6TensorESM_SM_EERKSM_lbbbEUlllE0_EEPmJS6_EEE10hipError_tPvRmT3_T4_T5_T6_T7_T9_mT8_P12ihipStream_tbDpT10_ENKUlT_T0_E_clISt17integral_constantIbLb0EES1B_IbLb1EEEEDaS17_S18_EUlS17_E_NS1_11comp_targetILNS1_3genE0ELNS1_11target_archE4294967295ELNS1_3gpuE0ELNS1_3repE0EEENS1_30default_config_static_selectorELNS0_4arch9wavefront6targetE0EEEvT1_ ; -- Begin function _ZN7rocprim17ROCPRIM_400000_NS6detail17trampoline_kernelINS0_14default_configENS1_25partition_config_selectorILNS1_17partition_subalgoE8ElNS0_10empty_typeEbEEZZNS1_14partition_implILS5_8ELb0ES3_jPlPS6_PKS6_NS0_5tupleIJS9_S6_EEENSD_IJSA_SA_EEENS0_18inequality_wrapperIZN2at6native12_GLOBAL__N_124unique_dim_cuda_templateImEESt5tupleIJNSH_6TensorESM_SM_EERKSM_lbbbEUlllE0_EEPmJS6_EEE10hipError_tPvRmT3_T4_T5_T6_T7_T9_mT8_P12ihipStream_tbDpT10_ENKUlT_T0_E_clISt17integral_constantIbLb0EES1B_IbLb1EEEEDaS17_S18_EUlS17_E_NS1_11comp_targetILNS1_3genE0ELNS1_11target_archE4294967295ELNS1_3gpuE0ELNS1_3repE0EEENS1_30default_config_static_selectorELNS0_4arch9wavefront6targetE0EEEvT1_
	.p2align	8
	.type	_ZN7rocprim17ROCPRIM_400000_NS6detail17trampoline_kernelINS0_14default_configENS1_25partition_config_selectorILNS1_17partition_subalgoE8ElNS0_10empty_typeEbEEZZNS1_14partition_implILS5_8ELb0ES3_jPlPS6_PKS6_NS0_5tupleIJS9_S6_EEENSD_IJSA_SA_EEENS0_18inequality_wrapperIZN2at6native12_GLOBAL__N_124unique_dim_cuda_templateImEESt5tupleIJNSH_6TensorESM_SM_EERKSM_lbbbEUlllE0_EEPmJS6_EEE10hipError_tPvRmT3_T4_T5_T6_T7_T9_mT8_P12ihipStream_tbDpT10_ENKUlT_T0_E_clISt17integral_constantIbLb0EES1B_IbLb1EEEEDaS17_S18_EUlS17_E_NS1_11comp_targetILNS1_3genE0ELNS1_11target_archE4294967295ELNS1_3gpuE0ELNS1_3repE0EEENS1_30default_config_static_selectorELNS0_4arch9wavefront6targetE0EEEvT1_,@function
_ZN7rocprim17ROCPRIM_400000_NS6detail17trampoline_kernelINS0_14default_configENS1_25partition_config_selectorILNS1_17partition_subalgoE8ElNS0_10empty_typeEbEEZZNS1_14partition_implILS5_8ELb0ES3_jPlPS6_PKS6_NS0_5tupleIJS9_S6_EEENSD_IJSA_SA_EEENS0_18inequality_wrapperIZN2at6native12_GLOBAL__N_124unique_dim_cuda_templateImEESt5tupleIJNSH_6TensorESM_SM_EERKSM_lbbbEUlllE0_EEPmJS6_EEE10hipError_tPvRmT3_T4_T5_T6_T7_T9_mT8_P12ihipStream_tbDpT10_ENKUlT_T0_E_clISt17integral_constantIbLb0EES1B_IbLb1EEEEDaS17_S18_EUlS17_E_NS1_11comp_targetILNS1_3genE0ELNS1_11target_archE4294967295ELNS1_3gpuE0ELNS1_3repE0EEENS1_30default_config_static_selectorELNS0_4arch9wavefront6targetE0EEEvT1_: ; @_ZN7rocprim17ROCPRIM_400000_NS6detail17trampoline_kernelINS0_14default_configENS1_25partition_config_selectorILNS1_17partition_subalgoE8ElNS0_10empty_typeEbEEZZNS1_14partition_implILS5_8ELb0ES3_jPlPS6_PKS6_NS0_5tupleIJS9_S6_EEENSD_IJSA_SA_EEENS0_18inequality_wrapperIZN2at6native12_GLOBAL__N_124unique_dim_cuda_templateImEESt5tupleIJNSH_6TensorESM_SM_EERKSM_lbbbEUlllE0_EEPmJS6_EEE10hipError_tPvRmT3_T4_T5_T6_T7_T9_mT8_P12ihipStream_tbDpT10_ENKUlT_T0_E_clISt17integral_constantIbLb0EES1B_IbLb1EEEEDaS17_S18_EUlS17_E_NS1_11comp_targetILNS1_3genE0ELNS1_11target_archE4294967295ELNS1_3gpuE0ELNS1_3repE0EEENS1_30default_config_static_selectorELNS0_4arch9wavefront6targetE0EEEvT1_
; %bb.0:
	.section	.rodata,"a",@progbits
	.p2align	6, 0x0
	.amdhsa_kernel _ZN7rocprim17ROCPRIM_400000_NS6detail17trampoline_kernelINS0_14default_configENS1_25partition_config_selectorILNS1_17partition_subalgoE8ElNS0_10empty_typeEbEEZZNS1_14partition_implILS5_8ELb0ES3_jPlPS6_PKS6_NS0_5tupleIJS9_S6_EEENSD_IJSA_SA_EEENS0_18inequality_wrapperIZN2at6native12_GLOBAL__N_124unique_dim_cuda_templateImEESt5tupleIJNSH_6TensorESM_SM_EERKSM_lbbbEUlllE0_EEPmJS6_EEE10hipError_tPvRmT3_T4_T5_T6_T7_T9_mT8_P12ihipStream_tbDpT10_ENKUlT_T0_E_clISt17integral_constantIbLb0EES1B_IbLb1EEEEDaS17_S18_EUlS17_E_NS1_11comp_targetILNS1_3genE0ELNS1_11target_archE4294967295ELNS1_3gpuE0ELNS1_3repE0EEENS1_30default_config_static_selectorELNS0_4arch9wavefront6targetE0EEEvT1_
		.amdhsa_group_segment_fixed_size 0
		.amdhsa_private_segment_fixed_size 0
		.amdhsa_kernarg_size 136
		.amdhsa_user_sgpr_count 15
		.amdhsa_user_sgpr_dispatch_ptr 0
		.amdhsa_user_sgpr_queue_ptr 0
		.amdhsa_user_sgpr_kernarg_segment_ptr 1
		.amdhsa_user_sgpr_dispatch_id 0
		.amdhsa_user_sgpr_private_segment_size 0
		.amdhsa_wavefront_size32 1
		.amdhsa_uses_dynamic_stack 0
		.amdhsa_enable_private_segment 0
		.amdhsa_system_sgpr_workgroup_id_x 1
		.amdhsa_system_sgpr_workgroup_id_y 0
		.amdhsa_system_sgpr_workgroup_id_z 0
		.amdhsa_system_sgpr_workgroup_info 0
		.amdhsa_system_vgpr_workitem_id 0
		.amdhsa_next_free_vgpr 1
		.amdhsa_next_free_sgpr 1
		.amdhsa_reserve_vcc 0
		.amdhsa_float_round_mode_32 0
		.amdhsa_float_round_mode_16_64 0
		.amdhsa_float_denorm_mode_32 3
		.amdhsa_float_denorm_mode_16_64 3
		.amdhsa_dx10_clamp 1
		.amdhsa_ieee_mode 1
		.amdhsa_fp16_overflow 0
		.amdhsa_workgroup_processor_mode 1
		.amdhsa_memory_ordered 1
		.amdhsa_forward_progress 0
		.amdhsa_shared_vgpr_count 0
		.amdhsa_exception_fp_ieee_invalid_op 0
		.amdhsa_exception_fp_denorm_src 0
		.amdhsa_exception_fp_ieee_div_zero 0
		.amdhsa_exception_fp_ieee_overflow 0
		.amdhsa_exception_fp_ieee_underflow 0
		.amdhsa_exception_fp_ieee_inexact 0
		.amdhsa_exception_int_div_zero 0
	.end_amdhsa_kernel
	.section	.text._ZN7rocprim17ROCPRIM_400000_NS6detail17trampoline_kernelINS0_14default_configENS1_25partition_config_selectorILNS1_17partition_subalgoE8ElNS0_10empty_typeEbEEZZNS1_14partition_implILS5_8ELb0ES3_jPlPS6_PKS6_NS0_5tupleIJS9_S6_EEENSD_IJSA_SA_EEENS0_18inequality_wrapperIZN2at6native12_GLOBAL__N_124unique_dim_cuda_templateImEESt5tupleIJNSH_6TensorESM_SM_EERKSM_lbbbEUlllE0_EEPmJS6_EEE10hipError_tPvRmT3_T4_T5_T6_T7_T9_mT8_P12ihipStream_tbDpT10_ENKUlT_T0_E_clISt17integral_constantIbLb0EES1B_IbLb1EEEEDaS17_S18_EUlS17_E_NS1_11comp_targetILNS1_3genE0ELNS1_11target_archE4294967295ELNS1_3gpuE0ELNS1_3repE0EEENS1_30default_config_static_selectorELNS0_4arch9wavefront6targetE0EEEvT1_,"axG",@progbits,_ZN7rocprim17ROCPRIM_400000_NS6detail17trampoline_kernelINS0_14default_configENS1_25partition_config_selectorILNS1_17partition_subalgoE8ElNS0_10empty_typeEbEEZZNS1_14partition_implILS5_8ELb0ES3_jPlPS6_PKS6_NS0_5tupleIJS9_S6_EEENSD_IJSA_SA_EEENS0_18inequality_wrapperIZN2at6native12_GLOBAL__N_124unique_dim_cuda_templateImEESt5tupleIJNSH_6TensorESM_SM_EERKSM_lbbbEUlllE0_EEPmJS6_EEE10hipError_tPvRmT3_T4_T5_T6_T7_T9_mT8_P12ihipStream_tbDpT10_ENKUlT_T0_E_clISt17integral_constantIbLb0EES1B_IbLb1EEEEDaS17_S18_EUlS17_E_NS1_11comp_targetILNS1_3genE0ELNS1_11target_archE4294967295ELNS1_3gpuE0ELNS1_3repE0EEENS1_30default_config_static_selectorELNS0_4arch9wavefront6targetE0EEEvT1_,comdat
.Lfunc_end1685:
	.size	_ZN7rocprim17ROCPRIM_400000_NS6detail17trampoline_kernelINS0_14default_configENS1_25partition_config_selectorILNS1_17partition_subalgoE8ElNS0_10empty_typeEbEEZZNS1_14partition_implILS5_8ELb0ES3_jPlPS6_PKS6_NS0_5tupleIJS9_S6_EEENSD_IJSA_SA_EEENS0_18inequality_wrapperIZN2at6native12_GLOBAL__N_124unique_dim_cuda_templateImEESt5tupleIJNSH_6TensorESM_SM_EERKSM_lbbbEUlllE0_EEPmJS6_EEE10hipError_tPvRmT3_T4_T5_T6_T7_T9_mT8_P12ihipStream_tbDpT10_ENKUlT_T0_E_clISt17integral_constantIbLb0EES1B_IbLb1EEEEDaS17_S18_EUlS17_E_NS1_11comp_targetILNS1_3genE0ELNS1_11target_archE4294967295ELNS1_3gpuE0ELNS1_3repE0EEENS1_30default_config_static_selectorELNS0_4arch9wavefront6targetE0EEEvT1_, .Lfunc_end1685-_ZN7rocprim17ROCPRIM_400000_NS6detail17trampoline_kernelINS0_14default_configENS1_25partition_config_selectorILNS1_17partition_subalgoE8ElNS0_10empty_typeEbEEZZNS1_14partition_implILS5_8ELb0ES3_jPlPS6_PKS6_NS0_5tupleIJS9_S6_EEENSD_IJSA_SA_EEENS0_18inequality_wrapperIZN2at6native12_GLOBAL__N_124unique_dim_cuda_templateImEESt5tupleIJNSH_6TensorESM_SM_EERKSM_lbbbEUlllE0_EEPmJS6_EEE10hipError_tPvRmT3_T4_T5_T6_T7_T9_mT8_P12ihipStream_tbDpT10_ENKUlT_T0_E_clISt17integral_constantIbLb0EES1B_IbLb1EEEEDaS17_S18_EUlS17_E_NS1_11comp_targetILNS1_3genE0ELNS1_11target_archE4294967295ELNS1_3gpuE0ELNS1_3repE0EEENS1_30default_config_static_selectorELNS0_4arch9wavefront6targetE0EEEvT1_
                                        ; -- End function
	.section	.AMDGPU.csdata,"",@progbits
; Kernel info:
; codeLenInByte = 0
; NumSgprs: 0
; NumVgprs: 0
; ScratchSize: 0
; MemoryBound: 0
; FloatMode: 240
; IeeeMode: 1
; LDSByteSize: 0 bytes/workgroup (compile time only)
; SGPRBlocks: 0
; VGPRBlocks: 0
; NumSGPRsForWavesPerEU: 1
; NumVGPRsForWavesPerEU: 1
; Occupancy: 16
; WaveLimiterHint : 0
; COMPUTE_PGM_RSRC2:SCRATCH_EN: 0
; COMPUTE_PGM_RSRC2:USER_SGPR: 15
; COMPUTE_PGM_RSRC2:TRAP_HANDLER: 0
; COMPUTE_PGM_RSRC2:TGID_X_EN: 1
; COMPUTE_PGM_RSRC2:TGID_Y_EN: 0
; COMPUTE_PGM_RSRC2:TGID_Z_EN: 0
; COMPUTE_PGM_RSRC2:TIDIG_COMP_CNT: 0
	.section	.text._ZN7rocprim17ROCPRIM_400000_NS6detail17trampoline_kernelINS0_14default_configENS1_25partition_config_selectorILNS1_17partition_subalgoE8ElNS0_10empty_typeEbEEZZNS1_14partition_implILS5_8ELb0ES3_jPlPS6_PKS6_NS0_5tupleIJS9_S6_EEENSD_IJSA_SA_EEENS0_18inequality_wrapperIZN2at6native12_GLOBAL__N_124unique_dim_cuda_templateImEESt5tupleIJNSH_6TensorESM_SM_EERKSM_lbbbEUlllE0_EEPmJS6_EEE10hipError_tPvRmT3_T4_T5_T6_T7_T9_mT8_P12ihipStream_tbDpT10_ENKUlT_T0_E_clISt17integral_constantIbLb0EES1B_IbLb1EEEEDaS17_S18_EUlS17_E_NS1_11comp_targetILNS1_3genE5ELNS1_11target_archE942ELNS1_3gpuE9ELNS1_3repE0EEENS1_30default_config_static_selectorELNS0_4arch9wavefront6targetE0EEEvT1_,"axG",@progbits,_ZN7rocprim17ROCPRIM_400000_NS6detail17trampoline_kernelINS0_14default_configENS1_25partition_config_selectorILNS1_17partition_subalgoE8ElNS0_10empty_typeEbEEZZNS1_14partition_implILS5_8ELb0ES3_jPlPS6_PKS6_NS0_5tupleIJS9_S6_EEENSD_IJSA_SA_EEENS0_18inequality_wrapperIZN2at6native12_GLOBAL__N_124unique_dim_cuda_templateImEESt5tupleIJNSH_6TensorESM_SM_EERKSM_lbbbEUlllE0_EEPmJS6_EEE10hipError_tPvRmT3_T4_T5_T6_T7_T9_mT8_P12ihipStream_tbDpT10_ENKUlT_T0_E_clISt17integral_constantIbLb0EES1B_IbLb1EEEEDaS17_S18_EUlS17_E_NS1_11comp_targetILNS1_3genE5ELNS1_11target_archE942ELNS1_3gpuE9ELNS1_3repE0EEENS1_30default_config_static_selectorELNS0_4arch9wavefront6targetE0EEEvT1_,comdat
	.globl	_ZN7rocprim17ROCPRIM_400000_NS6detail17trampoline_kernelINS0_14default_configENS1_25partition_config_selectorILNS1_17partition_subalgoE8ElNS0_10empty_typeEbEEZZNS1_14partition_implILS5_8ELb0ES3_jPlPS6_PKS6_NS0_5tupleIJS9_S6_EEENSD_IJSA_SA_EEENS0_18inequality_wrapperIZN2at6native12_GLOBAL__N_124unique_dim_cuda_templateImEESt5tupleIJNSH_6TensorESM_SM_EERKSM_lbbbEUlllE0_EEPmJS6_EEE10hipError_tPvRmT3_T4_T5_T6_T7_T9_mT8_P12ihipStream_tbDpT10_ENKUlT_T0_E_clISt17integral_constantIbLb0EES1B_IbLb1EEEEDaS17_S18_EUlS17_E_NS1_11comp_targetILNS1_3genE5ELNS1_11target_archE942ELNS1_3gpuE9ELNS1_3repE0EEENS1_30default_config_static_selectorELNS0_4arch9wavefront6targetE0EEEvT1_ ; -- Begin function _ZN7rocprim17ROCPRIM_400000_NS6detail17trampoline_kernelINS0_14default_configENS1_25partition_config_selectorILNS1_17partition_subalgoE8ElNS0_10empty_typeEbEEZZNS1_14partition_implILS5_8ELb0ES3_jPlPS6_PKS6_NS0_5tupleIJS9_S6_EEENSD_IJSA_SA_EEENS0_18inequality_wrapperIZN2at6native12_GLOBAL__N_124unique_dim_cuda_templateImEESt5tupleIJNSH_6TensorESM_SM_EERKSM_lbbbEUlllE0_EEPmJS6_EEE10hipError_tPvRmT3_T4_T5_T6_T7_T9_mT8_P12ihipStream_tbDpT10_ENKUlT_T0_E_clISt17integral_constantIbLb0EES1B_IbLb1EEEEDaS17_S18_EUlS17_E_NS1_11comp_targetILNS1_3genE5ELNS1_11target_archE942ELNS1_3gpuE9ELNS1_3repE0EEENS1_30default_config_static_selectorELNS0_4arch9wavefront6targetE0EEEvT1_
	.p2align	8
	.type	_ZN7rocprim17ROCPRIM_400000_NS6detail17trampoline_kernelINS0_14default_configENS1_25partition_config_selectorILNS1_17partition_subalgoE8ElNS0_10empty_typeEbEEZZNS1_14partition_implILS5_8ELb0ES3_jPlPS6_PKS6_NS0_5tupleIJS9_S6_EEENSD_IJSA_SA_EEENS0_18inequality_wrapperIZN2at6native12_GLOBAL__N_124unique_dim_cuda_templateImEESt5tupleIJNSH_6TensorESM_SM_EERKSM_lbbbEUlllE0_EEPmJS6_EEE10hipError_tPvRmT3_T4_T5_T6_T7_T9_mT8_P12ihipStream_tbDpT10_ENKUlT_T0_E_clISt17integral_constantIbLb0EES1B_IbLb1EEEEDaS17_S18_EUlS17_E_NS1_11comp_targetILNS1_3genE5ELNS1_11target_archE942ELNS1_3gpuE9ELNS1_3repE0EEENS1_30default_config_static_selectorELNS0_4arch9wavefront6targetE0EEEvT1_,@function
_ZN7rocprim17ROCPRIM_400000_NS6detail17trampoline_kernelINS0_14default_configENS1_25partition_config_selectorILNS1_17partition_subalgoE8ElNS0_10empty_typeEbEEZZNS1_14partition_implILS5_8ELb0ES3_jPlPS6_PKS6_NS0_5tupleIJS9_S6_EEENSD_IJSA_SA_EEENS0_18inequality_wrapperIZN2at6native12_GLOBAL__N_124unique_dim_cuda_templateImEESt5tupleIJNSH_6TensorESM_SM_EERKSM_lbbbEUlllE0_EEPmJS6_EEE10hipError_tPvRmT3_T4_T5_T6_T7_T9_mT8_P12ihipStream_tbDpT10_ENKUlT_T0_E_clISt17integral_constantIbLb0EES1B_IbLb1EEEEDaS17_S18_EUlS17_E_NS1_11comp_targetILNS1_3genE5ELNS1_11target_archE942ELNS1_3gpuE9ELNS1_3repE0EEENS1_30default_config_static_selectorELNS0_4arch9wavefront6targetE0EEEvT1_: ; @_ZN7rocprim17ROCPRIM_400000_NS6detail17trampoline_kernelINS0_14default_configENS1_25partition_config_selectorILNS1_17partition_subalgoE8ElNS0_10empty_typeEbEEZZNS1_14partition_implILS5_8ELb0ES3_jPlPS6_PKS6_NS0_5tupleIJS9_S6_EEENSD_IJSA_SA_EEENS0_18inequality_wrapperIZN2at6native12_GLOBAL__N_124unique_dim_cuda_templateImEESt5tupleIJNSH_6TensorESM_SM_EERKSM_lbbbEUlllE0_EEPmJS6_EEE10hipError_tPvRmT3_T4_T5_T6_T7_T9_mT8_P12ihipStream_tbDpT10_ENKUlT_T0_E_clISt17integral_constantIbLb0EES1B_IbLb1EEEEDaS17_S18_EUlS17_E_NS1_11comp_targetILNS1_3genE5ELNS1_11target_archE942ELNS1_3gpuE9ELNS1_3repE0EEENS1_30default_config_static_selectorELNS0_4arch9wavefront6targetE0EEEvT1_
; %bb.0:
	.section	.rodata,"a",@progbits
	.p2align	6, 0x0
	.amdhsa_kernel _ZN7rocprim17ROCPRIM_400000_NS6detail17trampoline_kernelINS0_14default_configENS1_25partition_config_selectorILNS1_17partition_subalgoE8ElNS0_10empty_typeEbEEZZNS1_14partition_implILS5_8ELb0ES3_jPlPS6_PKS6_NS0_5tupleIJS9_S6_EEENSD_IJSA_SA_EEENS0_18inequality_wrapperIZN2at6native12_GLOBAL__N_124unique_dim_cuda_templateImEESt5tupleIJNSH_6TensorESM_SM_EERKSM_lbbbEUlllE0_EEPmJS6_EEE10hipError_tPvRmT3_T4_T5_T6_T7_T9_mT8_P12ihipStream_tbDpT10_ENKUlT_T0_E_clISt17integral_constantIbLb0EES1B_IbLb1EEEEDaS17_S18_EUlS17_E_NS1_11comp_targetILNS1_3genE5ELNS1_11target_archE942ELNS1_3gpuE9ELNS1_3repE0EEENS1_30default_config_static_selectorELNS0_4arch9wavefront6targetE0EEEvT1_
		.amdhsa_group_segment_fixed_size 0
		.amdhsa_private_segment_fixed_size 0
		.amdhsa_kernarg_size 136
		.amdhsa_user_sgpr_count 15
		.amdhsa_user_sgpr_dispatch_ptr 0
		.amdhsa_user_sgpr_queue_ptr 0
		.amdhsa_user_sgpr_kernarg_segment_ptr 1
		.amdhsa_user_sgpr_dispatch_id 0
		.amdhsa_user_sgpr_private_segment_size 0
		.amdhsa_wavefront_size32 1
		.amdhsa_uses_dynamic_stack 0
		.amdhsa_enable_private_segment 0
		.amdhsa_system_sgpr_workgroup_id_x 1
		.amdhsa_system_sgpr_workgroup_id_y 0
		.amdhsa_system_sgpr_workgroup_id_z 0
		.amdhsa_system_sgpr_workgroup_info 0
		.amdhsa_system_vgpr_workitem_id 0
		.amdhsa_next_free_vgpr 1
		.amdhsa_next_free_sgpr 1
		.amdhsa_reserve_vcc 0
		.amdhsa_float_round_mode_32 0
		.amdhsa_float_round_mode_16_64 0
		.amdhsa_float_denorm_mode_32 3
		.amdhsa_float_denorm_mode_16_64 3
		.amdhsa_dx10_clamp 1
		.amdhsa_ieee_mode 1
		.amdhsa_fp16_overflow 0
		.amdhsa_workgroup_processor_mode 1
		.amdhsa_memory_ordered 1
		.amdhsa_forward_progress 0
		.amdhsa_shared_vgpr_count 0
		.amdhsa_exception_fp_ieee_invalid_op 0
		.amdhsa_exception_fp_denorm_src 0
		.amdhsa_exception_fp_ieee_div_zero 0
		.amdhsa_exception_fp_ieee_overflow 0
		.amdhsa_exception_fp_ieee_underflow 0
		.amdhsa_exception_fp_ieee_inexact 0
		.amdhsa_exception_int_div_zero 0
	.end_amdhsa_kernel
	.section	.text._ZN7rocprim17ROCPRIM_400000_NS6detail17trampoline_kernelINS0_14default_configENS1_25partition_config_selectorILNS1_17partition_subalgoE8ElNS0_10empty_typeEbEEZZNS1_14partition_implILS5_8ELb0ES3_jPlPS6_PKS6_NS0_5tupleIJS9_S6_EEENSD_IJSA_SA_EEENS0_18inequality_wrapperIZN2at6native12_GLOBAL__N_124unique_dim_cuda_templateImEESt5tupleIJNSH_6TensorESM_SM_EERKSM_lbbbEUlllE0_EEPmJS6_EEE10hipError_tPvRmT3_T4_T5_T6_T7_T9_mT8_P12ihipStream_tbDpT10_ENKUlT_T0_E_clISt17integral_constantIbLb0EES1B_IbLb1EEEEDaS17_S18_EUlS17_E_NS1_11comp_targetILNS1_3genE5ELNS1_11target_archE942ELNS1_3gpuE9ELNS1_3repE0EEENS1_30default_config_static_selectorELNS0_4arch9wavefront6targetE0EEEvT1_,"axG",@progbits,_ZN7rocprim17ROCPRIM_400000_NS6detail17trampoline_kernelINS0_14default_configENS1_25partition_config_selectorILNS1_17partition_subalgoE8ElNS0_10empty_typeEbEEZZNS1_14partition_implILS5_8ELb0ES3_jPlPS6_PKS6_NS0_5tupleIJS9_S6_EEENSD_IJSA_SA_EEENS0_18inequality_wrapperIZN2at6native12_GLOBAL__N_124unique_dim_cuda_templateImEESt5tupleIJNSH_6TensorESM_SM_EERKSM_lbbbEUlllE0_EEPmJS6_EEE10hipError_tPvRmT3_T4_T5_T6_T7_T9_mT8_P12ihipStream_tbDpT10_ENKUlT_T0_E_clISt17integral_constantIbLb0EES1B_IbLb1EEEEDaS17_S18_EUlS17_E_NS1_11comp_targetILNS1_3genE5ELNS1_11target_archE942ELNS1_3gpuE9ELNS1_3repE0EEENS1_30default_config_static_selectorELNS0_4arch9wavefront6targetE0EEEvT1_,comdat
.Lfunc_end1686:
	.size	_ZN7rocprim17ROCPRIM_400000_NS6detail17trampoline_kernelINS0_14default_configENS1_25partition_config_selectorILNS1_17partition_subalgoE8ElNS0_10empty_typeEbEEZZNS1_14partition_implILS5_8ELb0ES3_jPlPS6_PKS6_NS0_5tupleIJS9_S6_EEENSD_IJSA_SA_EEENS0_18inequality_wrapperIZN2at6native12_GLOBAL__N_124unique_dim_cuda_templateImEESt5tupleIJNSH_6TensorESM_SM_EERKSM_lbbbEUlllE0_EEPmJS6_EEE10hipError_tPvRmT3_T4_T5_T6_T7_T9_mT8_P12ihipStream_tbDpT10_ENKUlT_T0_E_clISt17integral_constantIbLb0EES1B_IbLb1EEEEDaS17_S18_EUlS17_E_NS1_11comp_targetILNS1_3genE5ELNS1_11target_archE942ELNS1_3gpuE9ELNS1_3repE0EEENS1_30default_config_static_selectorELNS0_4arch9wavefront6targetE0EEEvT1_, .Lfunc_end1686-_ZN7rocprim17ROCPRIM_400000_NS6detail17trampoline_kernelINS0_14default_configENS1_25partition_config_selectorILNS1_17partition_subalgoE8ElNS0_10empty_typeEbEEZZNS1_14partition_implILS5_8ELb0ES3_jPlPS6_PKS6_NS0_5tupleIJS9_S6_EEENSD_IJSA_SA_EEENS0_18inequality_wrapperIZN2at6native12_GLOBAL__N_124unique_dim_cuda_templateImEESt5tupleIJNSH_6TensorESM_SM_EERKSM_lbbbEUlllE0_EEPmJS6_EEE10hipError_tPvRmT3_T4_T5_T6_T7_T9_mT8_P12ihipStream_tbDpT10_ENKUlT_T0_E_clISt17integral_constantIbLb0EES1B_IbLb1EEEEDaS17_S18_EUlS17_E_NS1_11comp_targetILNS1_3genE5ELNS1_11target_archE942ELNS1_3gpuE9ELNS1_3repE0EEENS1_30default_config_static_selectorELNS0_4arch9wavefront6targetE0EEEvT1_
                                        ; -- End function
	.section	.AMDGPU.csdata,"",@progbits
; Kernel info:
; codeLenInByte = 0
; NumSgprs: 0
; NumVgprs: 0
; ScratchSize: 0
; MemoryBound: 0
; FloatMode: 240
; IeeeMode: 1
; LDSByteSize: 0 bytes/workgroup (compile time only)
; SGPRBlocks: 0
; VGPRBlocks: 0
; NumSGPRsForWavesPerEU: 1
; NumVGPRsForWavesPerEU: 1
; Occupancy: 16
; WaveLimiterHint : 0
; COMPUTE_PGM_RSRC2:SCRATCH_EN: 0
; COMPUTE_PGM_RSRC2:USER_SGPR: 15
; COMPUTE_PGM_RSRC2:TRAP_HANDLER: 0
; COMPUTE_PGM_RSRC2:TGID_X_EN: 1
; COMPUTE_PGM_RSRC2:TGID_Y_EN: 0
; COMPUTE_PGM_RSRC2:TGID_Z_EN: 0
; COMPUTE_PGM_RSRC2:TIDIG_COMP_CNT: 0
	.section	.text._ZN7rocprim17ROCPRIM_400000_NS6detail17trampoline_kernelINS0_14default_configENS1_25partition_config_selectorILNS1_17partition_subalgoE8ElNS0_10empty_typeEbEEZZNS1_14partition_implILS5_8ELb0ES3_jPlPS6_PKS6_NS0_5tupleIJS9_S6_EEENSD_IJSA_SA_EEENS0_18inequality_wrapperIZN2at6native12_GLOBAL__N_124unique_dim_cuda_templateImEESt5tupleIJNSH_6TensorESM_SM_EERKSM_lbbbEUlllE0_EEPmJS6_EEE10hipError_tPvRmT3_T4_T5_T6_T7_T9_mT8_P12ihipStream_tbDpT10_ENKUlT_T0_E_clISt17integral_constantIbLb0EES1B_IbLb1EEEEDaS17_S18_EUlS17_E_NS1_11comp_targetILNS1_3genE4ELNS1_11target_archE910ELNS1_3gpuE8ELNS1_3repE0EEENS1_30default_config_static_selectorELNS0_4arch9wavefront6targetE0EEEvT1_,"axG",@progbits,_ZN7rocprim17ROCPRIM_400000_NS6detail17trampoline_kernelINS0_14default_configENS1_25partition_config_selectorILNS1_17partition_subalgoE8ElNS0_10empty_typeEbEEZZNS1_14partition_implILS5_8ELb0ES3_jPlPS6_PKS6_NS0_5tupleIJS9_S6_EEENSD_IJSA_SA_EEENS0_18inequality_wrapperIZN2at6native12_GLOBAL__N_124unique_dim_cuda_templateImEESt5tupleIJNSH_6TensorESM_SM_EERKSM_lbbbEUlllE0_EEPmJS6_EEE10hipError_tPvRmT3_T4_T5_T6_T7_T9_mT8_P12ihipStream_tbDpT10_ENKUlT_T0_E_clISt17integral_constantIbLb0EES1B_IbLb1EEEEDaS17_S18_EUlS17_E_NS1_11comp_targetILNS1_3genE4ELNS1_11target_archE910ELNS1_3gpuE8ELNS1_3repE0EEENS1_30default_config_static_selectorELNS0_4arch9wavefront6targetE0EEEvT1_,comdat
	.globl	_ZN7rocprim17ROCPRIM_400000_NS6detail17trampoline_kernelINS0_14default_configENS1_25partition_config_selectorILNS1_17partition_subalgoE8ElNS0_10empty_typeEbEEZZNS1_14partition_implILS5_8ELb0ES3_jPlPS6_PKS6_NS0_5tupleIJS9_S6_EEENSD_IJSA_SA_EEENS0_18inequality_wrapperIZN2at6native12_GLOBAL__N_124unique_dim_cuda_templateImEESt5tupleIJNSH_6TensorESM_SM_EERKSM_lbbbEUlllE0_EEPmJS6_EEE10hipError_tPvRmT3_T4_T5_T6_T7_T9_mT8_P12ihipStream_tbDpT10_ENKUlT_T0_E_clISt17integral_constantIbLb0EES1B_IbLb1EEEEDaS17_S18_EUlS17_E_NS1_11comp_targetILNS1_3genE4ELNS1_11target_archE910ELNS1_3gpuE8ELNS1_3repE0EEENS1_30default_config_static_selectorELNS0_4arch9wavefront6targetE0EEEvT1_ ; -- Begin function _ZN7rocprim17ROCPRIM_400000_NS6detail17trampoline_kernelINS0_14default_configENS1_25partition_config_selectorILNS1_17partition_subalgoE8ElNS0_10empty_typeEbEEZZNS1_14partition_implILS5_8ELb0ES3_jPlPS6_PKS6_NS0_5tupleIJS9_S6_EEENSD_IJSA_SA_EEENS0_18inequality_wrapperIZN2at6native12_GLOBAL__N_124unique_dim_cuda_templateImEESt5tupleIJNSH_6TensorESM_SM_EERKSM_lbbbEUlllE0_EEPmJS6_EEE10hipError_tPvRmT3_T4_T5_T6_T7_T9_mT8_P12ihipStream_tbDpT10_ENKUlT_T0_E_clISt17integral_constantIbLb0EES1B_IbLb1EEEEDaS17_S18_EUlS17_E_NS1_11comp_targetILNS1_3genE4ELNS1_11target_archE910ELNS1_3gpuE8ELNS1_3repE0EEENS1_30default_config_static_selectorELNS0_4arch9wavefront6targetE0EEEvT1_
	.p2align	8
	.type	_ZN7rocprim17ROCPRIM_400000_NS6detail17trampoline_kernelINS0_14default_configENS1_25partition_config_selectorILNS1_17partition_subalgoE8ElNS0_10empty_typeEbEEZZNS1_14partition_implILS5_8ELb0ES3_jPlPS6_PKS6_NS0_5tupleIJS9_S6_EEENSD_IJSA_SA_EEENS0_18inequality_wrapperIZN2at6native12_GLOBAL__N_124unique_dim_cuda_templateImEESt5tupleIJNSH_6TensorESM_SM_EERKSM_lbbbEUlllE0_EEPmJS6_EEE10hipError_tPvRmT3_T4_T5_T6_T7_T9_mT8_P12ihipStream_tbDpT10_ENKUlT_T0_E_clISt17integral_constantIbLb0EES1B_IbLb1EEEEDaS17_S18_EUlS17_E_NS1_11comp_targetILNS1_3genE4ELNS1_11target_archE910ELNS1_3gpuE8ELNS1_3repE0EEENS1_30default_config_static_selectorELNS0_4arch9wavefront6targetE0EEEvT1_,@function
_ZN7rocprim17ROCPRIM_400000_NS6detail17trampoline_kernelINS0_14default_configENS1_25partition_config_selectorILNS1_17partition_subalgoE8ElNS0_10empty_typeEbEEZZNS1_14partition_implILS5_8ELb0ES3_jPlPS6_PKS6_NS0_5tupleIJS9_S6_EEENSD_IJSA_SA_EEENS0_18inequality_wrapperIZN2at6native12_GLOBAL__N_124unique_dim_cuda_templateImEESt5tupleIJNSH_6TensorESM_SM_EERKSM_lbbbEUlllE0_EEPmJS6_EEE10hipError_tPvRmT3_T4_T5_T6_T7_T9_mT8_P12ihipStream_tbDpT10_ENKUlT_T0_E_clISt17integral_constantIbLb0EES1B_IbLb1EEEEDaS17_S18_EUlS17_E_NS1_11comp_targetILNS1_3genE4ELNS1_11target_archE910ELNS1_3gpuE8ELNS1_3repE0EEENS1_30default_config_static_selectorELNS0_4arch9wavefront6targetE0EEEvT1_: ; @_ZN7rocprim17ROCPRIM_400000_NS6detail17trampoline_kernelINS0_14default_configENS1_25partition_config_selectorILNS1_17partition_subalgoE8ElNS0_10empty_typeEbEEZZNS1_14partition_implILS5_8ELb0ES3_jPlPS6_PKS6_NS0_5tupleIJS9_S6_EEENSD_IJSA_SA_EEENS0_18inequality_wrapperIZN2at6native12_GLOBAL__N_124unique_dim_cuda_templateImEESt5tupleIJNSH_6TensorESM_SM_EERKSM_lbbbEUlllE0_EEPmJS6_EEE10hipError_tPvRmT3_T4_T5_T6_T7_T9_mT8_P12ihipStream_tbDpT10_ENKUlT_T0_E_clISt17integral_constantIbLb0EES1B_IbLb1EEEEDaS17_S18_EUlS17_E_NS1_11comp_targetILNS1_3genE4ELNS1_11target_archE910ELNS1_3gpuE8ELNS1_3repE0EEENS1_30default_config_static_selectorELNS0_4arch9wavefront6targetE0EEEvT1_
; %bb.0:
	.section	.rodata,"a",@progbits
	.p2align	6, 0x0
	.amdhsa_kernel _ZN7rocprim17ROCPRIM_400000_NS6detail17trampoline_kernelINS0_14default_configENS1_25partition_config_selectorILNS1_17partition_subalgoE8ElNS0_10empty_typeEbEEZZNS1_14partition_implILS5_8ELb0ES3_jPlPS6_PKS6_NS0_5tupleIJS9_S6_EEENSD_IJSA_SA_EEENS0_18inequality_wrapperIZN2at6native12_GLOBAL__N_124unique_dim_cuda_templateImEESt5tupleIJNSH_6TensorESM_SM_EERKSM_lbbbEUlllE0_EEPmJS6_EEE10hipError_tPvRmT3_T4_T5_T6_T7_T9_mT8_P12ihipStream_tbDpT10_ENKUlT_T0_E_clISt17integral_constantIbLb0EES1B_IbLb1EEEEDaS17_S18_EUlS17_E_NS1_11comp_targetILNS1_3genE4ELNS1_11target_archE910ELNS1_3gpuE8ELNS1_3repE0EEENS1_30default_config_static_selectorELNS0_4arch9wavefront6targetE0EEEvT1_
		.amdhsa_group_segment_fixed_size 0
		.amdhsa_private_segment_fixed_size 0
		.amdhsa_kernarg_size 136
		.amdhsa_user_sgpr_count 15
		.amdhsa_user_sgpr_dispatch_ptr 0
		.amdhsa_user_sgpr_queue_ptr 0
		.amdhsa_user_sgpr_kernarg_segment_ptr 1
		.amdhsa_user_sgpr_dispatch_id 0
		.amdhsa_user_sgpr_private_segment_size 0
		.amdhsa_wavefront_size32 1
		.amdhsa_uses_dynamic_stack 0
		.amdhsa_enable_private_segment 0
		.amdhsa_system_sgpr_workgroup_id_x 1
		.amdhsa_system_sgpr_workgroup_id_y 0
		.amdhsa_system_sgpr_workgroup_id_z 0
		.amdhsa_system_sgpr_workgroup_info 0
		.amdhsa_system_vgpr_workitem_id 0
		.amdhsa_next_free_vgpr 1
		.amdhsa_next_free_sgpr 1
		.amdhsa_reserve_vcc 0
		.amdhsa_float_round_mode_32 0
		.amdhsa_float_round_mode_16_64 0
		.amdhsa_float_denorm_mode_32 3
		.amdhsa_float_denorm_mode_16_64 3
		.amdhsa_dx10_clamp 1
		.amdhsa_ieee_mode 1
		.amdhsa_fp16_overflow 0
		.amdhsa_workgroup_processor_mode 1
		.amdhsa_memory_ordered 1
		.amdhsa_forward_progress 0
		.amdhsa_shared_vgpr_count 0
		.amdhsa_exception_fp_ieee_invalid_op 0
		.amdhsa_exception_fp_denorm_src 0
		.amdhsa_exception_fp_ieee_div_zero 0
		.amdhsa_exception_fp_ieee_overflow 0
		.amdhsa_exception_fp_ieee_underflow 0
		.amdhsa_exception_fp_ieee_inexact 0
		.amdhsa_exception_int_div_zero 0
	.end_amdhsa_kernel
	.section	.text._ZN7rocprim17ROCPRIM_400000_NS6detail17trampoline_kernelINS0_14default_configENS1_25partition_config_selectorILNS1_17partition_subalgoE8ElNS0_10empty_typeEbEEZZNS1_14partition_implILS5_8ELb0ES3_jPlPS6_PKS6_NS0_5tupleIJS9_S6_EEENSD_IJSA_SA_EEENS0_18inequality_wrapperIZN2at6native12_GLOBAL__N_124unique_dim_cuda_templateImEESt5tupleIJNSH_6TensorESM_SM_EERKSM_lbbbEUlllE0_EEPmJS6_EEE10hipError_tPvRmT3_T4_T5_T6_T7_T9_mT8_P12ihipStream_tbDpT10_ENKUlT_T0_E_clISt17integral_constantIbLb0EES1B_IbLb1EEEEDaS17_S18_EUlS17_E_NS1_11comp_targetILNS1_3genE4ELNS1_11target_archE910ELNS1_3gpuE8ELNS1_3repE0EEENS1_30default_config_static_selectorELNS0_4arch9wavefront6targetE0EEEvT1_,"axG",@progbits,_ZN7rocprim17ROCPRIM_400000_NS6detail17trampoline_kernelINS0_14default_configENS1_25partition_config_selectorILNS1_17partition_subalgoE8ElNS0_10empty_typeEbEEZZNS1_14partition_implILS5_8ELb0ES3_jPlPS6_PKS6_NS0_5tupleIJS9_S6_EEENSD_IJSA_SA_EEENS0_18inequality_wrapperIZN2at6native12_GLOBAL__N_124unique_dim_cuda_templateImEESt5tupleIJNSH_6TensorESM_SM_EERKSM_lbbbEUlllE0_EEPmJS6_EEE10hipError_tPvRmT3_T4_T5_T6_T7_T9_mT8_P12ihipStream_tbDpT10_ENKUlT_T0_E_clISt17integral_constantIbLb0EES1B_IbLb1EEEEDaS17_S18_EUlS17_E_NS1_11comp_targetILNS1_3genE4ELNS1_11target_archE910ELNS1_3gpuE8ELNS1_3repE0EEENS1_30default_config_static_selectorELNS0_4arch9wavefront6targetE0EEEvT1_,comdat
.Lfunc_end1687:
	.size	_ZN7rocprim17ROCPRIM_400000_NS6detail17trampoline_kernelINS0_14default_configENS1_25partition_config_selectorILNS1_17partition_subalgoE8ElNS0_10empty_typeEbEEZZNS1_14partition_implILS5_8ELb0ES3_jPlPS6_PKS6_NS0_5tupleIJS9_S6_EEENSD_IJSA_SA_EEENS0_18inequality_wrapperIZN2at6native12_GLOBAL__N_124unique_dim_cuda_templateImEESt5tupleIJNSH_6TensorESM_SM_EERKSM_lbbbEUlllE0_EEPmJS6_EEE10hipError_tPvRmT3_T4_T5_T6_T7_T9_mT8_P12ihipStream_tbDpT10_ENKUlT_T0_E_clISt17integral_constantIbLb0EES1B_IbLb1EEEEDaS17_S18_EUlS17_E_NS1_11comp_targetILNS1_3genE4ELNS1_11target_archE910ELNS1_3gpuE8ELNS1_3repE0EEENS1_30default_config_static_selectorELNS0_4arch9wavefront6targetE0EEEvT1_, .Lfunc_end1687-_ZN7rocprim17ROCPRIM_400000_NS6detail17trampoline_kernelINS0_14default_configENS1_25partition_config_selectorILNS1_17partition_subalgoE8ElNS0_10empty_typeEbEEZZNS1_14partition_implILS5_8ELb0ES3_jPlPS6_PKS6_NS0_5tupleIJS9_S6_EEENSD_IJSA_SA_EEENS0_18inequality_wrapperIZN2at6native12_GLOBAL__N_124unique_dim_cuda_templateImEESt5tupleIJNSH_6TensorESM_SM_EERKSM_lbbbEUlllE0_EEPmJS6_EEE10hipError_tPvRmT3_T4_T5_T6_T7_T9_mT8_P12ihipStream_tbDpT10_ENKUlT_T0_E_clISt17integral_constantIbLb0EES1B_IbLb1EEEEDaS17_S18_EUlS17_E_NS1_11comp_targetILNS1_3genE4ELNS1_11target_archE910ELNS1_3gpuE8ELNS1_3repE0EEENS1_30default_config_static_selectorELNS0_4arch9wavefront6targetE0EEEvT1_
                                        ; -- End function
	.section	.AMDGPU.csdata,"",@progbits
; Kernel info:
; codeLenInByte = 0
; NumSgprs: 0
; NumVgprs: 0
; ScratchSize: 0
; MemoryBound: 0
; FloatMode: 240
; IeeeMode: 1
; LDSByteSize: 0 bytes/workgroup (compile time only)
; SGPRBlocks: 0
; VGPRBlocks: 0
; NumSGPRsForWavesPerEU: 1
; NumVGPRsForWavesPerEU: 1
; Occupancy: 16
; WaveLimiterHint : 0
; COMPUTE_PGM_RSRC2:SCRATCH_EN: 0
; COMPUTE_PGM_RSRC2:USER_SGPR: 15
; COMPUTE_PGM_RSRC2:TRAP_HANDLER: 0
; COMPUTE_PGM_RSRC2:TGID_X_EN: 1
; COMPUTE_PGM_RSRC2:TGID_Y_EN: 0
; COMPUTE_PGM_RSRC2:TGID_Z_EN: 0
; COMPUTE_PGM_RSRC2:TIDIG_COMP_CNT: 0
	.section	.text._ZN7rocprim17ROCPRIM_400000_NS6detail17trampoline_kernelINS0_14default_configENS1_25partition_config_selectorILNS1_17partition_subalgoE8ElNS0_10empty_typeEbEEZZNS1_14partition_implILS5_8ELb0ES3_jPlPS6_PKS6_NS0_5tupleIJS9_S6_EEENSD_IJSA_SA_EEENS0_18inequality_wrapperIZN2at6native12_GLOBAL__N_124unique_dim_cuda_templateImEESt5tupleIJNSH_6TensorESM_SM_EERKSM_lbbbEUlllE0_EEPmJS6_EEE10hipError_tPvRmT3_T4_T5_T6_T7_T9_mT8_P12ihipStream_tbDpT10_ENKUlT_T0_E_clISt17integral_constantIbLb0EES1B_IbLb1EEEEDaS17_S18_EUlS17_E_NS1_11comp_targetILNS1_3genE3ELNS1_11target_archE908ELNS1_3gpuE7ELNS1_3repE0EEENS1_30default_config_static_selectorELNS0_4arch9wavefront6targetE0EEEvT1_,"axG",@progbits,_ZN7rocprim17ROCPRIM_400000_NS6detail17trampoline_kernelINS0_14default_configENS1_25partition_config_selectorILNS1_17partition_subalgoE8ElNS0_10empty_typeEbEEZZNS1_14partition_implILS5_8ELb0ES3_jPlPS6_PKS6_NS0_5tupleIJS9_S6_EEENSD_IJSA_SA_EEENS0_18inequality_wrapperIZN2at6native12_GLOBAL__N_124unique_dim_cuda_templateImEESt5tupleIJNSH_6TensorESM_SM_EERKSM_lbbbEUlllE0_EEPmJS6_EEE10hipError_tPvRmT3_T4_T5_T6_T7_T9_mT8_P12ihipStream_tbDpT10_ENKUlT_T0_E_clISt17integral_constantIbLb0EES1B_IbLb1EEEEDaS17_S18_EUlS17_E_NS1_11comp_targetILNS1_3genE3ELNS1_11target_archE908ELNS1_3gpuE7ELNS1_3repE0EEENS1_30default_config_static_selectorELNS0_4arch9wavefront6targetE0EEEvT1_,comdat
	.globl	_ZN7rocprim17ROCPRIM_400000_NS6detail17trampoline_kernelINS0_14default_configENS1_25partition_config_selectorILNS1_17partition_subalgoE8ElNS0_10empty_typeEbEEZZNS1_14partition_implILS5_8ELb0ES3_jPlPS6_PKS6_NS0_5tupleIJS9_S6_EEENSD_IJSA_SA_EEENS0_18inequality_wrapperIZN2at6native12_GLOBAL__N_124unique_dim_cuda_templateImEESt5tupleIJNSH_6TensorESM_SM_EERKSM_lbbbEUlllE0_EEPmJS6_EEE10hipError_tPvRmT3_T4_T5_T6_T7_T9_mT8_P12ihipStream_tbDpT10_ENKUlT_T0_E_clISt17integral_constantIbLb0EES1B_IbLb1EEEEDaS17_S18_EUlS17_E_NS1_11comp_targetILNS1_3genE3ELNS1_11target_archE908ELNS1_3gpuE7ELNS1_3repE0EEENS1_30default_config_static_selectorELNS0_4arch9wavefront6targetE0EEEvT1_ ; -- Begin function _ZN7rocprim17ROCPRIM_400000_NS6detail17trampoline_kernelINS0_14default_configENS1_25partition_config_selectorILNS1_17partition_subalgoE8ElNS0_10empty_typeEbEEZZNS1_14partition_implILS5_8ELb0ES3_jPlPS6_PKS6_NS0_5tupleIJS9_S6_EEENSD_IJSA_SA_EEENS0_18inequality_wrapperIZN2at6native12_GLOBAL__N_124unique_dim_cuda_templateImEESt5tupleIJNSH_6TensorESM_SM_EERKSM_lbbbEUlllE0_EEPmJS6_EEE10hipError_tPvRmT3_T4_T5_T6_T7_T9_mT8_P12ihipStream_tbDpT10_ENKUlT_T0_E_clISt17integral_constantIbLb0EES1B_IbLb1EEEEDaS17_S18_EUlS17_E_NS1_11comp_targetILNS1_3genE3ELNS1_11target_archE908ELNS1_3gpuE7ELNS1_3repE0EEENS1_30default_config_static_selectorELNS0_4arch9wavefront6targetE0EEEvT1_
	.p2align	8
	.type	_ZN7rocprim17ROCPRIM_400000_NS6detail17trampoline_kernelINS0_14default_configENS1_25partition_config_selectorILNS1_17partition_subalgoE8ElNS0_10empty_typeEbEEZZNS1_14partition_implILS5_8ELb0ES3_jPlPS6_PKS6_NS0_5tupleIJS9_S6_EEENSD_IJSA_SA_EEENS0_18inequality_wrapperIZN2at6native12_GLOBAL__N_124unique_dim_cuda_templateImEESt5tupleIJNSH_6TensorESM_SM_EERKSM_lbbbEUlllE0_EEPmJS6_EEE10hipError_tPvRmT3_T4_T5_T6_T7_T9_mT8_P12ihipStream_tbDpT10_ENKUlT_T0_E_clISt17integral_constantIbLb0EES1B_IbLb1EEEEDaS17_S18_EUlS17_E_NS1_11comp_targetILNS1_3genE3ELNS1_11target_archE908ELNS1_3gpuE7ELNS1_3repE0EEENS1_30default_config_static_selectorELNS0_4arch9wavefront6targetE0EEEvT1_,@function
_ZN7rocprim17ROCPRIM_400000_NS6detail17trampoline_kernelINS0_14default_configENS1_25partition_config_selectorILNS1_17partition_subalgoE8ElNS0_10empty_typeEbEEZZNS1_14partition_implILS5_8ELb0ES3_jPlPS6_PKS6_NS0_5tupleIJS9_S6_EEENSD_IJSA_SA_EEENS0_18inequality_wrapperIZN2at6native12_GLOBAL__N_124unique_dim_cuda_templateImEESt5tupleIJNSH_6TensorESM_SM_EERKSM_lbbbEUlllE0_EEPmJS6_EEE10hipError_tPvRmT3_T4_T5_T6_T7_T9_mT8_P12ihipStream_tbDpT10_ENKUlT_T0_E_clISt17integral_constantIbLb0EES1B_IbLb1EEEEDaS17_S18_EUlS17_E_NS1_11comp_targetILNS1_3genE3ELNS1_11target_archE908ELNS1_3gpuE7ELNS1_3repE0EEENS1_30default_config_static_selectorELNS0_4arch9wavefront6targetE0EEEvT1_: ; @_ZN7rocprim17ROCPRIM_400000_NS6detail17trampoline_kernelINS0_14default_configENS1_25partition_config_selectorILNS1_17partition_subalgoE8ElNS0_10empty_typeEbEEZZNS1_14partition_implILS5_8ELb0ES3_jPlPS6_PKS6_NS0_5tupleIJS9_S6_EEENSD_IJSA_SA_EEENS0_18inequality_wrapperIZN2at6native12_GLOBAL__N_124unique_dim_cuda_templateImEESt5tupleIJNSH_6TensorESM_SM_EERKSM_lbbbEUlllE0_EEPmJS6_EEE10hipError_tPvRmT3_T4_T5_T6_T7_T9_mT8_P12ihipStream_tbDpT10_ENKUlT_T0_E_clISt17integral_constantIbLb0EES1B_IbLb1EEEEDaS17_S18_EUlS17_E_NS1_11comp_targetILNS1_3genE3ELNS1_11target_archE908ELNS1_3gpuE7ELNS1_3repE0EEENS1_30default_config_static_selectorELNS0_4arch9wavefront6targetE0EEEvT1_
; %bb.0:
	.section	.rodata,"a",@progbits
	.p2align	6, 0x0
	.amdhsa_kernel _ZN7rocprim17ROCPRIM_400000_NS6detail17trampoline_kernelINS0_14default_configENS1_25partition_config_selectorILNS1_17partition_subalgoE8ElNS0_10empty_typeEbEEZZNS1_14partition_implILS5_8ELb0ES3_jPlPS6_PKS6_NS0_5tupleIJS9_S6_EEENSD_IJSA_SA_EEENS0_18inequality_wrapperIZN2at6native12_GLOBAL__N_124unique_dim_cuda_templateImEESt5tupleIJNSH_6TensorESM_SM_EERKSM_lbbbEUlllE0_EEPmJS6_EEE10hipError_tPvRmT3_T4_T5_T6_T7_T9_mT8_P12ihipStream_tbDpT10_ENKUlT_T0_E_clISt17integral_constantIbLb0EES1B_IbLb1EEEEDaS17_S18_EUlS17_E_NS1_11comp_targetILNS1_3genE3ELNS1_11target_archE908ELNS1_3gpuE7ELNS1_3repE0EEENS1_30default_config_static_selectorELNS0_4arch9wavefront6targetE0EEEvT1_
		.amdhsa_group_segment_fixed_size 0
		.amdhsa_private_segment_fixed_size 0
		.amdhsa_kernarg_size 136
		.amdhsa_user_sgpr_count 15
		.amdhsa_user_sgpr_dispatch_ptr 0
		.amdhsa_user_sgpr_queue_ptr 0
		.amdhsa_user_sgpr_kernarg_segment_ptr 1
		.amdhsa_user_sgpr_dispatch_id 0
		.amdhsa_user_sgpr_private_segment_size 0
		.amdhsa_wavefront_size32 1
		.amdhsa_uses_dynamic_stack 0
		.amdhsa_enable_private_segment 0
		.amdhsa_system_sgpr_workgroup_id_x 1
		.amdhsa_system_sgpr_workgroup_id_y 0
		.amdhsa_system_sgpr_workgroup_id_z 0
		.amdhsa_system_sgpr_workgroup_info 0
		.amdhsa_system_vgpr_workitem_id 0
		.amdhsa_next_free_vgpr 1
		.amdhsa_next_free_sgpr 1
		.amdhsa_reserve_vcc 0
		.amdhsa_float_round_mode_32 0
		.amdhsa_float_round_mode_16_64 0
		.amdhsa_float_denorm_mode_32 3
		.amdhsa_float_denorm_mode_16_64 3
		.amdhsa_dx10_clamp 1
		.amdhsa_ieee_mode 1
		.amdhsa_fp16_overflow 0
		.amdhsa_workgroup_processor_mode 1
		.amdhsa_memory_ordered 1
		.amdhsa_forward_progress 0
		.amdhsa_shared_vgpr_count 0
		.amdhsa_exception_fp_ieee_invalid_op 0
		.amdhsa_exception_fp_denorm_src 0
		.amdhsa_exception_fp_ieee_div_zero 0
		.amdhsa_exception_fp_ieee_overflow 0
		.amdhsa_exception_fp_ieee_underflow 0
		.amdhsa_exception_fp_ieee_inexact 0
		.amdhsa_exception_int_div_zero 0
	.end_amdhsa_kernel
	.section	.text._ZN7rocprim17ROCPRIM_400000_NS6detail17trampoline_kernelINS0_14default_configENS1_25partition_config_selectorILNS1_17partition_subalgoE8ElNS0_10empty_typeEbEEZZNS1_14partition_implILS5_8ELb0ES3_jPlPS6_PKS6_NS0_5tupleIJS9_S6_EEENSD_IJSA_SA_EEENS0_18inequality_wrapperIZN2at6native12_GLOBAL__N_124unique_dim_cuda_templateImEESt5tupleIJNSH_6TensorESM_SM_EERKSM_lbbbEUlllE0_EEPmJS6_EEE10hipError_tPvRmT3_T4_T5_T6_T7_T9_mT8_P12ihipStream_tbDpT10_ENKUlT_T0_E_clISt17integral_constantIbLb0EES1B_IbLb1EEEEDaS17_S18_EUlS17_E_NS1_11comp_targetILNS1_3genE3ELNS1_11target_archE908ELNS1_3gpuE7ELNS1_3repE0EEENS1_30default_config_static_selectorELNS0_4arch9wavefront6targetE0EEEvT1_,"axG",@progbits,_ZN7rocprim17ROCPRIM_400000_NS6detail17trampoline_kernelINS0_14default_configENS1_25partition_config_selectorILNS1_17partition_subalgoE8ElNS0_10empty_typeEbEEZZNS1_14partition_implILS5_8ELb0ES3_jPlPS6_PKS6_NS0_5tupleIJS9_S6_EEENSD_IJSA_SA_EEENS0_18inequality_wrapperIZN2at6native12_GLOBAL__N_124unique_dim_cuda_templateImEESt5tupleIJNSH_6TensorESM_SM_EERKSM_lbbbEUlllE0_EEPmJS6_EEE10hipError_tPvRmT3_T4_T5_T6_T7_T9_mT8_P12ihipStream_tbDpT10_ENKUlT_T0_E_clISt17integral_constantIbLb0EES1B_IbLb1EEEEDaS17_S18_EUlS17_E_NS1_11comp_targetILNS1_3genE3ELNS1_11target_archE908ELNS1_3gpuE7ELNS1_3repE0EEENS1_30default_config_static_selectorELNS0_4arch9wavefront6targetE0EEEvT1_,comdat
.Lfunc_end1688:
	.size	_ZN7rocprim17ROCPRIM_400000_NS6detail17trampoline_kernelINS0_14default_configENS1_25partition_config_selectorILNS1_17partition_subalgoE8ElNS0_10empty_typeEbEEZZNS1_14partition_implILS5_8ELb0ES3_jPlPS6_PKS6_NS0_5tupleIJS9_S6_EEENSD_IJSA_SA_EEENS0_18inequality_wrapperIZN2at6native12_GLOBAL__N_124unique_dim_cuda_templateImEESt5tupleIJNSH_6TensorESM_SM_EERKSM_lbbbEUlllE0_EEPmJS6_EEE10hipError_tPvRmT3_T4_T5_T6_T7_T9_mT8_P12ihipStream_tbDpT10_ENKUlT_T0_E_clISt17integral_constantIbLb0EES1B_IbLb1EEEEDaS17_S18_EUlS17_E_NS1_11comp_targetILNS1_3genE3ELNS1_11target_archE908ELNS1_3gpuE7ELNS1_3repE0EEENS1_30default_config_static_selectorELNS0_4arch9wavefront6targetE0EEEvT1_, .Lfunc_end1688-_ZN7rocprim17ROCPRIM_400000_NS6detail17trampoline_kernelINS0_14default_configENS1_25partition_config_selectorILNS1_17partition_subalgoE8ElNS0_10empty_typeEbEEZZNS1_14partition_implILS5_8ELb0ES3_jPlPS6_PKS6_NS0_5tupleIJS9_S6_EEENSD_IJSA_SA_EEENS0_18inequality_wrapperIZN2at6native12_GLOBAL__N_124unique_dim_cuda_templateImEESt5tupleIJNSH_6TensorESM_SM_EERKSM_lbbbEUlllE0_EEPmJS6_EEE10hipError_tPvRmT3_T4_T5_T6_T7_T9_mT8_P12ihipStream_tbDpT10_ENKUlT_T0_E_clISt17integral_constantIbLb0EES1B_IbLb1EEEEDaS17_S18_EUlS17_E_NS1_11comp_targetILNS1_3genE3ELNS1_11target_archE908ELNS1_3gpuE7ELNS1_3repE0EEENS1_30default_config_static_selectorELNS0_4arch9wavefront6targetE0EEEvT1_
                                        ; -- End function
	.section	.AMDGPU.csdata,"",@progbits
; Kernel info:
; codeLenInByte = 0
; NumSgprs: 0
; NumVgprs: 0
; ScratchSize: 0
; MemoryBound: 0
; FloatMode: 240
; IeeeMode: 1
; LDSByteSize: 0 bytes/workgroup (compile time only)
; SGPRBlocks: 0
; VGPRBlocks: 0
; NumSGPRsForWavesPerEU: 1
; NumVGPRsForWavesPerEU: 1
; Occupancy: 16
; WaveLimiterHint : 0
; COMPUTE_PGM_RSRC2:SCRATCH_EN: 0
; COMPUTE_PGM_RSRC2:USER_SGPR: 15
; COMPUTE_PGM_RSRC2:TRAP_HANDLER: 0
; COMPUTE_PGM_RSRC2:TGID_X_EN: 1
; COMPUTE_PGM_RSRC2:TGID_Y_EN: 0
; COMPUTE_PGM_RSRC2:TGID_Z_EN: 0
; COMPUTE_PGM_RSRC2:TIDIG_COMP_CNT: 0
	.section	.text._ZN7rocprim17ROCPRIM_400000_NS6detail17trampoline_kernelINS0_14default_configENS1_25partition_config_selectorILNS1_17partition_subalgoE8ElNS0_10empty_typeEbEEZZNS1_14partition_implILS5_8ELb0ES3_jPlPS6_PKS6_NS0_5tupleIJS9_S6_EEENSD_IJSA_SA_EEENS0_18inequality_wrapperIZN2at6native12_GLOBAL__N_124unique_dim_cuda_templateImEESt5tupleIJNSH_6TensorESM_SM_EERKSM_lbbbEUlllE0_EEPmJS6_EEE10hipError_tPvRmT3_T4_T5_T6_T7_T9_mT8_P12ihipStream_tbDpT10_ENKUlT_T0_E_clISt17integral_constantIbLb0EES1B_IbLb1EEEEDaS17_S18_EUlS17_E_NS1_11comp_targetILNS1_3genE2ELNS1_11target_archE906ELNS1_3gpuE6ELNS1_3repE0EEENS1_30default_config_static_selectorELNS0_4arch9wavefront6targetE0EEEvT1_,"axG",@progbits,_ZN7rocprim17ROCPRIM_400000_NS6detail17trampoline_kernelINS0_14default_configENS1_25partition_config_selectorILNS1_17partition_subalgoE8ElNS0_10empty_typeEbEEZZNS1_14partition_implILS5_8ELb0ES3_jPlPS6_PKS6_NS0_5tupleIJS9_S6_EEENSD_IJSA_SA_EEENS0_18inequality_wrapperIZN2at6native12_GLOBAL__N_124unique_dim_cuda_templateImEESt5tupleIJNSH_6TensorESM_SM_EERKSM_lbbbEUlllE0_EEPmJS6_EEE10hipError_tPvRmT3_T4_T5_T6_T7_T9_mT8_P12ihipStream_tbDpT10_ENKUlT_T0_E_clISt17integral_constantIbLb0EES1B_IbLb1EEEEDaS17_S18_EUlS17_E_NS1_11comp_targetILNS1_3genE2ELNS1_11target_archE906ELNS1_3gpuE6ELNS1_3repE0EEENS1_30default_config_static_selectorELNS0_4arch9wavefront6targetE0EEEvT1_,comdat
	.globl	_ZN7rocprim17ROCPRIM_400000_NS6detail17trampoline_kernelINS0_14default_configENS1_25partition_config_selectorILNS1_17partition_subalgoE8ElNS0_10empty_typeEbEEZZNS1_14partition_implILS5_8ELb0ES3_jPlPS6_PKS6_NS0_5tupleIJS9_S6_EEENSD_IJSA_SA_EEENS0_18inequality_wrapperIZN2at6native12_GLOBAL__N_124unique_dim_cuda_templateImEESt5tupleIJNSH_6TensorESM_SM_EERKSM_lbbbEUlllE0_EEPmJS6_EEE10hipError_tPvRmT3_T4_T5_T6_T7_T9_mT8_P12ihipStream_tbDpT10_ENKUlT_T0_E_clISt17integral_constantIbLb0EES1B_IbLb1EEEEDaS17_S18_EUlS17_E_NS1_11comp_targetILNS1_3genE2ELNS1_11target_archE906ELNS1_3gpuE6ELNS1_3repE0EEENS1_30default_config_static_selectorELNS0_4arch9wavefront6targetE0EEEvT1_ ; -- Begin function _ZN7rocprim17ROCPRIM_400000_NS6detail17trampoline_kernelINS0_14default_configENS1_25partition_config_selectorILNS1_17partition_subalgoE8ElNS0_10empty_typeEbEEZZNS1_14partition_implILS5_8ELb0ES3_jPlPS6_PKS6_NS0_5tupleIJS9_S6_EEENSD_IJSA_SA_EEENS0_18inequality_wrapperIZN2at6native12_GLOBAL__N_124unique_dim_cuda_templateImEESt5tupleIJNSH_6TensorESM_SM_EERKSM_lbbbEUlllE0_EEPmJS6_EEE10hipError_tPvRmT3_T4_T5_T6_T7_T9_mT8_P12ihipStream_tbDpT10_ENKUlT_T0_E_clISt17integral_constantIbLb0EES1B_IbLb1EEEEDaS17_S18_EUlS17_E_NS1_11comp_targetILNS1_3genE2ELNS1_11target_archE906ELNS1_3gpuE6ELNS1_3repE0EEENS1_30default_config_static_selectorELNS0_4arch9wavefront6targetE0EEEvT1_
	.p2align	8
	.type	_ZN7rocprim17ROCPRIM_400000_NS6detail17trampoline_kernelINS0_14default_configENS1_25partition_config_selectorILNS1_17partition_subalgoE8ElNS0_10empty_typeEbEEZZNS1_14partition_implILS5_8ELb0ES3_jPlPS6_PKS6_NS0_5tupleIJS9_S6_EEENSD_IJSA_SA_EEENS0_18inequality_wrapperIZN2at6native12_GLOBAL__N_124unique_dim_cuda_templateImEESt5tupleIJNSH_6TensorESM_SM_EERKSM_lbbbEUlllE0_EEPmJS6_EEE10hipError_tPvRmT3_T4_T5_T6_T7_T9_mT8_P12ihipStream_tbDpT10_ENKUlT_T0_E_clISt17integral_constantIbLb0EES1B_IbLb1EEEEDaS17_S18_EUlS17_E_NS1_11comp_targetILNS1_3genE2ELNS1_11target_archE906ELNS1_3gpuE6ELNS1_3repE0EEENS1_30default_config_static_selectorELNS0_4arch9wavefront6targetE0EEEvT1_,@function
_ZN7rocprim17ROCPRIM_400000_NS6detail17trampoline_kernelINS0_14default_configENS1_25partition_config_selectorILNS1_17partition_subalgoE8ElNS0_10empty_typeEbEEZZNS1_14partition_implILS5_8ELb0ES3_jPlPS6_PKS6_NS0_5tupleIJS9_S6_EEENSD_IJSA_SA_EEENS0_18inequality_wrapperIZN2at6native12_GLOBAL__N_124unique_dim_cuda_templateImEESt5tupleIJNSH_6TensorESM_SM_EERKSM_lbbbEUlllE0_EEPmJS6_EEE10hipError_tPvRmT3_T4_T5_T6_T7_T9_mT8_P12ihipStream_tbDpT10_ENKUlT_T0_E_clISt17integral_constantIbLb0EES1B_IbLb1EEEEDaS17_S18_EUlS17_E_NS1_11comp_targetILNS1_3genE2ELNS1_11target_archE906ELNS1_3gpuE6ELNS1_3repE0EEENS1_30default_config_static_selectorELNS0_4arch9wavefront6targetE0EEEvT1_: ; @_ZN7rocprim17ROCPRIM_400000_NS6detail17trampoline_kernelINS0_14default_configENS1_25partition_config_selectorILNS1_17partition_subalgoE8ElNS0_10empty_typeEbEEZZNS1_14partition_implILS5_8ELb0ES3_jPlPS6_PKS6_NS0_5tupleIJS9_S6_EEENSD_IJSA_SA_EEENS0_18inequality_wrapperIZN2at6native12_GLOBAL__N_124unique_dim_cuda_templateImEESt5tupleIJNSH_6TensorESM_SM_EERKSM_lbbbEUlllE0_EEPmJS6_EEE10hipError_tPvRmT3_T4_T5_T6_T7_T9_mT8_P12ihipStream_tbDpT10_ENKUlT_T0_E_clISt17integral_constantIbLb0EES1B_IbLb1EEEEDaS17_S18_EUlS17_E_NS1_11comp_targetILNS1_3genE2ELNS1_11target_archE906ELNS1_3gpuE6ELNS1_3repE0EEENS1_30default_config_static_selectorELNS0_4arch9wavefront6targetE0EEEvT1_
; %bb.0:
	.section	.rodata,"a",@progbits
	.p2align	6, 0x0
	.amdhsa_kernel _ZN7rocprim17ROCPRIM_400000_NS6detail17trampoline_kernelINS0_14default_configENS1_25partition_config_selectorILNS1_17partition_subalgoE8ElNS0_10empty_typeEbEEZZNS1_14partition_implILS5_8ELb0ES3_jPlPS6_PKS6_NS0_5tupleIJS9_S6_EEENSD_IJSA_SA_EEENS0_18inequality_wrapperIZN2at6native12_GLOBAL__N_124unique_dim_cuda_templateImEESt5tupleIJNSH_6TensorESM_SM_EERKSM_lbbbEUlllE0_EEPmJS6_EEE10hipError_tPvRmT3_T4_T5_T6_T7_T9_mT8_P12ihipStream_tbDpT10_ENKUlT_T0_E_clISt17integral_constantIbLb0EES1B_IbLb1EEEEDaS17_S18_EUlS17_E_NS1_11comp_targetILNS1_3genE2ELNS1_11target_archE906ELNS1_3gpuE6ELNS1_3repE0EEENS1_30default_config_static_selectorELNS0_4arch9wavefront6targetE0EEEvT1_
		.amdhsa_group_segment_fixed_size 0
		.amdhsa_private_segment_fixed_size 0
		.amdhsa_kernarg_size 136
		.amdhsa_user_sgpr_count 15
		.amdhsa_user_sgpr_dispatch_ptr 0
		.amdhsa_user_sgpr_queue_ptr 0
		.amdhsa_user_sgpr_kernarg_segment_ptr 1
		.amdhsa_user_sgpr_dispatch_id 0
		.amdhsa_user_sgpr_private_segment_size 0
		.amdhsa_wavefront_size32 1
		.amdhsa_uses_dynamic_stack 0
		.amdhsa_enable_private_segment 0
		.amdhsa_system_sgpr_workgroup_id_x 1
		.amdhsa_system_sgpr_workgroup_id_y 0
		.amdhsa_system_sgpr_workgroup_id_z 0
		.amdhsa_system_sgpr_workgroup_info 0
		.amdhsa_system_vgpr_workitem_id 0
		.amdhsa_next_free_vgpr 1
		.amdhsa_next_free_sgpr 1
		.amdhsa_reserve_vcc 0
		.amdhsa_float_round_mode_32 0
		.amdhsa_float_round_mode_16_64 0
		.amdhsa_float_denorm_mode_32 3
		.amdhsa_float_denorm_mode_16_64 3
		.amdhsa_dx10_clamp 1
		.amdhsa_ieee_mode 1
		.amdhsa_fp16_overflow 0
		.amdhsa_workgroup_processor_mode 1
		.amdhsa_memory_ordered 1
		.amdhsa_forward_progress 0
		.amdhsa_shared_vgpr_count 0
		.amdhsa_exception_fp_ieee_invalid_op 0
		.amdhsa_exception_fp_denorm_src 0
		.amdhsa_exception_fp_ieee_div_zero 0
		.amdhsa_exception_fp_ieee_overflow 0
		.amdhsa_exception_fp_ieee_underflow 0
		.amdhsa_exception_fp_ieee_inexact 0
		.amdhsa_exception_int_div_zero 0
	.end_amdhsa_kernel
	.section	.text._ZN7rocprim17ROCPRIM_400000_NS6detail17trampoline_kernelINS0_14default_configENS1_25partition_config_selectorILNS1_17partition_subalgoE8ElNS0_10empty_typeEbEEZZNS1_14partition_implILS5_8ELb0ES3_jPlPS6_PKS6_NS0_5tupleIJS9_S6_EEENSD_IJSA_SA_EEENS0_18inequality_wrapperIZN2at6native12_GLOBAL__N_124unique_dim_cuda_templateImEESt5tupleIJNSH_6TensorESM_SM_EERKSM_lbbbEUlllE0_EEPmJS6_EEE10hipError_tPvRmT3_T4_T5_T6_T7_T9_mT8_P12ihipStream_tbDpT10_ENKUlT_T0_E_clISt17integral_constantIbLb0EES1B_IbLb1EEEEDaS17_S18_EUlS17_E_NS1_11comp_targetILNS1_3genE2ELNS1_11target_archE906ELNS1_3gpuE6ELNS1_3repE0EEENS1_30default_config_static_selectorELNS0_4arch9wavefront6targetE0EEEvT1_,"axG",@progbits,_ZN7rocprim17ROCPRIM_400000_NS6detail17trampoline_kernelINS0_14default_configENS1_25partition_config_selectorILNS1_17partition_subalgoE8ElNS0_10empty_typeEbEEZZNS1_14partition_implILS5_8ELb0ES3_jPlPS6_PKS6_NS0_5tupleIJS9_S6_EEENSD_IJSA_SA_EEENS0_18inequality_wrapperIZN2at6native12_GLOBAL__N_124unique_dim_cuda_templateImEESt5tupleIJNSH_6TensorESM_SM_EERKSM_lbbbEUlllE0_EEPmJS6_EEE10hipError_tPvRmT3_T4_T5_T6_T7_T9_mT8_P12ihipStream_tbDpT10_ENKUlT_T0_E_clISt17integral_constantIbLb0EES1B_IbLb1EEEEDaS17_S18_EUlS17_E_NS1_11comp_targetILNS1_3genE2ELNS1_11target_archE906ELNS1_3gpuE6ELNS1_3repE0EEENS1_30default_config_static_selectorELNS0_4arch9wavefront6targetE0EEEvT1_,comdat
.Lfunc_end1689:
	.size	_ZN7rocprim17ROCPRIM_400000_NS6detail17trampoline_kernelINS0_14default_configENS1_25partition_config_selectorILNS1_17partition_subalgoE8ElNS0_10empty_typeEbEEZZNS1_14partition_implILS5_8ELb0ES3_jPlPS6_PKS6_NS0_5tupleIJS9_S6_EEENSD_IJSA_SA_EEENS0_18inequality_wrapperIZN2at6native12_GLOBAL__N_124unique_dim_cuda_templateImEESt5tupleIJNSH_6TensorESM_SM_EERKSM_lbbbEUlllE0_EEPmJS6_EEE10hipError_tPvRmT3_T4_T5_T6_T7_T9_mT8_P12ihipStream_tbDpT10_ENKUlT_T0_E_clISt17integral_constantIbLb0EES1B_IbLb1EEEEDaS17_S18_EUlS17_E_NS1_11comp_targetILNS1_3genE2ELNS1_11target_archE906ELNS1_3gpuE6ELNS1_3repE0EEENS1_30default_config_static_selectorELNS0_4arch9wavefront6targetE0EEEvT1_, .Lfunc_end1689-_ZN7rocprim17ROCPRIM_400000_NS6detail17trampoline_kernelINS0_14default_configENS1_25partition_config_selectorILNS1_17partition_subalgoE8ElNS0_10empty_typeEbEEZZNS1_14partition_implILS5_8ELb0ES3_jPlPS6_PKS6_NS0_5tupleIJS9_S6_EEENSD_IJSA_SA_EEENS0_18inequality_wrapperIZN2at6native12_GLOBAL__N_124unique_dim_cuda_templateImEESt5tupleIJNSH_6TensorESM_SM_EERKSM_lbbbEUlllE0_EEPmJS6_EEE10hipError_tPvRmT3_T4_T5_T6_T7_T9_mT8_P12ihipStream_tbDpT10_ENKUlT_T0_E_clISt17integral_constantIbLb0EES1B_IbLb1EEEEDaS17_S18_EUlS17_E_NS1_11comp_targetILNS1_3genE2ELNS1_11target_archE906ELNS1_3gpuE6ELNS1_3repE0EEENS1_30default_config_static_selectorELNS0_4arch9wavefront6targetE0EEEvT1_
                                        ; -- End function
	.section	.AMDGPU.csdata,"",@progbits
; Kernel info:
; codeLenInByte = 0
; NumSgprs: 0
; NumVgprs: 0
; ScratchSize: 0
; MemoryBound: 0
; FloatMode: 240
; IeeeMode: 1
; LDSByteSize: 0 bytes/workgroup (compile time only)
; SGPRBlocks: 0
; VGPRBlocks: 0
; NumSGPRsForWavesPerEU: 1
; NumVGPRsForWavesPerEU: 1
; Occupancy: 16
; WaveLimiterHint : 0
; COMPUTE_PGM_RSRC2:SCRATCH_EN: 0
; COMPUTE_PGM_RSRC2:USER_SGPR: 15
; COMPUTE_PGM_RSRC2:TRAP_HANDLER: 0
; COMPUTE_PGM_RSRC2:TGID_X_EN: 1
; COMPUTE_PGM_RSRC2:TGID_Y_EN: 0
; COMPUTE_PGM_RSRC2:TGID_Z_EN: 0
; COMPUTE_PGM_RSRC2:TIDIG_COMP_CNT: 0
	.section	.text._ZN7rocprim17ROCPRIM_400000_NS6detail17trampoline_kernelINS0_14default_configENS1_25partition_config_selectorILNS1_17partition_subalgoE8ElNS0_10empty_typeEbEEZZNS1_14partition_implILS5_8ELb0ES3_jPlPS6_PKS6_NS0_5tupleIJS9_S6_EEENSD_IJSA_SA_EEENS0_18inequality_wrapperIZN2at6native12_GLOBAL__N_124unique_dim_cuda_templateImEESt5tupleIJNSH_6TensorESM_SM_EERKSM_lbbbEUlllE0_EEPmJS6_EEE10hipError_tPvRmT3_T4_T5_T6_T7_T9_mT8_P12ihipStream_tbDpT10_ENKUlT_T0_E_clISt17integral_constantIbLb0EES1B_IbLb1EEEEDaS17_S18_EUlS17_E_NS1_11comp_targetILNS1_3genE10ELNS1_11target_archE1200ELNS1_3gpuE4ELNS1_3repE0EEENS1_30default_config_static_selectorELNS0_4arch9wavefront6targetE0EEEvT1_,"axG",@progbits,_ZN7rocprim17ROCPRIM_400000_NS6detail17trampoline_kernelINS0_14default_configENS1_25partition_config_selectorILNS1_17partition_subalgoE8ElNS0_10empty_typeEbEEZZNS1_14partition_implILS5_8ELb0ES3_jPlPS6_PKS6_NS0_5tupleIJS9_S6_EEENSD_IJSA_SA_EEENS0_18inequality_wrapperIZN2at6native12_GLOBAL__N_124unique_dim_cuda_templateImEESt5tupleIJNSH_6TensorESM_SM_EERKSM_lbbbEUlllE0_EEPmJS6_EEE10hipError_tPvRmT3_T4_T5_T6_T7_T9_mT8_P12ihipStream_tbDpT10_ENKUlT_T0_E_clISt17integral_constantIbLb0EES1B_IbLb1EEEEDaS17_S18_EUlS17_E_NS1_11comp_targetILNS1_3genE10ELNS1_11target_archE1200ELNS1_3gpuE4ELNS1_3repE0EEENS1_30default_config_static_selectorELNS0_4arch9wavefront6targetE0EEEvT1_,comdat
	.globl	_ZN7rocprim17ROCPRIM_400000_NS6detail17trampoline_kernelINS0_14default_configENS1_25partition_config_selectorILNS1_17partition_subalgoE8ElNS0_10empty_typeEbEEZZNS1_14partition_implILS5_8ELb0ES3_jPlPS6_PKS6_NS0_5tupleIJS9_S6_EEENSD_IJSA_SA_EEENS0_18inequality_wrapperIZN2at6native12_GLOBAL__N_124unique_dim_cuda_templateImEESt5tupleIJNSH_6TensorESM_SM_EERKSM_lbbbEUlllE0_EEPmJS6_EEE10hipError_tPvRmT3_T4_T5_T6_T7_T9_mT8_P12ihipStream_tbDpT10_ENKUlT_T0_E_clISt17integral_constantIbLb0EES1B_IbLb1EEEEDaS17_S18_EUlS17_E_NS1_11comp_targetILNS1_3genE10ELNS1_11target_archE1200ELNS1_3gpuE4ELNS1_3repE0EEENS1_30default_config_static_selectorELNS0_4arch9wavefront6targetE0EEEvT1_ ; -- Begin function _ZN7rocprim17ROCPRIM_400000_NS6detail17trampoline_kernelINS0_14default_configENS1_25partition_config_selectorILNS1_17partition_subalgoE8ElNS0_10empty_typeEbEEZZNS1_14partition_implILS5_8ELb0ES3_jPlPS6_PKS6_NS0_5tupleIJS9_S6_EEENSD_IJSA_SA_EEENS0_18inequality_wrapperIZN2at6native12_GLOBAL__N_124unique_dim_cuda_templateImEESt5tupleIJNSH_6TensorESM_SM_EERKSM_lbbbEUlllE0_EEPmJS6_EEE10hipError_tPvRmT3_T4_T5_T6_T7_T9_mT8_P12ihipStream_tbDpT10_ENKUlT_T0_E_clISt17integral_constantIbLb0EES1B_IbLb1EEEEDaS17_S18_EUlS17_E_NS1_11comp_targetILNS1_3genE10ELNS1_11target_archE1200ELNS1_3gpuE4ELNS1_3repE0EEENS1_30default_config_static_selectorELNS0_4arch9wavefront6targetE0EEEvT1_
	.p2align	8
	.type	_ZN7rocprim17ROCPRIM_400000_NS6detail17trampoline_kernelINS0_14default_configENS1_25partition_config_selectorILNS1_17partition_subalgoE8ElNS0_10empty_typeEbEEZZNS1_14partition_implILS5_8ELb0ES3_jPlPS6_PKS6_NS0_5tupleIJS9_S6_EEENSD_IJSA_SA_EEENS0_18inequality_wrapperIZN2at6native12_GLOBAL__N_124unique_dim_cuda_templateImEESt5tupleIJNSH_6TensorESM_SM_EERKSM_lbbbEUlllE0_EEPmJS6_EEE10hipError_tPvRmT3_T4_T5_T6_T7_T9_mT8_P12ihipStream_tbDpT10_ENKUlT_T0_E_clISt17integral_constantIbLb0EES1B_IbLb1EEEEDaS17_S18_EUlS17_E_NS1_11comp_targetILNS1_3genE10ELNS1_11target_archE1200ELNS1_3gpuE4ELNS1_3repE0EEENS1_30default_config_static_selectorELNS0_4arch9wavefront6targetE0EEEvT1_,@function
_ZN7rocprim17ROCPRIM_400000_NS6detail17trampoline_kernelINS0_14default_configENS1_25partition_config_selectorILNS1_17partition_subalgoE8ElNS0_10empty_typeEbEEZZNS1_14partition_implILS5_8ELb0ES3_jPlPS6_PKS6_NS0_5tupleIJS9_S6_EEENSD_IJSA_SA_EEENS0_18inequality_wrapperIZN2at6native12_GLOBAL__N_124unique_dim_cuda_templateImEESt5tupleIJNSH_6TensorESM_SM_EERKSM_lbbbEUlllE0_EEPmJS6_EEE10hipError_tPvRmT3_T4_T5_T6_T7_T9_mT8_P12ihipStream_tbDpT10_ENKUlT_T0_E_clISt17integral_constantIbLb0EES1B_IbLb1EEEEDaS17_S18_EUlS17_E_NS1_11comp_targetILNS1_3genE10ELNS1_11target_archE1200ELNS1_3gpuE4ELNS1_3repE0EEENS1_30default_config_static_selectorELNS0_4arch9wavefront6targetE0EEEvT1_: ; @_ZN7rocprim17ROCPRIM_400000_NS6detail17trampoline_kernelINS0_14default_configENS1_25partition_config_selectorILNS1_17partition_subalgoE8ElNS0_10empty_typeEbEEZZNS1_14partition_implILS5_8ELb0ES3_jPlPS6_PKS6_NS0_5tupleIJS9_S6_EEENSD_IJSA_SA_EEENS0_18inequality_wrapperIZN2at6native12_GLOBAL__N_124unique_dim_cuda_templateImEESt5tupleIJNSH_6TensorESM_SM_EERKSM_lbbbEUlllE0_EEPmJS6_EEE10hipError_tPvRmT3_T4_T5_T6_T7_T9_mT8_P12ihipStream_tbDpT10_ENKUlT_T0_E_clISt17integral_constantIbLb0EES1B_IbLb1EEEEDaS17_S18_EUlS17_E_NS1_11comp_targetILNS1_3genE10ELNS1_11target_archE1200ELNS1_3gpuE4ELNS1_3repE0EEENS1_30default_config_static_selectorELNS0_4arch9wavefront6targetE0EEEvT1_
; %bb.0:
	.section	.rodata,"a",@progbits
	.p2align	6, 0x0
	.amdhsa_kernel _ZN7rocprim17ROCPRIM_400000_NS6detail17trampoline_kernelINS0_14default_configENS1_25partition_config_selectorILNS1_17partition_subalgoE8ElNS0_10empty_typeEbEEZZNS1_14partition_implILS5_8ELb0ES3_jPlPS6_PKS6_NS0_5tupleIJS9_S6_EEENSD_IJSA_SA_EEENS0_18inequality_wrapperIZN2at6native12_GLOBAL__N_124unique_dim_cuda_templateImEESt5tupleIJNSH_6TensorESM_SM_EERKSM_lbbbEUlllE0_EEPmJS6_EEE10hipError_tPvRmT3_T4_T5_T6_T7_T9_mT8_P12ihipStream_tbDpT10_ENKUlT_T0_E_clISt17integral_constantIbLb0EES1B_IbLb1EEEEDaS17_S18_EUlS17_E_NS1_11comp_targetILNS1_3genE10ELNS1_11target_archE1200ELNS1_3gpuE4ELNS1_3repE0EEENS1_30default_config_static_selectorELNS0_4arch9wavefront6targetE0EEEvT1_
		.amdhsa_group_segment_fixed_size 0
		.amdhsa_private_segment_fixed_size 0
		.amdhsa_kernarg_size 136
		.amdhsa_user_sgpr_count 15
		.amdhsa_user_sgpr_dispatch_ptr 0
		.amdhsa_user_sgpr_queue_ptr 0
		.amdhsa_user_sgpr_kernarg_segment_ptr 1
		.amdhsa_user_sgpr_dispatch_id 0
		.amdhsa_user_sgpr_private_segment_size 0
		.amdhsa_wavefront_size32 1
		.amdhsa_uses_dynamic_stack 0
		.amdhsa_enable_private_segment 0
		.amdhsa_system_sgpr_workgroup_id_x 1
		.amdhsa_system_sgpr_workgroup_id_y 0
		.amdhsa_system_sgpr_workgroup_id_z 0
		.amdhsa_system_sgpr_workgroup_info 0
		.amdhsa_system_vgpr_workitem_id 0
		.amdhsa_next_free_vgpr 1
		.amdhsa_next_free_sgpr 1
		.amdhsa_reserve_vcc 0
		.amdhsa_float_round_mode_32 0
		.amdhsa_float_round_mode_16_64 0
		.amdhsa_float_denorm_mode_32 3
		.amdhsa_float_denorm_mode_16_64 3
		.amdhsa_dx10_clamp 1
		.amdhsa_ieee_mode 1
		.amdhsa_fp16_overflow 0
		.amdhsa_workgroup_processor_mode 1
		.amdhsa_memory_ordered 1
		.amdhsa_forward_progress 0
		.amdhsa_shared_vgpr_count 0
		.amdhsa_exception_fp_ieee_invalid_op 0
		.amdhsa_exception_fp_denorm_src 0
		.amdhsa_exception_fp_ieee_div_zero 0
		.amdhsa_exception_fp_ieee_overflow 0
		.amdhsa_exception_fp_ieee_underflow 0
		.amdhsa_exception_fp_ieee_inexact 0
		.amdhsa_exception_int_div_zero 0
	.end_amdhsa_kernel
	.section	.text._ZN7rocprim17ROCPRIM_400000_NS6detail17trampoline_kernelINS0_14default_configENS1_25partition_config_selectorILNS1_17partition_subalgoE8ElNS0_10empty_typeEbEEZZNS1_14partition_implILS5_8ELb0ES3_jPlPS6_PKS6_NS0_5tupleIJS9_S6_EEENSD_IJSA_SA_EEENS0_18inequality_wrapperIZN2at6native12_GLOBAL__N_124unique_dim_cuda_templateImEESt5tupleIJNSH_6TensorESM_SM_EERKSM_lbbbEUlllE0_EEPmJS6_EEE10hipError_tPvRmT3_T4_T5_T6_T7_T9_mT8_P12ihipStream_tbDpT10_ENKUlT_T0_E_clISt17integral_constantIbLb0EES1B_IbLb1EEEEDaS17_S18_EUlS17_E_NS1_11comp_targetILNS1_3genE10ELNS1_11target_archE1200ELNS1_3gpuE4ELNS1_3repE0EEENS1_30default_config_static_selectorELNS0_4arch9wavefront6targetE0EEEvT1_,"axG",@progbits,_ZN7rocprim17ROCPRIM_400000_NS6detail17trampoline_kernelINS0_14default_configENS1_25partition_config_selectorILNS1_17partition_subalgoE8ElNS0_10empty_typeEbEEZZNS1_14partition_implILS5_8ELb0ES3_jPlPS6_PKS6_NS0_5tupleIJS9_S6_EEENSD_IJSA_SA_EEENS0_18inequality_wrapperIZN2at6native12_GLOBAL__N_124unique_dim_cuda_templateImEESt5tupleIJNSH_6TensorESM_SM_EERKSM_lbbbEUlllE0_EEPmJS6_EEE10hipError_tPvRmT3_T4_T5_T6_T7_T9_mT8_P12ihipStream_tbDpT10_ENKUlT_T0_E_clISt17integral_constantIbLb0EES1B_IbLb1EEEEDaS17_S18_EUlS17_E_NS1_11comp_targetILNS1_3genE10ELNS1_11target_archE1200ELNS1_3gpuE4ELNS1_3repE0EEENS1_30default_config_static_selectorELNS0_4arch9wavefront6targetE0EEEvT1_,comdat
.Lfunc_end1690:
	.size	_ZN7rocprim17ROCPRIM_400000_NS6detail17trampoline_kernelINS0_14default_configENS1_25partition_config_selectorILNS1_17partition_subalgoE8ElNS0_10empty_typeEbEEZZNS1_14partition_implILS5_8ELb0ES3_jPlPS6_PKS6_NS0_5tupleIJS9_S6_EEENSD_IJSA_SA_EEENS0_18inequality_wrapperIZN2at6native12_GLOBAL__N_124unique_dim_cuda_templateImEESt5tupleIJNSH_6TensorESM_SM_EERKSM_lbbbEUlllE0_EEPmJS6_EEE10hipError_tPvRmT3_T4_T5_T6_T7_T9_mT8_P12ihipStream_tbDpT10_ENKUlT_T0_E_clISt17integral_constantIbLb0EES1B_IbLb1EEEEDaS17_S18_EUlS17_E_NS1_11comp_targetILNS1_3genE10ELNS1_11target_archE1200ELNS1_3gpuE4ELNS1_3repE0EEENS1_30default_config_static_selectorELNS0_4arch9wavefront6targetE0EEEvT1_, .Lfunc_end1690-_ZN7rocprim17ROCPRIM_400000_NS6detail17trampoline_kernelINS0_14default_configENS1_25partition_config_selectorILNS1_17partition_subalgoE8ElNS0_10empty_typeEbEEZZNS1_14partition_implILS5_8ELb0ES3_jPlPS6_PKS6_NS0_5tupleIJS9_S6_EEENSD_IJSA_SA_EEENS0_18inequality_wrapperIZN2at6native12_GLOBAL__N_124unique_dim_cuda_templateImEESt5tupleIJNSH_6TensorESM_SM_EERKSM_lbbbEUlllE0_EEPmJS6_EEE10hipError_tPvRmT3_T4_T5_T6_T7_T9_mT8_P12ihipStream_tbDpT10_ENKUlT_T0_E_clISt17integral_constantIbLb0EES1B_IbLb1EEEEDaS17_S18_EUlS17_E_NS1_11comp_targetILNS1_3genE10ELNS1_11target_archE1200ELNS1_3gpuE4ELNS1_3repE0EEENS1_30default_config_static_selectorELNS0_4arch9wavefront6targetE0EEEvT1_
                                        ; -- End function
	.section	.AMDGPU.csdata,"",@progbits
; Kernel info:
; codeLenInByte = 0
; NumSgprs: 0
; NumVgprs: 0
; ScratchSize: 0
; MemoryBound: 0
; FloatMode: 240
; IeeeMode: 1
; LDSByteSize: 0 bytes/workgroup (compile time only)
; SGPRBlocks: 0
; VGPRBlocks: 0
; NumSGPRsForWavesPerEU: 1
; NumVGPRsForWavesPerEU: 1
; Occupancy: 15
; WaveLimiterHint : 0
; COMPUTE_PGM_RSRC2:SCRATCH_EN: 0
; COMPUTE_PGM_RSRC2:USER_SGPR: 15
; COMPUTE_PGM_RSRC2:TRAP_HANDLER: 0
; COMPUTE_PGM_RSRC2:TGID_X_EN: 1
; COMPUTE_PGM_RSRC2:TGID_Y_EN: 0
; COMPUTE_PGM_RSRC2:TGID_Z_EN: 0
; COMPUTE_PGM_RSRC2:TIDIG_COMP_CNT: 0
	.section	.text._ZN7rocprim17ROCPRIM_400000_NS6detail17trampoline_kernelINS0_14default_configENS1_25partition_config_selectorILNS1_17partition_subalgoE8ElNS0_10empty_typeEbEEZZNS1_14partition_implILS5_8ELb0ES3_jPlPS6_PKS6_NS0_5tupleIJS9_S6_EEENSD_IJSA_SA_EEENS0_18inequality_wrapperIZN2at6native12_GLOBAL__N_124unique_dim_cuda_templateImEESt5tupleIJNSH_6TensorESM_SM_EERKSM_lbbbEUlllE0_EEPmJS6_EEE10hipError_tPvRmT3_T4_T5_T6_T7_T9_mT8_P12ihipStream_tbDpT10_ENKUlT_T0_E_clISt17integral_constantIbLb0EES1B_IbLb1EEEEDaS17_S18_EUlS17_E_NS1_11comp_targetILNS1_3genE9ELNS1_11target_archE1100ELNS1_3gpuE3ELNS1_3repE0EEENS1_30default_config_static_selectorELNS0_4arch9wavefront6targetE0EEEvT1_,"axG",@progbits,_ZN7rocprim17ROCPRIM_400000_NS6detail17trampoline_kernelINS0_14default_configENS1_25partition_config_selectorILNS1_17partition_subalgoE8ElNS0_10empty_typeEbEEZZNS1_14partition_implILS5_8ELb0ES3_jPlPS6_PKS6_NS0_5tupleIJS9_S6_EEENSD_IJSA_SA_EEENS0_18inequality_wrapperIZN2at6native12_GLOBAL__N_124unique_dim_cuda_templateImEESt5tupleIJNSH_6TensorESM_SM_EERKSM_lbbbEUlllE0_EEPmJS6_EEE10hipError_tPvRmT3_T4_T5_T6_T7_T9_mT8_P12ihipStream_tbDpT10_ENKUlT_T0_E_clISt17integral_constantIbLb0EES1B_IbLb1EEEEDaS17_S18_EUlS17_E_NS1_11comp_targetILNS1_3genE9ELNS1_11target_archE1100ELNS1_3gpuE3ELNS1_3repE0EEENS1_30default_config_static_selectorELNS0_4arch9wavefront6targetE0EEEvT1_,comdat
	.globl	_ZN7rocprim17ROCPRIM_400000_NS6detail17trampoline_kernelINS0_14default_configENS1_25partition_config_selectorILNS1_17partition_subalgoE8ElNS0_10empty_typeEbEEZZNS1_14partition_implILS5_8ELb0ES3_jPlPS6_PKS6_NS0_5tupleIJS9_S6_EEENSD_IJSA_SA_EEENS0_18inequality_wrapperIZN2at6native12_GLOBAL__N_124unique_dim_cuda_templateImEESt5tupleIJNSH_6TensorESM_SM_EERKSM_lbbbEUlllE0_EEPmJS6_EEE10hipError_tPvRmT3_T4_T5_T6_T7_T9_mT8_P12ihipStream_tbDpT10_ENKUlT_T0_E_clISt17integral_constantIbLb0EES1B_IbLb1EEEEDaS17_S18_EUlS17_E_NS1_11comp_targetILNS1_3genE9ELNS1_11target_archE1100ELNS1_3gpuE3ELNS1_3repE0EEENS1_30default_config_static_selectorELNS0_4arch9wavefront6targetE0EEEvT1_ ; -- Begin function _ZN7rocprim17ROCPRIM_400000_NS6detail17trampoline_kernelINS0_14default_configENS1_25partition_config_selectorILNS1_17partition_subalgoE8ElNS0_10empty_typeEbEEZZNS1_14partition_implILS5_8ELb0ES3_jPlPS6_PKS6_NS0_5tupleIJS9_S6_EEENSD_IJSA_SA_EEENS0_18inequality_wrapperIZN2at6native12_GLOBAL__N_124unique_dim_cuda_templateImEESt5tupleIJNSH_6TensorESM_SM_EERKSM_lbbbEUlllE0_EEPmJS6_EEE10hipError_tPvRmT3_T4_T5_T6_T7_T9_mT8_P12ihipStream_tbDpT10_ENKUlT_T0_E_clISt17integral_constantIbLb0EES1B_IbLb1EEEEDaS17_S18_EUlS17_E_NS1_11comp_targetILNS1_3genE9ELNS1_11target_archE1100ELNS1_3gpuE3ELNS1_3repE0EEENS1_30default_config_static_selectorELNS0_4arch9wavefront6targetE0EEEvT1_
	.p2align	8
	.type	_ZN7rocprim17ROCPRIM_400000_NS6detail17trampoline_kernelINS0_14default_configENS1_25partition_config_selectorILNS1_17partition_subalgoE8ElNS0_10empty_typeEbEEZZNS1_14partition_implILS5_8ELb0ES3_jPlPS6_PKS6_NS0_5tupleIJS9_S6_EEENSD_IJSA_SA_EEENS0_18inequality_wrapperIZN2at6native12_GLOBAL__N_124unique_dim_cuda_templateImEESt5tupleIJNSH_6TensorESM_SM_EERKSM_lbbbEUlllE0_EEPmJS6_EEE10hipError_tPvRmT3_T4_T5_T6_T7_T9_mT8_P12ihipStream_tbDpT10_ENKUlT_T0_E_clISt17integral_constantIbLb0EES1B_IbLb1EEEEDaS17_S18_EUlS17_E_NS1_11comp_targetILNS1_3genE9ELNS1_11target_archE1100ELNS1_3gpuE3ELNS1_3repE0EEENS1_30default_config_static_selectorELNS0_4arch9wavefront6targetE0EEEvT1_,@function
_ZN7rocprim17ROCPRIM_400000_NS6detail17trampoline_kernelINS0_14default_configENS1_25partition_config_selectorILNS1_17partition_subalgoE8ElNS0_10empty_typeEbEEZZNS1_14partition_implILS5_8ELb0ES3_jPlPS6_PKS6_NS0_5tupleIJS9_S6_EEENSD_IJSA_SA_EEENS0_18inequality_wrapperIZN2at6native12_GLOBAL__N_124unique_dim_cuda_templateImEESt5tupleIJNSH_6TensorESM_SM_EERKSM_lbbbEUlllE0_EEPmJS6_EEE10hipError_tPvRmT3_T4_T5_T6_T7_T9_mT8_P12ihipStream_tbDpT10_ENKUlT_T0_E_clISt17integral_constantIbLb0EES1B_IbLb1EEEEDaS17_S18_EUlS17_E_NS1_11comp_targetILNS1_3genE9ELNS1_11target_archE1100ELNS1_3gpuE3ELNS1_3repE0EEENS1_30default_config_static_selectorELNS0_4arch9wavefront6targetE0EEEvT1_: ; @_ZN7rocprim17ROCPRIM_400000_NS6detail17trampoline_kernelINS0_14default_configENS1_25partition_config_selectorILNS1_17partition_subalgoE8ElNS0_10empty_typeEbEEZZNS1_14partition_implILS5_8ELb0ES3_jPlPS6_PKS6_NS0_5tupleIJS9_S6_EEENSD_IJSA_SA_EEENS0_18inequality_wrapperIZN2at6native12_GLOBAL__N_124unique_dim_cuda_templateImEESt5tupleIJNSH_6TensorESM_SM_EERKSM_lbbbEUlllE0_EEPmJS6_EEE10hipError_tPvRmT3_T4_T5_T6_T7_T9_mT8_P12ihipStream_tbDpT10_ENKUlT_T0_E_clISt17integral_constantIbLb0EES1B_IbLb1EEEEDaS17_S18_EUlS17_E_NS1_11comp_targetILNS1_3genE9ELNS1_11target_archE1100ELNS1_3gpuE3ELNS1_3repE0EEENS1_30default_config_static_selectorELNS0_4arch9wavefront6targetE0EEEvT1_
; %bb.0:
	s_clause 0x2
	s_load_b64 s[20:21], s[0:1], 0x28
	s_load_b256 s[8:15], s[0:1], 0x40
	s_load_b128 s[16:19], s[0:1], 0x60
	v_cmp_ne_u32_e64 s3, 0, v0
	v_cmp_eq_u32_e64 s2, 0, v0
	s_delay_alu instid0(VALU_DEP_1)
	s_and_saveexec_b32 s4, s2
	s_cbranch_execz .LBB1691_4
; %bb.1:
	s_mov_b32 s6, exec_lo
	s_mov_b32 s5, exec_lo
	v_mbcnt_lo_u32_b32 v1, s6, 0
                                        ; implicit-def: $vgpr2
	s_delay_alu instid0(VALU_DEP_1)
	v_cmpx_eq_u32_e32 0, v1
	s_cbranch_execz .LBB1691_3
; %bb.2:
	s_load_b64 s[22:23], s[0:1], 0x78
	s_bcnt1_i32_b32 s6, s6
	s_delay_alu instid0(SALU_CYCLE_1)
	v_dual_mov_b32 v2, 0 :: v_dual_mov_b32 v3, s6
	s_waitcnt lgkmcnt(0)
	global_atomic_add_u32 v2, v2, v3, s[22:23] glc
.LBB1691_3:
	s_or_b32 exec_lo, exec_lo, s5
	s_waitcnt vmcnt(0)
	v_readfirstlane_b32 s5, v2
	s_delay_alu instid0(VALU_DEP_1)
	v_dual_mov_b32 v2, 0 :: v_dual_add_nc_u32 v1, s5, v1
	ds_store_b32 v2, v1
.LBB1691_4:
	s_or_b32 exec_lo, exec_lo, s4
	v_dual_mov_b32 v2, 0 :: v_dual_lshlrev_b32 v39, 3, v0
	s_clause 0x1
	s_load_b128 s[4:7], s[0:1], 0x8
	s_load_b32 s0, s[0:1], 0x70
	s_waitcnt lgkmcnt(0)
	s_barrier
	buffer_gl0_inv
	ds_load_b32 v1, v2
	s_waitcnt lgkmcnt(0)
	s_barrier
	buffer_gl0_inv
	global_load_b64 v[3:4], v2, s[10:11]
	v_lshrrev_b32_e32 v19, 2, v0
	v_or_b32_e32 v26, 0x200, v0
	v_or_b32_e32 v25, 0x400, v0
	;; [unrolled: 1-line block ×7, first 2 shown]
	s_lshl_b64 s[10:11], s[6:7], 3
	s_delay_alu instid0(SALU_CYCLE_1)
	s_add_u32 s10, s4, s10
	s_addc_u32 s11, s5, s11
	s_add_i32 s1, s0, -1
	v_readfirstlane_b32 s23, v1
	s_lshl_b32 s4, s1, 12
	v_lshlrev_b32_e32 v1, 12, v1
	s_lshl_b32 s5, s0, 12
	s_add_i32 s0, s6, s4
	s_add_u32 s4, s6, s5
	s_addc_u32 s5, s7, 0
	v_lshlrev_b64 v[1:2], 3, v[1:2]
	v_cmp_ge_u64_e64 s4, s[4:5], s[12:13]
	s_cmp_eq_u32 s23, s1
	s_cselect_b32 s13, -1, 0
	s_delay_alu instid0(VALU_DEP_2) | instskip(NEXT) | instid1(VALU_DEP_2)
	v_add_co_u32 v17, vcc_lo, s10, v1
	s_and_b32 s1, s4, s13
	v_add_co_ci_u32_e32 v18, vcc_lo, s11, v2, vcc_lo
	s_xor_b32 s22, s1, -1
	s_mov_b32 s4, -1
	s_and_b32 vcc_lo, exec_lo, s22
	s_waitcnt vmcnt(0)
	v_readfirstlane_b32 s10, v3
	v_readfirstlane_b32 s11, v4
	s_cbranch_vccz .LBB1691_6
; %bb.5:
	v_add_co_u32 v9, vcc_lo, v17, v39
	v_add_co_ci_u32_e32 v10, vcc_lo, 0, v18, vcc_lo
	v_readfirstlane_b32 s4, v17
	s_delay_alu instid0(VALU_DEP_3) | instskip(NEXT) | instid1(VALU_DEP_3)
	v_add_co_u32 v3, vcc_lo, v9, 0x2000
	v_add_co_ci_u32_e32 v4, vcc_lo, 0, v10, vcc_lo
	v_add_co_u32 v5, vcc_lo, v9, 0x4000
	v_add_co_ci_u32_e32 v6, vcc_lo, 0, v10, vcc_lo
	v_add_co_u32 v7, vcc_lo, v9, 0x6000
	v_readfirstlane_b32 s5, v18
	v_add_co_ci_u32_e32 v8, vcc_lo, 0, v10, vcc_lo
	v_add_co_u32 v9, vcc_lo, 0x7000, v9
	v_add_co_ci_u32_e32 v10, vcc_lo, 0, v10, vcc_lo
	s_clause 0x7
	global_load_b64 v[1:2], v39, s[4:5]
	global_load_b64 v[11:12], v[3:4], off offset:-4096
	global_load_b64 v[3:4], v[3:4], off
	global_load_b64 v[13:14], v[5:6], off offset:-4096
	global_load_b64 v[5:6], v[5:6], off
	;; [unrolled: 2-line block ×3, first 2 shown]
	global_load_b64 v[9:10], v[9:10], off
	v_lshrrev_b32_e32 v28, 2, v26
	v_lshrrev_b32_e32 v29, 2, v25
	;; [unrolled: 1-line block ×4, first 2 shown]
	v_and_b32_e32 v27, 0x78, v19
	v_lshrrev_b32_e32 v32, 2, v22
	v_lshrrev_b32_e32 v33, 2, v21
	;; [unrolled: 1-line block ×3, first 2 shown]
	v_and_b32_e32 v28, 0xf8, v28
	v_and_b32_e32 v29, 0x178, v29
	;; [unrolled: 1-line block ×4, first 2 shown]
	v_add_nc_u32_e32 v27, v27, v39
	v_and_b32_e32 v32, 0x2f8, v32
	v_and_b32_e32 v33, 0x378, v33
	;; [unrolled: 1-line block ×3, first 2 shown]
	v_add_nc_u32_e32 v28, v28, v39
	v_add_nc_u32_e32 v29, v29, v39
	;; [unrolled: 1-line block ×4, first 2 shown]
	s_mov_b32 s4, 0
	v_add_nc_u32_e32 v32, v32, v39
	v_add_nc_u32_e32 v33, v33, v39
	;; [unrolled: 1-line block ×3, first 2 shown]
	s_waitcnt vmcnt(7)
	ds_store_b64 v27, v[1:2]
	s_waitcnt vmcnt(6)
	ds_store_b64 v28, v[11:12] offset:4096
	s_waitcnt vmcnt(5)
	ds_store_b64 v29, v[3:4] offset:8192
	s_waitcnt vmcnt(4)
	ds_store_b64 v30, v[13:14] offset:12288
	s_waitcnt vmcnt(3)
	ds_store_b64 v31, v[5:6] offset:16384
	s_waitcnt vmcnt(2)
	ds_store_b64 v32, v[15:16] offset:20480
	s_waitcnt vmcnt(1)
	ds_store_b64 v33, v[7:8] offset:24576
	s_waitcnt vmcnt(0)
	ds_store_b64 v34, v[9:10] offset:28672
	s_waitcnt lgkmcnt(0)
	s_barrier
.LBB1691_6:
	s_and_not1_b32 vcc_lo, exec_lo, s4
	s_sub_i32 s12, s12, s0
	s_cbranch_vccnz .LBB1691_17
; %bb.7:
	s_mov_b32 s0, exec_lo
                                        ; implicit-def: $vgpr1_vgpr2_vgpr3_vgpr4_vgpr5_vgpr6_vgpr7_vgpr8_vgpr9_vgpr10_vgpr11_vgpr12_vgpr13_vgpr14_vgpr15_vgpr16
	v_cmpx_gt_u32_e64 s12, v0
	s_cbranch_execnz .LBB1691_27
; %bb.8:
	s_or_b32 exec_lo, exec_lo, s0
	s_delay_alu instid0(SALU_CYCLE_1)
	s_mov_b32 s0, exec_lo
	v_cmpx_gt_u32_e64 s12, v26
	s_cbranch_execnz .LBB1691_28
.LBB1691_9:
	s_or_b32 exec_lo, exec_lo, s0
	s_delay_alu instid0(SALU_CYCLE_1)
	s_mov_b32 s0, exec_lo
	v_cmpx_gt_u32_e64 s12, v25
	s_cbranch_execnz .LBB1691_29
.LBB1691_10:
	s_or_b32 exec_lo, exec_lo, s0
	s_delay_alu instid0(SALU_CYCLE_1)
	s_mov_b32 s0, exec_lo
	v_cmpx_gt_u32_e64 s12, v24
	s_cbranch_execnz .LBB1691_30
.LBB1691_11:
	s_or_b32 exec_lo, exec_lo, s0
	s_delay_alu instid0(SALU_CYCLE_1)
	s_mov_b32 s0, exec_lo
	v_cmpx_gt_u32_e64 s12, v23
	s_cbranch_execnz .LBB1691_31
.LBB1691_12:
	s_or_b32 exec_lo, exec_lo, s0
	s_delay_alu instid0(SALU_CYCLE_1)
	s_mov_b32 s0, exec_lo
	v_cmpx_gt_u32_e64 s12, v22
	s_cbranch_execnz .LBB1691_32
.LBB1691_13:
	s_or_b32 exec_lo, exec_lo, s0
	s_delay_alu instid0(SALU_CYCLE_1)
	s_mov_b32 s0, exec_lo
	v_cmpx_gt_u32_e64 s12, v21
	s_cbranch_execnz .LBB1691_33
.LBB1691_14:
	s_or_b32 exec_lo, exec_lo, s0
	s_delay_alu instid0(SALU_CYCLE_1)
	s_mov_b32 s0, exec_lo
	v_cmpx_gt_u32_e64 s12, v20
	s_cbranch_execz .LBB1691_16
.LBB1691_15:
	v_lshlrev_b32_e32 v15, 3, v20
	v_readfirstlane_b32 s4, v17
	v_readfirstlane_b32 s5, v18
	global_load_b64 v[15:16], v15, s[4:5]
.LBB1691_16:
	s_or_b32 exec_lo, exec_lo, s0
	v_lshrrev_b32_e32 v26, 2, v26
	v_lshrrev_b32_e32 v25, 2, v25
	;; [unrolled: 1-line block ×4, first 2 shown]
	v_and_b32_e32 v27, 0x78, v19
	v_lshrrev_b32_e32 v22, 2, v22
	v_lshrrev_b32_e32 v21, 2, v21
	;; [unrolled: 1-line block ×3, first 2 shown]
	v_and_b32_e32 v26, 0xf8, v26
	v_and_b32_e32 v25, 0x1f8, v25
	;; [unrolled: 1-line block ×4, first 2 shown]
	v_add_nc_u32_e32 v27, v27, v39
	v_and_b32_e32 v22, 0x3f8, v22
	v_and_b32_e32 v21, 0x3f8, v21
	;; [unrolled: 1-line block ×3, first 2 shown]
	v_add_nc_u32_e32 v26, v26, v39
	v_add_nc_u32_e32 v25, v25, v39
	;; [unrolled: 1-line block ×7, first 2 shown]
	s_waitcnt vmcnt(0)
	ds_store_b64 v27, v[1:2]
	ds_store_b64 v26, v[3:4] offset:4096
	ds_store_b64 v25, v[5:6] offset:8192
	;; [unrolled: 1-line block ×7, first 2 shown]
	s_waitcnt lgkmcnt(0)
	s_barrier
.LBB1691_17:
	v_add_lshl_u32 v1, v19, v39, 3
	buffer_gl0_inv
	s_cmp_lg_u32 s23, 0
	v_cmp_gt_i64_e64 s26, s[14:15], 0
	s_cselect_b32 s24, -1, 0
	ds_load_2addr_b64 v[13:16], v1 offset1:1
	ds_load_2addr_b64 v[9:12], v1 offset0:2 offset1:3
	ds_load_2addr_b64 v[5:8], v1 offset0:4 offset1:5
	;; [unrolled: 1-line block ×3, first 2 shown]
	s_cmp_lg_u64 s[6:7], 0
	s_mov_b32 s25, 0
	s_cselect_b32 s0, -1, 0
	s_waitcnt lgkmcnt(0)
	s_or_b32 s0, s0, s24
	s_barrier
	s_and_b32 vcc_lo, exec_lo, s0
	buffer_gl0_inv
	s_cbranch_vccz .LBB1691_26
; %bb.18:
	global_load_b64 v[17:18], v[17:18], off offset:-8
	v_cndmask_b32_e64 v27, 0, 1, s26
	s_and_b32 vcc_lo, exec_lo, s22
	ds_store_b64 v39, v[3:4]
	v_cmp_ne_u32_e64 s0, 1, v27
	s_cbranch_vccz .LBB1691_34
; %bb.19:
	v_mul_lo_u32 v21, v2, s14
	v_mul_lo_u32 v22, v1, s15
	v_mad_u64_u32 v[19:20], null, v1, s14, 0
	s_and_b32 vcc_lo, exec_lo, s0
	s_mov_b32 s27, 0
	s_delay_alu instid0(VALU_DEP_1) | instskip(NEXT) | instid1(VALU_DEP_1)
	v_add3_u32 v20, v20, v22, v21
	v_lshlrev_b64 v[19:20], 3, v[19:20]
	s_cbranch_vccnz .LBB1691_37
; %bb.20:
	v_mul_lo_u32 v23, v4, s14
	v_mul_lo_u32 v24, v3, s15
	v_mad_u64_u32 v[21:22], null, v3, s14, 0
	s_mov_b32 s27, -1
	s_mov_b32 s28, exec_lo
	s_delay_alu instid0(VALU_DEP_1) | instskip(SKIP_2) | instid1(VALU_DEP_3)
	v_add3_u32 v22, v22, v24, v23
	v_add_co_u32 v23, vcc_lo, s16, v19
	v_add_co_ci_u32_e32 v24, vcc_lo, s17, v20, vcc_lo
	v_lshlrev_b64 v[21:22], 3, v[21:22]
	s_delay_alu instid0(VALU_DEP_1) | instskip(NEXT) | instid1(VALU_DEP_2)
	v_add_co_u32 v21, vcc_lo, s16, v21
	v_add_co_ci_u32_e32 v22, vcc_lo, s17, v22, vcc_lo
	s_clause 0x1
	global_load_b64 v[25:26], v[23:24], off
	global_load_b64 v[28:29], v[21:22], off
	s_waitcnt vmcnt(0)
	v_cmpx_eq_u64_e64 v[25:26], v[28:29]
	s_cbranch_execz .LBB1691_36
; %bb.21:
	v_add_co_u32 v21, vcc_lo, v21, 8
	v_add_co_ci_u32_e32 v22, vcc_lo, 0, v22, vcc_lo
	v_add_co_u32 v23, vcc_lo, v23, 8
	v_add_co_ci_u32_e32 v24, vcc_lo, 0, v24, vcc_lo
	s_add_u32 s4, s14, -1
	s_addc_u32 s5, s15, -1
	s_mov_b64 s[6:7], 0
	s_mov_b32 s27, 0
                                        ; implicit-def: $sgpr29
	s_set_inst_prefetch_distance 0x1
	s_branch .LBB1691_24
	.p2align	6
.LBB1691_22:                            ;   in Loop: Header=BB1691_24 Depth=1
	global_load_b64 v[25:26], v[23:24], off
	global_load_b64 v[28:29], v[21:22], off
	v_add_co_u32 v21, vcc_lo, v21, 8
	v_add_co_ci_u32_e32 v22, vcc_lo, 0, v22, vcc_lo
	v_add_co_u32 v23, s0, v23, 8
	s_delay_alu instid0(VALU_DEP_1)
	v_add_co_ci_u32_e64 v24, s0, 0, v24, s0
	s_add_u32 s6, s6, 1
	s_addc_u32 s7, s7, 0
	s_and_not1_b32 s0, s29, exec_lo
	s_waitcnt vmcnt(0)
	v_cmp_ne_u64_e32 vcc_lo, v[25:26], v[28:29]
	s_and_b32 s29, vcc_lo, exec_lo
	s_delay_alu instid0(SALU_CYCLE_1)
	s_or_b32 s29, s0, s29
.LBB1691_23:                            ;   in Loop: Header=BB1691_24 Depth=1
	v_dual_mov_b32 v26, s7 :: v_dual_mov_b32 v25, s6
	s_and_b32 s0, exec_lo, s29
	s_delay_alu instid0(SALU_CYCLE_1) | instskip(NEXT) | instid1(SALU_CYCLE_1)
	s_or_b32 s27, s0, s27
	s_and_not1_b32 exec_lo, exec_lo, s27
	s_cbranch_execz .LBB1691_35
.LBB1691_24:                            ; =>This Inner Loop Header: Depth=1
	s_or_b32 s29, s29, exec_lo
	s_cmp_eq_u64 s[4:5], s[6:7]
	s_cbranch_scc0 .LBB1691_22
; %bb.25:                               ;   in Loop: Header=BB1691_24 Depth=1
	s_mov_b64 s[6:7], s[14:15]
                                        ; implicit-def: $vgpr21_vgpr22
                                        ; implicit-def: $vgpr23_vgpr24
	s_branch .LBB1691_23
.LBB1691_26:
                                        ; implicit-def: $sgpr0
                                        ; implicit-def: $vgpr20
	s_branch .LBB1691_195
.LBB1691_27:
	v_readfirstlane_b32 s4, v17
	v_readfirstlane_b32 s5, v18
	global_load_b64 v[1:2], v39, s[4:5]
	s_or_b32 exec_lo, exec_lo, s0
	s_delay_alu instid0(SALU_CYCLE_1)
	s_mov_b32 s0, exec_lo
	v_cmpx_gt_u32_e64 s12, v26
	s_cbranch_execz .LBB1691_9
.LBB1691_28:
	v_lshlrev_b32_e32 v3, 3, v26
	v_readfirstlane_b32 s4, v17
	v_readfirstlane_b32 s5, v18
	global_load_b64 v[3:4], v3, s[4:5]
	s_or_b32 exec_lo, exec_lo, s0
	s_delay_alu instid0(SALU_CYCLE_1)
	s_mov_b32 s0, exec_lo
	v_cmpx_gt_u32_e64 s12, v25
	s_cbranch_execz .LBB1691_10
.LBB1691_29:
	v_lshlrev_b32_e32 v5, 3, v25
	v_readfirstlane_b32 s4, v17
	v_readfirstlane_b32 s5, v18
	global_load_b64 v[5:6], v5, s[4:5]
	s_or_b32 exec_lo, exec_lo, s0
	s_delay_alu instid0(SALU_CYCLE_1)
	s_mov_b32 s0, exec_lo
	v_cmpx_gt_u32_e64 s12, v24
	s_cbranch_execz .LBB1691_11
.LBB1691_30:
	v_lshlrev_b32_e32 v7, 3, v24
	v_readfirstlane_b32 s4, v17
	v_readfirstlane_b32 s5, v18
	global_load_b64 v[7:8], v7, s[4:5]
	s_or_b32 exec_lo, exec_lo, s0
	s_delay_alu instid0(SALU_CYCLE_1)
	s_mov_b32 s0, exec_lo
	v_cmpx_gt_u32_e64 s12, v23
	s_cbranch_execz .LBB1691_12
.LBB1691_31:
	v_lshlrev_b32_e32 v9, 3, v23
	v_readfirstlane_b32 s4, v17
	v_readfirstlane_b32 s5, v18
	global_load_b64 v[9:10], v9, s[4:5]
	s_or_b32 exec_lo, exec_lo, s0
	s_delay_alu instid0(SALU_CYCLE_1)
	s_mov_b32 s0, exec_lo
	v_cmpx_gt_u32_e64 s12, v22
	s_cbranch_execz .LBB1691_13
.LBB1691_32:
	v_lshlrev_b32_e32 v11, 3, v22
	v_readfirstlane_b32 s4, v17
	v_readfirstlane_b32 s5, v18
	global_load_b64 v[11:12], v11, s[4:5]
	s_or_b32 exec_lo, exec_lo, s0
	s_delay_alu instid0(SALU_CYCLE_1)
	s_mov_b32 s0, exec_lo
	v_cmpx_gt_u32_e64 s12, v21
	s_cbranch_execz .LBB1691_14
.LBB1691_33:
	v_lshlrev_b32_e32 v13, 3, v21
	v_readfirstlane_b32 s4, v17
	v_readfirstlane_b32 s5, v18
	global_load_b64 v[13:14], v13, s[4:5]
	s_or_b32 exec_lo, exec_lo, s0
	s_delay_alu instid0(SALU_CYCLE_1)
	s_mov_b32 s0, exec_lo
	v_cmpx_gt_u32_e64 s12, v20
	s_cbranch_execnz .LBB1691_15
	s_branch .LBB1691_16
.LBB1691_34:
                                        ; implicit-def: $sgpr0
                                        ; implicit-def: $vgpr20
	s_cbranch_execnz .LBB1691_103
	s_branch .LBB1691_194
.LBB1691_35:
	s_set_inst_prefetch_distance 0x2
	s_or_b32 exec_lo, exec_lo, s27
	v_cmp_gt_i64_e32 vcc_lo, s[14:15], v[25:26]
	s_or_not1_b32 s27, vcc_lo, exec_lo
.LBB1691_36:
	s_or_b32 exec_lo, exec_lo, s28
.LBB1691_37:
	v_mul_lo_u32 v23, v8, s14
	v_mul_lo_u32 v24, v7, s15
	v_mad_u64_u32 v[21:22], null, v7, s14, 0
	s_and_not1_b32 vcc_lo, exec_lo, s26
	s_delay_alu instid0(VALU_DEP_1) | instskip(NEXT) | instid1(VALU_DEP_1)
	v_add3_u32 v22, v22, v24, v23
	v_lshlrev_b64 v[21:22], 3, v[21:22]
	s_cbranch_vccnz .LBB1691_46
; %bb.38:
	s_delay_alu instid0(VALU_DEP_1) | instskip(NEXT) | instid1(VALU_DEP_2)
	v_add_co_u32 v23, vcc_lo, s16, v21
	v_add_co_ci_u32_e32 v24, vcc_lo, s17, v22, vcc_lo
	v_add_co_u32 v19, vcc_lo, s16, v19
	v_add_co_ci_u32_e32 v20, vcc_lo, s17, v20, vcc_lo
	s_mov_b32 s25, -1
	s_clause 0x1
	global_load_b64 v[25:26], v[23:24], off
	global_load_b64 v[28:29], v[19:20], off
	s_mov_b32 s28, exec_lo
	s_waitcnt vmcnt(0)
	v_cmpx_eq_u64_e64 v[25:26], v[28:29]
	s_cbranch_execz .LBB1691_45
; %bb.39:
	v_add_co_u32 v19, vcc_lo, v19, 8
	v_add_co_ci_u32_e32 v20, vcc_lo, 0, v20, vcc_lo
	v_add_co_u32 v23, vcc_lo, v23, 8
	v_add_co_ci_u32_e32 v24, vcc_lo, 0, v24, vcc_lo
	s_add_u32 s4, s14, -1
	s_addc_u32 s5, s15, -1
	s_mov_b64 s[6:7], 0
	s_mov_b32 s25, 0
                                        ; implicit-def: $sgpr29
	s_set_inst_prefetch_distance 0x1
	s_branch .LBB1691_42
	.p2align	6
.LBB1691_40:                            ;   in Loop: Header=BB1691_42 Depth=1
	global_load_b64 v[25:26], v[23:24], off
	global_load_b64 v[28:29], v[19:20], off
	v_add_co_u32 v19, vcc_lo, v19, 8
	v_add_co_ci_u32_e32 v20, vcc_lo, 0, v20, vcc_lo
	v_add_co_u32 v23, s0, v23, 8
	s_delay_alu instid0(VALU_DEP_1)
	v_add_co_ci_u32_e64 v24, s0, 0, v24, s0
	s_add_u32 s6, s6, 1
	s_addc_u32 s7, s7, 0
	s_and_not1_b32 s0, s29, exec_lo
	s_waitcnt vmcnt(0)
	v_cmp_ne_u64_e32 vcc_lo, v[25:26], v[28:29]
	s_and_b32 s29, vcc_lo, exec_lo
	s_delay_alu instid0(SALU_CYCLE_1)
	s_or_b32 s29, s0, s29
.LBB1691_41:                            ;   in Loop: Header=BB1691_42 Depth=1
	v_dual_mov_b32 v26, s7 :: v_dual_mov_b32 v25, s6
	s_and_b32 s0, exec_lo, s29
	s_delay_alu instid0(SALU_CYCLE_1) | instskip(NEXT) | instid1(SALU_CYCLE_1)
	s_or_b32 s25, s0, s25
	s_and_not1_b32 exec_lo, exec_lo, s25
	s_cbranch_execz .LBB1691_44
.LBB1691_42:                            ; =>This Inner Loop Header: Depth=1
	s_or_b32 s29, s29, exec_lo
	s_cmp_eq_u64 s[4:5], s[6:7]
	s_cbranch_scc0 .LBB1691_40
; %bb.43:                               ;   in Loop: Header=BB1691_42 Depth=1
	s_mov_b64 s[6:7], s[14:15]
                                        ; implicit-def: $vgpr19_vgpr20
                                        ; implicit-def: $vgpr23_vgpr24
	s_branch .LBB1691_41
.LBB1691_44:
	s_set_inst_prefetch_distance 0x2
	s_or_b32 exec_lo, exec_lo, s25
	v_cmp_gt_i64_e32 vcc_lo, s[14:15], v[25:26]
	s_or_not1_b32 s25, vcc_lo, exec_lo
.LBB1691_45:
	s_or_b32 exec_lo, exec_lo, s28
.LBB1691_46:
	v_mul_lo_u32 v23, v6, s14
	v_mul_lo_u32 v24, v5, s15
	v_mad_u64_u32 v[19:20], null, v5, s14, 0
	s_mov_b32 s28, 0
	s_and_not1_b32 vcc_lo, exec_lo, s26
	s_mov_b32 s29, 0
	s_delay_alu instid0(VALU_DEP_1) | instskip(NEXT) | instid1(VALU_DEP_1)
	v_add3_u32 v20, v20, v24, v23
	v_lshlrev_b64 v[23:24], 3, v[19:20]
	s_cbranch_vccnz .LBB1691_55
; %bb.47:
	s_delay_alu instid0(VALU_DEP_1) | instskip(NEXT) | instid1(VALU_DEP_2)
	v_add_co_u32 v25, vcc_lo, s16, v23
	v_add_co_ci_u32_e32 v26, vcc_lo, s17, v24, vcc_lo
	v_add_co_u32 v19, vcc_lo, s16, v21
	v_add_co_ci_u32_e32 v20, vcc_lo, s17, v22, vcc_lo
	s_mov_b32 s29, -1
	s_clause 0x1
	global_load_b64 v[21:22], v[25:26], off
	global_load_b64 v[28:29], v[19:20], off
	s_mov_b32 s30, exec_lo
	s_waitcnt vmcnt(0)
	v_cmpx_eq_u64_e64 v[21:22], v[28:29]
	s_cbranch_execz .LBB1691_54
; %bb.48:
	v_add_co_u32 v19, vcc_lo, v19, 8
	v_add_co_ci_u32_e32 v20, vcc_lo, 0, v20, vcc_lo
	v_add_co_u32 v21, vcc_lo, v25, 8
	v_add_co_ci_u32_e32 v22, vcc_lo, 0, v26, vcc_lo
	s_add_u32 s4, s14, -1
	s_addc_u32 s5, s15, -1
	s_mov_b64 s[6:7], 0
	s_mov_b32 s29, 0
                                        ; implicit-def: $sgpr31
	s_set_inst_prefetch_distance 0x1
	s_branch .LBB1691_51
	.p2align	6
.LBB1691_49:                            ;   in Loop: Header=BB1691_51 Depth=1
	global_load_b64 v[25:26], v[21:22], off
	global_load_b64 v[28:29], v[19:20], off
	v_add_co_u32 v19, vcc_lo, v19, 8
	v_add_co_ci_u32_e32 v20, vcc_lo, 0, v20, vcc_lo
	v_add_co_u32 v21, s0, v21, 8
	s_delay_alu instid0(VALU_DEP_1)
	v_add_co_ci_u32_e64 v22, s0, 0, v22, s0
	s_add_u32 s6, s6, 1
	s_addc_u32 s7, s7, 0
	s_and_not1_b32 s0, s31, exec_lo
	s_waitcnt vmcnt(0)
	v_cmp_ne_u64_e32 vcc_lo, v[25:26], v[28:29]
	s_and_b32 s31, vcc_lo, exec_lo
	s_delay_alu instid0(SALU_CYCLE_1)
	s_or_b32 s31, s0, s31
.LBB1691_50:                            ;   in Loop: Header=BB1691_51 Depth=1
	v_dual_mov_b32 v26, s7 :: v_dual_mov_b32 v25, s6
	s_and_b32 s0, exec_lo, s31
	s_delay_alu instid0(SALU_CYCLE_1) | instskip(NEXT) | instid1(SALU_CYCLE_1)
	s_or_b32 s29, s0, s29
	s_and_not1_b32 exec_lo, exec_lo, s29
	s_cbranch_execz .LBB1691_53
.LBB1691_51:                            ; =>This Inner Loop Header: Depth=1
	s_or_b32 s31, s31, exec_lo
	s_cmp_eq_u64 s[4:5], s[6:7]
	s_cbranch_scc0 .LBB1691_49
; %bb.52:                               ;   in Loop: Header=BB1691_51 Depth=1
	s_mov_b64 s[6:7], s[14:15]
                                        ; implicit-def: $vgpr19_vgpr20
                                        ; implicit-def: $vgpr21_vgpr22
	s_branch .LBB1691_50
.LBB1691_53:
	s_set_inst_prefetch_distance 0x2
	s_or_b32 exec_lo, exec_lo, s29
	v_cmp_gt_i64_e32 vcc_lo, s[14:15], v[25:26]
	s_or_not1_b32 s29, vcc_lo, exec_lo
.LBB1691_54:
	s_or_b32 exec_lo, exec_lo, s30
.LBB1691_55:
	v_mul_lo_u32 v21, v12, s14
	v_mul_lo_u32 v22, v11, s15
	v_mad_u64_u32 v[19:20], null, v11, s14, 0
	s_and_not1_b32 vcc_lo, exec_lo, s26
	s_delay_alu instid0(VALU_DEP_1) | instskip(NEXT) | instid1(VALU_DEP_1)
	v_add3_u32 v20, v20, v22, v21
	v_lshlrev_b64 v[19:20], 3, v[19:20]
	s_cbranch_vccnz .LBB1691_64
; %bb.56:
	s_delay_alu instid0(VALU_DEP_1) | instskip(NEXT) | instid1(VALU_DEP_2)
	v_add_co_u32 v25, vcc_lo, s16, v19
	v_add_co_ci_u32_e32 v26, vcc_lo, s17, v20, vcc_lo
	v_add_co_u32 v21, vcc_lo, s16, v23
	v_add_co_ci_u32_e32 v22, vcc_lo, s17, v24, vcc_lo
	s_mov_b32 s28, -1
	s_clause 0x1
	global_load_b64 v[23:24], v[25:26], off
	global_load_b64 v[28:29], v[21:22], off
	s_mov_b32 s30, exec_lo
	s_waitcnt vmcnt(0)
	v_cmpx_eq_u64_e64 v[23:24], v[28:29]
	s_cbranch_execz .LBB1691_63
; %bb.57:
	v_add_co_u32 v21, vcc_lo, v21, 8
	v_add_co_ci_u32_e32 v22, vcc_lo, 0, v22, vcc_lo
	v_add_co_u32 v23, vcc_lo, v25, 8
	v_add_co_ci_u32_e32 v24, vcc_lo, 0, v26, vcc_lo
	s_add_u32 s4, s14, -1
	s_addc_u32 s5, s15, -1
	s_mov_b64 s[6:7], 0
	s_mov_b32 s28, 0
                                        ; implicit-def: $sgpr31
	s_set_inst_prefetch_distance 0x1
	s_branch .LBB1691_60
	.p2align	6
.LBB1691_58:                            ;   in Loop: Header=BB1691_60 Depth=1
	global_load_b64 v[25:26], v[23:24], off
	global_load_b64 v[28:29], v[21:22], off
	v_add_co_u32 v21, vcc_lo, v21, 8
	v_add_co_ci_u32_e32 v22, vcc_lo, 0, v22, vcc_lo
	v_add_co_u32 v23, s0, v23, 8
	s_delay_alu instid0(VALU_DEP_1)
	v_add_co_ci_u32_e64 v24, s0, 0, v24, s0
	s_add_u32 s6, s6, 1
	s_addc_u32 s7, s7, 0
	s_and_not1_b32 s0, s31, exec_lo
	s_waitcnt vmcnt(0)
	v_cmp_ne_u64_e32 vcc_lo, v[25:26], v[28:29]
	s_and_b32 s31, vcc_lo, exec_lo
	s_delay_alu instid0(SALU_CYCLE_1)
	s_or_b32 s31, s0, s31
.LBB1691_59:                            ;   in Loop: Header=BB1691_60 Depth=1
	v_dual_mov_b32 v26, s7 :: v_dual_mov_b32 v25, s6
	s_and_b32 s0, exec_lo, s31
	s_delay_alu instid0(SALU_CYCLE_1) | instskip(NEXT) | instid1(SALU_CYCLE_1)
	s_or_b32 s28, s0, s28
	s_and_not1_b32 exec_lo, exec_lo, s28
	s_cbranch_execz .LBB1691_62
.LBB1691_60:                            ; =>This Inner Loop Header: Depth=1
	s_or_b32 s31, s31, exec_lo
	s_cmp_eq_u64 s[4:5], s[6:7]
	s_cbranch_scc0 .LBB1691_58
; %bb.61:                               ;   in Loop: Header=BB1691_60 Depth=1
	s_mov_b64 s[6:7], s[14:15]
                                        ; implicit-def: $vgpr21_vgpr22
                                        ; implicit-def: $vgpr23_vgpr24
	s_branch .LBB1691_59
.LBB1691_62:
	s_set_inst_prefetch_distance 0x2
	s_or_b32 exec_lo, exec_lo, s28
	v_cmp_gt_i64_e32 vcc_lo, s[14:15], v[25:26]
	s_or_not1_b32 s28, vcc_lo, exec_lo
.LBB1691_63:
	s_or_b32 exec_lo, exec_lo, s30
.LBB1691_64:
	v_mul_lo_u32 v23, v10, s14
	v_mul_lo_u32 v24, v9, s15
	v_mad_u64_u32 v[21:22], null, v9, s14, 0
	s_mov_b32 s30, 0
	s_and_not1_b32 vcc_lo, exec_lo, s26
	s_mov_b32 s31, 0
	s_delay_alu instid0(VALU_DEP_1) | instskip(NEXT) | instid1(VALU_DEP_1)
	v_add3_u32 v22, v22, v24, v23
	v_lshlrev_b64 v[23:24], 3, v[21:22]
	s_cbranch_vccnz .LBB1691_73
; %bb.65:
	s_delay_alu instid0(VALU_DEP_1) | instskip(NEXT) | instid1(VALU_DEP_2)
	v_add_co_u32 v21, vcc_lo, s16, v23
	v_add_co_ci_u32_e32 v22, vcc_lo, s17, v24, vcc_lo
	v_add_co_u32 v19, vcc_lo, s16, v19
	v_add_co_ci_u32_e32 v20, vcc_lo, s17, v20, vcc_lo
	s_mov_b32 s31, -1
	s_clause 0x1
	global_load_b64 v[25:26], v[21:22], off
	global_load_b64 v[28:29], v[19:20], off
	s_mov_b32 s33, exec_lo
	s_waitcnt vmcnt(0)
	v_cmpx_eq_u64_e64 v[25:26], v[28:29]
	s_cbranch_execz .LBB1691_72
; %bb.66:
	v_add_co_u32 v19, vcc_lo, v19, 8
	v_add_co_ci_u32_e32 v20, vcc_lo, 0, v20, vcc_lo
	v_add_co_u32 v21, vcc_lo, v21, 8
	v_add_co_ci_u32_e32 v22, vcc_lo, 0, v22, vcc_lo
	s_add_u32 s4, s14, -1
	s_addc_u32 s5, s15, -1
	s_mov_b64 s[6:7], 0
	s_mov_b32 s31, 0
                                        ; implicit-def: $sgpr34
	s_set_inst_prefetch_distance 0x1
	s_branch .LBB1691_69
	.p2align	6
.LBB1691_67:                            ;   in Loop: Header=BB1691_69 Depth=1
	global_load_b64 v[25:26], v[21:22], off
	global_load_b64 v[28:29], v[19:20], off
	v_add_co_u32 v19, vcc_lo, v19, 8
	v_add_co_ci_u32_e32 v20, vcc_lo, 0, v20, vcc_lo
	v_add_co_u32 v21, s0, v21, 8
	s_delay_alu instid0(VALU_DEP_1)
	v_add_co_ci_u32_e64 v22, s0, 0, v22, s0
	s_add_u32 s6, s6, 1
	s_addc_u32 s7, s7, 0
	s_and_not1_b32 s0, s34, exec_lo
	s_waitcnt vmcnt(0)
	v_cmp_ne_u64_e32 vcc_lo, v[25:26], v[28:29]
	s_and_b32 s34, vcc_lo, exec_lo
	s_delay_alu instid0(SALU_CYCLE_1)
	s_or_b32 s34, s0, s34
.LBB1691_68:                            ;   in Loop: Header=BB1691_69 Depth=1
	v_dual_mov_b32 v26, s7 :: v_dual_mov_b32 v25, s6
	s_and_b32 s0, exec_lo, s34
	s_delay_alu instid0(SALU_CYCLE_1) | instskip(NEXT) | instid1(SALU_CYCLE_1)
	s_or_b32 s31, s0, s31
	s_and_not1_b32 exec_lo, exec_lo, s31
	s_cbranch_execz .LBB1691_71
.LBB1691_69:                            ; =>This Inner Loop Header: Depth=1
	s_or_b32 s34, s34, exec_lo
	s_cmp_eq_u64 s[4:5], s[6:7]
	s_cbranch_scc0 .LBB1691_67
; %bb.70:                               ;   in Loop: Header=BB1691_69 Depth=1
	s_mov_b64 s[6:7], s[14:15]
                                        ; implicit-def: $vgpr19_vgpr20
                                        ; implicit-def: $vgpr21_vgpr22
	s_branch .LBB1691_68
.LBB1691_71:
	s_set_inst_prefetch_distance 0x2
	s_or_b32 exec_lo, exec_lo, s31
	v_cmp_gt_i64_e32 vcc_lo, s[14:15], v[25:26]
	s_or_not1_b32 s31, vcc_lo, exec_lo
.LBB1691_72:
	s_or_b32 exec_lo, exec_lo, s33
.LBB1691_73:
	v_mul_lo_u32 v21, v16, s14
	v_mul_lo_u32 v22, v15, s15
	v_mad_u64_u32 v[19:20], null, v15, s14, 0
	s_and_not1_b32 vcc_lo, exec_lo, s26
	s_delay_alu instid0(VALU_DEP_1) | instskip(NEXT) | instid1(VALU_DEP_1)
	v_add3_u32 v20, v20, v22, v21
	v_lshlrev_b64 v[21:22], 3, v[19:20]
	s_cbranch_vccnz .LBB1691_82
; %bb.74:
	s_delay_alu instid0(VALU_DEP_1) | instskip(NEXT) | instid1(VALU_DEP_2)
	v_add_co_u32 v25, vcc_lo, s16, v21
	v_add_co_ci_u32_e32 v26, vcc_lo, s17, v22, vcc_lo
	v_add_co_u32 v19, vcc_lo, s16, v23
	v_add_co_ci_u32_e32 v20, vcc_lo, s17, v24, vcc_lo
	s_mov_b32 s30, -1
	s_clause 0x1
	global_load_b64 v[23:24], v[25:26], off
	global_load_b64 v[28:29], v[19:20], off
	s_mov_b32 s33, exec_lo
	s_waitcnt vmcnt(0)
	v_cmpx_eq_u64_e64 v[23:24], v[28:29]
	s_cbranch_execz .LBB1691_81
; %bb.75:
	v_add_co_u32 v19, vcc_lo, v19, 8
	v_add_co_ci_u32_e32 v20, vcc_lo, 0, v20, vcc_lo
	v_add_co_u32 v23, vcc_lo, v25, 8
	v_add_co_ci_u32_e32 v24, vcc_lo, 0, v26, vcc_lo
	s_add_u32 s4, s14, -1
	s_addc_u32 s5, s15, -1
	s_mov_b64 s[6:7], 0
	s_mov_b32 s30, 0
                                        ; implicit-def: $sgpr34
	s_set_inst_prefetch_distance 0x1
	s_branch .LBB1691_78
	.p2align	6
.LBB1691_76:                            ;   in Loop: Header=BB1691_78 Depth=1
	global_load_b64 v[25:26], v[23:24], off
	global_load_b64 v[28:29], v[19:20], off
	v_add_co_u32 v19, vcc_lo, v19, 8
	v_add_co_ci_u32_e32 v20, vcc_lo, 0, v20, vcc_lo
	v_add_co_u32 v23, s0, v23, 8
	s_delay_alu instid0(VALU_DEP_1)
	v_add_co_ci_u32_e64 v24, s0, 0, v24, s0
	s_add_u32 s6, s6, 1
	s_addc_u32 s7, s7, 0
	s_and_not1_b32 s0, s34, exec_lo
	s_waitcnt vmcnt(0)
	v_cmp_ne_u64_e32 vcc_lo, v[25:26], v[28:29]
	s_and_b32 s34, vcc_lo, exec_lo
	s_delay_alu instid0(SALU_CYCLE_1)
	s_or_b32 s34, s0, s34
.LBB1691_77:                            ;   in Loop: Header=BB1691_78 Depth=1
	v_dual_mov_b32 v26, s7 :: v_dual_mov_b32 v25, s6
	s_and_b32 s0, exec_lo, s34
	s_delay_alu instid0(SALU_CYCLE_1) | instskip(NEXT) | instid1(SALU_CYCLE_1)
	s_or_b32 s30, s0, s30
	s_and_not1_b32 exec_lo, exec_lo, s30
	s_cbranch_execz .LBB1691_80
.LBB1691_78:                            ; =>This Inner Loop Header: Depth=1
	s_or_b32 s34, s34, exec_lo
	s_cmp_eq_u64 s[4:5], s[6:7]
	s_cbranch_scc0 .LBB1691_76
; %bb.79:                               ;   in Loop: Header=BB1691_78 Depth=1
	s_mov_b64 s[6:7], s[14:15]
                                        ; implicit-def: $vgpr19_vgpr20
                                        ; implicit-def: $vgpr23_vgpr24
	s_branch .LBB1691_77
.LBB1691_80:
	s_set_inst_prefetch_distance 0x2
	s_or_b32 exec_lo, exec_lo, s30
	v_cmp_gt_i64_e32 vcc_lo, s[14:15], v[25:26]
	s_or_not1_b32 s30, vcc_lo, exec_lo
.LBB1691_81:
	s_or_b32 exec_lo, exec_lo, s33
.LBB1691_82:
	v_mul_lo_u32 v23, v14, s14
	v_mul_lo_u32 v24, v13, s15
	v_mad_u64_u32 v[19:20], null, v13, s14, 0
	s_and_not1_b32 vcc_lo, exec_lo, s26
	s_mov_b32 s0, 0
	s_delay_alu instid0(VALU_DEP_1) | instskip(NEXT) | instid1(VALU_DEP_1)
	v_add3_u32 v20, v20, v24, v23
	v_lshlrev_b64 v[19:20], 3, v[19:20]
	s_cbranch_vccnz .LBB1691_91
; %bb.83:
	s_delay_alu instid0(VALU_DEP_1) | instskip(NEXT) | instid1(VALU_DEP_2)
	v_add_co_u32 v23, vcc_lo, s16, v19
	v_add_co_ci_u32_e32 v24, vcc_lo, s17, v20, vcc_lo
	v_add_co_u32 v21, vcc_lo, s16, v21
	v_add_co_ci_u32_e32 v22, vcc_lo, s17, v22, vcc_lo
	s_mov_b32 s0, -1
	s_clause 0x1
	global_load_b64 v[25:26], v[23:24], off
	global_load_b64 v[28:29], v[21:22], off
	s_mov_b32 s33, exec_lo
	s_waitcnt vmcnt(0)
	v_cmpx_eq_u64_e64 v[25:26], v[28:29]
	s_cbranch_execz .LBB1691_90
; %bb.84:
	v_add_co_u32 v21, vcc_lo, v21, 8
	v_add_co_ci_u32_e32 v22, vcc_lo, 0, v22, vcc_lo
	v_add_co_u32 v23, vcc_lo, v23, 8
	v_add_co_ci_u32_e32 v24, vcc_lo, 0, v24, vcc_lo
	s_add_u32 s4, s14, -1
	s_addc_u32 s5, s15, -1
	s_mov_b64 s[6:7], 0
	s_mov_b32 s34, 0
                                        ; implicit-def: $sgpr35
	s_set_inst_prefetch_distance 0x1
	s_branch .LBB1691_87
	.p2align	6
.LBB1691_85:                            ;   in Loop: Header=BB1691_87 Depth=1
	global_load_b64 v[25:26], v[23:24], off
	global_load_b64 v[28:29], v[21:22], off
	v_add_co_u32 v21, vcc_lo, v21, 8
	v_add_co_ci_u32_e32 v22, vcc_lo, 0, v22, vcc_lo
	v_add_co_u32 v23, s0, v23, 8
	s_delay_alu instid0(VALU_DEP_1)
	v_add_co_ci_u32_e64 v24, s0, 0, v24, s0
	s_add_u32 s6, s6, 1
	s_addc_u32 s7, s7, 0
	s_and_not1_b32 s0, s35, exec_lo
	s_waitcnt vmcnt(0)
	v_cmp_ne_u64_e32 vcc_lo, v[25:26], v[28:29]
	s_and_b32 s35, vcc_lo, exec_lo
	s_delay_alu instid0(SALU_CYCLE_1)
	s_or_b32 s35, s0, s35
.LBB1691_86:                            ;   in Loop: Header=BB1691_87 Depth=1
	v_dual_mov_b32 v26, s7 :: v_dual_mov_b32 v25, s6
	s_and_b32 s0, exec_lo, s35
	s_delay_alu instid0(SALU_CYCLE_1) | instskip(NEXT) | instid1(SALU_CYCLE_1)
	s_or_b32 s34, s0, s34
	s_and_not1_b32 exec_lo, exec_lo, s34
	s_cbranch_execz .LBB1691_89
.LBB1691_87:                            ; =>This Inner Loop Header: Depth=1
	s_or_b32 s35, s35, exec_lo
	s_cmp_eq_u64 s[4:5], s[6:7]
	s_cbranch_scc0 .LBB1691_85
; %bb.88:                               ;   in Loop: Header=BB1691_87 Depth=1
	s_mov_b64 s[6:7], s[14:15]
                                        ; implicit-def: $vgpr21_vgpr22
                                        ; implicit-def: $vgpr23_vgpr24
	s_branch .LBB1691_86
.LBB1691_89:
	s_set_inst_prefetch_distance 0x2
	s_or_b32 exec_lo, exec_lo, s34
	v_cmp_gt_i64_e32 vcc_lo, s[14:15], v[25:26]
	s_or_not1_b32 s0, vcc_lo, exec_lo
.LBB1691_90:
	s_or_b32 exec_lo, exec_lo, s33
.LBB1691_91:
	s_waitcnt vmcnt(0)
	v_dual_mov_b32 v22, v18 :: v_dual_mov_b32 v21, v17
	s_waitcnt lgkmcnt(0)
	s_barrier
	buffer_gl0_inv
	s_and_saveexec_b32 s4, s3
	s_cbranch_execz .LBB1691_93
; %bb.92:
	v_add_nc_u32_e32 v21, -8, v39
	ds_load_b64 v[21:22], v21
.LBB1691_93:
	s_or_b32 exec_lo, exec_lo, s4
	v_cndmask_b32_e64 v24, 0, 1, s31
	v_cndmask_b32_e64 v26, 0, 1, s29
	;; [unrolled: 1-line block ×7, first 2 shown]
	v_lshlrev_b16 v24, 8, v24
	v_lshlrev_b16 v26, 8, v26
	;; [unrolled: 1-line block ×4, first 2 shown]
	s_mov_b32 s25, 0
	v_or_b32_e32 v23, v23, v24
	v_or_b32_e32 v24, v25, v26
	;; [unrolled: 1-line block ×3, first 2 shown]
	v_and_b32_e32 v25, 0xffff, v29
	s_and_not1_b32 vcc_lo, exec_lo, s26
	v_lshlrev_b32_e32 v26, 16, v23
	v_and_b32_e32 v28, 0xffff, v24
	v_lshlrev_b32_e32 v29, 16, v30
	s_mov_b32 s0, 0
	s_cbranch_vccnz .LBB1691_102
; %bb.94:
	s_waitcnt lgkmcnt(0)
	v_mul_lo_u32 v24, v22, s14
	v_mul_lo_u32 v30, v21, s15
	v_mad_u64_u32 v[22:23], null, v21, s14, 0
	s_mov_b32 s0, -1
	s_mov_b32 s27, exec_lo
	s_delay_alu instid0(VALU_DEP_1) | instskip(NEXT) | instid1(VALU_DEP_1)
	v_add3_u32 v23, v23, v30, v24
	v_lshlrev_b64 v[21:22], 3, v[22:23]
	s_delay_alu instid0(VALU_DEP_1) | instskip(NEXT) | instid1(VALU_DEP_2)
	v_add_co_u32 v21, vcc_lo, s16, v21
	v_add_co_ci_u32_e32 v22, vcc_lo, s17, v22, vcc_lo
	v_add_co_u32 v19, vcc_lo, s16, v19
	v_add_co_ci_u32_e32 v20, vcc_lo, s17, v20, vcc_lo
	s_clause 0x1
	global_load_b64 v[23:24], v[21:22], off
	global_load_b64 v[30:31], v[19:20], off
	s_waitcnt vmcnt(0)
	v_cmpx_eq_u64_e64 v[23:24], v[30:31]
	s_cbranch_execz .LBB1691_101
; %bb.95:
	v_add_co_u32 v19, vcc_lo, v19, 8
	v_add_co_ci_u32_e32 v20, vcc_lo, 0, v20, vcc_lo
	v_add_co_u32 v21, vcc_lo, v21, 8
	v_add_co_ci_u32_e32 v22, vcc_lo, 0, v22, vcc_lo
	s_add_u32 s4, s14, -1
	s_addc_u32 s5, s15, -1
	s_mov_b64 s[6:7], 0
	s_mov_b32 s28, 0
                                        ; implicit-def: $sgpr29
	s_set_inst_prefetch_distance 0x1
	s_branch .LBB1691_98
	.p2align	6
.LBB1691_96:                            ;   in Loop: Header=BB1691_98 Depth=1
	global_load_b64 v[23:24], v[21:22], off
	global_load_b64 v[30:31], v[19:20], off
	v_add_co_u32 v19, vcc_lo, v19, 8
	v_add_co_ci_u32_e32 v20, vcc_lo, 0, v20, vcc_lo
	v_add_co_u32 v21, s0, v21, 8
	s_delay_alu instid0(VALU_DEP_1)
	v_add_co_ci_u32_e64 v22, s0, 0, v22, s0
	s_add_u32 s6, s6, 1
	s_addc_u32 s7, s7, 0
	s_and_not1_b32 s0, s29, exec_lo
	s_waitcnt vmcnt(0)
	v_cmp_ne_u64_e32 vcc_lo, v[23:24], v[30:31]
	s_and_b32 s29, vcc_lo, exec_lo
	s_delay_alu instid0(SALU_CYCLE_1)
	s_or_b32 s29, s0, s29
.LBB1691_97:                            ;   in Loop: Header=BB1691_98 Depth=1
	v_dual_mov_b32 v24, s7 :: v_dual_mov_b32 v23, s6
	s_and_b32 s0, exec_lo, s29
	s_delay_alu instid0(SALU_CYCLE_1) | instskip(NEXT) | instid1(SALU_CYCLE_1)
	s_or_b32 s28, s0, s28
	s_and_not1_b32 exec_lo, exec_lo, s28
	s_cbranch_execz .LBB1691_100
.LBB1691_98:                            ; =>This Inner Loop Header: Depth=1
	s_or_b32 s29, s29, exec_lo
	s_cmp_eq_u64 s[4:5], s[6:7]
	s_cbranch_scc0 .LBB1691_96
; %bb.99:                               ;   in Loop: Header=BB1691_98 Depth=1
	s_mov_b64 s[6:7], s[14:15]
                                        ; implicit-def: $vgpr19_vgpr20
                                        ; implicit-def: $vgpr21_vgpr22
	s_branch .LBB1691_97
.LBB1691_100:
	s_set_inst_prefetch_distance 0x2
	s_or_b32 exec_lo, exec_lo, s28
	v_cmp_gt_i64_e32 vcc_lo, s[14:15], v[23:24]
	s_or_not1_b32 s0, vcc_lo, exec_lo
.LBB1691_101:
	s_or_b32 exec_lo, exec_lo, s27
.LBB1691_102:
	v_or_b32_e32 v19, v25, v26
	s_delay_alu instid0(VALU_DEP_2)
	v_or_b32_e32 v20, v28, v29
	s_and_b32 vcc_lo, exec_lo, s25
	s_cbranch_vccz .LBB1691_194
.LBB1691_103:
	v_or_b32_e32 v19, 7, v39
	s_mov_b32 s25, 0
	s_mov_b32 s27, 0
	s_mov_b32 s28, exec_lo
	s_delay_alu instid0(VALU_DEP_1)
	v_cmpx_gt_u32_e64 s12, v19
	s_cbranch_execz .LBB1691_114
; %bb.104:
	s_and_not1_b32 vcc_lo, exec_lo, s26
	s_mov_b32 s0, 0
	s_cbranch_vccnz .LBB1691_113
; %bb.105:
	v_mul_lo_u32 v23, v2, s14
	v_mul_lo_u32 v24, v1, s15
	v_mad_u64_u32 v[19:20], null, v1, s14, 0
	v_mul_lo_u32 v25, v4, s14
	v_mul_lo_u32 v26, v3, s15
	s_waitcnt lgkmcnt(0)
	v_mad_u64_u32 v[21:22], null, v3, s14, 0
	s_mov_b32 s0, -1
	s_mov_b32 s26, exec_lo
	s_delay_alu instid0(VALU_DEP_4) | instskip(NEXT) | instid1(VALU_DEP_2)
	v_add3_u32 v20, v20, v24, v23
	v_add3_u32 v22, v22, v26, v25
	s_delay_alu instid0(VALU_DEP_2) | instskip(NEXT) | instid1(VALU_DEP_2)
	v_lshlrev_b64 v[19:20], 3, v[19:20]
	v_lshlrev_b64 v[23:24], 3, v[21:22]
	s_delay_alu instid0(VALU_DEP_2) | instskip(NEXT) | instid1(VALU_DEP_3)
	v_add_co_u32 v21, vcc_lo, s16, v19
	v_add_co_ci_u32_e32 v22, vcc_lo, s17, v20, vcc_lo
	s_delay_alu instid0(VALU_DEP_3) | instskip(NEXT) | instid1(VALU_DEP_4)
	v_add_co_u32 v19, vcc_lo, s16, v23
	v_add_co_ci_u32_e32 v20, vcc_lo, s17, v24, vcc_lo
	s_clause 0x1
	global_load_b64 v[23:24], v[21:22], off
	global_load_b64 v[25:26], v[19:20], off
	s_waitcnt vmcnt(0)
	v_cmpx_eq_u64_e64 v[23:24], v[25:26]
	s_cbranch_execz .LBB1691_112
; %bb.106:
	v_add_co_u32 v19, vcc_lo, v19, 8
	v_add_co_ci_u32_e32 v20, vcc_lo, 0, v20, vcc_lo
	v_add_co_u32 v21, vcc_lo, v21, 8
	v_add_co_ci_u32_e32 v22, vcc_lo, 0, v22, vcc_lo
	s_add_u32 s4, s14, -1
	s_addc_u32 s5, s15, -1
	s_mov_b64 s[6:7], 0
                                        ; implicit-def: $sgpr29
	s_set_inst_prefetch_distance 0x1
	s_branch .LBB1691_109
	.p2align	6
.LBB1691_107:                           ;   in Loop: Header=BB1691_109 Depth=1
	global_load_b64 v[23:24], v[21:22], off
	global_load_b64 v[25:26], v[19:20], off
	v_add_co_u32 v19, vcc_lo, v19, 8
	v_add_co_ci_u32_e32 v20, vcc_lo, 0, v20, vcc_lo
	v_add_co_u32 v21, s0, v21, 8
	s_delay_alu instid0(VALU_DEP_1)
	v_add_co_ci_u32_e64 v22, s0, 0, v22, s0
	s_add_u32 s6, s6, 1
	s_addc_u32 s7, s7, 0
	s_and_not1_b32 s0, s29, exec_lo
	s_waitcnt vmcnt(0)
	v_cmp_ne_u64_e32 vcc_lo, v[23:24], v[25:26]
	s_and_b32 s29, vcc_lo, exec_lo
	s_delay_alu instid0(SALU_CYCLE_1)
	s_or_b32 s29, s0, s29
.LBB1691_108:                           ;   in Loop: Header=BB1691_109 Depth=1
	v_dual_mov_b32 v24, s7 :: v_dual_mov_b32 v23, s6
	s_and_b32 s0, exec_lo, s29
	s_delay_alu instid0(SALU_CYCLE_1) | instskip(NEXT) | instid1(SALU_CYCLE_1)
	s_or_b32 s27, s0, s27
	s_and_not1_b32 exec_lo, exec_lo, s27
	s_cbranch_execz .LBB1691_111
.LBB1691_109:                           ; =>This Inner Loop Header: Depth=1
	s_or_b32 s29, s29, exec_lo
	s_cmp_eq_u64 s[4:5], s[6:7]
	s_cbranch_scc0 .LBB1691_107
; %bb.110:                              ;   in Loop: Header=BB1691_109 Depth=1
	s_mov_b64 s[6:7], s[14:15]
                                        ; implicit-def: $vgpr19_vgpr20
                                        ; implicit-def: $vgpr21_vgpr22
	s_branch .LBB1691_108
.LBB1691_111:
	s_set_inst_prefetch_distance 0x2
	s_or_b32 exec_lo, exec_lo, s27
	v_cmp_gt_i64_e32 vcc_lo, s[14:15], v[23:24]
	s_or_not1_b32 s0, vcc_lo, exec_lo
.LBB1691_112:
	s_or_b32 exec_lo, exec_lo, s26
.LBB1691_113:
	s_delay_alu instid0(SALU_CYCLE_1)
	s_and_b32 s27, s0, exec_lo
.LBB1691_114:
	s_or_b32 exec_lo, exec_lo, s28
	v_or_b32_e32 v19, 6, v39
	s_mov_b32 s26, exec_lo
	s_delay_alu instid0(VALU_DEP_1)
	v_cmpx_gt_u32_e64 s12, v19
	s_cbranch_execz .LBB1691_125
; %bb.115:
	v_cmp_ne_u32_e32 vcc_lo, 1, v27
	s_mov_b32 s0, 0
	s_cbranch_vccnz .LBB1691_124
; %bb.116:
	v_mul_lo_u32 v23, v8, s14
	v_mul_lo_u32 v24, v7, s15
	v_mad_u64_u32 v[19:20], null, v7, s14, 0
	v_mul_lo_u32 v25, v2, s14
	v_mul_lo_u32 v26, v1, s15
	s_waitcnt lgkmcnt(0)
	v_mad_u64_u32 v[21:22], null, v1, s14, 0
	s_mov_b32 s0, -1
	s_mov_b32 s25, exec_lo
	s_delay_alu instid0(VALU_DEP_4) | instskip(NEXT) | instid1(VALU_DEP_2)
	v_add3_u32 v20, v20, v24, v23
	v_add3_u32 v22, v22, v26, v25
	s_delay_alu instid0(VALU_DEP_2) | instskip(NEXT) | instid1(VALU_DEP_2)
	v_lshlrev_b64 v[19:20], 3, v[19:20]
	v_lshlrev_b64 v[23:24], 3, v[21:22]
	s_delay_alu instid0(VALU_DEP_2) | instskip(NEXT) | instid1(VALU_DEP_3)
	v_add_co_u32 v21, vcc_lo, s16, v19
	v_add_co_ci_u32_e32 v22, vcc_lo, s17, v20, vcc_lo
	s_delay_alu instid0(VALU_DEP_3) | instskip(NEXT) | instid1(VALU_DEP_4)
	v_add_co_u32 v19, vcc_lo, s16, v23
	v_add_co_ci_u32_e32 v20, vcc_lo, s17, v24, vcc_lo
	s_clause 0x1
	global_load_b64 v[23:24], v[21:22], off
	global_load_b64 v[25:26], v[19:20], off
	s_waitcnt vmcnt(0)
	v_cmpx_eq_u64_e64 v[23:24], v[25:26]
	s_cbranch_execz .LBB1691_123
; %bb.117:
	v_add_co_u32 v19, vcc_lo, v19, 8
	v_add_co_ci_u32_e32 v20, vcc_lo, 0, v20, vcc_lo
	v_add_co_u32 v21, vcc_lo, v21, 8
	v_add_co_ci_u32_e32 v22, vcc_lo, 0, v22, vcc_lo
	s_add_u32 s4, s14, -1
	s_addc_u32 s5, s15, -1
	s_mov_b64 s[6:7], 0
	s_mov_b32 s28, 0
                                        ; implicit-def: $sgpr29
	s_set_inst_prefetch_distance 0x1
	s_branch .LBB1691_120
	.p2align	6
.LBB1691_118:                           ;   in Loop: Header=BB1691_120 Depth=1
	global_load_b64 v[23:24], v[21:22], off
	global_load_b64 v[25:26], v[19:20], off
	v_add_co_u32 v19, vcc_lo, v19, 8
	v_add_co_ci_u32_e32 v20, vcc_lo, 0, v20, vcc_lo
	v_add_co_u32 v21, s0, v21, 8
	s_delay_alu instid0(VALU_DEP_1)
	v_add_co_ci_u32_e64 v22, s0, 0, v22, s0
	s_add_u32 s6, s6, 1
	s_addc_u32 s7, s7, 0
	s_and_not1_b32 s0, s29, exec_lo
	s_waitcnt vmcnt(0)
	v_cmp_ne_u64_e32 vcc_lo, v[23:24], v[25:26]
	s_and_b32 s29, vcc_lo, exec_lo
	s_delay_alu instid0(SALU_CYCLE_1)
	s_or_b32 s29, s0, s29
.LBB1691_119:                           ;   in Loop: Header=BB1691_120 Depth=1
	v_dual_mov_b32 v24, s7 :: v_dual_mov_b32 v23, s6
	s_and_b32 s0, exec_lo, s29
	s_delay_alu instid0(SALU_CYCLE_1) | instskip(NEXT) | instid1(SALU_CYCLE_1)
	s_or_b32 s28, s0, s28
	s_and_not1_b32 exec_lo, exec_lo, s28
	s_cbranch_execz .LBB1691_122
.LBB1691_120:                           ; =>This Inner Loop Header: Depth=1
	s_or_b32 s29, s29, exec_lo
	s_cmp_eq_u64 s[4:5], s[6:7]
	s_cbranch_scc0 .LBB1691_118
; %bb.121:                              ;   in Loop: Header=BB1691_120 Depth=1
	s_mov_b64 s[6:7], s[14:15]
                                        ; implicit-def: $vgpr19_vgpr20
                                        ; implicit-def: $vgpr21_vgpr22
	s_branch .LBB1691_119
.LBB1691_122:
	s_set_inst_prefetch_distance 0x2
	s_or_b32 exec_lo, exec_lo, s28
	v_cmp_gt_i64_e32 vcc_lo, s[14:15], v[23:24]
	s_or_not1_b32 s0, vcc_lo, exec_lo
.LBB1691_123:
	s_or_b32 exec_lo, exec_lo, s25
.LBB1691_124:
	s_delay_alu instid0(SALU_CYCLE_1)
	s_and_b32 s25, s0, exec_lo
.LBB1691_125:
	s_or_b32 exec_lo, exec_lo, s26
	v_or_b32_e32 v19, 5, v39
	s_mov_b32 s28, 0
	s_mov_b32 s26, 0
	s_mov_b32 s29, exec_lo
	s_delay_alu instid0(VALU_DEP_1)
	v_cmpx_gt_u32_e64 s12, v19
	s_cbranch_execz .LBB1691_136
; %bb.126:
	v_cmp_ne_u32_e32 vcc_lo, 1, v27
	s_mov_b32 s0, 0
	s_cbranch_vccnz .LBB1691_135
; %bb.127:
	v_mul_lo_u32 v23, v6, s14
	v_mul_lo_u32 v24, v5, s15
	v_mad_u64_u32 v[19:20], null, v5, s14, 0
	v_mul_lo_u32 v25, v8, s14
	v_mul_lo_u32 v26, v7, s15
	s_waitcnt lgkmcnt(0)
	v_mad_u64_u32 v[21:22], null, v7, s14, 0
	s_mov_b32 s0, -1
	s_mov_b32 s26, exec_lo
	s_delay_alu instid0(VALU_DEP_4) | instskip(NEXT) | instid1(VALU_DEP_2)
	v_add3_u32 v20, v20, v24, v23
	v_add3_u32 v22, v22, v26, v25
	s_delay_alu instid0(VALU_DEP_2) | instskip(NEXT) | instid1(VALU_DEP_2)
	v_lshlrev_b64 v[19:20], 3, v[19:20]
	v_lshlrev_b64 v[23:24], 3, v[21:22]
	s_delay_alu instid0(VALU_DEP_2) | instskip(NEXT) | instid1(VALU_DEP_3)
	v_add_co_u32 v21, vcc_lo, s16, v19
	v_add_co_ci_u32_e32 v22, vcc_lo, s17, v20, vcc_lo
	s_delay_alu instid0(VALU_DEP_3) | instskip(NEXT) | instid1(VALU_DEP_4)
	v_add_co_u32 v19, vcc_lo, s16, v23
	v_add_co_ci_u32_e32 v20, vcc_lo, s17, v24, vcc_lo
	s_clause 0x1
	global_load_b64 v[23:24], v[21:22], off
	global_load_b64 v[25:26], v[19:20], off
	s_waitcnt vmcnt(0)
	v_cmpx_eq_u64_e64 v[23:24], v[25:26]
	s_cbranch_execz .LBB1691_134
; %bb.128:
	v_add_co_u32 v19, vcc_lo, v19, 8
	v_add_co_ci_u32_e32 v20, vcc_lo, 0, v20, vcc_lo
	v_add_co_u32 v21, vcc_lo, v21, 8
	v_add_co_ci_u32_e32 v22, vcc_lo, 0, v22, vcc_lo
	s_add_u32 s4, s14, -1
	s_addc_u32 s5, s15, -1
	s_mov_b64 s[6:7], 0
	s_mov_b32 s30, 0
                                        ; implicit-def: $sgpr31
	s_set_inst_prefetch_distance 0x1
	s_branch .LBB1691_131
	.p2align	6
.LBB1691_129:                           ;   in Loop: Header=BB1691_131 Depth=1
	global_load_b64 v[23:24], v[21:22], off
	global_load_b64 v[25:26], v[19:20], off
	v_add_co_u32 v19, vcc_lo, v19, 8
	v_add_co_ci_u32_e32 v20, vcc_lo, 0, v20, vcc_lo
	v_add_co_u32 v21, s0, v21, 8
	s_delay_alu instid0(VALU_DEP_1)
	v_add_co_ci_u32_e64 v22, s0, 0, v22, s0
	s_add_u32 s6, s6, 1
	s_addc_u32 s7, s7, 0
	s_and_not1_b32 s0, s31, exec_lo
	s_waitcnt vmcnt(0)
	v_cmp_ne_u64_e32 vcc_lo, v[23:24], v[25:26]
	s_and_b32 s31, vcc_lo, exec_lo
	s_delay_alu instid0(SALU_CYCLE_1)
	s_or_b32 s31, s0, s31
.LBB1691_130:                           ;   in Loop: Header=BB1691_131 Depth=1
	v_dual_mov_b32 v24, s7 :: v_dual_mov_b32 v23, s6
	s_and_b32 s0, exec_lo, s31
	s_delay_alu instid0(SALU_CYCLE_1) | instskip(NEXT) | instid1(SALU_CYCLE_1)
	s_or_b32 s30, s0, s30
	s_and_not1_b32 exec_lo, exec_lo, s30
	s_cbranch_execz .LBB1691_133
.LBB1691_131:                           ; =>This Inner Loop Header: Depth=1
	s_or_b32 s31, s31, exec_lo
	s_cmp_eq_u64 s[4:5], s[6:7]
	s_cbranch_scc0 .LBB1691_129
; %bb.132:                              ;   in Loop: Header=BB1691_131 Depth=1
	s_mov_b64 s[6:7], s[14:15]
                                        ; implicit-def: $vgpr19_vgpr20
                                        ; implicit-def: $vgpr21_vgpr22
	s_branch .LBB1691_130
.LBB1691_133:
	s_set_inst_prefetch_distance 0x2
	s_or_b32 exec_lo, exec_lo, s30
	v_cmp_gt_i64_e32 vcc_lo, s[14:15], v[23:24]
	s_or_not1_b32 s0, vcc_lo, exec_lo
.LBB1691_134:
	s_or_b32 exec_lo, exec_lo, s26
.LBB1691_135:
	s_delay_alu instid0(SALU_CYCLE_1)
	s_and_b32 s26, s0, exec_lo
.LBB1691_136:
	s_or_b32 exec_lo, exec_lo, s29
	v_or_b32_e32 v19, 4, v39
	s_mov_b32 s29, exec_lo
	s_delay_alu instid0(VALU_DEP_1)
	v_cmpx_gt_u32_e64 s12, v19
	s_cbranch_execz .LBB1691_147
; %bb.137:
	v_cmp_ne_u32_e32 vcc_lo, 1, v27
	s_mov_b32 s0, 0
	s_cbranch_vccnz .LBB1691_146
; %bb.138:
	v_mul_lo_u32 v23, v12, s14
	v_mul_lo_u32 v24, v11, s15
	v_mad_u64_u32 v[19:20], null, v11, s14, 0
	v_mul_lo_u32 v25, v6, s14
	v_mul_lo_u32 v26, v5, s15
	s_waitcnt lgkmcnt(0)
	v_mad_u64_u32 v[21:22], null, v5, s14, 0
	s_mov_b32 s0, -1
	s_mov_b32 s28, exec_lo
	s_delay_alu instid0(VALU_DEP_4) | instskip(NEXT) | instid1(VALU_DEP_2)
	v_add3_u32 v20, v20, v24, v23
	v_add3_u32 v22, v22, v26, v25
	s_delay_alu instid0(VALU_DEP_2) | instskip(NEXT) | instid1(VALU_DEP_2)
	v_lshlrev_b64 v[19:20], 3, v[19:20]
	v_lshlrev_b64 v[23:24], 3, v[21:22]
	s_delay_alu instid0(VALU_DEP_2) | instskip(NEXT) | instid1(VALU_DEP_3)
	v_add_co_u32 v21, vcc_lo, s16, v19
	v_add_co_ci_u32_e32 v22, vcc_lo, s17, v20, vcc_lo
	s_delay_alu instid0(VALU_DEP_3) | instskip(NEXT) | instid1(VALU_DEP_4)
	v_add_co_u32 v19, vcc_lo, s16, v23
	v_add_co_ci_u32_e32 v20, vcc_lo, s17, v24, vcc_lo
	s_clause 0x1
	global_load_b64 v[23:24], v[21:22], off
	global_load_b64 v[25:26], v[19:20], off
	s_waitcnt vmcnt(0)
	v_cmpx_eq_u64_e64 v[23:24], v[25:26]
	s_cbranch_execz .LBB1691_145
; %bb.139:
	v_add_co_u32 v19, vcc_lo, v19, 8
	v_add_co_ci_u32_e32 v20, vcc_lo, 0, v20, vcc_lo
	v_add_co_u32 v21, vcc_lo, v21, 8
	v_add_co_ci_u32_e32 v22, vcc_lo, 0, v22, vcc_lo
	s_add_u32 s4, s14, -1
	s_addc_u32 s5, s15, -1
	s_mov_b64 s[6:7], 0
	s_mov_b32 s30, 0
                                        ; implicit-def: $sgpr31
	s_set_inst_prefetch_distance 0x1
	s_branch .LBB1691_142
	.p2align	6
.LBB1691_140:                           ;   in Loop: Header=BB1691_142 Depth=1
	global_load_b64 v[23:24], v[21:22], off
	global_load_b64 v[25:26], v[19:20], off
	v_add_co_u32 v19, vcc_lo, v19, 8
	v_add_co_ci_u32_e32 v20, vcc_lo, 0, v20, vcc_lo
	v_add_co_u32 v21, s0, v21, 8
	s_delay_alu instid0(VALU_DEP_1)
	v_add_co_ci_u32_e64 v22, s0, 0, v22, s0
	s_add_u32 s6, s6, 1
	s_addc_u32 s7, s7, 0
	s_and_not1_b32 s0, s31, exec_lo
	s_waitcnt vmcnt(0)
	v_cmp_ne_u64_e32 vcc_lo, v[23:24], v[25:26]
	s_and_b32 s31, vcc_lo, exec_lo
	s_delay_alu instid0(SALU_CYCLE_1)
	s_or_b32 s31, s0, s31
.LBB1691_141:                           ;   in Loop: Header=BB1691_142 Depth=1
	v_dual_mov_b32 v24, s7 :: v_dual_mov_b32 v23, s6
	s_and_b32 s0, exec_lo, s31
	s_delay_alu instid0(SALU_CYCLE_1) | instskip(NEXT) | instid1(SALU_CYCLE_1)
	s_or_b32 s30, s0, s30
	s_and_not1_b32 exec_lo, exec_lo, s30
	s_cbranch_execz .LBB1691_144
.LBB1691_142:                           ; =>This Inner Loop Header: Depth=1
	s_or_b32 s31, s31, exec_lo
	s_cmp_eq_u64 s[4:5], s[6:7]
	s_cbranch_scc0 .LBB1691_140
; %bb.143:                              ;   in Loop: Header=BB1691_142 Depth=1
	s_mov_b64 s[6:7], s[14:15]
                                        ; implicit-def: $vgpr19_vgpr20
                                        ; implicit-def: $vgpr21_vgpr22
	s_branch .LBB1691_141
.LBB1691_144:
	s_set_inst_prefetch_distance 0x2
	s_or_b32 exec_lo, exec_lo, s30
	v_cmp_gt_i64_e32 vcc_lo, s[14:15], v[23:24]
	s_or_not1_b32 s0, vcc_lo, exec_lo
.LBB1691_145:
	s_or_b32 exec_lo, exec_lo, s28
.LBB1691_146:
	s_delay_alu instid0(SALU_CYCLE_1)
	s_and_b32 s28, s0, exec_lo
.LBB1691_147:
	s_or_b32 exec_lo, exec_lo, s29
	v_or_b32_e32 v19, 3, v39
	s_mov_b32 s30, 0
	s_mov_b32 s29, 0
	s_mov_b32 s31, exec_lo
	s_delay_alu instid0(VALU_DEP_1)
	v_cmpx_gt_u32_e64 s12, v19
	s_cbranch_execz .LBB1691_158
; %bb.148:
	v_cmp_ne_u32_e32 vcc_lo, 1, v27
	s_mov_b32 s0, 0
	s_cbranch_vccnz .LBB1691_157
; %bb.149:
	v_mul_lo_u32 v23, v10, s14
	v_mul_lo_u32 v24, v9, s15
	v_mad_u64_u32 v[19:20], null, v9, s14, 0
	v_mul_lo_u32 v25, v12, s14
	v_mul_lo_u32 v26, v11, s15
	s_waitcnt lgkmcnt(0)
	v_mad_u64_u32 v[21:22], null, v11, s14, 0
	s_mov_b32 s0, -1
	s_mov_b32 s29, exec_lo
	s_delay_alu instid0(VALU_DEP_4) | instskip(NEXT) | instid1(VALU_DEP_2)
	v_add3_u32 v20, v20, v24, v23
	v_add3_u32 v22, v22, v26, v25
	s_delay_alu instid0(VALU_DEP_2) | instskip(NEXT) | instid1(VALU_DEP_2)
	v_lshlrev_b64 v[19:20], 3, v[19:20]
	v_lshlrev_b64 v[23:24], 3, v[21:22]
	s_delay_alu instid0(VALU_DEP_2) | instskip(NEXT) | instid1(VALU_DEP_3)
	v_add_co_u32 v21, vcc_lo, s16, v19
	v_add_co_ci_u32_e32 v22, vcc_lo, s17, v20, vcc_lo
	s_delay_alu instid0(VALU_DEP_3) | instskip(NEXT) | instid1(VALU_DEP_4)
	v_add_co_u32 v19, vcc_lo, s16, v23
	v_add_co_ci_u32_e32 v20, vcc_lo, s17, v24, vcc_lo
	s_clause 0x1
	global_load_b64 v[23:24], v[21:22], off
	global_load_b64 v[25:26], v[19:20], off
	s_waitcnt vmcnt(0)
	v_cmpx_eq_u64_e64 v[23:24], v[25:26]
	s_cbranch_execz .LBB1691_156
; %bb.150:
	v_add_co_u32 v19, vcc_lo, v19, 8
	v_add_co_ci_u32_e32 v20, vcc_lo, 0, v20, vcc_lo
	v_add_co_u32 v21, vcc_lo, v21, 8
	v_add_co_ci_u32_e32 v22, vcc_lo, 0, v22, vcc_lo
	s_add_u32 s4, s14, -1
	s_addc_u32 s5, s15, -1
	s_mov_b64 s[6:7], 0
	s_mov_b32 s33, 0
                                        ; implicit-def: $sgpr34
	s_set_inst_prefetch_distance 0x1
	s_branch .LBB1691_153
	.p2align	6
.LBB1691_151:                           ;   in Loop: Header=BB1691_153 Depth=1
	global_load_b64 v[23:24], v[21:22], off
	global_load_b64 v[25:26], v[19:20], off
	v_add_co_u32 v19, vcc_lo, v19, 8
	v_add_co_ci_u32_e32 v20, vcc_lo, 0, v20, vcc_lo
	v_add_co_u32 v21, s0, v21, 8
	s_delay_alu instid0(VALU_DEP_1)
	v_add_co_ci_u32_e64 v22, s0, 0, v22, s0
	s_add_u32 s6, s6, 1
	s_addc_u32 s7, s7, 0
	s_and_not1_b32 s0, s34, exec_lo
	s_waitcnt vmcnt(0)
	v_cmp_ne_u64_e32 vcc_lo, v[23:24], v[25:26]
	s_and_b32 s34, vcc_lo, exec_lo
	s_delay_alu instid0(SALU_CYCLE_1)
	s_or_b32 s34, s0, s34
.LBB1691_152:                           ;   in Loop: Header=BB1691_153 Depth=1
	v_dual_mov_b32 v24, s7 :: v_dual_mov_b32 v23, s6
	s_and_b32 s0, exec_lo, s34
	s_delay_alu instid0(SALU_CYCLE_1) | instskip(NEXT) | instid1(SALU_CYCLE_1)
	s_or_b32 s33, s0, s33
	s_and_not1_b32 exec_lo, exec_lo, s33
	s_cbranch_execz .LBB1691_155
.LBB1691_153:                           ; =>This Inner Loop Header: Depth=1
	s_or_b32 s34, s34, exec_lo
	s_cmp_eq_u64 s[4:5], s[6:7]
	s_cbranch_scc0 .LBB1691_151
; %bb.154:                              ;   in Loop: Header=BB1691_153 Depth=1
	s_mov_b64 s[6:7], s[14:15]
                                        ; implicit-def: $vgpr19_vgpr20
                                        ; implicit-def: $vgpr21_vgpr22
	s_branch .LBB1691_152
.LBB1691_155:
	s_set_inst_prefetch_distance 0x2
	s_or_b32 exec_lo, exec_lo, s33
	v_cmp_gt_i64_e32 vcc_lo, s[14:15], v[23:24]
	s_or_not1_b32 s0, vcc_lo, exec_lo
.LBB1691_156:
	s_or_b32 exec_lo, exec_lo, s29
.LBB1691_157:
	s_delay_alu instid0(SALU_CYCLE_1)
	s_and_b32 s29, s0, exec_lo
.LBB1691_158:
	s_or_b32 exec_lo, exec_lo, s31
	v_or_b32_e32 v19, 2, v39
	s_mov_b32 s31, exec_lo
	s_delay_alu instid0(VALU_DEP_1)
	v_cmpx_gt_u32_e64 s12, v19
	s_cbranch_execz .LBB1691_169
; %bb.159:
	v_cmp_ne_u32_e32 vcc_lo, 1, v27
	s_mov_b32 s0, 0
	s_cbranch_vccnz .LBB1691_168
; %bb.160:
	v_mul_lo_u32 v23, v16, s14
	v_mul_lo_u32 v24, v15, s15
	v_mad_u64_u32 v[19:20], null, v15, s14, 0
	v_mul_lo_u32 v25, v10, s14
	v_mul_lo_u32 v26, v9, s15
	s_waitcnt lgkmcnt(0)
	v_mad_u64_u32 v[21:22], null, v9, s14, 0
	s_mov_b32 s0, -1
	s_mov_b32 s30, exec_lo
	s_delay_alu instid0(VALU_DEP_4) | instskip(NEXT) | instid1(VALU_DEP_2)
	v_add3_u32 v20, v20, v24, v23
	v_add3_u32 v22, v22, v26, v25
	s_delay_alu instid0(VALU_DEP_2) | instskip(NEXT) | instid1(VALU_DEP_2)
	v_lshlrev_b64 v[19:20], 3, v[19:20]
	v_lshlrev_b64 v[23:24], 3, v[21:22]
	s_delay_alu instid0(VALU_DEP_2) | instskip(NEXT) | instid1(VALU_DEP_3)
	v_add_co_u32 v21, vcc_lo, s16, v19
	v_add_co_ci_u32_e32 v22, vcc_lo, s17, v20, vcc_lo
	s_delay_alu instid0(VALU_DEP_3) | instskip(NEXT) | instid1(VALU_DEP_4)
	v_add_co_u32 v19, vcc_lo, s16, v23
	v_add_co_ci_u32_e32 v20, vcc_lo, s17, v24, vcc_lo
	s_clause 0x1
	global_load_b64 v[23:24], v[21:22], off
	global_load_b64 v[25:26], v[19:20], off
	s_waitcnt vmcnt(0)
	v_cmpx_eq_u64_e64 v[23:24], v[25:26]
	s_cbranch_execz .LBB1691_167
; %bb.161:
	v_add_co_u32 v19, vcc_lo, v19, 8
	v_add_co_ci_u32_e32 v20, vcc_lo, 0, v20, vcc_lo
	v_add_co_u32 v21, vcc_lo, v21, 8
	v_add_co_ci_u32_e32 v22, vcc_lo, 0, v22, vcc_lo
	s_add_u32 s4, s14, -1
	s_addc_u32 s5, s15, -1
	s_mov_b64 s[6:7], 0
	s_mov_b32 s33, 0
                                        ; implicit-def: $sgpr34
	s_set_inst_prefetch_distance 0x1
	s_branch .LBB1691_164
	.p2align	6
.LBB1691_162:                           ;   in Loop: Header=BB1691_164 Depth=1
	global_load_b64 v[23:24], v[21:22], off
	global_load_b64 v[25:26], v[19:20], off
	v_add_co_u32 v19, vcc_lo, v19, 8
	v_add_co_ci_u32_e32 v20, vcc_lo, 0, v20, vcc_lo
	v_add_co_u32 v21, s0, v21, 8
	s_delay_alu instid0(VALU_DEP_1)
	v_add_co_ci_u32_e64 v22, s0, 0, v22, s0
	s_add_u32 s6, s6, 1
	s_addc_u32 s7, s7, 0
	s_and_not1_b32 s0, s34, exec_lo
	s_waitcnt vmcnt(0)
	v_cmp_ne_u64_e32 vcc_lo, v[23:24], v[25:26]
	s_and_b32 s34, vcc_lo, exec_lo
	s_delay_alu instid0(SALU_CYCLE_1)
	s_or_b32 s34, s0, s34
.LBB1691_163:                           ;   in Loop: Header=BB1691_164 Depth=1
	v_dual_mov_b32 v24, s7 :: v_dual_mov_b32 v23, s6
	s_and_b32 s0, exec_lo, s34
	s_delay_alu instid0(SALU_CYCLE_1) | instskip(NEXT) | instid1(SALU_CYCLE_1)
	s_or_b32 s33, s0, s33
	s_and_not1_b32 exec_lo, exec_lo, s33
	s_cbranch_execz .LBB1691_166
.LBB1691_164:                           ; =>This Inner Loop Header: Depth=1
	s_or_b32 s34, s34, exec_lo
	s_cmp_eq_u64 s[4:5], s[6:7]
	s_cbranch_scc0 .LBB1691_162
; %bb.165:                              ;   in Loop: Header=BB1691_164 Depth=1
	s_mov_b64 s[6:7], s[14:15]
                                        ; implicit-def: $vgpr19_vgpr20
                                        ; implicit-def: $vgpr21_vgpr22
	s_branch .LBB1691_163
.LBB1691_166:
	s_set_inst_prefetch_distance 0x2
	s_or_b32 exec_lo, exec_lo, s33
	v_cmp_gt_i64_e32 vcc_lo, s[14:15], v[23:24]
	s_or_not1_b32 s0, vcc_lo, exec_lo
.LBB1691_167:
	s_or_b32 exec_lo, exec_lo, s30
.LBB1691_168:
	s_delay_alu instid0(SALU_CYCLE_1)
	s_and_b32 s30, s0, exec_lo
.LBB1691_169:
	s_or_b32 exec_lo, exec_lo, s31
	v_or_b32_e32 v19, 1, v39
	s_mov_b32 s0, 0
	s_mov_b32 s31, exec_lo
	s_delay_alu instid0(VALU_DEP_1)
	v_cmpx_gt_u32_e64 s12, v19
	s_cbranch_execz .LBB1691_180
; %bb.170:
	v_cmp_ne_u32_e32 vcc_lo, 1, v27
	s_cbranch_vccnz .LBB1691_179
; %bb.171:
	v_mul_lo_u32 v23, v14, s14
	v_mul_lo_u32 v24, v13, s15
	v_mad_u64_u32 v[19:20], null, v13, s14, 0
	v_mul_lo_u32 v25, v16, s14
	v_mul_lo_u32 v26, v15, s15
	s_waitcnt lgkmcnt(0)
	v_mad_u64_u32 v[21:22], null, v15, s14, 0
	s_mov_b32 s0, -1
	s_mov_b32 s33, exec_lo
	s_delay_alu instid0(VALU_DEP_4) | instskip(NEXT) | instid1(VALU_DEP_2)
	v_add3_u32 v20, v20, v24, v23
	v_add3_u32 v22, v22, v26, v25
	s_delay_alu instid0(VALU_DEP_2) | instskip(NEXT) | instid1(VALU_DEP_2)
	v_lshlrev_b64 v[19:20], 3, v[19:20]
	v_lshlrev_b64 v[23:24], 3, v[21:22]
	s_delay_alu instid0(VALU_DEP_2) | instskip(NEXT) | instid1(VALU_DEP_3)
	v_add_co_u32 v21, vcc_lo, s16, v19
	v_add_co_ci_u32_e32 v22, vcc_lo, s17, v20, vcc_lo
	s_delay_alu instid0(VALU_DEP_3) | instskip(NEXT) | instid1(VALU_DEP_4)
	v_add_co_u32 v19, vcc_lo, s16, v23
	v_add_co_ci_u32_e32 v20, vcc_lo, s17, v24, vcc_lo
	s_clause 0x1
	global_load_b64 v[23:24], v[21:22], off
	global_load_b64 v[25:26], v[19:20], off
	s_waitcnt vmcnt(0)
	v_cmpx_eq_u64_e64 v[23:24], v[25:26]
	s_cbranch_execz .LBB1691_178
; %bb.172:
	v_add_co_u32 v19, vcc_lo, v19, 8
	v_add_co_ci_u32_e32 v20, vcc_lo, 0, v20, vcc_lo
	v_add_co_u32 v21, vcc_lo, v21, 8
	v_add_co_ci_u32_e32 v22, vcc_lo, 0, v22, vcc_lo
	s_add_u32 s4, s14, -1
	s_addc_u32 s5, s15, -1
	s_mov_b64 s[6:7], 0
	s_mov_b32 s34, 0
                                        ; implicit-def: $sgpr35
	s_set_inst_prefetch_distance 0x1
	s_branch .LBB1691_175
	.p2align	6
.LBB1691_173:                           ;   in Loop: Header=BB1691_175 Depth=1
	global_load_b64 v[23:24], v[21:22], off
	global_load_b64 v[25:26], v[19:20], off
	v_add_co_u32 v19, vcc_lo, v19, 8
	v_add_co_ci_u32_e32 v20, vcc_lo, 0, v20, vcc_lo
	v_add_co_u32 v21, s0, v21, 8
	s_delay_alu instid0(VALU_DEP_1)
	v_add_co_ci_u32_e64 v22, s0, 0, v22, s0
	s_add_u32 s6, s6, 1
	s_addc_u32 s7, s7, 0
	s_and_not1_b32 s0, s35, exec_lo
	s_waitcnt vmcnt(0)
	v_cmp_ne_u64_e32 vcc_lo, v[23:24], v[25:26]
	s_and_b32 s35, vcc_lo, exec_lo
	s_delay_alu instid0(SALU_CYCLE_1)
	s_or_b32 s35, s0, s35
.LBB1691_174:                           ;   in Loop: Header=BB1691_175 Depth=1
	v_dual_mov_b32 v24, s7 :: v_dual_mov_b32 v23, s6
	s_and_b32 s0, exec_lo, s35
	s_delay_alu instid0(SALU_CYCLE_1) | instskip(NEXT) | instid1(SALU_CYCLE_1)
	s_or_b32 s34, s0, s34
	s_and_not1_b32 exec_lo, exec_lo, s34
	s_cbranch_execz .LBB1691_177
.LBB1691_175:                           ; =>This Inner Loop Header: Depth=1
	s_or_b32 s35, s35, exec_lo
	s_cmp_eq_u64 s[4:5], s[6:7]
	s_cbranch_scc0 .LBB1691_173
; %bb.176:                              ;   in Loop: Header=BB1691_175 Depth=1
	s_mov_b64 s[6:7], s[14:15]
                                        ; implicit-def: $vgpr19_vgpr20
                                        ; implicit-def: $vgpr21_vgpr22
	s_branch .LBB1691_174
.LBB1691_177:
	s_set_inst_prefetch_distance 0x2
	s_or_b32 exec_lo, exec_lo, s34
	v_cmp_gt_i64_e32 vcc_lo, s[14:15], v[23:24]
	s_or_not1_b32 s0, vcc_lo, exec_lo
.LBB1691_178:
	s_or_b32 exec_lo, exec_lo, s33
.LBB1691_179:
	s_delay_alu instid0(SALU_CYCLE_1)
	s_and_b32 s0, s0, exec_lo
.LBB1691_180:
	s_or_b32 exec_lo, exec_lo, s31
	s_waitcnt vmcnt(0) lgkmcnt(0)
	s_barrier
	buffer_gl0_inv
	s_and_saveexec_b32 s4, s3
	s_cbranch_execz .LBB1691_182
; %bb.181:
	v_add_nc_u32_e32 v17, -8, v39
	ds_load_b64 v[17:18], v17
.LBB1691_182:
	s_or_b32 exec_lo, exec_lo, s4
	v_cndmask_b32_e64 v20, 0, 1, s29
	v_cndmask_b32_e64 v22, 0, 1, s26
	;; [unrolled: 1-line block ×7, first 2 shown]
	v_lshlrev_b16 v20, 8, v20
	v_lshlrev_b16 v22, 8, v22
	;; [unrolled: 1-line block ×3, first 2 shown]
	s_mov_b32 s0, 0
	v_lshlrev_b16 v25, 8, v25
	v_or_b32_e32 v19, v19, v20
	v_or_b32_e32 v20, v21, v22
	;; [unrolled: 1-line block ×3, first 2 shown]
	s_mov_b32 s25, exec_lo
	v_and_b32_e32 v23, 0xffff, v25
	v_lshlrev_b32_e32 v24, 16, v19
	v_and_b32_e32 v25, 0xffff, v20
	v_lshlrev_b32_e32 v26, 16, v21
	v_cmpx_gt_u32_e64 s12, v39
	s_cbranch_execz .LBB1691_193
; %bb.183:
	v_cmp_ne_u32_e32 vcc_lo, 1, v27
	s_cbranch_vccnz .LBB1691_192
; %bb.184:
	s_waitcnt lgkmcnt(0)
	v_mul_lo_u32 v22, v18, s14
	v_mul_lo_u32 v27, v17, s15
	v_mad_u64_u32 v[18:19], null, v17, s14, 0
	v_mul_lo_u32 v17, v14, s14
	v_mul_lo_u32 v28, v13, s15
	v_mad_u64_u32 v[20:21], null, v13, s14, 0
	s_mov_b32 s0, -1
	s_mov_b32 s26, exec_lo
	s_delay_alu instid0(VALU_DEP_4) | instskip(NEXT) | instid1(VALU_DEP_2)
	v_add3_u32 v19, v19, v27, v22
	v_add3_u32 v21, v21, v28, v17
	s_delay_alu instid0(VALU_DEP_2) | instskip(NEXT) | instid1(VALU_DEP_2)
	v_lshlrev_b64 v[17:18], 3, v[18:19]
	v_lshlrev_b64 v[21:22], 3, v[20:21]
	s_delay_alu instid0(VALU_DEP_2) | instskip(NEXT) | instid1(VALU_DEP_3)
	v_add_co_u32 v19, vcc_lo, s16, v17
	v_add_co_ci_u32_e32 v20, vcc_lo, s17, v18, vcc_lo
	s_delay_alu instid0(VALU_DEP_3) | instskip(NEXT) | instid1(VALU_DEP_4)
	v_add_co_u32 v17, vcc_lo, s16, v21
	v_add_co_ci_u32_e32 v18, vcc_lo, s17, v22, vcc_lo
	s_clause 0x1
	global_load_b64 v[21:22], v[19:20], off
	global_load_b64 v[27:28], v[17:18], off
	s_waitcnt vmcnt(0)
	v_cmpx_eq_u64_e64 v[21:22], v[27:28]
	s_cbranch_execz .LBB1691_191
; %bb.185:
	v_add_co_u32 v17, vcc_lo, v17, 8
	v_add_co_ci_u32_e32 v18, vcc_lo, 0, v18, vcc_lo
	v_add_co_u32 v19, vcc_lo, v19, 8
	v_add_co_ci_u32_e32 v20, vcc_lo, 0, v20, vcc_lo
	s_add_u32 s4, s14, -1
	s_addc_u32 s5, s15, -1
	s_mov_b64 s[6:7], 0
	s_mov_b32 s27, 0
                                        ; implicit-def: $sgpr28
	s_set_inst_prefetch_distance 0x1
	s_branch .LBB1691_188
	.p2align	6
.LBB1691_186:                           ;   in Loop: Header=BB1691_188 Depth=1
	global_load_b64 v[21:22], v[19:20], off
	global_load_b64 v[27:28], v[17:18], off
	v_add_co_u32 v17, vcc_lo, v17, 8
	v_add_co_ci_u32_e32 v18, vcc_lo, 0, v18, vcc_lo
	v_add_co_u32 v19, s0, v19, 8
	s_delay_alu instid0(VALU_DEP_1)
	v_add_co_ci_u32_e64 v20, s0, 0, v20, s0
	s_add_u32 s6, s6, 1
	s_addc_u32 s7, s7, 0
	s_and_not1_b32 s0, s28, exec_lo
	s_waitcnt vmcnt(0)
	v_cmp_ne_u64_e32 vcc_lo, v[21:22], v[27:28]
	s_and_b32 s28, vcc_lo, exec_lo
	s_delay_alu instid0(SALU_CYCLE_1)
	s_or_b32 s28, s0, s28
.LBB1691_187:                           ;   in Loop: Header=BB1691_188 Depth=1
	v_dual_mov_b32 v22, s7 :: v_dual_mov_b32 v21, s6
	s_and_b32 s0, exec_lo, s28
	s_delay_alu instid0(SALU_CYCLE_1) | instskip(NEXT) | instid1(SALU_CYCLE_1)
	s_or_b32 s27, s0, s27
	s_and_not1_b32 exec_lo, exec_lo, s27
	s_cbranch_execz .LBB1691_190
.LBB1691_188:                           ; =>This Inner Loop Header: Depth=1
	s_or_b32 s28, s28, exec_lo
	s_cmp_eq_u64 s[4:5], s[6:7]
	s_cbranch_scc0 .LBB1691_186
; %bb.189:                              ;   in Loop: Header=BB1691_188 Depth=1
	s_mov_b64 s[6:7], s[14:15]
                                        ; implicit-def: $vgpr17_vgpr18
                                        ; implicit-def: $vgpr19_vgpr20
	s_branch .LBB1691_187
.LBB1691_190:
	s_set_inst_prefetch_distance 0x2
	s_or_b32 exec_lo, exec_lo, s27
	v_cmp_gt_i64_e32 vcc_lo, s[14:15], v[21:22]
	s_or_not1_b32 s0, vcc_lo, exec_lo
.LBB1691_191:
	s_or_b32 exec_lo, exec_lo, s26
.LBB1691_192:
	s_delay_alu instid0(SALU_CYCLE_1)
	s_and_b32 s0, s0, exec_lo
.LBB1691_193:
	s_or_b32 exec_lo, exec_lo, s25
	v_or_b32_e32 v19, v23, v24
	v_or_b32_e32 v20, v25, v26
.LBB1691_194:
	s_mov_b32 s25, -1
	s_cbranch_execnz .LBB1691_363
.LBB1691_195:
	v_cmp_gt_i64_e64 s26, s[14:15], 0
	s_and_b32 vcc_lo, exec_lo, s22
	ds_store_b64 v39, v[3:4]
	s_cbranch_vccz .LBB1691_203
; %bb.196:
	v_mul_lo_u32 v19, v2, s14
	v_mul_lo_u32 v20, v1, s15
	s_waitcnt vmcnt(0) lgkmcnt(1)
	v_mad_u64_u32 v[17:18], null, v1, s14, 0
	s_mov_b32 s27, 0
	s_and_not1_b32 vcc_lo, exec_lo, s26
	s_mov_b32 s28, 0
	s_delay_alu instid0(VALU_DEP_1) | instskip(NEXT) | instid1(VALU_DEP_1)
	v_add3_u32 v18, v18, v20, v19
	v_lshlrev_b64 v[17:18], 3, v[17:18]
	s_cbranch_vccnz .LBB1691_206
; %bb.197:
	v_mul_lo_u32 v21, v4, s14
	v_mul_lo_u32 v22, v3, s15
	v_mad_u64_u32 v[19:20], null, v3, s14, 0
	s_mov_b32 s28, -1
	s_mov_b32 s29, exec_lo
	s_delay_alu instid0(VALU_DEP_1) | instskip(SKIP_2) | instid1(VALU_DEP_3)
	v_add3_u32 v20, v20, v22, v21
	v_add_co_u32 v21, vcc_lo, s16, v17
	v_add_co_ci_u32_e32 v22, vcc_lo, s17, v18, vcc_lo
	v_lshlrev_b64 v[19:20], 3, v[19:20]
	s_delay_alu instid0(VALU_DEP_1) | instskip(NEXT) | instid1(VALU_DEP_2)
	v_add_co_u32 v19, vcc_lo, s16, v19
	v_add_co_ci_u32_e32 v20, vcc_lo, s17, v20, vcc_lo
	s_clause 0x1
	global_load_b64 v[23:24], v[21:22], off
	global_load_b64 v[25:26], v[19:20], off
	s_waitcnt vmcnt(0)
	v_cmpx_eq_u64_e64 v[23:24], v[25:26]
	s_cbranch_execz .LBB1691_205
; %bb.198:
	v_add_co_u32 v19, vcc_lo, v19, 8
	v_add_co_ci_u32_e32 v20, vcc_lo, 0, v20, vcc_lo
	v_add_co_u32 v21, vcc_lo, v21, 8
	v_add_co_ci_u32_e32 v22, vcc_lo, 0, v22, vcc_lo
	s_add_u32 s4, s14, -1
	s_addc_u32 s5, s15, -1
	s_mov_b64 s[6:7], 0
	s_mov_b32 s28, 0
                                        ; implicit-def: $sgpr30
	s_set_inst_prefetch_distance 0x1
	s_branch .LBB1691_201
	.p2align	6
.LBB1691_199:                           ;   in Loop: Header=BB1691_201 Depth=1
	global_load_b64 v[23:24], v[21:22], off
	global_load_b64 v[25:26], v[19:20], off
	v_add_co_u32 v19, vcc_lo, v19, 8
	v_add_co_ci_u32_e32 v20, vcc_lo, 0, v20, vcc_lo
	v_add_co_u32 v21, s0, v21, 8
	s_delay_alu instid0(VALU_DEP_1)
	v_add_co_ci_u32_e64 v22, s0, 0, v22, s0
	s_add_u32 s6, s6, 1
	s_addc_u32 s7, s7, 0
	s_and_not1_b32 s0, s30, exec_lo
	s_waitcnt vmcnt(0)
	v_cmp_ne_u64_e32 vcc_lo, v[23:24], v[25:26]
	s_and_b32 s30, vcc_lo, exec_lo
	s_delay_alu instid0(SALU_CYCLE_1)
	s_or_b32 s30, s0, s30
.LBB1691_200:                           ;   in Loop: Header=BB1691_201 Depth=1
	v_dual_mov_b32 v24, s7 :: v_dual_mov_b32 v23, s6
	s_and_b32 s0, exec_lo, s30
	s_delay_alu instid0(SALU_CYCLE_1) | instskip(NEXT) | instid1(SALU_CYCLE_1)
	s_or_b32 s28, s0, s28
	s_and_not1_b32 exec_lo, exec_lo, s28
	s_cbranch_execz .LBB1691_204
.LBB1691_201:                           ; =>This Inner Loop Header: Depth=1
	s_or_b32 s30, s30, exec_lo
	s_cmp_eq_u64 s[4:5], s[6:7]
	s_cbranch_scc0 .LBB1691_199
; %bb.202:                              ;   in Loop: Header=BB1691_201 Depth=1
	s_mov_b64 s[6:7], s[14:15]
                                        ; implicit-def: $vgpr19_vgpr20
                                        ; implicit-def: $vgpr21_vgpr22
	s_branch .LBB1691_200
.LBB1691_203:
                                        ; implicit-def: $sgpr0
                                        ; implicit-def: $vgpr20
	s_cbranch_execnz .LBB1691_272
	s_branch .LBB1691_363
.LBB1691_204:
	s_set_inst_prefetch_distance 0x2
	s_or_b32 exec_lo, exec_lo, s28
	v_cmp_gt_i64_e32 vcc_lo, s[14:15], v[23:24]
	s_or_not1_b32 s28, vcc_lo, exec_lo
.LBB1691_205:
	s_or_b32 exec_lo, exec_lo, s29
.LBB1691_206:
	v_mul_lo_u32 v21, v8, s14
	v_mul_lo_u32 v22, v7, s15
	v_mad_u64_u32 v[19:20], null, v7, s14, 0
	s_and_not1_b32 vcc_lo, exec_lo, s26
	s_delay_alu instid0(VALU_DEP_1) | instskip(NEXT) | instid1(VALU_DEP_1)
	v_add3_u32 v20, v20, v22, v21
	v_lshlrev_b64 v[19:20], 3, v[19:20]
	s_cbranch_vccnz .LBB1691_215
; %bb.207:
	s_delay_alu instid0(VALU_DEP_1) | instskip(NEXT) | instid1(VALU_DEP_2)
	v_add_co_u32 v21, vcc_lo, s16, v19
	v_add_co_ci_u32_e32 v22, vcc_lo, s17, v20, vcc_lo
	v_add_co_u32 v17, vcc_lo, s16, v17
	v_add_co_ci_u32_e32 v18, vcc_lo, s17, v18, vcc_lo
	s_mov_b32 s27, -1
	s_clause 0x1
	global_load_b64 v[23:24], v[21:22], off
	global_load_b64 v[25:26], v[17:18], off
	s_mov_b32 s29, exec_lo
	s_waitcnt vmcnt(0)
	v_cmpx_eq_u64_e64 v[23:24], v[25:26]
	s_cbranch_execz .LBB1691_214
; %bb.208:
	v_add_co_u32 v17, vcc_lo, v17, 8
	v_add_co_ci_u32_e32 v18, vcc_lo, 0, v18, vcc_lo
	v_add_co_u32 v21, vcc_lo, v21, 8
	v_add_co_ci_u32_e32 v22, vcc_lo, 0, v22, vcc_lo
	s_add_u32 s4, s14, -1
	s_addc_u32 s5, s15, -1
	s_mov_b64 s[6:7], 0
	s_mov_b32 s27, 0
                                        ; implicit-def: $sgpr30
	s_set_inst_prefetch_distance 0x1
	s_branch .LBB1691_211
	.p2align	6
.LBB1691_209:                           ;   in Loop: Header=BB1691_211 Depth=1
	global_load_b64 v[23:24], v[21:22], off
	global_load_b64 v[25:26], v[17:18], off
	v_add_co_u32 v17, vcc_lo, v17, 8
	v_add_co_ci_u32_e32 v18, vcc_lo, 0, v18, vcc_lo
	v_add_co_u32 v21, s0, v21, 8
	s_delay_alu instid0(VALU_DEP_1)
	v_add_co_ci_u32_e64 v22, s0, 0, v22, s0
	s_add_u32 s6, s6, 1
	s_addc_u32 s7, s7, 0
	s_and_not1_b32 s0, s30, exec_lo
	s_waitcnt vmcnt(0)
	v_cmp_ne_u64_e32 vcc_lo, v[23:24], v[25:26]
	s_and_b32 s30, vcc_lo, exec_lo
	s_delay_alu instid0(SALU_CYCLE_1)
	s_or_b32 s30, s0, s30
.LBB1691_210:                           ;   in Loop: Header=BB1691_211 Depth=1
	v_dual_mov_b32 v24, s7 :: v_dual_mov_b32 v23, s6
	s_and_b32 s0, exec_lo, s30
	s_delay_alu instid0(SALU_CYCLE_1) | instskip(NEXT) | instid1(SALU_CYCLE_1)
	s_or_b32 s27, s0, s27
	s_and_not1_b32 exec_lo, exec_lo, s27
	s_cbranch_execz .LBB1691_213
.LBB1691_211:                           ; =>This Inner Loop Header: Depth=1
	s_or_b32 s30, s30, exec_lo
	s_cmp_eq_u64 s[4:5], s[6:7]
	s_cbranch_scc0 .LBB1691_209
; %bb.212:                              ;   in Loop: Header=BB1691_211 Depth=1
	s_mov_b64 s[6:7], s[14:15]
                                        ; implicit-def: $vgpr17_vgpr18
                                        ; implicit-def: $vgpr21_vgpr22
	s_branch .LBB1691_210
.LBB1691_213:
	s_set_inst_prefetch_distance 0x2
	s_or_b32 exec_lo, exec_lo, s27
	v_cmp_gt_i64_e32 vcc_lo, s[14:15], v[23:24]
	s_or_not1_b32 s27, vcc_lo, exec_lo
.LBB1691_214:
	s_or_b32 exec_lo, exec_lo, s29
.LBB1691_215:
	v_mul_lo_u32 v21, v6, s14
	v_mul_lo_u32 v22, v5, s15
	v_mad_u64_u32 v[17:18], null, v5, s14, 0
	s_mov_b32 s29, 0
	s_and_not1_b32 vcc_lo, exec_lo, s26
	s_mov_b32 s30, 0
	s_delay_alu instid0(VALU_DEP_1) | instskip(NEXT) | instid1(VALU_DEP_1)
	v_add3_u32 v18, v18, v22, v21
	v_lshlrev_b64 v[21:22], 3, v[17:18]
	s_cbranch_vccnz .LBB1691_224
; %bb.216:
	s_delay_alu instid0(VALU_DEP_1) | instskip(NEXT) | instid1(VALU_DEP_2)
	v_add_co_u32 v23, vcc_lo, s16, v21
	v_add_co_ci_u32_e32 v24, vcc_lo, s17, v22, vcc_lo
	v_add_co_u32 v17, vcc_lo, s16, v19
	v_add_co_ci_u32_e32 v18, vcc_lo, s17, v20, vcc_lo
	s_mov_b32 s30, -1
	s_clause 0x1
	global_load_b64 v[19:20], v[23:24], off
	global_load_b64 v[25:26], v[17:18], off
	s_mov_b32 s31, exec_lo
	s_waitcnt vmcnt(0)
	v_cmpx_eq_u64_e64 v[19:20], v[25:26]
	s_cbranch_execz .LBB1691_223
; %bb.217:
	v_add_co_u32 v17, vcc_lo, v17, 8
	v_add_co_ci_u32_e32 v18, vcc_lo, 0, v18, vcc_lo
	v_add_co_u32 v19, vcc_lo, v23, 8
	v_add_co_ci_u32_e32 v20, vcc_lo, 0, v24, vcc_lo
	s_add_u32 s4, s14, -1
	s_addc_u32 s5, s15, -1
	s_mov_b64 s[6:7], 0
	s_mov_b32 s30, 0
                                        ; implicit-def: $sgpr33
	s_set_inst_prefetch_distance 0x1
	s_branch .LBB1691_220
	.p2align	6
.LBB1691_218:                           ;   in Loop: Header=BB1691_220 Depth=1
	global_load_b64 v[23:24], v[19:20], off
	global_load_b64 v[25:26], v[17:18], off
	v_add_co_u32 v17, vcc_lo, v17, 8
	v_add_co_ci_u32_e32 v18, vcc_lo, 0, v18, vcc_lo
	v_add_co_u32 v19, s0, v19, 8
	s_delay_alu instid0(VALU_DEP_1)
	v_add_co_ci_u32_e64 v20, s0, 0, v20, s0
	s_add_u32 s6, s6, 1
	s_addc_u32 s7, s7, 0
	s_and_not1_b32 s0, s33, exec_lo
	s_waitcnt vmcnt(0)
	v_cmp_ne_u64_e32 vcc_lo, v[23:24], v[25:26]
	s_and_b32 s33, vcc_lo, exec_lo
	s_delay_alu instid0(SALU_CYCLE_1)
	s_or_b32 s33, s0, s33
.LBB1691_219:                           ;   in Loop: Header=BB1691_220 Depth=1
	v_dual_mov_b32 v24, s7 :: v_dual_mov_b32 v23, s6
	s_and_b32 s0, exec_lo, s33
	s_delay_alu instid0(SALU_CYCLE_1) | instskip(NEXT) | instid1(SALU_CYCLE_1)
	s_or_b32 s30, s0, s30
	s_and_not1_b32 exec_lo, exec_lo, s30
	s_cbranch_execz .LBB1691_222
.LBB1691_220:                           ; =>This Inner Loop Header: Depth=1
	s_or_b32 s33, s33, exec_lo
	s_cmp_eq_u64 s[4:5], s[6:7]
	s_cbranch_scc0 .LBB1691_218
; %bb.221:                              ;   in Loop: Header=BB1691_220 Depth=1
	s_mov_b64 s[6:7], s[14:15]
                                        ; implicit-def: $vgpr17_vgpr18
                                        ; implicit-def: $vgpr19_vgpr20
	s_branch .LBB1691_219
.LBB1691_222:
	s_set_inst_prefetch_distance 0x2
	s_or_b32 exec_lo, exec_lo, s30
	v_cmp_gt_i64_e32 vcc_lo, s[14:15], v[23:24]
	s_or_not1_b32 s30, vcc_lo, exec_lo
.LBB1691_223:
	s_or_b32 exec_lo, exec_lo, s31
.LBB1691_224:
	v_mul_lo_u32 v19, v12, s14
	v_mul_lo_u32 v20, v11, s15
	v_mad_u64_u32 v[17:18], null, v11, s14, 0
	s_and_not1_b32 vcc_lo, exec_lo, s26
	s_delay_alu instid0(VALU_DEP_1) | instskip(NEXT) | instid1(VALU_DEP_1)
	v_add3_u32 v18, v18, v20, v19
	v_lshlrev_b64 v[17:18], 3, v[17:18]
	s_cbranch_vccnz .LBB1691_233
; %bb.225:
	s_delay_alu instid0(VALU_DEP_1) | instskip(NEXT) | instid1(VALU_DEP_2)
	v_add_co_u32 v23, vcc_lo, s16, v17
	v_add_co_ci_u32_e32 v24, vcc_lo, s17, v18, vcc_lo
	v_add_co_u32 v19, vcc_lo, s16, v21
	v_add_co_ci_u32_e32 v20, vcc_lo, s17, v22, vcc_lo
	s_mov_b32 s29, -1
	s_clause 0x1
	global_load_b64 v[21:22], v[23:24], off
	global_load_b64 v[25:26], v[19:20], off
	s_mov_b32 s31, exec_lo
	s_waitcnt vmcnt(0)
	v_cmpx_eq_u64_e64 v[21:22], v[25:26]
	s_cbranch_execz .LBB1691_232
; %bb.226:
	v_add_co_u32 v19, vcc_lo, v19, 8
	v_add_co_ci_u32_e32 v20, vcc_lo, 0, v20, vcc_lo
	v_add_co_u32 v21, vcc_lo, v23, 8
	v_add_co_ci_u32_e32 v22, vcc_lo, 0, v24, vcc_lo
	s_add_u32 s4, s14, -1
	s_addc_u32 s5, s15, -1
	s_mov_b64 s[6:7], 0
	s_mov_b32 s29, 0
                                        ; implicit-def: $sgpr33
	s_set_inst_prefetch_distance 0x1
	s_branch .LBB1691_229
	.p2align	6
.LBB1691_227:                           ;   in Loop: Header=BB1691_229 Depth=1
	global_load_b64 v[23:24], v[21:22], off
	global_load_b64 v[25:26], v[19:20], off
	v_add_co_u32 v19, vcc_lo, v19, 8
	v_add_co_ci_u32_e32 v20, vcc_lo, 0, v20, vcc_lo
	v_add_co_u32 v21, s0, v21, 8
	s_delay_alu instid0(VALU_DEP_1)
	v_add_co_ci_u32_e64 v22, s0, 0, v22, s0
	s_add_u32 s6, s6, 1
	s_addc_u32 s7, s7, 0
	s_and_not1_b32 s0, s33, exec_lo
	s_waitcnt vmcnt(0)
	v_cmp_ne_u64_e32 vcc_lo, v[23:24], v[25:26]
	s_and_b32 s33, vcc_lo, exec_lo
	s_delay_alu instid0(SALU_CYCLE_1)
	s_or_b32 s33, s0, s33
.LBB1691_228:                           ;   in Loop: Header=BB1691_229 Depth=1
	v_dual_mov_b32 v24, s7 :: v_dual_mov_b32 v23, s6
	s_and_b32 s0, exec_lo, s33
	s_delay_alu instid0(SALU_CYCLE_1) | instskip(NEXT) | instid1(SALU_CYCLE_1)
	s_or_b32 s29, s0, s29
	s_and_not1_b32 exec_lo, exec_lo, s29
	s_cbranch_execz .LBB1691_231
.LBB1691_229:                           ; =>This Inner Loop Header: Depth=1
	s_or_b32 s33, s33, exec_lo
	s_cmp_eq_u64 s[4:5], s[6:7]
	s_cbranch_scc0 .LBB1691_227
; %bb.230:                              ;   in Loop: Header=BB1691_229 Depth=1
	s_mov_b64 s[6:7], s[14:15]
                                        ; implicit-def: $vgpr19_vgpr20
                                        ; implicit-def: $vgpr21_vgpr22
	s_branch .LBB1691_228
.LBB1691_231:
	s_set_inst_prefetch_distance 0x2
	s_or_b32 exec_lo, exec_lo, s29
	v_cmp_gt_i64_e32 vcc_lo, s[14:15], v[23:24]
	s_or_not1_b32 s29, vcc_lo, exec_lo
.LBB1691_232:
	s_or_b32 exec_lo, exec_lo, s31
.LBB1691_233:
	v_mul_lo_u32 v21, v10, s14
	v_mul_lo_u32 v22, v9, s15
	v_mad_u64_u32 v[19:20], null, v9, s14, 0
	s_mov_b32 s31, 0
	s_and_not1_b32 vcc_lo, exec_lo, s26
	s_mov_b32 s33, 0
	s_delay_alu instid0(VALU_DEP_1) | instskip(NEXT) | instid1(VALU_DEP_1)
	v_add3_u32 v20, v20, v22, v21
	v_lshlrev_b64 v[21:22], 3, v[19:20]
	s_cbranch_vccnz .LBB1691_242
; %bb.234:
	s_delay_alu instid0(VALU_DEP_1) | instskip(NEXT) | instid1(VALU_DEP_2)
	v_add_co_u32 v19, vcc_lo, s16, v21
	v_add_co_ci_u32_e32 v20, vcc_lo, s17, v22, vcc_lo
	v_add_co_u32 v17, vcc_lo, s16, v17
	v_add_co_ci_u32_e32 v18, vcc_lo, s17, v18, vcc_lo
	s_mov_b32 s33, -1
	s_clause 0x1
	global_load_b64 v[23:24], v[19:20], off
	global_load_b64 v[25:26], v[17:18], off
	s_mov_b32 s34, exec_lo
	s_waitcnt vmcnt(0)
	v_cmpx_eq_u64_e64 v[23:24], v[25:26]
	s_cbranch_execz .LBB1691_241
; %bb.235:
	v_add_co_u32 v17, vcc_lo, v17, 8
	v_add_co_ci_u32_e32 v18, vcc_lo, 0, v18, vcc_lo
	v_add_co_u32 v19, vcc_lo, v19, 8
	v_add_co_ci_u32_e32 v20, vcc_lo, 0, v20, vcc_lo
	s_add_u32 s4, s14, -1
	s_addc_u32 s5, s15, -1
	s_mov_b64 s[6:7], 0
	s_mov_b32 s33, 0
                                        ; implicit-def: $sgpr35
	s_set_inst_prefetch_distance 0x1
	s_branch .LBB1691_238
	.p2align	6
.LBB1691_236:                           ;   in Loop: Header=BB1691_238 Depth=1
	global_load_b64 v[23:24], v[19:20], off
	global_load_b64 v[25:26], v[17:18], off
	v_add_co_u32 v17, vcc_lo, v17, 8
	v_add_co_ci_u32_e32 v18, vcc_lo, 0, v18, vcc_lo
	v_add_co_u32 v19, s0, v19, 8
	s_delay_alu instid0(VALU_DEP_1)
	v_add_co_ci_u32_e64 v20, s0, 0, v20, s0
	s_add_u32 s6, s6, 1
	s_addc_u32 s7, s7, 0
	s_and_not1_b32 s0, s35, exec_lo
	s_waitcnt vmcnt(0)
	v_cmp_ne_u64_e32 vcc_lo, v[23:24], v[25:26]
	s_and_b32 s35, vcc_lo, exec_lo
	s_delay_alu instid0(SALU_CYCLE_1)
	s_or_b32 s35, s0, s35
.LBB1691_237:                           ;   in Loop: Header=BB1691_238 Depth=1
	v_dual_mov_b32 v24, s7 :: v_dual_mov_b32 v23, s6
	s_and_b32 s0, exec_lo, s35
	s_delay_alu instid0(SALU_CYCLE_1) | instskip(NEXT) | instid1(SALU_CYCLE_1)
	s_or_b32 s33, s0, s33
	s_and_not1_b32 exec_lo, exec_lo, s33
	s_cbranch_execz .LBB1691_240
.LBB1691_238:                           ; =>This Inner Loop Header: Depth=1
	s_or_b32 s35, s35, exec_lo
	s_cmp_eq_u64 s[4:5], s[6:7]
	s_cbranch_scc0 .LBB1691_236
; %bb.239:                              ;   in Loop: Header=BB1691_238 Depth=1
	s_mov_b64 s[6:7], s[14:15]
                                        ; implicit-def: $vgpr17_vgpr18
                                        ; implicit-def: $vgpr19_vgpr20
	s_branch .LBB1691_237
.LBB1691_240:
	s_set_inst_prefetch_distance 0x2
	s_or_b32 exec_lo, exec_lo, s33
	v_cmp_gt_i64_e32 vcc_lo, s[14:15], v[23:24]
	s_or_not1_b32 s33, vcc_lo, exec_lo
.LBB1691_241:
	s_or_b32 exec_lo, exec_lo, s34
.LBB1691_242:
	v_mul_lo_u32 v19, v16, s14
	v_mul_lo_u32 v20, v15, s15
	v_mad_u64_u32 v[17:18], null, v15, s14, 0
	s_and_not1_b32 vcc_lo, exec_lo, s26
	s_delay_alu instid0(VALU_DEP_1) | instskip(NEXT) | instid1(VALU_DEP_1)
	v_add3_u32 v18, v18, v20, v19
	v_lshlrev_b64 v[19:20], 3, v[17:18]
	s_cbranch_vccnz .LBB1691_251
; %bb.243:
	s_delay_alu instid0(VALU_DEP_1) | instskip(NEXT) | instid1(VALU_DEP_2)
	v_add_co_u32 v23, vcc_lo, s16, v19
	v_add_co_ci_u32_e32 v24, vcc_lo, s17, v20, vcc_lo
	v_add_co_u32 v17, vcc_lo, s16, v21
	v_add_co_ci_u32_e32 v18, vcc_lo, s17, v22, vcc_lo
	s_mov_b32 s31, -1
	s_clause 0x1
	global_load_b64 v[21:22], v[23:24], off
	global_load_b64 v[25:26], v[17:18], off
	s_mov_b32 s34, exec_lo
	s_waitcnt vmcnt(0)
	v_cmpx_eq_u64_e64 v[21:22], v[25:26]
	s_cbranch_execz .LBB1691_250
; %bb.244:
	v_add_co_u32 v17, vcc_lo, v17, 8
	v_add_co_ci_u32_e32 v18, vcc_lo, 0, v18, vcc_lo
	v_add_co_u32 v21, vcc_lo, v23, 8
	v_add_co_ci_u32_e32 v22, vcc_lo, 0, v24, vcc_lo
	s_add_u32 s4, s14, -1
	s_addc_u32 s5, s15, -1
	s_mov_b64 s[6:7], 0
	s_mov_b32 s31, 0
                                        ; implicit-def: $sgpr35
	s_set_inst_prefetch_distance 0x1
	s_branch .LBB1691_247
	.p2align	6
.LBB1691_245:                           ;   in Loop: Header=BB1691_247 Depth=1
	global_load_b64 v[23:24], v[21:22], off
	global_load_b64 v[25:26], v[17:18], off
	v_add_co_u32 v17, vcc_lo, v17, 8
	v_add_co_ci_u32_e32 v18, vcc_lo, 0, v18, vcc_lo
	v_add_co_u32 v21, s0, v21, 8
	s_delay_alu instid0(VALU_DEP_1)
	v_add_co_ci_u32_e64 v22, s0, 0, v22, s0
	s_add_u32 s6, s6, 1
	s_addc_u32 s7, s7, 0
	s_and_not1_b32 s0, s35, exec_lo
	s_waitcnt vmcnt(0)
	v_cmp_ne_u64_e32 vcc_lo, v[23:24], v[25:26]
	s_and_b32 s35, vcc_lo, exec_lo
	s_delay_alu instid0(SALU_CYCLE_1)
	s_or_b32 s35, s0, s35
.LBB1691_246:                           ;   in Loop: Header=BB1691_247 Depth=1
	v_dual_mov_b32 v24, s7 :: v_dual_mov_b32 v23, s6
	s_and_b32 s0, exec_lo, s35
	s_delay_alu instid0(SALU_CYCLE_1) | instskip(NEXT) | instid1(SALU_CYCLE_1)
	s_or_b32 s31, s0, s31
	s_and_not1_b32 exec_lo, exec_lo, s31
	s_cbranch_execz .LBB1691_249
.LBB1691_247:                           ; =>This Inner Loop Header: Depth=1
	s_or_b32 s35, s35, exec_lo
	s_cmp_eq_u64 s[4:5], s[6:7]
	s_cbranch_scc0 .LBB1691_245
; %bb.248:                              ;   in Loop: Header=BB1691_247 Depth=1
	s_mov_b64 s[6:7], s[14:15]
                                        ; implicit-def: $vgpr17_vgpr18
                                        ; implicit-def: $vgpr21_vgpr22
	s_branch .LBB1691_246
.LBB1691_249:
	s_set_inst_prefetch_distance 0x2
	s_or_b32 exec_lo, exec_lo, s31
	v_cmp_gt_i64_e32 vcc_lo, s[14:15], v[23:24]
	s_or_not1_b32 s31, vcc_lo, exec_lo
.LBB1691_250:
	s_or_b32 exec_lo, exec_lo, s34
.LBB1691_251:
	v_mul_lo_u32 v21, v14, s14
	v_mul_lo_u32 v22, v13, s15
	v_mad_u64_u32 v[17:18], null, v13, s14, 0
	s_and_not1_b32 vcc_lo, exec_lo, s26
	s_mov_b32 s0, 0
	s_delay_alu instid0(VALU_DEP_1)
	v_add3_u32 v18, v18, v22, v21
	s_cbranch_vccnz .LBB1691_260
; %bb.252:
	s_delay_alu instid0(VALU_DEP_1) | instskip(SKIP_2) | instid1(VALU_DEP_1)
	v_lshlrev_b64 v[21:22], 3, v[17:18]
	s_mov_b32 s0, -1
	s_mov_b32 s34, exec_lo
	v_add_co_u32 v21, vcc_lo, s16, v21
	s_delay_alu instid0(VALU_DEP_2)
	v_add_co_ci_u32_e32 v22, vcc_lo, s17, v22, vcc_lo
	v_add_co_u32 v19, vcc_lo, s16, v19
	v_add_co_ci_u32_e32 v20, vcc_lo, s17, v20, vcc_lo
	s_clause 0x1
	global_load_b64 v[23:24], v[21:22], off
	global_load_b64 v[25:26], v[19:20], off
	s_waitcnt vmcnt(0)
	v_cmpx_eq_u64_e64 v[23:24], v[25:26]
	s_cbranch_execz .LBB1691_259
; %bb.253:
	v_add_co_u32 v19, vcc_lo, v19, 8
	v_add_co_ci_u32_e32 v20, vcc_lo, 0, v20, vcc_lo
	v_add_co_u32 v21, vcc_lo, v21, 8
	v_add_co_ci_u32_e32 v22, vcc_lo, 0, v22, vcc_lo
	s_add_u32 s4, s14, -1
	s_addc_u32 s5, s15, -1
	s_mov_b64 s[6:7], 0
	s_mov_b32 s35, 0
                                        ; implicit-def: $sgpr36
	s_set_inst_prefetch_distance 0x1
	s_branch .LBB1691_256
	.p2align	6
.LBB1691_254:                           ;   in Loop: Header=BB1691_256 Depth=1
	global_load_b64 v[23:24], v[21:22], off
	global_load_b64 v[25:26], v[19:20], off
	v_add_co_u32 v19, vcc_lo, v19, 8
	v_add_co_ci_u32_e32 v20, vcc_lo, 0, v20, vcc_lo
	v_add_co_u32 v21, s0, v21, 8
	s_delay_alu instid0(VALU_DEP_1)
	v_add_co_ci_u32_e64 v22, s0, 0, v22, s0
	s_add_u32 s6, s6, 1
	s_addc_u32 s7, s7, 0
	s_and_not1_b32 s0, s36, exec_lo
	s_waitcnt vmcnt(0)
	v_cmp_ne_u64_e32 vcc_lo, v[23:24], v[25:26]
	s_and_b32 s36, vcc_lo, exec_lo
	s_delay_alu instid0(SALU_CYCLE_1)
	s_or_b32 s36, s0, s36
.LBB1691_255:                           ;   in Loop: Header=BB1691_256 Depth=1
	v_dual_mov_b32 v24, s7 :: v_dual_mov_b32 v23, s6
	s_and_b32 s0, exec_lo, s36
	s_delay_alu instid0(SALU_CYCLE_1) | instskip(NEXT) | instid1(SALU_CYCLE_1)
	s_or_b32 s35, s0, s35
	s_and_not1_b32 exec_lo, exec_lo, s35
	s_cbranch_execz .LBB1691_258
.LBB1691_256:                           ; =>This Inner Loop Header: Depth=1
	s_or_b32 s36, s36, exec_lo
	s_cmp_eq_u64 s[4:5], s[6:7]
	s_cbranch_scc0 .LBB1691_254
; %bb.257:                              ;   in Loop: Header=BB1691_256 Depth=1
	s_mov_b64 s[6:7], s[14:15]
                                        ; implicit-def: $vgpr19_vgpr20
                                        ; implicit-def: $vgpr21_vgpr22
	s_branch .LBB1691_255
.LBB1691_258:
	s_set_inst_prefetch_distance 0x2
	s_or_b32 exec_lo, exec_lo, s35
	v_cmp_gt_i64_e32 vcc_lo, s[14:15], v[23:24]
	s_or_not1_b32 s0, vcc_lo, exec_lo
.LBB1691_259:
	s_or_b32 exec_lo, exec_lo, s34
.LBB1691_260:
	v_cndmask_b32_e64 v20, 0, 1, s33
	v_cndmask_b32_e64 v21, 0, 1, s30
	;; [unrolled: 1-line block ×7, first 2 shown]
	v_lshlrev_b16 v21, 8, v21
	v_lshlrev_b16 v22, 8, v22
	;; [unrolled: 1-line block ×4, first 2 shown]
	s_waitcnt lgkmcnt(0)
	v_or_b32_e32 v21, v24, v21
	v_or_b32_e32 v22, v25, v22
	;; [unrolled: 1-line block ×4, first 2 shown]
	s_barrier
	v_and_b32_e32 v20, 0xffff, v21
	v_lshlrev_b32_e32 v21, 16, v22
	v_and_b32_e32 v22, 0xffff, v23
	v_lshlrev_b32_e32 v19, 16, v19
	buffer_gl0_inv
                                        ; implicit-def: $sgpr0
	v_or_b32_e32 v20, v20, v21
	v_or_b32_e32 v19, v22, v19
	s_and_saveexec_b32 s4, s3
	s_delay_alu instid0(SALU_CYCLE_1)
	s_xor_b32 s27, exec_lo, s4
	s_cbranch_execz .LBB1691_271
; %bb.261:
	s_and_not1_b32 vcc_lo, exec_lo, s26
	s_mov_b32 s0, 0
	s_cbranch_vccnz .LBB1691_270
; %bb.262:
	v_add_nc_u32_e32 v21, -8, v39
	v_lshlrev_b64 v[17:18], 3, v[17:18]
	s_mov_b32 s0, -1
	s_mov_b32 s28, exec_lo
	ds_load_b64 v[21:22], v21
	s_waitcnt lgkmcnt(0)
	v_mul_lo_u32 v24, v22, s14
	v_mul_lo_u32 v25, v21, s15
	v_mad_u64_u32 v[22:23], null, v21, s14, 0
	s_delay_alu instid0(VALU_DEP_1) | instskip(NEXT) | instid1(VALU_DEP_1)
	v_add3_u32 v23, v23, v25, v24
	v_lshlrev_b64 v[21:22], 3, v[22:23]
	s_delay_alu instid0(VALU_DEP_1) | instskip(NEXT) | instid1(VALU_DEP_2)
	v_add_co_u32 v21, vcc_lo, s16, v21
	v_add_co_ci_u32_e32 v22, vcc_lo, s17, v22, vcc_lo
	v_add_co_u32 v17, vcc_lo, s16, v17
	v_add_co_ci_u32_e32 v18, vcc_lo, s17, v18, vcc_lo
	s_clause 0x1
	global_load_b64 v[23:24], v[21:22], off
	global_load_b64 v[25:26], v[17:18], off
	s_waitcnt vmcnt(0)
	v_cmpx_eq_u64_e64 v[23:24], v[25:26]
	s_cbranch_execz .LBB1691_269
; %bb.263:
	v_add_co_u32 v17, vcc_lo, v17, 8
	v_add_co_ci_u32_e32 v18, vcc_lo, 0, v18, vcc_lo
	v_add_co_u32 v21, vcc_lo, v21, 8
	v_add_co_ci_u32_e32 v22, vcc_lo, 0, v22, vcc_lo
	s_add_u32 s4, s14, -1
	s_addc_u32 s5, s15, -1
	s_mov_b64 s[6:7], 0
	s_mov_b32 s29, 0
                                        ; implicit-def: $sgpr30
	s_set_inst_prefetch_distance 0x1
	s_branch .LBB1691_266
	.p2align	6
.LBB1691_264:                           ;   in Loop: Header=BB1691_266 Depth=1
	global_load_b64 v[23:24], v[21:22], off
	global_load_b64 v[25:26], v[17:18], off
	v_add_co_u32 v17, vcc_lo, v17, 8
	v_add_co_ci_u32_e32 v18, vcc_lo, 0, v18, vcc_lo
	v_add_co_u32 v21, s0, v21, 8
	s_delay_alu instid0(VALU_DEP_1)
	v_add_co_ci_u32_e64 v22, s0, 0, v22, s0
	s_add_u32 s6, s6, 1
	s_addc_u32 s7, s7, 0
	s_and_not1_b32 s0, s30, exec_lo
	s_waitcnt vmcnt(0)
	v_cmp_ne_u64_e32 vcc_lo, v[23:24], v[25:26]
	s_and_b32 s30, vcc_lo, exec_lo
	s_delay_alu instid0(SALU_CYCLE_1)
	s_or_b32 s30, s0, s30
.LBB1691_265:                           ;   in Loop: Header=BB1691_266 Depth=1
	v_dual_mov_b32 v24, s7 :: v_dual_mov_b32 v23, s6
	s_and_b32 s0, exec_lo, s30
	s_delay_alu instid0(SALU_CYCLE_1) | instskip(NEXT) | instid1(SALU_CYCLE_1)
	s_or_b32 s29, s0, s29
	s_and_not1_b32 exec_lo, exec_lo, s29
	s_cbranch_execz .LBB1691_268
.LBB1691_266:                           ; =>This Inner Loop Header: Depth=1
	s_or_b32 s30, s30, exec_lo
	s_cmp_eq_u64 s[4:5], s[6:7]
	s_cbranch_scc0 .LBB1691_264
; %bb.267:                              ;   in Loop: Header=BB1691_266 Depth=1
	s_mov_b64 s[6:7], s[14:15]
                                        ; implicit-def: $vgpr17_vgpr18
                                        ; implicit-def: $vgpr21_vgpr22
	s_branch .LBB1691_265
.LBB1691_268:
	s_set_inst_prefetch_distance 0x2
	s_or_b32 exec_lo, exec_lo, s29
	v_cmp_gt_i64_e32 vcc_lo, s[14:15], v[23:24]
	s_or_not1_b32 s0, vcc_lo, exec_lo
.LBB1691_269:
	s_or_b32 exec_lo, exec_lo, s28
.LBB1691_270:
	s_delay_alu instid0(SALU_CYCLE_1)
	s_and_b32 s0, s0, exec_lo
	s_or_b32 s25, s25, exec_lo
.LBB1691_271:
	s_or_b32 exec_lo, exec_lo, s27
	s_branch .LBB1691_363
.LBB1691_272:
	s_waitcnt vmcnt(0) lgkmcnt(1)
	v_or_b32_e32 v17, 7, v39
	s_mov_b32 s27, 0
	s_mov_b32 s28, 0
	s_mov_b32 s29, exec_lo
	s_delay_alu instid0(VALU_DEP_1)
	v_cmpx_gt_u32_e64 s12, v17
	s_cbranch_execz .LBB1691_283
; %bb.273:
	s_and_not1_b32 vcc_lo, exec_lo, s26
	s_mov_b32 s0, 0
	s_cbranch_vccnz .LBB1691_282
; %bb.274:
	v_mul_lo_u32 v21, v2, s14
	v_mul_lo_u32 v22, v1, s15
	v_mad_u64_u32 v[17:18], null, v1, s14, 0
	v_mul_lo_u32 v23, v4, s14
	v_mul_lo_u32 v24, v3, s15
	v_mad_u64_u32 v[19:20], null, v3, s14, 0
	s_mov_b32 s0, -1
	s_mov_b32 s28, exec_lo
	s_delay_alu instid0(VALU_DEP_4) | instskip(NEXT) | instid1(VALU_DEP_2)
	v_add3_u32 v18, v18, v22, v21
	v_add3_u32 v20, v20, v24, v23
	s_delay_alu instid0(VALU_DEP_2) | instskip(NEXT) | instid1(VALU_DEP_2)
	v_lshlrev_b64 v[17:18], 3, v[17:18]
	v_lshlrev_b64 v[21:22], 3, v[19:20]
	s_delay_alu instid0(VALU_DEP_2) | instskip(NEXT) | instid1(VALU_DEP_3)
	v_add_co_u32 v19, vcc_lo, s16, v17
	v_add_co_ci_u32_e32 v20, vcc_lo, s17, v18, vcc_lo
	s_delay_alu instid0(VALU_DEP_3) | instskip(NEXT) | instid1(VALU_DEP_4)
	v_add_co_u32 v17, vcc_lo, s16, v21
	v_add_co_ci_u32_e32 v18, vcc_lo, s17, v22, vcc_lo
	s_clause 0x1
	global_load_b64 v[21:22], v[19:20], off
	global_load_b64 v[23:24], v[17:18], off
	s_waitcnt vmcnt(0)
	v_cmpx_eq_u64_e64 v[21:22], v[23:24]
	s_cbranch_execz .LBB1691_281
; %bb.275:
	v_add_co_u32 v17, vcc_lo, v17, 8
	v_add_co_ci_u32_e32 v18, vcc_lo, 0, v18, vcc_lo
	v_add_co_u32 v19, vcc_lo, v19, 8
	v_add_co_ci_u32_e32 v20, vcc_lo, 0, v20, vcc_lo
	s_add_u32 s4, s14, -1
	s_addc_u32 s5, s15, -1
	s_mov_b64 s[6:7], 0
	s_mov_b32 s30, 0
                                        ; implicit-def: $sgpr31
	s_set_inst_prefetch_distance 0x1
	s_branch .LBB1691_278
	.p2align	6
.LBB1691_276:                           ;   in Loop: Header=BB1691_278 Depth=1
	global_load_b64 v[21:22], v[19:20], off
	global_load_b64 v[23:24], v[17:18], off
	v_add_co_u32 v17, vcc_lo, v17, 8
	v_add_co_ci_u32_e32 v18, vcc_lo, 0, v18, vcc_lo
	v_add_co_u32 v19, s0, v19, 8
	s_delay_alu instid0(VALU_DEP_1)
	v_add_co_ci_u32_e64 v20, s0, 0, v20, s0
	s_add_u32 s6, s6, 1
	s_addc_u32 s7, s7, 0
	s_and_not1_b32 s0, s31, exec_lo
	s_waitcnt vmcnt(0)
	v_cmp_ne_u64_e32 vcc_lo, v[21:22], v[23:24]
	s_and_b32 s31, vcc_lo, exec_lo
	s_delay_alu instid0(SALU_CYCLE_1)
	s_or_b32 s31, s0, s31
.LBB1691_277:                           ;   in Loop: Header=BB1691_278 Depth=1
	v_dual_mov_b32 v22, s7 :: v_dual_mov_b32 v21, s6
	s_and_b32 s0, exec_lo, s31
	s_delay_alu instid0(SALU_CYCLE_1) | instskip(NEXT) | instid1(SALU_CYCLE_1)
	s_or_b32 s30, s0, s30
	s_and_not1_b32 exec_lo, exec_lo, s30
	s_cbranch_execz .LBB1691_280
.LBB1691_278:                           ; =>This Inner Loop Header: Depth=1
	s_or_b32 s31, s31, exec_lo
	s_cmp_eq_u64 s[4:5], s[6:7]
	s_cbranch_scc0 .LBB1691_276
; %bb.279:                              ;   in Loop: Header=BB1691_278 Depth=1
	s_mov_b64 s[6:7], s[14:15]
                                        ; implicit-def: $vgpr17_vgpr18
                                        ; implicit-def: $vgpr19_vgpr20
	s_branch .LBB1691_277
.LBB1691_280:
	s_set_inst_prefetch_distance 0x2
	s_or_b32 exec_lo, exec_lo, s30
	v_cmp_gt_i64_e32 vcc_lo, s[14:15], v[21:22]
	s_or_not1_b32 s0, vcc_lo, exec_lo
.LBB1691_281:
	s_or_b32 exec_lo, exec_lo, s28
.LBB1691_282:
	s_delay_alu instid0(SALU_CYCLE_1)
	s_and_b32 s28, s0, exec_lo
.LBB1691_283:
	s_or_b32 exec_lo, exec_lo, s29
	v_or_b32_e32 v17, 6, v39
	s_mov_b32 s29, exec_lo
	s_delay_alu instid0(VALU_DEP_1)
	v_cmpx_gt_u32_e64 s12, v17
	s_cbranch_execz .LBB1691_294
; %bb.284:
	s_and_not1_b32 vcc_lo, exec_lo, s26
	s_mov_b32 s0, 0
	s_cbranch_vccnz .LBB1691_293
; %bb.285:
	v_mul_lo_u32 v21, v8, s14
	v_mul_lo_u32 v22, v7, s15
	v_mad_u64_u32 v[17:18], null, v7, s14, 0
	v_mul_lo_u32 v23, v2, s14
	v_mul_lo_u32 v24, v1, s15
	v_mad_u64_u32 v[19:20], null, v1, s14, 0
	s_mov_b32 s0, -1
	s_mov_b32 s27, exec_lo
	s_delay_alu instid0(VALU_DEP_4) | instskip(NEXT) | instid1(VALU_DEP_2)
	v_add3_u32 v18, v18, v22, v21
	v_add3_u32 v20, v20, v24, v23
	s_delay_alu instid0(VALU_DEP_2) | instskip(NEXT) | instid1(VALU_DEP_2)
	v_lshlrev_b64 v[17:18], 3, v[17:18]
	v_lshlrev_b64 v[21:22], 3, v[19:20]
	s_delay_alu instid0(VALU_DEP_2) | instskip(NEXT) | instid1(VALU_DEP_3)
	v_add_co_u32 v19, vcc_lo, s16, v17
	v_add_co_ci_u32_e32 v20, vcc_lo, s17, v18, vcc_lo
	s_delay_alu instid0(VALU_DEP_3) | instskip(NEXT) | instid1(VALU_DEP_4)
	v_add_co_u32 v17, vcc_lo, s16, v21
	v_add_co_ci_u32_e32 v18, vcc_lo, s17, v22, vcc_lo
	s_clause 0x1
	global_load_b64 v[21:22], v[19:20], off
	global_load_b64 v[23:24], v[17:18], off
	s_waitcnt vmcnt(0)
	v_cmpx_eq_u64_e64 v[21:22], v[23:24]
	s_cbranch_execz .LBB1691_292
; %bb.286:
	v_add_co_u32 v17, vcc_lo, v17, 8
	v_add_co_ci_u32_e32 v18, vcc_lo, 0, v18, vcc_lo
	v_add_co_u32 v19, vcc_lo, v19, 8
	v_add_co_ci_u32_e32 v20, vcc_lo, 0, v20, vcc_lo
	s_add_u32 s4, s14, -1
	s_addc_u32 s5, s15, -1
	s_mov_b64 s[6:7], 0
	s_mov_b32 s30, 0
                                        ; implicit-def: $sgpr31
	s_set_inst_prefetch_distance 0x1
	s_branch .LBB1691_289
	.p2align	6
.LBB1691_287:                           ;   in Loop: Header=BB1691_289 Depth=1
	global_load_b64 v[21:22], v[19:20], off
	global_load_b64 v[23:24], v[17:18], off
	v_add_co_u32 v17, vcc_lo, v17, 8
	v_add_co_ci_u32_e32 v18, vcc_lo, 0, v18, vcc_lo
	v_add_co_u32 v19, s0, v19, 8
	s_delay_alu instid0(VALU_DEP_1)
	v_add_co_ci_u32_e64 v20, s0, 0, v20, s0
	s_add_u32 s6, s6, 1
	s_addc_u32 s7, s7, 0
	s_and_not1_b32 s0, s31, exec_lo
	s_waitcnt vmcnt(0)
	v_cmp_ne_u64_e32 vcc_lo, v[21:22], v[23:24]
	s_and_b32 s31, vcc_lo, exec_lo
	s_delay_alu instid0(SALU_CYCLE_1)
	s_or_b32 s31, s0, s31
.LBB1691_288:                           ;   in Loop: Header=BB1691_289 Depth=1
	v_dual_mov_b32 v22, s7 :: v_dual_mov_b32 v21, s6
	s_and_b32 s0, exec_lo, s31
	s_delay_alu instid0(SALU_CYCLE_1) | instskip(NEXT) | instid1(SALU_CYCLE_1)
	s_or_b32 s30, s0, s30
	s_and_not1_b32 exec_lo, exec_lo, s30
	s_cbranch_execz .LBB1691_291
.LBB1691_289:                           ; =>This Inner Loop Header: Depth=1
	s_or_b32 s31, s31, exec_lo
	s_cmp_eq_u64 s[4:5], s[6:7]
	s_cbranch_scc0 .LBB1691_287
; %bb.290:                              ;   in Loop: Header=BB1691_289 Depth=1
	s_mov_b64 s[6:7], s[14:15]
                                        ; implicit-def: $vgpr17_vgpr18
                                        ; implicit-def: $vgpr19_vgpr20
	s_branch .LBB1691_288
.LBB1691_291:
	s_set_inst_prefetch_distance 0x2
	s_or_b32 exec_lo, exec_lo, s30
	v_cmp_gt_i64_e32 vcc_lo, s[14:15], v[21:22]
	s_or_not1_b32 s0, vcc_lo, exec_lo
.LBB1691_292:
	s_or_b32 exec_lo, exec_lo, s27
.LBB1691_293:
	s_delay_alu instid0(SALU_CYCLE_1)
	s_and_b32 s27, s0, exec_lo
.LBB1691_294:
	s_or_b32 exec_lo, exec_lo, s29
	v_or_b32_e32 v17, 5, v39
	s_mov_b32 s29, 0
	s_mov_b32 s30, 0
	s_mov_b32 s31, exec_lo
	s_delay_alu instid0(VALU_DEP_1)
	v_cmpx_gt_u32_e64 s12, v17
	s_cbranch_execz .LBB1691_305
; %bb.295:
	s_and_not1_b32 vcc_lo, exec_lo, s26
	s_mov_b32 s0, 0
	s_cbranch_vccnz .LBB1691_304
; %bb.296:
	v_mul_lo_u32 v21, v6, s14
	v_mul_lo_u32 v22, v5, s15
	v_mad_u64_u32 v[17:18], null, v5, s14, 0
	v_mul_lo_u32 v23, v8, s14
	v_mul_lo_u32 v24, v7, s15
	v_mad_u64_u32 v[19:20], null, v7, s14, 0
	s_mov_b32 s0, -1
	s_mov_b32 s30, exec_lo
	s_delay_alu instid0(VALU_DEP_4) | instskip(NEXT) | instid1(VALU_DEP_2)
	v_add3_u32 v18, v18, v22, v21
	v_add3_u32 v20, v20, v24, v23
	s_delay_alu instid0(VALU_DEP_2) | instskip(NEXT) | instid1(VALU_DEP_2)
	v_lshlrev_b64 v[17:18], 3, v[17:18]
	v_lshlrev_b64 v[21:22], 3, v[19:20]
	s_delay_alu instid0(VALU_DEP_2) | instskip(NEXT) | instid1(VALU_DEP_3)
	v_add_co_u32 v19, vcc_lo, s16, v17
	v_add_co_ci_u32_e32 v20, vcc_lo, s17, v18, vcc_lo
	s_delay_alu instid0(VALU_DEP_3) | instskip(NEXT) | instid1(VALU_DEP_4)
	v_add_co_u32 v17, vcc_lo, s16, v21
	v_add_co_ci_u32_e32 v18, vcc_lo, s17, v22, vcc_lo
	s_clause 0x1
	global_load_b64 v[21:22], v[19:20], off
	global_load_b64 v[23:24], v[17:18], off
	s_waitcnt vmcnt(0)
	v_cmpx_eq_u64_e64 v[21:22], v[23:24]
	s_cbranch_execz .LBB1691_303
; %bb.297:
	v_add_co_u32 v17, vcc_lo, v17, 8
	v_add_co_ci_u32_e32 v18, vcc_lo, 0, v18, vcc_lo
	v_add_co_u32 v19, vcc_lo, v19, 8
	v_add_co_ci_u32_e32 v20, vcc_lo, 0, v20, vcc_lo
	s_add_u32 s4, s14, -1
	s_addc_u32 s5, s15, -1
	s_mov_b64 s[6:7], 0
	s_mov_b32 s33, 0
                                        ; implicit-def: $sgpr34
	s_set_inst_prefetch_distance 0x1
	s_branch .LBB1691_300
	.p2align	6
.LBB1691_298:                           ;   in Loop: Header=BB1691_300 Depth=1
	global_load_b64 v[21:22], v[19:20], off
	global_load_b64 v[23:24], v[17:18], off
	v_add_co_u32 v17, vcc_lo, v17, 8
	v_add_co_ci_u32_e32 v18, vcc_lo, 0, v18, vcc_lo
	v_add_co_u32 v19, s0, v19, 8
	s_delay_alu instid0(VALU_DEP_1)
	v_add_co_ci_u32_e64 v20, s0, 0, v20, s0
	s_add_u32 s6, s6, 1
	s_addc_u32 s7, s7, 0
	s_and_not1_b32 s0, s34, exec_lo
	s_waitcnt vmcnt(0)
	v_cmp_ne_u64_e32 vcc_lo, v[21:22], v[23:24]
	s_and_b32 s34, vcc_lo, exec_lo
	s_delay_alu instid0(SALU_CYCLE_1)
	s_or_b32 s34, s0, s34
.LBB1691_299:                           ;   in Loop: Header=BB1691_300 Depth=1
	v_dual_mov_b32 v22, s7 :: v_dual_mov_b32 v21, s6
	s_and_b32 s0, exec_lo, s34
	s_delay_alu instid0(SALU_CYCLE_1) | instskip(NEXT) | instid1(SALU_CYCLE_1)
	s_or_b32 s33, s0, s33
	s_and_not1_b32 exec_lo, exec_lo, s33
	s_cbranch_execz .LBB1691_302
.LBB1691_300:                           ; =>This Inner Loop Header: Depth=1
	s_or_b32 s34, s34, exec_lo
	s_cmp_eq_u64 s[4:5], s[6:7]
	s_cbranch_scc0 .LBB1691_298
; %bb.301:                              ;   in Loop: Header=BB1691_300 Depth=1
	s_mov_b64 s[6:7], s[14:15]
                                        ; implicit-def: $vgpr17_vgpr18
                                        ; implicit-def: $vgpr19_vgpr20
	s_branch .LBB1691_299
.LBB1691_302:
	s_set_inst_prefetch_distance 0x2
	s_or_b32 exec_lo, exec_lo, s33
	v_cmp_gt_i64_e32 vcc_lo, s[14:15], v[21:22]
	s_or_not1_b32 s0, vcc_lo, exec_lo
.LBB1691_303:
	s_or_b32 exec_lo, exec_lo, s30
.LBB1691_304:
	s_delay_alu instid0(SALU_CYCLE_1)
	s_and_b32 s30, s0, exec_lo
.LBB1691_305:
	s_or_b32 exec_lo, exec_lo, s31
	v_or_b32_e32 v17, 4, v39
	s_mov_b32 s31, exec_lo
	s_delay_alu instid0(VALU_DEP_1)
	v_cmpx_gt_u32_e64 s12, v17
	s_cbranch_execz .LBB1691_316
; %bb.306:
	s_and_not1_b32 vcc_lo, exec_lo, s26
	s_mov_b32 s0, 0
	s_cbranch_vccnz .LBB1691_315
; %bb.307:
	v_mul_lo_u32 v21, v12, s14
	v_mul_lo_u32 v22, v11, s15
	v_mad_u64_u32 v[17:18], null, v11, s14, 0
	v_mul_lo_u32 v23, v6, s14
	v_mul_lo_u32 v24, v5, s15
	v_mad_u64_u32 v[19:20], null, v5, s14, 0
	s_mov_b32 s0, -1
	s_mov_b32 s29, exec_lo
	s_delay_alu instid0(VALU_DEP_4) | instskip(NEXT) | instid1(VALU_DEP_2)
	v_add3_u32 v18, v18, v22, v21
	v_add3_u32 v20, v20, v24, v23
	s_delay_alu instid0(VALU_DEP_2) | instskip(NEXT) | instid1(VALU_DEP_2)
	v_lshlrev_b64 v[17:18], 3, v[17:18]
	v_lshlrev_b64 v[21:22], 3, v[19:20]
	s_delay_alu instid0(VALU_DEP_2) | instskip(NEXT) | instid1(VALU_DEP_3)
	v_add_co_u32 v19, vcc_lo, s16, v17
	v_add_co_ci_u32_e32 v20, vcc_lo, s17, v18, vcc_lo
	s_delay_alu instid0(VALU_DEP_3) | instskip(NEXT) | instid1(VALU_DEP_4)
	v_add_co_u32 v17, vcc_lo, s16, v21
	v_add_co_ci_u32_e32 v18, vcc_lo, s17, v22, vcc_lo
	s_clause 0x1
	global_load_b64 v[21:22], v[19:20], off
	global_load_b64 v[23:24], v[17:18], off
	s_waitcnt vmcnt(0)
	v_cmpx_eq_u64_e64 v[21:22], v[23:24]
	s_cbranch_execz .LBB1691_314
; %bb.308:
	v_add_co_u32 v17, vcc_lo, v17, 8
	v_add_co_ci_u32_e32 v18, vcc_lo, 0, v18, vcc_lo
	v_add_co_u32 v19, vcc_lo, v19, 8
	v_add_co_ci_u32_e32 v20, vcc_lo, 0, v20, vcc_lo
	s_add_u32 s4, s14, -1
	s_addc_u32 s5, s15, -1
	s_mov_b64 s[6:7], 0
	s_mov_b32 s33, 0
                                        ; implicit-def: $sgpr34
	s_set_inst_prefetch_distance 0x1
	s_branch .LBB1691_311
	.p2align	6
.LBB1691_309:                           ;   in Loop: Header=BB1691_311 Depth=1
	global_load_b64 v[21:22], v[19:20], off
	global_load_b64 v[23:24], v[17:18], off
	v_add_co_u32 v17, vcc_lo, v17, 8
	v_add_co_ci_u32_e32 v18, vcc_lo, 0, v18, vcc_lo
	v_add_co_u32 v19, s0, v19, 8
	s_delay_alu instid0(VALU_DEP_1)
	v_add_co_ci_u32_e64 v20, s0, 0, v20, s0
	s_add_u32 s6, s6, 1
	s_addc_u32 s7, s7, 0
	s_and_not1_b32 s0, s34, exec_lo
	s_waitcnt vmcnt(0)
	v_cmp_ne_u64_e32 vcc_lo, v[21:22], v[23:24]
	s_and_b32 s34, vcc_lo, exec_lo
	s_delay_alu instid0(SALU_CYCLE_1)
	s_or_b32 s34, s0, s34
.LBB1691_310:                           ;   in Loop: Header=BB1691_311 Depth=1
	v_dual_mov_b32 v22, s7 :: v_dual_mov_b32 v21, s6
	s_and_b32 s0, exec_lo, s34
	s_delay_alu instid0(SALU_CYCLE_1) | instskip(NEXT) | instid1(SALU_CYCLE_1)
	s_or_b32 s33, s0, s33
	s_and_not1_b32 exec_lo, exec_lo, s33
	s_cbranch_execz .LBB1691_313
.LBB1691_311:                           ; =>This Inner Loop Header: Depth=1
	s_or_b32 s34, s34, exec_lo
	s_cmp_eq_u64 s[4:5], s[6:7]
	s_cbranch_scc0 .LBB1691_309
; %bb.312:                              ;   in Loop: Header=BB1691_311 Depth=1
	s_mov_b64 s[6:7], s[14:15]
                                        ; implicit-def: $vgpr17_vgpr18
                                        ; implicit-def: $vgpr19_vgpr20
	s_branch .LBB1691_310
.LBB1691_313:
	s_set_inst_prefetch_distance 0x2
	s_or_b32 exec_lo, exec_lo, s33
	v_cmp_gt_i64_e32 vcc_lo, s[14:15], v[21:22]
	s_or_not1_b32 s0, vcc_lo, exec_lo
.LBB1691_314:
	s_or_b32 exec_lo, exec_lo, s29
.LBB1691_315:
	s_delay_alu instid0(SALU_CYCLE_1)
	s_and_b32 s29, s0, exec_lo
.LBB1691_316:
	s_or_b32 exec_lo, exec_lo, s31
	v_or_b32_e32 v17, 3, v39
	s_mov_b32 s33, 0
	s_mov_b32 s31, 0
	s_mov_b32 s34, exec_lo
	s_delay_alu instid0(VALU_DEP_1)
	v_cmpx_gt_u32_e64 s12, v17
	s_cbranch_execz .LBB1691_327
; %bb.317:
	s_and_not1_b32 vcc_lo, exec_lo, s26
	s_mov_b32 s0, 0
	s_cbranch_vccnz .LBB1691_326
; %bb.318:
	v_mul_lo_u32 v21, v10, s14
	v_mul_lo_u32 v22, v9, s15
	v_mad_u64_u32 v[17:18], null, v9, s14, 0
	v_mul_lo_u32 v23, v12, s14
	v_mul_lo_u32 v24, v11, s15
	v_mad_u64_u32 v[19:20], null, v11, s14, 0
	s_mov_b32 s0, -1
	s_mov_b32 s31, exec_lo
	s_delay_alu instid0(VALU_DEP_4) | instskip(NEXT) | instid1(VALU_DEP_2)
	v_add3_u32 v18, v18, v22, v21
	v_add3_u32 v20, v20, v24, v23
	s_delay_alu instid0(VALU_DEP_2) | instskip(NEXT) | instid1(VALU_DEP_2)
	v_lshlrev_b64 v[17:18], 3, v[17:18]
	v_lshlrev_b64 v[21:22], 3, v[19:20]
	s_delay_alu instid0(VALU_DEP_2) | instskip(NEXT) | instid1(VALU_DEP_3)
	v_add_co_u32 v19, vcc_lo, s16, v17
	v_add_co_ci_u32_e32 v20, vcc_lo, s17, v18, vcc_lo
	s_delay_alu instid0(VALU_DEP_3) | instskip(NEXT) | instid1(VALU_DEP_4)
	v_add_co_u32 v17, vcc_lo, s16, v21
	v_add_co_ci_u32_e32 v18, vcc_lo, s17, v22, vcc_lo
	s_clause 0x1
	global_load_b64 v[21:22], v[19:20], off
	global_load_b64 v[23:24], v[17:18], off
	s_waitcnt vmcnt(0)
	v_cmpx_eq_u64_e64 v[21:22], v[23:24]
	s_cbranch_execz .LBB1691_325
; %bb.319:
	v_add_co_u32 v17, vcc_lo, v17, 8
	v_add_co_ci_u32_e32 v18, vcc_lo, 0, v18, vcc_lo
	v_add_co_u32 v19, vcc_lo, v19, 8
	v_add_co_ci_u32_e32 v20, vcc_lo, 0, v20, vcc_lo
	s_add_u32 s4, s14, -1
	s_addc_u32 s5, s15, -1
	s_mov_b64 s[6:7], 0
	s_mov_b32 s35, 0
                                        ; implicit-def: $sgpr36
	s_set_inst_prefetch_distance 0x1
	s_branch .LBB1691_322
	.p2align	6
.LBB1691_320:                           ;   in Loop: Header=BB1691_322 Depth=1
	global_load_b64 v[21:22], v[19:20], off
	global_load_b64 v[23:24], v[17:18], off
	v_add_co_u32 v17, vcc_lo, v17, 8
	v_add_co_ci_u32_e32 v18, vcc_lo, 0, v18, vcc_lo
	v_add_co_u32 v19, s0, v19, 8
	s_delay_alu instid0(VALU_DEP_1)
	v_add_co_ci_u32_e64 v20, s0, 0, v20, s0
	s_add_u32 s6, s6, 1
	s_addc_u32 s7, s7, 0
	s_and_not1_b32 s0, s36, exec_lo
	s_waitcnt vmcnt(0)
	v_cmp_ne_u64_e32 vcc_lo, v[21:22], v[23:24]
	s_and_b32 s36, vcc_lo, exec_lo
	s_delay_alu instid0(SALU_CYCLE_1)
	s_or_b32 s36, s0, s36
.LBB1691_321:                           ;   in Loop: Header=BB1691_322 Depth=1
	v_dual_mov_b32 v22, s7 :: v_dual_mov_b32 v21, s6
	s_and_b32 s0, exec_lo, s36
	s_delay_alu instid0(SALU_CYCLE_1) | instskip(NEXT) | instid1(SALU_CYCLE_1)
	s_or_b32 s35, s0, s35
	s_and_not1_b32 exec_lo, exec_lo, s35
	s_cbranch_execz .LBB1691_324
.LBB1691_322:                           ; =>This Inner Loop Header: Depth=1
	s_or_b32 s36, s36, exec_lo
	s_cmp_eq_u64 s[4:5], s[6:7]
	s_cbranch_scc0 .LBB1691_320
; %bb.323:                              ;   in Loop: Header=BB1691_322 Depth=1
	s_mov_b64 s[6:7], s[14:15]
                                        ; implicit-def: $vgpr17_vgpr18
                                        ; implicit-def: $vgpr19_vgpr20
	s_branch .LBB1691_321
.LBB1691_324:
	s_set_inst_prefetch_distance 0x2
	s_or_b32 exec_lo, exec_lo, s35
	v_cmp_gt_i64_e32 vcc_lo, s[14:15], v[21:22]
	s_or_not1_b32 s0, vcc_lo, exec_lo
.LBB1691_325:
	s_or_b32 exec_lo, exec_lo, s31
.LBB1691_326:
	s_delay_alu instid0(SALU_CYCLE_1)
	s_and_b32 s31, s0, exec_lo
.LBB1691_327:
	s_or_b32 exec_lo, exec_lo, s34
	v_or_b32_e32 v17, 2, v39
	s_mov_b32 s34, exec_lo
	s_delay_alu instid0(VALU_DEP_1)
	v_cmpx_gt_u32_e64 s12, v17
	s_cbranch_execz .LBB1691_338
; %bb.328:
	s_and_not1_b32 vcc_lo, exec_lo, s26
	s_mov_b32 s0, 0
	s_cbranch_vccnz .LBB1691_337
; %bb.329:
	v_mul_lo_u32 v21, v16, s14
	v_mul_lo_u32 v22, v15, s15
	v_mad_u64_u32 v[17:18], null, v15, s14, 0
	v_mul_lo_u32 v23, v10, s14
	v_mul_lo_u32 v24, v9, s15
	v_mad_u64_u32 v[19:20], null, v9, s14, 0
	s_mov_b32 s0, -1
	s_mov_b32 s33, exec_lo
	s_delay_alu instid0(VALU_DEP_4) | instskip(NEXT) | instid1(VALU_DEP_2)
	v_add3_u32 v18, v18, v22, v21
	v_add3_u32 v20, v20, v24, v23
	s_delay_alu instid0(VALU_DEP_2) | instskip(NEXT) | instid1(VALU_DEP_2)
	v_lshlrev_b64 v[17:18], 3, v[17:18]
	v_lshlrev_b64 v[21:22], 3, v[19:20]
	s_delay_alu instid0(VALU_DEP_2) | instskip(NEXT) | instid1(VALU_DEP_3)
	v_add_co_u32 v19, vcc_lo, s16, v17
	v_add_co_ci_u32_e32 v20, vcc_lo, s17, v18, vcc_lo
	s_delay_alu instid0(VALU_DEP_3) | instskip(NEXT) | instid1(VALU_DEP_4)
	v_add_co_u32 v17, vcc_lo, s16, v21
	v_add_co_ci_u32_e32 v18, vcc_lo, s17, v22, vcc_lo
	s_clause 0x1
	global_load_b64 v[21:22], v[19:20], off
	global_load_b64 v[23:24], v[17:18], off
	s_waitcnt vmcnt(0)
	v_cmpx_eq_u64_e64 v[21:22], v[23:24]
	s_cbranch_execz .LBB1691_336
; %bb.330:
	v_add_co_u32 v17, vcc_lo, v17, 8
	v_add_co_ci_u32_e32 v18, vcc_lo, 0, v18, vcc_lo
	v_add_co_u32 v19, vcc_lo, v19, 8
	v_add_co_ci_u32_e32 v20, vcc_lo, 0, v20, vcc_lo
	s_add_u32 s4, s14, -1
	s_addc_u32 s5, s15, -1
	s_mov_b64 s[6:7], 0
	s_mov_b32 s35, 0
                                        ; implicit-def: $sgpr36
	s_set_inst_prefetch_distance 0x1
	s_branch .LBB1691_333
	.p2align	6
.LBB1691_331:                           ;   in Loop: Header=BB1691_333 Depth=1
	global_load_b64 v[21:22], v[19:20], off
	global_load_b64 v[23:24], v[17:18], off
	v_add_co_u32 v17, vcc_lo, v17, 8
	v_add_co_ci_u32_e32 v18, vcc_lo, 0, v18, vcc_lo
	v_add_co_u32 v19, s0, v19, 8
	s_delay_alu instid0(VALU_DEP_1)
	v_add_co_ci_u32_e64 v20, s0, 0, v20, s0
	s_add_u32 s6, s6, 1
	s_addc_u32 s7, s7, 0
	s_and_not1_b32 s0, s36, exec_lo
	s_waitcnt vmcnt(0)
	v_cmp_ne_u64_e32 vcc_lo, v[21:22], v[23:24]
	s_and_b32 s36, vcc_lo, exec_lo
	s_delay_alu instid0(SALU_CYCLE_1)
	s_or_b32 s36, s0, s36
.LBB1691_332:                           ;   in Loop: Header=BB1691_333 Depth=1
	v_dual_mov_b32 v22, s7 :: v_dual_mov_b32 v21, s6
	s_and_b32 s0, exec_lo, s36
	s_delay_alu instid0(SALU_CYCLE_1) | instskip(NEXT) | instid1(SALU_CYCLE_1)
	s_or_b32 s35, s0, s35
	s_and_not1_b32 exec_lo, exec_lo, s35
	s_cbranch_execz .LBB1691_335
.LBB1691_333:                           ; =>This Inner Loop Header: Depth=1
	s_or_b32 s36, s36, exec_lo
	s_cmp_eq_u64 s[4:5], s[6:7]
	s_cbranch_scc0 .LBB1691_331
; %bb.334:                              ;   in Loop: Header=BB1691_333 Depth=1
	s_mov_b64 s[6:7], s[14:15]
                                        ; implicit-def: $vgpr17_vgpr18
                                        ; implicit-def: $vgpr19_vgpr20
	s_branch .LBB1691_332
.LBB1691_335:
	s_set_inst_prefetch_distance 0x2
	s_or_b32 exec_lo, exec_lo, s35
	v_cmp_gt_i64_e32 vcc_lo, s[14:15], v[21:22]
	s_or_not1_b32 s0, vcc_lo, exec_lo
.LBB1691_336:
	s_or_b32 exec_lo, exec_lo, s33
.LBB1691_337:
	s_delay_alu instid0(SALU_CYCLE_1)
	s_and_b32 s33, s0, exec_lo
.LBB1691_338:
	s_or_b32 exec_lo, exec_lo, s34
	v_or_b32_e32 v17, 1, v39
	s_mov_b32 s0, 0
	s_mov_b32 s34, exec_lo
	s_delay_alu instid0(VALU_DEP_1)
	v_cmpx_gt_u32_e64 s12, v17
	s_cbranch_execz .LBB1691_349
; %bb.339:
	s_and_not1_b32 vcc_lo, exec_lo, s26
	s_cbranch_vccnz .LBB1691_348
; %bb.340:
	v_mul_lo_u32 v21, v14, s14
	v_mul_lo_u32 v22, v13, s15
	v_mad_u64_u32 v[17:18], null, v13, s14, 0
	v_mul_lo_u32 v23, v16, s14
	v_mul_lo_u32 v24, v15, s15
	v_mad_u64_u32 v[19:20], null, v15, s14, 0
	s_mov_b32 s0, -1
	s_mov_b32 s35, exec_lo
	s_delay_alu instid0(VALU_DEP_4) | instskip(NEXT) | instid1(VALU_DEP_2)
	v_add3_u32 v18, v18, v22, v21
	v_add3_u32 v20, v20, v24, v23
	s_delay_alu instid0(VALU_DEP_2) | instskip(NEXT) | instid1(VALU_DEP_2)
	v_lshlrev_b64 v[17:18], 3, v[17:18]
	v_lshlrev_b64 v[21:22], 3, v[19:20]
	s_delay_alu instid0(VALU_DEP_2) | instskip(NEXT) | instid1(VALU_DEP_3)
	v_add_co_u32 v19, vcc_lo, s16, v17
	v_add_co_ci_u32_e32 v20, vcc_lo, s17, v18, vcc_lo
	s_delay_alu instid0(VALU_DEP_3) | instskip(NEXT) | instid1(VALU_DEP_4)
	v_add_co_u32 v17, vcc_lo, s16, v21
	v_add_co_ci_u32_e32 v18, vcc_lo, s17, v22, vcc_lo
	s_clause 0x1
	global_load_b64 v[21:22], v[19:20], off
	global_load_b64 v[23:24], v[17:18], off
	s_waitcnt vmcnt(0)
	v_cmpx_eq_u64_e64 v[21:22], v[23:24]
	s_cbranch_execz .LBB1691_347
; %bb.341:
	v_add_co_u32 v17, vcc_lo, v17, 8
	v_add_co_ci_u32_e32 v18, vcc_lo, 0, v18, vcc_lo
	v_add_co_u32 v19, vcc_lo, v19, 8
	v_add_co_ci_u32_e32 v20, vcc_lo, 0, v20, vcc_lo
	s_add_u32 s4, s14, -1
	s_addc_u32 s5, s15, -1
	s_mov_b64 s[6:7], 0
	s_mov_b32 s36, 0
                                        ; implicit-def: $sgpr37
	s_set_inst_prefetch_distance 0x1
	s_branch .LBB1691_344
	.p2align	6
.LBB1691_342:                           ;   in Loop: Header=BB1691_344 Depth=1
	global_load_b64 v[21:22], v[19:20], off
	global_load_b64 v[23:24], v[17:18], off
	v_add_co_u32 v17, vcc_lo, v17, 8
	v_add_co_ci_u32_e32 v18, vcc_lo, 0, v18, vcc_lo
	v_add_co_u32 v19, s0, v19, 8
	s_delay_alu instid0(VALU_DEP_1)
	v_add_co_ci_u32_e64 v20, s0, 0, v20, s0
	s_add_u32 s6, s6, 1
	s_addc_u32 s7, s7, 0
	s_and_not1_b32 s0, s37, exec_lo
	s_waitcnt vmcnt(0)
	v_cmp_ne_u64_e32 vcc_lo, v[21:22], v[23:24]
	s_and_b32 s37, vcc_lo, exec_lo
	s_delay_alu instid0(SALU_CYCLE_1)
	s_or_b32 s37, s0, s37
.LBB1691_343:                           ;   in Loop: Header=BB1691_344 Depth=1
	v_dual_mov_b32 v22, s7 :: v_dual_mov_b32 v21, s6
	s_and_b32 s0, exec_lo, s37
	s_delay_alu instid0(SALU_CYCLE_1) | instskip(NEXT) | instid1(SALU_CYCLE_1)
	s_or_b32 s36, s0, s36
	s_and_not1_b32 exec_lo, exec_lo, s36
	s_cbranch_execz .LBB1691_346
.LBB1691_344:                           ; =>This Inner Loop Header: Depth=1
	s_or_b32 s37, s37, exec_lo
	s_cmp_eq_u64 s[4:5], s[6:7]
	s_cbranch_scc0 .LBB1691_342
; %bb.345:                              ;   in Loop: Header=BB1691_344 Depth=1
	s_mov_b64 s[6:7], s[14:15]
                                        ; implicit-def: $vgpr17_vgpr18
                                        ; implicit-def: $vgpr19_vgpr20
	s_branch .LBB1691_343
.LBB1691_346:
	s_set_inst_prefetch_distance 0x2
	s_or_b32 exec_lo, exec_lo, s36
	v_cmp_gt_i64_e32 vcc_lo, s[14:15], v[21:22]
	s_or_not1_b32 s0, vcc_lo, exec_lo
.LBB1691_347:
	s_or_b32 exec_lo, exec_lo, s35
.LBB1691_348:
	s_delay_alu instid0(SALU_CYCLE_1)
	s_and_b32 s0, s0, exec_lo
.LBB1691_349:
	s_or_b32 exec_lo, exec_lo, s34
	v_cndmask_b32_e64 v18, 0, 1, s31
	v_cndmask_b32_e64 v19, 0, 1, s30
	;; [unrolled: 1-line block ×7, first 2 shown]
	v_lshlrev_b16 v19, 8, v19
	v_lshlrev_b16 v20, 8, v20
	v_lshlrev_b16 v21, 8, v21
	v_lshlrev_b16 v18, 8, v18
	s_waitcnt lgkmcnt(0)
	v_or_b32_e32 v19, v22, v19
	v_or_b32_e32 v20, v23, v20
	;; [unrolled: 1-line block ×4, first 2 shown]
	s_barrier
	v_and_b32_e32 v18, 0xffff, v19
	v_lshlrev_b32_e32 v19, 16, v20
	v_and_b32_e32 v21, 0xffff, v21
	v_lshlrev_b32_e32 v17, 16, v17
	buffer_gl0_inv
                                        ; implicit-def: $sgpr0
	v_or_b32_e32 v20, v18, v19
	v_or_b32_e32 v19, v21, v17
	s_and_saveexec_b32 s27, s3
	s_cbranch_execz .LBB1691_362
; %bb.350:
	s_mov_b32 s0, 0
	s_mov_b32 s3, exec_lo
	v_cmpx_gt_u32_e64 s12, v39
	s_cbranch_execz .LBB1691_361
; %bb.351:
	s_and_not1_b32 vcc_lo, exec_lo, s26
	s_cbranch_vccnz .LBB1691_360
; %bb.352:
	v_add_nc_u32_e32 v17, -8, v39
	v_mul_lo_u32 v25, v14, s14
	v_mul_lo_u32 v26, v13, s15
	s_mov_b32 s0, -1
	ds_load_b64 v[17:18], v17
	s_waitcnt lgkmcnt(0)
	v_mul_lo_u32 v23, v18, s14
	v_mul_lo_u32 v24, v17, s15
	v_mad_u64_u32 v[21:22], null, v17, s14, 0
	v_mad_u64_u32 v[17:18], null, v13, s14, 0
	s_delay_alu instid0(VALU_DEP_2) | instskip(NEXT) | instid1(VALU_DEP_2)
	v_add3_u32 v22, v22, v24, v23
	v_add3_u32 v18, v18, v26, v25
	s_delay_alu instid0(VALU_DEP_2) | instskip(NEXT) | instid1(VALU_DEP_2)
	v_lshlrev_b64 v[21:22], 3, v[21:22]
	v_lshlrev_b64 v[17:18], 3, v[17:18]
	s_delay_alu instid0(VALU_DEP_2) | instskip(NEXT) | instid1(VALU_DEP_3)
	v_add_co_u32 v21, vcc_lo, s16, v21
	v_add_co_ci_u32_e32 v22, vcc_lo, s17, v22, vcc_lo
	s_delay_alu instid0(VALU_DEP_3) | instskip(NEXT) | instid1(VALU_DEP_4)
	v_add_co_u32 v17, vcc_lo, s16, v17
	v_add_co_ci_u32_e32 v18, vcc_lo, s17, v18, vcc_lo
	s_clause 0x1
	global_load_b64 v[23:24], v[21:22], off
	global_load_b64 v[25:26], v[17:18], off
	s_mov_b32 s16, exec_lo
	s_waitcnt vmcnt(0)
	v_cmpx_eq_u64_e64 v[23:24], v[25:26]
	s_cbranch_execz .LBB1691_359
; %bb.353:
	v_add_co_u32 v17, vcc_lo, v17, 8
	v_add_co_ci_u32_e32 v18, vcc_lo, 0, v18, vcc_lo
	v_add_co_u32 v21, vcc_lo, v21, 8
	v_add_co_ci_u32_e32 v22, vcc_lo, 0, v22, vcc_lo
	s_add_u32 s4, s14, -1
	s_addc_u32 s5, s15, -1
	s_mov_b64 s[6:7], 0
	s_mov_b32 s17, 0
                                        ; implicit-def: $sgpr26
	s_set_inst_prefetch_distance 0x1
	s_branch .LBB1691_356
	.p2align	6
.LBB1691_354:                           ;   in Loop: Header=BB1691_356 Depth=1
	global_load_b64 v[23:24], v[21:22], off
	global_load_b64 v[25:26], v[17:18], off
	v_add_co_u32 v17, vcc_lo, v17, 8
	v_add_co_ci_u32_e32 v18, vcc_lo, 0, v18, vcc_lo
	v_add_co_u32 v21, s0, v21, 8
	s_delay_alu instid0(VALU_DEP_1)
	v_add_co_ci_u32_e64 v22, s0, 0, v22, s0
	s_add_u32 s6, s6, 1
	s_addc_u32 s7, s7, 0
	s_and_not1_b32 s0, s26, exec_lo
	s_waitcnt vmcnt(0)
	v_cmp_ne_u64_e32 vcc_lo, v[23:24], v[25:26]
	s_and_b32 s26, vcc_lo, exec_lo
	s_delay_alu instid0(SALU_CYCLE_1)
	s_or_b32 s26, s0, s26
.LBB1691_355:                           ;   in Loop: Header=BB1691_356 Depth=1
	v_dual_mov_b32 v24, s7 :: v_dual_mov_b32 v23, s6
	s_and_b32 s0, exec_lo, s26
	s_delay_alu instid0(SALU_CYCLE_1) | instskip(NEXT) | instid1(SALU_CYCLE_1)
	s_or_b32 s17, s0, s17
	s_and_not1_b32 exec_lo, exec_lo, s17
	s_cbranch_execz .LBB1691_358
.LBB1691_356:                           ; =>This Inner Loop Header: Depth=1
	s_or_b32 s26, s26, exec_lo
	s_cmp_eq_u64 s[4:5], s[6:7]
	s_cbranch_scc0 .LBB1691_354
; %bb.357:                              ;   in Loop: Header=BB1691_356 Depth=1
	s_mov_b64 s[6:7], s[14:15]
                                        ; implicit-def: $vgpr17_vgpr18
                                        ; implicit-def: $vgpr21_vgpr22
	s_branch .LBB1691_355
.LBB1691_358:
	s_set_inst_prefetch_distance 0x2
	s_or_b32 exec_lo, exec_lo, s17
	v_cmp_gt_i64_e32 vcc_lo, s[14:15], v[23:24]
	s_or_not1_b32 s0, vcc_lo, exec_lo
.LBB1691_359:
	s_or_b32 exec_lo, exec_lo, s16
.LBB1691_360:
	s_delay_alu instid0(SALU_CYCLE_1)
	s_and_b32 s0, s0, exec_lo
.LBB1691_361:
	s_or_b32 exec_lo, exec_lo, s3
	s_delay_alu instid0(SALU_CYCLE_1)
	s_and_b32 s0, s0, exec_lo
	s_or_b32 s25, s25, exec_lo
.LBB1691_362:
	s_or_b32 exec_lo, exec_lo, s27
.LBB1691_363:
	s_and_saveexec_b32 s3, s25
	s_cbranch_execz .LBB1691_365
; %bb.364:
	s_waitcnt vmcnt(0) lgkmcnt(0)
	v_and_b32_e32 v17, 0xffffff00, v19
	v_cndmask_b32_e64 v18, 0, 1, s0
	s_delay_alu instid0(VALU_DEP_1) | instskip(NEXT) | instid1(VALU_DEP_1)
	v_or_b32_e32 v17, v18, v17
	v_and_b32_e32 v17, 0xffff, v17
	s_delay_alu instid0(VALU_DEP_1)
	v_and_or_b32 v19, 0xffff0000, v19, v17
.LBB1691_365:
	s_or_b32 exec_lo, exec_lo, s3
	s_delay_alu instid0(SALU_CYCLE_1)
	s_and_not1_b32 vcc_lo, exec_lo, s1
	s_cbranch_vccnz .LBB1691_367
; %bb.366:
	v_cmp_gt_u32_e32 vcc_lo, s12, v39
	s_waitcnt vmcnt(0) lgkmcnt(0)
	v_or_b32_e32 v18, 1, v39
	v_and_b32_e32 v21, 0xffffff00, v20
	v_or_b32_e32 v22, 2, v39
	v_cndmask_b32_e32 v17, 0, v19, vcc_lo
	s_delay_alu instid0(VALU_DEP_4) | instskip(SKIP_1) | instid1(VALU_DEP_4)
	v_cmp_gt_u32_e32 vcc_lo, s12, v18
	v_or_b32_e32 v18, 4, v39
	v_cmp_gt_u32_e64 s0, s12, v22
	v_or_b32_e32 v22, 3, v39
	v_and_b32_e32 v17, 0xff, v17
	s_delay_alu instid0(VALU_DEP_2) | instskip(NEXT) | instid1(VALU_DEP_2)
	v_cmp_gt_u32_e64 s1, s12, v22
	v_cndmask_b32_e32 v17, v17, v19, vcc_lo
	v_cmp_gt_u32_e32 vcc_lo, s12, v18
	v_cndmask_b32_e32 v18, v21, v20, vcc_lo
	v_or_b32_e32 v21, 5, v39
	s_delay_alu instid0(VALU_DEP_2) | instskip(SKIP_1) | instid1(VALU_DEP_1)
	v_and_b32_e32 v18, 0xffff00ff, v18
	v_and_b32_e32 v17, 0xffff, v17
	v_cndmask_b32_e64 v17, v17, v19, s0
	s_delay_alu instid0(VALU_DEP_4) | instskip(SKIP_1) | instid1(VALU_DEP_3)
	v_cmp_gt_u32_e64 s0, s12, v21
	v_or_b32_e32 v21, 6, v39
	v_and_b32_e32 v17, 0xffffff, v17
	s_delay_alu instid0(VALU_DEP_3) | instskip(NEXT) | instid1(VALU_DEP_2)
	v_cndmask_b32_e64 v18, v18, v20, s0
	v_cndmask_b32_e64 v17, v17, v19, s1
	s_delay_alu instid0(VALU_DEP_1) | instskip(SKIP_2) | instid1(VALU_DEP_3)
	v_dual_cndmask_b32 v17, v17, v19 :: v_dual_and_b32 v18, 0xff00ffff, v18
	v_cmp_gt_u32_e32 vcc_lo, s12, v21
	v_or_b32_e32 v21, 7, v39
	v_cndmask_b32_e64 v17, v17, v19, s0
	s_delay_alu instid0(VALU_DEP_1) | instskip(NEXT) | instid1(VALU_DEP_1)
	v_dual_cndmask_b32 v18, v18, v20 :: v_dual_cndmask_b32 v17, v17, v19
	v_and_b32_e32 v18, 0xffffff, v18
	s_delay_alu instid0(VALU_DEP_4) | instskip(NEXT) | instid1(VALU_DEP_2)
	v_cmp_gt_u32_e32 vcc_lo, s12, v21
	v_dual_cndmask_b32 v20, v18, v20 :: v_dual_cndmask_b32 v19, v17, v19
.LBB1691_367:
	s_delay_alu instid0(VALU_DEP_1) | instskip(SKIP_1) | instid1(VALU_DEP_2)
	v_and_b32_e32 v28, 0xff, v19
	s_waitcnt vmcnt(0) lgkmcnt(0)
	v_alignbit_b32 v17, v20, v19, 24
	v_bfe_u32 v30, v19, 8, 8
	v_bfe_u32 v32, v19, 16, 8
	v_and_b32_e32 v36, 0xff, v20
	v_bfe_u32 v38, v20, 8, 8
	v_and_b32_e32 v34, 0xff, v17
	v_add_nc_u32_e32 v17, v30, v28
	v_mbcnt_lo_u32_b32 v42, -1, 0
	v_bfe_u32 v41, v20, 16, 8
	v_lshrrev_b32_e32 v40, 24, v20
	v_lshrrev_b32_e32 v43, 5, v0
	v_add3_u32 v17, v17, v32, v34
	v_and_b32_e32 v18, 15, v42
	v_and_b32_e32 v21, 16, v42
	s_and_b32 vcc_lo, exec_lo, s24
	s_mov_b32 s7, -1
	v_add3_u32 v17, v17, v36, v38
	v_cmp_eq_u32_e64 s3, 0, v18
	v_cmp_lt_u32_e64 s0, 1, v18
	v_cmp_lt_u32_e64 s4, 3, v18
	;; [unrolled: 1-line block ×3, first 2 shown]
	v_add3_u32 v44, v17, v41, v40
	v_or_b32_e32 v17, 31, v0
	v_cmp_eq_u32_e64 s6, 0, v21
	s_barrier
	buffer_gl0_inv
	v_cmp_eq_u32_e64 s5, v17, v0
	s_cbranch_vccz .LBB1691_393
; %bb.368:
	v_mov_b32_dpp v17, v44 row_shr:1 row_mask:0xf bank_mask:0xf
	s_delay_alu instid0(VALU_DEP_1) | instskip(NEXT) | instid1(VALU_DEP_1)
	v_cndmask_b32_e64 v17, v17, 0, s3
	v_add_nc_u32_e32 v17, v17, v44
	s_delay_alu instid0(VALU_DEP_1) | instskip(NEXT) | instid1(VALU_DEP_1)
	v_mov_b32_dpp v18, v17 row_shr:2 row_mask:0xf bank_mask:0xf
	v_cndmask_b32_e64 v18, 0, v18, s0
	s_delay_alu instid0(VALU_DEP_1) | instskip(NEXT) | instid1(VALU_DEP_1)
	v_add_nc_u32_e32 v17, v17, v18
	v_mov_b32_dpp v18, v17 row_shr:4 row_mask:0xf bank_mask:0xf
	s_delay_alu instid0(VALU_DEP_1) | instskip(NEXT) | instid1(VALU_DEP_1)
	v_cndmask_b32_e64 v18, 0, v18, s4
	v_add_nc_u32_e32 v17, v17, v18
	s_delay_alu instid0(VALU_DEP_1) | instskip(NEXT) | instid1(VALU_DEP_1)
	v_mov_b32_dpp v18, v17 row_shr:8 row_mask:0xf bank_mask:0xf
	v_cndmask_b32_e64 v18, 0, v18, s1
	s_delay_alu instid0(VALU_DEP_1) | instskip(SKIP_3) | instid1(VALU_DEP_1)
	v_add_nc_u32_e32 v17, v17, v18
	ds_swizzle_b32 v18, v17 offset:swizzle(BROADCAST,32,15)
	s_waitcnt lgkmcnt(0)
	v_cndmask_b32_e64 v18, v18, 0, s6
	v_add_nc_u32_e32 v17, v17, v18
	s_and_saveexec_b32 s7, s5
	s_cbranch_execz .LBB1691_370
; %bb.369:
	v_lshlrev_b32_e32 v18, 2, v43
	ds_store_b32 v18, v17
.LBB1691_370:
	s_or_b32 exec_lo, exec_lo, s7
	s_delay_alu instid0(SALU_CYCLE_1)
	s_mov_b32 s7, exec_lo
	s_waitcnt lgkmcnt(0)
	s_barrier
	buffer_gl0_inv
	v_cmpx_gt_u32_e32 16, v0
	s_cbranch_execz .LBB1691_372
; %bb.371:
	v_lshlrev_b32_e32 v18, 2, v0
	ds_load_b32 v21, v18
	s_waitcnt lgkmcnt(0)
	v_mov_b32_dpp v22, v21 row_shr:1 row_mask:0xf bank_mask:0xf
	s_delay_alu instid0(VALU_DEP_1) | instskip(NEXT) | instid1(VALU_DEP_1)
	v_cndmask_b32_e64 v22, v22, 0, s3
	v_add_nc_u32_e32 v21, v22, v21
	s_delay_alu instid0(VALU_DEP_1) | instskip(NEXT) | instid1(VALU_DEP_1)
	v_mov_b32_dpp v22, v21 row_shr:2 row_mask:0xf bank_mask:0xf
	v_cndmask_b32_e64 v22, 0, v22, s0
	s_delay_alu instid0(VALU_DEP_1) | instskip(NEXT) | instid1(VALU_DEP_1)
	v_add_nc_u32_e32 v21, v21, v22
	v_mov_b32_dpp v22, v21 row_shr:4 row_mask:0xf bank_mask:0xf
	s_delay_alu instid0(VALU_DEP_1) | instskip(NEXT) | instid1(VALU_DEP_1)
	v_cndmask_b32_e64 v22, 0, v22, s4
	v_add_nc_u32_e32 v21, v21, v22
	s_delay_alu instid0(VALU_DEP_1) | instskip(NEXT) | instid1(VALU_DEP_1)
	v_mov_b32_dpp v22, v21 row_shr:8 row_mask:0xf bank_mask:0xf
	v_cndmask_b32_e64 v22, 0, v22, s1
	s_delay_alu instid0(VALU_DEP_1)
	v_add_nc_u32_e32 v21, v21, v22
	ds_store_b32 v18, v21
.LBB1691_372:
	s_or_b32 exec_lo, exec_lo, s7
	v_cmp_gt_u32_e32 vcc_lo, 32, v0
	s_mov_b32 s12, exec_lo
	s_waitcnt lgkmcnt(0)
	s_barrier
	buffer_gl0_inv
                                        ; implicit-def: $vgpr27
	v_cmpx_lt_u32_e32 31, v0
	s_cbranch_execz .LBB1691_374
; %bb.373:
	v_lshl_add_u32 v18, v43, 2, -4
	ds_load_b32 v27, v18
	s_waitcnt lgkmcnt(0)
	v_add_nc_u32_e32 v17, v27, v17
.LBB1691_374:
	s_or_b32 exec_lo, exec_lo, s12
	v_add_nc_u32_e32 v18, -1, v42
	s_delay_alu instid0(VALU_DEP_1) | instskip(NEXT) | instid1(VALU_DEP_1)
	v_cmp_gt_i32_e64 s7, 0, v18
	v_cndmask_b32_e64 v18, v18, v42, s7
	v_cmp_eq_u32_e64 s7, 0, v42
	s_delay_alu instid0(VALU_DEP_2)
	v_lshlrev_b32_e32 v18, 2, v18
	ds_bpermute_b32 v29, v18, v17
	s_and_saveexec_b32 s12, vcc_lo
	s_cbranch_execz .LBB1691_392
; %bb.375:
	v_mov_b32_e32 v23, 0
	ds_load_b32 v17, v23 offset:60
	s_and_saveexec_b32 s14, s7
	s_cbranch_execz .LBB1691_377
; %bb.376:
	s_add_i32 s16, s23, 32
	s_mov_b32 s17, 0
	v_mov_b32_e32 v18, 1
	s_lshl_b64 s[16:17], s[16:17], 3
	s_delay_alu instid0(SALU_CYCLE_1)
	s_add_u32 s16, s18, s16
	s_addc_u32 s17, s19, s17
	s_waitcnt lgkmcnt(0)
	global_store_b64 v23, v[17:18], s[16:17]
.LBB1691_377:
	s_or_b32 exec_lo, exec_lo, s14
	v_xad_u32 v21, v42, -1, s23
	s_mov_b32 s15, 0
	s_mov_b32 s14, exec_lo
	s_delay_alu instid0(VALU_DEP_1) | instskip(NEXT) | instid1(VALU_DEP_1)
	v_add_nc_u32_e32 v22, 32, v21
	v_lshlrev_b64 v[22:23], 3, v[22:23]
	s_delay_alu instid0(VALU_DEP_1) | instskip(NEXT) | instid1(VALU_DEP_2)
	v_add_co_u32 v25, vcc_lo, s18, v22
	v_add_co_ci_u32_e32 v26, vcc_lo, s19, v23, vcc_lo
	global_load_b64 v[23:24], v[25:26], off glc
	s_waitcnt vmcnt(0)
	v_and_b32_e32 v18, 0xff, v24
	s_delay_alu instid0(VALU_DEP_1)
	v_cmpx_eq_u16_e32 0, v18
	s_cbranch_execz .LBB1691_380
.LBB1691_378:                           ; =>This Inner Loop Header: Depth=1
	global_load_b64 v[23:24], v[25:26], off glc
	s_waitcnt vmcnt(0)
	v_and_b32_e32 v18, 0xff, v24
	s_delay_alu instid0(VALU_DEP_1) | instskip(SKIP_1) | instid1(SALU_CYCLE_1)
	v_cmp_ne_u16_e32 vcc_lo, 0, v18
	s_or_b32 s15, vcc_lo, s15
	s_and_not1_b32 exec_lo, exec_lo, s15
	s_cbranch_execnz .LBB1691_378
; %bb.379:
	s_or_b32 exec_lo, exec_lo, s15
.LBB1691_380:
	s_delay_alu instid0(SALU_CYCLE_1)
	s_or_b32 exec_lo, exec_lo, s14
	v_cmp_ne_u32_e32 vcc_lo, 31, v42
	v_and_b32_e32 v22, 0xff, v24
	v_lshlrev_b32_e64 v31, v42, -1
	v_add_nc_u32_e32 v35, 2, v42
	v_add_nc_u32_e32 v45, 4, v42
	v_add_co_ci_u32_e32 v18, vcc_lo, 0, v42, vcc_lo
	v_cmp_eq_u16_e32 vcc_lo, 2, v22
	v_add_nc_u32_e32 v48, 8, v42
	v_add_nc_u32_e32 v50, 16, v42
	v_and_or_b32 v22, vcc_lo, v31, 0x80000000
	v_cmp_gt_u32_e32 vcc_lo, 30, v42
	s_delay_alu instid0(VALU_DEP_2) | instskip(SKIP_1) | instid1(VALU_DEP_2)
	v_ctz_i32_b32_e32 v22, v22
	v_cndmask_b32_e64 v26, 0, 1, vcc_lo
	v_cmp_lt_u32_e32 vcc_lo, v42, v22
	v_lshlrev_b32_e32 v18, 2, v18
	s_delay_alu instid0(VALU_DEP_3)
	v_lshlrev_b32_e32 v26, 1, v26
	ds_bpermute_b32 v25, v18, v23
	v_add_lshl_u32 v33, v26, v42, 2
	s_waitcnt lgkmcnt(0)
	v_cndmask_b32_e32 v25, 0, v25, vcc_lo
	v_cmp_gt_u32_e32 vcc_lo, 28, v42
	s_delay_alu instid0(VALU_DEP_2) | instskip(SKIP_4) | instid1(VALU_DEP_1)
	v_add_nc_u32_e32 v23, v25, v23
	v_cndmask_b32_e64 v26, 0, 1, vcc_lo
	v_cmp_le_u32_e32 vcc_lo, v35, v22
	ds_bpermute_b32 v25, v33, v23
	v_lshlrev_b32_e32 v26, 2, v26
	v_add_lshl_u32 v37, v26, v42, 2
	s_waitcnt lgkmcnt(0)
	v_cndmask_b32_e32 v25, 0, v25, vcc_lo
	v_cmp_gt_u32_e32 vcc_lo, 24, v42
	s_delay_alu instid0(VALU_DEP_2) | instskip(SKIP_4) | instid1(VALU_DEP_1)
	v_add_nc_u32_e32 v23, v23, v25
	v_cndmask_b32_e64 v26, 0, 1, vcc_lo
	v_cmp_le_u32_e32 vcc_lo, v45, v22
	ds_bpermute_b32 v25, v37, v23
	v_lshlrev_b32_e32 v26, 3, v26
	;; [unrolled: 10-line block ×3, first 2 shown]
	v_add_lshl_u32 v49, v26, v42, 2
	s_waitcnt lgkmcnt(0)
	v_cndmask_b32_e32 v25, 0, v25, vcc_lo
	v_cmp_le_u32_e32 vcc_lo, v50, v22
	s_delay_alu instid0(VALU_DEP_2) | instskip(SKIP_3) | instid1(VALU_DEP_1)
	v_add_nc_u32_e32 v23, v23, v25
	ds_bpermute_b32 v25, v49, v23
	s_waitcnt lgkmcnt(0)
	v_cndmask_b32_e32 v22, 0, v25, vcc_lo
	v_dual_mov_b32 v22, 0 :: v_dual_add_nc_u32 v23, v23, v22
	s_branch .LBB1691_382
.LBB1691_381:                           ;   in Loop: Header=BB1691_382 Depth=1
	s_or_b32 exec_lo, exec_lo, s14
	ds_bpermute_b32 v26, v18, v23
	v_and_b32_e32 v25, 0xff, v24
	v_subrev_nc_u32_e32 v21, 32, v21
	s_delay_alu instid0(VALU_DEP_2) | instskip(SKIP_1) | instid1(VALU_DEP_1)
	v_cmp_eq_u16_e32 vcc_lo, 2, v25
	v_and_or_b32 v25, vcc_lo, v31, 0x80000000
	v_ctz_i32_b32_e32 v25, v25
	s_delay_alu instid0(VALU_DEP_1) | instskip(SKIP_3) | instid1(VALU_DEP_2)
	v_cmp_lt_u32_e32 vcc_lo, v42, v25
	s_waitcnt lgkmcnt(0)
	v_cndmask_b32_e32 v26, 0, v26, vcc_lo
	v_cmp_le_u32_e32 vcc_lo, v35, v25
	v_add_nc_u32_e32 v23, v26, v23
	ds_bpermute_b32 v26, v33, v23
	s_waitcnt lgkmcnt(0)
	v_cndmask_b32_e32 v26, 0, v26, vcc_lo
	v_cmp_le_u32_e32 vcc_lo, v45, v25
	s_delay_alu instid0(VALU_DEP_2) | instskip(SKIP_4) | instid1(VALU_DEP_2)
	v_add_nc_u32_e32 v23, v23, v26
	ds_bpermute_b32 v26, v37, v23
	s_waitcnt lgkmcnt(0)
	v_cndmask_b32_e32 v26, 0, v26, vcc_lo
	v_cmp_le_u32_e32 vcc_lo, v48, v25
	v_add_nc_u32_e32 v23, v23, v26
	ds_bpermute_b32 v26, v47, v23
	s_waitcnt lgkmcnt(0)
	v_cndmask_b32_e32 v26, 0, v26, vcc_lo
	v_cmp_le_u32_e32 vcc_lo, v50, v25
	s_delay_alu instid0(VALU_DEP_2) | instskip(SKIP_3) | instid1(VALU_DEP_1)
	v_add_nc_u32_e32 v23, v23, v26
	ds_bpermute_b32 v26, v49, v23
	s_waitcnt lgkmcnt(0)
	v_cndmask_b32_e32 v25, 0, v26, vcc_lo
	v_add3_u32 v23, v25, v46, v23
.LBB1691_382:                           ; =>This Loop Header: Depth=1
                                        ;     Child Loop BB1691_385 Depth 2
	v_and_b32_e32 v24, 0xff, v24
	s_delay_alu instid0(VALU_DEP_2) | instskip(NEXT) | instid1(VALU_DEP_2)
	v_mov_b32_e32 v46, v23
	v_cmp_ne_u16_e32 vcc_lo, 2, v24
	v_cndmask_b32_e64 v24, 0, 1, vcc_lo
	;;#ASMSTART
	;;#ASMEND
	s_delay_alu instid0(VALU_DEP_1)
	v_cmp_ne_u32_e32 vcc_lo, 0, v24
	s_cmp_lg_u32 vcc_lo, exec_lo
	s_cbranch_scc1 .LBB1691_387
; %bb.383:                              ;   in Loop: Header=BB1691_382 Depth=1
	v_lshlrev_b64 v[23:24], 3, v[21:22]
	s_mov_b32 s14, exec_lo
	s_delay_alu instid0(VALU_DEP_1) | instskip(NEXT) | instid1(VALU_DEP_2)
	v_add_co_u32 v25, vcc_lo, s18, v23
	v_add_co_ci_u32_e32 v26, vcc_lo, s19, v24, vcc_lo
	global_load_b64 v[23:24], v[25:26], off glc
	s_waitcnt vmcnt(0)
	v_and_b32_e32 v51, 0xff, v24
	s_delay_alu instid0(VALU_DEP_1)
	v_cmpx_eq_u16_e32 0, v51
	s_cbranch_execz .LBB1691_381
; %bb.384:                              ;   in Loop: Header=BB1691_382 Depth=1
	s_mov_b32 s15, 0
.LBB1691_385:                           ;   Parent Loop BB1691_382 Depth=1
                                        ; =>  This Inner Loop Header: Depth=2
	global_load_b64 v[23:24], v[25:26], off glc
	s_waitcnt vmcnt(0)
	v_and_b32_e32 v51, 0xff, v24
	s_delay_alu instid0(VALU_DEP_1) | instskip(SKIP_1) | instid1(SALU_CYCLE_1)
	v_cmp_ne_u16_e32 vcc_lo, 0, v51
	s_or_b32 s15, vcc_lo, s15
	s_and_not1_b32 exec_lo, exec_lo, s15
	s_cbranch_execnz .LBB1691_385
; %bb.386:                              ;   in Loop: Header=BB1691_382 Depth=1
	s_or_b32 exec_lo, exec_lo, s15
	s_branch .LBB1691_381
.LBB1691_387:                           ;   in Loop: Header=BB1691_382 Depth=1
                                        ; implicit-def: $vgpr23
                                        ; implicit-def: $vgpr24
	s_cbranch_execz .LBB1691_382
; %bb.388:
	s_and_saveexec_b32 s14, s7
	s_cbranch_execz .LBB1691_390
; %bb.389:
	s_add_i32 s16, s23, 32
	s_mov_b32 s17, 0
	v_dual_mov_b32 v22, 2 :: v_dual_add_nc_u32 v21, v46, v17
	s_lshl_b64 s[16:17], s[16:17], 3
	v_mov_b32_e32 v18, 0
	v_add_nc_u32_e64 v23, 0x8400, 0
	s_add_u32 s16, s18, s16
	s_addc_u32 s17, s19, s17
	global_store_b64 v18, v[21:22], s[16:17]
	ds_store_2addr_b32 v23, v17, v46 offset1:2
.LBB1691_390:
	s_or_b32 exec_lo, exec_lo, s14
	s_delay_alu instid0(SALU_CYCLE_1)
	s_and_b32 exec_lo, exec_lo, s2
	s_cbranch_execz .LBB1691_392
; %bb.391:
	v_mov_b32_e32 v17, 0
	ds_store_b32 v17, v46 offset:60
.LBB1691_392:
	s_or_b32 exec_lo, exec_lo, s12
	v_mov_b32_e32 v17, 0
	s_waitcnt lgkmcnt(0)
	s_waitcnt_vscnt null, 0x0
	s_barrier
	buffer_gl0_inv
	v_cndmask_b32_e64 v18, v29, v27, s7
	ds_load_b32 v17, v17 offset:60
	s_waitcnt lgkmcnt(0)
	s_barrier
	buffer_gl0_inv
	v_cndmask_b32_e64 v18, v18, 0, s2
	s_delay_alu instid0(VALU_DEP_1) | instskip(SKIP_1) | instid1(VALU_DEP_2)
	v_add_nc_u32_e32 v37, v17, v18
	v_add_nc_u32_e64 v17, 0x8400, 0
	v_add_nc_u32_e32 v35, v37, v28
	ds_load_2addr_b32 v[17:18], v17 offset1:2
	v_add_nc_u32_e32 v33, v35, v30
	s_delay_alu instid0(VALU_DEP_1) | instskip(NEXT) | instid1(VALU_DEP_1)
	v_add_nc_u32_e32 v31, v33, v32
	v_add_nc_u32_e32 v29, v31, v34
	s_delay_alu instid0(VALU_DEP_1) | instskip(NEXT) | instid1(VALU_DEP_1)
	v_add_nc_u32_e32 v27, v29, v36
	v_add_nc_u32_e32 v25, v27, v38
	s_delay_alu instid0(VALU_DEP_1)
	v_add_nc_u32_e32 v23, v25, v41
	v_lshrrev_b64 v[21:22], 24, v[19:20]
	s_branch .LBB1691_403
.LBB1691_393:
                                        ; implicit-def: $vgpr23
                                        ; implicit-def: $vgpr25
                                        ; implicit-def: $vgpr27
                                        ; implicit-def: $vgpr29
                                        ; implicit-def: $vgpr31
                                        ; implicit-def: $vgpr33
                                        ; implicit-def: $vgpr35
                                        ; implicit-def: $vgpr37
                                        ; implicit-def: $vgpr18
	v_lshrrev_b64 v[21:22], 24, v[19:20]
	s_and_b32 vcc_lo, exec_lo, s7
	s_cbranch_vccz .LBB1691_403
; %bb.394:
	s_waitcnt lgkmcnt(0)
	v_mov_b32_dpp v17, v44 row_shr:1 row_mask:0xf bank_mask:0xf
	s_delay_alu instid0(VALU_DEP_1) | instskip(NEXT) | instid1(VALU_DEP_1)
	v_cndmask_b32_e64 v17, v17, 0, s3
	v_add_nc_u32_e32 v17, v17, v44
	s_delay_alu instid0(VALU_DEP_1) | instskip(NEXT) | instid1(VALU_DEP_1)
	v_mov_b32_dpp v18, v17 row_shr:2 row_mask:0xf bank_mask:0xf
	v_cndmask_b32_e64 v18, 0, v18, s0
	s_delay_alu instid0(VALU_DEP_1) | instskip(NEXT) | instid1(VALU_DEP_1)
	v_add_nc_u32_e32 v17, v17, v18
	v_mov_b32_dpp v18, v17 row_shr:4 row_mask:0xf bank_mask:0xf
	s_delay_alu instid0(VALU_DEP_1) | instskip(NEXT) | instid1(VALU_DEP_1)
	v_cndmask_b32_e64 v18, 0, v18, s4
	v_add_nc_u32_e32 v17, v17, v18
	s_delay_alu instid0(VALU_DEP_1) | instskip(NEXT) | instid1(VALU_DEP_1)
	v_mov_b32_dpp v18, v17 row_shr:8 row_mask:0xf bank_mask:0xf
	v_cndmask_b32_e64 v18, 0, v18, s1
	s_delay_alu instid0(VALU_DEP_1) | instskip(SKIP_3) | instid1(VALU_DEP_1)
	v_add_nc_u32_e32 v17, v17, v18
	ds_swizzle_b32 v18, v17 offset:swizzle(BROADCAST,32,15)
	s_waitcnt lgkmcnt(0)
	v_cndmask_b32_e64 v18, v18, 0, s6
	v_add_nc_u32_e32 v17, v17, v18
	s_and_saveexec_b32 s6, s5
	s_cbranch_execz .LBB1691_396
; %bb.395:
	v_lshlrev_b32_e32 v18, 2, v43
	ds_store_b32 v18, v17
.LBB1691_396:
	s_or_b32 exec_lo, exec_lo, s6
	s_delay_alu instid0(SALU_CYCLE_1)
	s_mov_b32 s5, exec_lo
	s_waitcnt lgkmcnt(0)
	s_barrier
	buffer_gl0_inv
	v_cmpx_gt_u32_e32 16, v0
	s_cbranch_execz .LBB1691_398
; %bb.397:
	v_lshlrev_b32_e32 v18, 2, v0
	ds_load_b32 v22, v18
	s_waitcnt lgkmcnt(0)
	v_mov_b32_dpp v23, v22 row_shr:1 row_mask:0xf bank_mask:0xf
	s_delay_alu instid0(VALU_DEP_1) | instskip(NEXT) | instid1(VALU_DEP_1)
	v_cndmask_b32_e64 v23, v23, 0, s3
	v_add_nc_u32_e32 v22, v23, v22
	s_delay_alu instid0(VALU_DEP_1) | instskip(NEXT) | instid1(VALU_DEP_1)
	v_mov_b32_dpp v23, v22 row_shr:2 row_mask:0xf bank_mask:0xf
	v_cndmask_b32_e64 v23, 0, v23, s0
	s_delay_alu instid0(VALU_DEP_1) | instskip(NEXT) | instid1(VALU_DEP_1)
	v_add_nc_u32_e32 v22, v22, v23
	v_mov_b32_dpp v23, v22 row_shr:4 row_mask:0xf bank_mask:0xf
	s_delay_alu instid0(VALU_DEP_1) | instskip(NEXT) | instid1(VALU_DEP_1)
	v_cndmask_b32_e64 v23, 0, v23, s4
	v_add_nc_u32_e32 v22, v22, v23
	s_delay_alu instid0(VALU_DEP_1) | instskip(NEXT) | instid1(VALU_DEP_1)
	v_mov_b32_dpp v23, v22 row_shr:8 row_mask:0xf bank_mask:0xf
	v_cndmask_b32_e64 v23, 0, v23, s1
	s_delay_alu instid0(VALU_DEP_1)
	v_add_nc_u32_e32 v22, v22, v23
	ds_store_b32 v18, v22
.LBB1691_398:
	s_or_b32 exec_lo, exec_lo, s5
	v_mov_b32_e32 v18, 0
	v_mov_b32_e32 v22, 0
	s_mov_b32 s0, exec_lo
	s_waitcnt lgkmcnt(0)
	s_barrier
	buffer_gl0_inv
	v_cmpx_lt_u32_e32 31, v0
	s_cbranch_execz .LBB1691_400
; %bb.399:
	v_lshl_add_u32 v22, v43, 2, -4
	ds_load_b32 v22, v22
.LBB1691_400:
	s_or_b32 exec_lo, exec_lo, s0
	v_add_nc_u32_e32 v23, -1, v42
	s_waitcnt lgkmcnt(0)
	v_add_nc_u32_e32 v17, v22, v17
	s_delay_alu instid0(VALU_DEP_2) | instskip(SKIP_1) | instid1(VALU_DEP_1)
	v_cmp_gt_i32_e32 vcc_lo, 0, v23
	v_cndmask_b32_e32 v23, v23, v42, vcc_lo
	v_lshlrev_b32_e32 v23, 2, v23
	ds_bpermute_b32 v23, v23, v17
	ds_load_b32 v17, v18 offset:60
	s_and_saveexec_b32 s0, s2
	s_cbranch_execz .LBB1691_402
; %bb.401:
	v_mov_b32_e32 v24, 0
	v_mov_b32_e32 v18, 2
	s_waitcnt lgkmcnt(0)
	global_store_b64 v24, v[17:18], s[18:19] offset:256
.LBB1691_402:
	s_or_b32 exec_lo, exec_lo, s0
	v_cmp_eq_u32_e32 vcc_lo, 0, v42
	s_waitcnt lgkmcnt(0)
	s_waitcnt_vscnt null, 0x0
	s_barrier
	buffer_gl0_inv
	v_cndmask_b32_e32 v18, v23, v22, vcc_lo
	s_delay_alu instid0(VALU_DEP_1) | instskip(NEXT) | instid1(VALU_DEP_1)
	v_cndmask_b32_e64 v37, v18, 0, s2
	v_dual_mov_b32 v18, 0 :: v_dual_add_nc_u32 v35, v37, v28
	s_delay_alu instid0(VALU_DEP_1) | instskip(NEXT) | instid1(VALU_DEP_1)
	v_add_nc_u32_e32 v33, v35, v30
	v_add_nc_u32_e32 v31, v33, v32
	s_delay_alu instid0(VALU_DEP_1) | instskip(NEXT) | instid1(VALU_DEP_1)
	v_add_nc_u32_e32 v29, v31, v34
	v_add_nc_u32_e32 v27, v29, v36
	;; [unrolled: 3-line block ×3, first 2 shown]
.LBB1691_403:
	s_waitcnt lgkmcnt(0)
	v_cmp_gt_u32_e32 vcc_lo, 0x201, v17
	v_lshrrev_b32_e32 v43, 8, v19
	v_lshrrev_b32_e32 v42, 16, v19
	;; [unrolled: 1-line block ×4, first 2 shown]
	s_mov_b32 s0, -1
	s_cbranch_vccnz .LBB1691_407
; %bb.404:
	s_and_b32 vcc_lo, exec_lo, s0
	s_cbranch_vccnz .LBB1691_432
.LBB1691_405:
	s_and_b32 s0, s2, s13
	s_delay_alu instid0(SALU_CYCLE_1)
	s_and_saveexec_b32 s1, s0
	s_cbranch_execnz .LBB1691_452
.LBB1691_406:
	s_nop 0
	s_sendmsg sendmsg(MSG_DEALLOC_VGPRS)
	s_endpgm
.LBB1691_407:
	v_add_nc_u32_e32 v24, v18, v17
	s_delay_alu instid0(VALU_DEP_1) | instskip(SKIP_1) | instid1(SALU_CYCLE_1)
	v_cmp_lt_u32_e32 vcc_lo, v37, v24
	s_or_b32 s1, s22, vcc_lo
	s_and_saveexec_b32 s0, s1
	s_cbranch_execz .LBB1691_410
; %bb.408:
	v_and_b32_e32 v26, 1, v19
	s_delay_alu instid0(VALU_DEP_1)
	v_cmp_eq_u32_e32 vcc_lo, 1, v26
	s_and_b32 exec_lo, exec_lo, vcc_lo
	s_cbranch_execz .LBB1691_410
; %bb.409:
	v_mov_b32_e32 v38, 0
	s_lshl_b64 s[4:5], s[10:11], 3
	s_delay_alu instid0(SALU_CYCLE_1) | instskip(SKIP_1) | instid1(VALU_DEP_1)
	s_add_u32 s1, s20, s4
	s_addc_u32 s3, s21, s5
	v_lshlrev_b64 v[44:45], 3, v[37:38]
	s_delay_alu instid0(VALU_DEP_1) | instskip(NEXT) | instid1(VALU_DEP_2)
	v_add_co_u32 v44, vcc_lo, s1, v44
	v_add_co_ci_u32_e32 v45, vcc_lo, s3, v45, vcc_lo
	global_store_b64 v[44:45], v[13:14], off
.LBB1691_410:
	s_or_b32 exec_lo, exec_lo, s0
	v_cmp_lt_u32_e32 vcc_lo, v35, v24
	s_or_b32 s1, s22, vcc_lo
	s_delay_alu instid0(SALU_CYCLE_1)
	s_and_saveexec_b32 s0, s1
	s_cbranch_execz .LBB1691_413
; %bb.411:
	v_and_b32_e32 v26, 1, v43
	s_delay_alu instid0(VALU_DEP_1)
	v_cmp_eq_u32_e32 vcc_lo, 1, v26
	s_and_b32 exec_lo, exec_lo, vcc_lo
	s_cbranch_execz .LBB1691_413
; %bb.412:
	v_mov_b32_e32 v36, 0
	s_lshl_b64 s[4:5], s[10:11], 3
	s_delay_alu instid0(SALU_CYCLE_1) | instskip(SKIP_1) | instid1(VALU_DEP_1)
	s_add_u32 s1, s20, s4
	s_addc_u32 s3, s21, s5
	v_lshlrev_b64 v[44:45], 3, v[35:36]
	s_delay_alu instid0(VALU_DEP_1) | instskip(NEXT) | instid1(VALU_DEP_2)
	v_add_co_u32 v44, vcc_lo, s1, v44
	v_add_co_ci_u32_e32 v45, vcc_lo, s3, v45, vcc_lo
	global_store_b64 v[44:45], v[15:16], off
.LBB1691_413:
	s_or_b32 exec_lo, exec_lo, s0
	v_cmp_lt_u32_e32 vcc_lo, v33, v24
	s_or_b32 s1, s22, vcc_lo
	s_delay_alu instid0(SALU_CYCLE_1)
	;; [unrolled: 24-line block ×7, first 2 shown]
	s_and_saveexec_b32 s0, s1
	s_cbranch_execz .LBB1691_431
; %bb.429:
	v_and_b32_e32 v24, 1, v40
	s_delay_alu instid0(VALU_DEP_1)
	v_cmp_eq_u32_e32 vcc_lo, 1, v24
	s_and_b32 exec_lo, exec_lo, vcc_lo
	s_cbranch_execz .LBB1691_431
; %bb.430:
	v_mov_b32_e32 v24, 0
	s_lshl_b64 s[4:5], s[10:11], 3
	s_delay_alu instid0(SALU_CYCLE_1) | instskip(SKIP_1) | instid1(VALU_DEP_1)
	s_add_u32 s1, s20, s4
	s_addc_u32 s3, s21, s5
	v_lshlrev_b64 v[44:45], 3, v[23:24]
	s_delay_alu instid0(VALU_DEP_1) | instskip(NEXT) | instid1(VALU_DEP_2)
	v_add_co_u32 v44, vcc_lo, s1, v44
	v_add_co_ci_u32_e32 v45, vcc_lo, s3, v45, vcc_lo
	global_store_b64 v[44:45], v[3:4], off
.LBB1691_431:
	s_or_b32 exec_lo, exec_lo, s0
	s_branch .LBB1691_405
.LBB1691_432:
	v_and_b32_e32 v19, 1, v19
	s_mov_b32 s0, exec_lo
	s_delay_alu instid0(VALU_DEP_1)
	v_cmpx_eq_u32_e32 1, v19
	s_cbranch_execz .LBB1691_434
; %bb.433:
	v_sub_nc_u32_e32 v19, v37, v18
	s_delay_alu instid0(VALU_DEP_1)
	v_lshlrev_b32_e32 v19, 3, v19
	ds_store_b64 v19, v[13:14]
.LBB1691_434:
	s_or_b32 exec_lo, exec_lo, s0
	v_and_b32_e32 v13, 1, v43
	s_mov_b32 s0, exec_lo
	s_delay_alu instid0(VALU_DEP_1)
	v_cmpx_eq_u32_e32 1, v13
	s_cbranch_execz .LBB1691_436
; %bb.435:
	v_sub_nc_u32_e32 v13, v35, v18
	s_delay_alu instid0(VALU_DEP_1)
	v_lshlrev_b32_e32 v13, 3, v13
	ds_store_b64 v13, v[15:16]
.LBB1691_436:
	s_or_b32 exec_lo, exec_lo, s0
	v_and_b32_e32 v13, 1, v42
	s_mov_b32 s0, exec_lo
	s_delay_alu instid0(VALU_DEP_1)
	v_cmpx_eq_u32_e32 1, v13
	s_cbranch_execz .LBB1691_438
; %bb.437:
	v_sub_nc_u32_e32 v13, v33, v18
	s_delay_alu instid0(VALU_DEP_1)
	v_lshlrev_b32_e32 v13, 3, v13
	ds_store_b64 v13, v[9:10]
.LBB1691_438:
	s_or_b32 exec_lo, exec_lo, s0
	v_and_b32_e32 v9, 1, v21
	s_mov_b32 s0, exec_lo
	s_delay_alu instid0(VALU_DEP_1)
	v_cmpx_eq_u32_e32 1, v9
	s_cbranch_execz .LBB1691_440
; %bb.439:
	v_sub_nc_u32_e32 v9, v31, v18
	s_delay_alu instid0(VALU_DEP_1)
	v_lshlrev_b32_e32 v9, 3, v9
	ds_store_b64 v9, v[11:12]
.LBB1691_440:
	s_or_b32 exec_lo, exec_lo, s0
	v_and_b32_e32 v9, 1, v20
	s_mov_b32 s0, exec_lo
	s_delay_alu instid0(VALU_DEP_1)
	v_cmpx_eq_u32_e32 1, v9
	s_cbranch_execz .LBB1691_442
; %bb.441:
	v_sub_nc_u32_e32 v9, v29, v18
	s_delay_alu instid0(VALU_DEP_1)
	v_lshlrev_b32_e32 v9, 3, v9
	ds_store_b64 v9, v[5:6]
.LBB1691_442:
	s_or_b32 exec_lo, exec_lo, s0
	v_and_b32_e32 v5, 1, v41
	s_mov_b32 s0, exec_lo
	s_delay_alu instid0(VALU_DEP_1)
	v_cmpx_eq_u32_e32 1, v5
	s_cbranch_execz .LBB1691_444
; %bb.443:
	v_sub_nc_u32_e32 v5, v27, v18
	s_delay_alu instid0(VALU_DEP_1)
	v_lshlrev_b32_e32 v5, 3, v5
	ds_store_b64 v5, v[7:8]
.LBB1691_444:
	s_or_b32 exec_lo, exec_lo, s0
	v_and_b32_e32 v5, 1, v22
	s_mov_b32 s0, exec_lo
	s_delay_alu instid0(VALU_DEP_1)
	v_cmpx_eq_u32_e32 1, v5
	s_cbranch_execz .LBB1691_446
; %bb.445:
	v_sub_nc_u32_e32 v5, v25, v18
	s_delay_alu instid0(VALU_DEP_1)
	v_lshlrev_b32_e32 v5, 3, v5
	ds_store_b64 v5, v[1:2]
.LBB1691_446:
	s_or_b32 exec_lo, exec_lo, s0
	v_and_b32_e32 v1, 1, v40
	s_mov_b32 s0, exec_lo
	s_delay_alu instid0(VALU_DEP_1)
	v_cmpx_eq_u32_e32 1, v1
	s_cbranch_execz .LBB1691_448
; %bb.447:
	v_sub_nc_u32_e32 v1, v23, v18
	s_delay_alu instid0(VALU_DEP_1)
	v_lshlrev_b32_e32 v1, 3, v1
	ds_store_b64 v1, v[3:4]
.LBB1691_448:
	s_or_b32 exec_lo, exec_lo, s0
	s_delay_alu instid0(SALU_CYCLE_1)
	s_mov_b32 s1, exec_lo
	s_waitcnt lgkmcnt(0)
	s_waitcnt_vscnt null, 0x0
	s_barrier
	buffer_gl0_inv
	v_cmpx_lt_u32_e64 v0, v17
	s_cbranch_execz .LBB1691_451
; %bb.449:
	v_dual_mov_b32 v2, 0 :: v_dual_mov_b32 v1, v18
	s_lshl_b64 s[4:5], s[10:11], 3
	s_mov_b32 s3, 0
	s_delay_alu instid0(VALU_DEP_1) | instskip(NEXT) | instid1(VALU_DEP_1)
	v_lshlrev_b64 v[1:2], 3, v[1:2]
	v_add_co_u32 v1, vcc_lo, s4, v1
	s_delay_alu instid0(VALU_DEP_2) | instskip(NEXT) | instid1(VALU_DEP_2)
	v_add_co_ci_u32_e32 v2, vcc_lo, s5, v2, vcc_lo
	v_add_co_u32 v1, vcc_lo, s20, v1
	s_delay_alu instid0(VALU_DEP_2) | instskip(NEXT) | instid1(VALU_DEP_2)
	v_add_co_ci_u32_e32 v2, vcc_lo, s21, v2, vcc_lo
	v_add_co_u32 v1, vcc_lo, v1, v39
	s_delay_alu instid0(VALU_DEP_2)
	v_add_co_ci_u32_e32 v2, vcc_lo, 0, v2, vcc_lo
	.p2align	6
.LBB1691_450:                           ; =>This Inner Loop Header: Depth=1
	ds_load_b64 v[3:4], v39
	v_add_nc_u32_e32 v0, 0x200, v0
	v_add_nc_u32_e32 v39, 0x1000, v39
	s_delay_alu instid0(VALU_DEP_2) | instskip(SKIP_4) | instid1(VALU_DEP_1)
	v_cmp_ge_u32_e32 vcc_lo, v0, v17
	s_or_b32 s3, vcc_lo, s3
	s_waitcnt lgkmcnt(0)
	global_store_b64 v[1:2], v[3:4], off
	v_add_co_u32 v1, s0, 0x1000, v1
	v_add_co_ci_u32_e64 v2, s0, 0, v2, s0
	s_and_not1_b32 exec_lo, exec_lo, s3
	s_cbranch_execnz .LBB1691_450
.LBB1691_451:
	s_or_b32 exec_lo, exec_lo, s1
	s_and_b32 s0, s2, s13
	s_delay_alu instid0(SALU_CYCLE_1)
	s_and_saveexec_b32 s1, s0
	s_cbranch_execz .LBB1691_406
.LBB1691_452:
	v_add_co_u32 v0, s0, s10, v17
	s_delay_alu instid0(VALU_DEP_1) | instskip(SKIP_1) | instid1(VALU_DEP_3)
	v_add_co_ci_u32_e64 v1, null, s11, 0, s0
	v_mov_b32_e32 v2, 0
	v_add_co_u32 v0, vcc_lo, v0, v18
	s_delay_alu instid0(VALU_DEP_3)
	v_add_co_ci_u32_e32 v1, vcc_lo, 0, v1, vcc_lo
	global_store_b64 v2, v[0:1], s[8:9]
	s_nop 0
	s_sendmsg sendmsg(MSG_DEALLOC_VGPRS)
	s_endpgm
	.section	.rodata,"a",@progbits
	.p2align	6, 0x0
	.amdhsa_kernel _ZN7rocprim17ROCPRIM_400000_NS6detail17trampoline_kernelINS0_14default_configENS1_25partition_config_selectorILNS1_17partition_subalgoE8ElNS0_10empty_typeEbEEZZNS1_14partition_implILS5_8ELb0ES3_jPlPS6_PKS6_NS0_5tupleIJS9_S6_EEENSD_IJSA_SA_EEENS0_18inequality_wrapperIZN2at6native12_GLOBAL__N_124unique_dim_cuda_templateImEESt5tupleIJNSH_6TensorESM_SM_EERKSM_lbbbEUlllE0_EEPmJS6_EEE10hipError_tPvRmT3_T4_T5_T6_T7_T9_mT8_P12ihipStream_tbDpT10_ENKUlT_T0_E_clISt17integral_constantIbLb0EES1B_IbLb1EEEEDaS17_S18_EUlS17_E_NS1_11comp_targetILNS1_3genE9ELNS1_11target_archE1100ELNS1_3gpuE3ELNS1_3repE0EEENS1_30default_config_static_selectorELNS0_4arch9wavefront6targetE0EEEvT1_
		.amdhsa_group_segment_fixed_size 33804
		.amdhsa_private_segment_fixed_size 0
		.amdhsa_kernarg_size 136
		.amdhsa_user_sgpr_count 15
		.amdhsa_user_sgpr_dispatch_ptr 0
		.amdhsa_user_sgpr_queue_ptr 0
		.amdhsa_user_sgpr_kernarg_segment_ptr 1
		.amdhsa_user_sgpr_dispatch_id 0
		.amdhsa_user_sgpr_private_segment_size 0
		.amdhsa_wavefront_size32 1
		.amdhsa_uses_dynamic_stack 0
		.amdhsa_enable_private_segment 0
		.amdhsa_system_sgpr_workgroup_id_x 1
		.amdhsa_system_sgpr_workgroup_id_y 0
		.amdhsa_system_sgpr_workgroup_id_z 0
		.amdhsa_system_sgpr_workgroup_info 0
		.amdhsa_system_vgpr_workitem_id 0
		.amdhsa_next_free_vgpr 52
		.amdhsa_next_free_sgpr 38
		.amdhsa_reserve_vcc 1
		.amdhsa_float_round_mode_32 0
		.amdhsa_float_round_mode_16_64 0
		.amdhsa_float_denorm_mode_32 3
		.amdhsa_float_denorm_mode_16_64 3
		.amdhsa_dx10_clamp 1
		.amdhsa_ieee_mode 1
		.amdhsa_fp16_overflow 0
		.amdhsa_workgroup_processor_mode 1
		.amdhsa_memory_ordered 1
		.amdhsa_forward_progress 0
		.amdhsa_shared_vgpr_count 0
		.amdhsa_exception_fp_ieee_invalid_op 0
		.amdhsa_exception_fp_denorm_src 0
		.amdhsa_exception_fp_ieee_div_zero 0
		.amdhsa_exception_fp_ieee_overflow 0
		.amdhsa_exception_fp_ieee_underflow 0
		.amdhsa_exception_fp_ieee_inexact 0
		.amdhsa_exception_int_div_zero 0
	.end_amdhsa_kernel
	.section	.text._ZN7rocprim17ROCPRIM_400000_NS6detail17trampoline_kernelINS0_14default_configENS1_25partition_config_selectorILNS1_17partition_subalgoE8ElNS0_10empty_typeEbEEZZNS1_14partition_implILS5_8ELb0ES3_jPlPS6_PKS6_NS0_5tupleIJS9_S6_EEENSD_IJSA_SA_EEENS0_18inequality_wrapperIZN2at6native12_GLOBAL__N_124unique_dim_cuda_templateImEESt5tupleIJNSH_6TensorESM_SM_EERKSM_lbbbEUlllE0_EEPmJS6_EEE10hipError_tPvRmT3_T4_T5_T6_T7_T9_mT8_P12ihipStream_tbDpT10_ENKUlT_T0_E_clISt17integral_constantIbLb0EES1B_IbLb1EEEEDaS17_S18_EUlS17_E_NS1_11comp_targetILNS1_3genE9ELNS1_11target_archE1100ELNS1_3gpuE3ELNS1_3repE0EEENS1_30default_config_static_selectorELNS0_4arch9wavefront6targetE0EEEvT1_,"axG",@progbits,_ZN7rocprim17ROCPRIM_400000_NS6detail17trampoline_kernelINS0_14default_configENS1_25partition_config_selectorILNS1_17partition_subalgoE8ElNS0_10empty_typeEbEEZZNS1_14partition_implILS5_8ELb0ES3_jPlPS6_PKS6_NS0_5tupleIJS9_S6_EEENSD_IJSA_SA_EEENS0_18inequality_wrapperIZN2at6native12_GLOBAL__N_124unique_dim_cuda_templateImEESt5tupleIJNSH_6TensorESM_SM_EERKSM_lbbbEUlllE0_EEPmJS6_EEE10hipError_tPvRmT3_T4_T5_T6_T7_T9_mT8_P12ihipStream_tbDpT10_ENKUlT_T0_E_clISt17integral_constantIbLb0EES1B_IbLb1EEEEDaS17_S18_EUlS17_E_NS1_11comp_targetILNS1_3genE9ELNS1_11target_archE1100ELNS1_3gpuE3ELNS1_3repE0EEENS1_30default_config_static_selectorELNS0_4arch9wavefront6targetE0EEEvT1_,comdat
.Lfunc_end1691:
	.size	_ZN7rocprim17ROCPRIM_400000_NS6detail17trampoline_kernelINS0_14default_configENS1_25partition_config_selectorILNS1_17partition_subalgoE8ElNS0_10empty_typeEbEEZZNS1_14partition_implILS5_8ELb0ES3_jPlPS6_PKS6_NS0_5tupleIJS9_S6_EEENSD_IJSA_SA_EEENS0_18inequality_wrapperIZN2at6native12_GLOBAL__N_124unique_dim_cuda_templateImEESt5tupleIJNSH_6TensorESM_SM_EERKSM_lbbbEUlllE0_EEPmJS6_EEE10hipError_tPvRmT3_T4_T5_T6_T7_T9_mT8_P12ihipStream_tbDpT10_ENKUlT_T0_E_clISt17integral_constantIbLb0EES1B_IbLb1EEEEDaS17_S18_EUlS17_E_NS1_11comp_targetILNS1_3genE9ELNS1_11target_archE1100ELNS1_3gpuE3ELNS1_3repE0EEENS1_30default_config_static_selectorELNS0_4arch9wavefront6targetE0EEEvT1_, .Lfunc_end1691-_ZN7rocprim17ROCPRIM_400000_NS6detail17trampoline_kernelINS0_14default_configENS1_25partition_config_selectorILNS1_17partition_subalgoE8ElNS0_10empty_typeEbEEZZNS1_14partition_implILS5_8ELb0ES3_jPlPS6_PKS6_NS0_5tupleIJS9_S6_EEENSD_IJSA_SA_EEENS0_18inequality_wrapperIZN2at6native12_GLOBAL__N_124unique_dim_cuda_templateImEESt5tupleIJNSH_6TensorESM_SM_EERKSM_lbbbEUlllE0_EEPmJS6_EEE10hipError_tPvRmT3_T4_T5_T6_T7_T9_mT8_P12ihipStream_tbDpT10_ENKUlT_T0_E_clISt17integral_constantIbLb0EES1B_IbLb1EEEEDaS17_S18_EUlS17_E_NS1_11comp_targetILNS1_3genE9ELNS1_11target_archE1100ELNS1_3gpuE3ELNS1_3repE0EEENS1_30default_config_static_selectorELNS0_4arch9wavefront6targetE0EEEvT1_
                                        ; -- End function
	.section	.AMDGPU.csdata,"",@progbits
; Kernel info:
; codeLenInByte = 18420
; NumSgprs: 40
; NumVgprs: 52
; ScratchSize: 0
; MemoryBound: 1
; FloatMode: 240
; IeeeMode: 1
; LDSByteSize: 33804 bytes/workgroup (compile time only)
; SGPRBlocks: 4
; VGPRBlocks: 6
; NumSGPRsForWavesPerEU: 40
; NumVGPRsForWavesPerEU: 52
; Occupancy: 12
; WaveLimiterHint : 1
; COMPUTE_PGM_RSRC2:SCRATCH_EN: 0
; COMPUTE_PGM_RSRC2:USER_SGPR: 15
; COMPUTE_PGM_RSRC2:TRAP_HANDLER: 0
; COMPUTE_PGM_RSRC2:TGID_X_EN: 1
; COMPUTE_PGM_RSRC2:TGID_Y_EN: 0
; COMPUTE_PGM_RSRC2:TGID_Z_EN: 0
; COMPUTE_PGM_RSRC2:TIDIG_COMP_CNT: 0
	.section	.text._ZN7rocprim17ROCPRIM_400000_NS6detail17trampoline_kernelINS0_14default_configENS1_25partition_config_selectorILNS1_17partition_subalgoE8ElNS0_10empty_typeEbEEZZNS1_14partition_implILS5_8ELb0ES3_jPlPS6_PKS6_NS0_5tupleIJS9_S6_EEENSD_IJSA_SA_EEENS0_18inequality_wrapperIZN2at6native12_GLOBAL__N_124unique_dim_cuda_templateImEESt5tupleIJNSH_6TensorESM_SM_EERKSM_lbbbEUlllE0_EEPmJS6_EEE10hipError_tPvRmT3_T4_T5_T6_T7_T9_mT8_P12ihipStream_tbDpT10_ENKUlT_T0_E_clISt17integral_constantIbLb0EES1B_IbLb1EEEEDaS17_S18_EUlS17_E_NS1_11comp_targetILNS1_3genE8ELNS1_11target_archE1030ELNS1_3gpuE2ELNS1_3repE0EEENS1_30default_config_static_selectorELNS0_4arch9wavefront6targetE0EEEvT1_,"axG",@progbits,_ZN7rocprim17ROCPRIM_400000_NS6detail17trampoline_kernelINS0_14default_configENS1_25partition_config_selectorILNS1_17partition_subalgoE8ElNS0_10empty_typeEbEEZZNS1_14partition_implILS5_8ELb0ES3_jPlPS6_PKS6_NS0_5tupleIJS9_S6_EEENSD_IJSA_SA_EEENS0_18inequality_wrapperIZN2at6native12_GLOBAL__N_124unique_dim_cuda_templateImEESt5tupleIJNSH_6TensorESM_SM_EERKSM_lbbbEUlllE0_EEPmJS6_EEE10hipError_tPvRmT3_T4_T5_T6_T7_T9_mT8_P12ihipStream_tbDpT10_ENKUlT_T0_E_clISt17integral_constantIbLb0EES1B_IbLb1EEEEDaS17_S18_EUlS17_E_NS1_11comp_targetILNS1_3genE8ELNS1_11target_archE1030ELNS1_3gpuE2ELNS1_3repE0EEENS1_30default_config_static_selectorELNS0_4arch9wavefront6targetE0EEEvT1_,comdat
	.globl	_ZN7rocprim17ROCPRIM_400000_NS6detail17trampoline_kernelINS0_14default_configENS1_25partition_config_selectorILNS1_17partition_subalgoE8ElNS0_10empty_typeEbEEZZNS1_14partition_implILS5_8ELb0ES3_jPlPS6_PKS6_NS0_5tupleIJS9_S6_EEENSD_IJSA_SA_EEENS0_18inequality_wrapperIZN2at6native12_GLOBAL__N_124unique_dim_cuda_templateImEESt5tupleIJNSH_6TensorESM_SM_EERKSM_lbbbEUlllE0_EEPmJS6_EEE10hipError_tPvRmT3_T4_T5_T6_T7_T9_mT8_P12ihipStream_tbDpT10_ENKUlT_T0_E_clISt17integral_constantIbLb0EES1B_IbLb1EEEEDaS17_S18_EUlS17_E_NS1_11comp_targetILNS1_3genE8ELNS1_11target_archE1030ELNS1_3gpuE2ELNS1_3repE0EEENS1_30default_config_static_selectorELNS0_4arch9wavefront6targetE0EEEvT1_ ; -- Begin function _ZN7rocprim17ROCPRIM_400000_NS6detail17trampoline_kernelINS0_14default_configENS1_25partition_config_selectorILNS1_17partition_subalgoE8ElNS0_10empty_typeEbEEZZNS1_14partition_implILS5_8ELb0ES3_jPlPS6_PKS6_NS0_5tupleIJS9_S6_EEENSD_IJSA_SA_EEENS0_18inequality_wrapperIZN2at6native12_GLOBAL__N_124unique_dim_cuda_templateImEESt5tupleIJNSH_6TensorESM_SM_EERKSM_lbbbEUlllE0_EEPmJS6_EEE10hipError_tPvRmT3_T4_T5_T6_T7_T9_mT8_P12ihipStream_tbDpT10_ENKUlT_T0_E_clISt17integral_constantIbLb0EES1B_IbLb1EEEEDaS17_S18_EUlS17_E_NS1_11comp_targetILNS1_3genE8ELNS1_11target_archE1030ELNS1_3gpuE2ELNS1_3repE0EEENS1_30default_config_static_selectorELNS0_4arch9wavefront6targetE0EEEvT1_
	.p2align	8
	.type	_ZN7rocprim17ROCPRIM_400000_NS6detail17trampoline_kernelINS0_14default_configENS1_25partition_config_selectorILNS1_17partition_subalgoE8ElNS0_10empty_typeEbEEZZNS1_14partition_implILS5_8ELb0ES3_jPlPS6_PKS6_NS0_5tupleIJS9_S6_EEENSD_IJSA_SA_EEENS0_18inequality_wrapperIZN2at6native12_GLOBAL__N_124unique_dim_cuda_templateImEESt5tupleIJNSH_6TensorESM_SM_EERKSM_lbbbEUlllE0_EEPmJS6_EEE10hipError_tPvRmT3_T4_T5_T6_T7_T9_mT8_P12ihipStream_tbDpT10_ENKUlT_T0_E_clISt17integral_constantIbLb0EES1B_IbLb1EEEEDaS17_S18_EUlS17_E_NS1_11comp_targetILNS1_3genE8ELNS1_11target_archE1030ELNS1_3gpuE2ELNS1_3repE0EEENS1_30default_config_static_selectorELNS0_4arch9wavefront6targetE0EEEvT1_,@function
_ZN7rocprim17ROCPRIM_400000_NS6detail17trampoline_kernelINS0_14default_configENS1_25partition_config_selectorILNS1_17partition_subalgoE8ElNS0_10empty_typeEbEEZZNS1_14partition_implILS5_8ELb0ES3_jPlPS6_PKS6_NS0_5tupleIJS9_S6_EEENSD_IJSA_SA_EEENS0_18inequality_wrapperIZN2at6native12_GLOBAL__N_124unique_dim_cuda_templateImEESt5tupleIJNSH_6TensorESM_SM_EERKSM_lbbbEUlllE0_EEPmJS6_EEE10hipError_tPvRmT3_T4_T5_T6_T7_T9_mT8_P12ihipStream_tbDpT10_ENKUlT_T0_E_clISt17integral_constantIbLb0EES1B_IbLb1EEEEDaS17_S18_EUlS17_E_NS1_11comp_targetILNS1_3genE8ELNS1_11target_archE1030ELNS1_3gpuE2ELNS1_3repE0EEENS1_30default_config_static_selectorELNS0_4arch9wavefront6targetE0EEEvT1_: ; @_ZN7rocprim17ROCPRIM_400000_NS6detail17trampoline_kernelINS0_14default_configENS1_25partition_config_selectorILNS1_17partition_subalgoE8ElNS0_10empty_typeEbEEZZNS1_14partition_implILS5_8ELb0ES3_jPlPS6_PKS6_NS0_5tupleIJS9_S6_EEENSD_IJSA_SA_EEENS0_18inequality_wrapperIZN2at6native12_GLOBAL__N_124unique_dim_cuda_templateImEESt5tupleIJNSH_6TensorESM_SM_EERKSM_lbbbEUlllE0_EEPmJS6_EEE10hipError_tPvRmT3_T4_T5_T6_T7_T9_mT8_P12ihipStream_tbDpT10_ENKUlT_T0_E_clISt17integral_constantIbLb0EES1B_IbLb1EEEEDaS17_S18_EUlS17_E_NS1_11comp_targetILNS1_3genE8ELNS1_11target_archE1030ELNS1_3gpuE2ELNS1_3repE0EEENS1_30default_config_static_selectorELNS0_4arch9wavefront6targetE0EEEvT1_
; %bb.0:
	.section	.rodata,"a",@progbits
	.p2align	6, 0x0
	.amdhsa_kernel _ZN7rocprim17ROCPRIM_400000_NS6detail17trampoline_kernelINS0_14default_configENS1_25partition_config_selectorILNS1_17partition_subalgoE8ElNS0_10empty_typeEbEEZZNS1_14partition_implILS5_8ELb0ES3_jPlPS6_PKS6_NS0_5tupleIJS9_S6_EEENSD_IJSA_SA_EEENS0_18inequality_wrapperIZN2at6native12_GLOBAL__N_124unique_dim_cuda_templateImEESt5tupleIJNSH_6TensorESM_SM_EERKSM_lbbbEUlllE0_EEPmJS6_EEE10hipError_tPvRmT3_T4_T5_T6_T7_T9_mT8_P12ihipStream_tbDpT10_ENKUlT_T0_E_clISt17integral_constantIbLb0EES1B_IbLb1EEEEDaS17_S18_EUlS17_E_NS1_11comp_targetILNS1_3genE8ELNS1_11target_archE1030ELNS1_3gpuE2ELNS1_3repE0EEENS1_30default_config_static_selectorELNS0_4arch9wavefront6targetE0EEEvT1_
		.amdhsa_group_segment_fixed_size 0
		.amdhsa_private_segment_fixed_size 0
		.amdhsa_kernarg_size 136
		.amdhsa_user_sgpr_count 15
		.amdhsa_user_sgpr_dispatch_ptr 0
		.amdhsa_user_sgpr_queue_ptr 0
		.amdhsa_user_sgpr_kernarg_segment_ptr 1
		.amdhsa_user_sgpr_dispatch_id 0
		.amdhsa_user_sgpr_private_segment_size 0
		.amdhsa_wavefront_size32 1
		.amdhsa_uses_dynamic_stack 0
		.amdhsa_enable_private_segment 0
		.amdhsa_system_sgpr_workgroup_id_x 1
		.amdhsa_system_sgpr_workgroup_id_y 0
		.amdhsa_system_sgpr_workgroup_id_z 0
		.amdhsa_system_sgpr_workgroup_info 0
		.amdhsa_system_vgpr_workitem_id 0
		.amdhsa_next_free_vgpr 1
		.amdhsa_next_free_sgpr 1
		.amdhsa_reserve_vcc 0
		.amdhsa_float_round_mode_32 0
		.amdhsa_float_round_mode_16_64 0
		.amdhsa_float_denorm_mode_32 3
		.amdhsa_float_denorm_mode_16_64 3
		.amdhsa_dx10_clamp 1
		.amdhsa_ieee_mode 1
		.amdhsa_fp16_overflow 0
		.amdhsa_workgroup_processor_mode 1
		.amdhsa_memory_ordered 1
		.amdhsa_forward_progress 0
		.amdhsa_shared_vgpr_count 0
		.amdhsa_exception_fp_ieee_invalid_op 0
		.amdhsa_exception_fp_denorm_src 0
		.amdhsa_exception_fp_ieee_div_zero 0
		.amdhsa_exception_fp_ieee_overflow 0
		.amdhsa_exception_fp_ieee_underflow 0
		.amdhsa_exception_fp_ieee_inexact 0
		.amdhsa_exception_int_div_zero 0
	.end_amdhsa_kernel
	.section	.text._ZN7rocprim17ROCPRIM_400000_NS6detail17trampoline_kernelINS0_14default_configENS1_25partition_config_selectorILNS1_17partition_subalgoE8ElNS0_10empty_typeEbEEZZNS1_14partition_implILS5_8ELb0ES3_jPlPS6_PKS6_NS0_5tupleIJS9_S6_EEENSD_IJSA_SA_EEENS0_18inequality_wrapperIZN2at6native12_GLOBAL__N_124unique_dim_cuda_templateImEESt5tupleIJNSH_6TensorESM_SM_EERKSM_lbbbEUlllE0_EEPmJS6_EEE10hipError_tPvRmT3_T4_T5_T6_T7_T9_mT8_P12ihipStream_tbDpT10_ENKUlT_T0_E_clISt17integral_constantIbLb0EES1B_IbLb1EEEEDaS17_S18_EUlS17_E_NS1_11comp_targetILNS1_3genE8ELNS1_11target_archE1030ELNS1_3gpuE2ELNS1_3repE0EEENS1_30default_config_static_selectorELNS0_4arch9wavefront6targetE0EEEvT1_,"axG",@progbits,_ZN7rocprim17ROCPRIM_400000_NS6detail17trampoline_kernelINS0_14default_configENS1_25partition_config_selectorILNS1_17partition_subalgoE8ElNS0_10empty_typeEbEEZZNS1_14partition_implILS5_8ELb0ES3_jPlPS6_PKS6_NS0_5tupleIJS9_S6_EEENSD_IJSA_SA_EEENS0_18inequality_wrapperIZN2at6native12_GLOBAL__N_124unique_dim_cuda_templateImEESt5tupleIJNSH_6TensorESM_SM_EERKSM_lbbbEUlllE0_EEPmJS6_EEE10hipError_tPvRmT3_T4_T5_T6_T7_T9_mT8_P12ihipStream_tbDpT10_ENKUlT_T0_E_clISt17integral_constantIbLb0EES1B_IbLb1EEEEDaS17_S18_EUlS17_E_NS1_11comp_targetILNS1_3genE8ELNS1_11target_archE1030ELNS1_3gpuE2ELNS1_3repE0EEENS1_30default_config_static_selectorELNS0_4arch9wavefront6targetE0EEEvT1_,comdat
.Lfunc_end1692:
	.size	_ZN7rocprim17ROCPRIM_400000_NS6detail17trampoline_kernelINS0_14default_configENS1_25partition_config_selectorILNS1_17partition_subalgoE8ElNS0_10empty_typeEbEEZZNS1_14partition_implILS5_8ELb0ES3_jPlPS6_PKS6_NS0_5tupleIJS9_S6_EEENSD_IJSA_SA_EEENS0_18inequality_wrapperIZN2at6native12_GLOBAL__N_124unique_dim_cuda_templateImEESt5tupleIJNSH_6TensorESM_SM_EERKSM_lbbbEUlllE0_EEPmJS6_EEE10hipError_tPvRmT3_T4_T5_T6_T7_T9_mT8_P12ihipStream_tbDpT10_ENKUlT_T0_E_clISt17integral_constantIbLb0EES1B_IbLb1EEEEDaS17_S18_EUlS17_E_NS1_11comp_targetILNS1_3genE8ELNS1_11target_archE1030ELNS1_3gpuE2ELNS1_3repE0EEENS1_30default_config_static_selectorELNS0_4arch9wavefront6targetE0EEEvT1_, .Lfunc_end1692-_ZN7rocprim17ROCPRIM_400000_NS6detail17trampoline_kernelINS0_14default_configENS1_25partition_config_selectorILNS1_17partition_subalgoE8ElNS0_10empty_typeEbEEZZNS1_14partition_implILS5_8ELb0ES3_jPlPS6_PKS6_NS0_5tupleIJS9_S6_EEENSD_IJSA_SA_EEENS0_18inequality_wrapperIZN2at6native12_GLOBAL__N_124unique_dim_cuda_templateImEESt5tupleIJNSH_6TensorESM_SM_EERKSM_lbbbEUlllE0_EEPmJS6_EEE10hipError_tPvRmT3_T4_T5_T6_T7_T9_mT8_P12ihipStream_tbDpT10_ENKUlT_T0_E_clISt17integral_constantIbLb0EES1B_IbLb1EEEEDaS17_S18_EUlS17_E_NS1_11comp_targetILNS1_3genE8ELNS1_11target_archE1030ELNS1_3gpuE2ELNS1_3repE0EEENS1_30default_config_static_selectorELNS0_4arch9wavefront6targetE0EEEvT1_
                                        ; -- End function
	.section	.AMDGPU.csdata,"",@progbits
; Kernel info:
; codeLenInByte = 0
; NumSgprs: 0
; NumVgprs: 0
; ScratchSize: 0
; MemoryBound: 0
; FloatMode: 240
; IeeeMode: 1
; LDSByteSize: 0 bytes/workgroup (compile time only)
; SGPRBlocks: 0
; VGPRBlocks: 0
; NumSGPRsForWavesPerEU: 1
; NumVGPRsForWavesPerEU: 1
; Occupancy: 16
; WaveLimiterHint : 0
; COMPUTE_PGM_RSRC2:SCRATCH_EN: 0
; COMPUTE_PGM_RSRC2:USER_SGPR: 15
; COMPUTE_PGM_RSRC2:TRAP_HANDLER: 0
; COMPUTE_PGM_RSRC2:TGID_X_EN: 1
; COMPUTE_PGM_RSRC2:TGID_Y_EN: 0
; COMPUTE_PGM_RSRC2:TGID_Z_EN: 0
; COMPUTE_PGM_RSRC2:TIDIG_COMP_CNT: 0
	.section	.text._ZN7rocprim17ROCPRIM_400000_NS6detail17trampoline_kernelINS0_14default_configENS1_25partition_config_selectorILNS1_17partition_subalgoE9EllbEEZZNS1_14partition_implILS5_9ELb0ES3_jPlS8_PNS0_10empty_typeENS0_5tupleIJS8_S9_EEENSB_IJS8_SA_EEENS0_18inequality_wrapperIZN2at6native12_GLOBAL__N_124unique_dim_cuda_templateImEESt5tupleIJNSF_6TensorESK_SK_EERKSK_lbbbEUlllE0_EEPmJS9_EEE10hipError_tPvRmT3_T4_T5_T6_T7_T9_mT8_P12ihipStream_tbDpT10_ENKUlT_T0_E_clISt17integral_constantIbLb0EES1A_EEDaS15_S16_EUlS15_E_NS1_11comp_targetILNS1_3genE0ELNS1_11target_archE4294967295ELNS1_3gpuE0ELNS1_3repE0EEENS1_30default_config_static_selectorELNS0_4arch9wavefront6targetE0EEEvT1_,"axG",@progbits,_ZN7rocprim17ROCPRIM_400000_NS6detail17trampoline_kernelINS0_14default_configENS1_25partition_config_selectorILNS1_17partition_subalgoE9EllbEEZZNS1_14partition_implILS5_9ELb0ES3_jPlS8_PNS0_10empty_typeENS0_5tupleIJS8_S9_EEENSB_IJS8_SA_EEENS0_18inequality_wrapperIZN2at6native12_GLOBAL__N_124unique_dim_cuda_templateImEESt5tupleIJNSF_6TensorESK_SK_EERKSK_lbbbEUlllE0_EEPmJS9_EEE10hipError_tPvRmT3_T4_T5_T6_T7_T9_mT8_P12ihipStream_tbDpT10_ENKUlT_T0_E_clISt17integral_constantIbLb0EES1A_EEDaS15_S16_EUlS15_E_NS1_11comp_targetILNS1_3genE0ELNS1_11target_archE4294967295ELNS1_3gpuE0ELNS1_3repE0EEENS1_30default_config_static_selectorELNS0_4arch9wavefront6targetE0EEEvT1_,comdat
	.globl	_ZN7rocprim17ROCPRIM_400000_NS6detail17trampoline_kernelINS0_14default_configENS1_25partition_config_selectorILNS1_17partition_subalgoE9EllbEEZZNS1_14partition_implILS5_9ELb0ES3_jPlS8_PNS0_10empty_typeENS0_5tupleIJS8_S9_EEENSB_IJS8_SA_EEENS0_18inequality_wrapperIZN2at6native12_GLOBAL__N_124unique_dim_cuda_templateImEESt5tupleIJNSF_6TensorESK_SK_EERKSK_lbbbEUlllE0_EEPmJS9_EEE10hipError_tPvRmT3_T4_T5_T6_T7_T9_mT8_P12ihipStream_tbDpT10_ENKUlT_T0_E_clISt17integral_constantIbLb0EES1A_EEDaS15_S16_EUlS15_E_NS1_11comp_targetILNS1_3genE0ELNS1_11target_archE4294967295ELNS1_3gpuE0ELNS1_3repE0EEENS1_30default_config_static_selectorELNS0_4arch9wavefront6targetE0EEEvT1_ ; -- Begin function _ZN7rocprim17ROCPRIM_400000_NS6detail17trampoline_kernelINS0_14default_configENS1_25partition_config_selectorILNS1_17partition_subalgoE9EllbEEZZNS1_14partition_implILS5_9ELb0ES3_jPlS8_PNS0_10empty_typeENS0_5tupleIJS8_S9_EEENSB_IJS8_SA_EEENS0_18inequality_wrapperIZN2at6native12_GLOBAL__N_124unique_dim_cuda_templateImEESt5tupleIJNSF_6TensorESK_SK_EERKSK_lbbbEUlllE0_EEPmJS9_EEE10hipError_tPvRmT3_T4_T5_T6_T7_T9_mT8_P12ihipStream_tbDpT10_ENKUlT_T0_E_clISt17integral_constantIbLb0EES1A_EEDaS15_S16_EUlS15_E_NS1_11comp_targetILNS1_3genE0ELNS1_11target_archE4294967295ELNS1_3gpuE0ELNS1_3repE0EEENS1_30default_config_static_selectorELNS0_4arch9wavefront6targetE0EEEvT1_
	.p2align	8
	.type	_ZN7rocprim17ROCPRIM_400000_NS6detail17trampoline_kernelINS0_14default_configENS1_25partition_config_selectorILNS1_17partition_subalgoE9EllbEEZZNS1_14partition_implILS5_9ELb0ES3_jPlS8_PNS0_10empty_typeENS0_5tupleIJS8_S9_EEENSB_IJS8_SA_EEENS0_18inequality_wrapperIZN2at6native12_GLOBAL__N_124unique_dim_cuda_templateImEESt5tupleIJNSF_6TensorESK_SK_EERKSK_lbbbEUlllE0_EEPmJS9_EEE10hipError_tPvRmT3_T4_T5_T6_T7_T9_mT8_P12ihipStream_tbDpT10_ENKUlT_T0_E_clISt17integral_constantIbLb0EES1A_EEDaS15_S16_EUlS15_E_NS1_11comp_targetILNS1_3genE0ELNS1_11target_archE4294967295ELNS1_3gpuE0ELNS1_3repE0EEENS1_30default_config_static_selectorELNS0_4arch9wavefront6targetE0EEEvT1_,@function
_ZN7rocprim17ROCPRIM_400000_NS6detail17trampoline_kernelINS0_14default_configENS1_25partition_config_selectorILNS1_17partition_subalgoE9EllbEEZZNS1_14partition_implILS5_9ELb0ES3_jPlS8_PNS0_10empty_typeENS0_5tupleIJS8_S9_EEENSB_IJS8_SA_EEENS0_18inequality_wrapperIZN2at6native12_GLOBAL__N_124unique_dim_cuda_templateImEESt5tupleIJNSF_6TensorESK_SK_EERKSK_lbbbEUlllE0_EEPmJS9_EEE10hipError_tPvRmT3_T4_T5_T6_T7_T9_mT8_P12ihipStream_tbDpT10_ENKUlT_T0_E_clISt17integral_constantIbLb0EES1A_EEDaS15_S16_EUlS15_E_NS1_11comp_targetILNS1_3genE0ELNS1_11target_archE4294967295ELNS1_3gpuE0ELNS1_3repE0EEENS1_30default_config_static_selectorELNS0_4arch9wavefront6targetE0EEEvT1_: ; @_ZN7rocprim17ROCPRIM_400000_NS6detail17trampoline_kernelINS0_14default_configENS1_25partition_config_selectorILNS1_17partition_subalgoE9EllbEEZZNS1_14partition_implILS5_9ELb0ES3_jPlS8_PNS0_10empty_typeENS0_5tupleIJS8_S9_EEENSB_IJS8_SA_EEENS0_18inequality_wrapperIZN2at6native12_GLOBAL__N_124unique_dim_cuda_templateImEESt5tupleIJNSF_6TensorESK_SK_EERKSK_lbbbEUlllE0_EEPmJS9_EEE10hipError_tPvRmT3_T4_T5_T6_T7_T9_mT8_P12ihipStream_tbDpT10_ENKUlT_T0_E_clISt17integral_constantIbLb0EES1A_EEDaS15_S16_EUlS15_E_NS1_11comp_targetILNS1_3genE0ELNS1_11target_archE4294967295ELNS1_3gpuE0ELNS1_3repE0EEENS1_30default_config_static_selectorELNS0_4arch9wavefront6targetE0EEEvT1_
; %bb.0:
	.section	.rodata,"a",@progbits
	.p2align	6, 0x0
	.amdhsa_kernel _ZN7rocprim17ROCPRIM_400000_NS6detail17trampoline_kernelINS0_14default_configENS1_25partition_config_selectorILNS1_17partition_subalgoE9EllbEEZZNS1_14partition_implILS5_9ELb0ES3_jPlS8_PNS0_10empty_typeENS0_5tupleIJS8_S9_EEENSB_IJS8_SA_EEENS0_18inequality_wrapperIZN2at6native12_GLOBAL__N_124unique_dim_cuda_templateImEESt5tupleIJNSF_6TensorESK_SK_EERKSK_lbbbEUlllE0_EEPmJS9_EEE10hipError_tPvRmT3_T4_T5_T6_T7_T9_mT8_P12ihipStream_tbDpT10_ENKUlT_T0_E_clISt17integral_constantIbLb0EES1A_EEDaS15_S16_EUlS15_E_NS1_11comp_targetILNS1_3genE0ELNS1_11target_archE4294967295ELNS1_3gpuE0ELNS1_3repE0EEENS1_30default_config_static_selectorELNS0_4arch9wavefront6targetE0EEEvT1_
		.amdhsa_group_segment_fixed_size 0
		.amdhsa_private_segment_fixed_size 0
		.amdhsa_kernarg_size 120
		.amdhsa_user_sgpr_count 15
		.amdhsa_user_sgpr_dispatch_ptr 0
		.amdhsa_user_sgpr_queue_ptr 0
		.amdhsa_user_sgpr_kernarg_segment_ptr 1
		.amdhsa_user_sgpr_dispatch_id 0
		.amdhsa_user_sgpr_private_segment_size 0
		.amdhsa_wavefront_size32 1
		.amdhsa_uses_dynamic_stack 0
		.amdhsa_enable_private_segment 0
		.amdhsa_system_sgpr_workgroup_id_x 1
		.amdhsa_system_sgpr_workgroup_id_y 0
		.amdhsa_system_sgpr_workgroup_id_z 0
		.amdhsa_system_sgpr_workgroup_info 0
		.amdhsa_system_vgpr_workitem_id 0
		.amdhsa_next_free_vgpr 1
		.amdhsa_next_free_sgpr 1
		.amdhsa_reserve_vcc 0
		.amdhsa_float_round_mode_32 0
		.amdhsa_float_round_mode_16_64 0
		.amdhsa_float_denorm_mode_32 3
		.amdhsa_float_denorm_mode_16_64 3
		.amdhsa_dx10_clamp 1
		.amdhsa_ieee_mode 1
		.amdhsa_fp16_overflow 0
		.amdhsa_workgroup_processor_mode 1
		.amdhsa_memory_ordered 1
		.amdhsa_forward_progress 0
		.amdhsa_shared_vgpr_count 0
		.amdhsa_exception_fp_ieee_invalid_op 0
		.amdhsa_exception_fp_denorm_src 0
		.amdhsa_exception_fp_ieee_div_zero 0
		.amdhsa_exception_fp_ieee_overflow 0
		.amdhsa_exception_fp_ieee_underflow 0
		.amdhsa_exception_fp_ieee_inexact 0
		.amdhsa_exception_int_div_zero 0
	.end_amdhsa_kernel
	.section	.text._ZN7rocprim17ROCPRIM_400000_NS6detail17trampoline_kernelINS0_14default_configENS1_25partition_config_selectorILNS1_17partition_subalgoE9EllbEEZZNS1_14partition_implILS5_9ELb0ES3_jPlS8_PNS0_10empty_typeENS0_5tupleIJS8_S9_EEENSB_IJS8_SA_EEENS0_18inequality_wrapperIZN2at6native12_GLOBAL__N_124unique_dim_cuda_templateImEESt5tupleIJNSF_6TensorESK_SK_EERKSK_lbbbEUlllE0_EEPmJS9_EEE10hipError_tPvRmT3_T4_T5_T6_T7_T9_mT8_P12ihipStream_tbDpT10_ENKUlT_T0_E_clISt17integral_constantIbLb0EES1A_EEDaS15_S16_EUlS15_E_NS1_11comp_targetILNS1_3genE0ELNS1_11target_archE4294967295ELNS1_3gpuE0ELNS1_3repE0EEENS1_30default_config_static_selectorELNS0_4arch9wavefront6targetE0EEEvT1_,"axG",@progbits,_ZN7rocprim17ROCPRIM_400000_NS6detail17trampoline_kernelINS0_14default_configENS1_25partition_config_selectorILNS1_17partition_subalgoE9EllbEEZZNS1_14partition_implILS5_9ELb0ES3_jPlS8_PNS0_10empty_typeENS0_5tupleIJS8_S9_EEENSB_IJS8_SA_EEENS0_18inequality_wrapperIZN2at6native12_GLOBAL__N_124unique_dim_cuda_templateImEESt5tupleIJNSF_6TensorESK_SK_EERKSK_lbbbEUlllE0_EEPmJS9_EEE10hipError_tPvRmT3_T4_T5_T6_T7_T9_mT8_P12ihipStream_tbDpT10_ENKUlT_T0_E_clISt17integral_constantIbLb0EES1A_EEDaS15_S16_EUlS15_E_NS1_11comp_targetILNS1_3genE0ELNS1_11target_archE4294967295ELNS1_3gpuE0ELNS1_3repE0EEENS1_30default_config_static_selectorELNS0_4arch9wavefront6targetE0EEEvT1_,comdat
.Lfunc_end1693:
	.size	_ZN7rocprim17ROCPRIM_400000_NS6detail17trampoline_kernelINS0_14default_configENS1_25partition_config_selectorILNS1_17partition_subalgoE9EllbEEZZNS1_14partition_implILS5_9ELb0ES3_jPlS8_PNS0_10empty_typeENS0_5tupleIJS8_S9_EEENSB_IJS8_SA_EEENS0_18inequality_wrapperIZN2at6native12_GLOBAL__N_124unique_dim_cuda_templateImEESt5tupleIJNSF_6TensorESK_SK_EERKSK_lbbbEUlllE0_EEPmJS9_EEE10hipError_tPvRmT3_T4_T5_T6_T7_T9_mT8_P12ihipStream_tbDpT10_ENKUlT_T0_E_clISt17integral_constantIbLb0EES1A_EEDaS15_S16_EUlS15_E_NS1_11comp_targetILNS1_3genE0ELNS1_11target_archE4294967295ELNS1_3gpuE0ELNS1_3repE0EEENS1_30default_config_static_selectorELNS0_4arch9wavefront6targetE0EEEvT1_, .Lfunc_end1693-_ZN7rocprim17ROCPRIM_400000_NS6detail17trampoline_kernelINS0_14default_configENS1_25partition_config_selectorILNS1_17partition_subalgoE9EllbEEZZNS1_14partition_implILS5_9ELb0ES3_jPlS8_PNS0_10empty_typeENS0_5tupleIJS8_S9_EEENSB_IJS8_SA_EEENS0_18inequality_wrapperIZN2at6native12_GLOBAL__N_124unique_dim_cuda_templateImEESt5tupleIJNSF_6TensorESK_SK_EERKSK_lbbbEUlllE0_EEPmJS9_EEE10hipError_tPvRmT3_T4_T5_T6_T7_T9_mT8_P12ihipStream_tbDpT10_ENKUlT_T0_E_clISt17integral_constantIbLb0EES1A_EEDaS15_S16_EUlS15_E_NS1_11comp_targetILNS1_3genE0ELNS1_11target_archE4294967295ELNS1_3gpuE0ELNS1_3repE0EEENS1_30default_config_static_selectorELNS0_4arch9wavefront6targetE0EEEvT1_
                                        ; -- End function
	.section	.AMDGPU.csdata,"",@progbits
; Kernel info:
; codeLenInByte = 0
; NumSgprs: 0
; NumVgprs: 0
; ScratchSize: 0
; MemoryBound: 0
; FloatMode: 240
; IeeeMode: 1
; LDSByteSize: 0 bytes/workgroup (compile time only)
; SGPRBlocks: 0
; VGPRBlocks: 0
; NumSGPRsForWavesPerEU: 1
; NumVGPRsForWavesPerEU: 1
; Occupancy: 16
; WaveLimiterHint : 0
; COMPUTE_PGM_RSRC2:SCRATCH_EN: 0
; COMPUTE_PGM_RSRC2:USER_SGPR: 15
; COMPUTE_PGM_RSRC2:TRAP_HANDLER: 0
; COMPUTE_PGM_RSRC2:TGID_X_EN: 1
; COMPUTE_PGM_RSRC2:TGID_Y_EN: 0
; COMPUTE_PGM_RSRC2:TGID_Z_EN: 0
; COMPUTE_PGM_RSRC2:TIDIG_COMP_CNT: 0
	.section	.text._ZN7rocprim17ROCPRIM_400000_NS6detail17trampoline_kernelINS0_14default_configENS1_25partition_config_selectorILNS1_17partition_subalgoE9EllbEEZZNS1_14partition_implILS5_9ELb0ES3_jPlS8_PNS0_10empty_typeENS0_5tupleIJS8_S9_EEENSB_IJS8_SA_EEENS0_18inequality_wrapperIZN2at6native12_GLOBAL__N_124unique_dim_cuda_templateImEESt5tupleIJNSF_6TensorESK_SK_EERKSK_lbbbEUlllE0_EEPmJS9_EEE10hipError_tPvRmT3_T4_T5_T6_T7_T9_mT8_P12ihipStream_tbDpT10_ENKUlT_T0_E_clISt17integral_constantIbLb0EES1A_EEDaS15_S16_EUlS15_E_NS1_11comp_targetILNS1_3genE5ELNS1_11target_archE942ELNS1_3gpuE9ELNS1_3repE0EEENS1_30default_config_static_selectorELNS0_4arch9wavefront6targetE0EEEvT1_,"axG",@progbits,_ZN7rocprim17ROCPRIM_400000_NS6detail17trampoline_kernelINS0_14default_configENS1_25partition_config_selectorILNS1_17partition_subalgoE9EllbEEZZNS1_14partition_implILS5_9ELb0ES3_jPlS8_PNS0_10empty_typeENS0_5tupleIJS8_S9_EEENSB_IJS8_SA_EEENS0_18inequality_wrapperIZN2at6native12_GLOBAL__N_124unique_dim_cuda_templateImEESt5tupleIJNSF_6TensorESK_SK_EERKSK_lbbbEUlllE0_EEPmJS9_EEE10hipError_tPvRmT3_T4_T5_T6_T7_T9_mT8_P12ihipStream_tbDpT10_ENKUlT_T0_E_clISt17integral_constantIbLb0EES1A_EEDaS15_S16_EUlS15_E_NS1_11comp_targetILNS1_3genE5ELNS1_11target_archE942ELNS1_3gpuE9ELNS1_3repE0EEENS1_30default_config_static_selectorELNS0_4arch9wavefront6targetE0EEEvT1_,comdat
	.globl	_ZN7rocprim17ROCPRIM_400000_NS6detail17trampoline_kernelINS0_14default_configENS1_25partition_config_selectorILNS1_17partition_subalgoE9EllbEEZZNS1_14partition_implILS5_9ELb0ES3_jPlS8_PNS0_10empty_typeENS0_5tupleIJS8_S9_EEENSB_IJS8_SA_EEENS0_18inequality_wrapperIZN2at6native12_GLOBAL__N_124unique_dim_cuda_templateImEESt5tupleIJNSF_6TensorESK_SK_EERKSK_lbbbEUlllE0_EEPmJS9_EEE10hipError_tPvRmT3_T4_T5_T6_T7_T9_mT8_P12ihipStream_tbDpT10_ENKUlT_T0_E_clISt17integral_constantIbLb0EES1A_EEDaS15_S16_EUlS15_E_NS1_11comp_targetILNS1_3genE5ELNS1_11target_archE942ELNS1_3gpuE9ELNS1_3repE0EEENS1_30default_config_static_selectorELNS0_4arch9wavefront6targetE0EEEvT1_ ; -- Begin function _ZN7rocprim17ROCPRIM_400000_NS6detail17trampoline_kernelINS0_14default_configENS1_25partition_config_selectorILNS1_17partition_subalgoE9EllbEEZZNS1_14partition_implILS5_9ELb0ES3_jPlS8_PNS0_10empty_typeENS0_5tupleIJS8_S9_EEENSB_IJS8_SA_EEENS0_18inequality_wrapperIZN2at6native12_GLOBAL__N_124unique_dim_cuda_templateImEESt5tupleIJNSF_6TensorESK_SK_EERKSK_lbbbEUlllE0_EEPmJS9_EEE10hipError_tPvRmT3_T4_T5_T6_T7_T9_mT8_P12ihipStream_tbDpT10_ENKUlT_T0_E_clISt17integral_constantIbLb0EES1A_EEDaS15_S16_EUlS15_E_NS1_11comp_targetILNS1_3genE5ELNS1_11target_archE942ELNS1_3gpuE9ELNS1_3repE0EEENS1_30default_config_static_selectorELNS0_4arch9wavefront6targetE0EEEvT1_
	.p2align	8
	.type	_ZN7rocprim17ROCPRIM_400000_NS6detail17trampoline_kernelINS0_14default_configENS1_25partition_config_selectorILNS1_17partition_subalgoE9EllbEEZZNS1_14partition_implILS5_9ELb0ES3_jPlS8_PNS0_10empty_typeENS0_5tupleIJS8_S9_EEENSB_IJS8_SA_EEENS0_18inequality_wrapperIZN2at6native12_GLOBAL__N_124unique_dim_cuda_templateImEESt5tupleIJNSF_6TensorESK_SK_EERKSK_lbbbEUlllE0_EEPmJS9_EEE10hipError_tPvRmT3_T4_T5_T6_T7_T9_mT8_P12ihipStream_tbDpT10_ENKUlT_T0_E_clISt17integral_constantIbLb0EES1A_EEDaS15_S16_EUlS15_E_NS1_11comp_targetILNS1_3genE5ELNS1_11target_archE942ELNS1_3gpuE9ELNS1_3repE0EEENS1_30default_config_static_selectorELNS0_4arch9wavefront6targetE0EEEvT1_,@function
_ZN7rocprim17ROCPRIM_400000_NS6detail17trampoline_kernelINS0_14default_configENS1_25partition_config_selectorILNS1_17partition_subalgoE9EllbEEZZNS1_14partition_implILS5_9ELb0ES3_jPlS8_PNS0_10empty_typeENS0_5tupleIJS8_S9_EEENSB_IJS8_SA_EEENS0_18inequality_wrapperIZN2at6native12_GLOBAL__N_124unique_dim_cuda_templateImEESt5tupleIJNSF_6TensorESK_SK_EERKSK_lbbbEUlllE0_EEPmJS9_EEE10hipError_tPvRmT3_T4_T5_T6_T7_T9_mT8_P12ihipStream_tbDpT10_ENKUlT_T0_E_clISt17integral_constantIbLb0EES1A_EEDaS15_S16_EUlS15_E_NS1_11comp_targetILNS1_3genE5ELNS1_11target_archE942ELNS1_3gpuE9ELNS1_3repE0EEENS1_30default_config_static_selectorELNS0_4arch9wavefront6targetE0EEEvT1_: ; @_ZN7rocprim17ROCPRIM_400000_NS6detail17trampoline_kernelINS0_14default_configENS1_25partition_config_selectorILNS1_17partition_subalgoE9EllbEEZZNS1_14partition_implILS5_9ELb0ES3_jPlS8_PNS0_10empty_typeENS0_5tupleIJS8_S9_EEENSB_IJS8_SA_EEENS0_18inequality_wrapperIZN2at6native12_GLOBAL__N_124unique_dim_cuda_templateImEESt5tupleIJNSF_6TensorESK_SK_EERKSK_lbbbEUlllE0_EEPmJS9_EEE10hipError_tPvRmT3_T4_T5_T6_T7_T9_mT8_P12ihipStream_tbDpT10_ENKUlT_T0_E_clISt17integral_constantIbLb0EES1A_EEDaS15_S16_EUlS15_E_NS1_11comp_targetILNS1_3genE5ELNS1_11target_archE942ELNS1_3gpuE9ELNS1_3repE0EEENS1_30default_config_static_selectorELNS0_4arch9wavefront6targetE0EEEvT1_
; %bb.0:
	.section	.rodata,"a",@progbits
	.p2align	6, 0x0
	.amdhsa_kernel _ZN7rocprim17ROCPRIM_400000_NS6detail17trampoline_kernelINS0_14default_configENS1_25partition_config_selectorILNS1_17partition_subalgoE9EllbEEZZNS1_14partition_implILS5_9ELb0ES3_jPlS8_PNS0_10empty_typeENS0_5tupleIJS8_S9_EEENSB_IJS8_SA_EEENS0_18inequality_wrapperIZN2at6native12_GLOBAL__N_124unique_dim_cuda_templateImEESt5tupleIJNSF_6TensorESK_SK_EERKSK_lbbbEUlllE0_EEPmJS9_EEE10hipError_tPvRmT3_T4_T5_T6_T7_T9_mT8_P12ihipStream_tbDpT10_ENKUlT_T0_E_clISt17integral_constantIbLb0EES1A_EEDaS15_S16_EUlS15_E_NS1_11comp_targetILNS1_3genE5ELNS1_11target_archE942ELNS1_3gpuE9ELNS1_3repE0EEENS1_30default_config_static_selectorELNS0_4arch9wavefront6targetE0EEEvT1_
		.amdhsa_group_segment_fixed_size 0
		.amdhsa_private_segment_fixed_size 0
		.amdhsa_kernarg_size 120
		.amdhsa_user_sgpr_count 15
		.amdhsa_user_sgpr_dispatch_ptr 0
		.amdhsa_user_sgpr_queue_ptr 0
		.amdhsa_user_sgpr_kernarg_segment_ptr 1
		.amdhsa_user_sgpr_dispatch_id 0
		.amdhsa_user_sgpr_private_segment_size 0
		.amdhsa_wavefront_size32 1
		.amdhsa_uses_dynamic_stack 0
		.amdhsa_enable_private_segment 0
		.amdhsa_system_sgpr_workgroup_id_x 1
		.amdhsa_system_sgpr_workgroup_id_y 0
		.amdhsa_system_sgpr_workgroup_id_z 0
		.amdhsa_system_sgpr_workgroup_info 0
		.amdhsa_system_vgpr_workitem_id 0
		.amdhsa_next_free_vgpr 1
		.amdhsa_next_free_sgpr 1
		.amdhsa_reserve_vcc 0
		.amdhsa_float_round_mode_32 0
		.amdhsa_float_round_mode_16_64 0
		.amdhsa_float_denorm_mode_32 3
		.amdhsa_float_denorm_mode_16_64 3
		.amdhsa_dx10_clamp 1
		.amdhsa_ieee_mode 1
		.amdhsa_fp16_overflow 0
		.amdhsa_workgroup_processor_mode 1
		.amdhsa_memory_ordered 1
		.amdhsa_forward_progress 0
		.amdhsa_shared_vgpr_count 0
		.amdhsa_exception_fp_ieee_invalid_op 0
		.amdhsa_exception_fp_denorm_src 0
		.amdhsa_exception_fp_ieee_div_zero 0
		.amdhsa_exception_fp_ieee_overflow 0
		.amdhsa_exception_fp_ieee_underflow 0
		.amdhsa_exception_fp_ieee_inexact 0
		.amdhsa_exception_int_div_zero 0
	.end_amdhsa_kernel
	.section	.text._ZN7rocprim17ROCPRIM_400000_NS6detail17trampoline_kernelINS0_14default_configENS1_25partition_config_selectorILNS1_17partition_subalgoE9EllbEEZZNS1_14partition_implILS5_9ELb0ES3_jPlS8_PNS0_10empty_typeENS0_5tupleIJS8_S9_EEENSB_IJS8_SA_EEENS0_18inequality_wrapperIZN2at6native12_GLOBAL__N_124unique_dim_cuda_templateImEESt5tupleIJNSF_6TensorESK_SK_EERKSK_lbbbEUlllE0_EEPmJS9_EEE10hipError_tPvRmT3_T4_T5_T6_T7_T9_mT8_P12ihipStream_tbDpT10_ENKUlT_T0_E_clISt17integral_constantIbLb0EES1A_EEDaS15_S16_EUlS15_E_NS1_11comp_targetILNS1_3genE5ELNS1_11target_archE942ELNS1_3gpuE9ELNS1_3repE0EEENS1_30default_config_static_selectorELNS0_4arch9wavefront6targetE0EEEvT1_,"axG",@progbits,_ZN7rocprim17ROCPRIM_400000_NS6detail17trampoline_kernelINS0_14default_configENS1_25partition_config_selectorILNS1_17partition_subalgoE9EllbEEZZNS1_14partition_implILS5_9ELb0ES3_jPlS8_PNS0_10empty_typeENS0_5tupleIJS8_S9_EEENSB_IJS8_SA_EEENS0_18inequality_wrapperIZN2at6native12_GLOBAL__N_124unique_dim_cuda_templateImEESt5tupleIJNSF_6TensorESK_SK_EERKSK_lbbbEUlllE0_EEPmJS9_EEE10hipError_tPvRmT3_T4_T5_T6_T7_T9_mT8_P12ihipStream_tbDpT10_ENKUlT_T0_E_clISt17integral_constantIbLb0EES1A_EEDaS15_S16_EUlS15_E_NS1_11comp_targetILNS1_3genE5ELNS1_11target_archE942ELNS1_3gpuE9ELNS1_3repE0EEENS1_30default_config_static_selectorELNS0_4arch9wavefront6targetE0EEEvT1_,comdat
.Lfunc_end1694:
	.size	_ZN7rocprim17ROCPRIM_400000_NS6detail17trampoline_kernelINS0_14default_configENS1_25partition_config_selectorILNS1_17partition_subalgoE9EllbEEZZNS1_14partition_implILS5_9ELb0ES3_jPlS8_PNS0_10empty_typeENS0_5tupleIJS8_S9_EEENSB_IJS8_SA_EEENS0_18inequality_wrapperIZN2at6native12_GLOBAL__N_124unique_dim_cuda_templateImEESt5tupleIJNSF_6TensorESK_SK_EERKSK_lbbbEUlllE0_EEPmJS9_EEE10hipError_tPvRmT3_T4_T5_T6_T7_T9_mT8_P12ihipStream_tbDpT10_ENKUlT_T0_E_clISt17integral_constantIbLb0EES1A_EEDaS15_S16_EUlS15_E_NS1_11comp_targetILNS1_3genE5ELNS1_11target_archE942ELNS1_3gpuE9ELNS1_3repE0EEENS1_30default_config_static_selectorELNS0_4arch9wavefront6targetE0EEEvT1_, .Lfunc_end1694-_ZN7rocprim17ROCPRIM_400000_NS6detail17trampoline_kernelINS0_14default_configENS1_25partition_config_selectorILNS1_17partition_subalgoE9EllbEEZZNS1_14partition_implILS5_9ELb0ES3_jPlS8_PNS0_10empty_typeENS0_5tupleIJS8_S9_EEENSB_IJS8_SA_EEENS0_18inequality_wrapperIZN2at6native12_GLOBAL__N_124unique_dim_cuda_templateImEESt5tupleIJNSF_6TensorESK_SK_EERKSK_lbbbEUlllE0_EEPmJS9_EEE10hipError_tPvRmT3_T4_T5_T6_T7_T9_mT8_P12ihipStream_tbDpT10_ENKUlT_T0_E_clISt17integral_constantIbLb0EES1A_EEDaS15_S16_EUlS15_E_NS1_11comp_targetILNS1_3genE5ELNS1_11target_archE942ELNS1_3gpuE9ELNS1_3repE0EEENS1_30default_config_static_selectorELNS0_4arch9wavefront6targetE0EEEvT1_
                                        ; -- End function
	.section	.AMDGPU.csdata,"",@progbits
; Kernel info:
; codeLenInByte = 0
; NumSgprs: 0
; NumVgprs: 0
; ScratchSize: 0
; MemoryBound: 0
; FloatMode: 240
; IeeeMode: 1
; LDSByteSize: 0 bytes/workgroup (compile time only)
; SGPRBlocks: 0
; VGPRBlocks: 0
; NumSGPRsForWavesPerEU: 1
; NumVGPRsForWavesPerEU: 1
; Occupancy: 16
; WaveLimiterHint : 0
; COMPUTE_PGM_RSRC2:SCRATCH_EN: 0
; COMPUTE_PGM_RSRC2:USER_SGPR: 15
; COMPUTE_PGM_RSRC2:TRAP_HANDLER: 0
; COMPUTE_PGM_RSRC2:TGID_X_EN: 1
; COMPUTE_PGM_RSRC2:TGID_Y_EN: 0
; COMPUTE_PGM_RSRC2:TGID_Z_EN: 0
; COMPUTE_PGM_RSRC2:TIDIG_COMP_CNT: 0
	.section	.text._ZN7rocprim17ROCPRIM_400000_NS6detail17trampoline_kernelINS0_14default_configENS1_25partition_config_selectorILNS1_17partition_subalgoE9EllbEEZZNS1_14partition_implILS5_9ELb0ES3_jPlS8_PNS0_10empty_typeENS0_5tupleIJS8_S9_EEENSB_IJS8_SA_EEENS0_18inequality_wrapperIZN2at6native12_GLOBAL__N_124unique_dim_cuda_templateImEESt5tupleIJNSF_6TensorESK_SK_EERKSK_lbbbEUlllE0_EEPmJS9_EEE10hipError_tPvRmT3_T4_T5_T6_T7_T9_mT8_P12ihipStream_tbDpT10_ENKUlT_T0_E_clISt17integral_constantIbLb0EES1A_EEDaS15_S16_EUlS15_E_NS1_11comp_targetILNS1_3genE4ELNS1_11target_archE910ELNS1_3gpuE8ELNS1_3repE0EEENS1_30default_config_static_selectorELNS0_4arch9wavefront6targetE0EEEvT1_,"axG",@progbits,_ZN7rocprim17ROCPRIM_400000_NS6detail17trampoline_kernelINS0_14default_configENS1_25partition_config_selectorILNS1_17partition_subalgoE9EllbEEZZNS1_14partition_implILS5_9ELb0ES3_jPlS8_PNS0_10empty_typeENS0_5tupleIJS8_S9_EEENSB_IJS8_SA_EEENS0_18inequality_wrapperIZN2at6native12_GLOBAL__N_124unique_dim_cuda_templateImEESt5tupleIJNSF_6TensorESK_SK_EERKSK_lbbbEUlllE0_EEPmJS9_EEE10hipError_tPvRmT3_T4_T5_T6_T7_T9_mT8_P12ihipStream_tbDpT10_ENKUlT_T0_E_clISt17integral_constantIbLb0EES1A_EEDaS15_S16_EUlS15_E_NS1_11comp_targetILNS1_3genE4ELNS1_11target_archE910ELNS1_3gpuE8ELNS1_3repE0EEENS1_30default_config_static_selectorELNS0_4arch9wavefront6targetE0EEEvT1_,comdat
	.globl	_ZN7rocprim17ROCPRIM_400000_NS6detail17trampoline_kernelINS0_14default_configENS1_25partition_config_selectorILNS1_17partition_subalgoE9EllbEEZZNS1_14partition_implILS5_9ELb0ES3_jPlS8_PNS0_10empty_typeENS0_5tupleIJS8_S9_EEENSB_IJS8_SA_EEENS0_18inequality_wrapperIZN2at6native12_GLOBAL__N_124unique_dim_cuda_templateImEESt5tupleIJNSF_6TensorESK_SK_EERKSK_lbbbEUlllE0_EEPmJS9_EEE10hipError_tPvRmT3_T4_T5_T6_T7_T9_mT8_P12ihipStream_tbDpT10_ENKUlT_T0_E_clISt17integral_constantIbLb0EES1A_EEDaS15_S16_EUlS15_E_NS1_11comp_targetILNS1_3genE4ELNS1_11target_archE910ELNS1_3gpuE8ELNS1_3repE0EEENS1_30default_config_static_selectorELNS0_4arch9wavefront6targetE0EEEvT1_ ; -- Begin function _ZN7rocprim17ROCPRIM_400000_NS6detail17trampoline_kernelINS0_14default_configENS1_25partition_config_selectorILNS1_17partition_subalgoE9EllbEEZZNS1_14partition_implILS5_9ELb0ES3_jPlS8_PNS0_10empty_typeENS0_5tupleIJS8_S9_EEENSB_IJS8_SA_EEENS0_18inequality_wrapperIZN2at6native12_GLOBAL__N_124unique_dim_cuda_templateImEESt5tupleIJNSF_6TensorESK_SK_EERKSK_lbbbEUlllE0_EEPmJS9_EEE10hipError_tPvRmT3_T4_T5_T6_T7_T9_mT8_P12ihipStream_tbDpT10_ENKUlT_T0_E_clISt17integral_constantIbLb0EES1A_EEDaS15_S16_EUlS15_E_NS1_11comp_targetILNS1_3genE4ELNS1_11target_archE910ELNS1_3gpuE8ELNS1_3repE0EEENS1_30default_config_static_selectorELNS0_4arch9wavefront6targetE0EEEvT1_
	.p2align	8
	.type	_ZN7rocprim17ROCPRIM_400000_NS6detail17trampoline_kernelINS0_14default_configENS1_25partition_config_selectorILNS1_17partition_subalgoE9EllbEEZZNS1_14partition_implILS5_9ELb0ES3_jPlS8_PNS0_10empty_typeENS0_5tupleIJS8_S9_EEENSB_IJS8_SA_EEENS0_18inequality_wrapperIZN2at6native12_GLOBAL__N_124unique_dim_cuda_templateImEESt5tupleIJNSF_6TensorESK_SK_EERKSK_lbbbEUlllE0_EEPmJS9_EEE10hipError_tPvRmT3_T4_T5_T6_T7_T9_mT8_P12ihipStream_tbDpT10_ENKUlT_T0_E_clISt17integral_constantIbLb0EES1A_EEDaS15_S16_EUlS15_E_NS1_11comp_targetILNS1_3genE4ELNS1_11target_archE910ELNS1_3gpuE8ELNS1_3repE0EEENS1_30default_config_static_selectorELNS0_4arch9wavefront6targetE0EEEvT1_,@function
_ZN7rocprim17ROCPRIM_400000_NS6detail17trampoline_kernelINS0_14default_configENS1_25partition_config_selectorILNS1_17partition_subalgoE9EllbEEZZNS1_14partition_implILS5_9ELb0ES3_jPlS8_PNS0_10empty_typeENS0_5tupleIJS8_S9_EEENSB_IJS8_SA_EEENS0_18inequality_wrapperIZN2at6native12_GLOBAL__N_124unique_dim_cuda_templateImEESt5tupleIJNSF_6TensorESK_SK_EERKSK_lbbbEUlllE0_EEPmJS9_EEE10hipError_tPvRmT3_T4_T5_T6_T7_T9_mT8_P12ihipStream_tbDpT10_ENKUlT_T0_E_clISt17integral_constantIbLb0EES1A_EEDaS15_S16_EUlS15_E_NS1_11comp_targetILNS1_3genE4ELNS1_11target_archE910ELNS1_3gpuE8ELNS1_3repE0EEENS1_30default_config_static_selectorELNS0_4arch9wavefront6targetE0EEEvT1_: ; @_ZN7rocprim17ROCPRIM_400000_NS6detail17trampoline_kernelINS0_14default_configENS1_25partition_config_selectorILNS1_17partition_subalgoE9EllbEEZZNS1_14partition_implILS5_9ELb0ES3_jPlS8_PNS0_10empty_typeENS0_5tupleIJS8_S9_EEENSB_IJS8_SA_EEENS0_18inequality_wrapperIZN2at6native12_GLOBAL__N_124unique_dim_cuda_templateImEESt5tupleIJNSF_6TensorESK_SK_EERKSK_lbbbEUlllE0_EEPmJS9_EEE10hipError_tPvRmT3_T4_T5_T6_T7_T9_mT8_P12ihipStream_tbDpT10_ENKUlT_T0_E_clISt17integral_constantIbLb0EES1A_EEDaS15_S16_EUlS15_E_NS1_11comp_targetILNS1_3genE4ELNS1_11target_archE910ELNS1_3gpuE8ELNS1_3repE0EEENS1_30default_config_static_selectorELNS0_4arch9wavefront6targetE0EEEvT1_
; %bb.0:
	.section	.rodata,"a",@progbits
	.p2align	6, 0x0
	.amdhsa_kernel _ZN7rocprim17ROCPRIM_400000_NS6detail17trampoline_kernelINS0_14default_configENS1_25partition_config_selectorILNS1_17partition_subalgoE9EllbEEZZNS1_14partition_implILS5_9ELb0ES3_jPlS8_PNS0_10empty_typeENS0_5tupleIJS8_S9_EEENSB_IJS8_SA_EEENS0_18inequality_wrapperIZN2at6native12_GLOBAL__N_124unique_dim_cuda_templateImEESt5tupleIJNSF_6TensorESK_SK_EERKSK_lbbbEUlllE0_EEPmJS9_EEE10hipError_tPvRmT3_T4_T5_T6_T7_T9_mT8_P12ihipStream_tbDpT10_ENKUlT_T0_E_clISt17integral_constantIbLb0EES1A_EEDaS15_S16_EUlS15_E_NS1_11comp_targetILNS1_3genE4ELNS1_11target_archE910ELNS1_3gpuE8ELNS1_3repE0EEENS1_30default_config_static_selectorELNS0_4arch9wavefront6targetE0EEEvT1_
		.amdhsa_group_segment_fixed_size 0
		.amdhsa_private_segment_fixed_size 0
		.amdhsa_kernarg_size 120
		.amdhsa_user_sgpr_count 15
		.amdhsa_user_sgpr_dispatch_ptr 0
		.amdhsa_user_sgpr_queue_ptr 0
		.amdhsa_user_sgpr_kernarg_segment_ptr 1
		.amdhsa_user_sgpr_dispatch_id 0
		.amdhsa_user_sgpr_private_segment_size 0
		.amdhsa_wavefront_size32 1
		.amdhsa_uses_dynamic_stack 0
		.amdhsa_enable_private_segment 0
		.amdhsa_system_sgpr_workgroup_id_x 1
		.amdhsa_system_sgpr_workgroup_id_y 0
		.amdhsa_system_sgpr_workgroup_id_z 0
		.amdhsa_system_sgpr_workgroup_info 0
		.amdhsa_system_vgpr_workitem_id 0
		.amdhsa_next_free_vgpr 1
		.amdhsa_next_free_sgpr 1
		.amdhsa_reserve_vcc 0
		.amdhsa_float_round_mode_32 0
		.amdhsa_float_round_mode_16_64 0
		.amdhsa_float_denorm_mode_32 3
		.amdhsa_float_denorm_mode_16_64 3
		.amdhsa_dx10_clamp 1
		.amdhsa_ieee_mode 1
		.amdhsa_fp16_overflow 0
		.amdhsa_workgroup_processor_mode 1
		.amdhsa_memory_ordered 1
		.amdhsa_forward_progress 0
		.amdhsa_shared_vgpr_count 0
		.amdhsa_exception_fp_ieee_invalid_op 0
		.amdhsa_exception_fp_denorm_src 0
		.amdhsa_exception_fp_ieee_div_zero 0
		.amdhsa_exception_fp_ieee_overflow 0
		.amdhsa_exception_fp_ieee_underflow 0
		.amdhsa_exception_fp_ieee_inexact 0
		.amdhsa_exception_int_div_zero 0
	.end_amdhsa_kernel
	.section	.text._ZN7rocprim17ROCPRIM_400000_NS6detail17trampoline_kernelINS0_14default_configENS1_25partition_config_selectorILNS1_17partition_subalgoE9EllbEEZZNS1_14partition_implILS5_9ELb0ES3_jPlS8_PNS0_10empty_typeENS0_5tupleIJS8_S9_EEENSB_IJS8_SA_EEENS0_18inequality_wrapperIZN2at6native12_GLOBAL__N_124unique_dim_cuda_templateImEESt5tupleIJNSF_6TensorESK_SK_EERKSK_lbbbEUlllE0_EEPmJS9_EEE10hipError_tPvRmT3_T4_T5_T6_T7_T9_mT8_P12ihipStream_tbDpT10_ENKUlT_T0_E_clISt17integral_constantIbLb0EES1A_EEDaS15_S16_EUlS15_E_NS1_11comp_targetILNS1_3genE4ELNS1_11target_archE910ELNS1_3gpuE8ELNS1_3repE0EEENS1_30default_config_static_selectorELNS0_4arch9wavefront6targetE0EEEvT1_,"axG",@progbits,_ZN7rocprim17ROCPRIM_400000_NS6detail17trampoline_kernelINS0_14default_configENS1_25partition_config_selectorILNS1_17partition_subalgoE9EllbEEZZNS1_14partition_implILS5_9ELb0ES3_jPlS8_PNS0_10empty_typeENS0_5tupleIJS8_S9_EEENSB_IJS8_SA_EEENS0_18inequality_wrapperIZN2at6native12_GLOBAL__N_124unique_dim_cuda_templateImEESt5tupleIJNSF_6TensorESK_SK_EERKSK_lbbbEUlllE0_EEPmJS9_EEE10hipError_tPvRmT3_T4_T5_T6_T7_T9_mT8_P12ihipStream_tbDpT10_ENKUlT_T0_E_clISt17integral_constantIbLb0EES1A_EEDaS15_S16_EUlS15_E_NS1_11comp_targetILNS1_3genE4ELNS1_11target_archE910ELNS1_3gpuE8ELNS1_3repE0EEENS1_30default_config_static_selectorELNS0_4arch9wavefront6targetE0EEEvT1_,comdat
.Lfunc_end1695:
	.size	_ZN7rocprim17ROCPRIM_400000_NS6detail17trampoline_kernelINS0_14default_configENS1_25partition_config_selectorILNS1_17partition_subalgoE9EllbEEZZNS1_14partition_implILS5_9ELb0ES3_jPlS8_PNS0_10empty_typeENS0_5tupleIJS8_S9_EEENSB_IJS8_SA_EEENS0_18inequality_wrapperIZN2at6native12_GLOBAL__N_124unique_dim_cuda_templateImEESt5tupleIJNSF_6TensorESK_SK_EERKSK_lbbbEUlllE0_EEPmJS9_EEE10hipError_tPvRmT3_T4_T5_T6_T7_T9_mT8_P12ihipStream_tbDpT10_ENKUlT_T0_E_clISt17integral_constantIbLb0EES1A_EEDaS15_S16_EUlS15_E_NS1_11comp_targetILNS1_3genE4ELNS1_11target_archE910ELNS1_3gpuE8ELNS1_3repE0EEENS1_30default_config_static_selectorELNS0_4arch9wavefront6targetE0EEEvT1_, .Lfunc_end1695-_ZN7rocprim17ROCPRIM_400000_NS6detail17trampoline_kernelINS0_14default_configENS1_25partition_config_selectorILNS1_17partition_subalgoE9EllbEEZZNS1_14partition_implILS5_9ELb0ES3_jPlS8_PNS0_10empty_typeENS0_5tupleIJS8_S9_EEENSB_IJS8_SA_EEENS0_18inequality_wrapperIZN2at6native12_GLOBAL__N_124unique_dim_cuda_templateImEESt5tupleIJNSF_6TensorESK_SK_EERKSK_lbbbEUlllE0_EEPmJS9_EEE10hipError_tPvRmT3_T4_T5_T6_T7_T9_mT8_P12ihipStream_tbDpT10_ENKUlT_T0_E_clISt17integral_constantIbLb0EES1A_EEDaS15_S16_EUlS15_E_NS1_11comp_targetILNS1_3genE4ELNS1_11target_archE910ELNS1_3gpuE8ELNS1_3repE0EEENS1_30default_config_static_selectorELNS0_4arch9wavefront6targetE0EEEvT1_
                                        ; -- End function
	.section	.AMDGPU.csdata,"",@progbits
; Kernel info:
; codeLenInByte = 0
; NumSgprs: 0
; NumVgprs: 0
; ScratchSize: 0
; MemoryBound: 0
; FloatMode: 240
; IeeeMode: 1
; LDSByteSize: 0 bytes/workgroup (compile time only)
; SGPRBlocks: 0
; VGPRBlocks: 0
; NumSGPRsForWavesPerEU: 1
; NumVGPRsForWavesPerEU: 1
; Occupancy: 16
; WaveLimiterHint : 0
; COMPUTE_PGM_RSRC2:SCRATCH_EN: 0
; COMPUTE_PGM_RSRC2:USER_SGPR: 15
; COMPUTE_PGM_RSRC2:TRAP_HANDLER: 0
; COMPUTE_PGM_RSRC2:TGID_X_EN: 1
; COMPUTE_PGM_RSRC2:TGID_Y_EN: 0
; COMPUTE_PGM_RSRC2:TGID_Z_EN: 0
; COMPUTE_PGM_RSRC2:TIDIG_COMP_CNT: 0
	.section	.text._ZN7rocprim17ROCPRIM_400000_NS6detail17trampoline_kernelINS0_14default_configENS1_25partition_config_selectorILNS1_17partition_subalgoE9EllbEEZZNS1_14partition_implILS5_9ELb0ES3_jPlS8_PNS0_10empty_typeENS0_5tupleIJS8_S9_EEENSB_IJS8_SA_EEENS0_18inequality_wrapperIZN2at6native12_GLOBAL__N_124unique_dim_cuda_templateImEESt5tupleIJNSF_6TensorESK_SK_EERKSK_lbbbEUlllE0_EEPmJS9_EEE10hipError_tPvRmT3_T4_T5_T6_T7_T9_mT8_P12ihipStream_tbDpT10_ENKUlT_T0_E_clISt17integral_constantIbLb0EES1A_EEDaS15_S16_EUlS15_E_NS1_11comp_targetILNS1_3genE3ELNS1_11target_archE908ELNS1_3gpuE7ELNS1_3repE0EEENS1_30default_config_static_selectorELNS0_4arch9wavefront6targetE0EEEvT1_,"axG",@progbits,_ZN7rocprim17ROCPRIM_400000_NS6detail17trampoline_kernelINS0_14default_configENS1_25partition_config_selectorILNS1_17partition_subalgoE9EllbEEZZNS1_14partition_implILS5_9ELb0ES3_jPlS8_PNS0_10empty_typeENS0_5tupleIJS8_S9_EEENSB_IJS8_SA_EEENS0_18inequality_wrapperIZN2at6native12_GLOBAL__N_124unique_dim_cuda_templateImEESt5tupleIJNSF_6TensorESK_SK_EERKSK_lbbbEUlllE0_EEPmJS9_EEE10hipError_tPvRmT3_T4_T5_T6_T7_T9_mT8_P12ihipStream_tbDpT10_ENKUlT_T0_E_clISt17integral_constantIbLb0EES1A_EEDaS15_S16_EUlS15_E_NS1_11comp_targetILNS1_3genE3ELNS1_11target_archE908ELNS1_3gpuE7ELNS1_3repE0EEENS1_30default_config_static_selectorELNS0_4arch9wavefront6targetE0EEEvT1_,comdat
	.globl	_ZN7rocprim17ROCPRIM_400000_NS6detail17trampoline_kernelINS0_14default_configENS1_25partition_config_selectorILNS1_17partition_subalgoE9EllbEEZZNS1_14partition_implILS5_9ELb0ES3_jPlS8_PNS0_10empty_typeENS0_5tupleIJS8_S9_EEENSB_IJS8_SA_EEENS0_18inequality_wrapperIZN2at6native12_GLOBAL__N_124unique_dim_cuda_templateImEESt5tupleIJNSF_6TensorESK_SK_EERKSK_lbbbEUlllE0_EEPmJS9_EEE10hipError_tPvRmT3_T4_T5_T6_T7_T9_mT8_P12ihipStream_tbDpT10_ENKUlT_T0_E_clISt17integral_constantIbLb0EES1A_EEDaS15_S16_EUlS15_E_NS1_11comp_targetILNS1_3genE3ELNS1_11target_archE908ELNS1_3gpuE7ELNS1_3repE0EEENS1_30default_config_static_selectorELNS0_4arch9wavefront6targetE0EEEvT1_ ; -- Begin function _ZN7rocprim17ROCPRIM_400000_NS6detail17trampoline_kernelINS0_14default_configENS1_25partition_config_selectorILNS1_17partition_subalgoE9EllbEEZZNS1_14partition_implILS5_9ELb0ES3_jPlS8_PNS0_10empty_typeENS0_5tupleIJS8_S9_EEENSB_IJS8_SA_EEENS0_18inequality_wrapperIZN2at6native12_GLOBAL__N_124unique_dim_cuda_templateImEESt5tupleIJNSF_6TensorESK_SK_EERKSK_lbbbEUlllE0_EEPmJS9_EEE10hipError_tPvRmT3_T4_T5_T6_T7_T9_mT8_P12ihipStream_tbDpT10_ENKUlT_T0_E_clISt17integral_constantIbLb0EES1A_EEDaS15_S16_EUlS15_E_NS1_11comp_targetILNS1_3genE3ELNS1_11target_archE908ELNS1_3gpuE7ELNS1_3repE0EEENS1_30default_config_static_selectorELNS0_4arch9wavefront6targetE0EEEvT1_
	.p2align	8
	.type	_ZN7rocprim17ROCPRIM_400000_NS6detail17trampoline_kernelINS0_14default_configENS1_25partition_config_selectorILNS1_17partition_subalgoE9EllbEEZZNS1_14partition_implILS5_9ELb0ES3_jPlS8_PNS0_10empty_typeENS0_5tupleIJS8_S9_EEENSB_IJS8_SA_EEENS0_18inequality_wrapperIZN2at6native12_GLOBAL__N_124unique_dim_cuda_templateImEESt5tupleIJNSF_6TensorESK_SK_EERKSK_lbbbEUlllE0_EEPmJS9_EEE10hipError_tPvRmT3_T4_T5_T6_T7_T9_mT8_P12ihipStream_tbDpT10_ENKUlT_T0_E_clISt17integral_constantIbLb0EES1A_EEDaS15_S16_EUlS15_E_NS1_11comp_targetILNS1_3genE3ELNS1_11target_archE908ELNS1_3gpuE7ELNS1_3repE0EEENS1_30default_config_static_selectorELNS0_4arch9wavefront6targetE0EEEvT1_,@function
_ZN7rocprim17ROCPRIM_400000_NS6detail17trampoline_kernelINS0_14default_configENS1_25partition_config_selectorILNS1_17partition_subalgoE9EllbEEZZNS1_14partition_implILS5_9ELb0ES3_jPlS8_PNS0_10empty_typeENS0_5tupleIJS8_S9_EEENSB_IJS8_SA_EEENS0_18inequality_wrapperIZN2at6native12_GLOBAL__N_124unique_dim_cuda_templateImEESt5tupleIJNSF_6TensorESK_SK_EERKSK_lbbbEUlllE0_EEPmJS9_EEE10hipError_tPvRmT3_T4_T5_T6_T7_T9_mT8_P12ihipStream_tbDpT10_ENKUlT_T0_E_clISt17integral_constantIbLb0EES1A_EEDaS15_S16_EUlS15_E_NS1_11comp_targetILNS1_3genE3ELNS1_11target_archE908ELNS1_3gpuE7ELNS1_3repE0EEENS1_30default_config_static_selectorELNS0_4arch9wavefront6targetE0EEEvT1_: ; @_ZN7rocprim17ROCPRIM_400000_NS6detail17trampoline_kernelINS0_14default_configENS1_25partition_config_selectorILNS1_17partition_subalgoE9EllbEEZZNS1_14partition_implILS5_9ELb0ES3_jPlS8_PNS0_10empty_typeENS0_5tupleIJS8_S9_EEENSB_IJS8_SA_EEENS0_18inequality_wrapperIZN2at6native12_GLOBAL__N_124unique_dim_cuda_templateImEESt5tupleIJNSF_6TensorESK_SK_EERKSK_lbbbEUlllE0_EEPmJS9_EEE10hipError_tPvRmT3_T4_T5_T6_T7_T9_mT8_P12ihipStream_tbDpT10_ENKUlT_T0_E_clISt17integral_constantIbLb0EES1A_EEDaS15_S16_EUlS15_E_NS1_11comp_targetILNS1_3genE3ELNS1_11target_archE908ELNS1_3gpuE7ELNS1_3repE0EEENS1_30default_config_static_selectorELNS0_4arch9wavefront6targetE0EEEvT1_
; %bb.0:
	.section	.rodata,"a",@progbits
	.p2align	6, 0x0
	.amdhsa_kernel _ZN7rocprim17ROCPRIM_400000_NS6detail17trampoline_kernelINS0_14default_configENS1_25partition_config_selectorILNS1_17partition_subalgoE9EllbEEZZNS1_14partition_implILS5_9ELb0ES3_jPlS8_PNS0_10empty_typeENS0_5tupleIJS8_S9_EEENSB_IJS8_SA_EEENS0_18inequality_wrapperIZN2at6native12_GLOBAL__N_124unique_dim_cuda_templateImEESt5tupleIJNSF_6TensorESK_SK_EERKSK_lbbbEUlllE0_EEPmJS9_EEE10hipError_tPvRmT3_T4_T5_T6_T7_T9_mT8_P12ihipStream_tbDpT10_ENKUlT_T0_E_clISt17integral_constantIbLb0EES1A_EEDaS15_S16_EUlS15_E_NS1_11comp_targetILNS1_3genE3ELNS1_11target_archE908ELNS1_3gpuE7ELNS1_3repE0EEENS1_30default_config_static_selectorELNS0_4arch9wavefront6targetE0EEEvT1_
		.amdhsa_group_segment_fixed_size 0
		.amdhsa_private_segment_fixed_size 0
		.amdhsa_kernarg_size 120
		.amdhsa_user_sgpr_count 15
		.amdhsa_user_sgpr_dispatch_ptr 0
		.amdhsa_user_sgpr_queue_ptr 0
		.amdhsa_user_sgpr_kernarg_segment_ptr 1
		.amdhsa_user_sgpr_dispatch_id 0
		.amdhsa_user_sgpr_private_segment_size 0
		.amdhsa_wavefront_size32 1
		.amdhsa_uses_dynamic_stack 0
		.amdhsa_enable_private_segment 0
		.amdhsa_system_sgpr_workgroup_id_x 1
		.amdhsa_system_sgpr_workgroup_id_y 0
		.amdhsa_system_sgpr_workgroup_id_z 0
		.amdhsa_system_sgpr_workgroup_info 0
		.amdhsa_system_vgpr_workitem_id 0
		.amdhsa_next_free_vgpr 1
		.amdhsa_next_free_sgpr 1
		.amdhsa_reserve_vcc 0
		.amdhsa_float_round_mode_32 0
		.amdhsa_float_round_mode_16_64 0
		.amdhsa_float_denorm_mode_32 3
		.amdhsa_float_denorm_mode_16_64 3
		.amdhsa_dx10_clamp 1
		.amdhsa_ieee_mode 1
		.amdhsa_fp16_overflow 0
		.amdhsa_workgroup_processor_mode 1
		.amdhsa_memory_ordered 1
		.amdhsa_forward_progress 0
		.amdhsa_shared_vgpr_count 0
		.amdhsa_exception_fp_ieee_invalid_op 0
		.amdhsa_exception_fp_denorm_src 0
		.amdhsa_exception_fp_ieee_div_zero 0
		.amdhsa_exception_fp_ieee_overflow 0
		.amdhsa_exception_fp_ieee_underflow 0
		.amdhsa_exception_fp_ieee_inexact 0
		.amdhsa_exception_int_div_zero 0
	.end_amdhsa_kernel
	.section	.text._ZN7rocprim17ROCPRIM_400000_NS6detail17trampoline_kernelINS0_14default_configENS1_25partition_config_selectorILNS1_17partition_subalgoE9EllbEEZZNS1_14partition_implILS5_9ELb0ES3_jPlS8_PNS0_10empty_typeENS0_5tupleIJS8_S9_EEENSB_IJS8_SA_EEENS0_18inequality_wrapperIZN2at6native12_GLOBAL__N_124unique_dim_cuda_templateImEESt5tupleIJNSF_6TensorESK_SK_EERKSK_lbbbEUlllE0_EEPmJS9_EEE10hipError_tPvRmT3_T4_T5_T6_T7_T9_mT8_P12ihipStream_tbDpT10_ENKUlT_T0_E_clISt17integral_constantIbLb0EES1A_EEDaS15_S16_EUlS15_E_NS1_11comp_targetILNS1_3genE3ELNS1_11target_archE908ELNS1_3gpuE7ELNS1_3repE0EEENS1_30default_config_static_selectorELNS0_4arch9wavefront6targetE0EEEvT1_,"axG",@progbits,_ZN7rocprim17ROCPRIM_400000_NS6detail17trampoline_kernelINS0_14default_configENS1_25partition_config_selectorILNS1_17partition_subalgoE9EllbEEZZNS1_14partition_implILS5_9ELb0ES3_jPlS8_PNS0_10empty_typeENS0_5tupleIJS8_S9_EEENSB_IJS8_SA_EEENS0_18inequality_wrapperIZN2at6native12_GLOBAL__N_124unique_dim_cuda_templateImEESt5tupleIJNSF_6TensorESK_SK_EERKSK_lbbbEUlllE0_EEPmJS9_EEE10hipError_tPvRmT3_T4_T5_T6_T7_T9_mT8_P12ihipStream_tbDpT10_ENKUlT_T0_E_clISt17integral_constantIbLb0EES1A_EEDaS15_S16_EUlS15_E_NS1_11comp_targetILNS1_3genE3ELNS1_11target_archE908ELNS1_3gpuE7ELNS1_3repE0EEENS1_30default_config_static_selectorELNS0_4arch9wavefront6targetE0EEEvT1_,comdat
.Lfunc_end1696:
	.size	_ZN7rocprim17ROCPRIM_400000_NS6detail17trampoline_kernelINS0_14default_configENS1_25partition_config_selectorILNS1_17partition_subalgoE9EllbEEZZNS1_14partition_implILS5_9ELb0ES3_jPlS8_PNS0_10empty_typeENS0_5tupleIJS8_S9_EEENSB_IJS8_SA_EEENS0_18inequality_wrapperIZN2at6native12_GLOBAL__N_124unique_dim_cuda_templateImEESt5tupleIJNSF_6TensorESK_SK_EERKSK_lbbbEUlllE0_EEPmJS9_EEE10hipError_tPvRmT3_T4_T5_T6_T7_T9_mT8_P12ihipStream_tbDpT10_ENKUlT_T0_E_clISt17integral_constantIbLb0EES1A_EEDaS15_S16_EUlS15_E_NS1_11comp_targetILNS1_3genE3ELNS1_11target_archE908ELNS1_3gpuE7ELNS1_3repE0EEENS1_30default_config_static_selectorELNS0_4arch9wavefront6targetE0EEEvT1_, .Lfunc_end1696-_ZN7rocprim17ROCPRIM_400000_NS6detail17trampoline_kernelINS0_14default_configENS1_25partition_config_selectorILNS1_17partition_subalgoE9EllbEEZZNS1_14partition_implILS5_9ELb0ES3_jPlS8_PNS0_10empty_typeENS0_5tupleIJS8_S9_EEENSB_IJS8_SA_EEENS0_18inequality_wrapperIZN2at6native12_GLOBAL__N_124unique_dim_cuda_templateImEESt5tupleIJNSF_6TensorESK_SK_EERKSK_lbbbEUlllE0_EEPmJS9_EEE10hipError_tPvRmT3_T4_T5_T6_T7_T9_mT8_P12ihipStream_tbDpT10_ENKUlT_T0_E_clISt17integral_constantIbLb0EES1A_EEDaS15_S16_EUlS15_E_NS1_11comp_targetILNS1_3genE3ELNS1_11target_archE908ELNS1_3gpuE7ELNS1_3repE0EEENS1_30default_config_static_selectorELNS0_4arch9wavefront6targetE0EEEvT1_
                                        ; -- End function
	.section	.AMDGPU.csdata,"",@progbits
; Kernel info:
; codeLenInByte = 0
; NumSgprs: 0
; NumVgprs: 0
; ScratchSize: 0
; MemoryBound: 0
; FloatMode: 240
; IeeeMode: 1
; LDSByteSize: 0 bytes/workgroup (compile time only)
; SGPRBlocks: 0
; VGPRBlocks: 0
; NumSGPRsForWavesPerEU: 1
; NumVGPRsForWavesPerEU: 1
; Occupancy: 16
; WaveLimiterHint : 0
; COMPUTE_PGM_RSRC2:SCRATCH_EN: 0
; COMPUTE_PGM_RSRC2:USER_SGPR: 15
; COMPUTE_PGM_RSRC2:TRAP_HANDLER: 0
; COMPUTE_PGM_RSRC2:TGID_X_EN: 1
; COMPUTE_PGM_RSRC2:TGID_Y_EN: 0
; COMPUTE_PGM_RSRC2:TGID_Z_EN: 0
; COMPUTE_PGM_RSRC2:TIDIG_COMP_CNT: 0
	.section	.text._ZN7rocprim17ROCPRIM_400000_NS6detail17trampoline_kernelINS0_14default_configENS1_25partition_config_selectorILNS1_17partition_subalgoE9EllbEEZZNS1_14partition_implILS5_9ELb0ES3_jPlS8_PNS0_10empty_typeENS0_5tupleIJS8_S9_EEENSB_IJS8_SA_EEENS0_18inequality_wrapperIZN2at6native12_GLOBAL__N_124unique_dim_cuda_templateImEESt5tupleIJNSF_6TensorESK_SK_EERKSK_lbbbEUlllE0_EEPmJS9_EEE10hipError_tPvRmT3_T4_T5_T6_T7_T9_mT8_P12ihipStream_tbDpT10_ENKUlT_T0_E_clISt17integral_constantIbLb0EES1A_EEDaS15_S16_EUlS15_E_NS1_11comp_targetILNS1_3genE2ELNS1_11target_archE906ELNS1_3gpuE6ELNS1_3repE0EEENS1_30default_config_static_selectorELNS0_4arch9wavefront6targetE0EEEvT1_,"axG",@progbits,_ZN7rocprim17ROCPRIM_400000_NS6detail17trampoline_kernelINS0_14default_configENS1_25partition_config_selectorILNS1_17partition_subalgoE9EllbEEZZNS1_14partition_implILS5_9ELb0ES3_jPlS8_PNS0_10empty_typeENS0_5tupleIJS8_S9_EEENSB_IJS8_SA_EEENS0_18inequality_wrapperIZN2at6native12_GLOBAL__N_124unique_dim_cuda_templateImEESt5tupleIJNSF_6TensorESK_SK_EERKSK_lbbbEUlllE0_EEPmJS9_EEE10hipError_tPvRmT3_T4_T5_T6_T7_T9_mT8_P12ihipStream_tbDpT10_ENKUlT_T0_E_clISt17integral_constantIbLb0EES1A_EEDaS15_S16_EUlS15_E_NS1_11comp_targetILNS1_3genE2ELNS1_11target_archE906ELNS1_3gpuE6ELNS1_3repE0EEENS1_30default_config_static_selectorELNS0_4arch9wavefront6targetE0EEEvT1_,comdat
	.globl	_ZN7rocprim17ROCPRIM_400000_NS6detail17trampoline_kernelINS0_14default_configENS1_25partition_config_selectorILNS1_17partition_subalgoE9EllbEEZZNS1_14partition_implILS5_9ELb0ES3_jPlS8_PNS0_10empty_typeENS0_5tupleIJS8_S9_EEENSB_IJS8_SA_EEENS0_18inequality_wrapperIZN2at6native12_GLOBAL__N_124unique_dim_cuda_templateImEESt5tupleIJNSF_6TensorESK_SK_EERKSK_lbbbEUlllE0_EEPmJS9_EEE10hipError_tPvRmT3_T4_T5_T6_T7_T9_mT8_P12ihipStream_tbDpT10_ENKUlT_T0_E_clISt17integral_constantIbLb0EES1A_EEDaS15_S16_EUlS15_E_NS1_11comp_targetILNS1_3genE2ELNS1_11target_archE906ELNS1_3gpuE6ELNS1_3repE0EEENS1_30default_config_static_selectorELNS0_4arch9wavefront6targetE0EEEvT1_ ; -- Begin function _ZN7rocprim17ROCPRIM_400000_NS6detail17trampoline_kernelINS0_14default_configENS1_25partition_config_selectorILNS1_17partition_subalgoE9EllbEEZZNS1_14partition_implILS5_9ELb0ES3_jPlS8_PNS0_10empty_typeENS0_5tupleIJS8_S9_EEENSB_IJS8_SA_EEENS0_18inequality_wrapperIZN2at6native12_GLOBAL__N_124unique_dim_cuda_templateImEESt5tupleIJNSF_6TensorESK_SK_EERKSK_lbbbEUlllE0_EEPmJS9_EEE10hipError_tPvRmT3_T4_T5_T6_T7_T9_mT8_P12ihipStream_tbDpT10_ENKUlT_T0_E_clISt17integral_constantIbLb0EES1A_EEDaS15_S16_EUlS15_E_NS1_11comp_targetILNS1_3genE2ELNS1_11target_archE906ELNS1_3gpuE6ELNS1_3repE0EEENS1_30default_config_static_selectorELNS0_4arch9wavefront6targetE0EEEvT1_
	.p2align	8
	.type	_ZN7rocprim17ROCPRIM_400000_NS6detail17trampoline_kernelINS0_14default_configENS1_25partition_config_selectorILNS1_17partition_subalgoE9EllbEEZZNS1_14partition_implILS5_9ELb0ES3_jPlS8_PNS0_10empty_typeENS0_5tupleIJS8_S9_EEENSB_IJS8_SA_EEENS0_18inequality_wrapperIZN2at6native12_GLOBAL__N_124unique_dim_cuda_templateImEESt5tupleIJNSF_6TensorESK_SK_EERKSK_lbbbEUlllE0_EEPmJS9_EEE10hipError_tPvRmT3_T4_T5_T6_T7_T9_mT8_P12ihipStream_tbDpT10_ENKUlT_T0_E_clISt17integral_constantIbLb0EES1A_EEDaS15_S16_EUlS15_E_NS1_11comp_targetILNS1_3genE2ELNS1_11target_archE906ELNS1_3gpuE6ELNS1_3repE0EEENS1_30default_config_static_selectorELNS0_4arch9wavefront6targetE0EEEvT1_,@function
_ZN7rocprim17ROCPRIM_400000_NS6detail17trampoline_kernelINS0_14default_configENS1_25partition_config_selectorILNS1_17partition_subalgoE9EllbEEZZNS1_14partition_implILS5_9ELb0ES3_jPlS8_PNS0_10empty_typeENS0_5tupleIJS8_S9_EEENSB_IJS8_SA_EEENS0_18inequality_wrapperIZN2at6native12_GLOBAL__N_124unique_dim_cuda_templateImEESt5tupleIJNSF_6TensorESK_SK_EERKSK_lbbbEUlllE0_EEPmJS9_EEE10hipError_tPvRmT3_T4_T5_T6_T7_T9_mT8_P12ihipStream_tbDpT10_ENKUlT_T0_E_clISt17integral_constantIbLb0EES1A_EEDaS15_S16_EUlS15_E_NS1_11comp_targetILNS1_3genE2ELNS1_11target_archE906ELNS1_3gpuE6ELNS1_3repE0EEENS1_30default_config_static_selectorELNS0_4arch9wavefront6targetE0EEEvT1_: ; @_ZN7rocprim17ROCPRIM_400000_NS6detail17trampoline_kernelINS0_14default_configENS1_25partition_config_selectorILNS1_17partition_subalgoE9EllbEEZZNS1_14partition_implILS5_9ELb0ES3_jPlS8_PNS0_10empty_typeENS0_5tupleIJS8_S9_EEENSB_IJS8_SA_EEENS0_18inequality_wrapperIZN2at6native12_GLOBAL__N_124unique_dim_cuda_templateImEESt5tupleIJNSF_6TensorESK_SK_EERKSK_lbbbEUlllE0_EEPmJS9_EEE10hipError_tPvRmT3_T4_T5_T6_T7_T9_mT8_P12ihipStream_tbDpT10_ENKUlT_T0_E_clISt17integral_constantIbLb0EES1A_EEDaS15_S16_EUlS15_E_NS1_11comp_targetILNS1_3genE2ELNS1_11target_archE906ELNS1_3gpuE6ELNS1_3repE0EEENS1_30default_config_static_selectorELNS0_4arch9wavefront6targetE0EEEvT1_
; %bb.0:
	.section	.rodata,"a",@progbits
	.p2align	6, 0x0
	.amdhsa_kernel _ZN7rocprim17ROCPRIM_400000_NS6detail17trampoline_kernelINS0_14default_configENS1_25partition_config_selectorILNS1_17partition_subalgoE9EllbEEZZNS1_14partition_implILS5_9ELb0ES3_jPlS8_PNS0_10empty_typeENS0_5tupleIJS8_S9_EEENSB_IJS8_SA_EEENS0_18inequality_wrapperIZN2at6native12_GLOBAL__N_124unique_dim_cuda_templateImEESt5tupleIJNSF_6TensorESK_SK_EERKSK_lbbbEUlllE0_EEPmJS9_EEE10hipError_tPvRmT3_T4_T5_T6_T7_T9_mT8_P12ihipStream_tbDpT10_ENKUlT_T0_E_clISt17integral_constantIbLb0EES1A_EEDaS15_S16_EUlS15_E_NS1_11comp_targetILNS1_3genE2ELNS1_11target_archE906ELNS1_3gpuE6ELNS1_3repE0EEENS1_30default_config_static_selectorELNS0_4arch9wavefront6targetE0EEEvT1_
		.amdhsa_group_segment_fixed_size 0
		.amdhsa_private_segment_fixed_size 0
		.amdhsa_kernarg_size 120
		.amdhsa_user_sgpr_count 15
		.amdhsa_user_sgpr_dispatch_ptr 0
		.amdhsa_user_sgpr_queue_ptr 0
		.amdhsa_user_sgpr_kernarg_segment_ptr 1
		.amdhsa_user_sgpr_dispatch_id 0
		.amdhsa_user_sgpr_private_segment_size 0
		.amdhsa_wavefront_size32 1
		.amdhsa_uses_dynamic_stack 0
		.amdhsa_enable_private_segment 0
		.amdhsa_system_sgpr_workgroup_id_x 1
		.amdhsa_system_sgpr_workgroup_id_y 0
		.amdhsa_system_sgpr_workgroup_id_z 0
		.amdhsa_system_sgpr_workgroup_info 0
		.amdhsa_system_vgpr_workitem_id 0
		.amdhsa_next_free_vgpr 1
		.amdhsa_next_free_sgpr 1
		.amdhsa_reserve_vcc 0
		.amdhsa_float_round_mode_32 0
		.amdhsa_float_round_mode_16_64 0
		.amdhsa_float_denorm_mode_32 3
		.amdhsa_float_denorm_mode_16_64 3
		.amdhsa_dx10_clamp 1
		.amdhsa_ieee_mode 1
		.amdhsa_fp16_overflow 0
		.amdhsa_workgroup_processor_mode 1
		.amdhsa_memory_ordered 1
		.amdhsa_forward_progress 0
		.amdhsa_shared_vgpr_count 0
		.amdhsa_exception_fp_ieee_invalid_op 0
		.amdhsa_exception_fp_denorm_src 0
		.amdhsa_exception_fp_ieee_div_zero 0
		.amdhsa_exception_fp_ieee_overflow 0
		.amdhsa_exception_fp_ieee_underflow 0
		.amdhsa_exception_fp_ieee_inexact 0
		.amdhsa_exception_int_div_zero 0
	.end_amdhsa_kernel
	.section	.text._ZN7rocprim17ROCPRIM_400000_NS6detail17trampoline_kernelINS0_14default_configENS1_25partition_config_selectorILNS1_17partition_subalgoE9EllbEEZZNS1_14partition_implILS5_9ELb0ES3_jPlS8_PNS0_10empty_typeENS0_5tupleIJS8_S9_EEENSB_IJS8_SA_EEENS0_18inequality_wrapperIZN2at6native12_GLOBAL__N_124unique_dim_cuda_templateImEESt5tupleIJNSF_6TensorESK_SK_EERKSK_lbbbEUlllE0_EEPmJS9_EEE10hipError_tPvRmT3_T4_T5_T6_T7_T9_mT8_P12ihipStream_tbDpT10_ENKUlT_T0_E_clISt17integral_constantIbLb0EES1A_EEDaS15_S16_EUlS15_E_NS1_11comp_targetILNS1_3genE2ELNS1_11target_archE906ELNS1_3gpuE6ELNS1_3repE0EEENS1_30default_config_static_selectorELNS0_4arch9wavefront6targetE0EEEvT1_,"axG",@progbits,_ZN7rocprim17ROCPRIM_400000_NS6detail17trampoline_kernelINS0_14default_configENS1_25partition_config_selectorILNS1_17partition_subalgoE9EllbEEZZNS1_14partition_implILS5_9ELb0ES3_jPlS8_PNS0_10empty_typeENS0_5tupleIJS8_S9_EEENSB_IJS8_SA_EEENS0_18inequality_wrapperIZN2at6native12_GLOBAL__N_124unique_dim_cuda_templateImEESt5tupleIJNSF_6TensorESK_SK_EERKSK_lbbbEUlllE0_EEPmJS9_EEE10hipError_tPvRmT3_T4_T5_T6_T7_T9_mT8_P12ihipStream_tbDpT10_ENKUlT_T0_E_clISt17integral_constantIbLb0EES1A_EEDaS15_S16_EUlS15_E_NS1_11comp_targetILNS1_3genE2ELNS1_11target_archE906ELNS1_3gpuE6ELNS1_3repE0EEENS1_30default_config_static_selectorELNS0_4arch9wavefront6targetE0EEEvT1_,comdat
.Lfunc_end1697:
	.size	_ZN7rocprim17ROCPRIM_400000_NS6detail17trampoline_kernelINS0_14default_configENS1_25partition_config_selectorILNS1_17partition_subalgoE9EllbEEZZNS1_14partition_implILS5_9ELb0ES3_jPlS8_PNS0_10empty_typeENS0_5tupleIJS8_S9_EEENSB_IJS8_SA_EEENS0_18inequality_wrapperIZN2at6native12_GLOBAL__N_124unique_dim_cuda_templateImEESt5tupleIJNSF_6TensorESK_SK_EERKSK_lbbbEUlllE0_EEPmJS9_EEE10hipError_tPvRmT3_T4_T5_T6_T7_T9_mT8_P12ihipStream_tbDpT10_ENKUlT_T0_E_clISt17integral_constantIbLb0EES1A_EEDaS15_S16_EUlS15_E_NS1_11comp_targetILNS1_3genE2ELNS1_11target_archE906ELNS1_3gpuE6ELNS1_3repE0EEENS1_30default_config_static_selectorELNS0_4arch9wavefront6targetE0EEEvT1_, .Lfunc_end1697-_ZN7rocprim17ROCPRIM_400000_NS6detail17trampoline_kernelINS0_14default_configENS1_25partition_config_selectorILNS1_17partition_subalgoE9EllbEEZZNS1_14partition_implILS5_9ELb0ES3_jPlS8_PNS0_10empty_typeENS0_5tupleIJS8_S9_EEENSB_IJS8_SA_EEENS0_18inequality_wrapperIZN2at6native12_GLOBAL__N_124unique_dim_cuda_templateImEESt5tupleIJNSF_6TensorESK_SK_EERKSK_lbbbEUlllE0_EEPmJS9_EEE10hipError_tPvRmT3_T4_T5_T6_T7_T9_mT8_P12ihipStream_tbDpT10_ENKUlT_T0_E_clISt17integral_constantIbLb0EES1A_EEDaS15_S16_EUlS15_E_NS1_11comp_targetILNS1_3genE2ELNS1_11target_archE906ELNS1_3gpuE6ELNS1_3repE0EEENS1_30default_config_static_selectorELNS0_4arch9wavefront6targetE0EEEvT1_
                                        ; -- End function
	.section	.AMDGPU.csdata,"",@progbits
; Kernel info:
; codeLenInByte = 0
; NumSgprs: 0
; NumVgprs: 0
; ScratchSize: 0
; MemoryBound: 0
; FloatMode: 240
; IeeeMode: 1
; LDSByteSize: 0 bytes/workgroup (compile time only)
; SGPRBlocks: 0
; VGPRBlocks: 0
; NumSGPRsForWavesPerEU: 1
; NumVGPRsForWavesPerEU: 1
; Occupancy: 15
; WaveLimiterHint : 0
; COMPUTE_PGM_RSRC2:SCRATCH_EN: 0
; COMPUTE_PGM_RSRC2:USER_SGPR: 15
; COMPUTE_PGM_RSRC2:TRAP_HANDLER: 0
; COMPUTE_PGM_RSRC2:TGID_X_EN: 1
; COMPUTE_PGM_RSRC2:TGID_Y_EN: 0
; COMPUTE_PGM_RSRC2:TGID_Z_EN: 0
; COMPUTE_PGM_RSRC2:TIDIG_COMP_CNT: 0
	.section	.text._ZN7rocprim17ROCPRIM_400000_NS6detail17trampoline_kernelINS0_14default_configENS1_25partition_config_selectorILNS1_17partition_subalgoE9EllbEEZZNS1_14partition_implILS5_9ELb0ES3_jPlS8_PNS0_10empty_typeENS0_5tupleIJS8_S9_EEENSB_IJS8_SA_EEENS0_18inequality_wrapperIZN2at6native12_GLOBAL__N_124unique_dim_cuda_templateImEESt5tupleIJNSF_6TensorESK_SK_EERKSK_lbbbEUlllE0_EEPmJS9_EEE10hipError_tPvRmT3_T4_T5_T6_T7_T9_mT8_P12ihipStream_tbDpT10_ENKUlT_T0_E_clISt17integral_constantIbLb0EES1A_EEDaS15_S16_EUlS15_E_NS1_11comp_targetILNS1_3genE10ELNS1_11target_archE1200ELNS1_3gpuE4ELNS1_3repE0EEENS1_30default_config_static_selectorELNS0_4arch9wavefront6targetE0EEEvT1_,"axG",@progbits,_ZN7rocprim17ROCPRIM_400000_NS6detail17trampoline_kernelINS0_14default_configENS1_25partition_config_selectorILNS1_17partition_subalgoE9EllbEEZZNS1_14partition_implILS5_9ELb0ES3_jPlS8_PNS0_10empty_typeENS0_5tupleIJS8_S9_EEENSB_IJS8_SA_EEENS0_18inequality_wrapperIZN2at6native12_GLOBAL__N_124unique_dim_cuda_templateImEESt5tupleIJNSF_6TensorESK_SK_EERKSK_lbbbEUlllE0_EEPmJS9_EEE10hipError_tPvRmT3_T4_T5_T6_T7_T9_mT8_P12ihipStream_tbDpT10_ENKUlT_T0_E_clISt17integral_constantIbLb0EES1A_EEDaS15_S16_EUlS15_E_NS1_11comp_targetILNS1_3genE10ELNS1_11target_archE1200ELNS1_3gpuE4ELNS1_3repE0EEENS1_30default_config_static_selectorELNS0_4arch9wavefront6targetE0EEEvT1_,comdat
	.globl	_ZN7rocprim17ROCPRIM_400000_NS6detail17trampoline_kernelINS0_14default_configENS1_25partition_config_selectorILNS1_17partition_subalgoE9EllbEEZZNS1_14partition_implILS5_9ELb0ES3_jPlS8_PNS0_10empty_typeENS0_5tupleIJS8_S9_EEENSB_IJS8_SA_EEENS0_18inequality_wrapperIZN2at6native12_GLOBAL__N_124unique_dim_cuda_templateImEESt5tupleIJNSF_6TensorESK_SK_EERKSK_lbbbEUlllE0_EEPmJS9_EEE10hipError_tPvRmT3_T4_T5_T6_T7_T9_mT8_P12ihipStream_tbDpT10_ENKUlT_T0_E_clISt17integral_constantIbLb0EES1A_EEDaS15_S16_EUlS15_E_NS1_11comp_targetILNS1_3genE10ELNS1_11target_archE1200ELNS1_3gpuE4ELNS1_3repE0EEENS1_30default_config_static_selectorELNS0_4arch9wavefront6targetE0EEEvT1_ ; -- Begin function _ZN7rocprim17ROCPRIM_400000_NS6detail17trampoline_kernelINS0_14default_configENS1_25partition_config_selectorILNS1_17partition_subalgoE9EllbEEZZNS1_14partition_implILS5_9ELb0ES3_jPlS8_PNS0_10empty_typeENS0_5tupleIJS8_S9_EEENSB_IJS8_SA_EEENS0_18inequality_wrapperIZN2at6native12_GLOBAL__N_124unique_dim_cuda_templateImEESt5tupleIJNSF_6TensorESK_SK_EERKSK_lbbbEUlllE0_EEPmJS9_EEE10hipError_tPvRmT3_T4_T5_T6_T7_T9_mT8_P12ihipStream_tbDpT10_ENKUlT_T0_E_clISt17integral_constantIbLb0EES1A_EEDaS15_S16_EUlS15_E_NS1_11comp_targetILNS1_3genE10ELNS1_11target_archE1200ELNS1_3gpuE4ELNS1_3repE0EEENS1_30default_config_static_selectorELNS0_4arch9wavefront6targetE0EEEvT1_
	.p2align	8
	.type	_ZN7rocprim17ROCPRIM_400000_NS6detail17trampoline_kernelINS0_14default_configENS1_25partition_config_selectorILNS1_17partition_subalgoE9EllbEEZZNS1_14partition_implILS5_9ELb0ES3_jPlS8_PNS0_10empty_typeENS0_5tupleIJS8_S9_EEENSB_IJS8_SA_EEENS0_18inequality_wrapperIZN2at6native12_GLOBAL__N_124unique_dim_cuda_templateImEESt5tupleIJNSF_6TensorESK_SK_EERKSK_lbbbEUlllE0_EEPmJS9_EEE10hipError_tPvRmT3_T4_T5_T6_T7_T9_mT8_P12ihipStream_tbDpT10_ENKUlT_T0_E_clISt17integral_constantIbLb0EES1A_EEDaS15_S16_EUlS15_E_NS1_11comp_targetILNS1_3genE10ELNS1_11target_archE1200ELNS1_3gpuE4ELNS1_3repE0EEENS1_30default_config_static_selectorELNS0_4arch9wavefront6targetE0EEEvT1_,@function
_ZN7rocprim17ROCPRIM_400000_NS6detail17trampoline_kernelINS0_14default_configENS1_25partition_config_selectorILNS1_17partition_subalgoE9EllbEEZZNS1_14partition_implILS5_9ELb0ES3_jPlS8_PNS0_10empty_typeENS0_5tupleIJS8_S9_EEENSB_IJS8_SA_EEENS0_18inequality_wrapperIZN2at6native12_GLOBAL__N_124unique_dim_cuda_templateImEESt5tupleIJNSF_6TensorESK_SK_EERKSK_lbbbEUlllE0_EEPmJS9_EEE10hipError_tPvRmT3_T4_T5_T6_T7_T9_mT8_P12ihipStream_tbDpT10_ENKUlT_T0_E_clISt17integral_constantIbLb0EES1A_EEDaS15_S16_EUlS15_E_NS1_11comp_targetILNS1_3genE10ELNS1_11target_archE1200ELNS1_3gpuE4ELNS1_3repE0EEENS1_30default_config_static_selectorELNS0_4arch9wavefront6targetE0EEEvT1_: ; @_ZN7rocprim17ROCPRIM_400000_NS6detail17trampoline_kernelINS0_14default_configENS1_25partition_config_selectorILNS1_17partition_subalgoE9EllbEEZZNS1_14partition_implILS5_9ELb0ES3_jPlS8_PNS0_10empty_typeENS0_5tupleIJS8_S9_EEENSB_IJS8_SA_EEENS0_18inequality_wrapperIZN2at6native12_GLOBAL__N_124unique_dim_cuda_templateImEESt5tupleIJNSF_6TensorESK_SK_EERKSK_lbbbEUlllE0_EEPmJS9_EEE10hipError_tPvRmT3_T4_T5_T6_T7_T9_mT8_P12ihipStream_tbDpT10_ENKUlT_T0_E_clISt17integral_constantIbLb0EES1A_EEDaS15_S16_EUlS15_E_NS1_11comp_targetILNS1_3genE10ELNS1_11target_archE1200ELNS1_3gpuE4ELNS1_3repE0EEENS1_30default_config_static_selectorELNS0_4arch9wavefront6targetE0EEEvT1_
; %bb.0:
	.section	.rodata,"a",@progbits
	.p2align	6, 0x0
	.amdhsa_kernel _ZN7rocprim17ROCPRIM_400000_NS6detail17trampoline_kernelINS0_14default_configENS1_25partition_config_selectorILNS1_17partition_subalgoE9EllbEEZZNS1_14partition_implILS5_9ELb0ES3_jPlS8_PNS0_10empty_typeENS0_5tupleIJS8_S9_EEENSB_IJS8_SA_EEENS0_18inequality_wrapperIZN2at6native12_GLOBAL__N_124unique_dim_cuda_templateImEESt5tupleIJNSF_6TensorESK_SK_EERKSK_lbbbEUlllE0_EEPmJS9_EEE10hipError_tPvRmT3_T4_T5_T6_T7_T9_mT8_P12ihipStream_tbDpT10_ENKUlT_T0_E_clISt17integral_constantIbLb0EES1A_EEDaS15_S16_EUlS15_E_NS1_11comp_targetILNS1_3genE10ELNS1_11target_archE1200ELNS1_3gpuE4ELNS1_3repE0EEENS1_30default_config_static_selectorELNS0_4arch9wavefront6targetE0EEEvT1_
		.amdhsa_group_segment_fixed_size 0
		.amdhsa_private_segment_fixed_size 0
		.amdhsa_kernarg_size 120
		.amdhsa_user_sgpr_count 15
		.amdhsa_user_sgpr_dispatch_ptr 0
		.amdhsa_user_sgpr_queue_ptr 0
		.amdhsa_user_sgpr_kernarg_segment_ptr 1
		.amdhsa_user_sgpr_dispatch_id 0
		.amdhsa_user_sgpr_private_segment_size 0
		.amdhsa_wavefront_size32 1
		.amdhsa_uses_dynamic_stack 0
		.amdhsa_enable_private_segment 0
		.amdhsa_system_sgpr_workgroup_id_x 1
		.amdhsa_system_sgpr_workgroup_id_y 0
		.amdhsa_system_sgpr_workgroup_id_z 0
		.amdhsa_system_sgpr_workgroup_info 0
		.amdhsa_system_vgpr_workitem_id 0
		.amdhsa_next_free_vgpr 1
		.amdhsa_next_free_sgpr 1
		.amdhsa_reserve_vcc 0
		.amdhsa_float_round_mode_32 0
		.amdhsa_float_round_mode_16_64 0
		.amdhsa_float_denorm_mode_32 3
		.amdhsa_float_denorm_mode_16_64 3
		.amdhsa_dx10_clamp 1
		.amdhsa_ieee_mode 1
		.amdhsa_fp16_overflow 0
		.amdhsa_workgroup_processor_mode 1
		.amdhsa_memory_ordered 1
		.amdhsa_forward_progress 0
		.amdhsa_shared_vgpr_count 0
		.amdhsa_exception_fp_ieee_invalid_op 0
		.amdhsa_exception_fp_denorm_src 0
		.amdhsa_exception_fp_ieee_div_zero 0
		.amdhsa_exception_fp_ieee_overflow 0
		.amdhsa_exception_fp_ieee_underflow 0
		.amdhsa_exception_fp_ieee_inexact 0
		.amdhsa_exception_int_div_zero 0
	.end_amdhsa_kernel
	.section	.text._ZN7rocprim17ROCPRIM_400000_NS6detail17trampoline_kernelINS0_14default_configENS1_25partition_config_selectorILNS1_17partition_subalgoE9EllbEEZZNS1_14partition_implILS5_9ELb0ES3_jPlS8_PNS0_10empty_typeENS0_5tupleIJS8_S9_EEENSB_IJS8_SA_EEENS0_18inequality_wrapperIZN2at6native12_GLOBAL__N_124unique_dim_cuda_templateImEESt5tupleIJNSF_6TensorESK_SK_EERKSK_lbbbEUlllE0_EEPmJS9_EEE10hipError_tPvRmT3_T4_T5_T6_T7_T9_mT8_P12ihipStream_tbDpT10_ENKUlT_T0_E_clISt17integral_constantIbLb0EES1A_EEDaS15_S16_EUlS15_E_NS1_11comp_targetILNS1_3genE10ELNS1_11target_archE1200ELNS1_3gpuE4ELNS1_3repE0EEENS1_30default_config_static_selectorELNS0_4arch9wavefront6targetE0EEEvT1_,"axG",@progbits,_ZN7rocprim17ROCPRIM_400000_NS6detail17trampoline_kernelINS0_14default_configENS1_25partition_config_selectorILNS1_17partition_subalgoE9EllbEEZZNS1_14partition_implILS5_9ELb0ES3_jPlS8_PNS0_10empty_typeENS0_5tupleIJS8_S9_EEENSB_IJS8_SA_EEENS0_18inequality_wrapperIZN2at6native12_GLOBAL__N_124unique_dim_cuda_templateImEESt5tupleIJNSF_6TensorESK_SK_EERKSK_lbbbEUlllE0_EEPmJS9_EEE10hipError_tPvRmT3_T4_T5_T6_T7_T9_mT8_P12ihipStream_tbDpT10_ENKUlT_T0_E_clISt17integral_constantIbLb0EES1A_EEDaS15_S16_EUlS15_E_NS1_11comp_targetILNS1_3genE10ELNS1_11target_archE1200ELNS1_3gpuE4ELNS1_3repE0EEENS1_30default_config_static_selectorELNS0_4arch9wavefront6targetE0EEEvT1_,comdat
.Lfunc_end1698:
	.size	_ZN7rocprim17ROCPRIM_400000_NS6detail17trampoline_kernelINS0_14default_configENS1_25partition_config_selectorILNS1_17partition_subalgoE9EllbEEZZNS1_14partition_implILS5_9ELb0ES3_jPlS8_PNS0_10empty_typeENS0_5tupleIJS8_S9_EEENSB_IJS8_SA_EEENS0_18inequality_wrapperIZN2at6native12_GLOBAL__N_124unique_dim_cuda_templateImEESt5tupleIJNSF_6TensorESK_SK_EERKSK_lbbbEUlllE0_EEPmJS9_EEE10hipError_tPvRmT3_T4_T5_T6_T7_T9_mT8_P12ihipStream_tbDpT10_ENKUlT_T0_E_clISt17integral_constantIbLb0EES1A_EEDaS15_S16_EUlS15_E_NS1_11comp_targetILNS1_3genE10ELNS1_11target_archE1200ELNS1_3gpuE4ELNS1_3repE0EEENS1_30default_config_static_selectorELNS0_4arch9wavefront6targetE0EEEvT1_, .Lfunc_end1698-_ZN7rocprim17ROCPRIM_400000_NS6detail17trampoline_kernelINS0_14default_configENS1_25partition_config_selectorILNS1_17partition_subalgoE9EllbEEZZNS1_14partition_implILS5_9ELb0ES3_jPlS8_PNS0_10empty_typeENS0_5tupleIJS8_S9_EEENSB_IJS8_SA_EEENS0_18inequality_wrapperIZN2at6native12_GLOBAL__N_124unique_dim_cuda_templateImEESt5tupleIJNSF_6TensorESK_SK_EERKSK_lbbbEUlllE0_EEPmJS9_EEE10hipError_tPvRmT3_T4_T5_T6_T7_T9_mT8_P12ihipStream_tbDpT10_ENKUlT_T0_E_clISt17integral_constantIbLb0EES1A_EEDaS15_S16_EUlS15_E_NS1_11comp_targetILNS1_3genE10ELNS1_11target_archE1200ELNS1_3gpuE4ELNS1_3repE0EEENS1_30default_config_static_selectorELNS0_4arch9wavefront6targetE0EEEvT1_
                                        ; -- End function
	.section	.AMDGPU.csdata,"",@progbits
; Kernel info:
; codeLenInByte = 0
; NumSgprs: 0
; NumVgprs: 0
; ScratchSize: 0
; MemoryBound: 0
; FloatMode: 240
; IeeeMode: 1
; LDSByteSize: 0 bytes/workgroup (compile time only)
; SGPRBlocks: 0
; VGPRBlocks: 0
; NumSGPRsForWavesPerEU: 1
; NumVGPRsForWavesPerEU: 1
; Occupancy: 15
; WaveLimiterHint : 0
; COMPUTE_PGM_RSRC2:SCRATCH_EN: 0
; COMPUTE_PGM_RSRC2:USER_SGPR: 15
; COMPUTE_PGM_RSRC2:TRAP_HANDLER: 0
; COMPUTE_PGM_RSRC2:TGID_X_EN: 1
; COMPUTE_PGM_RSRC2:TGID_Y_EN: 0
; COMPUTE_PGM_RSRC2:TGID_Z_EN: 0
; COMPUTE_PGM_RSRC2:TIDIG_COMP_CNT: 0
	.section	.text._ZN7rocprim17ROCPRIM_400000_NS6detail17trampoline_kernelINS0_14default_configENS1_25partition_config_selectorILNS1_17partition_subalgoE9EllbEEZZNS1_14partition_implILS5_9ELb0ES3_jPlS8_PNS0_10empty_typeENS0_5tupleIJS8_S9_EEENSB_IJS8_SA_EEENS0_18inequality_wrapperIZN2at6native12_GLOBAL__N_124unique_dim_cuda_templateImEESt5tupleIJNSF_6TensorESK_SK_EERKSK_lbbbEUlllE0_EEPmJS9_EEE10hipError_tPvRmT3_T4_T5_T6_T7_T9_mT8_P12ihipStream_tbDpT10_ENKUlT_T0_E_clISt17integral_constantIbLb0EES1A_EEDaS15_S16_EUlS15_E_NS1_11comp_targetILNS1_3genE9ELNS1_11target_archE1100ELNS1_3gpuE3ELNS1_3repE0EEENS1_30default_config_static_selectorELNS0_4arch9wavefront6targetE0EEEvT1_,"axG",@progbits,_ZN7rocprim17ROCPRIM_400000_NS6detail17trampoline_kernelINS0_14default_configENS1_25partition_config_selectorILNS1_17partition_subalgoE9EllbEEZZNS1_14partition_implILS5_9ELb0ES3_jPlS8_PNS0_10empty_typeENS0_5tupleIJS8_S9_EEENSB_IJS8_SA_EEENS0_18inequality_wrapperIZN2at6native12_GLOBAL__N_124unique_dim_cuda_templateImEESt5tupleIJNSF_6TensorESK_SK_EERKSK_lbbbEUlllE0_EEPmJS9_EEE10hipError_tPvRmT3_T4_T5_T6_T7_T9_mT8_P12ihipStream_tbDpT10_ENKUlT_T0_E_clISt17integral_constantIbLb0EES1A_EEDaS15_S16_EUlS15_E_NS1_11comp_targetILNS1_3genE9ELNS1_11target_archE1100ELNS1_3gpuE3ELNS1_3repE0EEENS1_30default_config_static_selectorELNS0_4arch9wavefront6targetE0EEEvT1_,comdat
	.globl	_ZN7rocprim17ROCPRIM_400000_NS6detail17trampoline_kernelINS0_14default_configENS1_25partition_config_selectorILNS1_17partition_subalgoE9EllbEEZZNS1_14partition_implILS5_9ELb0ES3_jPlS8_PNS0_10empty_typeENS0_5tupleIJS8_S9_EEENSB_IJS8_SA_EEENS0_18inequality_wrapperIZN2at6native12_GLOBAL__N_124unique_dim_cuda_templateImEESt5tupleIJNSF_6TensorESK_SK_EERKSK_lbbbEUlllE0_EEPmJS9_EEE10hipError_tPvRmT3_T4_T5_T6_T7_T9_mT8_P12ihipStream_tbDpT10_ENKUlT_T0_E_clISt17integral_constantIbLb0EES1A_EEDaS15_S16_EUlS15_E_NS1_11comp_targetILNS1_3genE9ELNS1_11target_archE1100ELNS1_3gpuE3ELNS1_3repE0EEENS1_30default_config_static_selectorELNS0_4arch9wavefront6targetE0EEEvT1_ ; -- Begin function _ZN7rocprim17ROCPRIM_400000_NS6detail17trampoline_kernelINS0_14default_configENS1_25partition_config_selectorILNS1_17partition_subalgoE9EllbEEZZNS1_14partition_implILS5_9ELb0ES3_jPlS8_PNS0_10empty_typeENS0_5tupleIJS8_S9_EEENSB_IJS8_SA_EEENS0_18inequality_wrapperIZN2at6native12_GLOBAL__N_124unique_dim_cuda_templateImEESt5tupleIJNSF_6TensorESK_SK_EERKSK_lbbbEUlllE0_EEPmJS9_EEE10hipError_tPvRmT3_T4_T5_T6_T7_T9_mT8_P12ihipStream_tbDpT10_ENKUlT_T0_E_clISt17integral_constantIbLb0EES1A_EEDaS15_S16_EUlS15_E_NS1_11comp_targetILNS1_3genE9ELNS1_11target_archE1100ELNS1_3gpuE3ELNS1_3repE0EEENS1_30default_config_static_selectorELNS0_4arch9wavefront6targetE0EEEvT1_
	.p2align	8
	.type	_ZN7rocprim17ROCPRIM_400000_NS6detail17trampoline_kernelINS0_14default_configENS1_25partition_config_selectorILNS1_17partition_subalgoE9EllbEEZZNS1_14partition_implILS5_9ELb0ES3_jPlS8_PNS0_10empty_typeENS0_5tupleIJS8_S9_EEENSB_IJS8_SA_EEENS0_18inequality_wrapperIZN2at6native12_GLOBAL__N_124unique_dim_cuda_templateImEESt5tupleIJNSF_6TensorESK_SK_EERKSK_lbbbEUlllE0_EEPmJS9_EEE10hipError_tPvRmT3_T4_T5_T6_T7_T9_mT8_P12ihipStream_tbDpT10_ENKUlT_T0_E_clISt17integral_constantIbLb0EES1A_EEDaS15_S16_EUlS15_E_NS1_11comp_targetILNS1_3genE9ELNS1_11target_archE1100ELNS1_3gpuE3ELNS1_3repE0EEENS1_30default_config_static_selectorELNS0_4arch9wavefront6targetE0EEEvT1_,@function
_ZN7rocprim17ROCPRIM_400000_NS6detail17trampoline_kernelINS0_14default_configENS1_25partition_config_selectorILNS1_17partition_subalgoE9EllbEEZZNS1_14partition_implILS5_9ELb0ES3_jPlS8_PNS0_10empty_typeENS0_5tupleIJS8_S9_EEENSB_IJS8_SA_EEENS0_18inequality_wrapperIZN2at6native12_GLOBAL__N_124unique_dim_cuda_templateImEESt5tupleIJNSF_6TensorESK_SK_EERKSK_lbbbEUlllE0_EEPmJS9_EEE10hipError_tPvRmT3_T4_T5_T6_T7_T9_mT8_P12ihipStream_tbDpT10_ENKUlT_T0_E_clISt17integral_constantIbLb0EES1A_EEDaS15_S16_EUlS15_E_NS1_11comp_targetILNS1_3genE9ELNS1_11target_archE1100ELNS1_3gpuE3ELNS1_3repE0EEENS1_30default_config_static_selectorELNS0_4arch9wavefront6targetE0EEEvT1_: ; @_ZN7rocprim17ROCPRIM_400000_NS6detail17trampoline_kernelINS0_14default_configENS1_25partition_config_selectorILNS1_17partition_subalgoE9EllbEEZZNS1_14partition_implILS5_9ELb0ES3_jPlS8_PNS0_10empty_typeENS0_5tupleIJS8_S9_EEENSB_IJS8_SA_EEENS0_18inequality_wrapperIZN2at6native12_GLOBAL__N_124unique_dim_cuda_templateImEESt5tupleIJNSF_6TensorESK_SK_EERKSK_lbbbEUlllE0_EEPmJS9_EEE10hipError_tPvRmT3_T4_T5_T6_T7_T9_mT8_P12ihipStream_tbDpT10_ENKUlT_T0_E_clISt17integral_constantIbLb0EES1A_EEDaS15_S16_EUlS15_E_NS1_11comp_targetILNS1_3genE9ELNS1_11target_archE1100ELNS1_3gpuE3ELNS1_3repE0EEENS1_30default_config_static_selectorELNS0_4arch9wavefront6targetE0EEEvT1_
; %bb.0:
	s_clause 0x3
	s_load_b128 s[4:7], s[0:1], 0x8
	s_load_b32 s8, s[0:1], 0x70
	s_load_b256 s[16:23], s[0:1], 0x40
	s_load_b64 s[24:25], s[0:1], 0x18
	s_mov_b32 s3, 0
	v_lshlrev_b32_e32 v55, 3, v0
	v_lshrrev_b32_e32 v33, 2, v0
	v_or_b32_e32 v38, 0x200, v0
	v_or_b32_e32 v36, 0x400, v0
	;; [unrolled: 1-line block ×7, first 2 shown]
	s_waitcnt lgkmcnt(0)
	s_lshl_b64 s[26:27], s[6:7], 3
	s_delay_alu instid0(SALU_CYCLE_1)
	s_add_u32 s9, s4, s26
	s_addc_u32 s10, s5, s27
	s_add_i32 s11, s8, -1
	s_load_b64 s[12:13], s[18:19], 0x0
	s_lshl_b32 s4, s11, 12
	s_lshl_b32 s5, s8, 12
	s_add_i32 s4, s6, s4
	s_lshl_b32 s2, s15, 12
	s_sub_i32 s28, s20, s4
	s_add_u32 s4, s6, s5
	s_addc_u32 s5, s7, 0
	s_cmp_eq_u32 s15, s11
	v_cmp_ge_u64_e64 s4, s[4:5], s[20:21]
	s_cselect_b32 s14, -1, 0
	s_lshl_b64 s[18:19], s[2:3], 3
	s_mov_b32 s3, -1
	s_delay_alu instid0(VALU_DEP_1) | instskip(NEXT) | instid1(SALU_CYCLE_1)
	s_and_b32 s21, s14, s4
	s_xor_b32 s20, s21, -1
	s_add_u32 s4, s9, s18
	s_addc_u32 s5, s10, s19
	s_and_b32 vcc_lo, exec_lo, s20
	s_cbranch_vccz .LBB1699_2
; %bb.1:
	v_add_co_u32 v9, s2, s4, v55
	s_delay_alu instid0(VALU_DEP_1)
	v_add_co_ci_u32_e64 v10, null, s5, 0, s2
	global_load_b64 v[1:2], v55, s[4:5]
	v_add_co_u32 v3, vcc_lo, v9, 0x2000
	v_add_co_ci_u32_e32 v4, vcc_lo, 0, v10, vcc_lo
	v_add_co_u32 v5, vcc_lo, v9, 0x4000
	v_add_co_ci_u32_e32 v6, vcc_lo, 0, v10, vcc_lo
	;; [unrolled: 2-line block ×4, first 2 shown]
	s_clause 0x6
	global_load_b64 v[11:12], v[3:4], off offset:-4096
	global_load_b64 v[3:4], v[3:4], off
	global_load_b64 v[13:14], v[5:6], off offset:-4096
	global_load_b64 v[5:6], v[5:6], off
	global_load_b64 v[15:16], v[7:8], off offset:-4096
	global_load_b64 v[7:8], v[7:8], off
	global_load_b64 v[9:10], v[9:10], off
	v_lshrrev_b32_e32 v18, 2, v38
	v_lshrrev_b32_e32 v19, 2, v36
	;; [unrolled: 1-line block ×4, first 2 shown]
	v_and_b32_e32 v17, 0x78, v33
	v_lshrrev_b32_e32 v22, 2, v37
	v_lshrrev_b32_e32 v23, 2, v34
	;; [unrolled: 1-line block ×3, first 2 shown]
	v_and_b32_e32 v18, 0xf8, v18
	v_and_b32_e32 v19, 0x178, v19
	;; [unrolled: 1-line block ×4, first 2 shown]
	v_add_nc_u32_e32 v17, v17, v55
	v_and_b32_e32 v22, 0x2f8, v22
	v_and_b32_e32 v23, 0x378, v23
	;; [unrolled: 1-line block ×3, first 2 shown]
	v_add_nc_u32_e32 v18, v18, v55
	v_add_nc_u32_e32 v19, v19, v55
	;; [unrolled: 1-line block ×4, first 2 shown]
	s_mov_b32 s3, 0
	v_add_nc_u32_e32 v22, v22, v55
	v_add_nc_u32_e32 v23, v23, v55
	;; [unrolled: 1-line block ×3, first 2 shown]
	s_waitcnt vmcnt(7)
	ds_store_b64 v17, v[1:2]
	s_waitcnt vmcnt(6)
	ds_store_b64 v18, v[11:12] offset:4096
	s_waitcnt vmcnt(5)
	ds_store_b64 v19, v[3:4] offset:8192
	;; [unrolled: 2-line block ×7, first 2 shown]
	s_waitcnt lgkmcnt(0)
	s_barrier
.LBB1699_2:
	s_load_b128 s[8:11], s[0:1], 0x60
	v_cmp_gt_u32_e64 s2, s28, v0
	s_and_not1_b32 vcc_lo, exec_lo, s3
	s_cbranch_vccnz .LBB1699_20
; %bb.3:
                                        ; implicit-def: $vgpr1_vgpr2_vgpr3_vgpr4_vgpr5_vgpr6_vgpr7_vgpr8_vgpr9_vgpr10_vgpr11_vgpr12_vgpr13_vgpr14_vgpr15_vgpr16
	s_delay_alu instid0(VALU_DEP_1)
	s_and_saveexec_b32 s3, s2
	s_cbranch_execz .LBB1699_11
; %bb.4:
	global_load_b64 v[1:2], v55, s[4:5]
	s_or_b32 exec_lo, exec_lo, s3
	s_delay_alu instid0(SALU_CYCLE_1)
	s_mov_b32 s2, exec_lo
	v_cmpx_gt_u32_e64 s28, v38
	s_cbranch_execnz .LBB1699_12
.LBB1699_5:
	s_or_b32 exec_lo, exec_lo, s2
	s_delay_alu instid0(SALU_CYCLE_1)
	s_mov_b32 s2, exec_lo
	v_cmpx_gt_u32_e64 s28, v36
	s_cbranch_execz .LBB1699_13
.LBB1699_6:
	v_lshlrev_b32_e32 v5, 3, v36
	global_load_b64 v[5:6], v5, s[4:5]
	s_or_b32 exec_lo, exec_lo, s2
	s_delay_alu instid0(SALU_CYCLE_1)
	s_mov_b32 s2, exec_lo
	v_cmpx_gt_u32_e64 s28, v40
	s_cbranch_execnz .LBB1699_14
.LBB1699_7:
	s_or_b32 exec_lo, exec_lo, s2
	s_delay_alu instid0(SALU_CYCLE_1)
	s_mov_b32 s2, exec_lo
	v_cmpx_gt_u32_e64 s28, v39
	s_cbranch_execz .LBB1699_15
.LBB1699_8:
	v_lshlrev_b32_e32 v9, 3, v39
	global_load_b64 v[9:10], v9, s[4:5]
	s_or_b32 exec_lo, exec_lo, s2
	s_delay_alu instid0(SALU_CYCLE_1)
	s_mov_b32 s2, exec_lo
	v_cmpx_gt_u32_e64 s28, v37
	s_cbranch_execnz .LBB1699_16
.LBB1699_9:
	s_or_b32 exec_lo, exec_lo, s2
	s_delay_alu instid0(SALU_CYCLE_1)
	s_mov_b32 s2, exec_lo
	v_cmpx_gt_u32_e64 s28, v34
	s_cbranch_execz .LBB1699_17
.LBB1699_10:
	v_lshlrev_b32_e32 v13, 3, v34
	global_load_b64 v[13:14], v13, s[4:5]
	s_or_b32 exec_lo, exec_lo, s2
	s_delay_alu instid0(SALU_CYCLE_1)
	s_mov_b32 s2, exec_lo
	v_cmpx_gt_u32_e64 s28, v35
	s_cbranch_execnz .LBB1699_18
	s_branch .LBB1699_19
.LBB1699_11:
	s_or_b32 exec_lo, exec_lo, s3
	s_delay_alu instid0(SALU_CYCLE_1)
	s_mov_b32 s2, exec_lo
	v_cmpx_gt_u32_e64 s28, v38
	s_cbranch_execz .LBB1699_5
.LBB1699_12:
	v_lshlrev_b32_e32 v3, 3, v38
	global_load_b64 v[3:4], v3, s[4:5]
	s_or_b32 exec_lo, exec_lo, s2
	s_delay_alu instid0(SALU_CYCLE_1)
	s_mov_b32 s2, exec_lo
	v_cmpx_gt_u32_e64 s28, v36
	s_cbranch_execnz .LBB1699_6
.LBB1699_13:
	s_or_b32 exec_lo, exec_lo, s2
	s_delay_alu instid0(SALU_CYCLE_1)
	s_mov_b32 s2, exec_lo
	v_cmpx_gt_u32_e64 s28, v40
	s_cbranch_execz .LBB1699_7
.LBB1699_14:
	v_lshlrev_b32_e32 v7, 3, v40
	global_load_b64 v[7:8], v7, s[4:5]
	s_or_b32 exec_lo, exec_lo, s2
	s_delay_alu instid0(SALU_CYCLE_1)
	s_mov_b32 s2, exec_lo
	v_cmpx_gt_u32_e64 s28, v39
	s_cbranch_execnz .LBB1699_8
.LBB1699_15:
	s_or_b32 exec_lo, exec_lo, s2
	s_delay_alu instid0(SALU_CYCLE_1)
	s_mov_b32 s2, exec_lo
	v_cmpx_gt_u32_e64 s28, v37
	s_cbranch_execz .LBB1699_9
.LBB1699_16:
	v_lshlrev_b32_e32 v11, 3, v37
	global_load_b64 v[11:12], v11, s[4:5]
	s_or_b32 exec_lo, exec_lo, s2
	s_delay_alu instid0(SALU_CYCLE_1)
	s_mov_b32 s2, exec_lo
	v_cmpx_gt_u32_e64 s28, v34
	s_cbranch_execnz .LBB1699_10
.LBB1699_17:
	s_or_b32 exec_lo, exec_lo, s2
	s_delay_alu instid0(SALU_CYCLE_1)
	s_mov_b32 s2, exec_lo
	v_cmpx_gt_u32_e64 s28, v35
	s_cbranch_execz .LBB1699_19
.LBB1699_18:
	v_lshlrev_b32_e32 v15, 3, v35
	global_load_b64 v[15:16], v15, s[4:5]
.LBB1699_19:
	s_or_b32 exec_lo, exec_lo, s2
	v_lshrrev_b32_e32 v17, 2, v38
	v_lshrrev_b32_e32 v18, 2, v36
	v_lshrrev_b32_e32 v20, 2, v40
	v_lshrrev_b32_e32 v21, 2, v39
	v_and_b32_e32 v19, 0x78, v33
	v_lshrrev_b32_e32 v22, 2, v37
	v_lshrrev_b32_e32 v23, 2, v34
	;; [unrolled: 1-line block ×3, first 2 shown]
	v_and_b32_e32 v17, 0xf8, v17
	v_and_b32_e32 v18, 0x1f8, v18
	;; [unrolled: 1-line block ×4, first 2 shown]
	v_add_nc_u32_e32 v19, v19, v55
	v_and_b32_e32 v22, 0x3f8, v22
	v_and_b32_e32 v23, 0x3f8, v23
	;; [unrolled: 1-line block ×3, first 2 shown]
	v_add_nc_u32_e32 v17, v17, v55
	v_add_nc_u32_e32 v18, v18, v55
	;; [unrolled: 1-line block ×7, first 2 shown]
	s_waitcnt vmcnt(0)
	ds_store_b64 v19, v[1:2]
	ds_store_b64 v17, v[3:4] offset:4096
	ds_store_b64 v18, v[5:6] offset:8192
	;; [unrolled: 1-line block ×7, first 2 shown]
	s_waitcnt lgkmcnt(0)
	s_barrier
.LBB1699_20:
	v_add_lshl_u32 v41, v33, v55, 3
	s_waitcnt lgkmcnt(0)
	buffer_gl0_inv
	s_add_u32 s2, s24, s26
	s_addc_u32 s3, s25, s27
	s_add_u32 s2, s2, s18
	ds_load_2addr_b64 v[29:32], v41 offset1:1
	ds_load_2addr_b64 v[25:28], v41 offset0:2 offset1:3
	ds_load_2addr_b64 v[21:24], v41 offset0:4 offset1:5
	;; [unrolled: 1-line block ×3, first 2 shown]
	s_addc_u32 s3, s3, s19
	s_and_b32 vcc_lo, exec_lo, s20
	s_mov_b32 s18, -1
	s_waitcnt lgkmcnt(0)
	s_barrier
	buffer_gl0_inv
	s_cbranch_vccz .LBB1699_22
; %bb.21:
	v_add_co_u32 v9, s18, s2, v55
	s_delay_alu instid0(VALU_DEP_1)
	v_add_co_ci_u32_e64 v10, null, s3, 0, s18
	global_load_b64 v[1:2], v55, s[2:3]
	v_add_co_u32 v3, vcc_lo, v9, 0x2000
	v_add_co_ci_u32_e32 v4, vcc_lo, 0, v10, vcc_lo
	v_add_co_u32 v5, vcc_lo, v9, 0x4000
	v_add_co_ci_u32_e32 v6, vcc_lo, 0, v10, vcc_lo
	;; [unrolled: 2-line block ×4, first 2 shown]
	s_clause 0x6
	global_load_b64 v[11:12], v[3:4], off offset:-4096
	global_load_b64 v[3:4], v[3:4], off
	global_load_b64 v[13:14], v[5:6], off offset:-4096
	global_load_b64 v[5:6], v[5:6], off
	;; [unrolled: 2-line block ×3, first 2 shown]
	global_load_b64 v[9:10], v[9:10], off
	v_lshrrev_b32_e32 v43, 2, v38
	v_lshrrev_b32_e32 v44, 2, v36
	;; [unrolled: 1-line block ×4, first 2 shown]
	v_and_b32_e32 v42, 0x78, v33
	v_lshrrev_b32_e32 v47, 2, v37
	v_lshrrev_b32_e32 v48, 2, v34
	v_lshrrev_b32_e32 v49, 2, v35
	v_and_b32_e32 v43, 0xf8, v43
	v_and_b32_e32 v44, 0x178, v44
	;; [unrolled: 1-line block ×4, first 2 shown]
	v_add_nc_u32_e32 v42, v42, v55
	v_and_b32_e32 v47, 0x2f8, v47
	v_and_b32_e32 v48, 0x378, v48
	;; [unrolled: 1-line block ×3, first 2 shown]
	v_add_nc_u32_e32 v43, v43, v55
	v_add_nc_u32_e32 v44, v44, v55
	v_add_nc_u32_e32 v45, v45, v55
	v_add_nc_u32_e32 v46, v46, v55
	s_mov_b32 s18, 0
	v_add_nc_u32_e32 v47, v47, v55
	v_add_nc_u32_e32 v48, v48, v55
	;; [unrolled: 1-line block ×3, first 2 shown]
	s_waitcnt vmcnt(7)
	ds_store_b64 v42, v[1:2]
	s_waitcnt vmcnt(6)
	ds_store_b64 v43, v[11:12] offset:4096
	s_waitcnt vmcnt(5)
	ds_store_b64 v44, v[3:4] offset:8192
	;; [unrolled: 2-line block ×7, first 2 shown]
	s_waitcnt lgkmcnt(0)
	s_barrier
.LBB1699_22:
	s_and_not1_b32 vcc_lo, exec_lo, s18
	s_cbranch_vccnz .LBB1699_40
; %bb.23:
	s_mov_b32 s18, exec_lo
                                        ; implicit-def: $vgpr1_vgpr2
	v_cmpx_gt_u32_e64 s28, v0
	s_cbranch_execz .LBB1699_25
; %bb.24:
	global_load_b64 v[1:2], v55, s[2:3]
.LBB1699_25:
	s_or_b32 exec_lo, exec_lo, s18
	s_delay_alu instid0(SALU_CYCLE_1)
	s_mov_b32 s18, exec_lo
                                        ; implicit-def: $vgpr3_vgpr4
	v_cmpx_gt_u32_e64 s28, v38
	s_cbranch_execz .LBB1699_27
; %bb.26:
	v_lshlrev_b32_e32 v3, 3, v38
	global_load_b64 v[3:4], v3, s[2:3]
.LBB1699_27:
	s_or_b32 exec_lo, exec_lo, s18
	s_delay_alu instid0(SALU_CYCLE_1)
	s_mov_b32 s18, exec_lo
                                        ; implicit-def: $vgpr5_vgpr6
	v_cmpx_gt_u32_e64 s28, v36
	s_cbranch_execz .LBB1699_29
; %bb.28:
	v_lshlrev_b32_e32 v5, 3, v36
	global_load_b64 v[5:6], v5, s[2:3]
.LBB1699_29:
	s_or_b32 exec_lo, exec_lo, s18
	s_delay_alu instid0(SALU_CYCLE_1)
	s_mov_b32 s18, exec_lo
                                        ; implicit-def: $vgpr7_vgpr8
	v_cmpx_gt_u32_e64 s28, v40
	s_cbranch_execz .LBB1699_31
; %bb.30:
	v_lshlrev_b32_e32 v7, 3, v40
	global_load_b64 v[7:8], v7, s[2:3]
.LBB1699_31:
	s_or_b32 exec_lo, exec_lo, s18
	s_delay_alu instid0(SALU_CYCLE_1)
	s_mov_b32 s18, exec_lo
                                        ; implicit-def: $vgpr9_vgpr10
	v_cmpx_gt_u32_e64 s28, v39
	s_cbranch_execz .LBB1699_33
; %bb.32:
	v_lshlrev_b32_e32 v9, 3, v39
	global_load_b64 v[9:10], v9, s[2:3]
.LBB1699_33:
	s_or_b32 exec_lo, exec_lo, s18
	s_delay_alu instid0(SALU_CYCLE_1)
	s_mov_b32 s18, exec_lo
                                        ; implicit-def: $vgpr11_vgpr12
	v_cmpx_gt_u32_e64 s28, v37
	s_cbranch_execz .LBB1699_35
; %bb.34:
	v_lshlrev_b32_e32 v11, 3, v37
	global_load_b64 v[11:12], v11, s[2:3]
.LBB1699_35:
	s_or_b32 exec_lo, exec_lo, s18
	s_delay_alu instid0(SALU_CYCLE_1)
	s_mov_b32 s18, exec_lo
                                        ; implicit-def: $vgpr13_vgpr14
	v_cmpx_gt_u32_e64 s28, v34
	s_cbranch_execz .LBB1699_37
; %bb.36:
	v_lshlrev_b32_e32 v13, 3, v34
	global_load_b64 v[13:14], v13, s[2:3]
.LBB1699_37:
	s_or_b32 exec_lo, exec_lo, s18
	s_delay_alu instid0(SALU_CYCLE_1)
	s_mov_b32 s18, exec_lo
                                        ; implicit-def: $vgpr15_vgpr16
	v_cmpx_gt_u32_e64 s28, v35
	s_cbranch_execz .LBB1699_39
; %bb.38:
	v_lshlrev_b32_e32 v15, 3, v35
	global_load_b64 v[15:16], v15, s[2:3]
.LBB1699_39:
	s_or_b32 exec_lo, exec_lo, s18
	v_lshrrev_b32_e32 v38, 2, v38
	v_lshrrev_b32_e32 v36, 2, v36
	;; [unrolled: 1-line block ×4, first 2 shown]
	v_and_b32_e32 v33, 0x78, v33
	v_lshrrev_b32_e32 v37, 2, v37
	v_lshrrev_b32_e32 v34, 2, v34
	;; [unrolled: 1-line block ×3, first 2 shown]
	v_and_b32_e32 v38, 0xf8, v38
	v_and_b32_e32 v36, 0x1f8, v36
	;; [unrolled: 1-line block ×4, first 2 shown]
	v_add_nc_u32_e32 v33, v33, v55
	v_and_b32_e32 v37, 0x3f8, v37
	v_and_b32_e32 v34, 0x3f8, v34
	v_and_b32_e32 v35, 0x3f8, v35
	v_add_nc_u32_e32 v38, v38, v55
	v_add_nc_u32_e32 v36, v36, v55
	;; [unrolled: 1-line block ×7, first 2 shown]
	s_waitcnt vmcnt(0)
	ds_store_b64 v33, v[1:2]
	ds_store_b64 v38, v[3:4] offset:4096
	ds_store_b64 v36, v[5:6] offset:8192
	;; [unrolled: 1-line block ×7, first 2 shown]
	s_waitcnt lgkmcnt(0)
	s_barrier
.LBB1699_40:
	buffer_gl0_inv
	ds_load_2addr_b64 v[13:16], v41 offset1:1
	ds_load_2addr_b64 v[9:12], v41 offset0:2 offset1:3
	ds_load_2addr_b64 v[5:8], v41 offset0:4 offset1:5
	;; [unrolled: 1-line block ×3, first 2 shown]
	s_cmp_lg_u32 s15, 0
	v_cmp_gt_i64_e64 s25, s[22:23], 0
	s_cselect_b32 s24, -1, 0
	s_cmp_lg_u64 s[6:7], 0
	s_mov_b32 s3, 0
	s_cselect_b32 s2, -1, 0
	s_waitcnt lgkmcnt(0)
	s_or_b32 s2, s24, s2
	s_barrier
	s_and_b32 vcc_lo, exec_lo, s2
	buffer_gl0_inv
	s_cbranch_vccz .LBB1699_49
; %bb.41:
	s_add_u32 s2, s4, -8
	s_addc_u32 s3, s5, -1
	v_cndmask_b32_e64 v41, 0, 1, s25
	s_load_b64 s[4:5], s[2:3], 0x0
	s_and_b32 vcc_lo, exec_lo, s20
	ds_store_b64 v55, v[19:20]
	v_cmp_ne_u32_e64 s2, 1, v41
	s_cbranch_vccz .LBB1699_50
; %bb.42:
	v_mul_lo_u32 v35, v18, s22
	v_mul_lo_u32 v36, v17, s23
	v_mad_u64_u32 v[33:34], null, v17, s22, 0
	s_mov_b32 s3, 0
	s_and_b32 vcc_lo, exec_lo, s2
	s_mov_b32 s26, 0
	s_delay_alu instid0(VALU_DEP_1) | instskip(NEXT) | instid1(VALU_DEP_1)
	v_add3_u32 v34, v34, v36, v35
	v_lshlrev_b64 v[33:34], 3, v[33:34]
	s_cbranch_vccnz .LBB1699_53
; %bb.43:
	v_mul_lo_u32 v37, v20, s22
	v_mul_lo_u32 v38, v19, s23
	v_mad_u64_u32 v[35:36], null, v19, s22, 0
	s_mov_b32 s26, -1
	s_mov_b32 s27, exec_lo
	s_delay_alu instid0(VALU_DEP_1) | instskip(SKIP_2) | instid1(VALU_DEP_3)
	v_add3_u32 v36, v36, v38, v37
	v_add_co_u32 v37, vcc_lo, s8, v33
	v_add_co_ci_u32_e32 v38, vcc_lo, s9, v34, vcc_lo
	v_lshlrev_b64 v[35:36], 3, v[35:36]
	s_delay_alu instid0(VALU_DEP_1) | instskip(NEXT) | instid1(VALU_DEP_2)
	v_add_co_u32 v35, vcc_lo, s8, v35
	v_add_co_ci_u32_e32 v36, vcc_lo, s9, v36, vcc_lo
	s_clause 0x1
	global_load_b64 v[39:40], v[37:38], off
	global_load_b64 v[42:43], v[35:36], off
	s_waitcnt vmcnt(0)
	v_cmpx_eq_u64_e64 v[39:40], v[42:43]
	s_cbranch_execz .LBB1699_52
; %bb.44:
	v_add_co_u32 v35, vcc_lo, v35, 8
	v_add_co_ci_u32_e32 v36, vcc_lo, 0, v36, vcc_lo
	v_add_co_u32 v37, vcc_lo, v37, 8
	v_add_co_ci_u32_e32 v38, vcc_lo, 0, v38, vcc_lo
	s_add_u32 s6, s22, -1
	s_addc_u32 s7, s23, -1
	s_mov_b64 s[18:19], 0
	s_mov_b32 s26, 0
                                        ; implicit-def: $sgpr29
	s_set_inst_prefetch_distance 0x1
	s_branch .LBB1699_47
	.p2align	6
.LBB1699_45:                            ;   in Loop: Header=BB1699_47 Depth=1
	global_load_b64 v[39:40], v[37:38], off
	global_load_b64 v[42:43], v[35:36], off
	v_add_co_u32 v35, vcc_lo, v35, 8
	v_add_co_ci_u32_e32 v36, vcc_lo, 0, v36, vcc_lo
	v_add_co_u32 v37, s2, v37, 8
	s_delay_alu instid0(VALU_DEP_1)
	v_add_co_ci_u32_e64 v38, s2, 0, v38, s2
	s_add_u32 s18, s18, 1
	s_addc_u32 s19, s19, 0
	s_and_not1_b32 s2, s29, exec_lo
	s_waitcnt vmcnt(0)
	v_cmp_ne_u64_e32 vcc_lo, v[39:40], v[42:43]
	s_and_b32 s29, vcc_lo, exec_lo
	s_delay_alu instid0(SALU_CYCLE_1)
	s_or_b32 s29, s2, s29
.LBB1699_46:                            ;   in Loop: Header=BB1699_47 Depth=1
	v_dual_mov_b32 v40, s19 :: v_dual_mov_b32 v39, s18
	s_and_b32 s2, exec_lo, s29
	s_delay_alu instid0(SALU_CYCLE_1) | instskip(NEXT) | instid1(SALU_CYCLE_1)
	s_or_b32 s26, s2, s26
	s_and_not1_b32 exec_lo, exec_lo, s26
	s_cbranch_execz .LBB1699_51
.LBB1699_47:                            ; =>This Inner Loop Header: Depth=1
	s_or_b32 s29, s29, exec_lo
	s_cmp_eq_u64 s[6:7], s[18:19]
	s_cbranch_scc0 .LBB1699_45
; %bb.48:                               ;   in Loop: Header=BB1699_47 Depth=1
	s_mov_b64 s[18:19], s[22:23]
                                        ; implicit-def: $vgpr35_vgpr36
                                        ; implicit-def: $vgpr37_vgpr38
	s_branch .LBB1699_46
.LBB1699_49:
                                        ; implicit-def: $sgpr2
                                        ; implicit-def: $vgpr34
	s_branch .LBB1699_211
.LBB1699_50:
                                        ; implicit-def: $sgpr2
                                        ; implicit-def: $vgpr34
	s_cbranch_execnz .LBB1699_119
	s_branch .LBB1699_210
.LBB1699_51:
	s_set_inst_prefetch_distance 0x2
	s_or_b32 exec_lo, exec_lo, s26
	v_cmp_gt_i64_e32 vcc_lo, s[22:23], v[39:40]
	s_or_not1_b32 s26, vcc_lo, exec_lo
.LBB1699_52:
	s_or_b32 exec_lo, exec_lo, s27
.LBB1699_53:
	v_mul_lo_u32 v37, v24, s22
	v_mul_lo_u32 v38, v23, s23
	v_mad_u64_u32 v[35:36], null, v23, s22, 0
	s_and_not1_b32 vcc_lo, exec_lo, s25
	s_delay_alu instid0(VALU_DEP_1) | instskip(NEXT) | instid1(VALU_DEP_1)
	v_add3_u32 v36, v36, v38, v37
	v_lshlrev_b64 v[35:36], 3, v[35:36]
	s_cbranch_vccnz .LBB1699_62
; %bb.54:
	s_delay_alu instid0(VALU_DEP_1) | instskip(NEXT) | instid1(VALU_DEP_2)
	v_add_co_u32 v37, vcc_lo, s8, v35
	v_add_co_ci_u32_e32 v38, vcc_lo, s9, v36, vcc_lo
	v_add_co_u32 v33, vcc_lo, s8, v33
	v_add_co_ci_u32_e32 v34, vcc_lo, s9, v34, vcc_lo
	s_mov_b32 s3, -1
	s_clause 0x1
	global_load_b64 v[39:40], v[37:38], off
	global_load_b64 v[42:43], v[33:34], off
	s_mov_b32 s27, exec_lo
	s_waitcnt vmcnt(0)
	v_cmpx_eq_u64_e64 v[39:40], v[42:43]
	s_cbranch_execz .LBB1699_61
; %bb.55:
	v_add_co_u32 v33, vcc_lo, v33, 8
	v_add_co_ci_u32_e32 v34, vcc_lo, 0, v34, vcc_lo
	v_add_co_u32 v37, vcc_lo, v37, 8
	v_add_co_ci_u32_e32 v38, vcc_lo, 0, v38, vcc_lo
	s_add_u32 s6, s22, -1
	s_addc_u32 s7, s23, -1
	s_mov_b64 s[18:19], 0
	s_mov_b32 s3, 0
                                        ; implicit-def: $sgpr29
	s_set_inst_prefetch_distance 0x1
	s_branch .LBB1699_58
	.p2align	6
.LBB1699_56:                            ;   in Loop: Header=BB1699_58 Depth=1
	global_load_b64 v[39:40], v[37:38], off
	global_load_b64 v[42:43], v[33:34], off
	v_add_co_u32 v33, vcc_lo, v33, 8
	v_add_co_ci_u32_e32 v34, vcc_lo, 0, v34, vcc_lo
	v_add_co_u32 v37, s2, v37, 8
	s_delay_alu instid0(VALU_DEP_1)
	v_add_co_ci_u32_e64 v38, s2, 0, v38, s2
	s_add_u32 s18, s18, 1
	s_addc_u32 s19, s19, 0
	s_and_not1_b32 s2, s29, exec_lo
	s_waitcnt vmcnt(0)
	v_cmp_ne_u64_e32 vcc_lo, v[39:40], v[42:43]
	s_and_b32 s29, vcc_lo, exec_lo
	s_delay_alu instid0(SALU_CYCLE_1)
	s_or_b32 s29, s2, s29
.LBB1699_57:                            ;   in Loop: Header=BB1699_58 Depth=1
	v_dual_mov_b32 v40, s19 :: v_dual_mov_b32 v39, s18
	s_and_b32 s2, exec_lo, s29
	s_delay_alu instid0(SALU_CYCLE_1) | instskip(NEXT) | instid1(SALU_CYCLE_1)
	s_or_b32 s3, s2, s3
	s_and_not1_b32 exec_lo, exec_lo, s3
	s_cbranch_execz .LBB1699_60
.LBB1699_58:                            ; =>This Inner Loop Header: Depth=1
	s_or_b32 s29, s29, exec_lo
	s_cmp_eq_u64 s[6:7], s[18:19]
	s_cbranch_scc0 .LBB1699_56
; %bb.59:                               ;   in Loop: Header=BB1699_58 Depth=1
	s_mov_b64 s[18:19], s[22:23]
                                        ; implicit-def: $vgpr33_vgpr34
                                        ; implicit-def: $vgpr37_vgpr38
	s_branch .LBB1699_57
.LBB1699_60:
	s_set_inst_prefetch_distance 0x2
	s_or_b32 exec_lo, exec_lo, s3
	v_cmp_gt_i64_e32 vcc_lo, s[22:23], v[39:40]
	s_or_not1_b32 s3, vcc_lo, exec_lo
.LBB1699_61:
	s_or_b32 exec_lo, exec_lo, s27
.LBB1699_62:
	v_mul_lo_u32 v37, v22, s22
	v_mul_lo_u32 v38, v21, s23
	v_mad_u64_u32 v[33:34], null, v21, s22, 0
	s_mov_b32 s27, 0
	s_and_not1_b32 vcc_lo, exec_lo, s25
	s_mov_b32 s29, 0
	s_delay_alu instid0(VALU_DEP_1) | instskip(NEXT) | instid1(VALU_DEP_1)
	v_add3_u32 v34, v34, v38, v37
	v_lshlrev_b64 v[37:38], 3, v[33:34]
	s_cbranch_vccnz .LBB1699_71
; %bb.63:
	s_delay_alu instid0(VALU_DEP_1) | instskip(NEXT) | instid1(VALU_DEP_2)
	v_add_co_u32 v39, vcc_lo, s8, v37
	v_add_co_ci_u32_e32 v40, vcc_lo, s9, v38, vcc_lo
	v_add_co_u32 v33, vcc_lo, s8, v35
	v_add_co_ci_u32_e32 v34, vcc_lo, s9, v36, vcc_lo
	s_mov_b32 s29, -1
	s_clause 0x1
	global_load_b64 v[35:36], v[39:40], off
	global_load_b64 v[42:43], v[33:34], off
	s_mov_b32 s30, exec_lo
	s_waitcnt vmcnt(0)
	v_cmpx_eq_u64_e64 v[35:36], v[42:43]
	s_cbranch_execz .LBB1699_70
; %bb.64:
	v_add_co_u32 v33, vcc_lo, v33, 8
	v_add_co_ci_u32_e32 v34, vcc_lo, 0, v34, vcc_lo
	v_add_co_u32 v35, vcc_lo, v39, 8
	v_add_co_ci_u32_e32 v36, vcc_lo, 0, v40, vcc_lo
	s_add_u32 s6, s22, -1
	s_addc_u32 s7, s23, -1
	s_mov_b64 s[18:19], 0
	s_mov_b32 s29, 0
                                        ; implicit-def: $sgpr31
	s_set_inst_prefetch_distance 0x1
	s_branch .LBB1699_67
	.p2align	6
.LBB1699_65:                            ;   in Loop: Header=BB1699_67 Depth=1
	global_load_b64 v[39:40], v[35:36], off
	global_load_b64 v[42:43], v[33:34], off
	v_add_co_u32 v33, vcc_lo, v33, 8
	v_add_co_ci_u32_e32 v34, vcc_lo, 0, v34, vcc_lo
	v_add_co_u32 v35, s2, v35, 8
	s_delay_alu instid0(VALU_DEP_1)
	v_add_co_ci_u32_e64 v36, s2, 0, v36, s2
	s_add_u32 s18, s18, 1
	s_addc_u32 s19, s19, 0
	s_and_not1_b32 s2, s31, exec_lo
	s_waitcnt vmcnt(0)
	v_cmp_ne_u64_e32 vcc_lo, v[39:40], v[42:43]
	s_and_b32 s31, vcc_lo, exec_lo
	s_delay_alu instid0(SALU_CYCLE_1)
	s_or_b32 s31, s2, s31
.LBB1699_66:                            ;   in Loop: Header=BB1699_67 Depth=1
	v_dual_mov_b32 v40, s19 :: v_dual_mov_b32 v39, s18
	s_and_b32 s2, exec_lo, s31
	s_delay_alu instid0(SALU_CYCLE_1) | instskip(NEXT) | instid1(SALU_CYCLE_1)
	s_or_b32 s29, s2, s29
	s_and_not1_b32 exec_lo, exec_lo, s29
	s_cbranch_execz .LBB1699_69
.LBB1699_67:                            ; =>This Inner Loop Header: Depth=1
	s_or_b32 s31, s31, exec_lo
	s_cmp_eq_u64 s[6:7], s[18:19]
	s_cbranch_scc0 .LBB1699_65
; %bb.68:                               ;   in Loop: Header=BB1699_67 Depth=1
	s_mov_b64 s[18:19], s[22:23]
                                        ; implicit-def: $vgpr33_vgpr34
                                        ; implicit-def: $vgpr35_vgpr36
	s_branch .LBB1699_66
.LBB1699_69:
	s_set_inst_prefetch_distance 0x2
	s_or_b32 exec_lo, exec_lo, s29
	v_cmp_gt_i64_e32 vcc_lo, s[22:23], v[39:40]
	s_or_not1_b32 s29, vcc_lo, exec_lo
.LBB1699_70:
	s_or_b32 exec_lo, exec_lo, s30
.LBB1699_71:
	v_mul_lo_u32 v35, v28, s22
	v_mul_lo_u32 v36, v27, s23
	v_mad_u64_u32 v[33:34], null, v27, s22, 0
	s_and_not1_b32 vcc_lo, exec_lo, s25
	s_delay_alu instid0(VALU_DEP_1) | instskip(NEXT) | instid1(VALU_DEP_1)
	v_add3_u32 v34, v34, v36, v35
	v_lshlrev_b64 v[33:34], 3, v[33:34]
	s_cbranch_vccnz .LBB1699_80
; %bb.72:
	s_delay_alu instid0(VALU_DEP_1) | instskip(NEXT) | instid1(VALU_DEP_2)
	v_add_co_u32 v39, vcc_lo, s8, v33
	v_add_co_ci_u32_e32 v40, vcc_lo, s9, v34, vcc_lo
	v_add_co_u32 v35, vcc_lo, s8, v37
	v_add_co_ci_u32_e32 v36, vcc_lo, s9, v38, vcc_lo
	s_mov_b32 s27, -1
	s_clause 0x1
	global_load_b64 v[37:38], v[39:40], off
	global_load_b64 v[42:43], v[35:36], off
	s_mov_b32 s30, exec_lo
	s_waitcnt vmcnt(0)
	v_cmpx_eq_u64_e64 v[37:38], v[42:43]
	s_cbranch_execz .LBB1699_79
; %bb.73:
	v_add_co_u32 v35, vcc_lo, v35, 8
	v_add_co_ci_u32_e32 v36, vcc_lo, 0, v36, vcc_lo
	v_add_co_u32 v37, vcc_lo, v39, 8
	v_add_co_ci_u32_e32 v38, vcc_lo, 0, v40, vcc_lo
	s_add_u32 s6, s22, -1
	s_addc_u32 s7, s23, -1
	s_mov_b64 s[18:19], 0
	s_mov_b32 s27, 0
                                        ; implicit-def: $sgpr31
	s_set_inst_prefetch_distance 0x1
	s_branch .LBB1699_76
	.p2align	6
.LBB1699_74:                            ;   in Loop: Header=BB1699_76 Depth=1
	global_load_b64 v[39:40], v[37:38], off
	global_load_b64 v[42:43], v[35:36], off
	v_add_co_u32 v35, vcc_lo, v35, 8
	v_add_co_ci_u32_e32 v36, vcc_lo, 0, v36, vcc_lo
	v_add_co_u32 v37, s2, v37, 8
	s_delay_alu instid0(VALU_DEP_1)
	v_add_co_ci_u32_e64 v38, s2, 0, v38, s2
	s_add_u32 s18, s18, 1
	s_addc_u32 s19, s19, 0
	s_and_not1_b32 s2, s31, exec_lo
	s_waitcnt vmcnt(0)
	v_cmp_ne_u64_e32 vcc_lo, v[39:40], v[42:43]
	s_and_b32 s31, vcc_lo, exec_lo
	s_delay_alu instid0(SALU_CYCLE_1)
	s_or_b32 s31, s2, s31
.LBB1699_75:                            ;   in Loop: Header=BB1699_76 Depth=1
	v_dual_mov_b32 v40, s19 :: v_dual_mov_b32 v39, s18
	s_and_b32 s2, exec_lo, s31
	s_delay_alu instid0(SALU_CYCLE_1) | instskip(NEXT) | instid1(SALU_CYCLE_1)
	s_or_b32 s27, s2, s27
	s_and_not1_b32 exec_lo, exec_lo, s27
	s_cbranch_execz .LBB1699_78
.LBB1699_76:                            ; =>This Inner Loop Header: Depth=1
	s_or_b32 s31, s31, exec_lo
	s_cmp_eq_u64 s[6:7], s[18:19]
	s_cbranch_scc0 .LBB1699_74
; %bb.77:                               ;   in Loop: Header=BB1699_76 Depth=1
	s_mov_b64 s[18:19], s[22:23]
                                        ; implicit-def: $vgpr35_vgpr36
                                        ; implicit-def: $vgpr37_vgpr38
	s_branch .LBB1699_75
.LBB1699_78:
	s_set_inst_prefetch_distance 0x2
	s_or_b32 exec_lo, exec_lo, s27
	v_cmp_gt_i64_e32 vcc_lo, s[22:23], v[39:40]
	s_or_not1_b32 s27, vcc_lo, exec_lo
.LBB1699_79:
	s_or_b32 exec_lo, exec_lo, s30
.LBB1699_80:
	v_mul_lo_u32 v37, v26, s22
	v_mul_lo_u32 v38, v25, s23
	v_mad_u64_u32 v[35:36], null, v25, s22, 0
	s_mov_b32 s30, 0
	s_and_not1_b32 vcc_lo, exec_lo, s25
	s_mov_b32 s31, 0
	s_delay_alu instid0(VALU_DEP_1) | instskip(NEXT) | instid1(VALU_DEP_1)
	v_add3_u32 v36, v36, v38, v37
	v_lshlrev_b64 v[37:38], 3, v[35:36]
	s_cbranch_vccnz .LBB1699_89
; %bb.81:
	s_delay_alu instid0(VALU_DEP_1) | instskip(NEXT) | instid1(VALU_DEP_2)
	v_add_co_u32 v35, vcc_lo, s8, v37
	v_add_co_ci_u32_e32 v36, vcc_lo, s9, v38, vcc_lo
	v_add_co_u32 v33, vcc_lo, s8, v33
	v_add_co_ci_u32_e32 v34, vcc_lo, s9, v34, vcc_lo
	s_mov_b32 s31, -1
	s_clause 0x1
	global_load_b64 v[39:40], v[35:36], off
	global_load_b64 v[42:43], v[33:34], off
	s_mov_b32 s33, exec_lo
	s_waitcnt vmcnt(0)
	v_cmpx_eq_u64_e64 v[39:40], v[42:43]
	s_cbranch_execz .LBB1699_88
; %bb.82:
	v_add_co_u32 v33, vcc_lo, v33, 8
	v_add_co_ci_u32_e32 v34, vcc_lo, 0, v34, vcc_lo
	v_add_co_u32 v35, vcc_lo, v35, 8
	v_add_co_ci_u32_e32 v36, vcc_lo, 0, v36, vcc_lo
	s_add_u32 s6, s22, -1
	s_addc_u32 s7, s23, -1
	s_mov_b64 s[18:19], 0
	s_mov_b32 s31, 0
                                        ; implicit-def: $sgpr34
	s_set_inst_prefetch_distance 0x1
	s_branch .LBB1699_85
	.p2align	6
.LBB1699_83:                            ;   in Loop: Header=BB1699_85 Depth=1
	global_load_b64 v[39:40], v[35:36], off
	global_load_b64 v[42:43], v[33:34], off
	v_add_co_u32 v33, vcc_lo, v33, 8
	v_add_co_ci_u32_e32 v34, vcc_lo, 0, v34, vcc_lo
	v_add_co_u32 v35, s2, v35, 8
	s_delay_alu instid0(VALU_DEP_1)
	v_add_co_ci_u32_e64 v36, s2, 0, v36, s2
	s_add_u32 s18, s18, 1
	s_addc_u32 s19, s19, 0
	s_and_not1_b32 s2, s34, exec_lo
	s_waitcnt vmcnt(0)
	v_cmp_ne_u64_e32 vcc_lo, v[39:40], v[42:43]
	s_and_b32 s34, vcc_lo, exec_lo
	s_delay_alu instid0(SALU_CYCLE_1)
	s_or_b32 s34, s2, s34
.LBB1699_84:                            ;   in Loop: Header=BB1699_85 Depth=1
	v_dual_mov_b32 v40, s19 :: v_dual_mov_b32 v39, s18
	s_and_b32 s2, exec_lo, s34
	s_delay_alu instid0(SALU_CYCLE_1) | instskip(NEXT) | instid1(SALU_CYCLE_1)
	s_or_b32 s31, s2, s31
	s_and_not1_b32 exec_lo, exec_lo, s31
	s_cbranch_execz .LBB1699_87
.LBB1699_85:                            ; =>This Inner Loop Header: Depth=1
	s_or_b32 s34, s34, exec_lo
	s_cmp_eq_u64 s[6:7], s[18:19]
	s_cbranch_scc0 .LBB1699_83
; %bb.86:                               ;   in Loop: Header=BB1699_85 Depth=1
	s_mov_b64 s[18:19], s[22:23]
                                        ; implicit-def: $vgpr33_vgpr34
                                        ; implicit-def: $vgpr35_vgpr36
	s_branch .LBB1699_84
.LBB1699_87:
	s_set_inst_prefetch_distance 0x2
	s_or_b32 exec_lo, exec_lo, s31
	v_cmp_gt_i64_e32 vcc_lo, s[22:23], v[39:40]
	s_or_not1_b32 s31, vcc_lo, exec_lo
.LBB1699_88:
	s_or_b32 exec_lo, exec_lo, s33
.LBB1699_89:
	v_mul_lo_u32 v35, v32, s22
	v_mul_lo_u32 v36, v31, s23
	v_mad_u64_u32 v[33:34], null, v31, s22, 0
	s_and_not1_b32 vcc_lo, exec_lo, s25
	s_delay_alu instid0(VALU_DEP_1) | instskip(NEXT) | instid1(VALU_DEP_1)
	v_add3_u32 v34, v34, v36, v35
	v_lshlrev_b64 v[35:36], 3, v[33:34]
	s_cbranch_vccnz .LBB1699_98
; %bb.90:
	s_delay_alu instid0(VALU_DEP_1) | instskip(NEXT) | instid1(VALU_DEP_2)
	v_add_co_u32 v39, vcc_lo, s8, v35
	v_add_co_ci_u32_e32 v40, vcc_lo, s9, v36, vcc_lo
	v_add_co_u32 v33, vcc_lo, s8, v37
	v_add_co_ci_u32_e32 v34, vcc_lo, s9, v38, vcc_lo
	s_mov_b32 s30, -1
	s_clause 0x1
	global_load_b64 v[37:38], v[39:40], off
	global_load_b64 v[42:43], v[33:34], off
	s_mov_b32 s33, exec_lo
	s_waitcnt vmcnt(0)
	v_cmpx_eq_u64_e64 v[37:38], v[42:43]
	s_cbranch_execz .LBB1699_97
; %bb.91:
	v_add_co_u32 v33, vcc_lo, v33, 8
	v_add_co_ci_u32_e32 v34, vcc_lo, 0, v34, vcc_lo
	v_add_co_u32 v37, vcc_lo, v39, 8
	v_add_co_ci_u32_e32 v38, vcc_lo, 0, v40, vcc_lo
	s_add_u32 s6, s22, -1
	s_addc_u32 s7, s23, -1
	s_mov_b64 s[18:19], 0
	s_mov_b32 s30, 0
                                        ; implicit-def: $sgpr34
	s_set_inst_prefetch_distance 0x1
	s_branch .LBB1699_94
	.p2align	6
.LBB1699_92:                            ;   in Loop: Header=BB1699_94 Depth=1
	global_load_b64 v[39:40], v[37:38], off
	global_load_b64 v[42:43], v[33:34], off
	v_add_co_u32 v33, vcc_lo, v33, 8
	v_add_co_ci_u32_e32 v34, vcc_lo, 0, v34, vcc_lo
	v_add_co_u32 v37, s2, v37, 8
	s_delay_alu instid0(VALU_DEP_1)
	v_add_co_ci_u32_e64 v38, s2, 0, v38, s2
	s_add_u32 s18, s18, 1
	s_addc_u32 s19, s19, 0
	s_and_not1_b32 s2, s34, exec_lo
	s_waitcnt vmcnt(0)
	v_cmp_ne_u64_e32 vcc_lo, v[39:40], v[42:43]
	s_and_b32 s34, vcc_lo, exec_lo
	s_delay_alu instid0(SALU_CYCLE_1)
	s_or_b32 s34, s2, s34
.LBB1699_93:                            ;   in Loop: Header=BB1699_94 Depth=1
	v_dual_mov_b32 v40, s19 :: v_dual_mov_b32 v39, s18
	s_and_b32 s2, exec_lo, s34
	s_delay_alu instid0(SALU_CYCLE_1) | instskip(NEXT) | instid1(SALU_CYCLE_1)
	s_or_b32 s30, s2, s30
	s_and_not1_b32 exec_lo, exec_lo, s30
	s_cbranch_execz .LBB1699_96
.LBB1699_94:                            ; =>This Inner Loop Header: Depth=1
	s_or_b32 s34, s34, exec_lo
	s_cmp_eq_u64 s[6:7], s[18:19]
	s_cbranch_scc0 .LBB1699_92
; %bb.95:                               ;   in Loop: Header=BB1699_94 Depth=1
	s_mov_b64 s[18:19], s[22:23]
                                        ; implicit-def: $vgpr33_vgpr34
                                        ; implicit-def: $vgpr37_vgpr38
	s_branch .LBB1699_93
.LBB1699_96:
	s_set_inst_prefetch_distance 0x2
	s_or_b32 exec_lo, exec_lo, s30
	v_cmp_gt_i64_e32 vcc_lo, s[22:23], v[39:40]
	s_or_not1_b32 s30, vcc_lo, exec_lo
.LBB1699_97:
	s_or_b32 exec_lo, exec_lo, s33
.LBB1699_98:
	v_mul_lo_u32 v37, v30, s22
	v_mul_lo_u32 v38, v29, s23
	v_mad_u64_u32 v[33:34], null, v29, s22, 0
	s_and_not1_b32 vcc_lo, exec_lo, s25
	s_mov_b32 s2, 0
	s_delay_alu instid0(VALU_DEP_1) | instskip(NEXT) | instid1(VALU_DEP_1)
	v_add3_u32 v34, v34, v38, v37
	v_lshlrev_b64 v[33:34], 3, v[33:34]
	s_cbranch_vccnz .LBB1699_107
; %bb.99:
	s_delay_alu instid0(VALU_DEP_1) | instskip(NEXT) | instid1(VALU_DEP_2)
	v_add_co_u32 v37, vcc_lo, s8, v33
	v_add_co_ci_u32_e32 v38, vcc_lo, s9, v34, vcc_lo
	v_add_co_u32 v35, vcc_lo, s8, v35
	v_add_co_ci_u32_e32 v36, vcc_lo, s9, v36, vcc_lo
	s_mov_b32 s2, -1
	s_clause 0x1
	global_load_b64 v[39:40], v[37:38], off
	global_load_b64 v[42:43], v[35:36], off
	s_mov_b32 s33, exec_lo
	s_waitcnt vmcnt(0)
	v_cmpx_eq_u64_e64 v[39:40], v[42:43]
	s_cbranch_execz .LBB1699_106
; %bb.100:
	v_add_co_u32 v35, vcc_lo, v35, 8
	v_add_co_ci_u32_e32 v36, vcc_lo, 0, v36, vcc_lo
	v_add_co_u32 v37, vcc_lo, v37, 8
	v_add_co_ci_u32_e32 v38, vcc_lo, 0, v38, vcc_lo
	s_add_u32 s6, s22, -1
	s_addc_u32 s7, s23, -1
	s_mov_b64 s[18:19], 0
	s_mov_b32 s34, 0
                                        ; implicit-def: $sgpr35
	s_set_inst_prefetch_distance 0x1
	s_branch .LBB1699_103
	.p2align	6
.LBB1699_101:                           ;   in Loop: Header=BB1699_103 Depth=1
	global_load_b64 v[39:40], v[37:38], off
	global_load_b64 v[42:43], v[35:36], off
	v_add_co_u32 v35, vcc_lo, v35, 8
	v_add_co_ci_u32_e32 v36, vcc_lo, 0, v36, vcc_lo
	v_add_co_u32 v37, s2, v37, 8
	s_delay_alu instid0(VALU_DEP_1)
	v_add_co_ci_u32_e64 v38, s2, 0, v38, s2
	s_add_u32 s18, s18, 1
	s_addc_u32 s19, s19, 0
	s_and_not1_b32 s2, s35, exec_lo
	s_waitcnt vmcnt(0)
	v_cmp_ne_u64_e32 vcc_lo, v[39:40], v[42:43]
	s_and_b32 s35, vcc_lo, exec_lo
	s_delay_alu instid0(SALU_CYCLE_1)
	s_or_b32 s35, s2, s35
.LBB1699_102:                           ;   in Loop: Header=BB1699_103 Depth=1
	v_dual_mov_b32 v40, s19 :: v_dual_mov_b32 v39, s18
	s_and_b32 s2, exec_lo, s35
	s_delay_alu instid0(SALU_CYCLE_1) | instskip(NEXT) | instid1(SALU_CYCLE_1)
	s_or_b32 s34, s2, s34
	s_and_not1_b32 exec_lo, exec_lo, s34
	s_cbranch_execz .LBB1699_105
.LBB1699_103:                           ; =>This Inner Loop Header: Depth=1
	s_or_b32 s35, s35, exec_lo
	s_cmp_eq_u64 s[6:7], s[18:19]
	s_cbranch_scc0 .LBB1699_101
; %bb.104:                              ;   in Loop: Header=BB1699_103 Depth=1
	s_mov_b64 s[18:19], s[22:23]
                                        ; implicit-def: $vgpr35_vgpr36
                                        ; implicit-def: $vgpr37_vgpr38
	s_branch .LBB1699_102
.LBB1699_105:
	s_set_inst_prefetch_distance 0x2
	s_or_b32 exec_lo, exec_lo, s34
	v_cmp_gt_i64_e32 vcc_lo, s[22:23], v[39:40]
	s_or_not1_b32 s2, vcc_lo, exec_lo
.LBB1699_106:
	s_or_b32 exec_lo, exec_lo, s33
.LBB1699_107:
	s_waitcnt lgkmcnt(0)
	v_dual_mov_b32 v36, s5 :: v_dual_mov_b32 v35, s4
	s_mov_b32 s6, exec_lo
	s_barrier
	buffer_gl0_inv
	v_cmpx_ne_u32_e32 0, v0
	s_cbranch_execz .LBB1699_109
; %bb.108:
	v_add_nc_u32_e32 v35, -8, v55
	ds_load_b64 v[35:36], v35
.LBB1699_109:
	s_or_b32 exec_lo, exec_lo, s6
	v_cndmask_b32_e64 v38, 0, 1, s31
	v_cndmask_b32_e64 v40, 0, 1, s29
	;; [unrolled: 1-line block ×7, first 2 shown]
	v_lshlrev_b16 v38, 8, v38
	v_lshlrev_b16 v40, 8, v40
	;; [unrolled: 1-line block ×4, first 2 shown]
	s_mov_b32 s3, 0
	v_or_b32_e32 v37, v37, v38
	v_or_b32_e32 v38, v39, v40
	;; [unrolled: 1-line block ×3, first 2 shown]
	v_and_b32_e32 v39, 0xffff, v43
	s_and_not1_b32 vcc_lo, exec_lo, s25
	v_lshlrev_b32_e32 v40, 16, v37
	v_and_b32_e32 v42, 0xffff, v38
	v_lshlrev_b32_e32 v43, 16, v44
	s_mov_b32 s2, 0
	s_cbranch_vccnz .LBB1699_118
; %bb.110:
	s_waitcnt lgkmcnt(0)
	v_mul_lo_u32 v38, v36, s22
	v_mul_lo_u32 v44, v35, s23
	v_mad_u64_u32 v[36:37], null, v35, s22, 0
	s_mov_b32 s2, -1
	s_mov_b32 s26, exec_lo
	s_delay_alu instid0(VALU_DEP_1) | instskip(NEXT) | instid1(VALU_DEP_1)
	v_add3_u32 v37, v37, v44, v38
	v_lshlrev_b64 v[35:36], 3, v[36:37]
	s_delay_alu instid0(VALU_DEP_1) | instskip(NEXT) | instid1(VALU_DEP_2)
	v_add_co_u32 v35, vcc_lo, s8, v35
	v_add_co_ci_u32_e32 v36, vcc_lo, s9, v36, vcc_lo
	v_add_co_u32 v33, vcc_lo, s8, v33
	v_add_co_ci_u32_e32 v34, vcc_lo, s9, v34, vcc_lo
	s_clause 0x1
	global_load_b64 v[37:38], v[35:36], off
	global_load_b64 v[44:45], v[33:34], off
	s_waitcnt vmcnt(0)
	v_cmpx_eq_u64_e64 v[37:38], v[44:45]
	s_cbranch_execz .LBB1699_117
; %bb.111:
	v_add_co_u32 v33, vcc_lo, v33, 8
	v_add_co_ci_u32_e32 v34, vcc_lo, 0, v34, vcc_lo
	v_add_co_u32 v35, vcc_lo, v35, 8
	v_add_co_ci_u32_e32 v36, vcc_lo, 0, v36, vcc_lo
	s_add_u32 s6, s22, -1
	s_addc_u32 s7, s23, -1
	s_mov_b64 s[18:19], 0
	s_mov_b32 s27, 0
                                        ; implicit-def: $sgpr29
	s_set_inst_prefetch_distance 0x1
	s_branch .LBB1699_114
	.p2align	6
.LBB1699_112:                           ;   in Loop: Header=BB1699_114 Depth=1
	global_load_b64 v[37:38], v[35:36], off
	global_load_b64 v[44:45], v[33:34], off
	v_add_co_u32 v33, vcc_lo, v33, 8
	v_add_co_ci_u32_e32 v34, vcc_lo, 0, v34, vcc_lo
	v_add_co_u32 v35, s2, v35, 8
	s_delay_alu instid0(VALU_DEP_1)
	v_add_co_ci_u32_e64 v36, s2, 0, v36, s2
	s_add_u32 s18, s18, 1
	s_addc_u32 s19, s19, 0
	s_and_not1_b32 s2, s29, exec_lo
	s_waitcnt vmcnt(0)
	v_cmp_ne_u64_e32 vcc_lo, v[37:38], v[44:45]
	s_and_b32 s29, vcc_lo, exec_lo
	s_delay_alu instid0(SALU_CYCLE_1)
	s_or_b32 s29, s2, s29
.LBB1699_113:                           ;   in Loop: Header=BB1699_114 Depth=1
	v_dual_mov_b32 v38, s19 :: v_dual_mov_b32 v37, s18
	s_and_b32 s2, exec_lo, s29
	s_delay_alu instid0(SALU_CYCLE_1) | instskip(NEXT) | instid1(SALU_CYCLE_1)
	s_or_b32 s27, s2, s27
	s_and_not1_b32 exec_lo, exec_lo, s27
	s_cbranch_execz .LBB1699_116
.LBB1699_114:                           ; =>This Inner Loop Header: Depth=1
	s_or_b32 s29, s29, exec_lo
	s_cmp_eq_u64 s[6:7], s[18:19]
	s_cbranch_scc0 .LBB1699_112
; %bb.115:                              ;   in Loop: Header=BB1699_114 Depth=1
	s_mov_b64 s[18:19], s[22:23]
                                        ; implicit-def: $vgpr33_vgpr34
                                        ; implicit-def: $vgpr35_vgpr36
	s_branch .LBB1699_113
.LBB1699_116:
	s_set_inst_prefetch_distance 0x2
	s_or_b32 exec_lo, exec_lo, s27
	v_cmp_gt_i64_e32 vcc_lo, s[22:23], v[37:38]
	s_or_not1_b32 s2, vcc_lo, exec_lo
.LBB1699_117:
	s_or_b32 exec_lo, exec_lo, s26
.LBB1699_118:
	v_or_b32_e32 v33, v39, v40
	s_delay_alu instid0(VALU_DEP_2)
	v_or_b32_e32 v34, v42, v43
	s_and_b32 vcc_lo, exec_lo, s3
	s_cbranch_vccz .LBB1699_210
.LBB1699_119:
	v_or_b32_e32 v33, 7, v55
	s_mov_b32 s3, 0
	s_mov_b32 s26, 0
	s_mov_b32 s27, exec_lo
	s_delay_alu instid0(VALU_DEP_1)
	v_cmpx_gt_u32_e64 s28, v33
	s_cbranch_execz .LBB1699_130
; %bb.120:
	s_and_not1_b32 vcc_lo, exec_lo, s25
	s_mov_b32 s2, 0
	s_cbranch_vccnz .LBB1699_129
; %bb.121:
	v_mul_lo_u32 v37, v18, s22
	v_mul_lo_u32 v38, v17, s23
	v_mad_u64_u32 v[33:34], null, v17, s22, 0
	v_mul_lo_u32 v39, v20, s22
	v_mul_lo_u32 v40, v19, s23
	s_waitcnt lgkmcnt(0)
	v_mad_u64_u32 v[35:36], null, v19, s22, 0
	s_mov_b32 s2, -1
	s_mov_b32 s25, exec_lo
	s_delay_alu instid0(VALU_DEP_4) | instskip(NEXT) | instid1(VALU_DEP_2)
	v_add3_u32 v34, v34, v38, v37
	v_add3_u32 v36, v36, v40, v39
	s_delay_alu instid0(VALU_DEP_2) | instskip(NEXT) | instid1(VALU_DEP_2)
	v_lshlrev_b64 v[33:34], 3, v[33:34]
	v_lshlrev_b64 v[37:38], 3, v[35:36]
	s_delay_alu instid0(VALU_DEP_2) | instskip(NEXT) | instid1(VALU_DEP_3)
	v_add_co_u32 v35, vcc_lo, s8, v33
	v_add_co_ci_u32_e32 v36, vcc_lo, s9, v34, vcc_lo
	s_delay_alu instid0(VALU_DEP_3) | instskip(NEXT) | instid1(VALU_DEP_4)
	v_add_co_u32 v33, vcc_lo, s8, v37
	v_add_co_ci_u32_e32 v34, vcc_lo, s9, v38, vcc_lo
	s_clause 0x1
	global_load_b64 v[37:38], v[35:36], off
	global_load_b64 v[39:40], v[33:34], off
	s_waitcnt vmcnt(0)
	v_cmpx_eq_u64_e64 v[37:38], v[39:40]
	s_cbranch_execz .LBB1699_128
; %bb.122:
	v_add_co_u32 v33, vcc_lo, v33, 8
	v_add_co_ci_u32_e32 v34, vcc_lo, 0, v34, vcc_lo
	v_add_co_u32 v35, vcc_lo, v35, 8
	v_add_co_ci_u32_e32 v36, vcc_lo, 0, v36, vcc_lo
	s_add_u32 s6, s22, -1
	s_addc_u32 s7, s23, -1
	s_mov_b64 s[18:19], 0
                                        ; implicit-def: $sgpr29
	s_set_inst_prefetch_distance 0x1
	s_branch .LBB1699_125
	.p2align	6
.LBB1699_123:                           ;   in Loop: Header=BB1699_125 Depth=1
	global_load_b64 v[37:38], v[35:36], off
	global_load_b64 v[39:40], v[33:34], off
	v_add_co_u32 v33, vcc_lo, v33, 8
	v_add_co_ci_u32_e32 v34, vcc_lo, 0, v34, vcc_lo
	v_add_co_u32 v35, s2, v35, 8
	s_delay_alu instid0(VALU_DEP_1)
	v_add_co_ci_u32_e64 v36, s2, 0, v36, s2
	s_add_u32 s18, s18, 1
	s_addc_u32 s19, s19, 0
	s_and_not1_b32 s2, s29, exec_lo
	s_waitcnt vmcnt(0)
	v_cmp_ne_u64_e32 vcc_lo, v[37:38], v[39:40]
	s_and_b32 s29, vcc_lo, exec_lo
	s_delay_alu instid0(SALU_CYCLE_1)
	s_or_b32 s29, s2, s29
.LBB1699_124:                           ;   in Loop: Header=BB1699_125 Depth=1
	v_dual_mov_b32 v38, s19 :: v_dual_mov_b32 v37, s18
	s_and_b32 s2, exec_lo, s29
	s_delay_alu instid0(SALU_CYCLE_1) | instskip(NEXT) | instid1(SALU_CYCLE_1)
	s_or_b32 s26, s2, s26
	s_and_not1_b32 exec_lo, exec_lo, s26
	s_cbranch_execz .LBB1699_127
.LBB1699_125:                           ; =>This Inner Loop Header: Depth=1
	s_or_b32 s29, s29, exec_lo
	s_cmp_eq_u64 s[6:7], s[18:19]
	s_cbranch_scc0 .LBB1699_123
; %bb.126:                              ;   in Loop: Header=BB1699_125 Depth=1
	s_mov_b64 s[18:19], s[22:23]
                                        ; implicit-def: $vgpr33_vgpr34
                                        ; implicit-def: $vgpr35_vgpr36
	s_branch .LBB1699_124
.LBB1699_127:
	s_set_inst_prefetch_distance 0x2
	s_or_b32 exec_lo, exec_lo, s26
	v_cmp_gt_i64_e32 vcc_lo, s[22:23], v[37:38]
	s_or_not1_b32 s2, vcc_lo, exec_lo
.LBB1699_128:
	s_or_b32 exec_lo, exec_lo, s25
.LBB1699_129:
	s_delay_alu instid0(SALU_CYCLE_1)
	s_and_b32 s26, s2, exec_lo
.LBB1699_130:
	s_or_b32 exec_lo, exec_lo, s27
	v_or_b32_e32 v33, 6, v55
	s_mov_b32 s25, exec_lo
	s_delay_alu instid0(VALU_DEP_1)
	v_cmpx_gt_u32_e64 s28, v33
	s_cbranch_execz .LBB1699_141
; %bb.131:
	v_cmp_ne_u32_e32 vcc_lo, 1, v41
	s_mov_b32 s2, 0
	s_cbranch_vccnz .LBB1699_140
; %bb.132:
	v_mul_lo_u32 v37, v24, s22
	v_mul_lo_u32 v38, v23, s23
	v_mad_u64_u32 v[33:34], null, v23, s22, 0
	v_mul_lo_u32 v39, v18, s22
	v_mul_lo_u32 v40, v17, s23
	s_waitcnt lgkmcnt(0)
	v_mad_u64_u32 v[35:36], null, v17, s22, 0
	s_mov_b32 s2, -1
	s_mov_b32 s3, exec_lo
	s_delay_alu instid0(VALU_DEP_4) | instskip(NEXT) | instid1(VALU_DEP_2)
	v_add3_u32 v34, v34, v38, v37
	v_add3_u32 v36, v36, v40, v39
	s_delay_alu instid0(VALU_DEP_2) | instskip(NEXT) | instid1(VALU_DEP_2)
	v_lshlrev_b64 v[33:34], 3, v[33:34]
	v_lshlrev_b64 v[37:38], 3, v[35:36]
	s_delay_alu instid0(VALU_DEP_2) | instskip(NEXT) | instid1(VALU_DEP_3)
	v_add_co_u32 v35, vcc_lo, s8, v33
	v_add_co_ci_u32_e32 v36, vcc_lo, s9, v34, vcc_lo
	s_delay_alu instid0(VALU_DEP_3) | instskip(NEXT) | instid1(VALU_DEP_4)
	v_add_co_u32 v33, vcc_lo, s8, v37
	v_add_co_ci_u32_e32 v34, vcc_lo, s9, v38, vcc_lo
	s_clause 0x1
	global_load_b64 v[37:38], v[35:36], off
	global_load_b64 v[39:40], v[33:34], off
	s_waitcnt vmcnt(0)
	v_cmpx_eq_u64_e64 v[37:38], v[39:40]
	s_cbranch_execz .LBB1699_139
; %bb.133:
	v_add_co_u32 v33, vcc_lo, v33, 8
	v_add_co_ci_u32_e32 v34, vcc_lo, 0, v34, vcc_lo
	v_add_co_u32 v35, vcc_lo, v35, 8
	v_add_co_ci_u32_e32 v36, vcc_lo, 0, v36, vcc_lo
	s_add_u32 s6, s22, -1
	s_addc_u32 s7, s23, -1
	s_mov_b64 s[18:19], 0
	s_mov_b32 s27, 0
                                        ; implicit-def: $sgpr29
	s_set_inst_prefetch_distance 0x1
	s_branch .LBB1699_136
	.p2align	6
.LBB1699_134:                           ;   in Loop: Header=BB1699_136 Depth=1
	global_load_b64 v[37:38], v[35:36], off
	global_load_b64 v[39:40], v[33:34], off
	v_add_co_u32 v33, vcc_lo, v33, 8
	v_add_co_ci_u32_e32 v34, vcc_lo, 0, v34, vcc_lo
	v_add_co_u32 v35, s2, v35, 8
	s_delay_alu instid0(VALU_DEP_1)
	v_add_co_ci_u32_e64 v36, s2, 0, v36, s2
	s_add_u32 s18, s18, 1
	s_addc_u32 s19, s19, 0
	s_and_not1_b32 s2, s29, exec_lo
	s_waitcnt vmcnt(0)
	v_cmp_ne_u64_e32 vcc_lo, v[37:38], v[39:40]
	s_and_b32 s29, vcc_lo, exec_lo
	s_delay_alu instid0(SALU_CYCLE_1)
	s_or_b32 s29, s2, s29
.LBB1699_135:                           ;   in Loop: Header=BB1699_136 Depth=1
	v_dual_mov_b32 v38, s19 :: v_dual_mov_b32 v37, s18
	s_and_b32 s2, exec_lo, s29
	s_delay_alu instid0(SALU_CYCLE_1) | instskip(NEXT) | instid1(SALU_CYCLE_1)
	s_or_b32 s27, s2, s27
	s_and_not1_b32 exec_lo, exec_lo, s27
	s_cbranch_execz .LBB1699_138
.LBB1699_136:                           ; =>This Inner Loop Header: Depth=1
	s_or_b32 s29, s29, exec_lo
	s_cmp_eq_u64 s[6:7], s[18:19]
	s_cbranch_scc0 .LBB1699_134
; %bb.137:                              ;   in Loop: Header=BB1699_136 Depth=1
	s_mov_b64 s[18:19], s[22:23]
                                        ; implicit-def: $vgpr33_vgpr34
                                        ; implicit-def: $vgpr35_vgpr36
	s_branch .LBB1699_135
.LBB1699_138:
	s_set_inst_prefetch_distance 0x2
	s_or_b32 exec_lo, exec_lo, s27
	v_cmp_gt_i64_e32 vcc_lo, s[22:23], v[37:38]
	s_or_not1_b32 s2, vcc_lo, exec_lo
.LBB1699_139:
	s_or_b32 exec_lo, exec_lo, s3
.LBB1699_140:
	s_delay_alu instid0(SALU_CYCLE_1)
	s_and_b32 s3, s2, exec_lo
.LBB1699_141:
	s_or_b32 exec_lo, exec_lo, s25
	v_or_b32_e32 v33, 5, v55
	s_mov_b32 s27, 0
	s_mov_b32 s25, 0
	s_mov_b32 s29, exec_lo
	s_delay_alu instid0(VALU_DEP_1)
	v_cmpx_gt_u32_e64 s28, v33
	s_cbranch_execz .LBB1699_152
; %bb.142:
	v_cmp_ne_u32_e32 vcc_lo, 1, v41
	s_mov_b32 s2, 0
	s_cbranch_vccnz .LBB1699_151
; %bb.143:
	v_mul_lo_u32 v37, v22, s22
	v_mul_lo_u32 v38, v21, s23
	v_mad_u64_u32 v[33:34], null, v21, s22, 0
	v_mul_lo_u32 v39, v24, s22
	v_mul_lo_u32 v40, v23, s23
	s_waitcnt lgkmcnt(0)
	v_mad_u64_u32 v[35:36], null, v23, s22, 0
	s_mov_b32 s2, -1
	s_mov_b32 s25, exec_lo
	s_delay_alu instid0(VALU_DEP_4) | instskip(NEXT) | instid1(VALU_DEP_2)
	v_add3_u32 v34, v34, v38, v37
	v_add3_u32 v36, v36, v40, v39
	s_delay_alu instid0(VALU_DEP_2) | instskip(NEXT) | instid1(VALU_DEP_2)
	v_lshlrev_b64 v[33:34], 3, v[33:34]
	v_lshlrev_b64 v[37:38], 3, v[35:36]
	s_delay_alu instid0(VALU_DEP_2) | instskip(NEXT) | instid1(VALU_DEP_3)
	v_add_co_u32 v35, vcc_lo, s8, v33
	v_add_co_ci_u32_e32 v36, vcc_lo, s9, v34, vcc_lo
	s_delay_alu instid0(VALU_DEP_3) | instskip(NEXT) | instid1(VALU_DEP_4)
	v_add_co_u32 v33, vcc_lo, s8, v37
	v_add_co_ci_u32_e32 v34, vcc_lo, s9, v38, vcc_lo
	s_clause 0x1
	global_load_b64 v[37:38], v[35:36], off
	global_load_b64 v[39:40], v[33:34], off
	s_waitcnt vmcnt(0)
	v_cmpx_eq_u64_e64 v[37:38], v[39:40]
	s_cbranch_execz .LBB1699_150
; %bb.144:
	v_add_co_u32 v33, vcc_lo, v33, 8
	v_add_co_ci_u32_e32 v34, vcc_lo, 0, v34, vcc_lo
	v_add_co_u32 v35, vcc_lo, v35, 8
	v_add_co_ci_u32_e32 v36, vcc_lo, 0, v36, vcc_lo
	s_add_u32 s6, s22, -1
	s_addc_u32 s7, s23, -1
	s_mov_b64 s[18:19], 0
	s_mov_b32 s30, 0
                                        ; implicit-def: $sgpr31
	s_set_inst_prefetch_distance 0x1
	s_branch .LBB1699_147
	.p2align	6
.LBB1699_145:                           ;   in Loop: Header=BB1699_147 Depth=1
	global_load_b64 v[37:38], v[35:36], off
	global_load_b64 v[39:40], v[33:34], off
	v_add_co_u32 v33, vcc_lo, v33, 8
	v_add_co_ci_u32_e32 v34, vcc_lo, 0, v34, vcc_lo
	v_add_co_u32 v35, s2, v35, 8
	s_delay_alu instid0(VALU_DEP_1)
	v_add_co_ci_u32_e64 v36, s2, 0, v36, s2
	s_add_u32 s18, s18, 1
	s_addc_u32 s19, s19, 0
	s_and_not1_b32 s2, s31, exec_lo
	s_waitcnt vmcnt(0)
	v_cmp_ne_u64_e32 vcc_lo, v[37:38], v[39:40]
	s_and_b32 s31, vcc_lo, exec_lo
	s_delay_alu instid0(SALU_CYCLE_1)
	s_or_b32 s31, s2, s31
.LBB1699_146:                           ;   in Loop: Header=BB1699_147 Depth=1
	v_dual_mov_b32 v38, s19 :: v_dual_mov_b32 v37, s18
	s_and_b32 s2, exec_lo, s31
	s_delay_alu instid0(SALU_CYCLE_1) | instskip(NEXT) | instid1(SALU_CYCLE_1)
	s_or_b32 s30, s2, s30
	s_and_not1_b32 exec_lo, exec_lo, s30
	s_cbranch_execz .LBB1699_149
.LBB1699_147:                           ; =>This Inner Loop Header: Depth=1
	s_or_b32 s31, s31, exec_lo
	s_cmp_eq_u64 s[6:7], s[18:19]
	s_cbranch_scc0 .LBB1699_145
; %bb.148:                              ;   in Loop: Header=BB1699_147 Depth=1
	s_mov_b64 s[18:19], s[22:23]
                                        ; implicit-def: $vgpr33_vgpr34
                                        ; implicit-def: $vgpr35_vgpr36
	s_branch .LBB1699_146
.LBB1699_149:
	s_set_inst_prefetch_distance 0x2
	s_or_b32 exec_lo, exec_lo, s30
	v_cmp_gt_i64_e32 vcc_lo, s[22:23], v[37:38]
	s_or_not1_b32 s2, vcc_lo, exec_lo
.LBB1699_150:
	s_or_b32 exec_lo, exec_lo, s25
.LBB1699_151:
	s_delay_alu instid0(SALU_CYCLE_1)
	s_and_b32 s25, s2, exec_lo
.LBB1699_152:
	s_or_b32 exec_lo, exec_lo, s29
	v_or_b32_e32 v33, 4, v55
	s_mov_b32 s29, exec_lo
	s_delay_alu instid0(VALU_DEP_1)
	v_cmpx_gt_u32_e64 s28, v33
	s_cbranch_execz .LBB1699_163
; %bb.153:
	v_cmp_ne_u32_e32 vcc_lo, 1, v41
	s_mov_b32 s2, 0
	s_cbranch_vccnz .LBB1699_162
; %bb.154:
	v_mul_lo_u32 v37, v28, s22
	v_mul_lo_u32 v38, v27, s23
	v_mad_u64_u32 v[33:34], null, v27, s22, 0
	v_mul_lo_u32 v39, v22, s22
	v_mul_lo_u32 v40, v21, s23
	s_waitcnt lgkmcnt(0)
	v_mad_u64_u32 v[35:36], null, v21, s22, 0
	s_mov_b32 s2, -1
	s_mov_b32 s27, exec_lo
	s_delay_alu instid0(VALU_DEP_4) | instskip(NEXT) | instid1(VALU_DEP_2)
	v_add3_u32 v34, v34, v38, v37
	v_add3_u32 v36, v36, v40, v39
	s_delay_alu instid0(VALU_DEP_2) | instskip(NEXT) | instid1(VALU_DEP_2)
	v_lshlrev_b64 v[33:34], 3, v[33:34]
	v_lshlrev_b64 v[37:38], 3, v[35:36]
	s_delay_alu instid0(VALU_DEP_2) | instskip(NEXT) | instid1(VALU_DEP_3)
	v_add_co_u32 v35, vcc_lo, s8, v33
	v_add_co_ci_u32_e32 v36, vcc_lo, s9, v34, vcc_lo
	s_delay_alu instid0(VALU_DEP_3) | instskip(NEXT) | instid1(VALU_DEP_4)
	v_add_co_u32 v33, vcc_lo, s8, v37
	v_add_co_ci_u32_e32 v34, vcc_lo, s9, v38, vcc_lo
	s_clause 0x1
	global_load_b64 v[37:38], v[35:36], off
	global_load_b64 v[39:40], v[33:34], off
	s_waitcnt vmcnt(0)
	v_cmpx_eq_u64_e64 v[37:38], v[39:40]
	s_cbranch_execz .LBB1699_161
; %bb.155:
	v_add_co_u32 v33, vcc_lo, v33, 8
	v_add_co_ci_u32_e32 v34, vcc_lo, 0, v34, vcc_lo
	v_add_co_u32 v35, vcc_lo, v35, 8
	v_add_co_ci_u32_e32 v36, vcc_lo, 0, v36, vcc_lo
	s_add_u32 s6, s22, -1
	s_addc_u32 s7, s23, -1
	s_mov_b64 s[18:19], 0
	s_mov_b32 s30, 0
                                        ; implicit-def: $sgpr31
	s_set_inst_prefetch_distance 0x1
	s_branch .LBB1699_158
	.p2align	6
.LBB1699_156:                           ;   in Loop: Header=BB1699_158 Depth=1
	global_load_b64 v[37:38], v[35:36], off
	global_load_b64 v[39:40], v[33:34], off
	v_add_co_u32 v33, vcc_lo, v33, 8
	v_add_co_ci_u32_e32 v34, vcc_lo, 0, v34, vcc_lo
	v_add_co_u32 v35, s2, v35, 8
	s_delay_alu instid0(VALU_DEP_1)
	v_add_co_ci_u32_e64 v36, s2, 0, v36, s2
	s_add_u32 s18, s18, 1
	s_addc_u32 s19, s19, 0
	s_and_not1_b32 s2, s31, exec_lo
	s_waitcnt vmcnt(0)
	v_cmp_ne_u64_e32 vcc_lo, v[37:38], v[39:40]
	s_and_b32 s31, vcc_lo, exec_lo
	s_delay_alu instid0(SALU_CYCLE_1)
	s_or_b32 s31, s2, s31
.LBB1699_157:                           ;   in Loop: Header=BB1699_158 Depth=1
	v_dual_mov_b32 v38, s19 :: v_dual_mov_b32 v37, s18
	s_and_b32 s2, exec_lo, s31
	s_delay_alu instid0(SALU_CYCLE_1) | instskip(NEXT) | instid1(SALU_CYCLE_1)
	s_or_b32 s30, s2, s30
	s_and_not1_b32 exec_lo, exec_lo, s30
	s_cbranch_execz .LBB1699_160
.LBB1699_158:                           ; =>This Inner Loop Header: Depth=1
	s_or_b32 s31, s31, exec_lo
	s_cmp_eq_u64 s[6:7], s[18:19]
	s_cbranch_scc0 .LBB1699_156
; %bb.159:                              ;   in Loop: Header=BB1699_158 Depth=1
	s_mov_b64 s[18:19], s[22:23]
                                        ; implicit-def: $vgpr33_vgpr34
                                        ; implicit-def: $vgpr35_vgpr36
	s_branch .LBB1699_157
.LBB1699_160:
	s_set_inst_prefetch_distance 0x2
	s_or_b32 exec_lo, exec_lo, s30
	v_cmp_gt_i64_e32 vcc_lo, s[22:23], v[37:38]
	s_or_not1_b32 s2, vcc_lo, exec_lo
.LBB1699_161:
	s_or_b32 exec_lo, exec_lo, s27
.LBB1699_162:
	s_delay_alu instid0(SALU_CYCLE_1)
	s_and_b32 s27, s2, exec_lo
.LBB1699_163:
	s_or_b32 exec_lo, exec_lo, s29
	v_or_b32_e32 v33, 3, v55
	s_mov_b32 s30, 0
	s_mov_b32 s29, 0
	s_mov_b32 s31, exec_lo
	s_delay_alu instid0(VALU_DEP_1)
	v_cmpx_gt_u32_e64 s28, v33
	s_cbranch_execz .LBB1699_174
; %bb.164:
	v_cmp_ne_u32_e32 vcc_lo, 1, v41
	s_mov_b32 s2, 0
	s_cbranch_vccnz .LBB1699_173
; %bb.165:
	v_mul_lo_u32 v37, v26, s22
	v_mul_lo_u32 v38, v25, s23
	v_mad_u64_u32 v[33:34], null, v25, s22, 0
	v_mul_lo_u32 v39, v28, s22
	v_mul_lo_u32 v40, v27, s23
	s_waitcnt lgkmcnt(0)
	v_mad_u64_u32 v[35:36], null, v27, s22, 0
	s_mov_b32 s2, -1
	s_mov_b32 s29, exec_lo
	s_delay_alu instid0(VALU_DEP_4) | instskip(NEXT) | instid1(VALU_DEP_2)
	v_add3_u32 v34, v34, v38, v37
	v_add3_u32 v36, v36, v40, v39
	s_delay_alu instid0(VALU_DEP_2) | instskip(NEXT) | instid1(VALU_DEP_2)
	v_lshlrev_b64 v[33:34], 3, v[33:34]
	v_lshlrev_b64 v[37:38], 3, v[35:36]
	s_delay_alu instid0(VALU_DEP_2) | instskip(NEXT) | instid1(VALU_DEP_3)
	v_add_co_u32 v35, vcc_lo, s8, v33
	v_add_co_ci_u32_e32 v36, vcc_lo, s9, v34, vcc_lo
	s_delay_alu instid0(VALU_DEP_3) | instskip(NEXT) | instid1(VALU_DEP_4)
	v_add_co_u32 v33, vcc_lo, s8, v37
	v_add_co_ci_u32_e32 v34, vcc_lo, s9, v38, vcc_lo
	s_clause 0x1
	global_load_b64 v[37:38], v[35:36], off
	global_load_b64 v[39:40], v[33:34], off
	s_waitcnt vmcnt(0)
	v_cmpx_eq_u64_e64 v[37:38], v[39:40]
	s_cbranch_execz .LBB1699_172
; %bb.166:
	v_add_co_u32 v33, vcc_lo, v33, 8
	v_add_co_ci_u32_e32 v34, vcc_lo, 0, v34, vcc_lo
	v_add_co_u32 v35, vcc_lo, v35, 8
	v_add_co_ci_u32_e32 v36, vcc_lo, 0, v36, vcc_lo
	s_add_u32 s6, s22, -1
	s_addc_u32 s7, s23, -1
	s_mov_b64 s[18:19], 0
	s_mov_b32 s33, 0
                                        ; implicit-def: $sgpr34
	s_set_inst_prefetch_distance 0x1
	s_branch .LBB1699_169
	.p2align	6
.LBB1699_167:                           ;   in Loop: Header=BB1699_169 Depth=1
	global_load_b64 v[37:38], v[35:36], off
	global_load_b64 v[39:40], v[33:34], off
	v_add_co_u32 v33, vcc_lo, v33, 8
	v_add_co_ci_u32_e32 v34, vcc_lo, 0, v34, vcc_lo
	v_add_co_u32 v35, s2, v35, 8
	s_delay_alu instid0(VALU_DEP_1)
	v_add_co_ci_u32_e64 v36, s2, 0, v36, s2
	s_add_u32 s18, s18, 1
	s_addc_u32 s19, s19, 0
	s_and_not1_b32 s2, s34, exec_lo
	s_waitcnt vmcnt(0)
	v_cmp_ne_u64_e32 vcc_lo, v[37:38], v[39:40]
	s_and_b32 s34, vcc_lo, exec_lo
	s_delay_alu instid0(SALU_CYCLE_1)
	s_or_b32 s34, s2, s34
.LBB1699_168:                           ;   in Loop: Header=BB1699_169 Depth=1
	v_dual_mov_b32 v38, s19 :: v_dual_mov_b32 v37, s18
	s_and_b32 s2, exec_lo, s34
	s_delay_alu instid0(SALU_CYCLE_1) | instskip(NEXT) | instid1(SALU_CYCLE_1)
	s_or_b32 s33, s2, s33
	s_and_not1_b32 exec_lo, exec_lo, s33
	s_cbranch_execz .LBB1699_171
.LBB1699_169:                           ; =>This Inner Loop Header: Depth=1
	s_or_b32 s34, s34, exec_lo
	s_cmp_eq_u64 s[6:7], s[18:19]
	s_cbranch_scc0 .LBB1699_167
; %bb.170:                              ;   in Loop: Header=BB1699_169 Depth=1
	s_mov_b64 s[18:19], s[22:23]
                                        ; implicit-def: $vgpr33_vgpr34
                                        ; implicit-def: $vgpr35_vgpr36
	s_branch .LBB1699_168
.LBB1699_171:
	s_set_inst_prefetch_distance 0x2
	s_or_b32 exec_lo, exec_lo, s33
	v_cmp_gt_i64_e32 vcc_lo, s[22:23], v[37:38]
	s_or_not1_b32 s2, vcc_lo, exec_lo
.LBB1699_172:
	s_or_b32 exec_lo, exec_lo, s29
.LBB1699_173:
	s_delay_alu instid0(SALU_CYCLE_1)
	s_and_b32 s29, s2, exec_lo
.LBB1699_174:
	s_or_b32 exec_lo, exec_lo, s31
	v_or_b32_e32 v33, 2, v55
	s_mov_b32 s31, exec_lo
	s_delay_alu instid0(VALU_DEP_1)
	v_cmpx_gt_u32_e64 s28, v33
	s_cbranch_execz .LBB1699_185
; %bb.175:
	v_cmp_ne_u32_e32 vcc_lo, 1, v41
	s_mov_b32 s2, 0
	s_cbranch_vccnz .LBB1699_184
; %bb.176:
	v_mul_lo_u32 v37, v32, s22
	v_mul_lo_u32 v38, v31, s23
	v_mad_u64_u32 v[33:34], null, v31, s22, 0
	v_mul_lo_u32 v39, v26, s22
	v_mul_lo_u32 v40, v25, s23
	s_waitcnt lgkmcnt(0)
	v_mad_u64_u32 v[35:36], null, v25, s22, 0
	s_mov_b32 s2, -1
	s_mov_b32 s30, exec_lo
	s_delay_alu instid0(VALU_DEP_4) | instskip(NEXT) | instid1(VALU_DEP_2)
	v_add3_u32 v34, v34, v38, v37
	v_add3_u32 v36, v36, v40, v39
	s_delay_alu instid0(VALU_DEP_2) | instskip(NEXT) | instid1(VALU_DEP_2)
	v_lshlrev_b64 v[33:34], 3, v[33:34]
	v_lshlrev_b64 v[37:38], 3, v[35:36]
	s_delay_alu instid0(VALU_DEP_2) | instskip(NEXT) | instid1(VALU_DEP_3)
	v_add_co_u32 v35, vcc_lo, s8, v33
	v_add_co_ci_u32_e32 v36, vcc_lo, s9, v34, vcc_lo
	s_delay_alu instid0(VALU_DEP_3) | instskip(NEXT) | instid1(VALU_DEP_4)
	v_add_co_u32 v33, vcc_lo, s8, v37
	v_add_co_ci_u32_e32 v34, vcc_lo, s9, v38, vcc_lo
	s_clause 0x1
	global_load_b64 v[37:38], v[35:36], off
	global_load_b64 v[39:40], v[33:34], off
	s_waitcnt vmcnt(0)
	v_cmpx_eq_u64_e64 v[37:38], v[39:40]
	s_cbranch_execz .LBB1699_183
; %bb.177:
	v_add_co_u32 v33, vcc_lo, v33, 8
	v_add_co_ci_u32_e32 v34, vcc_lo, 0, v34, vcc_lo
	v_add_co_u32 v35, vcc_lo, v35, 8
	v_add_co_ci_u32_e32 v36, vcc_lo, 0, v36, vcc_lo
	s_add_u32 s6, s22, -1
	s_addc_u32 s7, s23, -1
	s_mov_b64 s[18:19], 0
	s_mov_b32 s33, 0
                                        ; implicit-def: $sgpr34
	s_set_inst_prefetch_distance 0x1
	s_branch .LBB1699_180
	.p2align	6
.LBB1699_178:                           ;   in Loop: Header=BB1699_180 Depth=1
	global_load_b64 v[37:38], v[35:36], off
	global_load_b64 v[39:40], v[33:34], off
	v_add_co_u32 v33, vcc_lo, v33, 8
	v_add_co_ci_u32_e32 v34, vcc_lo, 0, v34, vcc_lo
	v_add_co_u32 v35, s2, v35, 8
	s_delay_alu instid0(VALU_DEP_1)
	v_add_co_ci_u32_e64 v36, s2, 0, v36, s2
	s_add_u32 s18, s18, 1
	s_addc_u32 s19, s19, 0
	s_and_not1_b32 s2, s34, exec_lo
	s_waitcnt vmcnt(0)
	v_cmp_ne_u64_e32 vcc_lo, v[37:38], v[39:40]
	s_and_b32 s34, vcc_lo, exec_lo
	s_delay_alu instid0(SALU_CYCLE_1)
	s_or_b32 s34, s2, s34
.LBB1699_179:                           ;   in Loop: Header=BB1699_180 Depth=1
	v_dual_mov_b32 v38, s19 :: v_dual_mov_b32 v37, s18
	s_and_b32 s2, exec_lo, s34
	s_delay_alu instid0(SALU_CYCLE_1) | instskip(NEXT) | instid1(SALU_CYCLE_1)
	s_or_b32 s33, s2, s33
	s_and_not1_b32 exec_lo, exec_lo, s33
	s_cbranch_execz .LBB1699_182
.LBB1699_180:                           ; =>This Inner Loop Header: Depth=1
	s_or_b32 s34, s34, exec_lo
	s_cmp_eq_u64 s[6:7], s[18:19]
	s_cbranch_scc0 .LBB1699_178
; %bb.181:                              ;   in Loop: Header=BB1699_180 Depth=1
	s_mov_b64 s[18:19], s[22:23]
                                        ; implicit-def: $vgpr33_vgpr34
                                        ; implicit-def: $vgpr35_vgpr36
	s_branch .LBB1699_179
.LBB1699_182:
	s_set_inst_prefetch_distance 0x2
	s_or_b32 exec_lo, exec_lo, s33
	v_cmp_gt_i64_e32 vcc_lo, s[22:23], v[37:38]
	s_or_not1_b32 s2, vcc_lo, exec_lo
.LBB1699_183:
	s_or_b32 exec_lo, exec_lo, s30
.LBB1699_184:
	s_delay_alu instid0(SALU_CYCLE_1)
	s_and_b32 s30, s2, exec_lo
.LBB1699_185:
	s_or_b32 exec_lo, exec_lo, s31
	v_or_b32_e32 v33, 1, v55
	s_mov_b32 s2, 0
	s_mov_b32 s31, exec_lo
	s_delay_alu instid0(VALU_DEP_1)
	v_cmpx_gt_u32_e64 s28, v33
	s_cbranch_execz .LBB1699_196
; %bb.186:
	v_cmp_ne_u32_e32 vcc_lo, 1, v41
	s_cbranch_vccnz .LBB1699_195
; %bb.187:
	v_mul_lo_u32 v37, v30, s22
	v_mul_lo_u32 v38, v29, s23
	v_mad_u64_u32 v[33:34], null, v29, s22, 0
	v_mul_lo_u32 v39, v32, s22
	v_mul_lo_u32 v40, v31, s23
	s_waitcnt lgkmcnt(0)
	v_mad_u64_u32 v[35:36], null, v31, s22, 0
	s_mov_b32 s2, -1
	s_mov_b32 s33, exec_lo
	s_delay_alu instid0(VALU_DEP_4) | instskip(NEXT) | instid1(VALU_DEP_2)
	v_add3_u32 v34, v34, v38, v37
	v_add3_u32 v36, v36, v40, v39
	s_delay_alu instid0(VALU_DEP_2) | instskip(NEXT) | instid1(VALU_DEP_2)
	v_lshlrev_b64 v[33:34], 3, v[33:34]
	v_lshlrev_b64 v[37:38], 3, v[35:36]
	s_delay_alu instid0(VALU_DEP_2) | instskip(NEXT) | instid1(VALU_DEP_3)
	v_add_co_u32 v35, vcc_lo, s8, v33
	v_add_co_ci_u32_e32 v36, vcc_lo, s9, v34, vcc_lo
	s_delay_alu instid0(VALU_DEP_3) | instskip(NEXT) | instid1(VALU_DEP_4)
	v_add_co_u32 v33, vcc_lo, s8, v37
	v_add_co_ci_u32_e32 v34, vcc_lo, s9, v38, vcc_lo
	s_clause 0x1
	global_load_b64 v[37:38], v[35:36], off
	global_load_b64 v[39:40], v[33:34], off
	s_waitcnt vmcnt(0)
	v_cmpx_eq_u64_e64 v[37:38], v[39:40]
	s_cbranch_execz .LBB1699_194
; %bb.188:
	v_add_co_u32 v33, vcc_lo, v33, 8
	v_add_co_ci_u32_e32 v34, vcc_lo, 0, v34, vcc_lo
	v_add_co_u32 v35, vcc_lo, v35, 8
	v_add_co_ci_u32_e32 v36, vcc_lo, 0, v36, vcc_lo
	s_add_u32 s6, s22, -1
	s_addc_u32 s7, s23, -1
	s_mov_b64 s[18:19], 0
	s_mov_b32 s34, 0
                                        ; implicit-def: $sgpr35
	s_set_inst_prefetch_distance 0x1
	s_branch .LBB1699_191
	.p2align	6
.LBB1699_189:                           ;   in Loop: Header=BB1699_191 Depth=1
	global_load_b64 v[37:38], v[35:36], off
	global_load_b64 v[39:40], v[33:34], off
	v_add_co_u32 v33, vcc_lo, v33, 8
	v_add_co_ci_u32_e32 v34, vcc_lo, 0, v34, vcc_lo
	v_add_co_u32 v35, s2, v35, 8
	s_delay_alu instid0(VALU_DEP_1)
	v_add_co_ci_u32_e64 v36, s2, 0, v36, s2
	s_add_u32 s18, s18, 1
	s_addc_u32 s19, s19, 0
	s_and_not1_b32 s2, s35, exec_lo
	s_waitcnt vmcnt(0)
	v_cmp_ne_u64_e32 vcc_lo, v[37:38], v[39:40]
	s_and_b32 s35, vcc_lo, exec_lo
	s_delay_alu instid0(SALU_CYCLE_1)
	s_or_b32 s35, s2, s35
.LBB1699_190:                           ;   in Loop: Header=BB1699_191 Depth=1
	v_dual_mov_b32 v38, s19 :: v_dual_mov_b32 v37, s18
	s_and_b32 s2, exec_lo, s35
	s_delay_alu instid0(SALU_CYCLE_1) | instskip(NEXT) | instid1(SALU_CYCLE_1)
	s_or_b32 s34, s2, s34
	s_and_not1_b32 exec_lo, exec_lo, s34
	s_cbranch_execz .LBB1699_193
.LBB1699_191:                           ; =>This Inner Loop Header: Depth=1
	s_or_b32 s35, s35, exec_lo
	s_cmp_eq_u64 s[6:7], s[18:19]
	s_cbranch_scc0 .LBB1699_189
; %bb.192:                              ;   in Loop: Header=BB1699_191 Depth=1
	s_mov_b64 s[18:19], s[22:23]
                                        ; implicit-def: $vgpr33_vgpr34
                                        ; implicit-def: $vgpr35_vgpr36
	s_branch .LBB1699_190
.LBB1699_193:
	s_set_inst_prefetch_distance 0x2
	s_or_b32 exec_lo, exec_lo, s34
	v_cmp_gt_i64_e32 vcc_lo, s[22:23], v[37:38]
	s_or_not1_b32 s2, vcc_lo, exec_lo
.LBB1699_194:
	s_or_b32 exec_lo, exec_lo, s33
.LBB1699_195:
	s_delay_alu instid0(SALU_CYCLE_1)
	s_and_b32 s2, s2, exec_lo
.LBB1699_196:
	s_or_b32 exec_lo, exec_lo, s31
	s_waitcnt lgkmcnt(0)
	v_dual_mov_b32 v34, s5 :: v_dual_mov_b32 v33, s4
	s_mov_b32 s4, exec_lo
	s_barrier
	buffer_gl0_inv
	v_cmpx_ne_u32_e32 0, v0
	s_cbranch_execz .LBB1699_198
; %bb.197:
	v_add_nc_u32_e32 v33, -8, v55
	ds_load_b64 v[33:34], v33
.LBB1699_198:
	s_or_b32 exec_lo, exec_lo, s4
	v_cndmask_b32_e64 v36, 0, 1, s29
	v_cndmask_b32_e64 v38, 0, 1, s25
	;; [unrolled: 1-line block ×7, first 2 shown]
	v_lshlrev_b16 v36, 8, v36
	v_lshlrev_b16 v38, 8, v38
	;; [unrolled: 1-line block ×3, first 2 shown]
	s_mov_b32 s2, 0
	v_lshlrev_b16 v42, 8, v42
	v_or_b32_e32 v35, v35, v36
	v_or_b32_e32 v36, v37, v38
	;; [unrolled: 1-line block ×3, first 2 shown]
	s_mov_b32 s3, exec_lo
	v_and_b32_e32 v39, 0xffff, v42
	v_lshlrev_b32_e32 v40, 16, v35
	v_and_b32_e32 v42, 0xffff, v36
	v_lshlrev_b32_e32 v43, 16, v37
	v_cmpx_gt_u32_e64 s28, v55
	s_cbranch_execz .LBB1699_209
; %bb.199:
	v_cmp_ne_u32_e32 vcc_lo, 1, v41
	s_cbranch_vccnz .LBB1699_208
; %bb.200:
	s_waitcnt lgkmcnt(0)
	v_mul_lo_u32 v38, v34, s22
	v_mul_lo_u32 v41, v33, s23
	v_mad_u64_u32 v[34:35], null, v33, s22, 0
	v_mul_lo_u32 v33, v30, s22
	v_mul_lo_u32 v44, v29, s23
	v_mad_u64_u32 v[36:37], null, v29, s22, 0
	s_mov_b32 s2, -1
	s_mov_b32 s18, exec_lo
	s_delay_alu instid0(VALU_DEP_4) | instskip(NEXT) | instid1(VALU_DEP_2)
	v_add3_u32 v35, v35, v41, v38
	v_add3_u32 v37, v37, v44, v33
	s_delay_alu instid0(VALU_DEP_2) | instskip(NEXT) | instid1(VALU_DEP_2)
	v_lshlrev_b64 v[33:34], 3, v[34:35]
	v_lshlrev_b64 v[37:38], 3, v[36:37]
	s_delay_alu instid0(VALU_DEP_2) | instskip(NEXT) | instid1(VALU_DEP_3)
	v_add_co_u32 v35, vcc_lo, s8, v33
	v_add_co_ci_u32_e32 v36, vcc_lo, s9, v34, vcc_lo
	s_delay_alu instid0(VALU_DEP_3) | instskip(NEXT) | instid1(VALU_DEP_4)
	v_add_co_u32 v33, vcc_lo, s8, v37
	v_add_co_ci_u32_e32 v34, vcc_lo, s9, v38, vcc_lo
	s_clause 0x1
	global_load_b64 v[37:38], v[35:36], off
	global_load_b64 v[44:45], v[33:34], off
	s_waitcnt vmcnt(0)
	v_cmpx_eq_u64_e64 v[37:38], v[44:45]
	s_cbranch_execz .LBB1699_207
; %bb.201:
	v_add_co_u32 v33, vcc_lo, v33, 8
	v_add_co_ci_u32_e32 v34, vcc_lo, 0, v34, vcc_lo
	v_add_co_u32 v35, vcc_lo, v35, 8
	v_add_co_ci_u32_e32 v36, vcc_lo, 0, v36, vcc_lo
	s_add_u32 s4, s22, -1
	s_addc_u32 s5, s23, -1
	s_mov_b64 s[6:7], 0
	s_mov_b32 s19, 0
                                        ; implicit-def: $sgpr25
	s_set_inst_prefetch_distance 0x1
	s_branch .LBB1699_204
	.p2align	6
.LBB1699_202:                           ;   in Loop: Header=BB1699_204 Depth=1
	global_load_b64 v[37:38], v[35:36], off
	global_load_b64 v[44:45], v[33:34], off
	v_add_co_u32 v33, vcc_lo, v33, 8
	v_add_co_ci_u32_e32 v34, vcc_lo, 0, v34, vcc_lo
	v_add_co_u32 v35, s2, v35, 8
	s_delay_alu instid0(VALU_DEP_1)
	v_add_co_ci_u32_e64 v36, s2, 0, v36, s2
	s_add_u32 s6, s6, 1
	s_addc_u32 s7, s7, 0
	s_and_not1_b32 s2, s25, exec_lo
	s_waitcnt vmcnt(0)
	v_cmp_ne_u64_e32 vcc_lo, v[37:38], v[44:45]
	s_and_b32 s25, vcc_lo, exec_lo
	s_delay_alu instid0(SALU_CYCLE_1)
	s_or_b32 s25, s2, s25
.LBB1699_203:                           ;   in Loop: Header=BB1699_204 Depth=1
	v_dual_mov_b32 v38, s7 :: v_dual_mov_b32 v37, s6
	s_and_b32 s2, exec_lo, s25
	s_delay_alu instid0(SALU_CYCLE_1) | instskip(NEXT) | instid1(SALU_CYCLE_1)
	s_or_b32 s19, s2, s19
	s_and_not1_b32 exec_lo, exec_lo, s19
	s_cbranch_execz .LBB1699_206
.LBB1699_204:                           ; =>This Inner Loop Header: Depth=1
	s_or_b32 s25, s25, exec_lo
	s_cmp_eq_u64 s[4:5], s[6:7]
	s_cbranch_scc0 .LBB1699_202
; %bb.205:                              ;   in Loop: Header=BB1699_204 Depth=1
	s_mov_b64 s[6:7], s[22:23]
                                        ; implicit-def: $vgpr33_vgpr34
                                        ; implicit-def: $vgpr35_vgpr36
	s_branch .LBB1699_203
.LBB1699_206:
	s_set_inst_prefetch_distance 0x2
	s_or_b32 exec_lo, exec_lo, s19
	v_cmp_gt_i64_e32 vcc_lo, s[22:23], v[37:38]
	s_or_not1_b32 s2, vcc_lo, exec_lo
.LBB1699_207:
	s_or_b32 exec_lo, exec_lo, s18
.LBB1699_208:
	s_delay_alu instid0(SALU_CYCLE_1)
	s_and_b32 s2, s2, exec_lo
.LBB1699_209:
	s_or_b32 exec_lo, exec_lo, s3
	s_waitcnt lgkmcnt(0)
	v_or_b32_e32 v33, v39, v40
	v_or_b32_e32 v34, v42, v43
.LBB1699_210:
	s_waitcnt lgkmcnt(0)
	s_mov_b32 s3, -1
	s_cbranch_execnz .LBB1699_379
.LBB1699_211:
	v_cmp_gt_i64_e64 s18, s[22:23], 0
	s_and_b32 vcc_lo, exec_lo, s20
	ds_store_b64 v55, v[19:20]
	s_cbranch_vccz .LBB1699_219
; %bb.212:
	v_mul_lo_u32 v35, v18, s22
	v_mul_lo_u32 v36, v17, s23
	v_mad_u64_u32 v[33:34], null, v17, s22, 0
	s_mov_b32 s19, 0
	s_and_not1_b32 vcc_lo, exec_lo, s18
	s_mov_b32 s25, 0
	s_delay_alu instid0(VALU_DEP_1) | instskip(NEXT) | instid1(VALU_DEP_1)
	v_add3_u32 v34, v34, v36, v35
	v_lshlrev_b64 v[33:34], 3, v[33:34]
	s_cbranch_vccnz .LBB1699_222
; %bb.213:
	v_mul_lo_u32 v37, v20, s22
	v_mul_lo_u32 v38, v19, s23
	v_mad_u64_u32 v[35:36], null, v19, s22, 0
	s_mov_b32 s25, -1
	s_mov_b32 s26, exec_lo
	s_delay_alu instid0(VALU_DEP_1) | instskip(SKIP_2) | instid1(VALU_DEP_3)
	v_add3_u32 v36, v36, v38, v37
	v_add_co_u32 v37, vcc_lo, s8, v33
	v_add_co_ci_u32_e32 v38, vcc_lo, s9, v34, vcc_lo
	v_lshlrev_b64 v[35:36], 3, v[35:36]
	s_delay_alu instid0(VALU_DEP_1) | instskip(NEXT) | instid1(VALU_DEP_2)
	v_add_co_u32 v35, vcc_lo, s8, v35
	v_add_co_ci_u32_e32 v36, vcc_lo, s9, v36, vcc_lo
	s_clause 0x1
	global_load_b64 v[39:40], v[37:38], off
	global_load_b64 v[41:42], v[35:36], off
	s_waitcnt vmcnt(0)
	v_cmpx_eq_u64_e64 v[39:40], v[41:42]
	s_cbranch_execz .LBB1699_221
; %bb.214:
	v_add_co_u32 v35, vcc_lo, v35, 8
	v_add_co_ci_u32_e32 v36, vcc_lo, 0, v36, vcc_lo
	v_add_co_u32 v37, vcc_lo, v37, 8
	v_add_co_ci_u32_e32 v38, vcc_lo, 0, v38, vcc_lo
	s_add_u32 s4, s22, -1
	s_addc_u32 s5, s23, -1
	s_mov_b64 s[6:7], 0
	s_mov_b32 s25, 0
                                        ; implicit-def: $sgpr27
	s_set_inst_prefetch_distance 0x1
	s_branch .LBB1699_217
	.p2align	6
.LBB1699_215:                           ;   in Loop: Header=BB1699_217 Depth=1
	global_load_b64 v[39:40], v[37:38], off
	global_load_b64 v[41:42], v[35:36], off
	v_add_co_u32 v35, vcc_lo, v35, 8
	v_add_co_ci_u32_e32 v36, vcc_lo, 0, v36, vcc_lo
	v_add_co_u32 v37, s2, v37, 8
	s_delay_alu instid0(VALU_DEP_1)
	v_add_co_ci_u32_e64 v38, s2, 0, v38, s2
	s_add_u32 s6, s6, 1
	s_addc_u32 s7, s7, 0
	s_and_not1_b32 s2, s27, exec_lo
	s_waitcnt vmcnt(0)
	v_cmp_ne_u64_e32 vcc_lo, v[39:40], v[41:42]
	s_and_b32 s27, vcc_lo, exec_lo
	s_delay_alu instid0(SALU_CYCLE_1)
	s_or_b32 s27, s2, s27
.LBB1699_216:                           ;   in Loop: Header=BB1699_217 Depth=1
	v_dual_mov_b32 v40, s7 :: v_dual_mov_b32 v39, s6
	s_and_b32 s2, exec_lo, s27
	s_delay_alu instid0(SALU_CYCLE_1) | instskip(NEXT) | instid1(SALU_CYCLE_1)
	s_or_b32 s25, s2, s25
	s_and_not1_b32 exec_lo, exec_lo, s25
	s_cbranch_execz .LBB1699_220
.LBB1699_217:                           ; =>This Inner Loop Header: Depth=1
	s_or_b32 s27, s27, exec_lo
	s_cmp_eq_u64 s[4:5], s[6:7]
	s_cbranch_scc0 .LBB1699_215
; %bb.218:                              ;   in Loop: Header=BB1699_217 Depth=1
	s_mov_b64 s[6:7], s[22:23]
                                        ; implicit-def: $vgpr35_vgpr36
                                        ; implicit-def: $vgpr37_vgpr38
	s_branch .LBB1699_216
.LBB1699_219:
                                        ; implicit-def: $sgpr2
                                        ; implicit-def: $vgpr34
	s_cbranch_execnz .LBB1699_288
	s_branch .LBB1699_379
.LBB1699_220:
	s_set_inst_prefetch_distance 0x2
	s_or_b32 exec_lo, exec_lo, s25
	v_cmp_gt_i64_e32 vcc_lo, s[22:23], v[39:40]
	s_or_not1_b32 s25, vcc_lo, exec_lo
.LBB1699_221:
	s_or_b32 exec_lo, exec_lo, s26
.LBB1699_222:
	v_mul_lo_u32 v37, v24, s22
	v_mul_lo_u32 v38, v23, s23
	v_mad_u64_u32 v[35:36], null, v23, s22, 0
	s_and_not1_b32 vcc_lo, exec_lo, s18
	s_delay_alu instid0(VALU_DEP_1) | instskip(NEXT) | instid1(VALU_DEP_1)
	v_add3_u32 v36, v36, v38, v37
	v_lshlrev_b64 v[35:36], 3, v[35:36]
	s_cbranch_vccnz .LBB1699_231
; %bb.223:
	s_delay_alu instid0(VALU_DEP_1) | instskip(NEXT) | instid1(VALU_DEP_2)
	v_add_co_u32 v37, vcc_lo, s8, v35
	v_add_co_ci_u32_e32 v38, vcc_lo, s9, v36, vcc_lo
	v_add_co_u32 v33, vcc_lo, s8, v33
	v_add_co_ci_u32_e32 v34, vcc_lo, s9, v34, vcc_lo
	s_mov_b32 s19, -1
	s_clause 0x1
	global_load_b64 v[39:40], v[37:38], off
	global_load_b64 v[41:42], v[33:34], off
	s_mov_b32 s26, exec_lo
	s_waitcnt vmcnt(0)
	v_cmpx_eq_u64_e64 v[39:40], v[41:42]
	s_cbranch_execz .LBB1699_230
; %bb.224:
	v_add_co_u32 v33, vcc_lo, v33, 8
	v_add_co_ci_u32_e32 v34, vcc_lo, 0, v34, vcc_lo
	v_add_co_u32 v37, vcc_lo, v37, 8
	v_add_co_ci_u32_e32 v38, vcc_lo, 0, v38, vcc_lo
	s_add_u32 s4, s22, -1
	s_addc_u32 s5, s23, -1
	s_mov_b64 s[6:7], 0
	s_mov_b32 s19, 0
                                        ; implicit-def: $sgpr27
	s_set_inst_prefetch_distance 0x1
	s_branch .LBB1699_227
	.p2align	6
.LBB1699_225:                           ;   in Loop: Header=BB1699_227 Depth=1
	global_load_b64 v[39:40], v[37:38], off
	global_load_b64 v[41:42], v[33:34], off
	v_add_co_u32 v33, vcc_lo, v33, 8
	v_add_co_ci_u32_e32 v34, vcc_lo, 0, v34, vcc_lo
	v_add_co_u32 v37, s2, v37, 8
	s_delay_alu instid0(VALU_DEP_1)
	v_add_co_ci_u32_e64 v38, s2, 0, v38, s2
	s_add_u32 s6, s6, 1
	s_addc_u32 s7, s7, 0
	s_and_not1_b32 s2, s27, exec_lo
	s_waitcnt vmcnt(0)
	v_cmp_ne_u64_e32 vcc_lo, v[39:40], v[41:42]
	s_and_b32 s27, vcc_lo, exec_lo
	s_delay_alu instid0(SALU_CYCLE_1)
	s_or_b32 s27, s2, s27
.LBB1699_226:                           ;   in Loop: Header=BB1699_227 Depth=1
	v_dual_mov_b32 v40, s7 :: v_dual_mov_b32 v39, s6
	s_and_b32 s2, exec_lo, s27
	s_delay_alu instid0(SALU_CYCLE_1) | instskip(NEXT) | instid1(SALU_CYCLE_1)
	s_or_b32 s19, s2, s19
	s_and_not1_b32 exec_lo, exec_lo, s19
	s_cbranch_execz .LBB1699_229
.LBB1699_227:                           ; =>This Inner Loop Header: Depth=1
	s_or_b32 s27, s27, exec_lo
	s_cmp_eq_u64 s[4:5], s[6:7]
	s_cbranch_scc0 .LBB1699_225
; %bb.228:                              ;   in Loop: Header=BB1699_227 Depth=1
	s_mov_b64 s[6:7], s[22:23]
                                        ; implicit-def: $vgpr33_vgpr34
                                        ; implicit-def: $vgpr37_vgpr38
	s_branch .LBB1699_226
.LBB1699_229:
	s_set_inst_prefetch_distance 0x2
	s_or_b32 exec_lo, exec_lo, s19
	v_cmp_gt_i64_e32 vcc_lo, s[22:23], v[39:40]
	s_or_not1_b32 s19, vcc_lo, exec_lo
.LBB1699_230:
	s_or_b32 exec_lo, exec_lo, s26
.LBB1699_231:
	v_mul_lo_u32 v37, v22, s22
	v_mul_lo_u32 v38, v21, s23
	v_mad_u64_u32 v[33:34], null, v21, s22, 0
	s_mov_b32 s26, 0
	s_and_not1_b32 vcc_lo, exec_lo, s18
	s_mov_b32 s27, 0
	s_delay_alu instid0(VALU_DEP_1) | instskip(NEXT) | instid1(VALU_DEP_1)
	v_add3_u32 v34, v34, v38, v37
	v_lshlrev_b64 v[37:38], 3, v[33:34]
	s_cbranch_vccnz .LBB1699_240
; %bb.232:
	s_delay_alu instid0(VALU_DEP_1) | instskip(NEXT) | instid1(VALU_DEP_2)
	v_add_co_u32 v39, vcc_lo, s8, v37
	v_add_co_ci_u32_e32 v40, vcc_lo, s9, v38, vcc_lo
	v_add_co_u32 v33, vcc_lo, s8, v35
	v_add_co_ci_u32_e32 v34, vcc_lo, s9, v36, vcc_lo
	s_mov_b32 s27, -1
	s_clause 0x1
	global_load_b64 v[35:36], v[39:40], off
	global_load_b64 v[41:42], v[33:34], off
	s_mov_b32 s29, exec_lo
	s_waitcnt vmcnt(0)
	v_cmpx_eq_u64_e64 v[35:36], v[41:42]
	s_cbranch_execz .LBB1699_239
; %bb.233:
	v_add_co_u32 v33, vcc_lo, v33, 8
	v_add_co_ci_u32_e32 v34, vcc_lo, 0, v34, vcc_lo
	v_add_co_u32 v35, vcc_lo, v39, 8
	v_add_co_ci_u32_e32 v36, vcc_lo, 0, v40, vcc_lo
	s_add_u32 s4, s22, -1
	s_addc_u32 s5, s23, -1
	s_mov_b64 s[6:7], 0
	s_mov_b32 s27, 0
                                        ; implicit-def: $sgpr30
	s_set_inst_prefetch_distance 0x1
	s_branch .LBB1699_236
	.p2align	6
.LBB1699_234:                           ;   in Loop: Header=BB1699_236 Depth=1
	global_load_b64 v[39:40], v[35:36], off
	global_load_b64 v[41:42], v[33:34], off
	v_add_co_u32 v33, vcc_lo, v33, 8
	v_add_co_ci_u32_e32 v34, vcc_lo, 0, v34, vcc_lo
	v_add_co_u32 v35, s2, v35, 8
	s_delay_alu instid0(VALU_DEP_1)
	v_add_co_ci_u32_e64 v36, s2, 0, v36, s2
	s_add_u32 s6, s6, 1
	s_addc_u32 s7, s7, 0
	s_and_not1_b32 s2, s30, exec_lo
	s_waitcnt vmcnt(0)
	v_cmp_ne_u64_e32 vcc_lo, v[39:40], v[41:42]
	s_and_b32 s30, vcc_lo, exec_lo
	s_delay_alu instid0(SALU_CYCLE_1)
	s_or_b32 s30, s2, s30
.LBB1699_235:                           ;   in Loop: Header=BB1699_236 Depth=1
	v_dual_mov_b32 v40, s7 :: v_dual_mov_b32 v39, s6
	s_and_b32 s2, exec_lo, s30
	s_delay_alu instid0(SALU_CYCLE_1) | instskip(NEXT) | instid1(SALU_CYCLE_1)
	s_or_b32 s27, s2, s27
	s_and_not1_b32 exec_lo, exec_lo, s27
	s_cbranch_execz .LBB1699_238
.LBB1699_236:                           ; =>This Inner Loop Header: Depth=1
	s_or_b32 s30, s30, exec_lo
	s_cmp_eq_u64 s[4:5], s[6:7]
	s_cbranch_scc0 .LBB1699_234
; %bb.237:                              ;   in Loop: Header=BB1699_236 Depth=1
	s_mov_b64 s[6:7], s[22:23]
                                        ; implicit-def: $vgpr33_vgpr34
                                        ; implicit-def: $vgpr35_vgpr36
	s_branch .LBB1699_235
.LBB1699_238:
	s_set_inst_prefetch_distance 0x2
	s_or_b32 exec_lo, exec_lo, s27
	v_cmp_gt_i64_e32 vcc_lo, s[22:23], v[39:40]
	s_or_not1_b32 s27, vcc_lo, exec_lo
.LBB1699_239:
	s_or_b32 exec_lo, exec_lo, s29
.LBB1699_240:
	v_mul_lo_u32 v35, v28, s22
	v_mul_lo_u32 v36, v27, s23
	v_mad_u64_u32 v[33:34], null, v27, s22, 0
	s_and_not1_b32 vcc_lo, exec_lo, s18
	s_delay_alu instid0(VALU_DEP_1) | instskip(NEXT) | instid1(VALU_DEP_1)
	v_add3_u32 v34, v34, v36, v35
	v_lshlrev_b64 v[33:34], 3, v[33:34]
	s_cbranch_vccnz .LBB1699_249
; %bb.241:
	s_delay_alu instid0(VALU_DEP_1) | instskip(NEXT) | instid1(VALU_DEP_2)
	v_add_co_u32 v39, vcc_lo, s8, v33
	v_add_co_ci_u32_e32 v40, vcc_lo, s9, v34, vcc_lo
	v_add_co_u32 v35, vcc_lo, s8, v37
	v_add_co_ci_u32_e32 v36, vcc_lo, s9, v38, vcc_lo
	s_mov_b32 s26, -1
	s_clause 0x1
	global_load_b64 v[37:38], v[39:40], off
	global_load_b64 v[41:42], v[35:36], off
	s_mov_b32 s29, exec_lo
	s_waitcnt vmcnt(0)
	v_cmpx_eq_u64_e64 v[37:38], v[41:42]
	s_cbranch_execz .LBB1699_248
; %bb.242:
	v_add_co_u32 v35, vcc_lo, v35, 8
	v_add_co_ci_u32_e32 v36, vcc_lo, 0, v36, vcc_lo
	v_add_co_u32 v37, vcc_lo, v39, 8
	v_add_co_ci_u32_e32 v38, vcc_lo, 0, v40, vcc_lo
	s_add_u32 s4, s22, -1
	s_addc_u32 s5, s23, -1
	s_mov_b64 s[6:7], 0
	s_mov_b32 s26, 0
                                        ; implicit-def: $sgpr30
	s_set_inst_prefetch_distance 0x1
	s_branch .LBB1699_245
	.p2align	6
.LBB1699_243:                           ;   in Loop: Header=BB1699_245 Depth=1
	global_load_b64 v[39:40], v[37:38], off
	global_load_b64 v[41:42], v[35:36], off
	v_add_co_u32 v35, vcc_lo, v35, 8
	v_add_co_ci_u32_e32 v36, vcc_lo, 0, v36, vcc_lo
	v_add_co_u32 v37, s2, v37, 8
	s_delay_alu instid0(VALU_DEP_1)
	v_add_co_ci_u32_e64 v38, s2, 0, v38, s2
	s_add_u32 s6, s6, 1
	s_addc_u32 s7, s7, 0
	s_and_not1_b32 s2, s30, exec_lo
	s_waitcnt vmcnt(0)
	v_cmp_ne_u64_e32 vcc_lo, v[39:40], v[41:42]
	s_and_b32 s30, vcc_lo, exec_lo
	s_delay_alu instid0(SALU_CYCLE_1)
	s_or_b32 s30, s2, s30
.LBB1699_244:                           ;   in Loop: Header=BB1699_245 Depth=1
	v_dual_mov_b32 v40, s7 :: v_dual_mov_b32 v39, s6
	s_and_b32 s2, exec_lo, s30
	s_delay_alu instid0(SALU_CYCLE_1) | instskip(NEXT) | instid1(SALU_CYCLE_1)
	s_or_b32 s26, s2, s26
	s_and_not1_b32 exec_lo, exec_lo, s26
	s_cbranch_execz .LBB1699_247
.LBB1699_245:                           ; =>This Inner Loop Header: Depth=1
	s_or_b32 s30, s30, exec_lo
	s_cmp_eq_u64 s[4:5], s[6:7]
	s_cbranch_scc0 .LBB1699_243
; %bb.246:                              ;   in Loop: Header=BB1699_245 Depth=1
	s_mov_b64 s[6:7], s[22:23]
                                        ; implicit-def: $vgpr35_vgpr36
                                        ; implicit-def: $vgpr37_vgpr38
	s_branch .LBB1699_244
.LBB1699_247:
	s_set_inst_prefetch_distance 0x2
	s_or_b32 exec_lo, exec_lo, s26
	v_cmp_gt_i64_e32 vcc_lo, s[22:23], v[39:40]
	s_or_not1_b32 s26, vcc_lo, exec_lo
.LBB1699_248:
	s_or_b32 exec_lo, exec_lo, s29
.LBB1699_249:
	v_mul_lo_u32 v37, v26, s22
	v_mul_lo_u32 v38, v25, s23
	v_mad_u64_u32 v[35:36], null, v25, s22, 0
	s_mov_b32 s29, 0
	s_and_not1_b32 vcc_lo, exec_lo, s18
	s_mov_b32 s30, 0
	s_delay_alu instid0(VALU_DEP_1) | instskip(NEXT) | instid1(VALU_DEP_1)
	v_add3_u32 v36, v36, v38, v37
	v_lshlrev_b64 v[35:36], 3, v[35:36]
	s_cbranch_vccnz .LBB1699_258
; %bb.250:
	s_delay_alu instid0(VALU_DEP_1) | instskip(NEXT) | instid1(VALU_DEP_2)
	v_add_co_u32 v37, vcc_lo, s8, v35
	v_add_co_ci_u32_e32 v38, vcc_lo, s9, v36, vcc_lo
	v_add_co_u32 v33, vcc_lo, s8, v33
	v_add_co_ci_u32_e32 v34, vcc_lo, s9, v34, vcc_lo
	s_mov_b32 s30, -1
	s_clause 0x1
	global_load_b64 v[39:40], v[37:38], off
	global_load_b64 v[41:42], v[33:34], off
	s_mov_b32 s31, exec_lo
	s_waitcnt vmcnt(0)
	v_cmpx_eq_u64_e64 v[39:40], v[41:42]
	s_cbranch_execz .LBB1699_257
; %bb.251:
	v_add_co_u32 v33, vcc_lo, v33, 8
	v_add_co_ci_u32_e32 v34, vcc_lo, 0, v34, vcc_lo
	v_add_co_u32 v37, vcc_lo, v37, 8
	v_add_co_ci_u32_e32 v38, vcc_lo, 0, v38, vcc_lo
	s_add_u32 s4, s22, -1
	s_addc_u32 s5, s23, -1
	s_mov_b64 s[6:7], 0
	s_mov_b32 s30, 0
                                        ; implicit-def: $sgpr33
	s_set_inst_prefetch_distance 0x1
	s_branch .LBB1699_254
	.p2align	6
.LBB1699_252:                           ;   in Loop: Header=BB1699_254 Depth=1
	global_load_b64 v[39:40], v[37:38], off
	global_load_b64 v[41:42], v[33:34], off
	v_add_co_u32 v33, vcc_lo, v33, 8
	v_add_co_ci_u32_e32 v34, vcc_lo, 0, v34, vcc_lo
	v_add_co_u32 v37, s2, v37, 8
	s_delay_alu instid0(VALU_DEP_1)
	v_add_co_ci_u32_e64 v38, s2, 0, v38, s2
	s_add_u32 s6, s6, 1
	s_addc_u32 s7, s7, 0
	s_and_not1_b32 s2, s33, exec_lo
	s_waitcnt vmcnt(0)
	v_cmp_ne_u64_e32 vcc_lo, v[39:40], v[41:42]
	s_and_b32 s33, vcc_lo, exec_lo
	s_delay_alu instid0(SALU_CYCLE_1)
	s_or_b32 s33, s2, s33
.LBB1699_253:                           ;   in Loop: Header=BB1699_254 Depth=1
	v_dual_mov_b32 v40, s7 :: v_dual_mov_b32 v39, s6
	s_and_b32 s2, exec_lo, s33
	s_delay_alu instid0(SALU_CYCLE_1) | instskip(NEXT) | instid1(SALU_CYCLE_1)
	s_or_b32 s30, s2, s30
	s_and_not1_b32 exec_lo, exec_lo, s30
	s_cbranch_execz .LBB1699_256
.LBB1699_254:                           ; =>This Inner Loop Header: Depth=1
	s_or_b32 s33, s33, exec_lo
	s_cmp_eq_u64 s[4:5], s[6:7]
	s_cbranch_scc0 .LBB1699_252
; %bb.255:                              ;   in Loop: Header=BB1699_254 Depth=1
	s_mov_b64 s[6:7], s[22:23]
                                        ; implicit-def: $vgpr33_vgpr34
                                        ; implicit-def: $vgpr37_vgpr38
	s_branch .LBB1699_253
.LBB1699_256:
	s_set_inst_prefetch_distance 0x2
	s_or_b32 exec_lo, exec_lo, s30
	v_cmp_gt_i64_e32 vcc_lo, s[22:23], v[39:40]
	s_or_not1_b32 s30, vcc_lo, exec_lo
.LBB1699_257:
	s_or_b32 exec_lo, exec_lo, s31
.LBB1699_258:
	v_mul_lo_u32 v37, v32, s22
	v_mul_lo_u32 v38, v31, s23
	v_mad_u64_u32 v[33:34], null, v31, s22, 0
	s_and_not1_b32 vcc_lo, exec_lo, s18
	s_delay_alu instid0(VALU_DEP_1) | instskip(NEXT) | instid1(VALU_DEP_1)
	v_add3_u32 v34, v34, v38, v37
	v_lshlrev_b64 v[33:34], 3, v[33:34]
	s_cbranch_vccnz .LBB1699_267
; %bb.259:
	s_delay_alu instid0(VALU_DEP_1) | instskip(NEXT) | instid1(VALU_DEP_2)
	v_add_co_u32 v37, vcc_lo, s8, v33
	v_add_co_ci_u32_e32 v38, vcc_lo, s9, v34, vcc_lo
	v_add_co_u32 v35, vcc_lo, s8, v35
	v_add_co_ci_u32_e32 v36, vcc_lo, s9, v36, vcc_lo
	s_mov_b32 s29, -1
	s_clause 0x1
	global_load_b64 v[39:40], v[37:38], off
	global_load_b64 v[41:42], v[35:36], off
	s_mov_b32 s31, exec_lo
	s_waitcnt vmcnt(0)
	v_cmpx_eq_u64_e64 v[39:40], v[41:42]
	s_cbranch_execz .LBB1699_266
; %bb.260:
	v_add_co_u32 v35, vcc_lo, v35, 8
	v_add_co_ci_u32_e32 v36, vcc_lo, 0, v36, vcc_lo
	v_add_co_u32 v37, vcc_lo, v37, 8
	v_add_co_ci_u32_e32 v38, vcc_lo, 0, v38, vcc_lo
	s_add_u32 s4, s22, -1
	s_addc_u32 s5, s23, -1
	s_mov_b64 s[6:7], 0
	s_mov_b32 s29, 0
                                        ; implicit-def: $sgpr33
	s_set_inst_prefetch_distance 0x1
	s_branch .LBB1699_263
	.p2align	6
.LBB1699_261:                           ;   in Loop: Header=BB1699_263 Depth=1
	global_load_b64 v[39:40], v[37:38], off
	global_load_b64 v[41:42], v[35:36], off
	v_add_co_u32 v35, vcc_lo, v35, 8
	v_add_co_ci_u32_e32 v36, vcc_lo, 0, v36, vcc_lo
	v_add_co_u32 v37, s2, v37, 8
	s_delay_alu instid0(VALU_DEP_1)
	v_add_co_ci_u32_e64 v38, s2, 0, v38, s2
	s_add_u32 s6, s6, 1
	s_addc_u32 s7, s7, 0
	s_and_not1_b32 s2, s33, exec_lo
	s_waitcnt vmcnt(0)
	v_cmp_ne_u64_e32 vcc_lo, v[39:40], v[41:42]
	s_and_b32 s33, vcc_lo, exec_lo
	s_delay_alu instid0(SALU_CYCLE_1)
	s_or_b32 s33, s2, s33
.LBB1699_262:                           ;   in Loop: Header=BB1699_263 Depth=1
	v_dual_mov_b32 v40, s7 :: v_dual_mov_b32 v39, s6
	s_and_b32 s2, exec_lo, s33
	s_delay_alu instid0(SALU_CYCLE_1) | instskip(NEXT) | instid1(SALU_CYCLE_1)
	s_or_b32 s29, s2, s29
	s_and_not1_b32 exec_lo, exec_lo, s29
	s_cbranch_execz .LBB1699_265
.LBB1699_263:                           ; =>This Inner Loop Header: Depth=1
	s_or_b32 s33, s33, exec_lo
	s_cmp_eq_u64 s[4:5], s[6:7]
	s_cbranch_scc0 .LBB1699_261
; %bb.264:                              ;   in Loop: Header=BB1699_263 Depth=1
	s_mov_b64 s[6:7], s[22:23]
                                        ; implicit-def: $vgpr35_vgpr36
                                        ; implicit-def: $vgpr37_vgpr38
	s_branch .LBB1699_262
.LBB1699_265:
	s_set_inst_prefetch_distance 0x2
	s_or_b32 exec_lo, exec_lo, s29
	v_cmp_gt_i64_e32 vcc_lo, s[22:23], v[39:40]
	s_or_not1_b32 s29, vcc_lo, exec_lo
.LBB1699_266:
	s_or_b32 exec_lo, exec_lo, s31
.LBB1699_267:
	v_mul_lo_u32 v37, v30, s22
	v_mul_lo_u32 v38, v29, s23
	v_mad_u64_u32 v[35:36], null, v29, s22, 0
	s_and_not1_b32 vcc_lo, exec_lo, s18
	s_mov_b32 s2, 0
	s_delay_alu instid0(VALU_DEP_1)
	v_add3_u32 v36, v36, v38, v37
	s_cbranch_vccnz .LBB1699_276
; %bb.268:
	s_delay_alu instid0(VALU_DEP_1) | instskip(SKIP_2) | instid1(VALU_DEP_1)
	v_lshlrev_b64 v[37:38], 3, v[35:36]
	s_mov_b32 s2, -1
	s_mov_b32 s31, exec_lo
	v_add_co_u32 v37, vcc_lo, s8, v37
	s_delay_alu instid0(VALU_DEP_2)
	v_add_co_ci_u32_e32 v38, vcc_lo, s9, v38, vcc_lo
	v_add_co_u32 v33, vcc_lo, s8, v33
	v_add_co_ci_u32_e32 v34, vcc_lo, s9, v34, vcc_lo
	s_clause 0x1
	global_load_b64 v[39:40], v[37:38], off
	global_load_b64 v[41:42], v[33:34], off
	s_waitcnt vmcnt(0)
	v_cmpx_eq_u64_e64 v[39:40], v[41:42]
	s_cbranch_execz .LBB1699_275
; %bb.269:
	v_add_co_u32 v33, vcc_lo, v33, 8
	v_add_co_ci_u32_e32 v34, vcc_lo, 0, v34, vcc_lo
	v_add_co_u32 v37, vcc_lo, v37, 8
	v_add_co_ci_u32_e32 v38, vcc_lo, 0, v38, vcc_lo
	s_add_u32 s4, s22, -1
	s_addc_u32 s5, s23, -1
	s_mov_b64 s[6:7], 0
	s_mov_b32 s33, 0
                                        ; implicit-def: $sgpr34
	s_set_inst_prefetch_distance 0x1
	s_branch .LBB1699_272
	.p2align	6
.LBB1699_270:                           ;   in Loop: Header=BB1699_272 Depth=1
	global_load_b64 v[39:40], v[37:38], off
	global_load_b64 v[41:42], v[33:34], off
	v_add_co_u32 v33, vcc_lo, v33, 8
	v_add_co_ci_u32_e32 v34, vcc_lo, 0, v34, vcc_lo
	v_add_co_u32 v37, s2, v37, 8
	s_delay_alu instid0(VALU_DEP_1)
	v_add_co_ci_u32_e64 v38, s2, 0, v38, s2
	s_add_u32 s6, s6, 1
	s_addc_u32 s7, s7, 0
	s_and_not1_b32 s2, s34, exec_lo
	s_waitcnt vmcnt(0)
	v_cmp_ne_u64_e32 vcc_lo, v[39:40], v[41:42]
	s_and_b32 s34, vcc_lo, exec_lo
	s_delay_alu instid0(SALU_CYCLE_1)
	s_or_b32 s34, s2, s34
.LBB1699_271:                           ;   in Loop: Header=BB1699_272 Depth=1
	v_dual_mov_b32 v40, s7 :: v_dual_mov_b32 v39, s6
	s_and_b32 s2, exec_lo, s34
	s_delay_alu instid0(SALU_CYCLE_1) | instskip(NEXT) | instid1(SALU_CYCLE_1)
	s_or_b32 s33, s2, s33
	s_and_not1_b32 exec_lo, exec_lo, s33
	s_cbranch_execz .LBB1699_274
.LBB1699_272:                           ; =>This Inner Loop Header: Depth=1
	s_or_b32 s34, s34, exec_lo
	s_cmp_eq_u64 s[4:5], s[6:7]
	s_cbranch_scc0 .LBB1699_270
; %bb.273:                              ;   in Loop: Header=BB1699_272 Depth=1
	s_mov_b64 s[6:7], s[22:23]
                                        ; implicit-def: $vgpr33_vgpr34
                                        ; implicit-def: $vgpr37_vgpr38
	s_branch .LBB1699_271
.LBB1699_274:
	s_set_inst_prefetch_distance 0x2
	s_or_b32 exec_lo, exec_lo, s33
	v_cmp_gt_i64_e32 vcc_lo, s[22:23], v[39:40]
	s_or_not1_b32 s2, vcc_lo, exec_lo
.LBB1699_275:
	s_or_b32 exec_lo, exec_lo, s31
.LBB1699_276:
	v_cndmask_b32_e64 v34, 0, 1, s30
	v_cndmask_b32_e64 v37, 0, 1, s27
	;; [unrolled: 1-line block ×7, first 2 shown]
	v_lshlrev_b16 v37, 8, v37
	v_lshlrev_b16 v38, 8, v38
	;; [unrolled: 1-line block ×4, first 2 shown]
	s_waitcnt lgkmcnt(0)
	v_or_b32_e32 v37, v40, v37
	v_or_b32_e32 v38, v41, v38
	;; [unrolled: 1-line block ×4, first 2 shown]
	s_barrier
	v_and_b32_e32 v34, 0xffff, v37
	v_lshlrev_b32_e32 v37, 16, v38
	v_and_b32_e32 v38, 0xffff, v39
	v_lshlrev_b32_e32 v33, 16, v33
	buffer_gl0_inv
                                        ; implicit-def: $sgpr2
	s_mov_b32 s4, exec_lo
	v_or_b32_e32 v34, v34, v37
	v_or_b32_e32 v33, v38, v33
	v_cmpx_ne_u32_e32 0, v0
	s_xor_b32 s19, exec_lo, s4
	s_cbranch_execz .LBB1699_287
; %bb.277:
	s_and_not1_b32 vcc_lo, exec_lo, s18
	s_mov_b32 s2, 0
	s_cbranch_vccnz .LBB1699_286
; %bb.278:
	v_add_nc_u32_e32 v37, -8, v55
	v_lshlrev_b64 v[35:36], 3, v[35:36]
	s_mov_b32 s2, -1
	s_mov_b32 s25, exec_lo
	ds_load_b64 v[37:38], v37
	s_waitcnt lgkmcnt(0)
	v_mul_lo_u32 v40, v38, s22
	v_mul_lo_u32 v41, v37, s23
	v_mad_u64_u32 v[38:39], null, v37, s22, 0
	s_delay_alu instid0(VALU_DEP_1) | instskip(NEXT) | instid1(VALU_DEP_1)
	v_add3_u32 v39, v39, v41, v40
	v_lshlrev_b64 v[37:38], 3, v[38:39]
	s_delay_alu instid0(VALU_DEP_1) | instskip(NEXT) | instid1(VALU_DEP_2)
	v_add_co_u32 v37, vcc_lo, s8, v37
	v_add_co_ci_u32_e32 v38, vcc_lo, s9, v38, vcc_lo
	v_add_co_u32 v35, vcc_lo, s8, v35
	v_add_co_ci_u32_e32 v36, vcc_lo, s9, v36, vcc_lo
	s_clause 0x1
	global_load_b64 v[39:40], v[37:38], off
	global_load_b64 v[41:42], v[35:36], off
	s_waitcnt vmcnt(0)
	v_cmpx_eq_u64_e64 v[39:40], v[41:42]
	s_cbranch_execz .LBB1699_285
; %bb.279:
	v_add_co_u32 v35, vcc_lo, v35, 8
	v_add_co_ci_u32_e32 v36, vcc_lo, 0, v36, vcc_lo
	v_add_co_u32 v37, vcc_lo, v37, 8
	v_add_co_ci_u32_e32 v38, vcc_lo, 0, v38, vcc_lo
	s_add_u32 s4, s22, -1
	s_addc_u32 s5, s23, -1
	s_mov_b64 s[6:7], 0
	s_mov_b32 s26, 0
                                        ; implicit-def: $sgpr27
	s_set_inst_prefetch_distance 0x1
	s_branch .LBB1699_282
	.p2align	6
.LBB1699_280:                           ;   in Loop: Header=BB1699_282 Depth=1
	global_load_b64 v[39:40], v[37:38], off
	global_load_b64 v[41:42], v[35:36], off
	v_add_co_u32 v35, vcc_lo, v35, 8
	v_add_co_ci_u32_e32 v36, vcc_lo, 0, v36, vcc_lo
	v_add_co_u32 v37, s2, v37, 8
	s_delay_alu instid0(VALU_DEP_1)
	v_add_co_ci_u32_e64 v38, s2, 0, v38, s2
	s_add_u32 s6, s6, 1
	s_addc_u32 s7, s7, 0
	s_and_not1_b32 s2, s27, exec_lo
	s_waitcnt vmcnt(0)
	v_cmp_ne_u64_e32 vcc_lo, v[39:40], v[41:42]
	s_and_b32 s27, vcc_lo, exec_lo
	s_delay_alu instid0(SALU_CYCLE_1)
	s_or_b32 s27, s2, s27
.LBB1699_281:                           ;   in Loop: Header=BB1699_282 Depth=1
	v_dual_mov_b32 v40, s7 :: v_dual_mov_b32 v39, s6
	s_and_b32 s2, exec_lo, s27
	s_delay_alu instid0(SALU_CYCLE_1) | instskip(NEXT) | instid1(SALU_CYCLE_1)
	s_or_b32 s26, s2, s26
	s_and_not1_b32 exec_lo, exec_lo, s26
	s_cbranch_execz .LBB1699_284
.LBB1699_282:                           ; =>This Inner Loop Header: Depth=1
	s_or_b32 s27, s27, exec_lo
	s_cmp_eq_u64 s[4:5], s[6:7]
	s_cbranch_scc0 .LBB1699_280
; %bb.283:                              ;   in Loop: Header=BB1699_282 Depth=1
	s_mov_b64 s[6:7], s[22:23]
                                        ; implicit-def: $vgpr35_vgpr36
                                        ; implicit-def: $vgpr37_vgpr38
	s_branch .LBB1699_281
.LBB1699_284:
	s_set_inst_prefetch_distance 0x2
	s_or_b32 exec_lo, exec_lo, s26
	v_cmp_gt_i64_e32 vcc_lo, s[22:23], v[39:40]
	s_or_not1_b32 s2, vcc_lo, exec_lo
.LBB1699_285:
	s_or_b32 exec_lo, exec_lo, s25
.LBB1699_286:
	s_delay_alu instid0(SALU_CYCLE_1)
	s_and_b32 s2, s2, exec_lo
	s_or_b32 s3, s3, exec_lo
.LBB1699_287:
	s_or_b32 exec_lo, exec_lo, s19
	s_branch .LBB1699_379
.LBB1699_288:
	v_or_b32_e32 v33, 7, v55
	s_mov_b32 s19, 0
	s_mov_b32 s25, 0
	s_mov_b32 s26, exec_lo
	s_delay_alu instid0(VALU_DEP_1)
	v_cmpx_gt_u32_e64 s28, v33
	s_cbranch_execz .LBB1699_299
; %bb.289:
	s_and_not1_b32 vcc_lo, exec_lo, s18
	s_mov_b32 s2, 0
	s_cbranch_vccnz .LBB1699_298
; %bb.290:
	v_mul_lo_u32 v37, v18, s22
	v_mul_lo_u32 v38, v17, s23
	v_mad_u64_u32 v[33:34], null, v17, s22, 0
	v_mul_lo_u32 v39, v20, s22
	v_mul_lo_u32 v40, v19, s23
	v_mad_u64_u32 v[35:36], null, v19, s22, 0
	s_mov_b32 s2, -1
	s_mov_b32 s25, exec_lo
	s_delay_alu instid0(VALU_DEP_4) | instskip(NEXT) | instid1(VALU_DEP_2)
	v_add3_u32 v34, v34, v38, v37
	v_add3_u32 v36, v36, v40, v39
	s_delay_alu instid0(VALU_DEP_2) | instskip(NEXT) | instid1(VALU_DEP_2)
	v_lshlrev_b64 v[33:34], 3, v[33:34]
	v_lshlrev_b64 v[37:38], 3, v[35:36]
	s_delay_alu instid0(VALU_DEP_2) | instskip(NEXT) | instid1(VALU_DEP_3)
	v_add_co_u32 v35, vcc_lo, s8, v33
	v_add_co_ci_u32_e32 v36, vcc_lo, s9, v34, vcc_lo
	s_delay_alu instid0(VALU_DEP_3) | instskip(NEXT) | instid1(VALU_DEP_4)
	v_add_co_u32 v33, vcc_lo, s8, v37
	v_add_co_ci_u32_e32 v34, vcc_lo, s9, v38, vcc_lo
	s_clause 0x1
	global_load_b64 v[37:38], v[35:36], off
	global_load_b64 v[39:40], v[33:34], off
	s_waitcnt vmcnt(0)
	v_cmpx_eq_u64_e64 v[37:38], v[39:40]
	s_cbranch_execz .LBB1699_297
; %bb.291:
	v_add_co_u32 v33, vcc_lo, v33, 8
	v_add_co_ci_u32_e32 v34, vcc_lo, 0, v34, vcc_lo
	v_add_co_u32 v35, vcc_lo, v35, 8
	v_add_co_ci_u32_e32 v36, vcc_lo, 0, v36, vcc_lo
	s_add_u32 s4, s22, -1
	s_addc_u32 s5, s23, -1
	s_mov_b64 s[6:7], 0
	s_mov_b32 s27, 0
                                        ; implicit-def: $sgpr29
	s_set_inst_prefetch_distance 0x1
	s_branch .LBB1699_294
	.p2align	6
.LBB1699_292:                           ;   in Loop: Header=BB1699_294 Depth=1
	global_load_b64 v[37:38], v[35:36], off
	global_load_b64 v[39:40], v[33:34], off
	v_add_co_u32 v33, vcc_lo, v33, 8
	v_add_co_ci_u32_e32 v34, vcc_lo, 0, v34, vcc_lo
	v_add_co_u32 v35, s2, v35, 8
	s_delay_alu instid0(VALU_DEP_1)
	v_add_co_ci_u32_e64 v36, s2, 0, v36, s2
	s_add_u32 s6, s6, 1
	s_addc_u32 s7, s7, 0
	s_and_not1_b32 s2, s29, exec_lo
	s_waitcnt vmcnt(0)
	v_cmp_ne_u64_e32 vcc_lo, v[37:38], v[39:40]
	s_and_b32 s29, vcc_lo, exec_lo
	s_delay_alu instid0(SALU_CYCLE_1)
	s_or_b32 s29, s2, s29
.LBB1699_293:                           ;   in Loop: Header=BB1699_294 Depth=1
	v_dual_mov_b32 v38, s7 :: v_dual_mov_b32 v37, s6
	s_and_b32 s2, exec_lo, s29
	s_delay_alu instid0(SALU_CYCLE_1) | instskip(NEXT) | instid1(SALU_CYCLE_1)
	s_or_b32 s27, s2, s27
	s_and_not1_b32 exec_lo, exec_lo, s27
	s_cbranch_execz .LBB1699_296
.LBB1699_294:                           ; =>This Inner Loop Header: Depth=1
	s_or_b32 s29, s29, exec_lo
	s_cmp_eq_u64 s[4:5], s[6:7]
	s_cbranch_scc0 .LBB1699_292
; %bb.295:                              ;   in Loop: Header=BB1699_294 Depth=1
	s_mov_b64 s[6:7], s[22:23]
                                        ; implicit-def: $vgpr33_vgpr34
                                        ; implicit-def: $vgpr35_vgpr36
	s_branch .LBB1699_293
.LBB1699_296:
	s_set_inst_prefetch_distance 0x2
	s_or_b32 exec_lo, exec_lo, s27
	v_cmp_gt_i64_e32 vcc_lo, s[22:23], v[37:38]
	s_or_not1_b32 s2, vcc_lo, exec_lo
.LBB1699_297:
	s_or_b32 exec_lo, exec_lo, s25
.LBB1699_298:
	s_delay_alu instid0(SALU_CYCLE_1)
	s_and_b32 s25, s2, exec_lo
.LBB1699_299:
	s_or_b32 exec_lo, exec_lo, s26
	v_or_b32_e32 v33, 6, v55
	s_mov_b32 s26, exec_lo
	s_delay_alu instid0(VALU_DEP_1)
	v_cmpx_gt_u32_e64 s28, v33
	s_cbranch_execz .LBB1699_310
; %bb.300:
	s_and_not1_b32 vcc_lo, exec_lo, s18
	s_mov_b32 s2, 0
	s_cbranch_vccnz .LBB1699_309
; %bb.301:
	v_mul_lo_u32 v37, v24, s22
	v_mul_lo_u32 v38, v23, s23
	v_mad_u64_u32 v[33:34], null, v23, s22, 0
	v_mul_lo_u32 v39, v18, s22
	v_mul_lo_u32 v40, v17, s23
	v_mad_u64_u32 v[35:36], null, v17, s22, 0
	s_mov_b32 s2, -1
	s_mov_b32 s19, exec_lo
	s_delay_alu instid0(VALU_DEP_4) | instskip(NEXT) | instid1(VALU_DEP_2)
	v_add3_u32 v34, v34, v38, v37
	v_add3_u32 v36, v36, v40, v39
	s_delay_alu instid0(VALU_DEP_2) | instskip(NEXT) | instid1(VALU_DEP_2)
	v_lshlrev_b64 v[33:34], 3, v[33:34]
	v_lshlrev_b64 v[37:38], 3, v[35:36]
	s_delay_alu instid0(VALU_DEP_2) | instskip(NEXT) | instid1(VALU_DEP_3)
	v_add_co_u32 v35, vcc_lo, s8, v33
	v_add_co_ci_u32_e32 v36, vcc_lo, s9, v34, vcc_lo
	s_delay_alu instid0(VALU_DEP_3) | instskip(NEXT) | instid1(VALU_DEP_4)
	v_add_co_u32 v33, vcc_lo, s8, v37
	v_add_co_ci_u32_e32 v34, vcc_lo, s9, v38, vcc_lo
	s_clause 0x1
	global_load_b64 v[37:38], v[35:36], off
	global_load_b64 v[39:40], v[33:34], off
	s_waitcnt vmcnt(0)
	v_cmpx_eq_u64_e64 v[37:38], v[39:40]
	s_cbranch_execz .LBB1699_308
; %bb.302:
	v_add_co_u32 v33, vcc_lo, v33, 8
	v_add_co_ci_u32_e32 v34, vcc_lo, 0, v34, vcc_lo
	v_add_co_u32 v35, vcc_lo, v35, 8
	v_add_co_ci_u32_e32 v36, vcc_lo, 0, v36, vcc_lo
	s_add_u32 s4, s22, -1
	s_addc_u32 s5, s23, -1
	s_mov_b64 s[6:7], 0
	s_mov_b32 s27, 0
                                        ; implicit-def: $sgpr29
	s_set_inst_prefetch_distance 0x1
	s_branch .LBB1699_305
	.p2align	6
.LBB1699_303:                           ;   in Loop: Header=BB1699_305 Depth=1
	global_load_b64 v[37:38], v[35:36], off
	global_load_b64 v[39:40], v[33:34], off
	v_add_co_u32 v33, vcc_lo, v33, 8
	v_add_co_ci_u32_e32 v34, vcc_lo, 0, v34, vcc_lo
	v_add_co_u32 v35, s2, v35, 8
	s_delay_alu instid0(VALU_DEP_1)
	v_add_co_ci_u32_e64 v36, s2, 0, v36, s2
	s_add_u32 s6, s6, 1
	s_addc_u32 s7, s7, 0
	s_and_not1_b32 s2, s29, exec_lo
	s_waitcnt vmcnt(0)
	v_cmp_ne_u64_e32 vcc_lo, v[37:38], v[39:40]
	s_and_b32 s29, vcc_lo, exec_lo
	s_delay_alu instid0(SALU_CYCLE_1)
	s_or_b32 s29, s2, s29
.LBB1699_304:                           ;   in Loop: Header=BB1699_305 Depth=1
	v_dual_mov_b32 v38, s7 :: v_dual_mov_b32 v37, s6
	s_and_b32 s2, exec_lo, s29
	s_delay_alu instid0(SALU_CYCLE_1) | instskip(NEXT) | instid1(SALU_CYCLE_1)
	s_or_b32 s27, s2, s27
	s_and_not1_b32 exec_lo, exec_lo, s27
	s_cbranch_execz .LBB1699_307
.LBB1699_305:                           ; =>This Inner Loop Header: Depth=1
	s_or_b32 s29, s29, exec_lo
	s_cmp_eq_u64 s[4:5], s[6:7]
	s_cbranch_scc0 .LBB1699_303
; %bb.306:                              ;   in Loop: Header=BB1699_305 Depth=1
	s_mov_b64 s[6:7], s[22:23]
                                        ; implicit-def: $vgpr33_vgpr34
                                        ; implicit-def: $vgpr35_vgpr36
	s_branch .LBB1699_304
.LBB1699_307:
	s_set_inst_prefetch_distance 0x2
	s_or_b32 exec_lo, exec_lo, s27
	v_cmp_gt_i64_e32 vcc_lo, s[22:23], v[37:38]
	s_or_not1_b32 s2, vcc_lo, exec_lo
.LBB1699_308:
	s_or_b32 exec_lo, exec_lo, s19
.LBB1699_309:
	s_delay_alu instid0(SALU_CYCLE_1)
	s_and_b32 s19, s2, exec_lo
.LBB1699_310:
	s_or_b32 exec_lo, exec_lo, s26
	v_or_b32_e32 v33, 5, v55
	s_mov_b32 s26, 0
	s_mov_b32 s27, 0
	s_mov_b32 s29, exec_lo
	s_delay_alu instid0(VALU_DEP_1)
	v_cmpx_gt_u32_e64 s28, v33
	s_cbranch_execz .LBB1699_321
; %bb.311:
	s_and_not1_b32 vcc_lo, exec_lo, s18
	s_mov_b32 s2, 0
	s_cbranch_vccnz .LBB1699_320
; %bb.312:
	v_mul_lo_u32 v37, v22, s22
	v_mul_lo_u32 v38, v21, s23
	v_mad_u64_u32 v[33:34], null, v21, s22, 0
	v_mul_lo_u32 v39, v24, s22
	v_mul_lo_u32 v40, v23, s23
	v_mad_u64_u32 v[35:36], null, v23, s22, 0
	s_mov_b32 s2, -1
	s_mov_b32 s27, exec_lo
	s_delay_alu instid0(VALU_DEP_4) | instskip(NEXT) | instid1(VALU_DEP_2)
	v_add3_u32 v34, v34, v38, v37
	v_add3_u32 v36, v36, v40, v39
	s_delay_alu instid0(VALU_DEP_2) | instskip(NEXT) | instid1(VALU_DEP_2)
	v_lshlrev_b64 v[33:34], 3, v[33:34]
	v_lshlrev_b64 v[37:38], 3, v[35:36]
	s_delay_alu instid0(VALU_DEP_2) | instskip(NEXT) | instid1(VALU_DEP_3)
	v_add_co_u32 v35, vcc_lo, s8, v33
	v_add_co_ci_u32_e32 v36, vcc_lo, s9, v34, vcc_lo
	s_delay_alu instid0(VALU_DEP_3) | instskip(NEXT) | instid1(VALU_DEP_4)
	v_add_co_u32 v33, vcc_lo, s8, v37
	v_add_co_ci_u32_e32 v34, vcc_lo, s9, v38, vcc_lo
	s_clause 0x1
	global_load_b64 v[37:38], v[35:36], off
	global_load_b64 v[39:40], v[33:34], off
	s_waitcnt vmcnt(0)
	v_cmpx_eq_u64_e64 v[37:38], v[39:40]
	s_cbranch_execz .LBB1699_319
; %bb.313:
	v_add_co_u32 v33, vcc_lo, v33, 8
	v_add_co_ci_u32_e32 v34, vcc_lo, 0, v34, vcc_lo
	v_add_co_u32 v35, vcc_lo, v35, 8
	v_add_co_ci_u32_e32 v36, vcc_lo, 0, v36, vcc_lo
	s_add_u32 s4, s22, -1
	s_addc_u32 s5, s23, -1
	s_mov_b64 s[6:7], 0
	s_mov_b32 s30, 0
                                        ; implicit-def: $sgpr31
	s_set_inst_prefetch_distance 0x1
	s_branch .LBB1699_316
	.p2align	6
.LBB1699_314:                           ;   in Loop: Header=BB1699_316 Depth=1
	global_load_b64 v[37:38], v[35:36], off
	global_load_b64 v[39:40], v[33:34], off
	v_add_co_u32 v33, vcc_lo, v33, 8
	v_add_co_ci_u32_e32 v34, vcc_lo, 0, v34, vcc_lo
	v_add_co_u32 v35, s2, v35, 8
	s_delay_alu instid0(VALU_DEP_1)
	v_add_co_ci_u32_e64 v36, s2, 0, v36, s2
	s_add_u32 s6, s6, 1
	s_addc_u32 s7, s7, 0
	s_and_not1_b32 s2, s31, exec_lo
	s_waitcnt vmcnt(0)
	v_cmp_ne_u64_e32 vcc_lo, v[37:38], v[39:40]
	s_and_b32 s31, vcc_lo, exec_lo
	s_delay_alu instid0(SALU_CYCLE_1)
	s_or_b32 s31, s2, s31
.LBB1699_315:                           ;   in Loop: Header=BB1699_316 Depth=1
	v_dual_mov_b32 v38, s7 :: v_dual_mov_b32 v37, s6
	s_and_b32 s2, exec_lo, s31
	s_delay_alu instid0(SALU_CYCLE_1) | instskip(NEXT) | instid1(SALU_CYCLE_1)
	s_or_b32 s30, s2, s30
	s_and_not1_b32 exec_lo, exec_lo, s30
	s_cbranch_execz .LBB1699_318
.LBB1699_316:                           ; =>This Inner Loop Header: Depth=1
	s_or_b32 s31, s31, exec_lo
	s_cmp_eq_u64 s[4:5], s[6:7]
	s_cbranch_scc0 .LBB1699_314
; %bb.317:                              ;   in Loop: Header=BB1699_316 Depth=1
	s_mov_b64 s[6:7], s[22:23]
                                        ; implicit-def: $vgpr33_vgpr34
                                        ; implicit-def: $vgpr35_vgpr36
	s_branch .LBB1699_315
.LBB1699_318:
	s_set_inst_prefetch_distance 0x2
	s_or_b32 exec_lo, exec_lo, s30
	v_cmp_gt_i64_e32 vcc_lo, s[22:23], v[37:38]
	s_or_not1_b32 s2, vcc_lo, exec_lo
.LBB1699_319:
	s_or_b32 exec_lo, exec_lo, s27
.LBB1699_320:
	s_delay_alu instid0(SALU_CYCLE_1)
	s_and_b32 s27, s2, exec_lo
.LBB1699_321:
	s_or_b32 exec_lo, exec_lo, s29
	v_or_b32_e32 v33, 4, v55
	s_mov_b32 s29, exec_lo
	s_delay_alu instid0(VALU_DEP_1)
	v_cmpx_gt_u32_e64 s28, v33
	s_cbranch_execz .LBB1699_332
; %bb.322:
	s_and_not1_b32 vcc_lo, exec_lo, s18
	s_mov_b32 s2, 0
	s_cbranch_vccnz .LBB1699_331
; %bb.323:
	v_mul_lo_u32 v37, v28, s22
	v_mul_lo_u32 v38, v27, s23
	v_mad_u64_u32 v[33:34], null, v27, s22, 0
	v_mul_lo_u32 v39, v22, s22
	v_mul_lo_u32 v40, v21, s23
	v_mad_u64_u32 v[35:36], null, v21, s22, 0
	s_mov_b32 s2, -1
	s_mov_b32 s26, exec_lo
	s_delay_alu instid0(VALU_DEP_4) | instskip(NEXT) | instid1(VALU_DEP_2)
	v_add3_u32 v34, v34, v38, v37
	v_add3_u32 v36, v36, v40, v39
	s_delay_alu instid0(VALU_DEP_2) | instskip(NEXT) | instid1(VALU_DEP_2)
	v_lshlrev_b64 v[33:34], 3, v[33:34]
	v_lshlrev_b64 v[37:38], 3, v[35:36]
	s_delay_alu instid0(VALU_DEP_2) | instskip(NEXT) | instid1(VALU_DEP_3)
	v_add_co_u32 v35, vcc_lo, s8, v33
	v_add_co_ci_u32_e32 v36, vcc_lo, s9, v34, vcc_lo
	s_delay_alu instid0(VALU_DEP_3) | instskip(NEXT) | instid1(VALU_DEP_4)
	v_add_co_u32 v33, vcc_lo, s8, v37
	v_add_co_ci_u32_e32 v34, vcc_lo, s9, v38, vcc_lo
	s_clause 0x1
	global_load_b64 v[37:38], v[35:36], off
	global_load_b64 v[39:40], v[33:34], off
	s_waitcnt vmcnt(0)
	v_cmpx_eq_u64_e64 v[37:38], v[39:40]
	s_cbranch_execz .LBB1699_330
; %bb.324:
	v_add_co_u32 v33, vcc_lo, v33, 8
	v_add_co_ci_u32_e32 v34, vcc_lo, 0, v34, vcc_lo
	v_add_co_u32 v35, vcc_lo, v35, 8
	v_add_co_ci_u32_e32 v36, vcc_lo, 0, v36, vcc_lo
	s_add_u32 s4, s22, -1
	s_addc_u32 s5, s23, -1
	s_mov_b64 s[6:7], 0
	s_mov_b32 s30, 0
                                        ; implicit-def: $sgpr31
	s_set_inst_prefetch_distance 0x1
	s_branch .LBB1699_327
	.p2align	6
.LBB1699_325:                           ;   in Loop: Header=BB1699_327 Depth=1
	global_load_b64 v[37:38], v[35:36], off
	global_load_b64 v[39:40], v[33:34], off
	v_add_co_u32 v33, vcc_lo, v33, 8
	v_add_co_ci_u32_e32 v34, vcc_lo, 0, v34, vcc_lo
	v_add_co_u32 v35, s2, v35, 8
	s_delay_alu instid0(VALU_DEP_1)
	v_add_co_ci_u32_e64 v36, s2, 0, v36, s2
	s_add_u32 s6, s6, 1
	s_addc_u32 s7, s7, 0
	s_and_not1_b32 s2, s31, exec_lo
	s_waitcnt vmcnt(0)
	v_cmp_ne_u64_e32 vcc_lo, v[37:38], v[39:40]
	s_and_b32 s31, vcc_lo, exec_lo
	s_delay_alu instid0(SALU_CYCLE_1)
	s_or_b32 s31, s2, s31
.LBB1699_326:                           ;   in Loop: Header=BB1699_327 Depth=1
	v_dual_mov_b32 v38, s7 :: v_dual_mov_b32 v37, s6
	s_and_b32 s2, exec_lo, s31
	s_delay_alu instid0(SALU_CYCLE_1) | instskip(NEXT) | instid1(SALU_CYCLE_1)
	s_or_b32 s30, s2, s30
	s_and_not1_b32 exec_lo, exec_lo, s30
	s_cbranch_execz .LBB1699_329
.LBB1699_327:                           ; =>This Inner Loop Header: Depth=1
	s_or_b32 s31, s31, exec_lo
	s_cmp_eq_u64 s[4:5], s[6:7]
	s_cbranch_scc0 .LBB1699_325
; %bb.328:                              ;   in Loop: Header=BB1699_327 Depth=1
	s_mov_b64 s[6:7], s[22:23]
                                        ; implicit-def: $vgpr33_vgpr34
                                        ; implicit-def: $vgpr35_vgpr36
	s_branch .LBB1699_326
.LBB1699_329:
	s_set_inst_prefetch_distance 0x2
	s_or_b32 exec_lo, exec_lo, s30
	v_cmp_gt_i64_e32 vcc_lo, s[22:23], v[37:38]
	s_or_not1_b32 s2, vcc_lo, exec_lo
.LBB1699_330:
	s_or_b32 exec_lo, exec_lo, s26
.LBB1699_331:
	s_delay_alu instid0(SALU_CYCLE_1)
	s_and_b32 s26, s2, exec_lo
.LBB1699_332:
	s_or_b32 exec_lo, exec_lo, s29
	v_or_b32_e32 v33, 3, v55
	s_mov_b32 s30, 0
	s_mov_b32 s29, 0
	s_mov_b32 s31, exec_lo
	s_delay_alu instid0(VALU_DEP_1)
	v_cmpx_gt_u32_e64 s28, v33
	s_cbranch_execz .LBB1699_343
; %bb.333:
	s_and_not1_b32 vcc_lo, exec_lo, s18
	s_mov_b32 s2, 0
	s_cbranch_vccnz .LBB1699_342
; %bb.334:
	v_mul_lo_u32 v37, v26, s22
	v_mul_lo_u32 v38, v25, s23
	v_mad_u64_u32 v[33:34], null, v25, s22, 0
	v_mul_lo_u32 v39, v28, s22
	v_mul_lo_u32 v40, v27, s23
	v_mad_u64_u32 v[35:36], null, v27, s22, 0
	s_mov_b32 s2, -1
	s_mov_b32 s29, exec_lo
	s_delay_alu instid0(VALU_DEP_4) | instskip(NEXT) | instid1(VALU_DEP_2)
	v_add3_u32 v34, v34, v38, v37
	v_add3_u32 v36, v36, v40, v39
	s_delay_alu instid0(VALU_DEP_2) | instskip(NEXT) | instid1(VALU_DEP_2)
	v_lshlrev_b64 v[33:34], 3, v[33:34]
	v_lshlrev_b64 v[37:38], 3, v[35:36]
	s_delay_alu instid0(VALU_DEP_2) | instskip(NEXT) | instid1(VALU_DEP_3)
	v_add_co_u32 v35, vcc_lo, s8, v33
	v_add_co_ci_u32_e32 v36, vcc_lo, s9, v34, vcc_lo
	s_delay_alu instid0(VALU_DEP_3) | instskip(NEXT) | instid1(VALU_DEP_4)
	v_add_co_u32 v33, vcc_lo, s8, v37
	v_add_co_ci_u32_e32 v34, vcc_lo, s9, v38, vcc_lo
	s_clause 0x1
	global_load_b64 v[37:38], v[35:36], off
	global_load_b64 v[39:40], v[33:34], off
	s_waitcnt vmcnt(0)
	v_cmpx_eq_u64_e64 v[37:38], v[39:40]
	s_cbranch_execz .LBB1699_341
; %bb.335:
	v_add_co_u32 v33, vcc_lo, v33, 8
	v_add_co_ci_u32_e32 v34, vcc_lo, 0, v34, vcc_lo
	v_add_co_u32 v35, vcc_lo, v35, 8
	v_add_co_ci_u32_e32 v36, vcc_lo, 0, v36, vcc_lo
	s_add_u32 s4, s22, -1
	s_addc_u32 s5, s23, -1
	s_mov_b64 s[6:7], 0
	s_mov_b32 s33, 0
                                        ; implicit-def: $sgpr34
	s_set_inst_prefetch_distance 0x1
	s_branch .LBB1699_338
	.p2align	6
.LBB1699_336:                           ;   in Loop: Header=BB1699_338 Depth=1
	global_load_b64 v[37:38], v[35:36], off
	global_load_b64 v[39:40], v[33:34], off
	v_add_co_u32 v33, vcc_lo, v33, 8
	v_add_co_ci_u32_e32 v34, vcc_lo, 0, v34, vcc_lo
	v_add_co_u32 v35, s2, v35, 8
	s_delay_alu instid0(VALU_DEP_1)
	v_add_co_ci_u32_e64 v36, s2, 0, v36, s2
	s_add_u32 s6, s6, 1
	s_addc_u32 s7, s7, 0
	s_and_not1_b32 s2, s34, exec_lo
	s_waitcnt vmcnt(0)
	v_cmp_ne_u64_e32 vcc_lo, v[37:38], v[39:40]
	s_and_b32 s34, vcc_lo, exec_lo
	s_delay_alu instid0(SALU_CYCLE_1)
	s_or_b32 s34, s2, s34
.LBB1699_337:                           ;   in Loop: Header=BB1699_338 Depth=1
	v_dual_mov_b32 v38, s7 :: v_dual_mov_b32 v37, s6
	s_and_b32 s2, exec_lo, s34
	s_delay_alu instid0(SALU_CYCLE_1) | instskip(NEXT) | instid1(SALU_CYCLE_1)
	s_or_b32 s33, s2, s33
	s_and_not1_b32 exec_lo, exec_lo, s33
	s_cbranch_execz .LBB1699_340
.LBB1699_338:                           ; =>This Inner Loop Header: Depth=1
	s_or_b32 s34, s34, exec_lo
	s_cmp_eq_u64 s[4:5], s[6:7]
	s_cbranch_scc0 .LBB1699_336
; %bb.339:                              ;   in Loop: Header=BB1699_338 Depth=1
	s_mov_b64 s[6:7], s[22:23]
                                        ; implicit-def: $vgpr33_vgpr34
                                        ; implicit-def: $vgpr35_vgpr36
	s_branch .LBB1699_337
.LBB1699_340:
	s_set_inst_prefetch_distance 0x2
	s_or_b32 exec_lo, exec_lo, s33
	v_cmp_gt_i64_e32 vcc_lo, s[22:23], v[37:38]
	s_or_not1_b32 s2, vcc_lo, exec_lo
.LBB1699_341:
	s_or_b32 exec_lo, exec_lo, s29
.LBB1699_342:
	s_delay_alu instid0(SALU_CYCLE_1)
	s_and_b32 s29, s2, exec_lo
.LBB1699_343:
	s_or_b32 exec_lo, exec_lo, s31
	v_or_b32_e32 v33, 2, v55
	s_mov_b32 s31, exec_lo
	s_delay_alu instid0(VALU_DEP_1)
	v_cmpx_gt_u32_e64 s28, v33
	s_cbranch_execz .LBB1699_354
; %bb.344:
	s_and_not1_b32 vcc_lo, exec_lo, s18
	s_mov_b32 s2, 0
	s_cbranch_vccnz .LBB1699_353
; %bb.345:
	v_mul_lo_u32 v37, v32, s22
	v_mul_lo_u32 v38, v31, s23
	v_mad_u64_u32 v[33:34], null, v31, s22, 0
	v_mul_lo_u32 v39, v26, s22
	v_mul_lo_u32 v40, v25, s23
	v_mad_u64_u32 v[35:36], null, v25, s22, 0
	s_mov_b32 s2, -1
	s_mov_b32 s30, exec_lo
	s_delay_alu instid0(VALU_DEP_4) | instskip(NEXT) | instid1(VALU_DEP_2)
	v_add3_u32 v34, v34, v38, v37
	v_add3_u32 v36, v36, v40, v39
	s_delay_alu instid0(VALU_DEP_2) | instskip(NEXT) | instid1(VALU_DEP_2)
	v_lshlrev_b64 v[33:34], 3, v[33:34]
	v_lshlrev_b64 v[37:38], 3, v[35:36]
	s_delay_alu instid0(VALU_DEP_2) | instskip(NEXT) | instid1(VALU_DEP_3)
	v_add_co_u32 v35, vcc_lo, s8, v33
	v_add_co_ci_u32_e32 v36, vcc_lo, s9, v34, vcc_lo
	s_delay_alu instid0(VALU_DEP_3) | instskip(NEXT) | instid1(VALU_DEP_4)
	v_add_co_u32 v33, vcc_lo, s8, v37
	v_add_co_ci_u32_e32 v34, vcc_lo, s9, v38, vcc_lo
	s_clause 0x1
	global_load_b64 v[37:38], v[35:36], off
	global_load_b64 v[39:40], v[33:34], off
	s_waitcnt vmcnt(0)
	v_cmpx_eq_u64_e64 v[37:38], v[39:40]
	s_cbranch_execz .LBB1699_352
; %bb.346:
	v_add_co_u32 v33, vcc_lo, v33, 8
	v_add_co_ci_u32_e32 v34, vcc_lo, 0, v34, vcc_lo
	v_add_co_u32 v35, vcc_lo, v35, 8
	v_add_co_ci_u32_e32 v36, vcc_lo, 0, v36, vcc_lo
	s_add_u32 s4, s22, -1
	s_addc_u32 s5, s23, -1
	s_mov_b64 s[6:7], 0
	s_mov_b32 s33, 0
                                        ; implicit-def: $sgpr34
	s_set_inst_prefetch_distance 0x1
	s_branch .LBB1699_349
	.p2align	6
.LBB1699_347:                           ;   in Loop: Header=BB1699_349 Depth=1
	global_load_b64 v[37:38], v[35:36], off
	global_load_b64 v[39:40], v[33:34], off
	v_add_co_u32 v33, vcc_lo, v33, 8
	v_add_co_ci_u32_e32 v34, vcc_lo, 0, v34, vcc_lo
	v_add_co_u32 v35, s2, v35, 8
	s_delay_alu instid0(VALU_DEP_1)
	v_add_co_ci_u32_e64 v36, s2, 0, v36, s2
	s_add_u32 s6, s6, 1
	s_addc_u32 s7, s7, 0
	s_and_not1_b32 s2, s34, exec_lo
	s_waitcnt vmcnt(0)
	v_cmp_ne_u64_e32 vcc_lo, v[37:38], v[39:40]
	s_and_b32 s34, vcc_lo, exec_lo
	s_delay_alu instid0(SALU_CYCLE_1)
	s_or_b32 s34, s2, s34
.LBB1699_348:                           ;   in Loop: Header=BB1699_349 Depth=1
	v_dual_mov_b32 v38, s7 :: v_dual_mov_b32 v37, s6
	s_and_b32 s2, exec_lo, s34
	s_delay_alu instid0(SALU_CYCLE_1) | instskip(NEXT) | instid1(SALU_CYCLE_1)
	s_or_b32 s33, s2, s33
	s_and_not1_b32 exec_lo, exec_lo, s33
	s_cbranch_execz .LBB1699_351
.LBB1699_349:                           ; =>This Inner Loop Header: Depth=1
	s_or_b32 s34, s34, exec_lo
	s_cmp_eq_u64 s[4:5], s[6:7]
	s_cbranch_scc0 .LBB1699_347
; %bb.350:                              ;   in Loop: Header=BB1699_349 Depth=1
	s_mov_b64 s[6:7], s[22:23]
                                        ; implicit-def: $vgpr33_vgpr34
                                        ; implicit-def: $vgpr35_vgpr36
	s_branch .LBB1699_348
.LBB1699_351:
	s_set_inst_prefetch_distance 0x2
	s_or_b32 exec_lo, exec_lo, s33
	v_cmp_gt_i64_e32 vcc_lo, s[22:23], v[37:38]
	s_or_not1_b32 s2, vcc_lo, exec_lo
.LBB1699_352:
	s_or_b32 exec_lo, exec_lo, s30
.LBB1699_353:
	s_delay_alu instid0(SALU_CYCLE_1)
	s_and_b32 s30, s2, exec_lo
.LBB1699_354:
	s_or_b32 exec_lo, exec_lo, s31
	v_or_b32_e32 v33, 1, v55
	s_mov_b32 s2, 0
	s_mov_b32 s31, exec_lo
	s_delay_alu instid0(VALU_DEP_1)
	v_cmpx_gt_u32_e64 s28, v33
	s_cbranch_execz .LBB1699_365
; %bb.355:
	s_and_not1_b32 vcc_lo, exec_lo, s18
	s_cbranch_vccnz .LBB1699_364
; %bb.356:
	v_mul_lo_u32 v37, v30, s22
	v_mul_lo_u32 v38, v29, s23
	v_mad_u64_u32 v[33:34], null, v29, s22, 0
	v_mul_lo_u32 v39, v32, s22
	v_mul_lo_u32 v40, v31, s23
	v_mad_u64_u32 v[35:36], null, v31, s22, 0
	s_mov_b32 s2, -1
	s_mov_b32 s33, exec_lo
	s_delay_alu instid0(VALU_DEP_4) | instskip(NEXT) | instid1(VALU_DEP_2)
	v_add3_u32 v34, v34, v38, v37
	v_add3_u32 v36, v36, v40, v39
	s_delay_alu instid0(VALU_DEP_2) | instskip(NEXT) | instid1(VALU_DEP_2)
	v_lshlrev_b64 v[33:34], 3, v[33:34]
	v_lshlrev_b64 v[37:38], 3, v[35:36]
	s_delay_alu instid0(VALU_DEP_2) | instskip(NEXT) | instid1(VALU_DEP_3)
	v_add_co_u32 v35, vcc_lo, s8, v33
	v_add_co_ci_u32_e32 v36, vcc_lo, s9, v34, vcc_lo
	s_delay_alu instid0(VALU_DEP_3) | instskip(NEXT) | instid1(VALU_DEP_4)
	v_add_co_u32 v33, vcc_lo, s8, v37
	v_add_co_ci_u32_e32 v34, vcc_lo, s9, v38, vcc_lo
	s_clause 0x1
	global_load_b64 v[37:38], v[35:36], off
	global_load_b64 v[39:40], v[33:34], off
	s_waitcnt vmcnt(0)
	v_cmpx_eq_u64_e64 v[37:38], v[39:40]
	s_cbranch_execz .LBB1699_363
; %bb.357:
	v_add_co_u32 v33, vcc_lo, v33, 8
	v_add_co_ci_u32_e32 v34, vcc_lo, 0, v34, vcc_lo
	v_add_co_u32 v35, vcc_lo, v35, 8
	v_add_co_ci_u32_e32 v36, vcc_lo, 0, v36, vcc_lo
	s_add_u32 s4, s22, -1
	s_addc_u32 s5, s23, -1
	s_mov_b64 s[6:7], 0
	s_mov_b32 s34, 0
                                        ; implicit-def: $sgpr35
	s_set_inst_prefetch_distance 0x1
	s_branch .LBB1699_360
	.p2align	6
.LBB1699_358:                           ;   in Loop: Header=BB1699_360 Depth=1
	global_load_b64 v[37:38], v[35:36], off
	global_load_b64 v[39:40], v[33:34], off
	v_add_co_u32 v33, vcc_lo, v33, 8
	v_add_co_ci_u32_e32 v34, vcc_lo, 0, v34, vcc_lo
	v_add_co_u32 v35, s2, v35, 8
	s_delay_alu instid0(VALU_DEP_1)
	v_add_co_ci_u32_e64 v36, s2, 0, v36, s2
	s_add_u32 s6, s6, 1
	s_addc_u32 s7, s7, 0
	s_and_not1_b32 s2, s35, exec_lo
	s_waitcnt vmcnt(0)
	v_cmp_ne_u64_e32 vcc_lo, v[37:38], v[39:40]
	s_and_b32 s35, vcc_lo, exec_lo
	s_delay_alu instid0(SALU_CYCLE_1)
	s_or_b32 s35, s2, s35
.LBB1699_359:                           ;   in Loop: Header=BB1699_360 Depth=1
	v_dual_mov_b32 v38, s7 :: v_dual_mov_b32 v37, s6
	s_and_b32 s2, exec_lo, s35
	s_delay_alu instid0(SALU_CYCLE_1) | instskip(NEXT) | instid1(SALU_CYCLE_1)
	s_or_b32 s34, s2, s34
	s_and_not1_b32 exec_lo, exec_lo, s34
	s_cbranch_execz .LBB1699_362
.LBB1699_360:                           ; =>This Inner Loop Header: Depth=1
	s_or_b32 s35, s35, exec_lo
	s_cmp_eq_u64 s[4:5], s[6:7]
	s_cbranch_scc0 .LBB1699_358
; %bb.361:                              ;   in Loop: Header=BB1699_360 Depth=1
	s_mov_b64 s[6:7], s[22:23]
                                        ; implicit-def: $vgpr33_vgpr34
                                        ; implicit-def: $vgpr35_vgpr36
	s_branch .LBB1699_359
.LBB1699_362:
	s_set_inst_prefetch_distance 0x2
	s_or_b32 exec_lo, exec_lo, s34
	v_cmp_gt_i64_e32 vcc_lo, s[22:23], v[37:38]
	s_or_not1_b32 s2, vcc_lo, exec_lo
.LBB1699_363:
	s_or_b32 exec_lo, exec_lo, s33
.LBB1699_364:
	s_delay_alu instid0(SALU_CYCLE_1)
	s_and_b32 s2, s2, exec_lo
.LBB1699_365:
	s_or_b32 exec_lo, exec_lo, s31
	v_cndmask_b32_e64 v34, 0, 1, s29
	v_cndmask_b32_e64 v35, 0, 1, s27
	;; [unrolled: 1-line block ×7, first 2 shown]
	v_lshlrev_b16 v35, 8, v35
	v_lshlrev_b16 v36, 8, v36
	;; [unrolled: 1-line block ×4, first 2 shown]
	s_mov_b32 s19, exec_lo
	v_or_b32_e32 v35, v38, v35
	v_or_b32_e32 v36, v39, v36
	;; [unrolled: 1-line block ×4, first 2 shown]
	s_waitcnt lgkmcnt(0)
	v_and_b32_e32 v34, 0xffff, v35
	v_lshlrev_b32_e32 v35, 16, v36
	v_and_b32_e32 v36, 0xffff, v37
	v_lshlrev_b32_e32 v33, 16, v33
	s_barrier
	buffer_gl0_inv
	v_or_b32_e32 v34, v34, v35
                                        ; implicit-def: $sgpr2
	v_or_b32_e32 v33, v36, v33
	v_cmpx_ne_u32_e32 0, v0
	s_cbranch_execz .LBB1699_378
; %bb.366:
	s_mov_b32 s2, 0
	s_mov_b32 s25, exec_lo
	v_cmpx_gt_u32_e64 s28, v55
	s_cbranch_execz .LBB1699_377
; %bb.367:
	s_and_not1_b32 vcc_lo, exec_lo, s18
	s_cbranch_vccnz .LBB1699_376
; %bb.368:
	v_add_nc_u32_e32 v35, -8, v55
	v_mul_lo_u32 v42, v29, s23
	v_mad_u64_u32 v[38:39], null, v29, s22, 0
	s_mov_b32 s2, -1
	ds_load_b64 v[35:36], v35
	s_waitcnt lgkmcnt(0)
	v_mul_lo_u32 v40, v36, s22
	v_mul_lo_u32 v41, v35, s23
	v_mad_u64_u32 v[36:37], null, v35, s22, 0
	v_mul_lo_u32 v35, v30, s22
	s_delay_alu instid0(VALU_DEP_2) | instskip(NEXT) | instid1(VALU_DEP_2)
	v_add3_u32 v37, v37, v41, v40
	v_add3_u32 v39, v39, v42, v35
	s_delay_alu instid0(VALU_DEP_2) | instskip(NEXT) | instid1(VALU_DEP_2)
	v_lshlrev_b64 v[35:36], 3, v[36:37]
	v_lshlrev_b64 v[39:40], 3, v[38:39]
	s_delay_alu instid0(VALU_DEP_2) | instskip(NEXT) | instid1(VALU_DEP_3)
	v_add_co_u32 v37, vcc_lo, s8, v35
	v_add_co_ci_u32_e32 v38, vcc_lo, s9, v36, vcc_lo
	s_delay_alu instid0(VALU_DEP_3) | instskip(NEXT) | instid1(VALU_DEP_4)
	v_add_co_u32 v35, vcc_lo, s8, v39
	v_add_co_ci_u32_e32 v36, vcc_lo, s9, v40, vcc_lo
	s_clause 0x1
	global_load_b64 v[39:40], v[37:38], off
	global_load_b64 v[41:42], v[35:36], off
	s_mov_b32 s8, exec_lo
	s_waitcnt vmcnt(0)
	v_cmpx_eq_u64_e64 v[39:40], v[41:42]
	s_cbranch_execz .LBB1699_375
; %bb.369:
	v_add_co_u32 v35, vcc_lo, v35, 8
	v_add_co_ci_u32_e32 v36, vcc_lo, 0, v36, vcc_lo
	v_add_co_u32 v37, vcc_lo, v37, 8
	v_add_co_ci_u32_e32 v38, vcc_lo, 0, v38, vcc_lo
	s_add_u32 s4, s22, -1
	s_addc_u32 s5, s23, -1
	s_mov_b64 s[6:7], 0
	s_mov_b32 s9, 0
                                        ; implicit-def: $sgpr18
	s_set_inst_prefetch_distance 0x1
	s_branch .LBB1699_372
	.p2align	6
.LBB1699_370:                           ;   in Loop: Header=BB1699_372 Depth=1
	global_load_b64 v[39:40], v[37:38], off
	global_load_b64 v[41:42], v[35:36], off
	v_add_co_u32 v35, vcc_lo, v35, 8
	v_add_co_ci_u32_e32 v36, vcc_lo, 0, v36, vcc_lo
	v_add_co_u32 v37, s2, v37, 8
	s_delay_alu instid0(VALU_DEP_1)
	v_add_co_ci_u32_e64 v38, s2, 0, v38, s2
	s_add_u32 s6, s6, 1
	s_addc_u32 s7, s7, 0
	s_and_not1_b32 s2, s18, exec_lo
	s_waitcnt vmcnt(0)
	v_cmp_ne_u64_e32 vcc_lo, v[39:40], v[41:42]
	s_and_b32 s18, vcc_lo, exec_lo
	s_delay_alu instid0(SALU_CYCLE_1)
	s_or_b32 s18, s2, s18
.LBB1699_371:                           ;   in Loop: Header=BB1699_372 Depth=1
	v_dual_mov_b32 v40, s7 :: v_dual_mov_b32 v39, s6
	s_and_b32 s2, exec_lo, s18
	s_delay_alu instid0(SALU_CYCLE_1) | instskip(NEXT) | instid1(SALU_CYCLE_1)
	s_or_b32 s9, s2, s9
	s_and_not1_b32 exec_lo, exec_lo, s9
	s_cbranch_execz .LBB1699_374
.LBB1699_372:                           ; =>This Inner Loop Header: Depth=1
	s_or_b32 s18, s18, exec_lo
	s_cmp_eq_u64 s[4:5], s[6:7]
	s_cbranch_scc0 .LBB1699_370
; %bb.373:                              ;   in Loop: Header=BB1699_372 Depth=1
	s_mov_b64 s[6:7], s[22:23]
                                        ; implicit-def: $vgpr35_vgpr36
                                        ; implicit-def: $vgpr37_vgpr38
	s_branch .LBB1699_371
.LBB1699_374:
	s_set_inst_prefetch_distance 0x2
	s_or_b32 exec_lo, exec_lo, s9
	v_cmp_gt_i64_e32 vcc_lo, s[22:23], v[39:40]
	s_or_not1_b32 s2, vcc_lo, exec_lo
.LBB1699_375:
	s_or_b32 exec_lo, exec_lo, s8
.LBB1699_376:
	s_delay_alu instid0(SALU_CYCLE_1)
	s_and_b32 s2, s2, exec_lo
.LBB1699_377:
	s_or_b32 exec_lo, exec_lo, s25
	s_delay_alu instid0(SALU_CYCLE_1)
	s_and_b32 s2, s2, exec_lo
	s_or_b32 s3, s3, exec_lo
.LBB1699_378:
	s_or_b32 exec_lo, exec_lo, s19
.LBB1699_379:
	s_and_saveexec_b32 s4, s3
; %bb.380:
	v_and_b32_e32 v35, 0xffffff00, v33
	v_cndmask_b32_e64 v36, 0, 1, s2
	s_delay_alu instid0(VALU_DEP_1) | instskip(NEXT) | instid1(VALU_DEP_1)
	v_or_b32_e32 v35, v36, v35
	v_and_b32_e32 v35, 0xffff, v35
	s_delay_alu instid0(VALU_DEP_1)
	v_and_or_b32 v33, 0xffff0000, v33, v35
; %bb.381:
	s_or_b32 exec_lo, exec_lo, s4
	s_delay_alu instid0(SALU_CYCLE_1)
	s_and_not1_b32 vcc_lo, exec_lo, s21
	s_cbranch_vccnz .LBB1699_383
; %bb.382:
	v_cmp_gt_u32_e32 vcc_lo, s28, v55
	v_or_b32_e32 v36, 1, v55
	v_and_b32_e32 v37, 0xffffff00, v34
	v_or_b32_e32 v38, 2, v55
	v_cndmask_b32_e32 v35, 0, v33, vcc_lo
	s_delay_alu instid0(VALU_DEP_4) | instskip(SKIP_1) | instid1(VALU_DEP_4)
	v_cmp_gt_u32_e32 vcc_lo, s28, v36
	v_or_b32_e32 v36, 4, v55
	v_cmp_gt_u32_e64 s2, s28, v38
	v_or_b32_e32 v38, 3, v55
	v_and_b32_e32 v35, 0xff, v35
	s_delay_alu instid0(VALU_DEP_2) | instskip(NEXT) | instid1(VALU_DEP_2)
	v_cmp_gt_u32_e64 s3, s28, v38
	v_cndmask_b32_e32 v35, v35, v33, vcc_lo
	v_cmp_gt_u32_e32 vcc_lo, s28, v36
	v_cndmask_b32_e32 v36, v37, v34, vcc_lo
	v_or_b32_e32 v37, 5, v55
	s_delay_alu instid0(VALU_DEP_2) | instskip(SKIP_1) | instid1(VALU_DEP_1)
	v_and_b32_e32 v36, 0xffff00ff, v36
	v_and_b32_e32 v35, 0xffff, v35
	v_cndmask_b32_e64 v35, v35, v33, s2
	s_delay_alu instid0(VALU_DEP_4) | instskip(SKIP_1) | instid1(VALU_DEP_3)
	v_cmp_gt_u32_e64 s2, s28, v37
	v_or_b32_e32 v37, 6, v55
	v_and_b32_e32 v35, 0xffffff, v35
	s_delay_alu instid0(VALU_DEP_3) | instskip(NEXT) | instid1(VALU_DEP_2)
	v_cndmask_b32_e64 v36, v36, v34, s2
	v_cndmask_b32_e64 v35, v35, v33, s3
	s_delay_alu instid0(VALU_DEP_1) | instskip(SKIP_2) | instid1(VALU_DEP_3)
	v_dual_cndmask_b32 v35, v35, v33 :: v_dual_and_b32 v36, 0xff00ffff, v36
	v_cmp_gt_u32_e32 vcc_lo, s28, v37
	v_or_b32_e32 v37, 7, v55
	v_cndmask_b32_e64 v35, v35, v33, s2
	s_delay_alu instid0(VALU_DEP_1) | instskip(NEXT) | instid1(VALU_DEP_1)
	v_dual_cndmask_b32 v36, v36, v34 :: v_dual_cndmask_b32 v35, v35, v33
	v_and_b32_e32 v36, 0xffffff, v36
	s_delay_alu instid0(VALU_DEP_4) | instskip(NEXT) | instid1(VALU_DEP_2)
	v_cmp_gt_u32_e32 vcc_lo, s28, v37
	v_dual_cndmask_b32 v34, v36, v34 :: v_dual_cndmask_b32 v33, v35, v33
.LBB1699_383:
	s_delay_alu instid0(VALU_DEP_1) | instskip(NEXT) | instid1(VALU_DEP_2)
	v_and_b32_e32 v42, 0xff, v33
	v_alignbit_b32 v35, v34, v33, 24
	v_bfe_u32 v44, v33, 8, 8
	v_bfe_u32 v46, v33, 16, 8
	v_and_b32_e32 v50, 0xff, v34
	v_bfe_u32 v52, v34, 8, 8
	v_and_b32_e32 v48, 0xff, v35
	v_add_nc_u32_e32 v35, v44, v42
	v_mbcnt_lo_u32_b32 v57, -1, 0
	v_bfe_u32 v54, v34, 16, 8
	v_lshrrev_b32_e32 v56, 24, v34
	v_lshrrev_b32_e32 v58, 5, v0
	v_add3_u32 v35, v35, v46, v48
	v_and_b32_e32 v36, 15, v57
	v_and_b32_e32 v37, 16, v57
	s_and_b32 vcc_lo, exec_lo, s24
	s_mov_b32 s9, -1
	v_add3_u32 v35, v35, v50, v52
	v_cmp_eq_u32_e64 s4, 0, v36
	v_cmp_lt_u32_e64 s2, 1, v36
	v_cmp_lt_u32_e64 s5, 3, v36
	;; [unrolled: 1-line block ×3, first 2 shown]
	v_add3_u32 v59, v35, v54, v56
	v_or_b32_e32 v35, 31, v0
	v_cmp_eq_u32_e64 s7, 0, v37
	s_waitcnt lgkmcnt(0)
	s_barrier
	buffer_gl0_inv
	v_cmp_eq_u32_e64 s6, v35, v0
	s_cbranch_vccz .LBB1699_409
; %bb.384:
	v_mov_b32_dpp v35, v59 row_shr:1 row_mask:0xf bank_mask:0xf
	s_delay_alu instid0(VALU_DEP_1) | instskip(NEXT) | instid1(VALU_DEP_1)
	v_cndmask_b32_e64 v35, v35, 0, s4
	v_add_nc_u32_e32 v35, v35, v59
	s_delay_alu instid0(VALU_DEP_1) | instskip(NEXT) | instid1(VALU_DEP_1)
	v_mov_b32_dpp v36, v35 row_shr:2 row_mask:0xf bank_mask:0xf
	v_cndmask_b32_e64 v36, 0, v36, s2
	s_delay_alu instid0(VALU_DEP_1) | instskip(NEXT) | instid1(VALU_DEP_1)
	v_add_nc_u32_e32 v35, v35, v36
	v_mov_b32_dpp v36, v35 row_shr:4 row_mask:0xf bank_mask:0xf
	s_delay_alu instid0(VALU_DEP_1) | instskip(NEXT) | instid1(VALU_DEP_1)
	v_cndmask_b32_e64 v36, 0, v36, s5
	v_add_nc_u32_e32 v35, v35, v36
	s_delay_alu instid0(VALU_DEP_1) | instskip(NEXT) | instid1(VALU_DEP_1)
	v_mov_b32_dpp v36, v35 row_shr:8 row_mask:0xf bank_mask:0xf
	v_cndmask_b32_e64 v36, 0, v36, s3
	s_delay_alu instid0(VALU_DEP_1) | instskip(SKIP_3) | instid1(VALU_DEP_1)
	v_add_nc_u32_e32 v35, v35, v36
	ds_swizzle_b32 v36, v35 offset:swizzle(BROADCAST,32,15)
	s_waitcnt lgkmcnt(0)
	v_cndmask_b32_e64 v36, v36, 0, s7
	v_add_nc_u32_e32 v35, v35, v36
	s_and_saveexec_b32 s8, s6
	s_cbranch_execz .LBB1699_386
; %bb.385:
	v_lshlrev_b32_e32 v36, 2, v58
	ds_store_b32 v36, v35
.LBB1699_386:
	s_or_b32 exec_lo, exec_lo, s8
	s_delay_alu instid0(SALU_CYCLE_1)
	s_mov_b32 s8, exec_lo
	s_waitcnt lgkmcnt(0)
	s_barrier
	buffer_gl0_inv
	v_cmpx_gt_u32_e32 16, v0
	s_cbranch_execz .LBB1699_388
; %bb.387:
	v_lshlrev_b32_e32 v36, 2, v0
	ds_load_b32 v37, v36
	s_waitcnt lgkmcnt(0)
	v_mov_b32_dpp v38, v37 row_shr:1 row_mask:0xf bank_mask:0xf
	s_delay_alu instid0(VALU_DEP_1) | instskip(NEXT) | instid1(VALU_DEP_1)
	v_cndmask_b32_e64 v38, v38, 0, s4
	v_add_nc_u32_e32 v37, v38, v37
	s_delay_alu instid0(VALU_DEP_1) | instskip(NEXT) | instid1(VALU_DEP_1)
	v_mov_b32_dpp v38, v37 row_shr:2 row_mask:0xf bank_mask:0xf
	v_cndmask_b32_e64 v38, 0, v38, s2
	s_delay_alu instid0(VALU_DEP_1) | instskip(NEXT) | instid1(VALU_DEP_1)
	v_add_nc_u32_e32 v37, v37, v38
	v_mov_b32_dpp v38, v37 row_shr:4 row_mask:0xf bank_mask:0xf
	s_delay_alu instid0(VALU_DEP_1) | instskip(NEXT) | instid1(VALU_DEP_1)
	v_cndmask_b32_e64 v38, 0, v38, s5
	v_add_nc_u32_e32 v37, v37, v38
	s_delay_alu instid0(VALU_DEP_1) | instskip(NEXT) | instid1(VALU_DEP_1)
	v_mov_b32_dpp v38, v37 row_shr:8 row_mask:0xf bank_mask:0xf
	v_cndmask_b32_e64 v38, 0, v38, s3
	s_delay_alu instid0(VALU_DEP_1)
	v_add_nc_u32_e32 v37, v37, v38
	ds_store_b32 v36, v37
.LBB1699_388:
	s_or_b32 exec_lo, exec_lo, s8
	v_cmp_gt_u32_e32 vcc_lo, 32, v0
	s_mov_b32 s9, exec_lo
	s_waitcnt lgkmcnt(0)
	s_barrier
	buffer_gl0_inv
                                        ; implicit-def: $vgpr43
	v_cmpx_lt_u32_e32 31, v0
	s_cbranch_execz .LBB1699_390
; %bb.389:
	v_lshl_add_u32 v36, v58, 2, -4
	ds_load_b32 v43, v36
	s_waitcnt lgkmcnt(0)
	v_add_nc_u32_e32 v35, v43, v35
.LBB1699_390:
	s_or_b32 exec_lo, exec_lo, s9
	v_add_nc_u32_e32 v36, -1, v57
	s_delay_alu instid0(VALU_DEP_1) | instskip(NEXT) | instid1(VALU_DEP_1)
	v_cmp_gt_i32_e64 s8, 0, v36
	v_cndmask_b32_e64 v36, v36, v57, s8
	v_cmp_eq_u32_e64 s8, 0, v57
	s_delay_alu instid0(VALU_DEP_2)
	v_lshlrev_b32_e32 v36, 2, v36
	ds_bpermute_b32 v45, v36, v35
	s_and_saveexec_b32 s9, vcc_lo
	s_cbranch_execz .LBB1699_408
; %bb.391:
	v_mov_b32_e32 v38, 0
	ds_load_b32 v35, v38 offset:60
	s_and_saveexec_b32 s18, s8
	s_cbranch_execz .LBB1699_393
; %bb.392:
	s_add_i32 s22, s15, 32
	s_mov_b32 s23, 0
	v_mov_b32_e32 v36, 1
	s_lshl_b64 s[22:23], s[22:23], 3
	s_delay_alu instid0(SALU_CYCLE_1)
	s_add_u32 s22, s10, s22
	s_addc_u32 s23, s11, s23
	s_waitcnt lgkmcnt(0)
	global_store_b64 v38, v[35:36], s[22:23]
.LBB1699_393:
	s_or_b32 exec_lo, exec_lo, s18
	v_xad_u32 v36, v57, -1, s15
	s_mov_b32 s19, 0
	s_mov_b32 s18, exec_lo
	s_delay_alu instid0(VALU_DEP_1) | instskip(NEXT) | instid1(VALU_DEP_1)
	v_add_nc_u32_e32 v37, 32, v36
	v_lshlrev_b64 v[37:38], 3, v[37:38]
	s_delay_alu instid0(VALU_DEP_1) | instskip(NEXT) | instid1(VALU_DEP_2)
	v_add_co_u32 v40, vcc_lo, s10, v37
	v_add_co_ci_u32_e32 v41, vcc_lo, s11, v38, vcc_lo
	global_load_b64 v[38:39], v[40:41], off glc
	s_waitcnt vmcnt(0)
	v_and_b32_e32 v37, 0xff, v39
	s_delay_alu instid0(VALU_DEP_1)
	v_cmpx_eq_u16_e32 0, v37
	s_cbranch_execz .LBB1699_396
.LBB1699_394:                           ; =>This Inner Loop Header: Depth=1
	global_load_b64 v[38:39], v[40:41], off glc
	s_waitcnt vmcnt(0)
	v_and_b32_e32 v37, 0xff, v39
	s_delay_alu instid0(VALU_DEP_1) | instskip(SKIP_1) | instid1(SALU_CYCLE_1)
	v_cmp_ne_u16_e32 vcc_lo, 0, v37
	s_or_b32 s19, vcc_lo, s19
	s_and_not1_b32 exec_lo, exec_lo, s19
	s_cbranch_execnz .LBB1699_394
; %bb.395:
	s_or_b32 exec_lo, exec_lo, s19
.LBB1699_396:
	s_delay_alu instid0(SALU_CYCLE_1)
	s_or_b32 exec_lo, exec_lo, s18
	v_cmp_ne_u32_e32 vcc_lo, 31, v57
	v_lshlrev_b32_e64 v49, v57, -1
	v_add_nc_u32_e32 v53, 2, v57
	v_add_nc_u32_e32 v62, 4, v57
	;; [unrolled: 1-line block ×3, first 2 shown]
	v_add_co_ci_u32_e32 v37, vcc_lo, 0, v57, vcc_lo
	v_add_nc_u32_e32 v66, 16, v57
	s_delay_alu instid0(VALU_DEP_2)
	v_lshlrev_b32_e32 v47, 2, v37
	v_and_b32_e32 v37, 0xff, v39
	ds_bpermute_b32 v40, v47, v38
	v_cmp_eq_u16_e32 vcc_lo, 2, v37
	v_and_or_b32 v37, vcc_lo, v49, 0x80000000
	v_cmp_gt_u32_e32 vcc_lo, 30, v57
	s_delay_alu instid0(VALU_DEP_2) | instskip(SKIP_1) | instid1(VALU_DEP_2)
	v_ctz_i32_b32_e32 v37, v37
	v_cndmask_b32_e64 v41, 0, 1, vcc_lo
	v_cmp_lt_u32_e32 vcc_lo, v57, v37
	s_waitcnt lgkmcnt(0)
	s_delay_alu instid0(VALU_DEP_2) | instskip(NEXT) | instid1(VALU_DEP_1)
	v_dual_cndmask_b32 v40, 0, v40 :: v_dual_lshlrev_b32 v41, 1, v41
	v_add_lshl_u32 v51, v41, v57, 2
	v_cmp_gt_u32_e32 vcc_lo, 28, v57
	s_delay_alu instid0(VALU_DEP_3) | instskip(SKIP_4) | instid1(VALU_DEP_1)
	v_add_nc_u32_e32 v38, v40, v38
	v_cndmask_b32_e64 v41, 0, 1, vcc_lo
	v_cmp_le_u32_e32 vcc_lo, v53, v37
	ds_bpermute_b32 v40, v51, v38
	v_lshlrev_b32_e32 v41, 2, v41
	v_add_lshl_u32 v60, v41, v57, 2
	s_waitcnt lgkmcnt(0)
	v_cndmask_b32_e32 v40, 0, v40, vcc_lo
	v_cmp_gt_u32_e32 vcc_lo, 24, v57
	s_delay_alu instid0(VALU_DEP_2) | instskip(SKIP_4) | instid1(VALU_DEP_1)
	v_add_nc_u32_e32 v38, v38, v40
	v_cndmask_b32_e64 v41, 0, 1, vcc_lo
	v_cmp_le_u32_e32 vcc_lo, v62, v37
	ds_bpermute_b32 v40, v60, v38
	v_lshlrev_b32_e32 v41, 3, v41
	v_add_lshl_u32 v63, v41, v57, 2
	s_waitcnt lgkmcnt(0)
	v_cndmask_b32_e32 v40, 0, v40, vcc_lo
	v_cmp_gt_u32_e32 vcc_lo, 16, v57
	s_delay_alu instid0(VALU_DEP_2) | instskip(SKIP_4) | instid1(VALU_DEP_1)
	v_add_nc_u32_e32 v38, v38, v40
	v_cndmask_b32_e64 v41, 0, 1, vcc_lo
	v_cmp_le_u32_e32 vcc_lo, v64, v37
	ds_bpermute_b32 v40, v63, v38
	v_lshlrev_b32_e32 v41, 4, v41
	v_add_lshl_u32 v65, v41, v57, 2
	s_waitcnt lgkmcnt(0)
	v_cndmask_b32_e32 v40, 0, v40, vcc_lo
	v_cmp_le_u32_e32 vcc_lo, v66, v37
	s_delay_alu instid0(VALU_DEP_2) | instskip(SKIP_3) | instid1(VALU_DEP_1)
	v_add_nc_u32_e32 v38, v38, v40
	ds_bpermute_b32 v40, v65, v38
	s_waitcnt lgkmcnt(0)
	v_cndmask_b32_e32 v37, 0, v40, vcc_lo
	v_dual_mov_b32 v37, 0 :: v_dual_add_nc_u32 v38, v38, v37
	s_branch .LBB1699_398
.LBB1699_397:                           ;   in Loop: Header=BB1699_398 Depth=1
	s_or_b32 exec_lo, exec_lo, s18
	ds_bpermute_b32 v41, v47, v38
	v_and_b32_e32 v40, 0xff, v39
	v_subrev_nc_u32_e32 v36, 32, v36
	s_delay_alu instid0(VALU_DEP_2) | instskip(SKIP_1) | instid1(VALU_DEP_1)
	v_cmp_eq_u16_e32 vcc_lo, 2, v40
	v_and_or_b32 v40, vcc_lo, v49, 0x80000000
	v_ctz_i32_b32_e32 v40, v40
	s_delay_alu instid0(VALU_DEP_1) | instskip(SKIP_3) | instid1(VALU_DEP_2)
	v_cmp_lt_u32_e32 vcc_lo, v57, v40
	s_waitcnt lgkmcnt(0)
	v_cndmask_b32_e32 v41, 0, v41, vcc_lo
	v_cmp_le_u32_e32 vcc_lo, v53, v40
	v_add_nc_u32_e32 v38, v41, v38
	ds_bpermute_b32 v41, v51, v38
	s_waitcnt lgkmcnt(0)
	v_cndmask_b32_e32 v41, 0, v41, vcc_lo
	v_cmp_le_u32_e32 vcc_lo, v62, v40
	s_delay_alu instid0(VALU_DEP_2) | instskip(SKIP_4) | instid1(VALU_DEP_2)
	v_add_nc_u32_e32 v38, v38, v41
	ds_bpermute_b32 v41, v60, v38
	s_waitcnt lgkmcnt(0)
	v_cndmask_b32_e32 v41, 0, v41, vcc_lo
	v_cmp_le_u32_e32 vcc_lo, v64, v40
	v_add_nc_u32_e32 v38, v38, v41
	ds_bpermute_b32 v41, v63, v38
	s_waitcnt lgkmcnt(0)
	v_cndmask_b32_e32 v41, 0, v41, vcc_lo
	v_cmp_le_u32_e32 vcc_lo, v66, v40
	s_delay_alu instid0(VALU_DEP_2) | instskip(SKIP_3) | instid1(VALU_DEP_1)
	v_add_nc_u32_e32 v38, v38, v41
	ds_bpermute_b32 v41, v65, v38
	s_waitcnt lgkmcnt(0)
	v_cndmask_b32_e32 v40, 0, v41, vcc_lo
	v_add3_u32 v38, v40, v61, v38
.LBB1699_398:                           ; =>This Loop Header: Depth=1
                                        ;     Child Loop BB1699_401 Depth 2
	v_and_b32_e32 v39, 0xff, v39
	s_delay_alu instid0(VALU_DEP_2) | instskip(NEXT) | instid1(VALU_DEP_2)
	v_mov_b32_e32 v61, v38
	v_cmp_ne_u16_e32 vcc_lo, 2, v39
	v_cndmask_b32_e64 v39, 0, 1, vcc_lo
	;;#ASMSTART
	;;#ASMEND
	s_delay_alu instid0(VALU_DEP_1)
	v_cmp_ne_u32_e32 vcc_lo, 0, v39
	s_cmp_lg_u32 vcc_lo, exec_lo
	s_cbranch_scc1 .LBB1699_403
; %bb.399:                              ;   in Loop: Header=BB1699_398 Depth=1
	v_lshlrev_b64 v[38:39], 3, v[36:37]
	s_mov_b32 s18, exec_lo
	s_delay_alu instid0(VALU_DEP_1) | instskip(NEXT) | instid1(VALU_DEP_2)
	v_add_co_u32 v40, vcc_lo, s10, v38
	v_add_co_ci_u32_e32 v41, vcc_lo, s11, v39, vcc_lo
	global_load_b64 v[38:39], v[40:41], off glc
	s_waitcnt vmcnt(0)
	v_and_b32_e32 v67, 0xff, v39
	s_delay_alu instid0(VALU_DEP_1)
	v_cmpx_eq_u16_e32 0, v67
	s_cbranch_execz .LBB1699_397
; %bb.400:                              ;   in Loop: Header=BB1699_398 Depth=1
	s_mov_b32 s19, 0
.LBB1699_401:                           ;   Parent Loop BB1699_398 Depth=1
                                        ; =>  This Inner Loop Header: Depth=2
	global_load_b64 v[38:39], v[40:41], off glc
	s_waitcnt vmcnt(0)
	v_and_b32_e32 v67, 0xff, v39
	s_delay_alu instid0(VALU_DEP_1) | instskip(SKIP_1) | instid1(SALU_CYCLE_1)
	v_cmp_ne_u16_e32 vcc_lo, 0, v67
	s_or_b32 s19, vcc_lo, s19
	s_and_not1_b32 exec_lo, exec_lo, s19
	s_cbranch_execnz .LBB1699_401
; %bb.402:                              ;   in Loop: Header=BB1699_398 Depth=1
	s_or_b32 exec_lo, exec_lo, s19
	s_branch .LBB1699_397
.LBB1699_403:                           ;   in Loop: Header=BB1699_398 Depth=1
                                        ; implicit-def: $vgpr38
                                        ; implicit-def: $vgpr39
	s_cbranch_execz .LBB1699_398
; %bb.404:
	s_and_saveexec_b32 s18, s8
	s_cbranch_execz .LBB1699_406
; %bb.405:
	s_add_i32 s22, s15, 32
	s_mov_b32 s23, 0
	v_dual_mov_b32 v37, 2 :: v_dual_add_nc_u32 v36, v61, v35
	s_lshl_b64 s[22:23], s[22:23], 3
	v_mov_b32_e32 v38, 0
	v_add_nc_u32_e64 v39, 0x8400, 0
	s_add_u32 s22, s10, s22
	s_addc_u32 s23, s11, s23
	global_store_b64 v38, v[36:37], s[22:23]
	ds_store_2addr_b32 v39, v35, v61 offset1:2
.LBB1699_406:
	s_or_b32 exec_lo, exec_lo, s18
	v_cmp_eq_u32_e32 vcc_lo, 0, v0
	s_and_b32 exec_lo, exec_lo, vcc_lo
	s_cbranch_execz .LBB1699_408
; %bb.407:
	v_mov_b32_e32 v35, 0
	ds_store_b32 v35, v61 offset:60
.LBB1699_408:
	s_or_b32 exec_lo, exec_lo, s9
	s_waitcnt lgkmcnt(0)
	v_cndmask_b32_e64 v36, v45, v43, s8
	v_cmp_ne_u32_e32 vcc_lo, 0, v0
	v_mov_b32_e32 v35, 0
	s_waitcnt_vscnt null, 0x0
	s_barrier
	buffer_gl0_inv
	v_cndmask_b32_e32 v36, 0, v36, vcc_lo
	ds_load_b32 v35, v35 offset:60
	s_waitcnt lgkmcnt(0)
	s_barrier
	buffer_gl0_inv
	v_add_nc_u32_e32 v53, v35, v36
	v_add_nc_u32_e64 v35, 0x8400, 0
	s_delay_alu instid0(VALU_DEP_2) | instskip(SKIP_2) | instid1(VALU_DEP_1)
	v_add_nc_u32_e32 v51, v53, v42
	ds_load_2addr_b32 v[35:36], v35 offset1:2
	v_add_nc_u32_e32 v49, v51, v44
	v_add_nc_u32_e32 v47, v49, v46
	s_delay_alu instid0(VALU_DEP_1) | instskip(NEXT) | instid1(VALU_DEP_1)
	v_add_nc_u32_e32 v45, v47, v48
	v_add_nc_u32_e32 v43, v45, v50
	s_waitcnt lgkmcnt(0)
	v_readfirstlane_b32 s8, v36
	s_delay_alu instid0(VALU_DEP_2) | instskip(NEXT) | instid1(VALU_DEP_1)
	v_add_nc_u32_e32 v41, v43, v52
	v_add_nc_u32_e32 v39, v41, v54
	v_lshrrev_b64 v[37:38], 24, v[33:34]
	s_branch .LBB1699_419
.LBB1699_409:
                                        ; implicit-def: $vgpr39
                                        ; implicit-def: $vgpr41
                                        ; implicit-def: $vgpr43
                                        ; implicit-def: $vgpr45
                                        ; implicit-def: $vgpr47
                                        ; implicit-def: $vgpr49
                                        ; implicit-def: $vgpr51
                                        ; implicit-def: $vgpr53
                                        ; implicit-def: $sgpr8
                                        ; implicit-def: $vgpr35
	v_lshrrev_b64 v[37:38], 24, v[33:34]
	s_and_b32 vcc_lo, exec_lo, s9
	s_cbranch_vccz .LBB1699_419
; %bb.410:
	v_mov_b32_dpp v35, v59 row_shr:1 row_mask:0xf bank_mask:0xf
	s_delay_alu instid0(VALU_DEP_1) | instskip(NEXT) | instid1(VALU_DEP_1)
	v_cndmask_b32_e64 v35, v35, 0, s4
	v_add_nc_u32_e32 v35, v35, v59
	s_delay_alu instid0(VALU_DEP_1) | instskip(NEXT) | instid1(VALU_DEP_1)
	v_mov_b32_dpp v36, v35 row_shr:2 row_mask:0xf bank_mask:0xf
	v_cndmask_b32_e64 v36, 0, v36, s2
	s_delay_alu instid0(VALU_DEP_1) | instskip(NEXT) | instid1(VALU_DEP_1)
	v_add_nc_u32_e32 v35, v35, v36
	v_mov_b32_dpp v36, v35 row_shr:4 row_mask:0xf bank_mask:0xf
	s_delay_alu instid0(VALU_DEP_1) | instskip(NEXT) | instid1(VALU_DEP_1)
	v_cndmask_b32_e64 v36, 0, v36, s5
	v_add_nc_u32_e32 v35, v35, v36
	s_delay_alu instid0(VALU_DEP_1) | instskip(NEXT) | instid1(VALU_DEP_1)
	v_mov_b32_dpp v36, v35 row_shr:8 row_mask:0xf bank_mask:0xf
	v_cndmask_b32_e64 v36, 0, v36, s3
	s_delay_alu instid0(VALU_DEP_1) | instskip(SKIP_3) | instid1(VALU_DEP_1)
	v_add_nc_u32_e32 v35, v35, v36
	ds_swizzle_b32 v36, v35 offset:swizzle(BROADCAST,32,15)
	s_waitcnt lgkmcnt(0)
	v_cndmask_b32_e64 v36, v36, 0, s7
	v_add_nc_u32_e32 v35, v35, v36
	s_and_saveexec_b32 s7, s6
	s_cbranch_execz .LBB1699_412
; %bb.411:
	v_lshlrev_b32_e32 v36, 2, v58
	ds_store_b32 v36, v35
.LBB1699_412:
	s_or_b32 exec_lo, exec_lo, s7
	s_delay_alu instid0(SALU_CYCLE_1)
	s_mov_b32 s6, exec_lo
	s_waitcnt lgkmcnt(0)
	s_barrier
	buffer_gl0_inv
	v_cmpx_gt_u32_e32 16, v0
	s_cbranch_execz .LBB1699_414
; %bb.413:
	v_lshlrev_b32_e32 v36, 2, v0
	ds_load_b32 v38, v36
	s_waitcnt lgkmcnt(0)
	v_mov_b32_dpp v39, v38 row_shr:1 row_mask:0xf bank_mask:0xf
	s_delay_alu instid0(VALU_DEP_1) | instskip(NEXT) | instid1(VALU_DEP_1)
	v_cndmask_b32_e64 v39, v39, 0, s4
	v_add_nc_u32_e32 v38, v39, v38
	s_delay_alu instid0(VALU_DEP_1) | instskip(NEXT) | instid1(VALU_DEP_1)
	v_mov_b32_dpp v39, v38 row_shr:2 row_mask:0xf bank_mask:0xf
	v_cndmask_b32_e64 v39, 0, v39, s2
	s_delay_alu instid0(VALU_DEP_1) | instskip(NEXT) | instid1(VALU_DEP_1)
	v_add_nc_u32_e32 v38, v38, v39
	v_mov_b32_dpp v39, v38 row_shr:4 row_mask:0xf bank_mask:0xf
	s_delay_alu instid0(VALU_DEP_1) | instskip(NEXT) | instid1(VALU_DEP_1)
	v_cndmask_b32_e64 v39, 0, v39, s5
	v_add_nc_u32_e32 v38, v38, v39
	s_delay_alu instid0(VALU_DEP_1) | instskip(NEXT) | instid1(VALU_DEP_1)
	v_mov_b32_dpp v39, v38 row_shr:8 row_mask:0xf bank_mask:0xf
	v_cndmask_b32_e64 v39, 0, v39, s3
	s_delay_alu instid0(VALU_DEP_1)
	v_add_nc_u32_e32 v38, v38, v39
	ds_store_b32 v36, v38
.LBB1699_414:
	s_or_b32 exec_lo, exec_lo, s6
	v_mov_b32_e32 v36, 0
	v_mov_b32_e32 v38, 0
	s_mov_b32 s2, exec_lo
	s_waitcnt lgkmcnt(0)
	s_barrier
	buffer_gl0_inv
	v_cmpx_lt_u32_e32 31, v0
	s_cbranch_execz .LBB1699_416
; %bb.415:
	v_lshl_add_u32 v38, v58, 2, -4
	ds_load_b32 v38, v38
.LBB1699_416:
	s_or_b32 exec_lo, exec_lo, s2
	v_add_nc_u32_e32 v39, -1, v57
	s_waitcnt lgkmcnt(0)
	v_add_nc_u32_e32 v35, v38, v35
	s_mov_b32 s8, 0
	s_delay_alu instid0(VALU_DEP_2) | instskip(SKIP_2) | instid1(VALU_DEP_2)
	v_cmp_gt_i32_e32 vcc_lo, 0, v39
	v_cndmask_b32_e32 v39, v39, v57, vcc_lo
	v_cmp_eq_u32_e32 vcc_lo, 0, v0
	v_lshlrev_b32_e32 v39, 2, v39
	ds_bpermute_b32 v39, v39, v35
	ds_load_b32 v35, v36 offset:60
	s_and_saveexec_b32 s2, vcc_lo
	s_cbranch_execz .LBB1699_418
; %bb.417:
	v_mov_b32_e32 v40, 0
	v_mov_b32_e32 v36, 2
	s_waitcnt lgkmcnt(0)
	global_store_b64 v40, v[35:36], s[10:11] offset:256
.LBB1699_418:
	s_or_b32 exec_lo, exec_lo, s2
	v_cmp_eq_u32_e64 s2, 0, v57
	s_waitcnt lgkmcnt(0)
	s_waitcnt_vscnt null, 0x0
	s_barrier
	buffer_gl0_inv
	v_cndmask_b32_e64 v36, v39, v38, s2
	s_delay_alu instid0(VALU_DEP_1) | instskip(NEXT) | instid1(VALU_DEP_1)
	v_cndmask_b32_e64 v53, v36, 0, vcc_lo
	v_add_nc_u32_e32 v51, v53, v42
	s_delay_alu instid0(VALU_DEP_1) | instskip(NEXT) | instid1(VALU_DEP_1)
	v_add_nc_u32_e32 v49, v51, v44
	v_add_nc_u32_e32 v47, v49, v46
	s_delay_alu instid0(VALU_DEP_1) | instskip(NEXT) | instid1(VALU_DEP_1)
	v_add_nc_u32_e32 v45, v47, v48
	;; [unrolled: 3-line block ×3, first 2 shown]
	v_add_nc_u32_e32 v39, v41, v54
.LBB1699_419:
	s_load_b128 s[4:7], s[0:1], 0x28
	v_add_nc_u32_e32 v59, s8, v35
	v_cmp_gt_u32_e64 s0, 0x201, v35
	v_lshrrev_b32_e32 v58, 8, v33
	v_lshrrev_b32_e32 v57, 16, v33
	;; [unrolled: 1-line block ×4, first 2 shown]
	v_cmp_lt_u32_e64 s1, v53, v59
	s_and_b32 vcc_lo, exec_lo, s0
	s_mov_b32 s2, -1
	s_cbranch_vccz .LBB1699_445
; %bb.420:
	s_delay_alu instid0(VALU_DEP_1) | instskip(NEXT) | instid1(SALU_CYCLE_1)
	s_or_b32 s2, s20, s1
	s_and_saveexec_b32 s1, s2
	s_cbranch_execz .LBB1699_423
; %bb.421:
	v_and_b32_e32 v40, 1, v33
	s_delay_alu instid0(VALU_DEP_1)
	v_cmp_eq_u32_e32 vcc_lo, 1, v40
	s_and_b32 exec_lo, exec_lo, vcc_lo
	s_cbranch_execz .LBB1699_423
; %bb.422:
	v_mov_b32_e32 v54, 0
	s_lshl_b64 s[2:3], s[12:13], 3
	s_waitcnt lgkmcnt(0)
	s_add_u32 s2, s4, s2
	s_addc_u32 s3, s5, s3
	v_lshlrev_b64 v[60:61], 3, v[53:54]
	s_delay_alu instid0(VALU_DEP_1) | instskip(NEXT) | instid1(VALU_DEP_2)
	v_add_co_u32 v60, vcc_lo, s2, v60
	v_add_co_ci_u32_e32 v61, vcc_lo, s3, v61, vcc_lo
	global_store_b64 v[60:61], v[29:30], off
.LBB1699_423:
	s_or_b32 exec_lo, exec_lo, s1
	v_cmp_lt_u32_e32 vcc_lo, v51, v59
	s_or_b32 s2, s20, vcc_lo
	s_delay_alu instid0(SALU_CYCLE_1)
	s_and_saveexec_b32 s1, s2
	s_cbranch_execz .LBB1699_426
; %bb.424:
	v_and_b32_e32 v40, 1, v58
	s_delay_alu instid0(VALU_DEP_1)
	v_cmp_eq_u32_e32 vcc_lo, 1, v40
	s_and_b32 exec_lo, exec_lo, vcc_lo
	s_cbranch_execz .LBB1699_426
; %bb.425:
	v_mov_b32_e32 v52, 0
	s_lshl_b64 s[2:3], s[12:13], 3
	s_waitcnt lgkmcnt(0)
	s_add_u32 s2, s4, s2
	s_addc_u32 s3, s5, s3
	v_lshlrev_b64 v[60:61], 3, v[51:52]
	s_delay_alu instid0(VALU_DEP_1) | instskip(NEXT) | instid1(VALU_DEP_2)
	v_add_co_u32 v60, vcc_lo, s2, v60
	v_add_co_ci_u32_e32 v61, vcc_lo, s3, v61, vcc_lo
	global_store_b64 v[60:61], v[31:32], off
.LBB1699_426:
	s_or_b32 exec_lo, exec_lo, s1
	v_cmp_lt_u32_e32 vcc_lo, v49, v59
	s_or_b32 s2, s20, vcc_lo
	s_delay_alu instid0(SALU_CYCLE_1)
	;; [unrolled: 24-line block ×7, first 2 shown]
	s_and_saveexec_b32 s1, s2
	s_cbranch_execz .LBB1699_444
; %bb.442:
	v_and_b32_e32 v40, 1, v56
	s_delay_alu instid0(VALU_DEP_1)
	v_cmp_eq_u32_e32 vcc_lo, 1, v40
	s_and_b32 exec_lo, exec_lo, vcc_lo
	s_cbranch_execz .LBB1699_444
; %bb.443:
	v_mov_b32_e32 v40, 0
	s_lshl_b64 s[2:3], s[12:13], 3
	s_waitcnt lgkmcnt(0)
	s_add_u32 s2, s4, s2
	s_addc_u32 s3, s5, s3
	v_lshlrev_b64 v[60:61], 3, v[39:40]
	s_delay_alu instid0(VALU_DEP_1) | instskip(NEXT) | instid1(VALU_DEP_2)
	v_add_co_u32 v60, vcc_lo, s2, v60
	v_add_co_ci_u32_e32 v61, vcc_lo, s3, v61, vcc_lo
	global_store_b64 v[60:61], v[19:20], off
.LBB1699_444:
	s_or_b32 exec_lo, exec_lo, s1
	s_mov_b32 s2, 0
.LBB1699_445:
	v_and_b32_e32 v33, 1, v33
	s_and_b32 vcc_lo, exec_lo, s2
	s_delay_alu instid0(VALU_DEP_1)
	v_cmp_eq_u32_e64 s1, 1, v33
	s_cbranch_vccz .LBB1699_466
; %bb.446:
	s_delay_alu instid0(VALU_DEP_1)
	s_and_saveexec_b32 s2, s1
	s_cbranch_execz .LBB1699_448
; %bb.447:
	v_subrev_nc_u32_e32 v40, s8, v53
	s_delay_alu instid0(VALU_DEP_1)
	v_lshlrev_b32_e32 v40, 3, v40
	ds_store_b64 v40, v[29:30]
.LBB1699_448:
	s_or_b32 exec_lo, exec_lo, s2
	v_and_b32_e32 v29, 1, v58
	s_mov_b32 s1, exec_lo
	s_delay_alu instid0(VALU_DEP_1)
	v_cmpx_eq_u32_e32 1, v29
	s_cbranch_execz .LBB1699_450
; %bb.449:
	v_subrev_nc_u32_e32 v29, s8, v51
	s_delay_alu instid0(VALU_DEP_1)
	v_lshlrev_b32_e32 v29, 3, v29
	ds_store_b64 v29, v[31:32]
.LBB1699_450:
	s_or_b32 exec_lo, exec_lo, s1
	v_and_b32_e32 v29, 1, v57
	s_mov_b32 s1, exec_lo
	s_delay_alu instid0(VALU_DEP_1)
	v_cmpx_eq_u32_e32 1, v29
	;; [unrolled: 12-line block ×7, first 2 shown]
	s_cbranch_execz .LBB1699_462
; %bb.461:
	v_subrev_nc_u32_e32 v17, s8, v39
	s_delay_alu instid0(VALU_DEP_1)
	v_lshlrev_b32_e32 v17, 3, v17
	ds_store_b64 v17, v[19:20]
.LBB1699_462:
	s_or_b32 exec_lo, exec_lo, s1
	s_delay_alu instid0(SALU_CYCLE_1)
	s_mov_b32 s2, exec_lo
	s_waitcnt lgkmcnt(0)
	s_waitcnt_vscnt null, 0x0
	s_barrier
	buffer_gl0_inv
	v_cmpx_lt_u32_e64 v0, v35
	s_cbranch_execz .LBB1699_465
; %bb.463:
	s_mov_b32 s9, 0
	s_lshl_b64 s[10:11], s[12:13], 3
	s_lshl_b64 s[18:19], s[8:9], 3
	v_dual_mov_b32 v19, v55 :: v_dual_mov_b32 v20, v0
	s_add_u32 s1, s10, s18
	s_addc_u32 s3, s11, s19
	s_add_u32 s1, s4, s1
	s_addc_u32 s3, s5, s3
	v_add_co_u32 v17, s1, s1, v55
	s_delay_alu instid0(VALU_DEP_1)
	v_add_co_ci_u32_e64 v18, null, s3, 0, s1
	.p2align	6
.LBB1699_464:                           ; =>This Inner Loop Header: Depth=1
	ds_load_b64 v[21:22], v19
	v_add_nc_u32_e32 v20, 0x200, v20
	v_add_nc_u32_e32 v19, 0x1000, v19
	s_delay_alu instid0(VALU_DEP_2) | instskip(SKIP_4) | instid1(VALU_DEP_1)
	v_cmp_ge_u32_e32 vcc_lo, v20, v35
	s_or_b32 s9, vcc_lo, s9
	s_waitcnt lgkmcnt(0)
	global_store_b64 v[17:18], v[21:22], off
	v_add_co_u32 v17, s1, 0x1000, v17
	v_add_co_ci_u32_e64 v18, s1, 0, v18, s1
	s_and_not1_b32 exec_lo, exec_lo, s9
	s_cbranch_execnz .LBB1699_464
.LBB1699_465:
	s_or_b32 exec_lo, exec_lo, s2
.LBB1699_466:
	s_delay_alu instid0(SALU_CYCLE_1)
	s_and_b32 vcc_lo, exec_lo, s0
	s_mov_b32 s0, -1
	s_waitcnt lgkmcnt(0)
	s_waitcnt_vscnt null, 0x0
	s_barrier
	buffer_gl0_inv
	s_cbranch_vccz .LBB1699_494
; %bb.467:
	v_cmp_lt_u32_e32 vcc_lo, v53, v59
	s_or_b32 s1, s20, vcc_lo
	s_delay_alu instid0(SALU_CYCLE_1)
	s_and_saveexec_b32 s0, s1
	s_cbranch_execz .LBB1699_470
; %bb.468:
	v_cmp_eq_u32_e32 vcc_lo, 1, v33
	s_and_b32 exec_lo, exec_lo, vcc_lo
	s_cbranch_execz .LBB1699_470
; %bb.469:
	v_mov_b32_e32 v54, 0
	s_lshl_b64 s[2:3], s[12:13], 3
	s_delay_alu instid0(SALU_CYCLE_1) | instskip(SKIP_1) | instid1(VALU_DEP_1)
	s_add_u32 s1, s6, s2
	s_addc_u32 s2, s7, s3
	v_lshlrev_b64 v[17:18], 3, v[53:54]
	s_delay_alu instid0(VALU_DEP_1) | instskip(NEXT) | instid1(VALU_DEP_2)
	v_add_co_u32 v17, vcc_lo, s1, v17
	v_add_co_ci_u32_e32 v18, vcc_lo, s2, v18, vcc_lo
	global_store_b64 v[17:18], v[13:14], off
.LBB1699_470:
	s_or_b32 exec_lo, exec_lo, s0
	v_cmp_lt_u32_e32 vcc_lo, v51, v59
	s_or_b32 s1, s20, vcc_lo
	s_delay_alu instid0(SALU_CYCLE_1)
	s_and_saveexec_b32 s0, s1
	s_cbranch_execz .LBB1699_473
; %bb.471:
	v_and_b32_e32 v17, 1, v58
	s_delay_alu instid0(VALU_DEP_1)
	v_cmp_eq_u32_e32 vcc_lo, 1, v17
	s_and_b32 exec_lo, exec_lo, vcc_lo
	s_cbranch_execz .LBB1699_473
; %bb.472:
	v_mov_b32_e32 v52, 0
	s_lshl_b64 s[2:3], s[12:13], 3
	s_delay_alu instid0(SALU_CYCLE_1) | instskip(SKIP_1) | instid1(VALU_DEP_1)
	s_add_u32 s1, s6, s2
	s_addc_u32 s2, s7, s3
	v_lshlrev_b64 v[17:18], 3, v[51:52]
	s_delay_alu instid0(VALU_DEP_1) | instskip(NEXT) | instid1(VALU_DEP_2)
	v_add_co_u32 v17, vcc_lo, s1, v17
	v_add_co_ci_u32_e32 v18, vcc_lo, s2, v18, vcc_lo
	global_store_b64 v[17:18], v[15:16], off
.LBB1699_473:
	s_or_b32 exec_lo, exec_lo, s0
	v_cmp_lt_u32_e32 vcc_lo, v49, v59
	s_or_b32 s1, s20, vcc_lo
	s_delay_alu instid0(SALU_CYCLE_1)
	s_and_saveexec_b32 s0, s1
	s_cbranch_execz .LBB1699_476
; %bb.474:
	v_and_b32_e32 v17, 1, v57
	s_delay_alu instid0(VALU_DEP_1)
	v_cmp_eq_u32_e32 vcc_lo, 1, v17
	s_and_b32 exec_lo, exec_lo, vcc_lo
	s_cbranch_execz .LBB1699_476
; %bb.475:
	v_mov_b32_e32 v50, 0
	s_lshl_b64 s[2:3], s[12:13], 3
	s_delay_alu instid0(SALU_CYCLE_1) | instskip(SKIP_1) | instid1(VALU_DEP_1)
	s_add_u32 s1, s6, s2
	s_addc_u32 s2, s7, s3
	v_lshlrev_b64 v[17:18], 3, v[49:50]
	s_delay_alu instid0(VALU_DEP_1) | instskip(NEXT) | instid1(VALU_DEP_2)
	v_add_co_u32 v17, vcc_lo, s1, v17
	v_add_co_ci_u32_e32 v18, vcc_lo, s2, v18, vcc_lo
	global_store_b64 v[17:18], v[9:10], off
.LBB1699_476:
	;; [unrolled: 24-line block ×7, first 2 shown]
	s_or_b32 exec_lo, exec_lo, s0
.LBB1699_492:
	v_cmp_eq_u32_e32 vcc_lo, 0, v0
	s_and_b32 s0, vcc_lo, s14
	s_delay_alu instid0(SALU_CYCLE_1)
	s_and_saveexec_b32 s1, s0
	s_cbranch_execz .LBB1699_515
.LBB1699_493:
	v_add_co_u32 v0, s0, s12, v35
	s_delay_alu instid0(VALU_DEP_1) | instskip(SKIP_1) | instid1(VALU_DEP_3)
	v_add_co_ci_u32_e64 v1, null, s13, 0, s0
	v_mov_b32_e32 v2, 0
	v_add_co_u32 v0, vcc_lo, v0, s8
	s_delay_alu instid0(VALU_DEP_3)
	v_add_co_ci_u32_e32 v1, vcc_lo, 0, v1, vcc_lo
	global_store_b64 v2, v[0:1], s[16:17]
	s_nop 0
	s_sendmsg sendmsg(MSG_DEALLOC_VGPRS)
	s_endpgm
.LBB1699_494:
	s_and_b32 vcc_lo, exec_lo, s0
	s_cbranch_vccz .LBB1699_492
; %bb.495:
	s_mov_b32 s0, exec_lo
	v_cmpx_eq_u32_e32 1, v33
	s_cbranch_execz .LBB1699_497
; %bb.496:
	v_subrev_nc_u32_e32 v17, s8, v53
	s_delay_alu instid0(VALU_DEP_1)
	v_lshlrev_b32_e32 v17, 3, v17
	ds_store_b64 v17, v[13:14]
.LBB1699_497:
	s_or_b32 exec_lo, exec_lo, s0
	v_and_b32_e32 v13, 1, v58
	s_mov_b32 s0, exec_lo
	s_delay_alu instid0(VALU_DEP_1)
	v_cmpx_eq_u32_e32 1, v13
	s_cbranch_execz .LBB1699_499
; %bb.498:
	v_subrev_nc_u32_e32 v13, s8, v51
	s_delay_alu instid0(VALU_DEP_1)
	v_lshlrev_b32_e32 v13, 3, v13
	ds_store_b64 v13, v[15:16]
.LBB1699_499:
	s_or_b32 exec_lo, exec_lo, s0
	v_and_b32_e32 v13, 1, v57
	s_mov_b32 s0, exec_lo
	s_delay_alu instid0(VALU_DEP_1)
	;; [unrolled: 12-line block ×7, first 2 shown]
	v_cmpx_eq_u32_e32 1, v1
	s_cbranch_execz .LBB1699_511
; %bb.510:
	v_subrev_nc_u32_e32 v1, s8, v39
	s_delay_alu instid0(VALU_DEP_1)
	v_lshlrev_b32_e32 v1, 3, v1
	ds_store_b64 v1, v[3:4]
.LBB1699_511:
	s_or_b32 exec_lo, exec_lo, s0
	s_delay_alu instid0(SALU_CYCLE_1)
	s_mov_b32 s1, exec_lo
	s_waitcnt lgkmcnt(0)
	s_waitcnt_vscnt null, 0x0
	s_barrier
	buffer_gl0_inv
	v_cmpx_lt_u32_e64 v0, v35
	s_cbranch_execz .LBB1699_514
; %bb.512:
	s_mov_b32 s9, 0
	s_lshl_b64 s[2:3], s[12:13], 3
	s_lshl_b64 s[4:5], s[8:9], 3
	v_mov_b32_e32 v3, v0
	s_add_u32 s0, s2, s4
	s_addc_u32 s2, s3, s5
	s_add_u32 s0, s6, s0
	s_addc_u32 s2, s7, s2
	v_add_co_u32 v1, s0, s0, v55
	s_delay_alu instid0(VALU_DEP_1)
	v_add_co_ci_u32_e64 v2, null, s2, 0, s0
	.p2align	6
.LBB1699_513:                           ; =>This Inner Loop Header: Depth=1
	ds_load_b64 v[4:5], v55
	v_add_nc_u32_e32 v3, 0x200, v3
	v_add_nc_u32_e32 v55, 0x1000, v55
	s_delay_alu instid0(VALU_DEP_2) | instskip(SKIP_4) | instid1(VALU_DEP_1)
	v_cmp_ge_u32_e32 vcc_lo, v3, v35
	s_or_b32 s9, vcc_lo, s9
	s_waitcnt lgkmcnt(0)
	global_store_b64 v[1:2], v[4:5], off
	v_add_co_u32 v1, s0, 0x1000, v1
	v_add_co_ci_u32_e64 v2, s0, 0, v2, s0
	s_and_not1_b32 exec_lo, exec_lo, s9
	s_cbranch_execnz .LBB1699_513
.LBB1699_514:
	s_or_b32 exec_lo, exec_lo, s1
	v_cmp_eq_u32_e32 vcc_lo, 0, v0
	s_and_b32 s0, vcc_lo, s14
	s_delay_alu instid0(SALU_CYCLE_1)
	s_and_saveexec_b32 s1, s0
	s_cbranch_execnz .LBB1699_493
.LBB1699_515:
	s_nop 0
	s_sendmsg sendmsg(MSG_DEALLOC_VGPRS)
	s_endpgm
	.section	.rodata,"a",@progbits
	.p2align	6, 0x0
	.amdhsa_kernel _ZN7rocprim17ROCPRIM_400000_NS6detail17trampoline_kernelINS0_14default_configENS1_25partition_config_selectorILNS1_17partition_subalgoE9EllbEEZZNS1_14partition_implILS5_9ELb0ES3_jPlS8_PNS0_10empty_typeENS0_5tupleIJS8_S9_EEENSB_IJS8_SA_EEENS0_18inequality_wrapperIZN2at6native12_GLOBAL__N_124unique_dim_cuda_templateImEESt5tupleIJNSF_6TensorESK_SK_EERKSK_lbbbEUlllE0_EEPmJS9_EEE10hipError_tPvRmT3_T4_T5_T6_T7_T9_mT8_P12ihipStream_tbDpT10_ENKUlT_T0_E_clISt17integral_constantIbLb0EES1A_EEDaS15_S16_EUlS15_E_NS1_11comp_targetILNS1_3genE9ELNS1_11target_archE1100ELNS1_3gpuE3ELNS1_3repE0EEENS1_30default_config_static_selectorELNS0_4arch9wavefront6targetE0EEEvT1_
		.amdhsa_group_segment_fixed_size 33804
		.amdhsa_private_segment_fixed_size 0
		.amdhsa_kernarg_size 120
		.amdhsa_user_sgpr_count 15
		.amdhsa_user_sgpr_dispatch_ptr 0
		.amdhsa_user_sgpr_queue_ptr 0
		.amdhsa_user_sgpr_kernarg_segment_ptr 1
		.amdhsa_user_sgpr_dispatch_id 0
		.amdhsa_user_sgpr_private_segment_size 0
		.amdhsa_wavefront_size32 1
		.amdhsa_uses_dynamic_stack 0
		.amdhsa_enable_private_segment 0
		.amdhsa_system_sgpr_workgroup_id_x 1
		.amdhsa_system_sgpr_workgroup_id_y 0
		.amdhsa_system_sgpr_workgroup_id_z 0
		.amdhsa_system_sgpr_workgroup_info 0
		.amdhsa_system_vgpr_workitem_id 0
		.amdhsa_next_free_vgpr 68
		.amdhsa_next_free_sgpr 36
		.amdhsa_reserve_vcc 1
		.amdhsa_float_round_mode_32 0
		.amdhsa_float_round_mode_16_64 0
		.amdhsa_float_denorm_mode_32 3
		.amdhsa_float_denorm_mode_16_64 3
		.amdhsa_dx10_clamp 1
		.amdhsa_ieee_mode 1
		.amdhsa_fp16_overflow 0
		.amdhsa_workgroup_processor_mode 1
		.amdhsa_memory_ordered 1
		.amdhsa_forward_progress 0
		.amdhsa_shared_vgpr_count 0
		.amdhsa_exception_fp_ieee_invalid_op 0
		.amdhsa_exception_fp_denorm_src 0
		.amdhsa_exception_fp_ieee_div_zero 0
		.amdhsa_exception_fp_ieee_overflow 0
		.amdhsa_exception_fp_ieee_underflow 0
		.amdhsa_exception_fp_ieee_inexact 0
		.amdhsa_exception_int_div_zero 0
	.end_amdhsa_kernel
	.section	.text._ZN7rocprim17ROCPRIM_400000_NS6detail17trampoline_kernelINS0_14default_configENS1_25partition_config_selectorILNS1_17partition_subalgoE9EllbEEZZNS1_14partition_implILS5_9ELb0ES3_jPlS8_PNS0_10empty_typeENS0_5tupleIJS8_S9_EEENSB_IJS8_SA_EEENS0_18inequality_wrapperIZN2at6native12_GLOBAL__N_124unique_dim_cuda_templateImEESt5tupleIJNSF_6TensorESK_SK_EERKSK_lbbbEUlllE0_EEPmJS9_EEE10hipError_tPvRmT3_T4_T5_T6_T7_T9_mT8_P12ihipStream_tbDpT10_ENKUlT_T0_E_clISt17integral_constantIbLb0EES1A_EEDaS15_S16_EUlS15_E_NS1_11comp_targetILNS1_3genE9ELNS1_11target_archE1100ELNS1_3gpuE3ELNS1_3repE0EEENS1_30default_config_static_selectorELNS0_4arch9wavefront6targetE0EEEvT1_,"axG",@progbits,_ZN7rocprim17ROCPRIM_400000_NS6detail17trampoline_kernelINS0_14default_configENS1_25partition_config_selectorILNS1_17partition_subalgoE9EllbEEZZNS1_14partition_implILS5_9ELb0ES3_jPlS8_PNS0_10empty_typeENS0_5tupleIJS8_S9_EEENSB_IJS8_SA_EEENS0_18inequality_wrapperIZN2at6native12_GLOBAL__N_124unique_dim_cuda_templateImEESt5tupleIJNSF_6TensorESK_SK_EERKSK_lbbbEUlllE0_EEPmJS9_EEE10hipError_tPvRmT3_T4_T5_T6_T7_T9_mT8_P12ihipStream_tbDpT10_ENKUlT_T0_E_clISt17integral_constantIbLb0EES1A_EEDaS15_S16_EUlS15_E_NS1_11comp_targetILNS1_3genE9ELNS1_11target_archE1100ELNS1_3gpuE3ELNS1_3repE0EEENS1_30default_config_static_selectorELNS0_4arch9wavefront6targetE0EEEvT1_,comdat
.Lfunc_end1699:
	.size	_ZN7rocprim17ROCPRIM_400000_NS6detail17trampoline_kernelINS0_14default_configENS1_25partition_config_selectorILNS1_17partition_subalgoE9EllbEEZZNS1_14partition_implILS5_9ELb0ES3_jPlS8_PNS0_10empty_typeENS0_5tupleIJS8_S9_EEENSB_IJS8_SA_EEENS0_18inequality_wrapperIZN2at6native12_GLOBAL__N_124unique_dim_cuda_templateImEESt5tupleIJNSF_6TensorESK_SK_EERKSK_lbbbEUlllE0_EEPmJS9_EEE10hipError_tPvRmT3_T4_T5_T6_T7_T9_mT8_P12ihipStream_tbDpT10_ENKUlT_T0_E_clISt17integral_constantIbLb0EES1A_EEDaS15_S16_EUlS15_E_NS1_11comp_targetILNS1_3genE9ELNS1_11target_archE1100ELNS1_3gpuE3ELNS1_3repE0EEENS1_30default_config_static_selectorELNS0_4arch9wavefront6targetE0EEEvT1_, .Lfunc_end1699-_ZN7rocprim17ROCPRIM_400000_NS6detail17trampoline_kernelINS0_14default_configENS1_25partition_config_selectorILNS1_17partition_subalgoE9EllbEEZZNS1_14partition_implILS5_9ELb0ES3_jPlS8_PNS0_10empty_typeENS0_5tupleIJS8_S9_EEENSB_IJS8_SA_EEENS0_18inequality_wrapperIZN2at6native12_GLOBAL__N_124unique_dim_cuda_templateImEESt5tupleIJNSF_6TensorESK_SK_EERKSK_lbbbEUlllE0_EEPmJS9_EEE10hipError_tPvRmT3_T4_T5_T6_T7_T9_mT8_P12ihipStream_tbDpT10_ENKUlT_T0_E_clISt17integral_constantIbLb0EES1A_EEDaS15_S16_EUlS15_E_NS1_11comp_targetILNS1_3genE9ELNS1_11target_archE1100ELNS1_3gpuE3ELNS1_3repE0EEENS1_30default_config_static_selectorELNS0_4arch9wavefront6targetE0EEEvT1_
                                        ; -- End function
	.section	.AMDGPU.csdata,"",@progbits
; Kernel info:
; codeLenInByte = 20488
; NumSgprs: 38
; NumVgprs: 68
; ScratchSize: 0
; MemoryBound: 1
; FloatMode: 240
; IeeeMode: 1
; LDSByteSize: 33804 bytes/workgroup (compile time only)
; SGPRBlocks: 4
; VGPRBlocks: 8
; NumSGPRsForWavesPerEU: 38
; NumVGPRsForWavesPerEU: 68
; Occupancy: 12
; WaveLimiterHint : 1
; COMPUTE_PGM_RSRC2:SCRATCH_EN: 0
; COMPUTE_PGM_RSRC2:USER_SGPR: 15
; COMPUTE_PGM_RSRC2:TRAP_HANDLER: 0
; COMPUTE_PGM_RSRC2:TGID_X_EN: 1
; COMPUTE_PGM_RSRC2:TGID_Y_EN: 0
; COMPUTE_PGM_RSRC2:TGID_Z_EN: 0
; COMPUTE_PGM_RSRC2:TIDIG_COMP_CNT: 0
	.section	.text._ZN7rocprim17ROCPRIM_400000_NS6detail17trampoline_kernelINS0_14default_configENS1_25partition_config_selectorILNS1_17partition_subalgoE9EllbEEZZNS1_14partition_implILS5_9ELb0ES3_jPlS8_PNS0_10empty_typeENS0_5tupleIJS8_S9_EEENSB_IJS8_SA_EEENS0_18inequality_wrapperIZN2at6native12_GLOBAL__N_124unique_dim_cuda_templateImEESt5tupleIJNSF_6TensorESK_SK_EERKSK_lbbbEUlllE0_EEPmJS9_EEE10hipError_tPvRmT3_T4_T5_T6_T7_T9_mT8_P12ihipStream_tbDpT10_ENKUlT_T0_E_clISt17integral_constantIbLb0EES1A_EEDaS15_S16_EUlS15_E_NS1_11comp_targetILNS1_3genE8ELNS1_11target_archE1030ELNS1_3gpuE2ELNS1_3repE0EEENS1_30default_config_static_selectorELNS0_4arch9wavefront6targetE0EEEvT1_,"axG",@progbits,_ZN7rocprim17ROCPRIM_400000_NS6detail17trampoline_kernelINS0_14default_configENS1_25partition_config_selectorILNS1_17partition_subalgoE9EllbEEZZNS1_14partition_implILS5_9ELb0ES3_jPlS8_PNS0_10empty_typeENS0_5tupleIJS8_S9_EEENSB_IJS8_SA_EEENS0_18inequality_wrapperIZN2at6native12_GLOBAL__N_124unique_dim_cuda_templateImEESt5tupleIJNSF_6TensorESK_SK_EERKSK_lbbbEUlllE0_EEPmJS9_EEE10hipError_tPvRmT3_T4_T5_T6_T7_T9_mT8_P12ihipStream_tbDpT10_ENKUlT_T0_E_clISt17integral_constantIbLb0EES1A_EEDaS15_S16_EUlS15_E_NS1_11comp_targetILNS1_3genE8ELNS1_11target_archE1030ELNS1_3gpuE2ELNS1_3repE0EEENS1_30default_config_static_selectorELNS0_4arch9wavefront6targetE0EEEvT1_,comdat
	.globl	_ZN7rocprim17ROCPRIM_400000_NS6detail17trampoline_kernelINS0_14default_configENS1_25partition_config_selectorILNS1_17partition_subalgoE9EllbEEZZNS1_14partition_implILS5_9ELb0ES3_jPlS8_PNS0_10empty_typeENS0_5tupleIJS8_S9_EEENSB_IJS8_SA_EEENS0_18inequality_wrapperIZN2at6native12_GLOBAL__N_124unique_dim_cuda_templateImEESt5tupleIJNSF_6TensorESK_SK_EERKSK_lbbbEUlllE0_EEPmJS9_EEE10hipError_tPvRmT3_T4_T5_T6_T7_T9_mT8_P12ihipStream_tbDpT10_ENKUlT_T0_E_clISt17integral_constantIbLb0EES1A_EEDaS15_S16_EUlS15_E_NS1_11comp_targetILNS1_3genE8ELNS1_11target_archE1030ELNS1_3gpuE2ELNS1_3repE0EEENS1_30default_config_static_selectorELNS0_4arch9wavefront6targetE0EEEvT1_ ; -- Begin function _ZN7rocprim17ROCPRIM_400000_NS6detail17trampoline_kernelINS0_14default_configENS1_25partition_config_selectorILNS1_17partition_subalgoE9EllbEEZZNS1_14partition_implILS5_9ELb0ES3_jPlS8_PNS0_10empty_typeENS0_5tupleIJS8_S9_EEENSB_IJS8_SA_EEENS0_18inequality_wrapperIZN2at6native12_GLOBAL__N_124unique_dim_cuda_templateImEESt5tupleIJNSF_6TensorESK_SK_EERKSK_lbbbEUlllE0_EEPmJS9_EEE10hipError_tPvRmT3_T4_T5_T6_T7_T9_mT8_P12ihipStream_tbDpT10_ENKUlT_T0_E_clISt17integral_constantIbLb0EES1A_EEDaS15_S16_EUlS15_E_NS1_11comp_targetILNS1_3genE8ELNS1_11target_archE1030ELNS1_3gpuE2ELNS1_3repE0EEENS1_30default_config_static_selectorELNS0_4arch9wavefront6targetE0EEEvT1_
	.p2align	8
	.type	_ZN7rocprim17ROCPRIM_400000_NS6detail17trampoline_kernelINS0_14default_configENS1_25partition_config_selectorILNS1_17partition_subalgoE9EllbEEZZNS1_14partition_implILS5_9ELb0ES3_jPlS8_PNS0_10empty_typeENS0_5tupleIJS8_S9_EEENSB_IJS8_SA_EEENS0_18inequality_wrapperIZN2at6native12_GLOBAL__N_124unique_dim_cuda_templateImEESt5tupleIJNSF_6TensorESK_SK_EERKSK_lbbbEUlllE0_EEPmJS9_EEE10hipError_tPvRmT3_T4_T5_T6_T7_T9_mT8_P12ihipStream_tbDpT10_ENKUlT_T0_E_clISt17integral_constantIbLb0EES1A_EEDaS15_S16_EUlS15_E_NS1_11comp_targetILNS1_3genE8ELNS1_11target_archE1030ELNS1_3gpuE2ELNS1_3repE0EEENS1_30default_config_static_selectorELNS0_4arch9wavefront6targetE0EEEvT1_,@function
_ZN7rocprim17ROCPRIM_400000_NS6detail17trampoline_kernelINS0_14default_configENS1_25partition_config_selectorILNS1_17partition_subalgoE9EllbEEZZNS1_14partition_implILS5_9ELb0ES3_jPlS8_PNS0_10empty_typeENS0_5tupleIJS8_S9_EEENSB_IJS8_SA_EEENS0_18inequality_wrapperIZN2at6native12_GLOBAL__N_124unique_dim_cuda_templateImEESt5tupleIJNSF_6TensorESK_SK_EERKSK_lbbbEUlllE0_EEPmJS9_EEE10hipError_tPvRmT3_T4_T5_T6_T7_T9_mT8_P12ihipStream_tbDpT10_ENKUlT_T0_E_clISt17integral_constantIbLb0EES1A_EEDaS15_S16_EUlS15_E_NS1_11comp_targetILNS1_3genE8ELNS1_11target_archE1030ELNS1_3gpuE2ELNS1_3repE0EEENS1_30default_config_static_selectorELNS0_4arch9wavefront6targetE0EEEvT1_: ; @_ZN7rocprim17ROCPRIM_400000_NS6detail17trampoline_kernelINS0_14default_configENS1_25partition_config_selectorILNS1_17partition_subalgoE9EllbEEZZNS1_14partition_implILS5_9ELb0ES3_jPlS8_PNS0_10empty_typeENS0_5tupleIJS8_S9_EEENSB_IJS8_SA_EEENS0_18inequality_wrapperIZN2at6native12_GLOBAL__N_124unique_dim_cuda_templateImEESt5tupleIJNSF_6TensorESK_SK_EERKSK_lbbbEUlllE0_EEPmJS9_EEE10hipError_tPvRmT3_T4_T5_T6_T7_T9_mT8_P12ihipStream_tbDpT10_ENKUlT_T0_E_clISt17integral_constantIbLb0EES1A_EEDaS15_S16_EUlS15_E_NS1_11comp_targetILNS1_3genE8ELNS1_11target_archE1030ELNS1_3gpuE2ELNS1_3repE0EEENS1_30default_config_static_selectorELNS0_4arch9wavefront6targetE0EEEvT1_
; %bb.0:
	.section	.rodata,"a",@progbits
	.p2align	6, 0x0
	.amdhsa_kernel _ZN7rocprim17ROCPRIM_400000_NS6detail17trampoline_kernelINS0_14default_configENS1_25partition_config_selectorILNS1_17partition_subalgoE9EllbEEZZNS1_14partition_implILS5_9ELb0ES3_jPlS8_PNS0_10empty_typeENS0_5tupleIJS8_S9_EEENSB_IJS8_SA_EEENS0_18inequality_wrapperIZN2at6native12_GLOBAL__N_124unique_dim_cuda_templateImEESt5tupleIJNSF_6TensorESK_SK_EERKSK_lbbbEUlllE0_EEPmJS9_EEE10hipError_tPvRmT3_T4_T5_T6_T7_T9_mT8_P12ihipStream_tbDpT10_ENKUlT_T0_E_clISt17integral_constantIbLb0EES1A_EEDaS15_S16_EUlS15_E_NS1_11comp_targetILNS1_3genE8ELNS1_11target_archE1030ELNS1_3gpuE2ELNS1_3repE0EEENS1_30default_config_static_selectorELNS0_4arch9wavefront6targetE0EEEvT1_
		.amdhsa_group_segment_fixed_size 0
		.amdhsa_private_segment_fixed_size 0
		.amdhsa_kernarg_size 120
		.amdhsa_user_sgpr_count 15
		.amdhsa_user_sgpr_dispatch_ptr 0
		.amdhsa_user_sgpr_queue_ptr 0
		.amdhsa_user_sgpr_kernarg_segment_ptr 1
		.amdhsa_user_sgpr_dispatch_id 0
		.amdhsa_user_sgpr_private_segment_size 0
		.amdhsa_wavefront_size32 1
		.amdhsa_uses_dynamic_stack 0
		.amdhsa_enable_private_segment 0
		.amdhsa_system_sgpr_workgroup_id_x 1
		.amdhsa_system_sgpr_workgroup_id_y 0
		.amdhsa_system_sgpr_workgroup_id_z 0
		.amdhsa_system_sgpr_workgroup_info 0
		.amdhsa_system_vgpr_workitem_id 0
		.amdhsa_next_free_vgpr 1
		.amdhsa_next_free_sgpr 1
		.amdhsa_reserve_vcc 0
		.amdhsa_float_round_mode_32 0
		.amdhsa_float_round_mode_16_64 0
		.amdhsa_float_denorm_mode_32 3
		.amdhsa_float_denorm_mode_16_64 3
		.amdhsa_dx10_clamp 1
		.amdhsa_ieee_mode 1
		.amdhsa_fp16_overflow 0
		.amdhsa_workgroup_processor_mode 1
		.amdhsa_memory_ordered 1
		.amdhsa_forward_progress 0
		.amdhsa_shared_vgpr_count 0
		.amdhsa_exception_fp_ieee_invalid_op 0
		.amdhsa_exception_fp_denorm_src 0
		.amdhsa_exception_fp_ieee_div_zero 0
		.amdhsa_exception_fp_ieee_overflow 0
		.amdhsa_exception_fp_ieee_underflow 0
		.amdhsa_exception_fp_ieee_inexact 0
		.amdhsa_exception_int_div_zero 0
	.end_amdhsa_kernel
	.section	.text._ZN7rocprim17ROCPRIM_400000_NS6detail17trampoline_kernelINS0_14default_configENS1_25partition_config_selectorILNS1_17partition_subalgoE9EllbEEZZNS1_14partition_implILS5_9ELb0ES3_jPlS8_PNS0_10empty_typeENS0_5tupleIJS8_S9_EEENSB_IJS8_SA_EEENS0_18inequality_wrapperIZN2at6native12_GLOBAL__N_124unique_dim_cuda_templateImEESt5tupleIJNSF_6TensorESK_SK_EERKSK_lbbbEUlllE0_EEPmJS9_EEE10hipError_tPvRmT3_T4_T5_T6_T7_T9_mT8_P12ihipStream_tbDpT10_ENKUlT_T0_E_clISt17integral_constantIbLb0EES1A_EEDaS15_S16_EUlS15_E_NS1_11comp_targetILNS1_3genE8ELNS1_11target_archE1030ELNS1_3gpuE2ELNS1_3repE0EEENS1_30default_config_static_selectorELNS0_4arch9wavefront6targetE0EEEvT1_,"axG",@progbits,_ZN7rocprim17ROCPRIM_400000_NS6detail17trampoline_kernelINS0_14default_configENS1_25partition_config_selectorILNS1_17partition_subalgoE9EllbEEZZNS1_14partition_implILS5_9ELb0ES3_jPlS8_PNS0_10empty_typeENS0_5tupleIJS8_S9_EEENSB_IJS8_SA_EEENS0_18inequality_wrapperIZN2at6native12_GLOBAL__N_124unique_dim_cuda_templateImEESt5tupleIJNSF_6TensorESK_SK_EERKSK_lbbbEUlllE0_EEPmJS9_EEE10hipError_tPvRmT3_T4_T5_T6_T7_T9_mT8_P12ihipStream_tbDpT10_ENKUlT_T0_E_clISt17integral_constantIbLb0EES1A_EEDaS15_S16_EUlS15_E_NS1_11comp_targetILNS1_3genE8ELNS1_11target_archE1030ELNS1_3gpuE2ELNS1_3repE0EEENS1_30default_config_static_selectorELNS0_4arch9wavefront6targetE0EEEvT1_,comdat
.Lfunc_end1700:
	.size	_ZN7rocprim17ROCPRIM_400000_NS6detail17trampoline_kernelINS0_14default_configENS1_25partition_config_selectorILNS1_17partition_subalgoE9EllbEEZZNS1_14partition_implILS5_9ELb0ES3_jPlS8_PNS0_10empty_typeENS0_5tupleIJS8_S9_EEENSB_IJS8_SA_EEENS0_18inequality_wrapperIZN2at6native12_GLOBAL__N_124unique_dim_cuda_templateImEESt5tupleIJNSF_6TensorESK_SK_EERKSK_lbbbEUlllE0_EEPmJS9_EEE10hipError_tPvRmT3_T4_T5_T6_T7_T9_mT8_P12ihipStream_tbDpT10_ENKUlT_T0_E_clISt17integral_constantIbLb0EES1A_EEDaS15_S16_EUlS15_E_NS1_11comp_targetILNS1_3genE8ELNS1_11target_archE1030ELNS1_3gpuE2ELNS1_3repE0EEENS1_30default_config_static_selectorELNS0_4arch9wavefront6targetE0EEEvT1_, .Lfunc_end1700-_ZN7rocprim17ROCPRIM_400000_NS6detail17trampoline_kernelINS0_14default_configENS1_25partition_config_selectorILNS1_17partition_subalgoE9EllbEEZZNS1_14partition_implILS5_9ELb0ES3_jPlS8_PNS0_10empty_typeENS0_5tupleIJS8_S9_EEENSB_IJS8_SA_EEENS0_18inequality_wrapperIZN2at6native12_GLOBAL__N_124unique_dim_cuda_templateImEESt5tupleIJNSF_6TensorESK_SK_EERKSK_lbbbEUlllE0_EEPmJS9_EEE10hipError_tPvRmT3_T4_T5_T6_T7_T9_mT8_P12ihipStream_tbDpT10_ENKUlT_T0_E_clISt17integral_constantIbLb0EES1A_EEDaS15_S16_EUlS15_E_NS1_11comp_targetILNS1_3genE8ELNS1_11target_archE1030ELNS1_3gpuE2ELNS1_3repE0EEENS1_30default_config_static_selectorELNS0_4arch9wavefront6targetE0EEEvT1_
                                        ; -- End function
	.section	.AMDGPU.csdata,"",@progbits
; Kernel info:
; codeLenInByte = 0
; NumSgprs: 0
; NumVgprs: 0
; ScratchSize: 0
; MemoryBound: 0
; FloatMode: 240
; IeeeMode: 1
; LDSByteSize: 0 bytes/workgroup (compile time only)
; SGPRBlocks: 0
; VGPRBlocks: 0
; NumSGPRsForWavesPerEU: 1
; NumVGPRsForWavesPerEU: 1
; Occupancy: 16
; WaveLimiterHint : 0
; COMPUTE_PGM_RSRC2:SCRATCH_EN: 0
; COMPUTE_PGM_RSRC2:USER_SGPR: 15
; COMPUTE_PGM_RSRC2:TRAP_HANDLER: 0
; COMPUTE_PGM_RSRC2:TGID_X_EN: 1
; COMPUTE_PGM_RSRC2:TGID_Y_EN: 0
; COMPUTE_PGM_RSRC2:TGID_Z_EN: 0
; COMPUTE_PGM_RSRC2:TIDIG_COMP_CNT: 0
	.section	.text._ZN7rocprim17ROCPRIM_400000_NS6detail17trampoline_kernelINS0_14default_configENS1_25partition_config_selectorILNS1_17partition_subalgoE9EllbEEZZNS1_14partition_implILS5_9ELb0ES3_jPlS8_PNS0_10empty_typeENS0_5tupleIJS8_S9_EEENSB_IJS8_SA_EEENS0_18inequality_wrapperIZN2at6native12_GLOBAL__N_124unique_dim_cuda_templateImEESt5tupleIJNSF_6TensorESK_SK_EERKSK_lbbbEUlllE0_EEPmJS9_EEE10hipError_tPvRmT3_T4_T5_T6_T7_T9_mT8_P12ihipStream_tbDpT10_ENKUlT_T0_E_clISt17integral_constantIbLb1EES1A_EEDaS15_S16_EUlS15_E_NS1_11comp_targetILNS1_3genE0ELNS1_11target_archE4294967295ELNS1_3gpuE0ELNS1_3repE0EEENS1_30default_config_static_selectorELNS0_4arch9wavefront6targetE0EEEvT1_,"axG",@progbits,_ZN7rocprim17ROCPRIM_400000_NS6detail17trampoline_kernelINS0_14default_configENS1_25partition_config_selectorILNS1_17partition_subalgoE9EllbEEZZNS1_14partition_implILS5_9ELb0ES3_jPlS8_PNS0_10empty_typeENS0_5tupleIJS8_S9_EEENSB_IJS8_SA_EEENS0_18inequality_wrapperIZN2at6native12_GLOBAL__N_124unique_dim_cuda_templateImEESt5tupleIJNSF_6TensorESK_SK_EERKSK_lbbbEUlllE0_EEPmJS9_EEE10hipError_tPvRmT3_T4_T5_T6_T7_T9_mT8_P12ihipStream_tbDpT10_ENKUlT_T0_E_clISt17integral_constantIbLb1EES1A_EEDaS15_S16_EUlS15_E_NS1_11comp_targetILNS1_3genE0ELNS1_11target_archE4294967295ELNS1_3gpuE0ELNS1_3repE0EEENS1_30default_config_static_selectorELNS0_4arch9wavefront6targetE0EEEvT1_,comdat
	.globl	_ZN7rocprim17ROCPRIM_400000_NS6detail17trampoline_kernelINS0_14default_configENS1_25partition_config_selectorILNS1_17partition_subalgoE9EllbEEZZNS1_14partition_implILS5_9ELb0ES3_jPlS8_PNS0_10empty_typeENS0_5tupleIJS8_S9_EEENSB_IJS8_SA_EEENS0_18inequality_wrapperIZN2at6native12_GLOBAL__N_124unique_dim_cuda_templateImEESt5tupleIJNSF_6TensorESK_SK_EERKSK_lbbbEUlllE0_EEPmJS9_EEE10hipError_tPvRmT3_T4_T5_T6_T7_T9_mT8_P12ihipStream_tbDpT10_ENKUlT_T0_E_clISt17integral_constantIbLb1EES1A_EEDaS15_S16_EUlS15_E_NS1_11comp_targetILNS1_3genE0ELNS1_11target_archE4294967295ELNS1_3gpuE0ELNS1_3repE0EEENS1_30default_config_static_selectorELNS0_4arch9wavefront6targetE0EEEvT1_ ; -- Begin function _ZN7rocprim17ROCPRIM_400000_NS6detail17trampoline_kernelINS0_14default_configENS1_25partition_config_selectorILNS1_17partition_subalgoE9EllbEEZZNS1_14partition_implILS5_9ELb0ES3_jPlS8_PNS0_10empty_typeENS0_5tupleIJS8_S9_EEENSB_IJS8_SA_EEENS0_18inequality_wrapperIZN2at6native12_GLOBAL__N_124unique_dim_cuda_templateImEESt5tupleIJNSF_6TensorESK_SK_EERKSK_lbbbEUlllE0_EEPmJS9_EEE10hipError_tPvRmT3_T4_T5_T6_T7_T9_mT8_P12ihipStream_tbDpT10_ENKUlT_T0_E_clISt17integral_constantIbLb1EES1A_EEDaS15_S16_EUlS15_E_NS1_11comp_targetILNS1_3genE0ELNS1_11target_archE4294967295ELNS1_3gpuE0ELNS1_3repE0EEENS1_30default_config_static_selectorELNS0_4arch9wavefront6targetE0EEEvT1_
	.p2align	8
	.type	_ZN7rocprim17ROCPRIM_400000_NS6detail17trampoline_kernelINS0_14default_configENS1_25partition_config_selectorILNS1_17partition_subalgoE9EllbEEZZNS1_14partition_implILS5_9ELb0ES3_jPlS8_PNS0_10empty_typeENS0_5tupleIJS8_S9_EEENSB_IJS8_SA_EEENS0_18inequality_wrapperIZN2at6native12_GLOBAL__N_124unique_dim_cuda_templateImEESt5tupleIJNSF_6TensorESK_SK_EERKSK_lbbbEUlllE0_EEPmJS9_EEE10hipError_tPvRmT3_T4_T5_T6_T7_T9_mT8_P12ihipStream_tbDpT10_ENKUlT_T0_E_clISt17integral_constantIbLb1EES1A_EEDaS15_S16_EUlS15_E_NS1_11comp_targetILNS1_3genE0ELNS1_11target_archE4294967295ELNS1_3gpuE0ELNS1_3repE0EEENS1_30default_config_static_selectorELNS0_4arch9wavefront6targetE0EEEvT1_,@function
_ZN7rocprim17ROCPRIM_400000_NS6detail17trampoline_kernelINS0_14default_configENS1_25partition_config_selectorILNS1_17partition_subalgoE9EllbEEZZNS1_14partition_implILS5_9ELb0ES3_jPlS8_PNS0_10empty_typeENS0_5tupleIJS8_S9_EEENSB_IJS8_SA_EEENS0_18inequality_wrapperIZN2at6native12_GLOBAL__N_124unique_dim_cuda_templateImEESt5tupleIJNSF_6TensorESK_SK_EERKSK_lbbbEUlllE0_EEPmJS9_EEE10hipError_tPvRmT3_T4_T5_T6_T7_T9_mT8_P12ihipStream_tbDpT10_ENKUlT_T0_E_clISt17integral_constantIbLb1EES1A_EEDaS15_S16_EUlS15_E_NS1_11comp_targetILNS1_3genE0ELNS1_11target_archE4294967295ELNS1_3gpuE0ELNS1_3repE0EEENS1_30default_config_static_selectorELNS0_4arch9wavefront6targetE0EEEvT1_: ; @_ZN7rocprim17ROCPRIM_400000_NS6detail17trampoline_kernelINS0_14default_configENS1_25partition_config_selectorILNS1_17partition_subalgoE9EllbEEZZNS1_14partition_implILS5_9ELb0ES3_jPlS8_PNS0_10empty_typeENS0_5tupleIJS8_S9_EEENSB_IJS8_SA_EEENS0_18inequality_wrapperIZN2at6native12_GLOBAL__N_124unique_dim_cuda_templateImEESt5tupleIJNSF_6TensorESK_SK_EERKSK_lbbbEUlllE0_EEPmJS9_EEE10hipError_tPvRmT3_T4_T5_T6_T7_T9_mT8_P12ihipStream_tbDpT10_ENKUlT_T0_E_clISt17integral_constantIbLb1EES1A_EEDaS15_S16_EUlS15_E_NS1_11comp_targetILNS1_3genE0ELNS1_11target_archE4294967295ELNS1_3gpuE0ELNS1_3repE0EEENS1_30default_config_static_selectorELNS0_4arch9wavefront6targetE0EEEvT1_
; %bb.0:
	.section	.rodata,"a",@progbits
	.p2align	6, 0x0
	.amdhsa_kernel _ZN7rocprim17ROCPRIM_400000_NS6detail17trampoline_kernelINS0_14default_configENS1_25partition_config_selectorILNS1_17partition_subalgoE9EllbEEZZNS1_14partition_implILS5_9ELb0ES3_jPlS8_PNS0_10empty_typeENS0_5tupleIJS8_S9_EEENSB_IJS8_SA_EEENS0_18inequality_wrapperIZN2at6native12_GLOBAL__N_124unique_dim_cuda_templateImEESt5tupleIJNSF_6TensorESK_SK_EERKSK_lbbbEUlllE0_EEPmJS9_EEE10hipError_tPvRmT3_T4_T5_T6_T7_T9_mT8_P12ihipStream_tbDpT10_ENKUlT_T0_E_clISt17integral_constantIbLb1EES1A_EEDaS15_S16_EUlS15_E_NS1_11comp_targetILNS1_3genE0ELNS1_11target_archE4294967295ELNS1_3gpuE0ELNS1_3repE0EEENS1_30default_config_static_selectorELNS0_4arch9wavefront6targetE0EEEvT1_
		.amdhsa_group_segment_fixed_size 0
		.amdhsa_private_segment_fixed_size 0
		.amdhsa_kernarg_size 136
		.amdhsa_user_sgpr_count 15
		.amdhsa_user_sgpr_dispatch_ptr 0
		.amdhsa_user_sgpr_queue_ptr 0
		.amdhsa_user_sgpr_kernarg_segment_ptr 1
		.amdhsa_user_sgpr_dispatch_id 0
		.amdhsa_user_sgpr_private_segment_size 0
		.amdhsa_wavefront_size32 1
		.amdhsa_uses_dynamic_stack 0
		.amdhsa_enable_private_segment 0
		.amdhsa_system_sgpr_workgroup_id_x 1
		.amdhsa_system_sgpr_workgroup_id_y 0
		.amdhsa_system_sgpr_workgroup_id_z 0
		.amdhsa_system_sgpr_workgroup_info 0
		.amdhsa_system_vgpr_workitem_id 0
		.amdhsa_next_free_vgpr 1
		.amdhsa_next_free_sgpr 1
		.amdhsa_reserve_vcc 0
		.amdhsa_float_round_mode_32 0
		.amdhsa_float_round_mode_16_64 0
		.amdhsa_float_denorm_mode_32 3
		.amdhsa_float_denorm_mode_16_64 3
		.amdhsa_dx10_clamp 1
		.amdhsa_ieee_mode 1
		.amdhsa_fp16_overflow 0
		.amdhsa_workgroup_processor_mode 1
		.amdhsa_memory_ordered 1
		.amdhsa_forward_progress 0
		.amdhsa_shared_vgpr_count 0
		.amdhsa_exception_fp_ieee_invalid_op 0
		.amdhsa_exception_fp_denorm_src 0
		.amdhsa_exception_fp_ieee_div_zero 0
		.amdhsa_exception_fp_ieee_overflow 0
		.amdhsa_exception_fp_ieee_underflow 0
		.amdhsa_exception_fp_ieee_inexact 0
		.amdhsa_exception_int_div_zero 0
	.end_amdhsa_kernel
	.section	.text._ZN7rocprim17ROCPRIM_400000_NS6detail17trampoline_kernelINS0_14default_configENS1_25partition_config_selectorILNS1_17partition_subalgoE9EllbEEZZNS1_14partition_implILS5_9ELb0ES3_jPlS8_PNS0_10empty_typeENS0_5tupleIJS8_S9_EEENSB_IJS8_SA_EEENS0_18inequality_wrapperIZN2at6native12_GLOBAL__N_124unique_dim_cuda_templateImEESt5tupleIJNSF_6TensorESK_SK_EERKSK_lbbbEUlllE0_EEPmJS9_EEE10hipError_tPvRmT3_T4_T5_T6_T7_T9_mT8_P12ihipStream_tbDpT10_ENKUlT_T0_E_clISt17integral_constantIbLb1EES1A_EEDaS15_S16_EUlS15_E_NS1_11comp_targetILNS1_3genE0ELNS1_11target_archE4294967295ELNS1_3gpuE0ELNS1_3repE0EEENS1_30default_config_static_selectorELNS0_4arch9wavefront6targetE0EEEvT1_,"axG",@progbits,_ZN7rocprim17ROCPRIM_400000_NS6detail17trampoline_kernelINS0_14default_configENS1_25partition_config_selectorILNS1_17partition_subalgoE9EllbEEZZNS1_14partition_implILS5_9ELb0ES3_jPlS8_PNS0_10empty_typeENS0_5tupleIJS8_S9_EEENSB_IJS8_SA_EEENS0_18inequality_wrapperIZN2at6native12_GLOBAL__N_124unique_dim_cuda_templateImEESt5tupleIJNSF_6TensorESK_SK_EERKSK_lbbbEUlllE0_EEPmJS9_EEE10hipError_tPvRmT3_T4_T5_T6_T7_T9_mT8_P12ihipStream_tbDpT10_ENKUlT_T0_E_clISt17integral_constantIbLb1EES1A_EEDaS15_S16_EUlS15_E_NS1_11comp_targetILNS1_3genE0ELNS1_11target_archE4294967295ELNS1_3gpuE0ELNS1_3repE0EEENS1_30default_config_static_selectorELNS0_4arch9wavefront6targetE0EEEvT1_,comdat
.Lfunc_end1701:
	.size	_ZN7rocprim17ROCPRIM_400000_NS6detail17trampoline_kernelINS0_14default_configENS1_25partition_config_selectorILNS1_17partition_subalgoE9EllbEEZZNS1_14partition_implILS5_9ELb0ES3_jPlS8_PNS0_10empty_typeENS0_5tupleIJS8_S9_EEENSB_IJS8_SA_EEENS0_18inequality_wrapperIZN2at6native12_GLOBAL__N_124unique_dim_cuda_templateImEESt5tupleIJNSF_6TensorESK_SK_EERKSK_lbbbEUlllE0_EEPmJS9_EEE10hipError_tPvRmT3_T4_T5_T6_T7_T9_mT8_P12ihipStream_tbDpT10_ENKUlT_T0_E_clISt17integral_constantIbLb1EES1A_EEDaS15_S16_EUlS15_E_NS1_11comp_targetILNS1_3genE0ELNS1_11target_archE4294967295ELNS1_3gpuE0ELNS1_3repE0EEENS1_30default_config_static_selectorELNS0_4arch9wavefront6targetE0EEEvT1_, .Lfunc_end1701-_ZN7rocprim17ROCPRIM_400000_NS6detail17trampoline_kernelINS0_14default_configENS1_25partition_config_selectorILNS1_17partition_subalgoE9EllbEEZZNS1_14partition_implILS5_9ELb0ES3_jPlS8_PNS0_10empty_typeENS0_5tupleIJS8_S9_EEENSB_IJS8_SA_EEENS0_18inequality_wrapperIZN2at6native12_GLOBAL__N_124unique_dim_cuda_templateImEESt5tupleIJNSF_6TensorESK_SK_EERKSK_lbbbEUlllE0_EEPmJS9_EEE10hipError_tPvRmT3_T4_T5_T6_T7_T9_mT8_P12ihipStream_tbDpT10_ENKUlT_T0_E_clISt17integral_constantIbLb1EES1A_EEDaS15_S16_EUlS15_E_NS1_11comp_targetILNS1_3genE0ELNS1_11target_archE4294967295ELNS1_3gpuE0ELNS1_3repE0EEENS1_30default_config_static_selectorELNS0_4arch9wavefront6targetE0EEEvT1_
                                        ; -- End function
	.section	.AMDGPU.csdata,"",@progbits
; Kernel info:
; codeLenInByte = 0
; NumSgprs: 0
; NumVgprs: 0
; ScratchSize: 0
; MemoryBound: 0
; FloatMode: 240
; IeeeMode: 1
; LDSByteSize: 0 bytes/workgroup (compile time only)
; SGPRBlocks: 0
; VGPRBlocks: 0
; NumSGPRsForWavesPerEU: 1
; NumVGPRsForWavesPerEU: 1
; Occupancy: 16
; WaveLimiterHint : 0
; COMPUTE_PGM_RSRC2:SCRATCH_EN: 0
; COMPUTE_PGM_RSRC2:USER_SGPR: 15
; COMPUTE_PGM_RSRC2:TRAP_HANDLER: 0
; COMPUTE_PGM_RSRC2:TGID_X_EN: 1
; COMPUTE_PGM_RSRC2:TGID_Y_EN: 0
; COMPUTE_PGM_RSRC2:TGID_Z_EN: 0
; COMPUTE_PGM_RSRC2:TIDIG_COMP_CNT: 0
	.section	.text._ZN7rocprim17ROCPRIM_400000_NS6detail17trampoline_kernelINS0_14default_configENS1_25partition_config_selectorILNS1_17partition_subalgoE9EllbEEZZNS1_14partition_implILS5_9ELb0ES3_jPlS8_PNS0_10empty_typeENS0_5tupleIJS8_S9_EEENSB_IJS8_SA_EEENS0_18inequality_wrapperIZN2at6native12_GLOBAL__N_124unique_dim_cuda_templateImEESt5tupleIJNSF_6TensorESK_SK_EERKSK_lbbbEUlllE0_EEPmJS9_EEE10hipError_tPvRmT3_T4_T5_T6_T7_T9_mT8_P12ihipStream_tbDpT10_ENKUlT_T0_E_clISt17integral_constantIbLb1EES1A_EEDaS15_S16_EUlS15_E_NS1_11comp_targetILNS1_3genE5ELNS1_11target_archE942ELNS1_3gpuE9ELNS1_3repE0EEENS1_30default_config_static_selectorELNS0_4arch9wavefront6targetE0EEEvT1_,"axG",@progbits,_ZN7rocprim17ROCPRIM_400000_NS6detail17trampoline_kernelINS0_14default_configENS1_25partition_config_selectorILNS1_17partition_subalgoE9EllbEEZZNS1_14partition_implILS5_9ELb0ES3_jPlS8_PNS0_10empty_typeENS0_5tupleIJS8_S9_EEENSB_IJS8_SA_EEENS0_18inequality_wrapperIZN2at6native12_GLOBAL__N_124unique_dim_cuda_templateImEESt5tupleIJNSF_6TensorESK_SK_EERKSK_lbbbEUlllE0_EEPmJS9_EEE10hipError_tPvRmT3_T4_T5_T6_T7_T9_mT8_P12ihipStream_tbDpT10_ENKUlT_T0_E_clISt17integral_constantIbLb1EES1A_EEDaS15_S16_EUlS15_E_NS1_11comp_targetILNS1_3genE5ELNS1_11target_archE942ELNS1_3gpuE9ELNS1_3repE0EEENS1_30default_config_static_selectorELNS0_4arch9wavefront6targetE0EEEvT1_,comdat
	.globl	_ZN7rocprim17ROCPRIM_400000_NS6detail17trampoline_kernelINS0_14default_configENS1_25partition_config_selectorILNS1_17partition_subalgoE9EllbEEZZNS1_14partition_implILS5_9ELb0ES3_jPlS8_PNS0_10empty_typeENS0_5tupleIJS8_S9_EEENSB_IJS8_SA_EEENS0_18inequality_wrapperIZN2at6native12_GLOBAL__N_124unique_dim_cuda_templateImEESt5tupleIJNSF_6TensorESK_SK_EERKSK_lbbbEUlllE0_EEPmJS9_EEE10hipError_tPvRmT3_T4_T5_T6_T7_T9_mT8_P12ihipStream_tbDpT10_ENKUlT_T0_E_clISt17integral_constantIbLb1EES1A_EEDaS15_S16_EUlS15_E_NS1_11comp_targetILNS1_3genE5ELNS1_11target_archE942ELNS1_3gpuE9ELNS1_3repE0EEENS1_30default_config_static_selectorELNS0_4arch9wavefront6targetE0EEEvT1_ ; -- Begin function _ZN7rocprim17ROCPRIM_400000_NS6detail17trampoline_kernelINS0_14default_configENS1_25partition_config_selectorILNS1_17partition_subalgoE9EllbEEZZNS1_14partition_implILS5_9ELb0ES3_jPlS8_PNS0_10empty_typeENS0_5tupleIJS8_S9_EEENSB_IJS8_SA_EEENS0_18inequality_wrapperIZN2at6native12_GLOBAL__N_124unique_dim_cuda_templateImEESt5tupleIJNSF_6TensorESK_SK_EERKSK_lbbbEUlllE0_EEPmJS9_EEE10hipError_tPvRmT3_T4_T5_T6_T7_T9_mT8_P12ihipStream_tbDpT10_ENKUlT_T0_E_clISt17integral_constantIbLb1EES1A_EEDaS15_S16_EUlS15_E_NS1_11comp_targetILNS1_3genE5ELNS1_11target_archE942ELNS1_3gpuE9ELNS1_3repE0EEENS1_30default_config_static_selectorELNS0_4arch9wavefront6targetE0EEEvT1_
	.p2align	8
	.type	_ZN7rocprim17ROCPRIM_400000_NS6detail17trampoline_kernelINS0_14default_configENS1_25partition_config_selectorILNS1_17partition_subalgoE9EllbEEZZNS1_14partition_implILS5_9ELb0ES3_jPlS8_PNS0_10empty_typeENS0_5tupleIJS8_S9_EEENSB_IJS8_SA_EEENS0_18inequality_wrapperIZN2at6native12_GLOBAL__N_124unique_dim_cuda_templateImEESt5tupleIJNSF_6TensorESK_SK_EERKSK_lbbbEUlllE0_EEPmJS9_EEE10hipError_tPvRmT3_T4_T5_T6_T7_T9_mT8_P12ihipStream_tbDpT10_ENKUlT_T0_E_clISt17integral_constantIbLb1EES1A_EEDaS15_S16_EUlS15_E_NS1_11comp_targetILNS1_3genE5ELNS1_11target_archE942ELNS1_3gpuE9ELNS1_3repE0EEENS1_30default_config_static_selectorELNS0_4arch9wavefront6targetE0EEEvT1_,@function
_ZN7rocprim17ROCPRIM_400000_NS6detail17trampoline_kernelINS0_14default_configENS1_25partition_config_selectorILNS1_17partition_subalgoE9EllbEEZZNS1_14partition_implILS5_9ELb0ES3_jPlS8_PNS0_10empty_typeENS0_5tupleIJS8_S9_EEENSB_IJS8_SA_EEENS0_18inequality_wrapperIZN2at6native12_GLOBAL__N_124unique_dim_cuda_templateImEESt5tupleIJNSF_6TensorESK_SK_EERKSK_lbbbEUlllE0_EEPmJS9_EEE10hipError_tPvRmT3_T4_T5_T6_T7_T9_mT8_P12ihipStream_tbDpT10_ENKUlT_T0_E_clISt17integral_constantIbLb1EES1A_EEDaS15_S16_EUlS15_E_NS1_11comp_targetILNS1_3genE5ELNS1_11target_archE942ELNS1_3gpuE9ELNS1_3repE0EEENS1_30default_config_static_selectorELNS0_4arch9wavefront6targetE0EEEvT1_: ; @_ZN7rocprim17ROCPRIM_400000_NS6detail17trampoline_kernelINS0_14default_configENS1_25partition_config_selectorILNS1_17partition_subalgoE9EllbEEZZNS1_14partition_implILS5_9ELb0ES3_jPlS8_PNS0_10empty_typeENS0_5tupleIJS8_S9_EEENSB_IJS8_SA_EEENS0_18inequality_wrapperIZN2at6native12_GLOBAL__N_124unique_dim_cuda_templateImEESt5tupleIJNSF_6TensorESK_SK_EERKSK_lbbbEUlllE0_EEPmJS9_EEE10hipError_tPvRmT3_T4_T5_T6_T7_T9_mT8_P12ihipStream_tbDpT10_ENKUlT_T0_E_clISt17integral_constantIbLb1EES1A_EEDaS15_S16_EUlS15_E_NS1_11comp_targetILNS1_3genE5ELNS1_11target_archE942ELNS1_3gpuE9ELNS1_3repE0EEENS1_30default_config_static_selectorELNS0_4arch9wavefront6targetE0EEEvT1_
; %bb.0:
	.section	.rodata,"a",@progbits
	.p2align	6, 0x0
	.amdhsa_kernel _ZN7rocprim17ROCPRIM_400000_NS6detail17trampoline_kernelINS0_14default_configENS1_25partition_config_selectorILNS1_17partition_subalgoE9EllbEEZZNS1_14partition_implILS5_9ELb0ES3_jPlS8_PNS0_10empty_typeENS0_5tupleIJS8_S9_EEENSB_IJS8_SA_EEENS0_18inequality_wrapperIZN2at6native12_GLOBAL__N_124unique_dim_cuda_templateImEESt5tupleIJNSF_6TensorESK_SK_EERKSK_lbbbEUlllE0_EEPmJS9_EEE10hipError_tPvRmT3_T4_T5_T6_T7_T9_mT8_P12ihipStream_tbDpT10_ENKUlT_T0_E_clISt17integral_constantIbLb1EES1A_EEDaS15_S16_EUlS15_E_NS1_11comp_targetILNS1_3genE5ELNS1_11target_archE942ELNS1_3gpuE9ELNS1_3repE0EEENS1_30default_config_static_selectorELNS0_4arch9wavefront6targetE0EEEvT1_
		.amdhsa_group_segment_fixed_size 0
		.amdhsa_private_segment_fixed_size 0
		.amdhsa_kernarg_size 136
		.amdhsa_user_sgpr_count 15
		.amdhsa_user_sgpr_dispatch_ptr 0
		.amdhsa_user_sgpr_queue_ptr 0
		.amdhsa_user_sgpr_kernarg_segment_ptr 1
		.amdhsa_user_sgpr_dispatch_id 0
		.amdhsa_user_sgpr_private_segment_size 0
		.amdhsa_wavefront_size32 1
		.amdhsa_uses_dynamic_stack 0
		.amdhsa_enable_private_segment 0
		.amdhsa_system_sgpr_workgroup_id_x 1
		.amdhsa_system_sgpr_workgroup_id_y 0
		.amdhsa_system_sgpr_workgroup_id_z 0
		.amdhsa_system_sgpr_workgroup_info 0
		.amdhsa_system_vgpr_workitem_id 0
		.amdhsa_next_free_vgpr 1
		.amdhsa_next_free_sgpr 1
		.amdhsa_reserve_vcc 0
		.amdhsa_float_round_mode_32 0
		.amdhsa_float_round_mode_16_64 0
		.amdhsa_float_denorm_mode_32 3
		.amdhsa_float_denorm_mode_16_64 3
		.amdhsa_dx10_clamp 1
		.amdhsa_ieee_mode 1
		.amdhsa_fp16_overflow 0
		.amdhsa_workgroup_processor_mode 1
		.amdhsa_memory_ordered 1
		.amdhsa_forward_progress 0
		.amdhsa_shared_vgpr_count 0
		.amdhsa_exception_fp_ieee_invalid_op 0
		.amdhsa_exception_fp_denorm_src 0
		.amdhsa_exception_fp_ieee_div_zero 0
		.amdhsa_exception_fp_ieee_overflow 0
		.amdhsa_exception_fp_ieee_underflow 0
		.amdhsa_exception_fp_ieee_inexact 0
		.amdhsa_exception_int_div_zero 0
	.end_amdhsa_kernel
	.section	.text._ZN7rocprim17ROCPRIM_400000_NS6detail17trampoline_kernelINS0_14default_configENS1_25partition_config_selectorILNS1_17partition_subalgoE9EllbEEZZNS1_14partition_implILS5_9ELb0ES3_jPlS8_PNS0_10empty_typeENS0_5tupleIJS8_S9_EEENSB_IJS8_SA_EEENS0_18inequality_wrapperIZN2at6native12_GLOBAL__N_124unique_dim_cuda_templateImEESt5tupleIJNSF_6TensorESK_SK_EERKSK_lbbbEUlllE0_EEPmJS9_EEE10hipError_tPvRmT3_T4_T5_T6_T7_T9_mT8_P12ihipStream_tbDpT10_ENKUlT_T0_E_clISt17integral_constantIbLb1EES1A_EEDaS15_S16_EUlS15_E_NS1_11comp_targetILNS1_3genE5ELNS1_11target_archE942ELNS1_3gpuE9ELNS1_3repE0EEENS1_30default_config_static_selectorELNS0_4arch9wavefront6targetE0EEEvT1_,"axG",@progbits,_ZN7rocprim17ROCPRIM_400000_NS6detail17trampoline_kernelINS0_14default_configENS1_25partition_config_selectorILNS1_17partition_subalgoE9EllbEEZZNS1_14partition_implILS5_9ELb0ES3_jPlS8_PNS0_10empty_typeENS0_5tupleIJS8_S9_EEENSB_IJS8_SA_EEENS0_18inequality_wrapperIZN2at6native12_GLOBAL__N_124unique_dim_cuda_templateImEESt5tupleIJNSF_6TensorESK_SK_EERKSK_lbbbEUlllE0_EEPmJS9_EEE10hipError_tPvRmT3_T4_T5_T6_T7_T9_mT8_P12ihipStream_tbDpT10_ENKUlT_T0_E_clISt17integral_constantIbLb1EES1A_EEDaS15_S16_EUlS15_E_NS1_11comp_targetILNS1_3genE5ELNS1_11target_archE942ELNS1_3gpuE9ELNS1_3repE0EEENS1_30default_config_static_selectorELNS0_4arch9wavefront6targetE0EEEvT1_,comdat
.Lfunc_end1702:
	.size	_ZN7rocprim17ROCPRIM_400000_NS6detail17trampoline_kernelINS0_14default_configENS1_25partition_config_selectorILNS1_17partition_subalgoE9EllbEEZZNS1_14partition_implILS5_9ELb0ES3_jPlS8_PNS0_10empty_typeENS0_5tupleIJS8_S9_EEENSB_IJS8_SA_EEENS0_18inequality_wrapperIZN2at6native12_GLOBAL__N_124unique_dim_cuda_templateImEESt5tupleIJNSF_6TensorESK_SK_EERKSK_lbbbEUlllE0_EEPmJS9_EEE10hipError_tPvRmT3_T4_T5_T6_T7_T9_mT8_P12ihipStream_tbDpT10_ENKUlT_T0_E_clISt17integral_constantIbLb1EES1A_EEDaS15_S16_EUlS15_E_NS1_11comp_targetILNS1_3genE5ELNS1_11target_archE942ELNS1_3gpuE9ELNS1_3repE0EEENS1_30default_config_static_selectorELNS0_4arch9wavefront6targetE0EEEvT1_, .Lfunc_end1702-_ZN7rocprim17ROCPRIM_400000_NS6detail17trampoline_kernelINS0_14default_configENS1_25partition_config_selectorILNS1_17partition_subalgoE9EllbEEZZNS1_14partition_implILS5_9ELb0ES3_jPlS8_PNS0_10empty_typeENS0_5tupleIJS8_S9_EEENSB_IJS8_SA_EEENS0_18inequality_wrapperIZN2at6native12_GLOBAL__N_124unique_dim_cuda_templateImEESt5tupleIJNSF_6TensorESK_SK_EERKSK_lbbbEUlllE0_EEPmJS9_EEE10hipError_tPvRmT3_T4_T5_T6_T7_T9_mT8_P12ihipStream_tbDpT10_ENKUlT_T0_E_clISt17integral_constantIbLb1EES1A_EEDaS15_S16_EUlS15_E_NS1_11comp_targetILNS1_3genE5ELNS1_11target_archE942ELNS1_3gpuE9ELNS1_3repE0EEENS1_30default_config_static_selectorELNS0_4arch9wavefront6targetE0EEEvT1_
                                        ; -- End function
	.section	.AMDGPU.csdata,"",@progbits
; Kernel info:
; codeLenInByte = 0
; NumSgprs: 0
; NumVgprs: 0
; ScratchSize: 0
; MemoryBound: 0
; FloatMode: 240
; IeeeMode: 1
; LDSByteSize: 0 bytes/workgroup (compile time only)
; SGPRBlocks: 0
; VGPRBlocks: 0
; NumSGPRsForWavesPerEU: 1
; NumVGPRsForWavesPerEU: 1
; Occupancy: 16
; WaveLimiterHint : 0
; COMPUTE_PGM_RSRC2:SCRATCH_EN: 0
; COMPUTE_PGM_RSRC2:USER_SGPR: 15
; COMPUTE_PGM_RSRC2:TRAP_HANDLER: 0
; COMPUTE_PGM_RSRC2:TGID_X_EN: 1
; COMPUTE_PGM_RSRC2:TGID_Y_EN: 0
; COMPUTE_PGM_RSRC2:TGID_Z_EN: 0
; COMPUTE_PGM_RSRC2:TIDIG_COMP_CNT: 0
	.section	.text._ZN7rocprim17ROCPRIM_400000_NS6detail17trampoline_kernelINS0_14default_configENS1_25partition_config_selectorILNS1_17partition_subalgoE9EllbEEZZNS1_14partition_implILS5_9ELb0ES3_jPlS8_PNS0_10empty_typeENS0_5tupleIJS8_S9_EEENSB_IJS8_SA_EEENS0_18inequality_wrapperIZN2at6native12_GLOBAL__N_124unique_dim_cuda_templateImEESt5tupleIJNSF_6TensorESK_SK_EERKSK_lbbbEUlllE0_EEPmJS9_EEE10hipError_tPvRmT3_T4_T5_T6_T7_T9_mT8_P12ihipStream_tbDpT10_ENKUlT_T0_E_clISt17integral_constantIbLb1EES1A_EEDaS15_S16_EUlS15_E_NS1_11comp_targetILNS1_3genE4ELNS1_11target_archE910ELNS1_3gpuE8ELNS1_3repE0EEENS1_30default_config_static_selectorELNS0_4arch9wavefront6targetE0EEEvT1_,"axG",@progbits,_ZN7rocprim17ROCPRIM_400000_NS6detail17trampoline_kernelINS0_14default_configENS1_25partition_config_selectorILNS1_17partition_subalgoE9EllbEEZZNS1_14partition_implILS5_9ELb0ES3_jPlS8_PNS0_10empty_typeENS0_5tupleIJS8_S9_EEENSB_IJS8_SA_EEENS0_18inequality_wrapperIZN2at6native12_GLOBAL__N_124unique_dim_cuda_templateImEESt5tupleIJNSF_6TensorESK_SK_EERKSK_lbbbEUlllE0_EEPmJS9_EEE10hipError_tPvRmT3_T4_T5_T6_T7_T9_mT8_P12ihipStream_tbDpT10_ENKUlT_T0_E_clISt17integral_constantIbLb1EES1A_EEDaS15_S16_EUlS15_E_NS1_11comp_targetILNS1_3genE4ELNS1_11target_archE910ELNS1_3gpuE8ELNS1_3repE0EEENS1_30default_config_static_selectorELNS0_4arch9wavefront6targetE0EEEvT1_,comdat
	.globl	_ZN7rocprim17ROCPRIM_400000_NS6detail17trampoline_kernelINS0_14default_configENS1_25partition_config_selectorILNS1_17partition_subalgoE9EllbEEZZNS1_14partition_implILS5_9ELb0ES3_jPlS8_PNS0_10empty_typeENS0_5tupleIJS8_S9_EEENSB_IJS8_SA_EEENS0_18inequality_wrapperIZN2at6native12_GLOBAL__N_124unique_dim_cuda_templateImEESt5tupleIJNSF_6TensorESK_SK_EERKSK_lbbbEUlllE0_EEPmJS9_EEE10hipError_tPvRmT3_T4_T5_T6_T7_T9_mT8_P12ihipStream_tbDpT10_ENKUlT_T0_E_clISt17integral_constantIbLb1EES1A_EEDaS15_S16_EUlS15_E_NS1_11comp_targetILNS1_3genE4ELNS1_11target_archE910ELNS1_3gpuE8ELNS1_3repE0EEENS1_30default_config_static_selectorELNS0_4arch9wavefront6targetE0EEEvT1_ ; -- Begin function _ZN7rocprim17ROCPRIM_400000_NS6detail17trampoline_kernelINS0_14default_configENS1_25partition_config_selectorILNS1_17partition_subalgoE9EllbEEZZNS1_14partition_implILS5_9ELb0ES3_jPlS8_PNS0_10empty_typeENS0_5tupleIJS8_S9_EEENSB_IJS8_SA_EEENS0_18inequality_wrapperIZN2at6native12_GLOBAL__N_124unique_dim_cuda_templateImEESt5tupleIJNSF_6TensorESK_SK_EERKSK_lbbbEUlllE0_EEPmJS9_EEE10hipError_tPvRmT3_T4_T5_T6_T7_T9_mT8_P12ihipStream_tbDpT10_ENKUlT_T0_E_clISt17integral_constantIbLb1EES1A_EEDaS15_S16_EUlS15_E_NS1_11comp_targetILNS1_3genE4ELNS1_11target_archE910ELNS1_3gpuE8ELNS1_3repE0EEENS1_30default_config_static_selectorELNS0_4arch9wavefront6targetE0EEEvT1_
	.p2align	8
	.type	_ZN7rocprim17ROCPRIM_400000_NS6detail17trampoline_kernelINS0_14default_configENS1_25partition_config_selectorILNS1_17partition_subalgoE9EllbEEZZNS1_14partition_implILS5_9ELb0ES3_jPlS8_PNS0_10empty_typeENS0_5tupleIJS8_S9_EEENSB_IJS8_SA_EEENS0_18inequality_wrapperIZN2at6native12_GLOBAL__N_124unique_dim_cuda_templateImEESt5tupleIJNSF_6TensorESK_SK_EERKSK_lbbbEUlllE0_EEPmJS9_EEE10hipError_tPvRmT3_T4_T5_T6_T7_T9_mT8_P12ihipStream_tbDpT10_ENKUlT_T0_E_clISt17integral_constantIbLb1EES1A_EEDaS15_S16_EUlS15_E_NS1_11comp_targetILNS1_3genE4ELNS1_11target_archE910ELNS1_3gpuE8ELNS1_3repE0EEENS1_30default_config_static_selectorELNS0_4arch9wavefront6targetE0EEEvT1_,@function
_ZN7rocprim17ROCPRIM_400000_NS6detail17trampoline_kernelINS0_14default_configENS1_25partition_config_selectorILNS1_17partition_subalgoE9EllbEEZZNS1_14partition_implILS5_9ELb0ES3_jPlS8_PNS0_10empty_typeENS0_5tupleIJS8_S9_EEENSB_IJS8_SA_EEENS0_18inequality_wrapperIZN2at6native12_GLOBAL__N_124unique_dim_cuda_templateImEESt5tupleIJNSF_6TensorESK_SK_EERKSK_lbbbEUlllE0_EEPmJS9_EEE10hipError_tPvRmT3_T4_T5_T6_T7_T9_mT8_P12ihipStream_tbDpT10_ENKUlT_T0_E_clISt17integral_constantIbLb1EES1A_EEDaS15_S16_EUlS15_E_NS1_11comp_targetILNS1_3genE4ELNS1_11target_archE910ELNS1_3gpuE8ELNS1_3repE0EEENS1_30default_config_static_selectorELNS0_4arch9wavefront6targetE0EEEvT1_: ; @_ZN7rocprim17ROCPRIM_400000_NS6detail17trampoline_kernelINS0_14default_configENS1_25partition_config_selectorILNS1_17partition_subalgoE9EllbEEZZNS1_14partition_implILS5_9ELb0ES3_jPlS8_PNS0_10empty_typeENS0_5tupleIJS8_S9_EEENSB_IJS8_SA_EEENS0_18inequality_wrapperIZN2at6native12_GLOBAL__N_124unique_dim_cuda_templateImEESt5tupleIJNSF_6TensorESK_SK_EERKSK_lbbbEUlllE0_EEPmJS9_EEE10hipError_tPvRmT3_T4_T5_T6_T7_T9_mT8_P12ihipStream_tbDpT10_ENKUlT_T0_E_clISt17integral_constantIbLb1EES1A_EEDaS15_S16_EUlS15_E_NS1_11comp_targetILNS1_3genE4ELNS1_11target_archE910ELNS1_3gpuE8ELNS1_3repE0EEENS1_30default_config_static_selectorELNS0_4arch9wavefront6targetE0EEEvT1_
; %bb.0:
	.section	.rodata,"a",@progbits
	.p2align	6, 0x0
	.amdhsa_kernel _ZN7rocprim17ROCPRIM_400000_NS6detail17trampoline_kernelINS0_14default_configENS1_25partition_config_selectorILNS1_17partition_subalgoE9EllbEEZZNS1_14partition_implILS5_9ELb0ES3_jPlS8_PNS0_10empty_typeENS0_5tupleIJS8_S9_EEENSB_IJS8_SA_EEENS0_18inequality_wrapperIZN2at6native12_GLOBAL__N_124unique_dim_cuda_templateImEESt5tupleIJNSF_6TensorESK_SK_EERKSK_lbbbEUlllE0_EEPmJS9_EEE10hipError_tPvRmT3_T4_T5_T6_T7_T9_mT8_P12ihipStream_tbDpT10_ENKUlT_T0_E_clISt17integral_constantIbLb1EES1A_EEDaS15_S16_EUlS15_E_NS1_11comp_targetILNS1_3genE4ELNS1_11target_archE910ELNS1_3gpuE8ELNS1_3repE0EEENS1_30default_config_static_selectorELNS0_4arch9wavefront6targetE0EEEvT1_
		.amdhsa_group_segment_fixed_size 0
		.amdhsa_private_segment_fixed_size 0
		.amdhsa_kernarg_size 136
		.amdhsa_user_sgpr_count 15
		.amdhsa_user_sgpr_dispatch_ptr 0
		.amdhsa_user_sgpr_queue_ptr 0
		.amdhsa_user_sgpr_kernarg_segment_ptr 1
		.amdhsa_user_sgpr_dispatch_id 0
		.amdhsa_user_sgpr_private_segment_size 0
		.amdhsa_wavefront_size32 1
		.amdhsa_uses_dynamic_stack 0
		.amdhsa_enable_private_segment 0
		.amdhsa_system_sgpr_workgroup_id_x 1
		.amdhsa_system_sgpr_workgroup_id_y 0
		.amdhsa_system_sgpr_workgroup_id_z 0
		.amdhsa_system_sgpr_workgroup_info 0
		.amdhsa_system_vgpr_workitem_id 0
		.amdhsa_next_free_vgpr 1
		.amdhsa_next_free_sgpr 1
		.amdhsa_reserve_vcc 0
		.amdhsa_float_round_mode_32 0
		.amdhsa_float_round_mode_16_64 0
		.amdhsa_float_denorm_mode_32 3
		.amdhsa_float_denorm_mode_16_64 3
		.amdhsa_dx10_clamp 1
		.amdhsa_ieee_mode 1
		.amdhsa_fp16_overflow 0
		.amdhsa_workgroup_processor_mode 1
		.amdhsa_memory_ordered 1
		.amdhsa_forward_progress 0
		.amdhsa_shared_vgpr_count 0
		.amdhsa_exception_fp_ieee_invalid_op 0
		.amdhsa_exception_fp_denorm_src 0
		.amdhsa_exception_fp_ieee_div_zero 0
		.amdhsa_exception_fp_ieee_overflow 0
		.amdhsa_exception_fp_ieee_underflow 0
		.amdhsa_exception_fp_ieee_inexact 0
		.amdhsa_exception_int_div_zero 0
	.end_amdhsa_kernel
	.section	.text._ZN7rocprim17ROCPRIM_400000_NS6detail17trampoline_kernelINS0_14default_configENS1_25partition_config_selectorILNS1_17partition_subalgoE9EllbEEZZNS1_14partition_implILS5_9ELb0ES3_jPlS8_PNS0_10empty_typeENS0_5tupleIJS8_S9_EEENSB_IJS8_SA_EEENS0_18inequality_wrapperIZN2at6native12_GLOBAL__N_124unique_dim_cuda_templateImEESt5tupleIJNSF_6TensorESK_SK_EERKSK_lbbbEUlllE0_EEPmJS9_EEE10hipError_tPvRmT3_T4_T5_T6_T7_T9_mT8_P12ihipStream_tbDpT10_ENKUlT_T0_E_clISt17integral_constantIbLb1EES1A_EEDaS15_S16_EUlS15_E_NS1_11comp_targetILNS1_3genE4ELNS1_11target_archE910ELNS1_3gpuE8ELNS1_3repE0EEENS1_30default_config_static_selectorELNS0_4arch9wavefront6targetE0EEEvT1_,"axG",@progbits,_ZN7rocprim17ROCPRIM_400000_NS6detail17trampoline_kernelINS0_14default_configENS1_25partition_config_selectorILNS1_17partition_subalgoE9EllbEEZZNS1_14partition_implILS5_9ELb0ES3_jPlS8_PNS0_10empty_typeENS0_5tupleIJS8_S9_EEENSB_IJS8_SA_EEENS0_18inequality_wrapperIZN2at6native12_GLOBAL__N_124unique_dim_cuda_templateImEESt5tupleIJNSF_6TensorESK_SK_EERKSK_lbbbEUlllE0_EEPmJS9_EEE10hipError_tPvRmT3_T4_T5_T6_T7_T9_mT8_P12ihipStream_tbDpT10_ENKUlT_T0_E_clISt17integral_constantIbLb1EES1A_EEDaS15_S16_EUlS15_E_NS1_11comp_targetILNS1_3genE4ELNS1_11target_archE910ELNS1_3gpuE8ELNS1_3repE0EEENS1_30default_config_static_selectorELNS0_4arch9wavefront6targetE0EEEvT1_,comdat
.Lfunc_end1703:
	.size	_ZN7rocprim17ROCPRIM_400000_NS6detail17trampoline_kernelINS0_14default_configENS1_25partition_config_selectorILNS1_17partition_subalgoE9EllbEEZZNS1_14partition_implILS5_9ELb0ES3_jPlS8_PNS0_10empty_typeENS0_5tupleIJS8_S9_EEENSB_IJS8_SA_EEENS0_18inequality_wrapperIZN2at6native12_GLOBAL__N_124unique_dim_cuda_templateImEESt5tupleIJNSF_6TensorESK_SK_EERKSK_lbbbEUlllE0_EEPmJS9_EEE10hipError_tPvRmT3_T4_T5_T6_T7_T9_mT8_P12ihipStream_tbDpT10_ENKUlT_T0_E_clISt17integral_constantIbLb1EES1A_EEDaS15_S16_EUlS15_E_NS1_11comp_targetILNS1_3genE4ELNS1_11target_archE910ELNS1_3gpuE8ELNS1_3repE0EEENS1_30default_config_static_selectorELNS0_4arch9wavefront6targetE0EEEvT1_, .Lfunc_end1703-_ZN7rocprim17ROCPRIM_400000_NS6detail17trampoline_kernelINS0_14default_configENS1_25partition_config_selectorILNS1_17partition_subalgoE9EllbEEZZNS1_14partition_implILS5_9ELb0ES3_jPlS8_PNS0_10empty_typeENS0_5tupleIJS8_S9_EEENSB_IJS8_SA_EEENS0_18inequality_wrapperIZN2at6native12_GLOBAL__N_124unique_dim_cuda_templateImEESt5tupleIJNSF_6TensorESK_SK_EERKSK_lbbbEUlllE0_EEPmJS9_EEE10hipError_tPvRmT3_T4_T5_T6_T7_T9_mT8_P12ihipStream_tbDpT10_ENKUlT_T0_E_clISt17integral_constantIbLb1EES1A_EEDaS15_S16_EUlS15_E_NS1_11comp_targetILNS1_3genE4ELNS1_11target_archE910ELNS1_3gpuE8ELNS1_3repE0EEENS1_30default_config_static_selectorELNS0_4arch9wavefront6targetE0EEEvT1_
                                        ; -- End function
	.section	.AMDGPU.csdata,"",@progbits
; Kernel info:
; codeLenInByte = 0
; NumSgprs: 0
; NumVgprs: 0
; ScratchSize: 0
; MemoryBound: 0
; FloatMode: 240
; IeeeMode: 1
; LDSByteSize: 0 bytes/workgroup (compile time only)
; SGPRBlocks: 0
; VGPRBlocks: 0
; NumSGPRsForWavesPerEU: 1
; NumVGPRsForWavesPerEU: 1
; Occupancy: 16
; WaveLimiterHint : 0
; COMPUTE_PGM_RSRC2:SCRATCH_EN: 0
; COMPUTE_PGM_RSRC2:USER_SGPR: 15
; COMPUTE_PGM_RSRC2:TRAP_HANDLER: 0
; COMPUTE_PGM_RSRC2:TGID_X_EN: 1
; COMPUTE_PGM_RSRC2:TGID_Y_EN: 0
; COMPUTE_PGM_RSRC2:TGID_Z_EN: 0
; COMPUTE_PGM_RSRC2:TIDIG_COMP_CNT: 0
	.section	.text._ZN7rocprim17ROCPRIM_400000_NS6detail17trampoline_kernelINS0_14default_configENS1_25partition_config_selectorILNS1_17partition_subalgoE9EllbEEZZNS1_14partition_implILS5_9ELb0ES3_jPlS8_PNS0_10empty_typeENS0_5tupleIJS8_S9_EEENSB_IJS8_SA_EEENS0_18inequality_wrapperIZN2at6native12_GLOBAL__N_124unique_dim_cuda_templateImEESt5tupleIJNSF_6TensorESK_SK_EERKSK_lbbbEUlllE0_EEPmJS9_EEE10hipError_tPvRmT3_T4_T5_T6_T7_T9_mT8_P12ihipStream_tbDpT10_ENKUlT_T0_E_clISt17integral_constantIbLb1EES1A_EEDaS15_S16_EUlS15_E_NS1_11comp_targetILNS1_3genE3ELNS1_11target_archE908ELNS1_3gpuE7ELNS1_3repE0EEENS1_30default_config_static_selectorELNS0_4arch9wavefront6targetE0EEEvT1_,"axG",@progbits,_ZN7rocprim17ROCPRIM_400000_NS6detail17trampoline_kernelINS0_14default_configENS1_25partition_config_selectorILNS1_17partition_subalgoE9EllbEEZZNS1_14partition_implILS5_9ELb0ES3_jPlS8_PNS0_10empty_typeENS0_5tupleIJS8_S9_EEENSB_IJS8_SA_EEENS0_18inequality_wrapperIZN2at6native12_GLOBAL__N_124unique_dim_cuda_templateImEESt5tupleIJNSF_6TensorESK_SK_EERKSK_lbbbEUlllE0_EEPmJS9_EEE10hipError_tPvRmT3_T4_T5_T6_T7_T9_mT8_P12ihipStream_tbDpT10_ENKUlT_T0_E_clISt17integral_constantIbLb1EES1A_EEDaS15_S16_EUlS15_E_NS1_11comp_targetILNS1_3genE3ELNS1_11target_archE908ELNS1_3gpuE7ELNS1_3repE0EEENS1_30default_config_static_selectorELNS0_4arch9wavefront6targetE0EEEvT1_,comdat
	.globl	_ZN7rocprim17ROCPRIM_400000_NS6detail17trampoline_kernelINS0_14default_configENS1_25partition_config_selectorILNS1_17partition_subalgoE9EllbEEZZNS1_14partition_implILS5_9ELb0ES3_jPlS8_PNS0_10empty_typeENS0_5tupleIJS8_S9_EEENSB_IJS8_SA_EEENS0_18inequality_wrapperIZN2at6native12_GLOBAL__N_124unique_dim_cuda_templateImEESt5tupleIJNSF_6TensorESK_SK_EERKSK_lbbbEUlllE0_EEPmJS9_EEE10hipError_tPvRmT3_T4_T5_T6_T7_T9_mT8_P12ihipStream_tbDpT10_ENKUlT_T0_E_clISt17integral_constantIbLb1EES1A_EEDaS15_S16_EUlS15_E_NS1_11comp_targetILNS1_3genE3ELNS1_11target_archE908ELNS1_3gpuE7ELNS1_3repE0EEENS1_30default_config_static_selectorELNS0_4arch9wavefront6targetE0EEEvT1_ ; -- Begin function _ZN7rocprim17ROCPRIM_400000_NS6detail17trampoline_kernelINS0_14default_configENS1_25partition_config_selectorILNS1_17partition_subalgoE9EllbEEZZNS1_14partition_implILS5_9ELb0ES3_jPlS8_PNS0_10empty_typeENS0_5tupleIJS8_S9_EEENSB_IJS8_SA_EEENS0_18inequality_wrapperIZN2at6native12_GLOBAL__N_124unique_dim_cuda_templateImEESt5tupleIJNSF_6TensorESK_SK_EERKSK_lbbbEUlllE0_EEPmJS9_EEE10hipError_tPvRmT3_T4_T5_T6_T7_T9_mT8_P12ihipStream_tbDpT10_ENKUlT_T0_E_clISt17integral_constantIbLb1EES1A_EEDaS15_S16_EUlS15_E_NS1_11comp_targetILNS1_3genE3ELNS1_11target_archE908ELNS1_3gpuE7ELNS1_3repE0EEENS1_30default_config_static_selectorELNS0_4arch9wavefront6targetE0EEEvT1_
	.p2align	8
	.type	_ZN7rocprim17ROCPRIM_400000_NS6detail17trampoline_kernelINS0_14default_configENS1_25partition_config_selectorILNS1_17partition_subalgoE9EllbEEZZNS1_14partition_implILS5_9ELb0ES3_jPlS8_PNS0_10empty_typeENS0_5tupleIJS8_S9_EEENSB_IJS8_SA_EEENS0_18inequality_wrapperIZN2at6native12_GLOBAL__N_124unique_dim_cuda_templateImEESt5tupleIJNSF_6TensorESK_SK_EERKSK_lbbbEUlllE0_EEPmJS9_EEE10hipError_tPvRmT3_T4_T5_T6_T7_T9_mT8_P12ihipStream_tbDpT10_ENKUlT_T0_E_clISt17integral_constantIbLb1EES1A_EEDaS15_S16_EUlS15_E_NS1_11comp_targetILNS1_3genE3ELNS1_11target_archE908ELNS1_3gpuE7ELNS1_3repE0EEENS1_30default_config_static_selectorELNS0_4arch9wavefront6targetE0EEEvT1_,@function
_ZN7rocprim17ROCPRIM_400000_NS6detail17trampoline_kernelINS0_14default_configENS1_25partition_config_selectorILNS1_17partition_subalgoE9EllbEEZZNS1_14partition_implILS5_9ELb0ES3_jPlS8_PNS0_10empty_typeENS0_5tupleIJS8_S9_EEENSB_IJS8_SA_EEENS0_18inequality_wrapperIZN2at6native12_GLOBAL__N_124unique_dim_cuda_templateImEESt5tupleIJNSF_6TensorESK_SK_EERKSK_lbbbEUlllE0_EEPmJS9_EEE10hipError_tPvRmT3_T4_T5_T6_T7_T9_mT8_P12ihipStream_tbDpT10_ENKUlT_T0_E_clISt17integral_constantIbLb1EES1A_EEDaS15_S16_EUlS15_E_NS1_11comp_targetILNS1_3genE3ELNS1_11target_archE908ELNS1_3gpuE7ELNS1_3repE0EEENS1_30default_config_static_selectorELNS0_4arch9wavefront6targetE0EEEvT1_: ; @_ZN7rocprim17ROCPRIM_400000_NS6detail17trampoline_kernelINS0_14default_configENS1_25partition_config_selectorILNS1_17partition_subalgoE9EllbEEZZNS1_14partition_implILS5_9ELb0ES3_jPlS8_PNS0_10empty_typeENS0_5tupleIJS8_S9_EEENSB_IJS8_SA_EEENS0_18inequality_wrapperIZN2at6native12_GLOBAL__N_124unique_dim_cuda_templateImEESt5tupleIJNSF_6TensorESK_SK_EERKSK_lbbbEUlllE0_EEPmJS9_EEE10hipError_tPvRmT3_T4_T5_T6_T7_T9_mT8_P12ihipStream_tbDpT10_ENKUlT_T0_E_clISt17integral_constantIbLb1EES1A_EEDaS15_S16_EUlS15_E_NS1_11comp_targetILNS1_3genE3ELNS1_11target_archE908ELNS1_3gpuE7ELNS1_3repE0EEENS1_30default_config_static_selectorELNS0_4arch9wavefront6targetE0EEEvT1_
; %bb.0:
	.section	.rodata,"a",@progbits
	.p2align	6, 0x0
	.amdhsa_kernel _ZN7rocprim17ROCPRIM_400000_NS6detail17trampoline_kernelINS0_14default_configENS1_25partition_config_selectorILNS1_17partition_subalgoE9EllbEEZZNS1_14partition_implILS5_9ELb0ES3_jPlS8_PNS0_10empty_typeENS0_5tupleIJS8_S9_EEENSB_IJS8_SA_EEENS0_18inequality_wrapperIZN2at6native12_GLOBAL__N_124unique_dim_cuda_templateImEESt5tupleIJNSF_6TensorESK_SK_EERKSK_lbbbEUlllE0_EEPmJS9_EEE10hipError_tPvRmT3_T4_T5_T6_T7_T9_mT8_P12ihipStream_tbDpT10_ENKUlT_T0_E_clISt17integral_constantIbLb1EES1A_EEDaS15_S16_EUlS15_E_NS1_11comp_targetILNS1_3genE3ELNS1_11target_archE908ELNS1_3gpuE7ELNS1_3repE0EEENS1_30default_config_static_selectorELNS0_4arch9wavefront6targetE0EEEvT1_
		.amdhsa_group_segment_fixed_size 0
		.amdhsa_private_segment_fixed_size 0
		.amdhsa_kernarg_size 136
		.amdhsa_user_sgpr_count 15
		.amdhsa_user_sgpr_dispatch_ptr 0
		.amdhsa_user_sgpr_queue_ptr 0
		.amdhsa_user_sgpr_kernarg_segment_ptr 1
		.amdhsa_user_sgpr_dispatch_id 0
		.amdhsa_user_sgpr_private_segment_size 0
		.amdhsa_wavefront_size32 1
		.amdhsa_uses_dynamic_stack 0
		.amdhsa_enable_private_segment 0
		.amdhsa_system_sgpr_workgroup_id_x 1
		.amdhsa_system_sgpr_workgroup_id_y 0
		.amdhsa_system_sgpr_workgroup_id_z 0
		.amdhsa_system_sgpr_workgroup_info 0
		.amdhsa_system_vgpr_workitem_id 0
		.amdhsa_next_free_vgpr 1
		.amdhsa_next_free_sgpr 1
		.amdhsa_reserve_vcc 0
		.amdhsa_float_round_mode_32 0
		.amdhsa_float_round_mode_16_64 0
		.amdhsa_float_denorm_mode_32 3
		.amdhsa_float_denorm_mode_16_64 3
		.amdhsa_dx10_clamp 1
		.amdhsa_ieee_mode 1
		.amdhsa_fp16_overflow 0
		.amdhsa_workgroup_processor_mode 1
		.amdhsa_memory_ordered 1
		.amdhsa_forward_progress 0
		.amdhsa_shared_vgpr_count 0
		.amdhsa_exception_fp_ieee_invalid_op 0
		.amdhsa_exception_fp_denorm_src 0
		.amdhsa_exception_fp_ieee_div_zero 0
		.amdhsa_exception_fp_ieee_overflow 0
		.amdhsa_exception_fp_ieee_underflow 0
		.amdhsa_exception_fp_ieee_inexact 0
		.amdhsa_exception_int_div_zero 0
	.end_amdhsa_kernel
	.section	.text._ZN7rocprim17ROCPRIM_400000_NS6detail17trampoline_kernelINS0_14default_configENS1_25partition_config_selectorILNS1_17partition_subalgoE9EllbEEZZNS1_14partition_implILS5_9ELb0ES3_jPlS8_PNS0_10empty_typeENS0_5tupleIJS8_S9_EEENSB_IJS8_SA_EEENS0_18inequality_wrapperIZN2at6native12_GLOBAL__N_124unique_dim_cuda_templateImEESt5tupleIJNSF_6TensorESK_SK_EERKSK_lbbbEUlllE0_EEPmJS9_EEE10hipError_tPvRmT3_T4_T5_T6_T7_T9_mT8_P12ihipStream_tbDpT10_ENKUlT_T0_E_clISt17integral_constantIbLb1EES1A_EEDaS15_S16_EUlS15_E_NS1_11comp_targetILNS1_3genE3ELNS1_11target_archE908ELNS1_3gpuE7ELNS1_3repE0EEENS1_30default_config_static_selectorELNS0_4arch9wavefront6targetE0EEEvT1_,"axG",@progbits,_ZN7rocprim17ROCPRIM_400000_NS6detail17trampoline_kernelINS0_14default_configENS1_25partition_config_selectorILNS1_17partition_subalgoE9EllbEEZZNS1_14partition_implILS5_9ELb0ES3_jPlS8_PNS0_10empty_typeENS0_5tupleIJS8_S9_EEENSB_IJS8_SA_EEENS0_18inequality_wrapperIZN2at6native12_GLOBAL__N_124unique_dim_cuda_templateImEESt5tupleIJNSF_6TensorESK_SK_EERKSK_lbbbEUlllE0_EEPmJS9_EEE10hipError_tPvRmT3_T4_T5_T6_T7_T9_mT8_P12ihipStream_tbDpT10_ENKUlT_T0_E_clISt17integral_constantIbLb1EES1A_EEDaS15_S16_EUlS15_E_NS1_11comp_targetILNS1_3genE3ELNS1_11target_archE908ELNS1_3gpuE7ELNS1_3repE0EEENS1_30default_config_static_selectorELNS0_4arch9wavefront6targetE0EEEvT1_,comdat
.Lfunc_end1704:
	.size	_ZN7rocprim17ROCPRIM_400000_NS6detail17trampoline_kernelINS0_14default_configENS1_25partition_config_selectorILNS1_17partition_subalgoE9EllbEEZZNS1_14partition_implILS5_9ELb0ES3_jPlS8_PNS0_10empty_typeENS0_5tupleIJS8_S9_EEENSB_IJS8_SA_EEENS0_18inequality_wrapperIZN2at6native12_GLOBAL__N_124unique_dim_cuda_templateImEESt5tupleIJNSF_6TensorESK_SK_EERKSK_lbbbEUlllE0_EEPmJS9_EEE10hipError_tPvRmT3_T4_T5_T6_T7_T9_mT8_P12ihipStream_tbDpT10_ENKUlT_T0_E_clISt17integral_constantIbLb1EES1A_EEDaS15_S16_EUlS15_E_NS1_11comp_targetILNS1_3genE3ELNS1_11target_archE908ELNS1_3gpuE7ELNS1_3repE0EEENS1_30default_config_static_selectorELNS0_4arch9wavefront6targetE0EEEvT1_, .Lfunc_end1704-_ZN7rocprim17ROCPRIM_400000_NS6detail17trampoline_kernelINS0_14default_configENS1_25partition_config_selectorILNS1_17partition_subalgoE9EllbEEZZNS1_14partition_implILS5_9ELb0ES3_jPlS8_PNS0_10empty_typeENS0_5tupleIJS8_S9_EEENSB_IJS8_SA_EEENS0_18inequality_wrapperIZN2at6native12_GLOBAL__N_124unique_dim_cuda_templateImEESt5tupleIJNSF_6TensorESK_SK_EERKSK_lbbbEUlllE0_EEPmJS9_EEE10hipError_tPvRmT3_T4_T5_T6_T7_T9_mT8_P12ihipStream_tbDpT10_ENKUlT_T0_E_clISt17integral_constantIbLb1EES1A_EEDaS15_S16_EUlS15_E_NS1_11comp_targetILNS1_3genE3ELNS1_11target_archE908ELNS1_3gpuE7ELNS1_3repE0EEENS1_30default_config_static_selectorELNS0_4arch9wavefront6targetE0EEEvT1_
                                        ; -- End function
	.section	.AMDGPU.csdata,"",@progbits
; Kernel info:
; codeLenInByte = 0
; NumSgprs: 0
; NumVgprs: 0
; ScratchSize: 0
; MemoryBound: 0
; FloatMode: 240
; IeeeMode: 1
; LDSByteSize: 0 bytes/workgroup (compile time only)
; SGPRBlocks: 0
; VGPRBlocks: 0
; NumSGPRsForWavesPerEU: 1
; NumVGPRsForWavesPerEU: 1
; Occupancy: 16
; WaveLimiterHint : 0
; COMPUTE_PGM_RSRC2:SCRATCH_EN: 0
; COMPUTE_PGM_RSRC2:USER_SGPR: 15
; COMPUTE_PGM_RSRC2:TRAP_HANDLER: 0
; COMPUTE_PGM_RSRC2:TGID_X_EN: 1
; COMPUTE_PGM_RSRC2:TGID_Y_EN: 0
; COMPUTE_PGM_RSRC2:TGID_Z_EN: 0
; COMPUTE_PGM_RSRC2:TIDIG_COMP_CNT: 0
	.section	.text._ZN7rocprim17ROCPRIM_400000_NS6detail17trampoline_kernelINS0_14default_configENS1_25partition_config_selectorILNS1_17partition_subalgoE9EllbEEZZNS1_14partition_implILS5_9ELb0ES3_jPlS8_PNS0_10empty_typeENS0_5tupleIJS8_S9_EEENSB_IJS8_SA_EEENS0_18inequality_wrapperIZN2at6native12_GLOBAL__N_124unique_dim_cuda_templateImEESt5tupleIJNSF_6TensorESK_SK_EERKSK_lbbbEUlllE0_EEPmJS9_EEE10hipError_tPvRmT3_T4_T5_T6_T7_T9_mT8_P12ihipStream_tbDpT10_ENKUlT_T0_E_clISt17integral_constantIbLb1EES1A_EEDaS15_S16_EUlS15_E_NS1_11comp_targetILNS1_3genE2ELNS1_11target_archE906ELNS1_3gpuE6ELNS1_3repE0EEENS1_30default_config_static_selectorELNS0_4arch9wavefront6targetE0EEEvT1_,"axG",@progbits,_ZN7rocprim17ROCPRIM_400000_NS6detail17trampoline_kernelINS0_14default_configENS1_25partition_config_selectorILNS1_17partition_subalgoE9EllbEEZZNS1_14partition_implILS5_9ELb0ES3_jPlS8_PNS0_10empty_typeENS0_5tupleIJS8_S9_EEENSB_IJS8_SA_EEENS0_18inequality_wrapperIZN2at6native12_GLOBAL__N_124unique_dim_cuda_templateImEESt5tupleIJNSF_6TensorESK_SK_EERKSK_lbbbEUlllE0_EEPmJS9_EEE10hipError_tPvRmT3_T4_T5_T6_T7_T9_mT8_P12ihipStream_tbDpT10_ENKUlT_T0_E_clISt17integral_constantIbLb1EES1A_EEDaS15_S16_EUlS15_E_NS1_11comp_targetILNS1_3genE2ELNS1_11target_archE906ELNS1_3gpuE6ELNS1_3repE0EEENS1_30default_config_static_selectorELNS0_4arch9wavefront6targetE0EEEvT1_,comdat
	.globl	_ZN7rocprim17ROCPRIM_400000_NS6detail17trampoline_kernelINS0_14default_configENS1_25partition_config_selectorILNS1_17partition_subalgoE9EllbEEZZNS1_14partition_implILS5_9ELb0ES3_jPlS8_PNS0_10empty_typeENS0_5tupleIJS8_S9_EEENSB_IJS8_SA_EEENS0_18inequality_wrapperIZN2at6native12_GLOBAL__N_124unique_dim_cuda_templateImEESt5tupleIJNSF_6TensorESK_SK_EERKSK_lbbbEUlllE0_EEPmJS9_EEE10hipError_tPvRmT3_T4_T5_T6_T7_T9_mT8_P12ihipStream_tbDpT10_ENKUlT_T0_E_clISt17integral_constantIbLb1EES1A_EEDaS15_S16_EUlS15_E_NS1_11comp_targetILNS1_3genE2ELNS1_11target_archE906ELNS1_3gpuE6ELNS1_3repE0EEENS1_30default_config_static_selectorELNS0_4arch9wavefront6targetE0EEEvT1_ ; -- Begin function _ZN7rocprim17ROCPRIM_400000_NS6detail17trampoline_kernelINS0_14default_configENS1_25partition_config_selectorILNS1_17partition_subalgoE9EllbEEZZNS1_14partition_implILS5_9ELb0ES3_jPlS8_PNS0_10empty_typeENS0_5tupleIJS8_S9_EEENSB_IJS8_SA_EEENS0_18inequality_wrapperIZN2at6native12_GLOBAL__N_124unique_dim_cuda_templateImEESt5tupleIJNSF_6TensorESK_SK_EERKSK_lbbbEUlllE0_EEPmJS9_EEE10hipError_tPvRmT3_T4_T5_T6_T7_T9_mT8_P12ihipStream_tbDpT10_ENKUlT_T0_E_clISt17integral_constantIbLb1EES1A_EEDaS15_S16_EUlS15_E_NS1_11comp_targetILNS1_3genE2ELNS1_11target_archE906ELNS1_3gpuE6ELNS1_3repE0EEENS1_30default_config_static_selectorELNS0_4arch9wavefront6targetE0EEEvT1_
	.p2align	8
	.type	_ZN7rocprim17ROCPRIM_400000_NS6detail17trampoline_kernelINS0_14default_configENS1_25partition_config_selectorILNS1_17partition_subalgoE9EllbEEZZNS1_14partition_implILS5_9ELb0ES3_jPlS8_PNS0_10empty_typeENS0_5tupleIJS8_S9_EEENSB_IJS8_SA_EEENS0_18inequality_wrapperIZN2at6native12_GLOBAL__N_124unique_dim_cuda_templateImEESt5tupleIJNSF_6TensorESK_SK_EERKSK_lbbbEUlllE0_EEPmJS9_EEE10hipError_tPvRmT3_T4_T5_T6_T7_T9_mT8_P12ihipStream_tbDpT10_ENKUlT_T0_E_clISt17integral_constantIbLb1EES1A_EEDaS15_S16_EUlS15_E_NS1_11comp_targetILNS1_3genE2ELNS1_11target_archE906ELNS1_3gpuE6ELNS1_3repE0EEENS1_30default_config_static_selectorELNS0_4arch9wavefront6targetE0EEEvT1_,@function
_ZN7rocprim17ROCPRIM_400000_NS6detail17trampoline_kernelINS0_14default_configENS1_25partition_config_selectorILNS1_17partition_subalgoE9EllbEEZZNS1_14partition_implILS5_9ELb0ES3_jPlS8_PNS0_10empty_typeENS0_5tupleIJS8_S9_EEENSB_IJS8_SA_EEENS0_18inequality_wrapperIZN2at6native12_GLOBAL__N_124unique_dim_cuda_templateImEESt5tupleIJNSF_6TensorESK_SK_EERKSK_lbbbEUlllE0_EEPmJS9_EEE10hipError_tPvRmT3_T4_T5_T6_T7_T9_mT8_P12ihipStream_tbDpT10_ENKUlT_T0_E_clISt17integral_constantIbLb1EES1A_EEDaS15_S16_EUlS15_E_NS1_11comp_targetILNS1_3genE2ELNS1_11target_archE906ELNS1_3gpuE6ELNS1_3repE0EEENS1_30default_config_static_selectorELNS0_4arch9wavefront6targetE0EEEvT1_: ; @_ZN7rocprim17ROCPRIM_400000_NS6detail17trampoline_kernelINS0_14default_configENS1_25partition_config_selectorILNS1_17partition_subalgoE9EllbEEZZNS1_14partition_implILS5_9ELb0ES3_jPlS8_PNS0_10empty_typeENS0_5tupleIJS8_S9_EEENSB_IJS8_SA_EEENS0_18inequality_wrapperIZN2at6native12_GLOBAL__N_124unique_dim_cuda_templateImEESt5tupleIJNSF_6TensorESK_SK_EERKSK_lbbbEUlllE0_EEPmJS9_EEE10hipError_tPvRmT3_T4_T5_T6_T7_T9_mT8_P12ihipStream_tbDpT10_ENKUlT_T0_E_clISt17integral_constantIbLb1EES1A_EEDaS15_S16_EUlS15_E_NS1_11comp_targetILNS1_3genE2ELNS1_11target_archE906ELNS1_3gpuE6ELNS1_3repE0EEENS1_30default_config_static_selectorELNS0_4arch9wavefront6targetE0EEEvT1_
; %bb.0:
	.section	.rodata,"a",@progbits
	.p2align	6, 0x0
	.amdhsa_kernel _ZN7rocprim17ROCPRIM_400000_NS6detail17trampoline_kernelINS0_14default_configENS1_25partition_config_selectorILNS1_17partition_subalgoE9EllbEEZZNS1_14partition_implILS5_9ELb0ES3_jPlS8_PNS0_10empty_typeENS0_5tupleIJS8_S9_EEENSB_IJS8_SA_EEENS0_18inequality_wrapperIZN2at6native12_GLOBAL__N_124unique_dim_cuda_templateImEESt5tupleIJNSF_6TensorESK_SK_EERKSK_lbbbEUlllE0_EEPmJS9_EEE10hipError_tPvRmT3_T4_T5_T6_T7_T9_mT8_P12ihipStream_tbDpT10_ENKUlT_T0_E_clISt17integral_constantIbLb1EES1A_EEDaS15_S16_EUlS15_E_NS1_11comp_targetILNS1_3genE2ELNS1_11target_archE906ELNS1_3gpuE6ELNS1_3repE0EEENS1_30default_config_static_selectorELNS0_4arch9wavefront6targetE0EEEvT1_
		.amdhsa_group_segment_fixed_size 0
		.amdhsa_private_segment_fixed_size 0
		.amdhsa_kernarg_size 136
		.amdhsa_user_sgpr_count 15
		.amdhsa_user_sgpr_dispatch_ptr 0
		.amdhsa_user_sgpr_queue_ptr 0
		.amdhsa_user_sgpr_kernarg_segment_ptr 1
		.amdhsa_user_sgpr_dispatch_id 0
		.amdhsa_user_sgpr_private_segment_size 0
		.amdhsa_wavefront_size32 1
		.amdhsa_uses_dynamic_stack 0
		.amdhsa_enable_private_segment 0
		.amdhsa_system_sgpr_workgroup_id_x 1
		.amdhsa_system_sgpr_workgroup_id_y 0
		.amdhsa_system_sgpr_workgroup_id_z 0
		.amdhsa_system_sgpr_workgroup_info 0
		.amdhsa_system_vgpr_workitem_id 0
		.amdhsa_next_free_vgpr 1
		.amdhsa_next_free_sgpr 1
		.amdhsa_reserve_vcc 0
		.amdhsa_float_round_mode_32 0
		.amdhsa_float_round_mode_16_64 0
		.amdhsa_float_denorm_mode_32 3
		.amdhsa_float_denorm_mode_16_64 3
		.amdhsa_dx10_clamp 1
		.amdhsa_ieee_mode 1
		.amdhsa_fp16_overflow 0
		.amdhsa_workgroup_processor_mode 1
		.amdhsa_memory_ordered 1
		.amdhsa_forward_progress 0
		.amdhsa_shared_vgpr_count 0
		.amdhsa_exception_fp_ieee_invalid_op 0
		.amdhsa_exception_fp_denorm_src 0
		.amdhsa_exception_fp_ieee_div_zero 0
		.amdhsa_exception_fp_ieee_overflow 0
		.amdhsa_exception_fp_ieee_underflow 0
		.amdhsa_exception_fp_ieee_inexact 0
		.amdhsa_exception_int_div_zero 0
	.end_amdhsa_kernel
	.section	.text._ZN7rocprim17ROCPRIM_400000_NS6detail17trampoline_kernelINS0_14default_configENS1_25partition_config_selectorILNS1_17partition_subalgoE9EllbEEZZNS1_14partition_implILS5_9ELb0ES3_jPlS8_PNS0_10empty_typeENS0_5tupleIJS8_S9_EEENSB_IJS8_SA_EEENS0_18inequality_wrapperIZN2at6native12_GLOBAL__N_124unique_dim_cuda_templateImEESt5tupleIJNSF_6TensorESK_SK_EERKSK_lbbbEUlllE0_EEPmJS9_EEE10hipError_tPvRmT3_T4_T5_T6_T7_T9_mT8_P12ihipStream_tbDpT10_ENKUlT_T0_E_clISt17integral_constantIbLb1EES1A_EEDaS15_S16_EUlS15_E_NS1_11comp_targetILNS1_3genE2ELNS1_11target_archE906ELNS1_3gpuE6ELNS1_3repE0EEENS1_30default_config_static_selectorELNS0_4arch9wavefront6targetE0EEEvT1_,"axG",@progbits,_ZN7rocprim17ROCPRIM_400000_NS6detail17trampoline_kernelINS0_14default_configENS1_25partition_config_selectorILNS1_17partition_subalgoE9EllbEEZZNS1_14partition_implILS5_9ELb0ES3_jPlS8_PNS0_10empty_typeENS0_5tupleIJS8_S9_EEENSB_IJS8_SA_EEENS0_18inequality_wrapperIZN2at6native12_GLOBAL__N_124unique_dim_cuda_templateImEESt5tupleIJNSF_6TensorESK_SK_EERKSK_lbbbEUlllE0_EEPmJS9_EEE10hipError_tPvRmT3_T4_T5_T6_T7_T9_mT8_P12ihipStream_tbDpT10_ENKUlT_T0_E_clISt17integral_constantIbLb1EES1A_EEDaS15_S16_EUlS15_E_NS1_11comp_targetILNS1_3genE2ELNS1_11target_archE906ELNS1_3gpuE6ELNS1_3repE0EEENS1_30default_config_static_selectorELNS0_4arch9wavefront6targetE0EEEvT1_,comdat
.Lfunc_end1705:
	.size	_ZN7rocprim17ROCPRIM_400000_NS6detail17trampoline_kernelINS0_14default_configENS1_25partition_config_selectorILNS1_17partition_subalgoE9EllbEEZZNS1_14partition_implILS5_9ELb0ES3_jPlS8_PNS0_10empty_typeENS0_5tupleIJS8_S9_EEENSB_IJS8_SA_EEENS0_18inequality_wrapperIZN2at6native12_GLOBAL__N_124unique_dim_cuda_templateImEESt5tupleIJNSF_6TensorESK_SK_EERKSK_lbbbEUlllE0_EEPmJS9_EEE10hipError_tPvRmT3_T4_T5_T6_T7_T9_mT8_P12ihipStream_tbDpT10_ENKUlT_T0_E_clISt17integral_constantIbLb1EES1A_EEDaS15_S16_EUlS15_E_NS1_11comp_targetILNS1_3genE2ELNS1_11target_archE906ELNS1_3gpuE6ELNS1_3repE0EEENS1_30default_config_static_selectorELNS0_4arch9wavefront6targetE0EEEvT1_, .Lfunc_end1705-_ZN7rocprim17ROCPRIM_400000_NS6detail17trampoline_kernelINS0_14default_configENS1_25partition_config_selectorILNS1_17partition_subalgoE9EllbEEZZNS1_14partition_implILS5_9ELb0ES3_jPlS8_PNS0_10empty_typeENS0_5tupleIJS8_S9_EEENSB_IJS8_SA_EEENS0_18inequality_wrapperIZN2at6native12_GLOBAL__N_124unique_dim_cuda_templateImEESt5tupleIJNSF_6TensorESK_SK_EERKSK_lbbbEUlllE0_EEPmJS9_EEE10hipError_tPvRmT3_T4_T5_T6_T7_T9_mT8_P12ihipStream_tbDpT10_ENKUlT_T0_E_clISt17integral_constantIbLb1EES1A_EEDaS15_S16_EUlS15_E_NS1_11comp_targetILNS1_3genE2ELNS1_11target_archE906ELNS1_3gpuE6ELNS1_3repE0EEENS1_30default_config_static_selectorELNS0_4arch9wavefront6targetE0EEEvT1_
                                        ; -- End function
	.section	.AMDGPU.csdata,"",@progbits
; Kernel info:
; codeLenInByte = 0
; NumSgprs: 0
; NumVgprs: 0
; ScratchSize: 0
; MemoryBound: 0
; FloatMode: 240
; IeeeMode: 1
; LDSByteSize: 0 bytes/workgroup (compile time only)
; SGPRBlocks: 0
; VGPRBlocks: 0
; NumSGPRsForWavesPerEU: 1
; NumVGPRsForWavesPerEU: 1
; Occupancy: 15
; WaveLimiterHint : 0
; COMPUTE_PGM_RSRC2:SCRATCH_EN: 0
; COMPUTE_PGM_RSRC2:USER_SGPR: 15
; COMPUTE_PGM_RSRC2:TRAP_HANDLER: 0
; COMPUTE_PGM_RSRC2:TGID_X_EN: 1
; COMPUTE_PGM_RSRC2:TGID_Y_EN: 0
; COMPUTE_PGM_RSRC2:TGID_Z_EN: 0
; COMPUTE_PGM_RSRC2:TIDIG_COMP_CNT: 0
	.section	.text._ZN7rocprim17ROCPRIM_400000_NS6detail17trampoline_kernelINS0_14default_configENS1_25partition_config_selectorILNS1_17partition_subalgoE9EllbEEZZNS1_14partition_implILS5_9ELb0ES3_jPlS8_PNS0_10empty_typeENS0_5tupleIJS8_S9_EEENSB_IJS8_SA_EEENS0_18inequality_wrapperIZN2at6native12_GLOBAL__N_124unique_dim_cuda_templateImEESt5tupleIJNSF_6TensorESK_SK_EERKSK_lbbbEUlllE0_EEPmJS9_EEE10hipError_tPvRmT3_T4_T5_T6_T7_T9_mT8_P12ihipStream_tbDpT10_ENKUlT_T0_E_clISt17integral_constantIbLb1EES1A_EEDaS15_S16_EUlS15_E_NS1_11comp_targetILNS1_3genE10ELNS1_11target_archE1200ELNS1_3gpuE4ELNS1_3repE0EEENS1_30default_config_static_selectorELNS0_4arch9wavefront6targetE0EEEvT1_,"axG",@progbits,_ZN7rocprim17ROCPRIM_400000_NS6detail17trampoline_kernelINS0_14default_configENS1_25partition_config_selectorILNS1_17partition_subalgoE9EllbEEZZNS1_14partition_implILS5_9ELb0ES3_jPlS8_PNS0_10empty_typeENS0_5tupleIJS8_S9_EEENSB_IJS8_SA_EEENS0_18inequality_wrapperIZN2at6native12_GLOBAL__N_124unique_dim_cuda_templateImEESt5tupleIJNSF_6TensorESK_SK_EERKSK_lbbbEUlllE0_EEPmJS9_EEE10hipError_tPvRmT3_T4_T5_T6_T7_T9_mT8_P12ihipStream_tbDpT10_ENKUlT_T0_E_clISt17integral_constantIbLb1EES1A_EEDaS15_S16_EUlS15_E_NS1_11comp_targetILNS1_3genE10ELNS1_11target_archE1200ELNS1_3gpuE4ELNS1_3repE0EEENS1_30default_config_static_selectorELNS0_4arch9wavefront6targetE0EEEvT1_,comdat
	.globl	_ZN7rocprim17ROCPRIM_400000_NS6detail17trampoline_kernelINS0_14default_configENS1_25partition_config_selectorILNS1_17partition_subalgoE9EllbEEZZNS1_14partition_implILS5_9ELb0ES3_jPlS8_PNS0_10empty_typeENS0_5tupleIJS8_S9_EEENSB_IJS8_SA_EEENS0_18inequality_wrapperIZN2at6native12_GLOBAL__N_124unique_dim_cuda_templateImEESt5tupleIJNSF_6TensorESK_SK_EERKSK_lbbbEUlllE0_EEPmJS9_EEE10hipError_tPvRmT3_T4_T5_T6_T7_T9_mT8_P12ihipStream_tbDpT10_ENKUlT_T0_E_clISt17integral_constantIbLb1EES1A_EEDaS15_S16_EUlS15_E_NS1_11comp_targetILNS1_3genE10ELNS1_11target_archE1200ELNS1_3gpuE4ELNS1_3repE0EEENS1_30default_config_static_selectorELNS0_4arch9wavefront6targetE0EEEvT1_ ; -- Begin function _ZN7rocprim17ROCPRIM_400000_NS6detail17trampoline_kernelINS0_14default_configENS1_25partition_config_selectorILNS1_17partition_subalgoE9EllbEEZZNS1_14partition_implILS5_9ELb0ES3_jPlS8_PNS0_10empty_typeENS0_5tupleIJS8_S9_EEENSB_IJS8_SA_EEENS0_18inequality_wrapperIZN2at6native12_GLOBAL__N_124unique_dim_cuda_templateImEESt5tupleIJNSF_6TensorESK_SK_EERKSK_lbbbEUlllE0_EEPmJS9_EEE10hipError_tPvRmT3_T4_T5_T6_T7_T9_mT8_P12ihipStream_tbDpT10_ENKUlT_T0_E_clISt17integral_constantIbLb1EES1A_EEDaS15_S16_EUlS15_E_NS1_11comp_targetILNS1_3genE10ELNS1_11target_archE1200ELNS1_3gpuE4ELNS1_3repE0EEENS1_30default_config_static_selectorELNS0_4arch9wavefront6targetE0EEEvT1_
	.p2align	8
	.type	_ZN7rocprim17ROCPRIM_400000_NS6detail17trampoline_kernelINS0_14default_configENS1_25partition_config_selectorILNS1_17partition_subalgoE9EllbEEZZNS1_14partition_implILS5_9ELb0ES3_jPlS8_PNS0_10empty_typeENS0_5tupleIJS8_S9_EEENSB_IJS8_SA_EEENS0_18inequality_wrapperIZN2at6native12_GLOBAL__N_124unique_dim_cuda_templateImEESt5tupleIJNSF_6TensorESK_SK_EERKSK_lbbbEUlllE0_EEPmJS9_EEE10hipError_tPvRmT3_T4_T5_T6_T7_T9_mT8_P12ihipStream_tbDpT10_ENKUlT_T0_E_clISt17integral_constantIbLb1EES1A_EEDaS15_S16_EUlS15_E_NS1_11comp_targetILNS1_3genE10ELNS1_11target_archE1200ELNS1_3gpuE4ELNS1_3repE0EEENS1_30default_config_static_selectorELNS0_4arch9wavefront6targetE0EEEvT1_,@function
_ZN7rocprim17ROCPRIM_400000_NS6detail17trampoline_kernelINS0_14default_configENS1_25partition_config_selectorILNS1_17partition_subalgoE9EllbEEZZNS1_14partition_implILS5_9ELb0ES3_jPlS8_PNS0_10empty_typeENS0_5tupleIJS8_S9_EEENSB_IJS8_SA_EEENS0_18inequality_wrapperIZN2at6native12_GLOBAL__N_124unique_dim_cuda_templateImEESt5tupleIJNSF_6TensorESK_SK_EERKSK_lbbbEUlllE0_EEPmJS9_EEE10hipError_tPvRmT3_T4_T5_T6_T7_T9_mT8_P12ihipStream_tbDpT10_ENKUlT_T0_E_clISt17integral_constantIbLb1EES1A_EEDaS15_S16_EUlS15_E_NS1_11comp_targetILNS1_3genE10ELNS1_11target_archE1200ELNS1_3gpuE4ELNS1_3repE0EEENS1_30default_config_static_selectorELNS0_4arch9wavefront6targetE0EEEvT1_: ; @_ZN7rocprim17ROCPRIM_400000_NS6detail17trampoline_kernelINS0_14default_configENS1_25partition_config_selectorILNS1_17partition_subalgoE9EllbEEZZNS1_14partition_implILS5_9ELb0ES3_jPlS8_PNS0_10empty_typeENS0_5tupleIJS8_S9_EEENSB_IJS8_SA_EEENS0_18inequality_wrapperIZN2at6native12_GLOBAL__N_124unique_dim_cuda_templateImEESt5tupleIJNSF_6TensorESK_SK_EERKSK_lbbbEUlllE0_EEPmJS9_EEE10hipError_tPvRmT3_T4_T5_T6_T7_T9_mT8_P12ihipStream_tbDpT10_ENKUlT_T0_E_clISt17integral_constantIbLb1EES1A_EEDaS15_S16_EUlS15_E_NS1_11comp_targetILNS1_3genE10ELNS1_11target_archE1200ELNS1_3gpuE4ELNS1_3repE0EEENS1_30default_config_static_selectorELNS0_4arch9wavefront6targetE0EEEvT1_
; %bb.0:
	.section	.rodata,"a",@progbits
	.p2align	6, 0x0
	.amdhsa_kernel _ZN7rocprim17ROCPRIM_400000_NS6detail17trampoline_kernelINS0_14default_configENS1_25partition_config_selectorILNS1_17partition_subalgoE9EllbEEZZNS1_14partition_implILS5_9ELb0ES3_jPlS8_PNS0_10empty_typeENS0_5tupleIJS8_S9_EEENSB_IJS8_SA_EEENS0_18inequality_wrapperIZN2at6native12_GLOBAL__N_124unique_dim_cuda_templateImEESt5tupleIJNSF_6TensorESK_SK_EERKSK_lbbbEUlllE0_EEPmJS9_EEE10hipError_tPvRmT3_T4_T5_T6_T7_T9_mT8_P12ihipStream_tbDpT10_ENKUlT_T0_E_clISt17integral_constantIbLb1EES1A_EEDaS15_S16_EUlS15_E_NS1_11comp_targetILNS1_3genE10ELNS1_11target_archE1200ELNS1_3gpuE4ELNS1_3repE0EEENS1_30default_config_static_selectorELNS0_4arch9wavefront6targetE0EEEvT1_
		.amdhsa_group_segment_fixed_size 0
		.amdhsa_private_segment_fixed_size 0
		.amdhsa_kernarg_size 136
		.amdhsa_user_sgpr_count 15
		.amdhsa_user_sgpr_dispatch_ptr 0
		.amdhsa_user_sgpr_queue_ptr 0
		.amdhsa_user_sgpr_kernarg_segment_ptr 1
		.amdhsa_user_sgpr_dispatch_id 0
		.amdhsa_user_sgpr_private_segment_size 0
		.amdhsa_wavefront_size32 1
		.amdhsa_uses_dynamic_stack 0
		.amdhsa_enable_private_segment 0
		.amdhsa_system_sgpr_workgroup_id_x 1
		.amdhsa_system_sgpr_workgroup_id_y 0
		.amdhsa_system_sgpr_workgroup_id_z 0
		.amdhsa_system_sgpr_workgroup_info 0
		.amdhsa_system_vgpr_workitem_id 0
		.amdhsa_next_free_vgpr 1
		.amdhsa_next_free_sgpr 1
		.amdhsa_reserve_vcc 0
		.amdhsa_float_round_mode_32 0
		.amdhsa_float_round_mode_16_64 0
		.amdhsa_float_denorm_mode_32 3
		.amdhsa_float_denorm_mode_16_64 3
		.amdhsa_dx10_clamp 1
		.amdhsa_ieee_mode 1
		.amdhsa_fp16_overflow 0
		.amdhsa_workgroup_processor_mode 1
		.amdhsa_memory_ordered 1
		.amdhsa_forward_progress 0
		.amdhsa_shared_vgpr_count 0
		.amdhsa_exception_fp_ieee_invalid_op 0
		.amdhsa_exception_fp_denorm_src 0
		.amdhsa_exception_fp_ieee_div_zero 0
		.amdhsa_exception_fp_ieee_overflow 0
		.amdhsa_exception_fp_ieee_underflow 0
		.amdhsa_exception_fp_ieee_inexact 0
		.amdhsa_exception_int_div_zero 0
	.end_amdhsa_kernel
	.section	.text._ZN7rocprim17ROCPRIM_400000_NS6detail17trampoline_kernelINS0_14default_configENS1_25partition_config_selectorILNS1_17partition_subalgoE9EllbEEZZNS1_14partition_implILS5_9ELb0ES3_jPlS8_PNS0_10empty_typeENS0_5tupleIJS8_S9_EEENSB_IJS8_SA_EEENS0_18inequality_wrapperIZN2at6native12_GLOBAL__N_124unique_dim_cuda_templateImEESt5tupleIJNSF_6TensorESK_SK_EERKSK_lbbbEUlllE0_EEPmJS9_EEE10hipError_tPvRmT3_T4_T5_T6_T7_T9_mT8_P12ihipStream_tbDpT10_ENKUlT_T0_E_clISt17integral_constantIbLb1EES1A_EEDaS15_S16_EUlS15_E_NS1_11comp_targetILNS1_3genE10ELNS1_11target_archE1200ELNS1_3gpuE4ELNS1_3repE0EEENS1_30default_config_static_selectorELNS0_4arch9wavefront6targetE0EEEvT1_,"axG",@progbits,_ZN7rocprim17ROCPRIM_400000_NS6detail17trampoline_kernelINS0_14default_configENS1_25partition_config_selectorILNS1_17partition_subalgoE9EllbEEZZNS1_14partition_implILS5_9ELb0ES3_jPlS8_PNS0_10empty_typeENS0_5tupleIJS8_S9_EEENSB_IJS8_SA_EEENS0_18inequality_wrapperIZN2at6native12_GLOBAL__N_124unique_dim_cuda_templateImEESt5tupleIJNSF_6TensorESK_SK_EERKSK_lbbbEUlllE0_EEPmJS9_EEE10hipError_tPvRmT3_T4_T5_T6_T7_T9_mT8_P12ihipStream_tbDpT10_ENKUlT_T0_E_clISt17integral_constantIbLb1EES1A_EEDaS15_S16_EUlS15_E_NS1_11comp_targetILNS1_3genE10ELNS1_11target_archE1200ELNS1_3gpuE4ELNS1_3repE0EEENS1_30default_config_static_selectorELNS0_4arch9wavefront6targetE0EEEvT1_,comdat
.Lfunc_end1706:
	.size	_ZN7rocprim17ROCPRIM_400000_NS6detail17trampoline_kernelINS0_14default_configENS1_25partition_config_selectorILNS1_17partition_subalgoE9EllbEEZZNS1_14partition_implILS5_9ELb0ES3_jPlS8_PNS0_10empty_typeENS0_5tupleIJS8_S9_EEENSB_IJS8_SA_EEENS0_18inequality_wrapperIZN2at6native12_GLOBAL__N_124unique_dim_cuda_templateImEESt5tupleIJNSF_6TensorESK_SK_EERKSK_lbbbEUlllE0_EEPmJS9_EEE10hipError_tPvRmT3_T4_T5_T6_T7_T9_mT8_P12ihipStream_tbDpT10_ENKUlT_T0_E_clISt17integral_constantIbLb1EES1A_EEDaS15_S16_EUlS15_E_NS1_11comp_targetILNS1_3genE10ELNS1_11target_archE1200ELNS1_3gpuE4ELNS1_3repE0EEENS1_30default_config_static_selectorELNS0_4arch9wavefront6targetE0EEEvT1_, .Lfunc_end1706-_ZN7rocprim17ROCPRIM_400000_NS6detail17trampoline_kernelINS0_14default_configENS1_25partition_config_selectorILNS1_17partition_subalgoE9EllbEEZZNS1_14partition_implILS5_9ELb0ES3_jPlS8_PNS0_10empty_typeENS0_5tupleIJS8_S9_EEENSB_IJS8_SA_EEENS0_18inequality_wrapperIZN2at6native12_GLOBAL__N_124unique_dim_cuda_templateImEESt5tupleIJNSF_6TensorESK_SK_EERKSK_lbbbEUlllE0_EEPmJS9_EEE10hipError_tPvRmT3_T4_T5_T6_T7_T9_mT8_P12ihipStream_tbDpT10_ENKUlT_T0_E_clISt17integral_constantIbLb1EES1A_EEDaS15_S16_EUlS15_E_NS1_11comp_targetILNS1_3genE10ELNS1_11target_archE1200ELNS1_3gpuE4ELNS1_3repE0EEENS1_30default_config_static_selectorELNS0_4arch9wavefront6targetE0EEEvT1_
                                        ; -- End function
	.section	.AMDGPU.csdata,"",@progbits
; Kernel info:
; codeLenInByte = 0
; NumSgprs: 0
; NumVgprs: 0
; ScratchSize: 0
; MemoryBound: 0
; FloatMode: 240
; IeeeMode: 1
; LDSByteSize: 0 bytes/workgroup (compile time only)
; SGPRBlocks: 0
; VGPRBlocks: 0
; NumSGPRsForWavesPerEU: 1
; NumVGPRsForWavesPerEU: 1
; Occupancy: 15
; WaveLimiterHint : 0
; COMPUTE_PGM_RSRC2:SCRATCH_EN: 0
; COMPUTE_PGM_RSRC2:USER_SGPR: 15
; COMPUTE_PGM_RSRC2:TRAP_HANDLER: 0
; COMPUTE_PGM_RSRC2:TGID_X_EN: 1
; COMPUTE_PGM_RSRC2:TGID_Y_EN: 0
; COMPUTE_PGM_RSRC2:TGID_Z_EN: 0
; COMPUTE_PGM_RSRC2:TIDIG_COMP_CNT: 0
	.section	.text._ZN7rocprim17ROCPRIM_400000_NS6detail17trampoline_kernelINS0_14default_configENS1_25partition_config_selectorILNS1_17partition_subalgoE9EllbEEZZNS1_14partition_implILS5_9ELb0ES3_jPlS8_PNS0_10empty_typeENS0_5tupleIJS8_S9_EEENSB_IJS8_SA_EEENS0_18inequality_wrapperIZN2at6native12_GLOBAL__N_124unique_dim_cuda_templateImEESt5tupleIJNSF_6TensorESK_SK_EERKSK_lbbbEUlllE0_EEPmJS9_EEE10hipError_tPvRmT3_T4_T5_T6_T7_T9_mT8_P12ihipStream_tbDpT10_ENKUlT_T0_E_clISt17integral_constantIbLb1EES1A_EEDaS15_S16_EUlS15_E_NS1_11comp_targetILNS1_3genE9ELNS1_11target_archE1100ELNS1_3gpuE3ELNS1_3repE0EEENS1_30default_config_static_selectorELNS0_4arch9wavefront6targetE0EEEvT1_,"axG",@progbits,_ZN7rocprim17ROCPRIM_400000_NS6detail17trampoline_kernelINS0_14default_configENS1_25partition_config_selectorILNS1_17partition_subalgoE9EllbEEZZNS1_14partition_implILS5_9ELb0ES3_jPlS8_PNS0_10empty_typeENS0_5tupleIJS8_S9_EEENSB_IJS8_SA_EEENS0_18inequality_wrapperIZN2at6native12_GLOBAL__N_124unique_dim_cuda_templateImEESt5tupleIJNSF_6TensorESK_SK_EERKSK_lbbbEUlllE0_EEPmJS9_EEE10hipError_tPvRmT3_T4_T5_T6_T7_T9_mT8_P12ihipStream_tbDpT10_ENKUlT_T0_E_clISt17integral_constantIbLb1EES1A_EEDaS15_S16_EUlS15_E_NS1_11comp_targetILNS1_3genE9ELNS1_11target_archE1100ELNS1_3gpuE3ELNS1_3repE0EEENS1_30default_config_static_selectorELNS0_4arch9wavefront6targetE0EEEvT1_,comdat
	.globl	_ZN7rocprim17ROCPRIM_400000_NS6detail17trampoline_kernelINS0_14default_configENS1_25partition_config_selectorILNS1_17partition_subalgoE9EllbEEZZNS1_14partition_implILS5_9ELb0ES3_jPlS8_PNS0_10empty_typeENS0_5tupleIJS8_S9_EEENSB_IJS8_SA_EEENS0_18inequality_wrapperIZN2at6native12_GLOBAL__N_124unique_dim_cuda_templateImEESt5tupleIJNSF_6TensorESK_SK_EERKSK_lbbbEUlllE0_EEPmJS9_EEE10hipError_tPvRmT3_T4_T5_T6_T7_T9_mT8_P12ihipStream_tbDpT10_ENKUlT_T0_E_clISt17integral_constantIbLb1EES1A_EEDaS15_S16_EUlS15_E_NS1_11comp_targetILNS1_3genE9ELNS1_11target_archE1100ELNS1_3gpuE3ELNS1_3repE0EEENS1_30default_config_static_selectorELNS0_4arch9wavefront6targetE0EEEvT1_ ; -- Begin function _ZN7rocprim17ROCPRIM_400000_NS6detail17trampoline_kernelINS0_14default_configENS1_25partition_config_selectorILNS1_17partition_subalgoE9EllbEEZZNS1_14partition_implILS5_9ELb0ES3_jPlS8_PNS0_10empty_typeENS0_5tupleIJS8_S9_EEENSB_IJS8_SA_EEENS0_18inequality_wrapperIZN2at6native12_GLOBAL__N_124unique_dim_cuda_templateImEESt5tupleIJNSF_6TensorESK_SK_EERKSK_lbbbEUlllE0_EEPmJS9_EEE10hipError_tPvRmT3_T4_T5_T6_T7_T9_mT8_P12ihipStream_tbDpT10_ENKUlT_T0_E_clISt17integral_constantIbLb1EES1A_EEDaS15_S16_EUlS15_E_NS1_11comp_targetILNS1_3genE9ELNS1_11target_archE1100ELNS1_3gpuE3ELNS1_3repE0EEENS1_30default_config_static_selectorELNS0_4arch9wavefront6targetE0EEEvT1_
	.p2align	8
	.type	_ZN7rocprim17ROCPRIM_400000_NS6detail17trampoline_kernelINS0_14default_configENS1_25partition_config_selectorILNS1_17partition_subalgoE9EllbEEZZNS1_14partition_implILS5_9ELb0ES3_jPlS8_PNS0_10empty_typeENS0_5tupleIJS8_S9_EEENSB_IJS8_SA_EEENS0_18inequality_wrapperIZN2at6native12_GLOBAL__N_124unique_dim_cuda_templateImEESt5tupleIJNSF_6TensorESK_SK_EERKSK_lbbbEUlllE0_EEPmJS9_EEE10hipError_tPvRmT3_T4_T5_T6_T7_T9_mT8_P12ihipStream_tbDpT10_ENKUlT_T0_E_clISt17integral_constantIbLb1EES1A_EEDaS15_S16_EUlS15_E_NS1_11comp_targetILNS1_3genE9ELNS1_11target_archE1100ELNS1_3gpuE3ELNS1_3repE0EEENS1_30default_config_static_selectorELNS0_4arch9wavefront6targetE0EEEvT1_,@function
_ZN7rocprim17ROCPRIM_400000_NS6detail17trampoline_kernelINS0_14default_configENS1_25partition_config_selectorILNS1_17partition_subalgoE9EllbEEZZNS1_14partition_implILS5_9ELb0ES3_jPlS8_PNS0_10empty_typeENS0_5tupleIJS8_S9_EEENSB_IJS8_SA_EEENS0_18inequality_wrapperIZN2at6native12_GLOBAL__N_124unique_dim_cuda_templateImEESt5tupleIJNSF_6TensorESK_SK_EERKSK_lbbbEUlllE0_EEPmJS9_EEE10hipError_tPvRmT3_T4_T5_T6_T7_T9_mT8_P12ihipStream_tbDpT10_ENKUlT_T0_E_clISt17integral_constantIbLb1EES1A_EEDaS15_S16_EUlS15_E_NS1_11comp_targetILNS1_3genE9ELNS1_11target_archE1100ELNS1_3gpuE3ELNS1_3repE0EEENS1_30default_config_static_selectorELNS0_4arch9wavefront6targetE0EEEvT1_: ; @_ZN7rocprim17ROCPRIM_400000_NS6detail17trampoline_kernelINS0_14default_configENS1_25partition_config_selectorILNS1_17partition_subalgoE9EllbEEZZNS1_14partition_implILS5_9ELb0ES3_jPlS8_PNS0_10empty_typeENS0_5tupleIJS8_S9_EEENSB_IJS8_SA_EEENS0_18inequality_wrapperIZN2at6native12_GLOBAL__N_124unique_dim_cuda_templateImEESt5tupleIJNSF_6TensorESK_SK_EERKSK_lbbbEUlllE0_EEPmJS9_EEE10hipError_tPvRmT3_T4_T5_T6_T7_T9_mT8_P12ihipStream_tbDpT10_ENKUlT_T0_E_clISt17integral_constantIbLb1EES1A_EEDaS15_S16_EUlS15_E_NS1_11comp_targetILNS1_3genE9ELNS1_11target_archE1100ELNS1_3gpuE3ELNS1_3repE0EEENS1_30default_config_static_selectorELNS0_4arch9wavefront6targetE0EEEvT1_
; %bb.0:
	s_clause 0x3
	s_load_b128 s[4:7], s[0:1], 0x8
	s_load_b64 s[24:25], s[0:1], 0x18
	s_load_b256 s[8:15], s[0:1], 0x40
	s_load_b128 s[20:23], s[0:1], 0x60
	v_cmp_ne_u32_e64 s3, 0, v0
	v_cmp_eq_u32_e64 s2, 0, v0
	s_delay_alu instid0(VALU_DEP_1)
	s_and_saveexec_b32 s16, s2
	s_cbranch_execz .LBB1707_4
; %bb.1:
	s_mov_b32 s18, exec_lo
	s_mov_b32 s17, exec_lo
	v_mbcnt_lo_u32_b32 v1, s18, 0
                                        ; implicit-def: $vgpr2
	s_delay_alu instid0(VALU_DEP_1)
	v_cmpx_eq_u32_e32 0, v1
	s_cbranch_execz .LBB1707_3
; %bb.2:
	s_load_b64 s[26:27], s[0:1], 0x78
	s_bcnt1_i32_b32 s18, s18
	s_delay_alu instid0(SALU_CYCLE_1)
	v_dual_mov_b32 v2, 0 :: v_dual_mov_b32 v3, s18
	s_waitcnt lgkmcnt(0)
	global_atomic_add_u32 v2, v2, v3, s[26:27] glc
.LBB1707_3:
	s_or_b32 exec_lo, exec_lo, s17
	s_waitcnt vmcnt(0)
	v_readfirstlane_b32 s17, v2
	s_delay_alu instid0(VALU_DEP_1)
	v_dual_mov_b32 v2, 0 :: v_dual_add_nc_u32 v1, s17, v1
	ds_store_b32 v2, v1
.LBB1707_4:
	s_or_b32 exec_lo, exec_lo, s16
	v_mov_b32_e32 v1, 0
	s_clause 0x1
	s_load_b128 s[16:19], s[0:1], 0x28
	s_load_b32 s0, s[0:1], 0x70
	s_waitcnt lgkmcnt(0)
	s_barrier
	buffer_gl0_inv
	ds_load_b32 v3, v1
	s_waitcnt lgkmcnt(0)
	s_barrier
	buffer_gl0_inv
	global_load_b64 v[1:2], v1, s[10:11]
	s_lshl_b64 s[26:27], s[6:7], 3
	s_mov_b32 s1, 0
	s_add_u32 s10, s4, s26
	s_addc_u32 s11, s5, s27
	v_lshlrev_b32_e32 v55, 3, v0
	v_lshrrev_b32_e32 v34, 2, v0
	v_or_b32_e32 v39, 0x200, v0
	v_or_b32_e32 v38, 0x400, v0
	;; [unrolled: 1-line block ×5, first 2 shown]
	s_add_i32 s28, s0, -1
	s_lshl_b32 s5, s0, 12
	s_lshl_b32 s4, s28, 12
	v_or_b32_e32 v33, 0xc00, v0
	v_readfirstlane_b32 s30, v3
	s_add_i32 s4, s6, s4
	v_or_b32_e32 v36, 0xe00, v0
	s_sub_i32 s31, s12, s4
	s_delay_alu instid0(VALU_DEP_2)
	s_lshl_b32 s0, s30, 12
	s_add_u32 s4, s6, s5
	s_addc_u32 s5, s7, 0
	s_cmp_eq_u32 s30, s28
	v_cmp_ge_u64_e64 s4, s[4:5], s[12:13]
	s_cselect_b32 s28, -1, 0
	s_lshl_b64 s[12:13], s[0:1], 3
	s_mov_b32 s1, -1
	s_delay_alu instid0(VALU_DEP_1) | instskip(NEXT) | instid1(SALU_CYCLE_1)
	s_and_b32 s33, s4, s28
	s_xor_b32 s29, s33, -1
	s_add_u32 s4, s10, s12
	s_addc_u32 s5, s11, s13
	s_and_b32 vcc_lo, exec_lo, s29
	s_waitcnt vmcnt(0)
	v_readfirstlane_b32 s10, v1
	v_readfirstlane_b32 s11, v2
	s_cbranch_vccz .LBB1707_6
; %bb.5:
	v_add_co_u32 v9, s0, s4, v55
	s_delay_alu instid0(VALU_DEP_1)
	v_add_co_ci_u32_e64 v10, null, s5, 0, s0
	global_load_b64 v[1:2], v55, s[4:5]
	v_add_co_u32 v3, vcc_lo, v9, 0x2000
	v_add_co_ci_u32_e32 v4, vcc_lo, 0, v10, vcc_lo
	v_add_co_u32 v5, vcc_lo, v9, 0x4000
	v_add_co_ci_u32_e32 v6, vcc_lo, 0, v10, vcc_lo
	;; [unrolled: 2-line block ×4, first 2 shown]
	s_clause 0x6
	global_load_b64 v[11:12], v[3:4], off offset:-4096
	global_load_b64 v[3:4], v[3:4], off
	global_load_b64 v[13:14], v[5:6], off offset:-4096
	global_load_b64 v[5:6], v[5:6], off
	;; [unrolled: 2-line block ×3, first 2 shown]
	global_load_b64 v[9:10], v[9:10], off
	v_lshrrev_b32_e32 v18, 2, v39
	v_lshrrev_b32_e32 v19, 2, v38
	v_lshrrev_b32_e32 v20, 2, v40
	v_lshrrev_b32_e32 v21, 2, v37
	v_and_b32_e32 v17, 0x78, v34
	v_lshrrev_b32_e32 v22, 2, v35
	v_lshrrev_b32_e32 v23, 2, v33
	;; [unrolled: 1-line block ×3, first 2 shown]
	v_and_b32_e32 v18, 0xf8, v18
	v_and_b32_e32 v19, 0x178, v19
	;; [unrolled: 1-line block ×4, first 2 shown]
	v_add_nc_u32_e32 v17, v17, v55
	v_and_b32_e32 v22, 0x2f8, v22
	v_and_b32_e32 v23, 0x378, v23
	;; [unrolled: 1-line block ×3, first 2 shown]
	v_add_nc_u32_e32 v18, v18, v55
	v_add_nc_u32_e32 v19, v19, v55
	;; [unrolled: 1-line block ×4, first 2 shown]
	s_mov_b32 s1, 0
	v_add_nc_u32_e32 v22, v22, v55
	v_add_nc_u32_e32 v23, v23, v55
	;; [unrolled: 1-line block ×3, first 2 shown]
	s_waitcnt vmcnt(7)
	ds_store_b64 v17, v[1:2]
	s_waitcnt vmcnt(6)
	ds_store_b64 v18, v[11:12] offset:4096
	s_waitcnt vmcnt(5)
	ds_store_b64 v19, v[3:4] offset:8192
	;; [unrolled: 2-line block ×7, first 2 shown]
	s_waitcnt lgkmcnt(0)
	s_barrier
.LBB1707_6:
	v_cmp_gt_u32_e64 s0, s31, v0
	s_and_not1_b32 vcc_lo, exec_lo, s1
	s_cbranch_vccnz .LBB1707_24
; %bb.7:
                                        ; implicit-def: $vgpr1_vgpr2_vgpr3_vgpr4_vgpr5_vgpr6_vgpr7_vgpr8_vgpr9_vgpr10_vgpr11_vgpr12_vgpr13_vgpr14_vgpr15_vgpr16
	s_delay_alu instid0(VALU_DEP_1)
	s_and_saveexec_b32 s1, s0
	s_cbranch_execz .LBB1707_15
; %bb.8:
	global_load_b64 v[1:2], v55, s[4:5]
	s_or_b32 exec_lo, exec_lo, s1
	s_delay_alu instid0(SALU_CYCLE_1)
	s_mov_b32 s0, exec_lo
	v_cmpx_gt_u32_e64 s31, v39
	s_cbranch_execnz .LBB1707_16
.LBB1707_9:
	s_or_b32 exec_lo, exec_lo, s0
	s_delay_alu instid0(SALU_CYCLE_1)
	s_mov_b32 s0, exec_lo
	v_cmpx_gt_u32_e64 s31, v38
	s_cbranch_execz .LBB1707_17
.LBB1707_10:
	v_lshlrev_b32_e32 v5, 3, v38
	global_load_b64 v[5:6], v5, s[4:5]
	s_or_b32 exec_lo, exec_lo, s0
	s_delay_alu instid0(SALU_CYCLE_1)
	s_mov_b32 s0, exec_lo
	v_cmpx_gt_u32_e64 s31, v40
	s_cbranch_execnz .LBB1707_18
.LBB1707_11:
	s_or_b32 exec_lo, exec_lo, s0
	s_delay_alu instid0(SALU_CYCLE_1)
	s_mov_b32 s0, exec_lo
	v_cmpx_gt_u32_e64 s31, v37
	s_cbranch_execz .LBB1707_19
.LBB1707_12:
	v_lshlrev_b32_e32 v9, 3, v37
	global_load_b64 v[9:10], v9, s[4:5]
	s_or_b32 exec_lo, exec_lo, s0
	s_delay_alu instid0(SALU_CYCLE_1)
	s_mov_b32 s0, exec_lo
	v_cmpx_gt_u32_e64 s31, v35
	s_cbranch_execnz .LBB1707_20
.LBB1707_13:
	s_or_b32 exec_lo, exec_lo, s0
	s_delay_alu instid0(SALU_CYCLE_1)
	s_mov_b32 s0, exec_lo
	v_cmpx_gt_u32_e64 s31, v33
	s_cbranch_execz .LBB1707_21
.LBB1707_14:
	v_lshlrev_b32_e32 v13, 3, v33
	global_load_b64 v[13:14], v13, s[4:5]
	s_or_b32 exec_lo, exec_lo, s0
	s_delay_alu instid0(SALU_CYCLE_1)
	s_mov_b32 s0, exec_lo
	v_cmpx_gt_u32_e64 s31, v36
	s_cbranch_execnz .LBB1707_22
	s_branch .LBB1707_23
.LBB1707_15:
	s_or_b32 exec_lo, exec_lo, s1
	s_delay_alu instid0(SALU_CYCLE_1)
	s_mov_b32 s0, exec_lo
	v_cmpx_gt_u32_e64 s31, v39
	s_cbranch_execz .LBB1707_9
.LBB1707_16:
	v_lshlrev_b32_e32 v3, 3, v39
	global_load_b64 v[3:4], v3, s[4:5]
	s_or_b32 exec_lo, exec_lo, s0
	s_delay_alu instid0(SALU_CYCLE_1)
	s_mov_b32 s0, exec_lo
	v_cmpx_gt_u32_e64 s31, v38
	s_cbranch_execnz .LBB1707_10
.LBB1707_17:
	s_or_b32 exec_lo, exec_lo, s0
	s_delay_alu instid0(SALU_CYCLE_1)
	s_mov_b32 s0, exec_lo
	v_cmpx_gt_u32_e64 s31, v40
	s_cbranch_execz .LBB1707_11
.LBB1707_18:
	v_lshlrev_b32_e32 v7, 3, v40
	global_load_b64 v[7:8], v7, s[4:5]
	s_or_b32 exec_lo, exec_lo, s0
	s_delay_alu instid0(SALU_CYCLE_1)
	s_mov_b32 s0, exec_lo
	v_cmpx_gt_u32_e64 s31, v37
	s_cbranch_execnz .LBB1707_12
.LBB1707_19:
	s_or_b32 exec_lo, exec_lo, s0
	s_delay_alu instid0(SALU_CYCLE_1)
	s_mov_b32 s0, exec_lo
	v_cmpx_gt_u32_e64 s31, v35
	s_cbranch_execz .LBB1707_13
.LBB1707_20:
	v_lshlrev_b32_e32 v11, 3, v35
	global_load_b64 v[11:12], v11, s[4:5]
	s_or_b32 exec_lo, exec_lo, s0
	s_delay_alu instid0(SALU_CYCLE_1)
	s_mov_b32 s0, exec_lo
	v_cmpx_gt_u32_e64 s31, v33
	s_cbranch_execnz .LBB1707_14
.LBB1707_21:
	s_or_b32 exec_lo, exec_lo, s0
	s_delay_alu instid0(SALU_CYCLE_1)
	s_mov_b32 s0, exec_lo
	v_cmpx_gt_u32_e64 s31, v36
	s_cbranch_execz .LBB1707_23
.LBB1707_22:
	v_lshlrev_b32_e32 v15, 3, v36
	global_load_b64 v[15:16], v15, s[4:5]
.LBB1707_23:
	s_or_b32 exec_lo, exec_lo, s0
	v_lshrrev_b32_e32 v17, 2, v39
	v_lshrrev_b32_e32 v18, 2, v38
	;; [unrolled: 1-line block ×4, first 2 shown]
	v_and_b32_e32 v19, 0x78, v34
	v_lshrrev_b32_e32 v22, 2, v35
	v_lshrrev_b32_e32 v23, 2, v33
	;; [unrolled: 1-line block ×3, first 2 shown]
	v_and_b32_e32 v17, 0xf8, v17
	v_and_b32_e32 v18, 0x1f8, v18
	;; [unrolled: 1-line block ×4, first 2 shown]
	v_add_nc_u32_e32 v19, v19, v55
	v_and_b32_e32 v22, 0x3f8, v22
	v_and_b32_e32 v23, 0x3f8, v23
	;; [unrolled: 1-line block ×3, first 2 shown]
	v_add_nc_u32_e32 v17, v17, v55
	v_add_nc_u32_e32 v18, v18, v55
	;; [unrolled: 1-line block ×7, first 2 shown]
	s_waitcnt vmcnt(0)
	ds_store_b64 v19, v[1:2]
	ds_store_b64 v17, v[3:4] offset:4096
	ds_store_b64 v18, v[5:6] offset:8192
	ds_store_b64 v20, v[7:8] offset:12288
	ds_store_b64 v21, v[9:10] offset:16384
	ds_store_b64 v22, v[11:12] offset:20480
	ds_store_b64 v23, v[13:14] offset:24576
	ds_store_b64 v24, v[15:16] offset:28672
	s_waitcnt lgkmcnt(0)
	s_barrier
.LBB1707_24:
	v_add_lshl_u32 v41, v34, v55, 3
	buffer_gl0_inv
	s_add_u32 s0, s24, s26
	s_addc_u32 s1, s25, s27
	s_add_u32 s0, s0, s12
	ds_load_2addr_b64 v[29:32], v41 offset1:1
	ds_load_2addr_b64 v[25:28], v41 offset0:2 offset1:3
	ds_load_2addr_b64 v[21:24], v41 offset0:4 offset1:5
	;; [unrolled: 1-line block ×3, first 2 shown]
	s_addc_u32 s1, s1, s13
	s_and_b32 vcc_lo, exec_lo, s29
	s_mov_b32 s12, -1
	s_waitcnt lgkmcnt(0)
	s_barrier
	buffer_gl0_inv
	s_cbranch_vccz .LBB1707_26
; %bb.25:
	v_add_co_u32 v9, s12, s0, v55
	s_delay_alu instid0(VALU_DEP_1)
	v_add_co_ci_u32_e64 v10, null, s1, 0, s12
	global_load_b64 v[1:2], v55, s[0:1]
	v_add_co_u32 v3, vcc_lo, v9, 0x2000
	v_add_co_ci_u32_e32 v4, vcc_lo, 0, v10, vcc_lo
	v_add_co_u32 v5, vcc_lo, v9, 0x4000
	v_add_co_ci_u32_e32 v6, vcc_lo, 0, v10, vcc_lo
	;; [unrolled: 2-line block ×4, first 2 shown]
	s_clause 0x6
	global_load_b64 v[11:12], v[3:4], off offset:-4096
	global_load_b64 v[3:4], v[3:4], off
	global_load_b64 v[13:14], v[5:6], off offset:-4096
	global_load_b64 v[5:6], v[5:6], off
	;; [unrolled: 2-line block ×3, first 2 shown]
	global_load_b64 v[9:10], v[9:10], off
	v_lshrrev_b32_e32 v43, 2, v39
	v_lshrrev_b32_e32 v44, 2, v38
	;; [unrolled: 1-line block ×4, first 2 shown]
	v_and_b32_e32 v42, 0x78, v34
	v_lshrrev_b32_e32 v47, 2, v35
	v_lshrrev_b32_e32 v48, 2, v33
	;; [unrolled: 1-line block ×3, first 2 shown]
	v_and_b32_e32 v43, 0xf8, v43
	v_and_b32_e32 v44, 0x178, v44
	;; [unrolled: 1-line block ×4, first 2 shown]
	v_add_nc_u32_e32 v42, v42, v55
	v_and_b32_e32 v47, 0x2f8, v47
	v_and_b32_e32 v48, 0x378, v48
	;; [unrolled: 1-line block ×3, first 2 shown]
	v_add_nc_u32_e32 v43, v43, v55
	v_add_nc_u32_e32 v44, v44, v55
	;; [unrolled: 1-line block ×4, first 2 shown]
	s_mov_b32 s12, 0
	v_add_nc_u32_e32 v47, v47, v55
	v_add_nc_u32_e32 v48, v48, v55
	;; [unrolled: 1-line block ×3, first 2 shown]
	s_waitcnt vmcnt(7)
	ds_store_b64 v42, v[1:2]
	s_waitcnt vmcnt(6)
	ds_store_b64 v43, v[11:12] offset:4096
	s_waitcnt vmcnt(5)
	ds_store_b64 v44, v[3:4] offset:8192
	;; [unrolled: 2-line block ×7, first 2 shown]
	s_waitcnt lgkmcnt(0)
	s_barrier
.LBB1707_26:
	s_and_not1_b32 vcc_lo, exec_lo, s12
	s_cbranch_vccnz .LBB1707_44
; %bb.27:
	s_mov_b32 s12, exec_lo
                                        ; implicit-def: $vgpr1_vgpr2
	v_cmpx_gt_u32_e64 s31, v0
	s_cbranch_execz .LBB1707_29
; %bb.28:
	global_load_b64 v[1:2], v55, s[0:1]
.LBB1707_29:
	s_or_b32 exec_lo, exec_lo, s12
	s_delay_alu instid0(SALU_CYCLE_1)
	s_mov_b32 s12, exec_lo
                                        ; implicit-def: $vgpr3_vgpr4
	v_cmpx_gt_u32_e64 s31, v39
	s_cbranch_execz .LBB1707_31
; %bb.30:
	v_lshlrev_b32_e32 v3, 3, v39
	global_load_b64 v[3:4], v3, s[0:1]
.LBB1707_31:
	s_or_b32 exec_lo, exec_lo, s12
	s_delay_alu instid0(SALU_CYCLE_1)
	s_mov_b32 s12, exec_lo
                                        ; implicit-def: $vgpr5_vgpr6
	v_cmpx_gt_u32_e64 s31, v38
	s_cbranch_execz .LBB1707_33
; %bb.32:
	v_lshlrev_b32_e32 v5, 3, v38
	global_load_b64 v[5:6], v5, s[0:1]
.LBB1707_33:
	s_or_b32 exec_lo, exec_lo, s12
	s_delay_alu instid0(SALU_CYCLE_1)
	s_mov_b32 s12, exec_lo
                                        ; implicit-def: $vgpr7_vgpr8
	v_cmpx_gt_u32_e64 s31, v40
	s_cbranch_execz .LBB1707_35
; %bb.34:
	v_lshlrev_b32_e32 v7, 3, v40
	global_load_b64 v[7:8], v7, s[0:1]
.LBB1707_35:
	s_or_b32 exec_lo, exec_lo, s12
	s_delay_alu instid0(SALU_CYCLE_1)
	s_mov_b32 s12, exec_lo
                                        ; implicit-def: $vgpr9_vgpr10
	v_cmpx_gt_u32_e64 s31, v37
	s_cbranch_execz .LBB1707_37
; %bb.36:
	v_lshlrev_b32_e32 v9, 3, v37
	global_load_b64 v[9:10], v9, s[0:1]
.LBB1707_37:
	s_or_b32 exec_lo, exec_lo, s12
	s_delay_alu instid0(SALU_CYCLE_1)
	s_mov_b32 s12, exec_lo
                                        ; implicit-def: $vgpr11_vgpr12
	v_cmpx_gt_u32_e64 s31, v35
	s_cbranch_execz .LBB1707_39
; %bb.38:
	v_lshlrev_b32_e32 v11, 3, v35
	global_load_b64 v[11:12], v11, s[0:1]
.LBB1707_39:
	s_or_b32 exec_lo, exec_lo, s12
	s_delay_alu instid0(SALU_CYCLE_1)
	s_mov_b32 s12, exec_lo
                                        ; implicit-def: $vgpr13_vgpr14
	v_cmpx_gt_u32_e64 s31, v33
	s_cbranch_execz .LBB1707_41
; %bb.40:
	v_lshlrev_b32_e32 v13, 3, v33
	global_load_b64 v[13:14], v13, s[0:1]
.LBB1707_41:
	s_or_b32 exec_lo, exec_lo, s12
	s_delay_alu instid0(SALU_CYCLE_1)
	s_mov_b32 s12, exec_lo
                                        ; implicit-def: $vgpr15_vgpr16
	v_cmpx_gt_u32_e64 s31, v36
	s_cbranch_execz .LBB1707_43
; %bb.42:
	v_lshlrev_b32_e32 v15, 3, v36
	global_load_b64 v[15:16], v15, s[0:1]
.LBB1707_43:
	s_or_b32 exec_lo, exec_lo, s12
	v_lshrrev_b32_e32 v39, 2, v39
	v_lshrrev_b32_e32 v38, 2, v38
	;; [unrolled: 1-line block ×4, first 2 shown]
	v_and_b32_e32 v34, 0x78, v34
	v_lshrrev_b32_e32 v35, 2, v35
	v_lshrrev_b32_e32 v33, 2, v33
	;; [unrolled: 1-line block ×3, first 2 shown]
	v_and_b32_e32 v39, 0xf8, v39
	v_and_b32_e32 v38, 0x1f8, v38
	;; [unrolled: 1-line block ×4, first 2 shown]
	v_add_nc_u32_e32 v34, v34, v55
	v_and_b32_e32 v35, 0x3f8, v35
	v_and_b32_e32 v33, 0x3f8, v33
	;; [unrolled: 1-line block ×3, first 2 shown]
	v_add_nc_u32_e32 v39, v39, v55
	v_add_nc_u32_e32 v38, v38, v55
	;; [unrolled: 1-line block ×7, first 2 shown]
	s_waitcnt vmcnt(0)
	ds_store_b64 v34, v[1:2]
	ds_store_b64 v39, v[3:4] offset:4096
	ds_store_b64 v38, v[5:6] offset:8192
	;; [unrolled: 1-line block ×7, first 2 shown]
	s_waitcnt lgkmcnt(0)
	s_barrier
.LBB1707_44:
	buffer_gl0_inv
	ds_load_2addr_b64 v[13:16], v41 offset1:1
	ds_load_2addr_b64 v[9:12], v41 offset0:2 offset1:3
	ds_load_2addr_b64 v[5:8], v41 offset0:4 offset1:5
	ds_load_2addr_b64 v[1:4], v41 offset0:6 offset1:7
	s_cmp_lg_u32 s30, 0
	v_cmp_gt_i64_e64 s13, s[14:15], 0
	s_cselect_b32 s12, -1, 0
	s_cmp_lg_u64 s[6:7], 0
	s_mov_b32 s1, 0
	s_cselect_b32 s0, -1, 0
	s_waitcnt lgkmcnt(0)
	s_or_b32 s0, s0, s12
	s_barrier
	s_and_b32 vcc_lo, exec_lo, s0
	buffer_gl0_inv
	s_cbranch_vccz .LBB1707_53
; %bb.45:
	v_mov_b32_e32 v33, 0
	v_cndmask_b32_e64 v43, 0, 1, s13
	s_and_b32 vcc_lo, exec_lo, s29
	ds_store_b64 v55, v[19:20]
	global_load_b64 v[33:34], v33, s[4:5] offset:-8
	v_cmp_ne_u32_e64 s0, 1, v43
	s_cbranch_vccz .LBB1707_54
; %bb.46:
	v_mul_lo_u32 v37, v18, s14
	v_mul_lo_u32 v38, v17, s15
	v_mad_u64_u32 v[35:36], null, v17, s14, 0
	s_and_b32 vcc_lo, exec_lo, s0
	s_mov_b32 s24, 0
	s_delay_alu instid0(VALU_DEP_1) | instskip(NEXT) | instid1(VALU_DEP_1)
	v_add3_u32 v36, v36, v38, v37
	v_lshlrev_b64 v[35:36], 3, v[35:36]
	s_cbranch_vccnz .LBB1707_57
; %bb.47:
	v_mul_lo_u32 v39, v20, s14
	v_mul_lo_u32 v40, v19, s15
	v_mad_u64_u32 v[37:38], null, v19, s14, 0
	s_mov_b32 s24, -1
	s_mov_b32 s25, exec_lo
	s_delay_alu instid0(VALU_DEP_1) | instskip(SKIP_2) | instid1(VALU_DEP_3)
	v_add3_u32 v38, v38, v40, v39
	v_add_co_u32 v39, vcc_lo, s20, v35
	v_add_co_ci_u32_e32 v40, vcc_lo, s21, v36, vcc_lo
	v_lshlrev_b64 v[37:38], 3, v[37:38]
	s_delay_alu instid0(VALU_DEP_1) | instskip(NEXT) | instid1(VALU_DEP_2)
	v_add_co_u32 v37, vcc_lo, s20, v37
	v_add_co_ci_u32_e32 v38, vcc_lo, s21, v38, vcc_lo
	s_clause 0x1
	global_load_b64 v[41:42], v[39:40], off
	global_load_b64 v[44:45], v[37:38], off
	s_waitcnt vmcnt(0)
	v_cmpx_eq_u64_e64 v[41:42], v[44:45]
	s_cbranch_execz .LBB1707_56
; %bb.48:
	v_add_co_u32 v37, vcc_lo, v37, 8
	v_add_co_ci_u32_e32 v38, vcc_lo, 0, v38, vcc_lo
	v_add_co_u32 v39, vcc_lo, v39, 8
	v_add_co_ci_u32_e32 v40, vcc_lo, 0, v40, vcc_lo
	s_add_u32 s4, s14, -1
	s_addc_u32 s5, s15, -1
	s_mov_b64 s[6:7], 0
	s_mov_b32 s24, 0
                                        ; implicit-def: $sgpr26
	s_set_inst_prefetch_distance 0x1
	s_branch .LBB1707_51
	.p2align	6
.LBB1707_49:                            ;   in Loop: Header=BB1707_51 Depth=1
	global_load_b64 v[41:42], v[39:40], off
	global_load_b64 v[44:45], v[37:38], off
	v_add_co_u32 v37, vcc_lo, v37, 8
	v_add_co_ci_u32_e32 v38, vcc_lo, 0, v38, vcc_lo
	v_add_co_u32 v39, s0, v39, 8
	s_delay_alu instid0(VALU_DEP_1)
	v_add_co_ci_u32_e64 v40, s0, 0, v40, s0
	s_add_u32 s6, s6, 1
	s_addc_u32 s7, s7, 0
	s_and_not1_b32 s0, s26, exec_lo
	s_waitcnt vmcnt(0)
	v_cmp_ne_u64_e32 vcc_lo, v[41:42], v[44:45]
	s_and_b32 s26, vcc_lo, exec_lo
	s_delay_alu instid0(SALU_CYCLE_1)
	s_or_b32 s26, s0, s26
.LBB1707_50:                            ;   in Loop: Header=BB1707_51 Depth=1
	v_dual_mov_b32 v42, s7 :: v_dual_mov_b32 v41, s6
	s_and_b32 s0, exec_lo, s26
	s_delay_alu instid0(SALU_CYCLE_1) | instskip(NEXT) | instid1(SALU_CYCLE_1)
	s_or_b32 s24, s0, s24
	s_and_not1_b32 exec_lo, exec_lo, s24
	s_cbranch_execz .LBB1707_55
.LBB1707_51:                            ; =>This Inner Loop Header: Depth=1
	s_or_b32 s26, s26, exec_lo
	s_cmp_eq_u64 s[4:5], s[6:7]
	s_cbranch_scc0 .LBB1707_49
; %bb.52:                               ;   in Loop: Header=BB1707_51 Depth=1
	s_mov_b64 s[6:7], s[14:15]
                                        ; implicit-def: $vgpr37_vgpr38
                                        ; implicit-def: $vgpr39_vgpr40
	s_branch .LBB1707_50
.LBB1707_53:
                                        ; implicit-def: $sgpr0
                                        ; implicit-def: $vgpr36
	s_branch .LBB1707_215
.LBB1707_54:
                                        ; implicit-def: $sgpr0
                                        ; implicit-def: $vgpr36
	s_cbranch_execnz .LBB1707_123
	s_branch .LBB1707_214
.LBB1707_55:
	s_set_inst_prefetch_distance 0x2
	s_or_b32 exec_lo, exec_lo, s24
	v_cmp_gt_i64_e32 vcc_lo, s[14:15], v[41:42]
	s_or_not1_b32 s24, vcc_lo, exec_lo
.LBB1707_56:
	s_or_b32 exec_lo, exec_lo, s25
.LBB1707_57:
	v_mul_lo_u32 v39, v24, s14
	v_mul_lo_u32 v40, v23, s15
	v_mad_u64_u32 v[37:38], null, v23, s14, 0
	s_and_not1_b32 vcc_lo, exec_lo, s13
	s_delay_alu instid0(VALU_DEP_1) | instskip(NEXT) | instid1(VALU_DEP_1)
	v_add3_u32 v38, v38, v40, v39
	v_lshlrev_b64 v[37:38], 3, v[37:38]
	s_cbranch_vccnz .LBB1707_66
; %bb.58:
	s_delay_alu instid0(VALU_DEP_1) | instskip(NEXT) | instid1(VALU_DEP_2)
	v_add_co_u32 v39, vcc_lo, s20, v37
	v_add_co_ci_u32_e32 v40, vcc_lo, s21, v38, vcc_lo
	v_add_co_u32 v35, vcc_lo, s20, v35
	v_add_co_ci_u32_e32 v36, vcc_lo, s21, v36, vcc_lo
	s_mov_b32 s1, -1
	s_clause 0x1
	global_load_b64 v[41:42], v[39:40], off
	global_load_b64 v[44:45], v[35:36], off
	s_mov_b32 s25, exec_lo
	s_waitcnt vmcnt(0)
	v_cmpx_eq_u64_e64 v[41:42], v[44:45]
	s_cbranch_execz .LBB1707_65
; %bb.59:
	v_add_co_u32 v35, vcc_lo, v35, 8
	v_add_co_ci_u32_e32 v36, vcc_lo, 0, v36, vcc_lo
	v_add_co_u32 v39, vcc_lo, v39, 8
	v_add_co_ci_u32_e32 v40, vcc_lo, 0, v40, vcc_lo
	s_add_u32 s4, s14, -1
	s_addc_u32 s5, s15, -1
	s_mov_b64 s[6:7], 0
	s_mov_b32 s1, 0
                                        ; implicit-def: $sgpr26
	s_set_inst_prefetch_distance 0x1
	s_branch .LBB1707_62
	.p2align	6
.LBB1707_60:                            ;   in Loop: Header=BB1707_62 Depth=1
	global_load_b64 v[41:42], v[39:40], off
	global_load_b64 v[44:45], v[35:36], off
	v_add_co_u32 v35, vcc_lo, v35, 8
	v_add_co_ci_u32_e32 v36, vcc_lo, 0, v36, vcc_lo
	v_add_co_u32 v39, s0, v39, 8
	s_delay_alu instid0(VALU_DEP_1)
	v_add_co_ci_u32_e64 v40, s0, 0, v40, s0
	s_add_u32 s6, s6, 1
	s_addc_u32 s7, s7, 0
	s_and_not1_b32 s0, s26, exec_lo
	s_waitcnt vmcnt(0)
	v_cmp_ne_u64_e32 vcc_lo, v[41:42], v[44:45]
	s_and_b32 s26, vcc_lo, exec_lo
	s_delay_alu instid0(SALU_CYCLE_1)
	s_or_b32 s26, s0, s26
.LBB1707_61:                            ;   in Loop: Header=BB1707_62 Depth=1
	v_dual_mov_b32 v42, s7 :: v_dual_mov_b32 v41, s6
	s_and_b32 s0, exec_lo, s26
	s_delay_alu instid0(SALU_CYCLE_1) | instskip(NEXT) | instid1(SALU_CYCLE_1)
	s_or_b32 s1, s0, s1
	s_and_not1_b32 exec_lo, exec_lo, s1
	s_cbranch_execz .LBB1707_64
.LBB1707_62:                            ; =>This Inner Loop Header: Depth=1
	s_or_b32 s26, s26, exec_lo
	s_cmp_eq_u64 s[4:5], s[6:7]
	s_cbranch_scc0 .LBB1707_60
; %bb.63:                               ;   in Loop: Header=BB1707_62 Depth=1
	s_mov_b64 s[6:7], s[14:15]
                                        ; implicit-def: $vgpr35_vgpr36
                                        ; implicit-def: $vgpr39_vgpr40
	s_branch .LBB1707_61
.LBB1707_64:
	s_set_inst_prefetch_distance 0x2
	s_or_b32 exec_lo, exec_lo, s1
	v_cmp_gt_i64_e32 vcc_lo, s[14:15], v[41:42]
	s_or_not1_b32 s1, vcc_lo, exec_lo
.LBB1707_65:
	s_or_b32 exec_lo, exec_lo, s25
.LBB1707_66:
	v_mul_lo_u32 v39, v22, s14
	v_mul_lo_u32 v40, v21, s15
	v_mad_u64_u32 v[35:36], null, v21, s14, 0
	s_mov_b32 s25, 0
	s_and_not1_b32 vcc_lo, exec_lo, s13
	s_mov_b32 s26, 0
	s_delay_alu instid0(VALU_DEP_1) | instskip(NEXT) | instid1(VALU_DEP_1)
	v_add3_u32 v36, v36, v40, v39
	v_lshlrev_b64 v[39:40], 3, v[35:36]
	s_cbranch_vccnz .LBB1707_75
; %bb.67:
	s_delay_alu instid0(VALU_DEP_1) | instskip(NEXT) | instid1(VALU_DEP_2)
	v_add_co_u32 v41, vcc_lo, s20, v39
	v_add_co_ci_u32_e32 v42, vcc_lo, s21, v40, vcc_lo
	v_add_co_u32 v35, vcc_lo, s20, v37
	v_add_co_ci_u32_e32 v36, vcc_lo, s21, v38, vcc_lo
	s_mov_b32 s26, -1
	s_clause 0x1
	global_load_b64 v[37:38], v[41:42], off
	global_load_b64 v[44:45], v[35:36], off
	s_mov_b32 s27, exec_lo
	s_waitcnt vmcnt(0)
	v_cmpx_eq_u64_e64 v[37:38], v[44:45]
	s_cbranch_execz .LBB1707_74
; %bb.68:
	v_add_co_u32 v35, vcc_lo, v35, 8
	v_add_co_ci_u32_e32 v36, vcc_lo, 0, v36, vcc_lo
	v_add_co_u32 v37, vcc_lo, v41, 8
	v_add_co_ci_u32_e32 v38, vcc_lo, 0, v42, vcc_lo
	s_add_u32 s4, s14, -1
	s_addc_u32 s5, s15, -1
	s_mov_b64 s[6:7], 0
	s_mov_b32 s26, 0
                                        ; implicit-def: $sgpr34
	s_set_inst_prefetch_distance 0x1
	s_branch .LBB1707_71
	.p2align	6
.LBB1707_69:                            ;   in Loop: Header=BB1707_71 Depth=1
	global_load_b64 v[41:42], v[37:38], off
	global_load_b64 v[44:45], v[35:36], off
	v_add_co_u32 v35, vcc_lo, v35, 8
	v_add_co_ci_u32_e32 v36, vcc_lo, 0, v36, vcc_lo
	v_add_co_u32 v37, s0, v37, 8
	s_delay_alu instid0(VALU_DEP_1)
	v_add_co_ci_u32_e64 v38, s0, 0, v38, s0
	s_add_u32 s6, s6, 1
	s_addc_u32 s7, s7, 0
	s_and_not1_b32 s0, s34, exec_lo
	s_waitcnt vmcnt(0)
	v_cmp_ne_u64_e32 vcc_lo, v[41:42], v[44:45]
	s_and_b32 s34, vcc_lo, exec_lo
	s_delay_alu instid0(SALU_CYCLE_1)
	s_or_b32 s34, s0, s34
.LBB1707_70:                            ;   in Loop: Header=BB1707_71 Depth=1
	v_dual_mov_b32 v42, s7 :: v_dual_mov_b32 v41, s6
	s_and_b32 s0, exec_lo, s34
	s_delay_alu instid0(SALU_CYCLE_1) | instskip(NEXT) | instid1(SALU_CYCLE_1)
	s_or_b32 s26, s0, s26
	s_and_not1_b32 exec_lo, exec_lo, s26
	s_cbranch_execz .LBB1707_73
.LBB1707_71:                            ; =>This Inner Loop Header: Depth=1
	s_or_b32 s34, s34, exec_lo
	s_cmp_eq_u64 s[4:5], s[6:7]
	s_cbranch_scc0 .LBB1707_69
; %bb.72:                               ;   in Loop: Header=BB1707_71 Depth=1
	s_mov_b64 s[6:7], s[14:15]
                                        ; implicit-def: $vgpr35_vgpr36
                                        ; implicit-def: $vgpr37_vgpr38
	s_branch .LBB1707_70
.LBB1707_73:
	s_set_inst_prefetch_distance 0x2
	s_or_b32 exec_lo, exec_lo, s26
	v_cmp_gt_i64_e32 vcc_lo, s[14:15], v[41:42]
	s_or_not1_b32 s26, vcc_lo, exec_lo
.LBB1707_74:
	s_or_b32 exec_lo, exec_lo, s27
.LBB1707_75:
	v_mul_lo_u32 v37, v28, s14
	v_mul_lo_u32 v38, v27, s15
	v_mad_u64_u32 v[35:36], null, v27, s14, 0
	s_and_not1_b32 vcc_lo, exec_lo, s13
	s_delay_alu instid0(VALU_DEP_1) | instskip(NEXT) | instid1(VALU_DEP_1)
	v_add3_u32 v36, v36, v38, v37
	v_lshlrev_b64 v[35:36], 3, v[35:36]
	s_cbranch_vccnz .LBB1707_84
; %bb.76:
	s_delay_alu instid0(VALU_DEP_1) | instskip(NEXT) | instid1(VALU_DEP_2)
	v_add_co_u32 v41, vcc_lo, s20, v35
	v_add_co_ci_u32_e32 v42, vcc_lo, s21, v36, vcc_lo
	v_add_co_u32 v37, vcc_lo, s20, v39
	v_add_co_ci_u32_e32 v38, vcc_lo, s21, v40, vcc_lo
	s_mov_b32 s25, -1
	s_clause 0x1
	global_load_b64 v[39:40], v[41:42], off
	global_load_b64 v[44:45], v[37:38], off
	s_mov_b32 s27, exec_lo
	s_waitcnt vmcnt(0)
	v_cmpx_eq_u64_e64 v[39:40], v[44:45]
	s_cbranch_execz .LBB1707_83
; %bb.77:
	v_add_co_u32 v37, vcc_lo, v37, 8
	v_add_co_ci_u32_e32 v38, vcc_lo, 0, v38, vcc_lo
	v_add_co_u32 v39, vcc_lo, v41, 8
	v_add_co_ci_u32_e32 v40, vcc_lo, 0, v42, vcc_lo
	s_add_u32 s4, s14, -1
	s_addc_u32 s5, s15, -1
	s_mov_b64 s[6:7], 0
	s_mov_b32 s25, 0
                                        ; implicit-def: $sgpr34
	s_set_inst_prefetch_distance 0x1
	s_branch .LBB1707_80
	.p2align	6
.LBB1707_78:                            ;   in Loop: Header=BB1707_80 Depth=1
	global_load_b64 v[41:42], v[39:40], off
	global_load_b64 v[44:45], v[37:38], off
	v_add_co_u32 v37, vcc_lo, v37, 8
	v_add_co_ci_u32_e32 v38, vcc_lo, 0, v38, vcc_lo
	v_add_co_u32 v39, s0, v39, 8
	s_delay_alu instid0(VALU_DEP_1)
	v_add_co_ci_u32_e64 v40, s0, 0, v40, s0
	s_add_u32 s6, s6, 1
	s_addc_u32 s7, s7, 0
	s_and_not1_b32 s0, s34, exec_lo
	s_waitcnt vmcnt(0)
	v_cmp_ne_u64_e32 vcc_lo, v[41:42], v[44:45]
	s_and_b32 s34, vcc_lo, exec_lo
	s_delay_alu instid0(SALU_CYCLE_1)
	s_or_b32 s34, s0, s34
.LBB1707_79:                            ;   in Loop: Header=BB1707_80 Depth=1
	v_dual_mov_b32 v42, s7 :: v_dual_mov_b32 v41, s6
	s_and_b32 s0, exec_lo, s34
	s_delay_alu instid0(SALU_CYCLE_1) | instskip(NEXT) | instid1(SALU_CYCLE_1)
	s_or_b32 s25, s0, s25
	s_and_not1_b32 exec_lo, exec_lo, s25
	s_cbranch_execz .LBB1707_82
.LBB1707_80:                            ; =>This Inner Loop Header: Depth=1
	s_or_b32 s34, s34, exec_lo
	s_cmp_eq_u64 s[4:5], s[6:7]
	s_cbranch_scc0 .LBB1707_78
; %bb.81:                               ;   in Loop: Header=BB1707_80 Depth=1
	s_mov_b64 s[6:7], s[14:15]
                                        ; implicit-def: $vgpr37_vgpr38
                                        ; implicit-def: $vgpr39_vgpr40
	s_branch .LBB1707_79
.LBB1707_82:
	s_set_inst_prefetch_distance 0x2
	s_or_b32 exec_lo, exec_lo, s25
	v_cmp_gt_i64_e32 vcc_lo, s[14:15], v[41:42]
	s_or_not1_b32 s25, vcc_lo, exec_lo
.LBB1707_83:
	s_or_b32 exec_lo, exec_lo, s27
.LBB1707_84:
	v_mul_lo_u32 v39, v26, s14
	v_mul_lo_u32 v40, v25, s15
	v_mad_u64_u32 v[37:38], null, v25, s14, 0
	s_mov_b32 s27, 0
	s_and_not1_b32 vcc_lo, exec_lo, s13
	s_mov_b32 s34, 0
	s_delay_alu instid0(VALU_DEP_1) | instskip(NEXT) | instid1(VALU_DEP_1)
	v_add3_u32 v38, v38, v40, v39
	v_lshlrev_b64 v[39:40], 3, v[37:38]
	s_cbranch_vccnz .LBB1707_93
; %bb.85:
	s_delay_alu instid0(VALU_DEP_1) | instskip(NEXT) | instid1(VALU_DEP_2)
	v_add_co_u32 v37, vcc_lo, s20, v39
	v_add_co_ci_u32_e32 v38, vcc_lo, s21, v40, vcc_lo
	v_add_co_u32 v35, vcc_lo, s20, v35
	v_add_co_ci_u32_e32 v36, vcc_lo, s21, v36, vcc_lo
	s_mov_b32 s34, -1
	s_clause 0x1
	global_load_b64 v[41:42], v[37:38], off
	global_load_b64 v[44:45], v[35:36], off
	s_mov_b32 s35, exec_lo
	s_waitcnt vmcnt(0)
	v_cmpx_eq_u64_e64 v[41:42], v[44:45]
	s_cbranch_execz .LBB1707_92
; %bb.86:
	v_add_co_u32 v35, vcc_lo, v35, 8
	v_add_co_ci_u32_e32 v36, vcc_lo, 0, v36, vcc_lo
	v_add_co_u32 v37, vcc_lo, v37, 8
	v_add_co_ci_u32_e32 v38, vcc_lo, 0, v38, vcc_lo
	s_add_u32 s4, s14, -1
	s_addc_u32 s5, s15, -1
	s_mov_b64 s[6:7], 0
	s_mov_b32 s34, 0
                                        ; implicit-def: $sgpr36
	s_set_inst_prefetch_distance 0x1
	s_branch .LBB1707_89
	.p2align	6
.LBB1707_87:                            ;   in Loop: Header=BB1707_89 Depth=1
	global_load_b64 v[41:42], v[37:38], off
	global_load_b64 v[44:45], v[35:36], off
	v_add_co_u32 v35, vcc_lo, v35, 8
	v_add_co_ci_u32_e32 v36, vcc_lo, 0, v36, vcc_lo
	v_add_co_u32 v37, s0, v37, 8
	s_delay_alu instid0(VALU_DEP_1)
	v_add_co_ci_u32_e64 v38, s0, 0, v38, s0
	s_add_u32 s6, s6, 1
	s_addc_u32 s7, s7, 0
	s_and_not1_b32 s0, s36, exec_lo
	s_waitcnt vmcnt(0)
	v_cmp_ne_u64_e32 vcc_lo, v[41:42], v[44:45]
	s_and_b32 s36, vcc_lo, exec_lo
	s_delay_alu instid0(SALU_CYCLE_1)
	s_or_b32 s36, s0, s36
.LBB1707_88:                            ;   in Loop: Header=BB1707_89 Depth=1
	v_dual_mov_b32 v42, s7 :: v_dual_mov_b32 v41, s6
	s_and_b32 s0, exec_lo, s36
	s_delay_alu instid0(SALU_CYCLE_1) | instskip(NEXT) | instid1(SALU_CYCLE_1)
	s_or_b32 s34, s0, s34
	s_and_not1_b32 exec_lo, exec_lo, s34
	s_cbranch_execz .LBB1707_91
.LBB1707_89:                            ; =>This Inner Loop Header: Depth=1
	s_or_b32 s36, s36, exec_lo
	s_cmp_eq_u64 s[4:5], s[6:7]
	s_cbranch_scc0 .LBB1707_87
; %bb.90:                               ;   in Loop: Header=BB1707_89 Depth=1
	s_mov_b64 s[6:7], s[14:15]
                                        ; implicit-def: $vgpr35_vgpr36
                                        ; implicit-def: $vgpr37_vgpr38
	s_branch .LBB1707_88
.LBB1707_91:
	s_set_inst_prefetch_distance 0x2
	s_or_b32 exec_lo, exec_lo, s34
	v_cmp_gt_i64_e32 vcc_lo, s[14:15], v[41:42]
	s_or_not1_b32 s34, vcc_lo, exec_lo
.LBB1707_92:
	s_or_b32 exec_lo, exec_lo, s35
.LBB1707_93:
	v_mul_lo_u32 v37, v32, s14
	v_mul_lo_u32 v38, v31, s15
	v_mad_u64_u32 v[35:36], null, v31, s14, 0
	s_and_not1_b32 vcc_lo, exec_lo, s13
	s_delay_alu instid0(VALU_DEP_1) | instskip(NEXT) | instid1(VALU_DEP_1)
	v_add3_u32 v36, v36, v38, v37
	v_lshlrev_b64 v[37:38], 3, v[35:36]
	s_cbranch_vccnz .LBB1707_102
; %bb.94:
	s_delay_alu instid0(VALU_DEP_1) | instskip(NEXT) | instid1(VALU_DEP_2)
	v_add_co_u32 v41, vcc_lo, s20, v37
	v_add_co_ci_u32_e32 v42, vcc_lo, s21, v38, vcc_lo
	v_add_co_u32 v35, vcc_lo, s20, v39
	v_add_co_ci_u32_e32 v36, vcc_lo, s21, v40, vcc_lo
	s_mov_b32 s27, -1
	s_clause 0x1
	global_load_b64 v[39:40], v[41:42], off
	global_load_b64 v[44:45], v[35:36], off
	s_mov_b32 s35, exec_lo
	s_waitcnt vmcnt(0)
	v_cmpx_eq_u64_e64 v[39:40], v[44:45]
	s_cbranch_execz .LBB1707_101
; %bb.95:
	v_add_co_u32 v35, vcc_lo, v35, 8
	v_add_co_ci_u32_e32 v36, vcc_lo, 0, v36, vcc_lo
	v_add_co_u32 v39, vcc_lo, v41, 8
	v_add_co_ci_u32_e32 v40, vcc_lo, 0, v42, vcc_lo
	s_add_u32 s4, s14, -1
	s_addc_u32 s5, s15, -1
	s_mov_b64 s[6:7], 0
	s_mov_b32 s27, 0
                                        ; implicit-def: $sgpr36
	s_set_inst_prefetch_distance 0x1
	s_branch .LBB1707_98
	.p2align	6
.LBB1707_96:                            ;   in Loop: Header=BB1707_98 Depth=1
	global_load_b64 v[41:42], v[39:40], off
	global_load_b64 v[44:45], v[35:36], off
	v_add_co_u32 v35, vcc_lo, v35, 8
	v_add_co_ci_u32_e32 v36, vcc_lo, 0, v36, vcc_lo
	v_add_co_u32 v39, s0, v39, 8
	s_delay_alu instid0(VALU_DEP_1)
	v_add_co_ci_u32_e64 v40, s0, 0, v40, s0
	s_add_u32 s6, s6, 1
	s_addc_u32 s7, s7, 0
	s_and_not1_b32 s0, s36, exec_lo
	s_waitcnt vmcnt(0)
	v_cmp_ne_u64_e32 vcc_lo, v[41:42], v[44:45]
	s_and_b32 s36, vcc_lo, exec_lo
	s_delay_alu instid0(SALU_CYCLE_1)
	s_or_b32 s36, s0, s36
.LBB1707_97:                            ;   in Loop: Header=BB1707_98 Depth=1
	v_dual_mov_b32 v42, s7 :: v_dual_mov_b32 v41, s6
	s_and_b32 s0, exec_lo, s36
	s_delay_alu instid0(SALU_CYCLE_1) | instskip(NEXT) | instid1(SALU_CYCLE_1)
	s_or_b32 s27, s0, s27
	s_and_not1_b32 exec_lo, exec_lo, s27
	s_cbranch_execz .LBB1707_100
.LBB1707_98:                            ; =>This Inner Loop Header: Depth=1
	s_or_b32 s36, s36, exec_lo
	s_cmp_eq_u64 s[4:5], s[6:7]
	s_cbranch_scc0 .LBB1707_96
; %bb.99:                               ;   in Loop: Header=BB1707_98 Depth=1
	s_mov_b64 s[6:7], s[14:15]
                                        ; implicit-def: $vgpr35_vgpr36
                                        ; implicit-def: $vgpr39_vgpr40
	s_branch .LBB1707_97
.LBB1707_100:
	s_set_inst_prefetch_distance 0x2
	s_or_b32 exec_lo, exec_lo, s27
	v_cmp_gt_i64_e32 vcc_lo, s[14:15], v[41:42]
	s_or_not1_b32 s27, vcc_lo, exec_lo
.LBB1707_101:
	s_or_b32 exec_lo, exec_lo, s35
.LBB1707_102:
	v_mul_lo_u32 v39, v30, s14
	v_mul_lo_u32 v40, v29, s15
	v_mad_u64_u32 v[35:36], null, v29, s14, 0
	s_and_not1_b32 vcc_lo, exec_lo, s13
	s_mov_b32 s0, 0
	s_delay_alu instid0(VALU_DEP_1) | instskip(NEXT) | instid1(VALU_DEP_1)
	v_add3_u32 v36, v36, v40, v39
	v_lshlrev_b64 v[35:36], 3, v[35:36]
	s_cbranch_vccnz .LBB1707_111
; %bb.103:
	s_delay_alu instid0(VALU_DEP_1) | instskip(NEXT) | instid1(VALU_DEP_2)
	v_add_co_u32 v39, vcc_lo, s20, v35
	v_add_co_ci_u32_e32 v40, vcc_lo, s21, v36, vcc_lo
	v_add_co_u32 v37, vcc_lo, s20, v37
	v_add_co_ci_u32_e32 v38, vcc_lo, s21, v38, vcc_lo
	s_mov_b32 s0, -1
	s_clause 0x1
	global_load_b64 v[41:42], v[39:40], off
	global_load_b64 v[44:45], v[37:38], off
	s_mov_b32 s35, exec_lo
	s_waitcnt vmcnt(0)
	v_cmpx_eq_u64_e64 v[41:42], v[44:45]
	s_cbranch_execz .LBB1707_110
; %bb.104:
	v_add_co_u32 v37, vcc_lo, v37, 8
	v_add_co_ci_u32_e32 v38, vcc_lo, 0, v38, vcc_lo
	v_add_co_u32 v39, vcc_lo, v39, 8
	v_add_co_ci_u32_e32 v40, vcc_lo, 0, v40, vcc_lo
	s_add_u32 s4, s14, -1
	s_addc_u32 s5, s15, -1
	s_mov_b64 s[6:7], 0
	s_mov_b32 s36, 0
                                        ; implicit-def: $sgpr37
	s_set_inst_prefetch_distance 0x1
	s_branch .LBB1707_107
	.p2align	6
.LBB1707_105:                           ;   in Loop: Header=BB1707_107 Depth=1
	global_load_b64 v[41:42], v[39:40], off
	global_load_b64 v[44:45], v[37:38], off
	v_add_co_u32 v37, vcc_lo, v37, 8
	v_add_co_ci_u32_e32 v38, vcc_lo, 0, v38, vcc_lo
	v_add_co_u32 v39, s0, v39, 8
	s_delay_alu instid0(VALU_DEP_1)
	v_add_co_ci_u32_e64 v40, s0, 0, v40, s0
	s_add_u32 s6, s6, 1
	s_addc_u32 s7, s7, 0
	s_and_not1_b32 s0, s37, exec_lo
	s_waitcnt vmcnt(0)
	v_cmp_ne_u64_e32 vcc_lo, v[41:42], v[44:45]
	s_and_b32 s37, vcc_lo, exec_lo
	s_delay_alu instid0(SALU_CYCLE_1)
	s_or_b32 s37, s0, s37
.LBB1707_106:                           ;   in Loop: Header=BB1707_107 Depth=1
	v_dual_mov_b32 v42, s7 :: v_dual_mov_b32 v41, s6
	s_and_b32 s0, exec_lo, s37
	s_delay_alu instid0(SALU_CYCLE_1) | instskip(NEXT) | instid1(SALU_CYCLE_1)
	s_or_b32 s36, s0, s36
	s_and_not1_b32 exec_lo, exec_lo, s36
	s_cbranch_execz .LBB1707_109
.LBB1707_107:                           ; =>This Inner Loop Header: Depth=1
	s_or_b32 s37, s37, exec_lo
	s_cmp_eq_u64 s[4:5], s[6:7]
	s_cbranch_scc0 .LBB1707_105
; %bb.108:                              ;   in Loop: Header=BB1707_107 Depth=1
	s_mov_b64 s[6:7], s[14:15]
                                        ; implicit-def: $vgpr37_vgpr38
                                        ; implicit-def: $vgpr39_vgpr40
	s_branch .LBB1707_106
.LBB1707_109:
	s_set_inst_prefetch_distance 0x2
	s_or_b32 exec_lo, exec_lo, s36
	v_cmp_gt_i64_e32 vcc_lo, s[14:15], v[41:42]
	s_or_not1_b32 s0, vcc_lo, exec_lo
.LBB1707_110:
	s_or_b32 exec_lo, exec_lo, s35
.LBB1707_111:
	s_waitcnt vmcnt(0)
	v_dual_mov_b32 v38, v34 :: v_dual_mov_b32 v37, v33
	s_waitcnt lgkmcnt(0)
	s_barrier
	buffer_gl0_inv
	s_and_saveexec_b32 s4, s3
	s_cbranch_execz .LBB1707_113
; %bb.112:
	v_add_nc_u32_e32 v37, -8, v55
	ds_load_b64 v[37:38], v37
.LBB1707_113:
	s_or_b32 exec_lo, exec_lo, s4
	v_cndmask_b32_e64 v40, 0, 1, s34
	v_cndmask_b32_e64 v42, 0, 1, s26
	;; [unrolled: 1-line block ×7, first 2 shown]
	v_lshlrev_b16 v40, 8, v40
	v_lshlrev_b16 v42, 8, v42
	;; [unrolled: 1-line block ×4, first 2 shown]
	s_mov_b32 s1, 0
	v_or_b32_e32 v39, v39, v40
	v_or_b32_e32 v40, v41, v42
	v_or_b32_e32 v46, v46, v44
	v_and_b32_e32 v41, 0xffff, v45
	s_and_not1_b32 vcc_lo, exec_lo, s13
	v_lshlrev_b32_e32 v42, 16, v39
	v_and_b32_e32 v44, 0xffff, v40
	v_lshlrev_b32_e32 v45, 16, v46
	s_mov_b32 s0, 0
	s_cbranch_vccnz .LBB1707_122
; %bb.114:
	s_waitcnt lgkmcnt(0)
	v_mul_lo_u32 v40, v38, s14
	v_mul_lo_u32 v46, v37, s15
	v_mad_u64_u32 v[38:39], null, v37, s14, 0
	s_mov_b32 s0, -1
	s_mov_b32 s24, exec_lo
	s_delay_alu instid0(VALU_DEP_1) | instskip(NEXT) | instid1(VALU_DEP_1)
	v_add3_u32 v39, v39, v46, v40
	v_lshlrev_b64 v[37:38], 3, v[38:39]
	s_delay_alu instid0(VALU_DEP_1) | instskip(NEXT) | instid1(VALU_DEP_2)
	v_add_co_u32 v37, vcc_lo, s20, v37
	v_add_co_ci_u32_e32 v38, vcc_lo, s21, v38, vcc_lo
	v_add_co_u32 v35, vcc_lo, s20, v35
	v_add_co_ci_u32_e32 v36, vcc_lo, s21, v36, vcc_lo
	s_clause 0x1
	global_load_b64 v[39:40], v[37:38], off
	global_load_b64 v[46:47], v[35:36], off
	s_waitcnt vmcnt(0)
	v_cmpx_eq_u64_e64 v[39:40], v[46:47]
	s_cbranch_execz .LBB1707_121
; %bb.115:
	v_add_co_u32 v35, vcc_lo, v35, 8
	v_add_co_ci_u32_e32 v36, vcc_lo, 0, v36, vcc_lo
	v_add_co_u32 v37, vcc_lo, v37, 8
	v_add_co_ci_u32_e32 v38, vcc_lo, 0, v38, vcc_lo
	s_add_u32 s4, s14, -1
	s_addc_u32 s5, s15, -1
	s_mov_b64 s[6:7], 0
	s_mov_b32 s25, 0
                                        ; implicit-def: $sgpr26
	s_set_inst_prefetch_distance 0x1
	s_branch .LBB1707_118
	.p2align	6
.LBB1707_116:                           ;   in Loop: Header=BB1707_118 Depth=1
	global_load_b64 v[39:40], v[37:38], off
	global_load_b64 v[46:47], v[35:36], off
	v_add_co_u32 v35, vcc_lo, v35, 8
	v_add_co_ci_u32_e32 v36, vcc_lo, 0, v36, vcc_lo
	v_add_co_u32 v37, s0, v37, 8
	s_delay_alu instid0(VALU_DEP_1)
	v_add_co_ci_u32_e64 v38, s0, 0, v38, s0
	s_add_u32 s6, s6, 1
	s_addc_u32 s7, s7, 0
	s_and_not1_b32 s0, s26, exec_lo
	s_waitcnt vmcnt(0)
	v_cmp_ne_u64_e32 vcc_lo, v[39:40], v[46:47]
	s_and_b32 s26, vcc_lo, exec_lo
	s_delay_alu instid0(SALU_CYCLE_1)
	s_or_b32 s26, s0, s26
.LBB1707_117:                           ;   in Loop: Header=BB1707_118 Depth=1
	v_dual_mov_b32 v40, s7 :: v_dual_mov_b32 v39, s6
	s_and_b32 s0, exec_lo, s26
	s_delay_alu instid0(SALU_CYCLE_1) | instskip(NEXT) | instid1(SALU_CYCLE_1)
	s_or_b32 s25, s0, s25
	s_and_not1_b32 exec_lo, exec_lo, s25
	s_cbranch_execz .LBB1707_120
.LBB1707_118:                           ; =>This Inner Loop Header: Depth=1
	s_or_b32 s26, s26, exec_lo
	s_cmp_eq_u64 s[4:5], s[6:7]
	s_cbranch_scc0 .LBB1707_116
; %bb.119:                              ;   in Loop: Header=BB1707_118 Depth=1
	s_mov_b64 s[6:7], s[14:15]
                                        ; implicit-def: $vgpr35_vgpr36
                                        ; implicit-def: $vgpr37_vgpr38
	s_branch .LBB1707_117
.LBB1707_120:
	s_set_inst_prefetch_distance 0x2
	s_or_b32 exec_lo, exec_lo, s25
	v_cmp_gt_i64_e32 vcc_lo, s[14:15], v[39:40]
	s_or_not1_b32 s0, vcc_lo, exec_lo
.LBB1707_121:
	s_or_b32 exec_lo, exec_lo, s24
.LBB1707_122:
	v_or_b32_e32 v35, v41, v42
	s_delay_alu instid0(VALU_DEP_2)
	v_or_b32_e32 v36, v44, v45
	s_and_b32 vcc_lo, exec_lo, s1
	s_cbranch_vccz .LBB1707_214
.LBB1707_123:
	v_or_b32_e32 v35, 7, v55
	s_mov_b32 s1, 0
	s_mov_b32 s24, 0
	s_mov_b32 s25, exec_lo
	s_delay_alu instid0(VALU_DEP_1)
	v_cmpx_gt_u32_e64 s31, v35
	s_cbranch_execz .LBB1707_134
; %bb.124:
	s_and_not1_b32 vcc_lo, exec_lo, s13
	s_mov_b32 s0, 0
	s_cbranch_vccnz .LBB1707_133
; %bb.125:
	v_mul_lo_u32 v39, v18, s14
	v_mul_lo_u32 v40, v17, s15
	v_mad_u64_u32 v[35:36], null, v17, s14, 0
	v_mul_lo_u32 v41, v20, s14
	v_mul_lo_u32 v42, v19, s15
	s_waitcnt lgkmcnt(0)
	v_mad_u64_u32 v[37:38], null, v19, s14, 0
	s_mov_b32 s0, -1
	s_mov_b32 s13, exec_lo
	s_delay_alu instid0(VALU_DEP_4) | instskip(NEXT) | instid1(VALU_DEP_2)
	v_add3_u32 v36, v36, v40, v39
	v_add3_u32 v38, v38, v42, v41
	s_delay_alu instid0(VALU_DEP_2) | instskip(NEXT) | instid1(VALU_DEP_2)
	v_lshlrev_b64 v[35:36], 3, v[35:36]
	v_lshlrev_b64 v[39:40], 3, v[37:38]
	s_delay_alu instid0(VALU_DEP_2) | instskip(NEXT) | instid1(VALU_DEP_3)
	v_add_co_u32 v37, vcc_lo, s20, v35
	v_add_co_ci_u32_e32 v38, vcc_lo, s21, v36, vcc_lo
	s_delay_alu instid0(VALU_DEP_3) | instskip(NEXT) | instid1(VALU_DEP_4)
	v_add_co_u32 v35, vcc_lo, s20, v39
	v_add_co_ci_u32_e32 v36, vcc_lo, s21, v40, vcc_lo
	s_clause 0x1
	global_load_b64 v[39:40], v[37:38], off
	global_load_b64 v[41:42], v[35:36], off
	s_waitcnt vmcnt(0)
	v_cmpx_eq_u64_e64 v[39:40], v[41:42]
	s_cbranch_execz .LBB1707_132
; %bb.126:
	v_add_co_u32 v35, vcc_lo, v35, 8
	v_add_co_ci_u32_e32 v36, vcc_lo, 0, v36, vcc_lo
	v_add_co_u32 v37, vcc_lo, v37, 8
	v_add_co_ci_u32_e32 v38, vcc_lo, 0, v38, vcc_lo
	s_add_u32 s4, s14, -1
	s_addc_u32 s5, s15, -1
	s_mov_b64 s[6:7], 0
                                        ; implicit-def: $sgpr26
	s_set_inst_prefetch_distance 0x1
	s_branch .LBB1707_129
	.p2align	6
.LBB1707_127:                           ;   in Loop: Header=BB1707_129 Depth=1
	global_load_b64 v[39:40], v[37:38], off
	global_load_b64 v[41:42], v[35:36], off
	v_add_co_u32 v35, vcc_lo, v35, 8
	v_add_co_ci_u32_e32 v36, vcc_lo, 0, v36, vcc_lo
	v_add_co_u32 v37, s0, v37, 8
	s_delay_alu instid0(VALU_DEP_1)
	v_add_co_ci_u32_e64 v38, s0, 0, v38, s0
	s_add_u32 s6, s6, 1
	s_addc_u32 s7, s7, 0
	s_and_not1_b32 s0, s26, exec_lo
	s_waitcnt vmcnt(0)
	v_cmp_ne_u64_e32 vcc_lo, v[39:40], v[41:42]
	s_and_b32 s26, vcc_lo, exec_lo
	s_delay_alu instid0(SALU_CYCLE_1)
	s_or_b32 s26, s0, s26
.LBB1707_128:                           ;   in Loop: Header=BB1707_129 Depth=1
	v_dual_mov_b32 v40, s7 :: v_dual_mov_b32 v39, s6
	s_and_b32 s0, exec_lo, s26
	s_delay_alu instid0(SALU_CYCLE_1) | instskip(NEXT) | instid1(SALU_CYCLE_1)
	s_or_b32 s24, s0, s24
	s_and_not1_b32 exec_lo, exec_lo, s24
	s_cbranch_execz .LBB1707_131
.LBB1707_129:                           ; =>This Inner Loop Header: Depth=1
	s_or_b32 s26, s26, exec_lo
	s_cmp_eq_u64 s[4:5], s[6:7]
	s_cbranch_scc0 .LBB1707_127
; %bb.130:                              ;   in Loop: Header=BB1707_129 Depth=1
	s_mov_b64 s[6:7], s[14:15]
                                        ; implicit-def: $vgpr35_vgpr36
                                        ; implicit-def: $vgpr37_vgpr38
	s_branch .LBB1707_128
.LBB1707_131:
	s_set_inst_prefetch_distance 0x2
	s_or_b32 exec_lo, exec_lo, s24
	v_cmp_gt_i64_e32 vcc_lo, s[14:15], v[39:40]
	s_or_not1_b32 s0, vcc_lo, exec_lo
.LBB1707_132:
	s_or_b32 exec_lo, exec_lo, s13
.LBB1707_133:
	s_delay_alu instid0(SALU_CYCLE_1)
	s_and_b32 s24, s0, exec_lo
.LBB1707_134:
	s_or_b32 exec_lo, exec_lo, s25
	v_or_b32_e32 v35, 6, v55
	s_mov_b32 s13, exec_lo
	s_delay_alu instid0(VALU_DEP_1)
	v_cmpx_gt_u32_e64 s31, v35
	s_cbranch_execz .LBB1707_145
; %bb.135:
	v_cmp_ne_u32_e32 vcc_lo, 1, v43
	s_mov_b32 s0, 0
	s_cbranch_vccnz .LBB1707_144
; %bb.136:
	v_mul_lo_u32 v39, v24, s14
	v_mul_lo_u32 v40, v23, s15
	v_mad_u64_u32 v[35:36], null, v23, s14, 0
	v_mul_lo_u32 v41, v18, s14
	v_mul_lo_u32 v42, v17, s15
	s_waitcnt lgkmcnt(0)
	v_mad_u64_u32 v[37:38], null, v17, s14, 0
	s_mov_b32 s0, -1
	s_mov_b32 s1, exec_lo
	s_delay_alu instid0(VALU_DEP_4) | instskip(NEXT) | instid1(VALU_DEP_2)
	v_add3_u32 v36, v36, v40, v39
	v_add3_u32 v38, v38, v42, v41
	s_delay_alu instid0(VALU_DEP_2) | instskip(NEXT) | instid1(VALU_DEP_2)
	v_lshlrev_b64 v[35:36], 3, v[35:36]
	v_lshlrev_b64 v[39:40], 3, v[37:38]
	s_delay_alu instid0(VALU_DEP_2) | instskip(NEXT) | instid1(VALU_DEP_3)
	v_add_co_u32 v37, vcc_lo, s20, v35
	v_add_co_ci_u32_e32 v38, vcc_lo, s21, v36, vcc_lo
	s_delay_alu instid0(VALU_DEP_3) | instskip(NEXT) | instid1(VALU_DEP_4)
	v_add_co_u32 v35, vcc_lo, s20, v39
	v_add_co_ci_u32_e32 v36, vcc_lo, s21, v40, vcc_lo
	s_clause 0x1
	global_load_b64 v[39:40], v[37:38], off
	global_load_b64 v[41:42], v[35:36], off
	s_waitcnt vmcnt(0)
	v_cmpx_eq_u64_e64 v[39:40], v[41:42]
	s_cbranch_execz .LBB1707_143
; %bb.137:
	v_add_co_u32 v35, vcc_lo, v35, 8
	v_add_co_ci_u32_e32 v36, vcc_lo, 0, v36, vcc_lo
	v_add_co_u32 v37, vcc_lo, v37, 8
	v_add_co_ci_u32_e32 v38, vcc_lo, 0, v38, vcc_lo
	s_add_u32 s4, s14, -1
	s_addc_u32 s5, s15, -1
	s_mov_b64 s[6:7], 0
	s_mov_b32 s25, 0
                                        ; implicit-def: $sgpr26
	s_set_inst_prefetch_distance 0x1
	s_branch .LBB1707_140
	.p2align	6
.LBB1707_138:                           ;   in Loop: Header=BB1707_140 Depth=1
	global_load_b64 v[39:40], v[37:38], off
	global_load_b64 v[41:42], v[35:36], off
	v_add_co_u32 v35, vcc_lo, v35, 8
	v_add_co_ci_u32_e32 v36, vcc_lo, 0, v36, vcc_lo
	v_add_co_u32 v37, s0, v37, 8
	s_delay_alu instid0(VALU_DEP_1)
	v_add_co_ci_u32_e64 v38, s0, 0, v38, s0
	s_add_u32 s6, s6, 1
	s_addc_u32 s7, s7, 0
	s_and_not1_b32 s0, s26, exec_lo
	s_waitcnt vmcnt(0)
	v_cmp_ne_u64_e32 vcc_lo, v[39:40], v[41:42]
	s_and_b32 s26, vcc_lo, exec_lo
	s_delay_alu instid0(SALU_CYCLE_1)
	s_or_b32 s26, s0, s26
.LBB1707_139:                           ;   in Loop: Header=BB1707_140 Depth=1
	v_dual_mov_b32 v40, s7 :: v_dual_mov_b32 v39, s6
	s_and_b32 s0, exec_lo, s26
	s_delay_alu instid0(SALU_CYCLE_1) | instskip(NEXT) | instid1(SALU_CYCLE_1)
	s_or_b32 s25, s0, s25
	s_and_not1_b32 exec_lo, exec_lo, s25
	s_cbranch_execz .LBB1707_142
.LBB1707_140:                           ; =>This Inner Loop Header: Depth=1
	s_or_b32 s26, s26, exec_lo
	s_cmp_eq_u64 s[4:5], s[6:7]
	s_cbranch_scc0 .LBB1707_138
; %bb.141:                              ;   in Loop: Header=BB1707_140 Depth=1
	s_mov_b64 s[6:7], s[14:15]
                                        ; implicit-def: $vgpr35_vgpr36
                                        ; implicit-def: $vgpr37_vgpr38
	s_branch .LBB1707_139
.LBB1707_142:
	s_set_inst_prefetch_distance 0x2
	s_or_b32 exec_lo, exec_lo, s25
	v_cmp_gt_i64_e32 vcc_lo, s[14:15], v[39:40]
	s_or_not1_b32 s0, vcc_lo, exec_lo
.LBB1707_143:
	s_or_b32 exec_lo, exec_lo, s1
.LBB1707_144:
	s_delay_alu instid0(SALU_CYCLE_1)
	s_and_b32 s1, s0, exec_lo
.LBB1707_145:
	s_or_b32 exec_lo, exec_lo, s13
	v_or_b32_e32 v35, 5, v55
	s_mov_b32 s25, 0
	s_mov_b32 s13, 0
	s_mov_b32 s26, exec_lo
	s_delay_alu instid0(VALU_DEP_1)
	v_cmpx_gt_u32_e64 s31, v35
	s_cbranch_execz .LBB1707_156
; %bb.146:
	v_cmp_ne_u32_e32 vcc_lo, 1, v43
	s_mov_b32 s0, 0
	s_cbranch_vccnz .LBB1707_155
; %bb.147:
	v_mul_lo_u32 v39, v22, s14
	v_mul_lo_u32 v40, v21, s15
	v_mad_u64_u32 v[35:36], null, v21, s14, 0
	v_mul_lo_u32 v41, v24, s14
	v_mul_lo_u32 v42, v23, s15
	s_waitcnt lgkmcnt(0)
	v_mad_u64_u32 v[37:38], null, v23, s14, 0
	s_mov_b32 s0, -1
	s_mov_b32 s13, exec_lo
	s_delay_alu instid0(VALU_DEP_4) | instskip(NEXT) | instid1(VALU_DEP_2)
	v_add3_u32 v36, v36, v40, v39
	v_add3_u32 v38, v38, v42, v41
	s_delay_alu instid0(VALU_DEP_2) | instskip(NEXT) | instid1(VALU_DEP_2)
	v_lshlrev_b64 v[35:36], 3, v[35:36]
	v_lshlrev_b64 v[39:40], 3, v[37:38]
	s_delay_alu instid0(VALU_DEP_2) | instskip(NEXT) | instid1(VALU_DEP_3)
	v_add_co_u32 v37, vcc_lo, s20, v35
	v_add_co_ci_u32_e32 v38, vcc_lo, s21, v36, vcc_lo
	s_delay_alu instid0(VALU_DEP_3) | instskip(NEXT) | instid1(VALU_DEP_4)
	v_add_co_u32 v35, vcc_lo, s20, v39
	v_add_co_ci_u32_e32 v36, vcc_lo, s21, v40, vcc_lo
	s_clause 0x1
	global_load_b64 v[39:40], v[37:38], off
	global_load_b64 v[41:42], v[35:36], off
	s_waitcnt vmcnt(0)
	v_cmpx_eq_u64_e64 v[39:40], v[41:42]
	s_cbranch_execz .LBB1707_154
; %bb.148:
	v_add_co_u32 v35, vcc_lo, v35, 8
	v_add_co_ci_u32_e32 v36, vcc_lo, 0, v36, vcc_lo
	v_add_co_u32 v37, vcc_lo, v37, 8
	v_add_co_ci_u32_e32 v38, vcc_lo, 0, v38, vcc_lo
	s_add_u32 s4, s14, -1
	s_addc_u32 s5, s15, -1
	s_mov_b64 s[6:7], 0
	s_mov_b32 s27, 0
                                        ; implicit-def: $sgpr34
	s_set_inst_prefetch_distance 0x1
	s_branch .LBB1707_151
	.p2align	6
.LBB1707_149:                           ;   in Loop: Header=BB1707_151 Depth=1
	global_load_b64 v[39:40], v[37:38], off
	global_load_b64 v[41:42], v[35:36], off
	v_add_co_u32 v35, vcc_lo, v35, 8
	v_add_co_ci_u32_e32 v36, vcc_lo, 0, v36, vcc_lo
	v_add_co_u32 v37, s0, v37, 8
	s_delay_alu instid0(VALU_DEP_1)
	v_add_co_ci_u32_e64 v38, s0, 0, v38, s0
	s_add_u32 s6, s6, 1
	s_addc_u32 s7, s7, 0
	s_and_not1_b32 s0, s34, exec_lo
	s_waitcnt vmcnt(0)
	v_cmp_ne_u64_e32 vcc_lo, v[39:40], v[41:42]
	s_and_b32 s34, vcc_lo, exec_lo
	s_delay_alu instid0(SALU_CYCLE_1)
	s_or_b32 s34, s0, s34
.LBB1707_150:                           ;   in Loop: Header=BB1707_151 Depth=1
	v_dual_mov_b32 v40, s7 :: v_dual_mov_b32 v39, s6
	s_and_b32 s0, exec_lo, s34
	s_delay_alu instid0(SALU_CYCLE_1) | instskip(NEXT) | instid1(SALU_CYCLE_1)
	s_or_b32 s27, s0, s27
	s_and_not1_b32 exec_lo, exec_lo, s27
	s_cbranch_execz .LBB1707_153
.LBB1707_151:                           ; =>This Inner Loop Header: Depth=1
	s_or_b32 s34, s34, exec_lo
	s_cmp_eq_u64 s[4:5], s[6:7]
	s_cbranch_scc0 .LBB1707_149
; %bb.152:                              ;   in Loop: Header=BB1707_151 Depth=1
	s_mov_b64 s[6:7], s[14:15]
                                        ; implicit-def: $vgpr35_vgpr36
                                        ; implicit-def: $vgpr37_vgpr38
	s_branch .LBB1707_150
.LBB1707_153:
	s_set_inst_prefetch_distance 0x2
	s_or_b32 exec_lo, exec_lo, s27
	v_cmp_gt_i64_e32 vcc_lo, s[14:15], v[39:40]
	s_or_not1_b32 s0, vcc_lo, exec_lo
.LBB1707_154:
	s_or_b32 exec_lo, exec_lo, s13
.LBB1707_155:
	s_delay_alu instid0(SALU_CYCLE_1)
	s_and_b32 s13, s0, exec_lo
.LBB1707_156:
	s_or_b32 exec_lo, exec_lo, s26
	v_or_b32_e32 v35, 4, v55
	s_mov_b32 s26, exec_lo
	s_delay_alu instid0(VALU_DEP_1)
	v_cmpx_gt_u32_e64 s31, v35
	s_cbranch_execz .LBB1707_167
; %bb.157:
	v_cmp_ne_u32_e32 vcc_lo, 1, v43
	s_mov_b32 s0, 0
	s_cbranch_vccnz .LBB1707_166
; %bb.158:
	v_mul_lo_u32 v39, v28, s14
	v_mul_lo_u32 v40, v27, s15
	v_mad_u64_u32 v[35:36], null, v27, s14, 0
	v_mul_lo_u32 v41, v22, s14
	v_mul_lo_u32 v42, v21, s15
	s_waitcnt lgkmcnt(0)
	v_mad_u64_u32 v[37:38], null, v21, s14, 0
	s_mov_b32 s0, -1
	s_mov_b32 s25, exec_lo
	s_delay_alu instid0(VALU_DEP_4) | instskip(NEXT) | instid1(VALU_DEP_2)
	v_add3_u32 v36, v36, v40, v39
	v_add3_u32 v38, v38, v42, v41
	s_delay_alu instid0(VALU_DEP_2) | instskip(NEXT) | instid1(VALU_DEP_2)
	v_lshlrev_b64 v[35:36], 3, v[35:36]
	v_lshlrev_b64 v[39:40], 3, v[37:38]
	s_delay_alu instid0(VALU_DEP_2) | instskip(NEXT) | instid1(VALU_DEP_3)
	v_add_co_u32 v37, vcc_lo, s20, v35
	v_add_co_ci_u32_e32 v38, vcc_lo, s21, v36, vcc_lo
	s_delay_alu instid0(VALU_DEP_3) | instskip(NEXT) | instid1(VALU_DEP_4)
	v_add_co_u32 v35, vcc_lo, s20, v39
	v_add_co_ci_u32_e32 v36, vcc_lo, s21, v40, vcc_lo
	s_clause 0x1
	global_load_b64 v[39:40], v[37:38], off
	global_load_b64 v[41:42], v[35:36], off
	s_waitcnt vmcnt(0)
	v_cmpx_eq_u64_e64 v[39:40], v[41:42]
	s_cbranch_execz .LBB1707_165
; %bb.159:
	v_add_co_u32 v35, vcc_lo, v35, 8
	v_add_co_ci_u32_e32 v36, vcc_lo, 0, v36, vcc_lo
	v_add_co_u32 v37, vcc_lo, v37, 8
	v_add_co_ci_u32_e32 v38, vcc_lo, 0, v38, vcc_lo
	s_add_u32 s4, s14, -1
	s_addc_u32 s5, s15, -1
	s_mov_b64 s[6:7], 0
	s_mov_b32 s27, 0
                                        ; implicit-def: $sgpr34
	s_set_inst_prefetch_distance 0x1
	s_branch .LBB1707_162
	.p2align	6
.LBB1707_160:                           ;   in Loop: Header=BB1707_162 Depth=1
	global_load_b64 v[39:40], v[37:38], off
	global_load_b64 v[41:42], v[35:36], off
	v_add_co_u32 v35, vcc_lo, v35, 8
	v_add_co_ci_u32_e32 v36, vcc_lo, 0, v36, vcc_lo
	v_add_co_u32 v37, s0, v37, 8
	s_delay_alu instid0(VALU_DEP_1)
	v_add_co_ci_u32_e64 v38, s0, 0, v38, s0
	s_add_u32 s6, s6, 1
	s_addc_u32 s7, s7, 0
	s_and_not1_b32 s0, s34, exec_lo
	s_waitcnt vmcnt(0)
	v_cmp_ne_u64_e32 vcc_lo, v[39:40], v[41:42]
	s_and_b32 s34, vcc_lo, exec_lo
	s_delay_alu instid0(SALU_CYCLE_1)
	s_or_b32 s34, s0, s34
.LBB1707_161:                           ;   in Loop: Header=BB1707_162 Depth=1
	v_dual_mov_b32 v40, s7 :: v_dual_mov_b32 v39, s6
	s_and_b32 s0, exec_lo, s34
	s_delay_alu instid0(SALU_CYCLE_1) | instskip(NEXT) | instid1(SALU_CYCLE_1)
	s_or_b32 s27, s0, s27
	s_and_not1_b32 exec_lo, exec_lo, s27
	s_cbranch_execz .LBB1707_164
.LBB1707_162:                           ; =>This Inner Loop Header: Depth=1
	s_or_b32 s34, s34, exec_lo
	s_cmp_eq_u64 s[4:5], s[6:7]
	s_cbranch_scc0 .LBB1707_160
; %bb.163:                              ;   in Loop: Header=BB1707_162 Depth=1
	s_mov_b64 s[6:7], s[14:15]
                                        ; implicit-def: $vgpr35_vgpr36
                                        ; implicit-def: $vgpr37_vgpr38
	s_branch .LBB1707_161
.LBB1707_164:
	s_set_inst_prefetch_distance 0x2
	s_or_b32 exec_lo, exec_lo, s27
	v_cmp_gt_i64_e32 vcc_lo, s[14:15], v[39:40]
	s_or_not1_b32 s0, vcc_lo, exec_lo
.LBB1707_165:
	s_or_b32 exec_lo, exec_lo, s25
.LBB1707_166:
	s_delay_alu instid0(SALU_CYCLE_1)
	s_and_b32 s25, s0, exec_lo
.LBB1707_167:
	s_or_b32 exec_lo, exec_lo, s26
	v_or_b32_e32 v35, 3, v55
	s_mov_b32 s27, 0
	s_mov_b32 s26, 0
	s_mov_b32 s34, exec_lo
	s_delay_alu instid0(VALU_DEP_1)
	v_cmpx_gt_u32_e64 s31, v35
	s_cbranch_execz .LBB1707_178
; %bb.168:
	v_cmp_ne_u32_e32 vcc_lo, 1, v43
	s_mov_b32 s0, 0
	s_cbranch_vccnz .LBB1707_177
; %bb.169:
	v_mul_lo_u32 v39, v26, s14
	v_mul_lo_u32 v40, v25, s15
	v_mad_u64_u32 v[35:36], null, v25, s14, 0
	v_mul_lo_u32 v41, v28, s14
	v_mul_lo_u32 v42, v27, s15
	s_waitcnt lgkmcnt(0)
	v_mad_u64_u32 v[37:38], null, v27, s14, 0
	s_mov_b32 s0, -1
	s_mov_b32 s26, exec_lo
	s_delay_alu instid0(VALU_DEP_4) | instskip(NEXT) | instid1(VALU_DEP_2)
	v_add3_u32 v36, v36, v40, v39
	v_add3_u32 v38, v38, v42, v41
	s_delay_alu instid0(VALU_DEP_2) | instskip(NEXT) | instid1(VALU_DEP_2)
	v_lshlrev_b64 v[35:36], 3, v[35:36]
	v_lshlrev_b64 v[39:40], 3, v[37:38]
	s_delay_alu instid0(VALU_DEP_2) | instskip(NEXT) | instid1(VALU_DEP_3)
	v_add_co_u32 v37, vcc_lo, s20, v35
	v_add_co_ci_u32_e32 v38, vcc_lo, s21, v36, vcc_lo
	s_delay_alu instid0(VALU_DEP_3) | instskip(NEXT) | instid1(VALU_DEP_4)
	v_add_co_u32 v35, vcc_lo, s20, v39
	v_add_co_ci_u32_e32 v36, vcc_lo, s21, v40, vcc_lo
	s_clause 0x1
	global_load_b64 v[39:40], v[37:38], off
	global_load_b64 v[41:42], v[35:36], off
	s_waitcnt vmcnt(0)
	v_cmpx_eq_u64_e64 v[39:40], v[41:42]
	s_cbranch_execz .LBB1707_176
; %bb.170:
	v_add_co_u32 v35, vcc_lo, v35, 8
	v_add_co_ci_u32_e32 v36, vcc_lo, 0, v36, vcc_lo
	v_add_co_u32 v37, vcc_lo, v37, 8
	v_add_co_ci_u32_e32 v38, vcc_lo, 0, v38, vcc_lo
	s_add_u32 s4, s14, -1
	s_addc_u32 s5, s15, -1
	s_mov_b64 s[6:7], 0
	s_mov_b32 s35, 0
                                        ; implicit-def: $sgpr36
	s_set_inst_prefetch_distance 0x1
	s_branch .LBB1707_173
	.p2align	6
.LBB1707_171:                           ;   in Loop: Header=BB1707_173 Depth=1
	global_load_b64 v[39:40], v[37:38], off
	global_load_b64 v[41:42], v[35:36], off
	v_add_co_u32 v35, vcc_lo, v35, 8
	v_add_co_ci_u32_e32 v36, vcc_lo, 0, v36, vcc_lo
	v_add_co_u32 v37, s0, v37, 8
	s_delay_alu instid0(VALU_DEP_1)
	v_add_co_ci_u32_e64 v38, s0, 0, v38, s0
	s_add_u32 s6, s6, 1
	s_addc_u32 s7, s7, 0
	s_and_not1_b32 s0, s36, exec_lo
	s_waitcnt vmcnt(0)
	v_cmp_ne_u64_e32 vcc_lo, v[39:40], v[41:42]
	s_and_b32 s36, vcc_lo, exec_lo
	s_delay_alu instid0(SALU_CYCLE_1)
	s_or_b32 s36, s0, s36
.LBB1707_172:                           ;   in Loop: Header=BB1707_173 Depth=1
	v_dual_mov_b32 v40, s7 :: v_dual_mov_b32 v39, s6
	s_and_b32 s0, exec_lo, s36
	s_delay_alu instid0(SALU_CYCLE_1) | instskip(NEXT) | instid1(SALU_CYCLE_1)
	s_or_b32 s35, s0, s35
	s_and_not1_b32 exec_lo, exec_lo, s35
	s_cbranch_execz .LBB1707_175
.LBB1707_173:                           ; =>This Inner Loop Header: Depth=1
	s_or_b32 s36, s36, exec_lo
	s_cmp_eq_u64 s[4:5], s[6:7]
	s_cbranch_scc0 .LBB1707_171
; %bb.174:                              ;   in Loop: Header=BB1707_173 Depth=1
	s_mov_b64 s[6:7], s[14:15]
                                        ; implicit-def: $vgpr35_vgpr36
                                        ; implicit-def: $vgpr37_vgpr38
	s_branch .LBB1707_172
.LBB1707_175:
	s_set_inst_prefetch_distance 0x2
	s_or_b32 exec_lo, exec_lo, s35
	v_cmp_gt_i64_e32 vcc_lo, s[14:15], v[39:40]
	s_or_not1_b32 s0, vcc_lo, exec_lo
.LBB1707_176:
	s_or_b32 exec_lo, exec_lo, s26
.LBB1707_177:
	s_delay_alu instid0(SALU_CYCLE_1)
	s_and_b32 s26, s0, exec_lo
.LBB1707_178:
	s_or_b32 exec_lo, exec_lo, s34
	v_or_b32_e32 v35, 2, v55
	s_mov_b32 s34, exec_lo
	s_delay_alu instid0(VALU_DEP_1)
	v_cmpx_gt_u32_e64 s31, v35
	s_cbranch_execz .LBB1707_189
; %bb.179:
	v_cmp_ne_u32_e32 vcc_lo, 1, v43
	s_mov_b32 s0, 0
	s_cbranch_vccnz .LBB1707_188
; %bb.180:
	v_mul_lo_u32 v39, v32, s14
	v_mul_lo_u32 v40, v31, s15
	v_mad_u64_u32 v[35:36], null, v31, s14, 0
	v_mul_lo_u32 v41, v26, s14
	v_mul_lo_u32 v42, v25, s15
	s_waitcnt lgkmcnt(0)
	v_mad_u64_u32 v[37:38], null, v25, s14, 0
	s_mov_b32 s0, -1
	s_mov_b32 s27, exec_lo
	s_delay_alu instid0(VALU_DEP_4) | instskip(NEXT) | instid1(VALU_DEP_2)
	v_add3_u32 v36, v36, v40, v39
	v_add3_u32 v38, v38, v42, v41
	s_delay_alu instid0(VALU_DEP_2) | instskip(NEXT) | instid1(VALU_DEP_2)
	v_lshlrev_b64 v[35:36], 3, v[35:36]
	v_lshlrev_b64 v[39:40], 3, v[37:38]
	s_delay_alu instid0(VALU_DEP_2) | instskip(NEXT) | instid1(VALU_DEP_3)
	v_add_co_u32 v37, vcc_lo, s20, v35
	v_add_co_ci_u32_e32 v38, vcc_lo, s21, v36, vcc_lo
	s_delay_alu instid0(VALU_DEP_3) | instskip(NEXT) | instid1(VALU_DEP_4)
	v_add_co_u32 v35, vcc_lo, s20, v39
	v_add_co_ci_u32_e32 v36, vcc_lo, s21, v40, vcc_lo
	s_clause 0x1
	global_load_b64 v[39:40], v[37:38], off
	global_load_b64 v[41:42], v[35:36], off
	s_waitcnt vmcnt(0)
	v_cmpx_eq_u64_e64 v[39:40], v[41:42]
	s_cbranch_execz .LBB1707_187
; %bb.181:
	v_add_co_u32 v35, vcc_lo, v35, 8
	v_add_co_ci_u32_e32 v36, vcc_lo, 0, v36, vcc_lo
	v_add_co_u32 v37, vcc_lo, v37, 8
	v_add_co_ci_u32_e32 v38, vcc_lo, 0, v38, vcc_lo
	s_add_u32 s4, s14, -1
	s_addc_u32 s5, s15, -1
	s_mov_b64 s[6:7], 0
	s_mov_b32 s35, 0
                                        ; implicit-def: $sgpr36
	s_set_inst_prefetch_distance 0x1
	s_branch .LBB1707_184
	.p2align	6
.LBB1707_182:                           ;   in Loop: Header=BB1707_184 Depth=1
	global_load_b64 v[39:40], v[37:38], off
	global_load_b64 v[41:42], v[35:36], off
	v_add_co_u32 v35, vcc_lo, v35, 8
	v_add_co_ci_u32_e32 v36, vcc_lo, 0, v36, vcc_lo
	v_add_co_u32 v37, s0, v37, 8
	s_delay_alu instid0(VALU_DEP_1)
	v_add_co_ci_u32_e64 v38, s0, 0, v38, s0
	s_add_u32 s6, s6, 1
	s_addc_u32 s7, s7, 0
	s_and_not1_b32 s0, s36, exec_lo
	s_waitcnt vmcnt(0)
	v_cmp_ne_u64_e32 vcc_lo, v[39:40], v[41:42]
	s_and_b32 s36, vcc_lo, exec_lo
	s_delay_alu instid0(SALU_CYCLE_1)
	s_or_b32 s36, s0, s36
.LBB1707_183:                           ;   in Loop: Header=BB1707_184 Depth=1
	v_dual_mov_b32 v40, s7 :: v_dual_mov_b32 v39, s6
	s_and_b32 s0, exec_lo, s36
	s_delay_alu instid0(SALU_CYCLE_1) | instskip(NEXT) | instid1(SALU_CYCLE_1)
	s_or_b32 s35, s0, s35
	s_and_not1_b32 exec_lo, exec_lo, s35
	s_cbranch_execz .LBB1707_186
.LBB1707_184:                           ; =>This Inner Loop Header: Depth=1
	s_or_b32 s36, s36, exec_lo
	s_cmp_eq_u64 s[4:5], s[6:7]
	s_cbranch_scc0 .LBB1707_182
; %bb.185:                              ;   in Loop: Header=BB1707_184 Depth=1
	s_mov_b64 s[6:7], s[14:15]
                                        ; implicit-def: $vgpr35_vgpr36
                                        ; implicit-def: $vgpr37_vgpr38
	s_branch .LBB1707_183
.LBB1707_186:
	s_set_inst_prefetch_distance 0x2
	s_or_b32 exec_lo, exec_lo, s35
	v_cmp_gt_i64_e32 vcc_lo, s[14:15], v[39:40]
	s_or_not1_b32 s0, vcc_lo, exec_lo
.LBB1707_187:
	s_or_b32 exec_lo, exec_lo, s27
.LBB1707_188:
	s_delay_alu instid0(SALU_CYCLE_1)
	s_and_b32 s27, s0, exec_lo
.LBB1707_189:
	s_or_b32 exec_lo, exec_lo, s34
	v_or_b32_e32 v35, 1, v55
	s_mov_b32 s0, 0
	s_mov_b32 s34, exec_lo
	s_delay_alu instid0(VALU_DEP_1)
	v_cmpx_gt_u32_e64 s31, v35
	s_cbranch_execz .LBB1707_200
; %bb.190:
	v_cmp_ne_u32_e32 vcc_lo, 1, v43
	s_cbranch_vccnz .LBB1707_199
; %bb.191:
	v_mul_lo_u32 v39, v30, s14
	v_mul_lo_u32 v40, v29, s15
	v_mad_u64_u32 v[35:36], null, v29, s14, 0
	v_mul_lo_u32 v41, v32, s14
	v_mul_lo_u32 v42, v31, s15
	s_waitcnt lgkmcnt(0)
	v_mad_u64_u32 v[37:38], null, v31, s14, 0
	s_mov_b32 s0, -1
	s_mov_b32 s35, exec_lo
	s_delay_alu instid0(VALU_DEP_4) | instskip(NEXT) | instid1(VALU_DEP_2)
	v_add3_u32 v36, v36, v40, v39
	v_add3_u32 v38, v38, v42, v41
	s_delay_alu instid0(VALU_DEP_2) | instskip(NEXT) | instid1(VALU_DEP_2)
	v_lshlrev_b64 v[35:36], 3, v[35:36]
	v_lshlrev_b64 v[39:40], 3, v[37:38]
	s_delay_alu instid0(VALU_DEP_2) | instskip(NEXT) | instid1(VALU_DEP_3)
	v_add_co_u32 v37, vcc_lo, s20, v35
	v_add_co_ci_u32_e32 v38, vcc_lo, s21, v36, vcc_lo
	s_delay_alu instid0(VALU_DEP_3) | instskip(NEXT) | instid1(VALU_DEP_4)
	v_add_co_u32 v35, vcc_lo, s20, v39
	v_add_co_ci_u32_e32 v36, vcc_lo, s21, v40, vcc_lo
	s_clause 0x1
	global_load_b64 v[39:40], v[37:38], off
	global_load_b64 v[41:42], v[35:36], off
	s_waitcnt vmcnt(0)
	v_cmpx_eq_u64_e64 v[39:40], v[41:42]
	s_cbranch_execz .LBB1707_198
; %bb.192:
	v_add_co_u32 v35, vcc_lo, v35, 8
	v_add_co_ci_u32_e32 v36, vcc_lo, 0, v36, vcc_lo
	v_add_co_u32 v37, vcc_lo, v37, 8
	v_add_co_ci_u32_e32 v38, vcc_lo, 0, v38, vcc_lo
	s_add_u32 s4, s14, -1
	s_addc_u32 s5, s15, -1
	s_mov_b64 s[6:7], 0
	s_mov_b32 s36, 0
                                        ; implicit-def: $sgpr37
	s_set_inst_prefetch_distance 0x1
	s_branch .LBB1707_195
	.p2align	6
.LBB1707_193:                           ;   in Loop: Header=BB1707_195 Depth=1
	global_load_b64 v[39:40], v[37:38], off
	global_load_b64 v[41:42], v[35:36], off
	v_add_co_u32 v35, vcc_lo, v35, 8
	v_add_co_ci_u32_e32 v36, vcc_lo, 0, v36, vcc_lo
	v_add_co_u32 v37, s0, v37, 8
	s_delay_alu instid0(VALU_DEP_1)
	v_add_co_ci_u32_e64 v38, s0, 0, v38, s0
	s_add_u32 s6, s6, 1
	s_addc_u32 s7, s7, 0
	s_and_not1_b32 s0, s37, exec_lo
	s_waitcnt vmcnt(0)
	v_cmp_ne_u64_e32 vcc_lo, v[39:40], v[41:42]
	s_and_b32 s37, vcc_lo, exec_lo
	s_delay_alu instid0(SALU_CYCLE_1)
	s_or_b32 s37, s0, s37
.LBB1707_194:                           ;   in Loop: Header=BB1707_195 Depth=1
	v_dual_mov_b32 v40, s7 :: v_dual_mov_b32 v39, s6
	s_and_b32 s0, exec_lo, s37
	s_delay_alu instid0(SALU_CYCLE_1) | instskip(NEXT) | instid1(SALU_CYCLE_1)
	s_or_b32 s36, s0, s36
	s_and_not1_b32 exec_lo, exec_lo, s36
	s_cbranch_execz .LBB1707_197
.LBB1707_195:                           ; =>This Inner Loop Header: Depth=1
	s_or_b32 s37, s37, exec_lo
	s_cmp_eq_u64 s[4:5], s[6:7]
	s_cbranch_scc0 .LBB1707_193
; %bb.196:                              ;   in Loop: Header=BB1707_195 Depth=1
	s_mov_b64 s[6:7], s[14:15]
                                        ; implicit-def: $vgpr35_vgpr36
                                        ; implicit-def: $vgpr37_vgpr38
	s_branch .LBB1707_194
.LBB1707_197:
	s_set_inst_prefetch_distance 0x2
	s_or_b32 exec_lo, exec_lo, s36
	v_cmp_gt_i64_e32 vcc_lo, s[14:15], v[39:40]
	s_or_not1_b32 s0, vcc_lo, exec_lo
.LBB1707_198:
	s_or_b32 exec_lo, exec_lo, s35
.LBB1707_199:
	s_delay_alu instid0(SALU_CYCLE_1)
	s_and_b32 s0, s0, exec_lo
.LBB1707_200:
	s_or_b32 exec_lo, exec_lo, s34
	s_waitcnt vmcnt(0) lgkmcnt(0)
	s_barrier
	buffer_gl0_inv
	s_and_saveexec_b32 s4, s3
	s_cbranch_execz .LBB1707_202
; %bb.201:
	v_add_nc_u32_e32 v33, -8, v55
	ds_load_b64 v[33:34], v33
.LBB1707_202:
	s_or_b32 exec_lo, exec_lo, s4
	v_cndmask_b32_e64 v36, 0, 1, s26
	v_cndmask_b32_e64 v38, 0, 1, s13
	;; [unrolled: 1-line block ×7, first 2 shown]
	v_lshlrev_b16 v36, 8, v36
	v_lshlrev_b16 v38, 8, v38
	;; [unrolled: 1-line block ×3, first 2 shown]
	s_mov_b32 s0, 0
	v_lshlrev_b16 v41, 8, v41
	v_or_b32_e32 v35, v35, v36
	v_or_b32_e32 v36, v37, v38
	;; [unrolled: 1-line block ×3, first 2 shown]
	s_mov_b32 s1, exec_lo
	v_and_b32_e32 v39, 0xffff, v41
	v_lshlrev_b32_e32 v40, 16, v35
	v_and_b32_e32 v41, 0xffff, v36
	v_lshlrev_b32_e32 v42, 16, v37
	v_cmpx_gt_u32_e64 s31, v55
	s_cbranch_execz .LBB1707_213
; %bb.203:
	v_cmp_ne_u32_e32 vcc_lo, 1, v43
	s_cbranch_vccnz .LBB1707_212
; %bb.204:
	s_waitcnt lgkmcnt(0)
	v_mul_lo_u32 v38, v34, s14
	v_mul_lo_u32 v43, v33, s15
	v_mad_u64_u32 v[34:35], null, v33, s14, 0
	v_mul_lo_u32 v33, v30, s14
	v_mul_lo_u32 v44, v29, s15
	v_mad_u64_u32 v[36:37], null, v29, s14, 0
	s_mov_b32 s0, -1
	s_mov_b32 s13, exec_lo
	s_delay_alu instid0(VALU_DEP_4) | instskip(NEXT) | instid1(VALU_DEP_2)
	v_add3_u32 v35, v35, v43, v38
	v_add3_u32 v37, v37, v44, v33
	s_delay_alu instid0(VALU_DEP_2) | instskip(NEXT) | instid1(VALU_DEP_2)
	v_lshlrev_b64 v[33:34], 3, v[34:35]
	v_lshlrev_b64 v[37:38], 3, v[36:37]
	s_delay_alu instid0(VALU_DEP_2) | instskip(NEXT) | instid1(VALU_DEP_3)
	v_add_co_u32 v35, vcc_lo, s20, v33
	v_add_co_ci_u32_e32 v36, vcc_lo, s21, v34, vcc_lo
	s_delay_alu instid0(VALU_DEP_3) | instskip(NEXT) | instid1(VALU_DEP_4)
	v_add_co_u32 v33, vcc_lo, s20, v37
	v_add_co_ci_u32_e32 v34, vcc_lo, s21, v38, vcc_lo
	s_clause 0x1
	global_load_b64 v[37:38], v[35:36], off
	global_load_b64 v[43:44], v[33:34], off
	s_waitcnt vmcnt(0)
	v_cmpx_eq_u64_e64 v[37:38], v[43:44]
	s_cbranch_execz .LBB1707_211
; %bb.205:
	v_add_co_u32 v33, vcc_lo, v33, 8
	v_add_co_ci_u32_e32 v34, vcc_lo, 0, v34, vcc_lo
	v_add_co_u32 v35, vcc_lo, v35, 8
	v_add_co_ci_u32_e32 v36, vcc_lo, 0, v36, vcc_lo
	s_add_u32 s4, s14, -1
	s_addc_u32 s5, s15, -1
	s_mov_b64 s[6:7], 0
	s_mov_b32 s24, 0
                                        ; implicit-def: $sgpr25
	s_set_inst_prefetch_distance 0x1
	s_branch .LBB1707_208
	.p2align	6
.LBB1707_206:                           ;   in Loop: Header=BB1707_208 Depth=1
	global_load_b64 v[37:38], v[35:36], off
	global_load_b64 v[43:44], v[33:34], off
	v_add_co_u32 v33, vcc_lo, v33, 8
	v_add_co_ci_u32_e32 v34, vcc_lo, 0, v34, vcc_lo
	v_add_co_u32 v35, s0, v35, 8
	s_delay_alu instid0(VALU_DEP_1)
	v_add_co_ci_u32_e64 v36, s0, 0, v36, s0
	s_add_u32 s6, s6, 1
	s_addc_u32 s7, s7, 0
	s_and_not1_b32 s0, s25, exec_lo
	s_waitcnt vmcnt(0)
	v_cmp_ne_u64_e32 vcc_lo, v[37:38], v[43:44]
	s_and_b32 s25, vcc_lo, exec_lo
	s_delay_alu instid0(SALU_CYCLE_1)
	s_or_b32 s25, s0, s25
.LBB1707_207:                           ;   in Loop: Header=BB1707_208 Depth=1
	v_dual_mov_b32 v38, s7 :: v_dual_mov_b32 v37, s6
	s_and_b32 s0, exec_lo, s25
	s_delay_alu instid0(SALU_CYCLE_1) | instskip(NEXT) | instid1(SALU_CYCLE_1)
	s_or_b32 s24, s0, s24
	s_and_not1_b32 exec_lo, exec_lo, s24
	s_cbranch_execz .LBB1707_210
.LBB1707_208:                           ; =>This Inner Loop Header: Depth=1
	s_or_b32 s25, s25, exec_lo
	s_cmp_eq_u64 s[4:5], s[6:7]
	s_cbranch_scc0 .LBB1707_206
; %bb.209:                              ;   in Loop: Header=BB1707_208 Depth=1
	s_mov_b64 s[6:7], s[14:15]
                                        ; implicit-def: $vgpr33_vgpr34
                                        ; implicit-def: $vgpr35_vgpr36
	s_branch .LBB1707_207
.LBB1707_210:
	s_set_inst_prefetch_distance 0x2
	s_or_b32 exec_lo, exec_lo, s24
	v_cmp_gt_i64_e32 vcc_lo, s[14:15], v[37:38]
	s_or_not1_b32 s0, vcc_lo, exec_lo
.LBB1707_211:
	s_or_b32 exec_lo, exec_lo, s13
.LBB1707_212:
	s_delay_alu instid0(SALU_CYCLE_1)
	s_and_b32 s0, s0, exec_lo
.LBB1707_213:
	s_or_b32 exec_lo, exec_lo, s1
	v_or_b32_e32 v35, v39, v40
	v_or_b32_e32 v36, v41, v42
.LBB1707_214:
	s_mov_b32 s1, -1
	s_cbranch_execnz .LBB1707_383
.LBB1707_215:
	v_cmp_gt_i64_e64 s13, s[14:15], 0
	s_and_b32 vcc_lo, exec_lo, s29
	ds_store_b64 v55, v[19:20]
	s_cbranch_vccz .LBB1707_223
; %bb.216:
	v_mul_lo_u32 v35, v18, s14
	v_mul_lo_u32 v36, v17, s15
	s_waitcnt vmcnt(0) lgkmcnt(1)
	v_mad_u64_u32 v[33:34], null, v17, s14, 0
	s_mov_b32 s24, 0
	s_and_not1_b32 vcc_lo, exec_lo, s13
	s_mov_b32 s25, 0
	s_delay_alu instid0(VALU_DEP_1) | instskip(NEXT) | instid1(VALU_DEP_1)
	v_add3_u32 v34, v34, v36, v35
	v_lshlrev_b64 v[33:34], 3, v[33:34]
	s_cbranch_vccnz .LBB1707_226
; %bb.217:
	v_mul_lo_u32 v37, v20, s14
	v_mul_lo_u32 v38, v19, s15
	v_mad_u64_u32 v[35:36], null, v19, s14, 0
	s_mov_b32 s25, -1
	s_mov_b32 s26, exec_lo
	s_delay_alu instid0(VALU_DEP_1) | instskip(SKIP_2) | instid1(VALU_DEP_3)
	v_add3_u32 v36, v36, v38, v37
	v_add_co_u32 v37, vcc_lo, s20, v33
	v_add_co_ci_u32_e32 v38, vcc_lo, s21, v34, vcc_lo
	v_lshlrev_b64 v[35:36], 3, v[35:36]
	s_delay_alu instid0(VALU_DEP_1) | instskip(NEXT) | instid1(VALU_DEP_2)
	v_add_co_u32 v35, vcc_lo, s20, v35
	v_add_co_ci_u32_e32 v36, vcc_lo, s21, v36, vcc_lo
	s_clause 0x1
	global_load_b64 v[39:40], v[37:38], off
	global_load_b64 v[41:42], v[35:36], off
	s_waitcnt vmcnt(0)
	v_cmpx_eq_u64_e64 v[39:40], v[41:42]
	s_cbranch_execz .LBB1707_225
; %bb.218:
	v_add_co_u32 v35, vcc_lo, v35, 8
	v_add_co_ci_u32_e32 v36, vcc_lo, 0, v36, vcc_lo
	v_add_co_u32 v37, vcc_lo, v37, 8
	v_add_co_ci_u32_e32 v38, vcc_lo, 0, v38, vcc_lo
	s_add_u32 s4, s14, -1
	s_addc_u32 s5, s15, -1
	s_mov_b64 s[6:7], 0
	s_mov_b32 s25, 0
                                        ; implicit-def: $sgpr27
	s_set_inst_prefetch_distance 0x1
	s_branch .LBB1707_221
	.p2align	6
.LBB1707_219:                           ;   in Loop: Header=BB1707_221 Depth=1
	global_load_b64 v[39:40], v[37:38], off
	global_load_b64 v[41:42], v[35:36], off
	v_add_co_u32 v35, vcc_lo, v35, 8
	v_add_co_ci_u32_e32 v36, vcc_lo, 0, v36, vcc_lo
	v_add_co_u32 v37, s0, v37, 8
	s_delay_alu instid0(VALU_DEP_1)
	v_add_co_ci_u32_e64 v38, s0, 0, v38, s0
	s_add_u32 s6, s6, 1
	s_addc_u32 s7, s7, 0
	s_and_not1_b32 s0, s27, exec_lo
	s_waitcnt vmcnt(0)
	v_cmp_ne_u64_e32 vcc_lo, v[39:40], v[41:42]
	s_and_b32 s27, vcc_lo, exec_lo
	s_delay_alu instid0(SALU_CYCLE_1)
	s_or_b32 s27, s0, s27
.LBB1707_220:                           ;   in Loop: Header=BB1707_221 Depth=1
	v_dual_mov_b32 v40, s7 :: v_dual_mov_b32 v39, s6
	s_and_b32 s0, exec_lo, s27
	s_delay_alu instid0(SALU_CYCLE_1) | instskip(NEXT) | instid1(SALU_CYCLE_1)
	s_or_b32 s25, s0, s25
	s_and_not1_b32 exec_lo, exec_lo, s25
	s_cbranch_execz .LBB1707_224
.LBB1707_221:                           ; =>This Inner Loop Header: Depth=1
	s_or_b32 s27, s27, exec_lo
	s_cmp_eq_u64 s[4:5], s[6:7]
	s_cbranch_scc0 .LBB1707_219
; %bb.222:                              ;   in Loop: Header=BB1707_221 Depth=1
	s_mov_b64 s[6:7], s[14:15]
                                        ; implicit-def: $vgpr35_vgpr36
                                        ; implicit-def: $vgpr37_vgpr38
	s_branch .LBB1707_220
.LBB1707_223:
                                        ; implicit-def: $sgpr0
                                        ; implicit-def: $vgpr36
	s_cbranch_execnz .LBB1707_292
	s_branch .LBB1707_383
.LBB1707_224:
	s_set_inst_prefetch_distance 0x2
	s_or_b32 exec_lo, exec_lo, s25
	v_cmp_gt_i64_e32 vcc_lo, s[14:15], v[39:40]
	s_or_not1_b32 s25, vcc_lo, exec_lo
.LBB1707_225:
	s_or_b32 exec_lo, exec_lo, s26
.LBB1707_226:
	v_mul_lo_u32 v37, v24, s14
	v_mul_lo_u32 v38, v23, s15
	v_mad_u64_u32 v[35:36], null, v23, s14, 0
	s_and_not1_b32 vcc_lo, exec_lo, s13
	s_delay_alu instid0(VALU_DEP_1) | instskip(NEXT) | instid1(VALU_DEP_1)
	v_add3_u32 v36, v36, v38, v37
	v_lshlrev_b64 v[35:36], 3, v[35:36]
	s_cbranch_vccnz .LBB1707_235
; %bb.227:
	s_delay_alu instid0(VALU_DEP_1) | instskip(NEXT) | instid1(VALU_DEP_2)
	v_add_co_u32 v37, vcc_lo, s20, v35
	v_add_co_ci_u32_e32 v38, vcc_lo, s21, v36, vcc_lo
	v_add_co_u32 v33, vcc_lo, s20, v33
	v_add_co_ci_u32_e32 v34, vcc_lo, s21, v34, vcc_lo
	s_mov_b32 s24, -1
	s_clause 0x1
	global_load_b64 v[39:40], v[37:38], off
	global_load_b64 v[41:42], v[33:34], off
	s_mov_b32 s26, exec_lo
	s_waitcnt vmcnt(0)
	v_cmpx_eq_u64_e64 v[39:40], v[41:42]
	s_cbranch_execz .LBB1707_234
; %bb.228:
	v_add_co_u32 v33, vcc_lo, v33, 8
	v_add_co_ci_u32_e32 v34, vcc_lo, 0, v34, vcc_lo
	v_add_co_u32 v37, vcc_lo, v37, 8
	v_add_co_ci_u32_e32 v38, vcc_lo, 0, v38, vcc_lo
	s_add_u32 s4, s14, -1
	s_addc_u32 s5, s15, -1
	s_mov_b64 s[6:7], 0
	s_mov_b32 s24, 0
                                        ; implicit-def: $sgpr27
	s_set_inst_prefetch_distance 0x1
	s_branch .LBB1707_231
	.p2align	6
.LBB1707_229:                           ;   in Loop: Header=BB1707_231 Depth=1
	global_load_b64 v[39:40], v[37:38], off
	global_load_b64 v[41:42], v[33:34], off
	v_add_co_u32 v33, vcc_lo, v33, 8
	v_add_co_ci_u32_e32 v34, vcc_lo, 0, v34, vcc_lo
	v_add_co_u32 v37, s0, v37, 8
	s_delay_alu instid0(VALU_DEP_1)
	v_add_co_ci_u32_e64 v38, s0, 0, v38, s0
	s_add_u32 s6, s6, 1
	s_addc_u32 s7, s7, 0
	s_and_not1_b32 s0, s27, exec_lo
	s_waitcnt vmcnt(0)
	v_cmp_ne_u64_e32 vcc_lo, v[39:40], v[41:42]
	s_and_b32 s27, vcc_lo, exec_lo
	s_delay_alu instid0(SALU_CYCLE_1)
	s_or_b32 s27, s0, s27
.LBB1707_230:                           ;   in Loop: Header=BB1707_231 Depth=1
	v_dual_mov_b32 v40, s7 :: v_dual_mov_b32 v39, s6
	s_and_b32 s0, exec_lo, s27
	s_delay_alu instid0(SALU_CYCLE_1) | instskip(NEXT) | instid1(SALU_CYCLE_1)
	s_or_b32 s24, s0, s24
	s_and_not1_b32 exec_lo, exec_lo, s24
	s_cbranch_execz .LBB1707_233
.LBB1707_231:                           ; =>This Inner Loop Header: Depth=1
	s_or_b32 s27, s27, exec_lo
	s_cmp_eq_u64 s[4:5], s[6:7]
	s_cbranch_scc0 .LBB1707_229
; %bb.232:                              ;   in Loop: Header=BB1707_231 Depth=1
	s_mov_b64 s[6:7], s[14:15]
                                        ; implicit-def: $vgpr33_vgpr34
                                        ; implicit-def: $vgpr37_vgpr38
	s_branch .LBB1707_230
.LBB1707_233:
	s_set_inst_prefetch_distance 0x2
	s_or_b32 exec_lo, exec_lo, s24
	v_cmp_gt_i64_e32 vcc_lo, s[14:15], v[39:40]
	s_or_not1_b32 s24, vcc_lo, exec_lo
.LBB1707_234:
	s_or_b32 exec_lo, exec_lo, s26
.LBB1707_235:
	v_mul_lo_u32 v37, v22, s14
	v_mul_lo_u32 v38, v21, s15
	v_mad_u64_u32 v[33:34], null, v21, s14, 0
	s_mov_b32 s26, 0
	s_and_not1_b32 vcc_lo, exec_lo, s13
	s_mov_b32 s27, 0
	s_delay_alu instid0(VALU_DEP_1) | instskip(NEXT) | instid1(VALU_DEP_1)
	v_add3_u32 v34, v34, v38, v37
	v_lshlrev_b64 v[37:38], 3, v[33:34]
	s_cbranch_vccnz .LBB1707_244
; %bb.236:
	s_delay_alu instid0(VALU_DEP_1) | instskip(NEXT) | instid1(VALU_DEP_2)
	v_add_co_u32 v39, vcc_lo, s20, v37
	v_add_co_ci_u32_e32 v40, vcc_lo, s21, v38, vcc_lo
	v_add_co_u32 v33, vcc_lo, s20, v35
	v_add_co_ci_u32_e32 v34, vcc_lo, s21, v36, vcc_lo
	s_mov_b32 s27, -1
	s_clause 0x1
	global_load_b64 v[35:36], v[39:40], off
	global_load_b64 v[41:42], v[33:34], off
	s_mov_b32 s34, exec_lo
	s_waitcnt vmcnt(0)
	v_cmpx_eq_u64_e64 v[35:36], v[41:42]
	s_cbranch_execz .LBB1707_243
; %bb.237:
	v_add_co_u32 v33, vcc_lo, v33, 8
	v_add_co_ci_u32_e32 v34, vcc_lo, 0, v34, vcc_lo
	v_add_co_u32 v35, vcc_lo, v39, 8
	v_add_co_ci_u32_e32 v36, vcc_lo, 0, v40, vcc_lo
	s_add_u32 s4, s14, -1
	s_addc_u32 s5, s15, -1
	s_mov_b64 s[6:7], 0
	s_mov_b32 s27, 0
                                        ; implicit-def: $sgpr35
	s_set_inst_prefetch_distance 0x1
	s_branch .LBB1707_240
	.p2align	6
.LBB1707_238:                           ;   in Loop: Header=BB1707_240 Depth=1
	global_load_b64 v[39:40], v[35:36], off
	global_load_b64 v[41:42], v[33:34], off
	v_add_co_u32 v33, vcc_lo, v33, 8
	v_add_co_ci_u32_e32 v34, vcc_lo, 0, v34, vcc_lo
	v_add_co_u32 v35, s0, v35, 8
	s_delay_alu instid0(VALU_DEP_1)
	v_add_co_ci_u32_e64 v36, s0, 0, v36, s0
	s_add_u32 s6, s6, 1
	s_addc_u32 s7, s7, 0
	s_and_not1_b32 s0, s35, exec_lo
	s_waitcnt vmcnt(0)
	v_cmp_ne_u64_e32 vcc_lo, v[39:40], v[41:42]
	s_and_b32 s35, vcc_lo, exec_lo
	s_delay_alu instid0(SALU_CYCLE_1)
	s_or_b32 s35, s0, s35
.LBB1707_239:                           ;   in Loop: Header=BB1707_240 Depth=1
	v_dual_mov_b32 v40, s7 :: v_dual_mov_b32 v39, s6
	s_and_b32 s0, exec_lo, s35
	s_delay_alu instid0(SALU_CYCLE_1) | instskip(NEXT) | instid1(SALU_CYCLE_1)
	s_or_b32 s27, s0, s27
	s_and_not1_b32 exec_lo, exec_lo, s27
	s_cbranch_execz .LBB1707_242
.LBB1707_240:                           ; =>This Inner Loop Header: Depth=1
	s_or_b32 s35, s35, exec_lo
	s_cmp_eq_u64 s[4:5], s[6:7]
	s_cbranch_scc0 .LBB1707_238
; %bb.241:                              ;   in Loop: Header=BB1707_240 Depth=1
	s_mov_b64 s[6:7], s[14:15]
                                        ; implicit-def: $vgpr33_vgpr34
                                        ; implicit-def: $vgpr35_vgpr36
	s_branch .LBB1707_239
.LBB1707_242:
	s_set_inst_prefetch_distance 0x2
	s_or_b32 exec_lo, exec_lo, s27
	v_cmp_gt_i64_e32 vcc_lo, s[14:15], v[39:40]
	s_or_not1_b32 s27, vcc_lo, exec_lo
.LBB1707_243:
	s_or_b32 exec_lo, exec_lo, s34
.LBB1707_244:
	v_mul_lo_u32 v35, v28, s14
	v_mul_lo_u32 v36, v27, s15
	v_mad_u64_u32 v[33:34], null, v27, s14, 0
	s_and_not1_b32 vcc_lo, exec_lo, s13
	s_delay_alu instid0(VALU_DEP_1) | instskip(NEXT) | instid1(VALU_DEP_1)
	v_add3_u32 v34, v34, v36, v35
	v_lshlrev_b64 v[33:34], 3, v[33:34]
	s_cbranch_vccnz .LBB1707_253
; %bb.245:
	s_delay_alu instid0(VALU_DEP_1) | instskip(NEXT) | instid1(VALU_DEP_2)
	v_add_co_u32 v39, vcc_lo, s20, v33
	v_add_co_ci_u32_e32 v40, vcc_lo, s21, v34, vcc_lo
	v_add_co_u32 v35, vcc_lo, s20, v37
	v_add_co_ci_u32_e32 v36, vcc_lo, s21, v38, vcc_lo
	s_mov_b32 s26, -1
	s_clause 0x1
	global_load_b64 v[37:38], v[39:40], off
	global_load_b64 v[41:42], v[35:36], off
	s_mov_b32 s34, exec_lo
	s_waitcnt vmcnt(0)
	v_cmpx_eq_u64_e64 v[37:38], v[41:42]
	s_cbranch_execz .LBB1707_252
; %bb.246:
	v_add_co_u32 v35, vcc_lo, v35, 8
	v_add_co_ci_u32_e32 v36, vcc_lo, 0, v36, vcc_lo
	v_add_co_u32 v37, vcc_lo, v39, 8
	v_add_co_ci_u32_e32 v38, vcc_lo, 0, v40, vcc_lo
	s_add_u32 s4, s14, -1
	s_addc_u32 s5, s15, -1
	s_mov_b64 s[6:7], 0
	s_mov_b32 s26, 0
                                        ; implicit-def: $sgpr35
	s_set_inst_prefetch_distance 0x1
	s_branch .LBB1707_249
	.p2align	6
.LBB1707_247:                           ;   in Loop: Header=BB1707_249 Depth=1
	global_load_b64 v[39:40], v[37:38], off
	global_load_b64 v[41:42], v[35:36], off
	v_add_co_u32 v35, vcc_lo, v35, 8
	v_add_co_ci_u32_e32 v36, vcc_lo, 0, v36, vcc_lo
	v_add_co_u32 v37, s0, v37, 8
	s_delay_alu instid0(VALU_DEP_1)
	v_add_co_ci_u32_e64 v38, s0, 0, v38, s0
	s_add_u32 s6, s6, 1
	s_addc_u32 s7, s7, 0
	s_and_not1_b32 s0, s35, exec_lo
	s_waitcnt vmcnt(0)
	v_cmp_ne_u64_e32 vcc_lo, v[39:40], v[41:42]
	s_and_b32 s35, vcc_lo, exec_lo
	s_delay_alu instid0(SALU_CYCLE_1)
	s_or_b32 s35, s0, s35
.LBB1707_248:                           ;   in Loop: Header=BB1707_249 Depth=1
	v_dual_mov_b32 v40, s7 :: v_dual_mov_b32 v39, s6
	s_and_b32 s0, exec_lo, s35
	s_delay_alu instid0(SALU_CYCLE_1) | instskip(NEXT) | instid1(SALU_CYCLE_1)
	s_or_b32 s26, s0, s26
	s_and_not1_b32 exec_lo, exec_lo, s26
	s_cbranch_execz .LBB1707_251
.LBB1707_249:                           ; =>This Inner Loop Header: Depth=1
	s_or_b32 s35, s35, exec_lo
	s_cmp_eq_u64 s[4:5], s[6:7]
	s_cbranch_scc0 .LBB1707_247
; %bb.250:                              ;   in Loop: Header=BB1707_249 Depth=1
	s_mov_b64 s[6:7], s[14:15]
                                        ; implicit-def: $vgpr35_vgpr36
                                        ; implicit-def: $vgpr37_vgpr38
	s_branch .LBB1707_248
.LBB1707_251:
	s_set_inst_prefetch_distance 0x2
	s_or_b32 exec_lo, exec_lo, s26
	v_cmp_gt_i64_e32 vcc_lo, s[14:15], v[39:40]
	s_or_not1_b32 s26, vcc_lo, exec_lo
.LBB1707_252:
	s_or_b32 exec_lo, exec_lo, s34
.LBB1707_253:
	v_mul_lo_u32 v37, v26, s14
	v_mul_lo_u32 v38, v25, s15
	v_mad_u64_u32 v[35:36], null, v25, s14, 0
	s_mov_b32 s34, 0
	s_and_not1_b32 vcc_lo, exec_lo, s13
	s_mov_b32 s35, 0
	s_delay_alu instid0(VALU_DEP_1) | instskip(NEXT) | instid1(VALU_DEP_1)
	v_add3_u32 v36, v36, v38, v37
	v_lshlrev_b64 v[37:38], 3, v[35:36]
	s_cbranch_vccnz .LBB1707_262
; %bb.254:
	s_delay_alu instid0(VALU_DEP_1) | instskip(NEXT) | instid1(VALU_DEP_2)
	v_add_co_u32 v35, vcc_lo, s20, v37
	v_add_co_ci_u32_e32 v36, vcc_lo, s21, v38, vcc_lo
	v_add_co_u32 v33, vcc_lo, s20, v33
	v_add_co_ci_u32_e32 v34, vcc_lo, s21, v34, vcc_lo
	s_mov_b32 s35, -1
	s_clause 0x1
	global_load_b64 v[39:40], v[35:36], off
	global_load_b64 v[41:42], v[33:34], off
	s_mov_b32 s36, exec_lo
	s_waitcnt vmcnt(0)
	v_cmpx_eq_u64_e64 v[39:40], v[41:42]
	s_cbranch_execz .LBB1707_261
; %bb.255:
	v_add_co_u32 v33, vcc_lo, v33, 8
	v_add_co_ci_u32_e32 v34, vcc_lo, 0, v34, vcc_lo
	v_add_co_u32 v35, vcc_lo, v35, 8
	v_add_co_ci_u32_e32 v36, vcc_lo, 0, v36, vcc_lo
	s_add_u32 s4, s14, -1
	s_addc_u32 s5, s15, -1
	s_mov_b64 s[6:7], 0
	s_mov_b32 s35, 0
                                        ; implicit-def: $sgpr37
	s_set_inst_prefetch_distance 0x1
	s_branch .LBB1707_258
	.p2align	6
.LBB1707_256:                           ;   in Loop: Header=BB1707_258 Depth=1
	global_load_b64 v[39:40], v[35:36], off
	global_load_b64 v[41:42], v[33:34], off
	v_add_co_u32 v33, vcc_lo, v33, 8
	v_add_co_ci_u32_e32 v34, vcc_lo, 0, v34, vcc_lo
	v_add_co_u32 v35, s0, v35, 8
	s_delay_alu instid0(VALU_DEP_1)
	v_add_co_ci_u32_e64 v36, s0, 0, v36, s0
	s_add_u32 s6, s6, 1
	s_addc_u32 s7, s7, 0
	s_and_not1_b32 s0, s37, exec_lo
	s_waitcnt vmcnt(0)
	v_cmp_ne_u64_e32 vcc_lo, v[39:40], v[41:42]
	s_and_b32 s37, vcc_lo, exec_lo
	s_delay_alu instid0(SALU_CYCLE_1)
	s_or_b32 s37, s0, s37
.LBB1707_257:                           ;   in Loop: Header=BB1707_258 Depth=1
	v_dual_mov_b32 v40, s7 :: v_dual_mov_b32 v39, s6
	s_and_b32 s0, exec_lo, s37
	s_delay_alu instid0(SALU_CYCLE_1) | instskip(NEXT) | instid1(SALU_CYCLE_1)
	s_or_b32 s35, s0, s35
	s_and_not1_b32 exec_lo, exec_lo, s35
	s_cbranch_execz .LBB1707_260
.LBB1707_258:                           ; =>This Inner Loop Header: Depth=1
	s_or_b32 s37, s37, exec_lo
	s_cmp_eq_u64 s[4:5], s[6:7]
	s_cbranch_scc0 .LBB1707_256
; %bb.259:                              ;   in Loop: Header=BB1707_258 Depth=1
	s_mov_b64 s[6:7], s[14:15]
                                        ; implicit-def: $vgpr33_vgpr34
                                        ; implicit-def: $vgpr35_vgpr36
	s_branch .LBB1707_257
.LBB1707_260:
	s_set_inst_prefetch_distance 0x2
	s_or_b32 exec_lo, exec_lo, s35
	v_cmp_gt_i64_e32 vcc_lo, s[14:15], v[39:40]
	s_or_not1_b32 s35, vcc_lo, exec_lo
.LBB1707_261:
	s_or_b32 exec_lo, exec_lo, s36
.LBB1707_262:
	v_mul_lo_u32 v35, v32, s14
	v_mul_lo_u32 v36, v31, s15
	v_mad_u64_u32 v[33:34], null, v31, s14, 0
	s_and_not1_b32 vcc_lo, exec_lo, s13
	s_delay_alu instid0(VALU_DEP_1) | instskip(NEXT) | instid1(VALU_DEP_1)
	v_add3_u32 v34, v34, v36, v35
	v_lshlrev_b64 v[35:36], 3, v[33:34]
	s_cbranch_vccnz .LBB1707_271
; %bb.263:
	s_delay_alu instid0(VALU_DEP_1) | instskip(NEXT) | instid1(VALU_DEP_2)
	v_add_co_u32 v39, vcc_lo, s20, v35
	v_add_co_ci_u32_e32 v40, vcc_lo, s21, v36, vcc_lo
	v_add_co_u32 v33, vcc_lo, s20, v37
	v_add_co_ci_u32_e32 v34, vcc_lo, s21, v38, vcc_lo
	s_mov_b32 s34, -1
	s_clause 0x1
	global_load_b64 v[37:38], v[39:40], off
	global_load_b64 v[41:42], v[33:34], off
	s_mov_b32 s36, exec_lo
	s_waitcnt vmcnt(0)
	v_cmpx_eq_u64_e64 v[37:38], v[41:42]
	s_cbranch_execz .LBB1707_270
; %bb.264:
	v_add_co_u32 v33, vcc_lo, v33, 8
	v_add_co_ci_u32_e32 v34, vcc_lo, 0, v34, vcc_lo
	v_add_co_u32 v37, vcc_lo, v39, 8
	v_add_co_ci_u32_e32 v38, vcc_lo, 0, v40, vcc_lo
	s_add_u32 s4, s14, -1
	s_addc_u32 s5, s15, -1
	s_mov_b64 s[6:7], 0
	s_mov_b32 s34, 0
                                        ; implicit-def: $sgpr37
	s_set_inst_prefetch_distance 0x1
	s_branch .LBB1707_267
	.p2align	6
.LBB1707_265:                           ;   in Loop: Header=BB1707_267 Depth=1
	global_load_b64 v[39:40], v[37:38], off
	global_load_b64 v[41:42], v[33:34], off
	v_add_co_u32 v33, vcc_lo, v33, 8
	v_add_co_ci_u32_e32 v34, vcc_lo, 0, v34, vcc_lo
	v_add_co_u32 v37, s0, v37, 8
	s_delay_alu instid0(VALU_DEP_1)
	v_add_co_ci_u32_e64 v38, s0, 0, v38, s0
	s_add_u32 s6, s6, 1
	s_addc_u32 s7, s7, 0
	s_and_not1_b32 s0, s37, exec_lo
	s_waitcnt vmcnt(0)
	v_cmp_ne_u64_e32 vcc_lo, v[39:40], v[41:42]
	s_and_b32 s37, vcc_lo, exec_lo
	s_delay_alu instid0(SALU_CYCLE_1)
	s_or_b32 s37, s0, s37
.LBB1707_266:                           ;   in Loop: Header=BB1707_267 Depth=1
	v_dual_mov_b32 v40, s7 :: v_dual_mov_b32 v39, s6
	s_and_b32 s0, exec_lo, s37
	s_delay_alu instid0(SALU_CYCLE_1) | instskip(NEXT) | instid1(SALU_CYCLE_1)
	s_or_b32 s34, s0, s34
	s_and_not1_b32 exec_lo, exec_lo, s34
	s_cbranch_execz .LBB1707_269
.LBB1707_267:                           ; =>This Inner Loop Header: Depth=1
	s_or_b32 s37, s37, exec_lo
	s_cmp_eq_u64 s[4:5], s[6:7]
	s_cbranch_scc0 .LBB1707_265
; %bb.268:                              ;   in Loop: Header=BB1707_267 Depth=1
	s_mov_b64 s[6:7], s[14:15]
                                        ; implicit-def: $vgpr33_vgpr34
                                        ; implicit-def: $vgpr37_vgpr38
	s_branch .LBB1707_266
.LBB1707_269:
	s_set_inst_prefetch_distance 0x2
	s_or_b32 exec_lo, exec_lo, s34
	v_cmp_gt_i64_e32 vcc_lo, s[14:15], v[39:40]
	s_or_not1_b32 s34, vcc_lo, exec_lo
.LBB1707_270:
	s_or_b32 exec_lo, exec_lo, s36
.LBB1707_271:
	v_mul_lo_u32 v37, v30, s14
	v_mul_lo_u32 v38, v29, s15
	v_mad_u64_u32 v[33:34], null, v29, s14, 0
	s_and_not1_b32 vcc_lo, exec_lo, s13
	s_mov_b32 s0, 0
	s_delay_alu instid0(VALU_DEP_1)
	v_add3_u32 v34, v34, v38, v37
	s_cbranch_vccnz .LBB1707_280
; %bb.272:
	s_delay_alu instid0(VALU_DEP_1) | instskip(SKIP_2) | instid1(VALU_DEP_1)
	v_lshlrev_b64 v[37:38], 3, v[33:34]
	s_mov_b32 s0, -1
	s_mov_b32 s36, exec_lo
	v_add_co_u32 v37, vcc_lo, s20, v37
	s_delay_alu instid0(VALU_DEP_2)
	v_add_co_ci_u32_e32 v38, vcc_lo, s21, v38, vcc_lo
	v_add_co_u32 v35, vcc_lo, s20, v35
	v_add_co_ci_u32_e32 v36, vcc_lo, s21, v36, vcc_lo
	s_clause 0x1
	global_load_b64 v[39:40], v[37:38], off
	global_load_b64 v[41:42], v[35:36], off
	s_waitcnt vmcnt(0)
	v_cmpx_eq_u64_e64 v[39:40], v[41:42]
	s_cbranch_execz .LBB1707_279
; %bb.273:
	v_add_co_u32 v35, vcc_lo, v35, 8
	v_add_co_ci_u32_e32 v36, vcc_lo, 0, v36, vcc_lo
	v_add_co_u32 v37, vcc_lo, v37, 8
	v_add_co_ci_u32_e32 v38, vcc_lo, 0, v38, vcc_lo
	s_add_u32 s4, s14, -1
	s_addc_u32 s5, s15, -1
	s_mov_b64 s[6:7], 0
	s_mov_b32 s37, 0
                                        ; implicit-def: $sgpr38
	s_set_inst_prefetch_distance 0x1
	s_branch .LBB1707_276
	.p2align	6
.LBB1707_274:                           ;   in Loop: Header=BB1707_276 Depth=1
	global_load_b64 v[39:40], v[37:38], off
	global_load_b64 v[41:42], v[35:36], off
	v_add_co_u32 v35, vcc_lo, v35, 8
	v_add_co_ci_u32_e32 v36, vcc_lo, 0, v36, vcc_lo
	v_add_co_u32 v37, s0, v37, 8
	s_delay_alu instid0(VALU_DEP_1)
	v_add_co_ci_u32_e64 v38, s0, 0, v38, s0
	s_add_u32 s6, s6, 1
	s_addc_u32 s7, s7, 0
	s_and_not1_b32 s0, s38, exec_lo
	s_waitcnt vmcnt(0)
	v_cmp_ne_u64_e32 vcc_lo, v[39:40], v[41:42]
	s_and_b32 s38, vcc_lo, exec_lo
	s_delay_alu instid0(SALU_CYCLE_1)
	s_or_b32 s38, s0, s38
.LBB1707_275:                           ;   in Loop: Header=BB1707_276 Depth=1
	v_dual_mov_b32 v40, s7 :: v_dual_mov_b32 v39, s6
	s_and_b32 s0, exec_lo, s38
	s_delay_alu instid0(SALU_CYCLE_1) | instskip(NEXT) | instid1(SALU_CYCLE_1)
	s_or_b32 s37, s0, s37
	s_and_not1_b32 exec_lo, exec_lo, s37
	s_cbranch_execz .LBB1707_278
.LBB1707_276:                           ; =>This Inner Loop Header: Depth=1
	s_or_b32 s38, s38, exec_lo
	s_cmp_eq_u64 s[4:5], s[6:7]
	s_cbranch_scc0 .LBB1707_274
; %bb.277:                              ;   in Loop: Header=BB1707_276 Depth=1
	s_mov_b64 s[6:7], s[14:15]
                                        ; implicit-def: $vgpr35_vgpr36
                                        ; implicit-def: $vgpr37_vgpr38
	s_branch .LBB1707_275
.LBB1707_278:
	s_set_inst_prefetch_distance 0x2
	s_or_b32 exec_lo, exec_lo, s37
	v_cmp_gt_i64_e32 vcc_lo, s[14:15], v[39:40]
	s_or_not1_b32 s0, vcc_lo, exec_lo
.LBB1707_279:
	s_or_b32 exec_lo, exec_lo, s36
.LBB1707_280:
	v_cndmask_b32_e64 v36, 0, 1, s35
	v_cndmask_b32_e64 v37, 0, 1, s27
	;; [unrolled: 1-line block ×7, first 2 shown]
	v_lshlrev_b16 v37, 8, v37
	v_lshlrev_b16 v38, 8, v38
	v_lshlrev_b16 v39, 8, v39
	v_lshlrev_b16 v36, 8, v36
	s_waitcnt lgkmcnt(0)
	v_or_b32_e32 v37, v40, v37
	v_or_b32_e32 v38, v41, v38
	;; [unrolled: 1-line block ×4, first 2 shown]
	s_barrier
	v_and_b32_e32 v36, 0xffff, v37
	v_lshlrev_b32_e32 v37, 16, v38
	v_and_b32_e32 v38, 0xffff, v39
	v_lshlrev_b32_e32 v35, 16, v35
	buffer_gl0_inv
                                        ; implicit-def: $sgpr0
	v_or_b32_e32 v36, v36, v37
	v_or_b32_e32 v35, v38, v35
	s_and_saveexec_b32 s4, s3
	s_delay_alu instid0(SALU_CYCLE_1)
	s_xor_b32 s24, exec_lo, s4
	s_cbranch_execz .LBB1707_291
; %bb.281:
	s_and_not1_b32 vcc_lo, exec_lo, s13
	s_mov_b32 s0, 0
	s_cbranch_vccnz .LBB1707_290
; %bb.282:
	v_add_nc_u32_e32 v37, -8, v55
	v_lshlrev_b64 v[33:34], 3, v[33:34]
	s_mov_b32 s0, -1
	s_mov_b32 s25, exec_lo
	ds_load_b64 v[37:38], v37
	s_waitcnt lgkmcnt(0)
	v_mul_lo_u32 v40, v38, s14
	v_mul_lo_u32 v41, v37, s15
	v_mad_u64_u32 v[38:39], null, v37, s14, 0
	s_delay_alu instid0(VALU_DEP_1) | instskip(NEXT) | instid1(VALU_DEP_1)
	v_add3_u32 v39, v39, v41, v40
	v_lshlrev_b64 v[37:38], 3, v[38:39]
	s_delay_alu instid0(VALU_DEP_1) | instskip(NEXT) | instid1(VALU_DEP_2)
	v_add_co_u32 v37, vcc_lo, s20, v37
	v_add_co_ci_u32_e32 v38, vcc_lo, s21, v38, vcc_lo
	v_add_co_u32 v33, vcc_lo, s20, v33
	v_add_co_ci_u32_e32 v34, vcc_lo, s21, v34, vcc_lo
	s_clause 0x1
	global_load_b64 v[39:40], v[37:38], off
	global_load_b64 v[41:42], v[33:34], off
	s_waitcnt vmcnt(0)
	v_cmpx_eq_u64_e64 v[39:40], v[41:42]
	s_cbranch_execz .LBB1707_289
; %bb.283:
	v_add_co_u32 v33, vcc_lo, v33, 8
	v_add_co_ci_u32_e32 v34, vcc_lo, 0, v34, vcc_lo
	v_add_co_u32 v37, vcc_lo, v37, 8
	v_add_co_ci_u32_e32 v38, vcc_lo, 0, v38, vcc_lo
	s_add_u32 s4, s14, -1
	s_addc_u32 s5, s15, -1
	s_mov_b64 s[6:7], 0
	s_mov_b32 s26, 0
                                        ; implicit-def: $sgpr27
	s_set_inst_prefetch_distance 0x1
	s_branch .LBB1707_286
	.p2align	6
.LBB1707_284:                           ;   in Loop: Header=BB1707_286 Depth=1
	global_load_b64 v[39:40], v[37:38], off
	global_load_b64 v[41:42], v[33:34], off
	v_add_co_u32 v33, vcc_lo, v33, 8
	v_add_co_ci_u32_e32 v34, vcc_lo, 0, v34, vcc_lo
	v_add_co_u32 v37, s0, v37, 8
	s_delay_alu instid0(VALU_DEP_1)
	v_add_co_ci_u32_e64 v38, s0, 0, v38, s0
	s_add_u32 s6, s6, 1
	s_addc_u32 s7, s7, 0
	s_and_not1_b32 s0, s27, exec_lo
	s_waitcnt vmcnt(0)
	v_cmp_ne_u64_e32 vcc_lo, v[39:40], v[41:42]
	s_and_b32 s27, vcc_lo, exec_lo
	s_delay_alu instid0(SALU_CYCLE_1)
	s_or_b32 s27, s0, s27
.LBB1707_285:                           ;   in Loop: Header=BB1707_286 Depth=1
	v_dual_mov_b32 v40, s7 :: v_dual_mov_b32 v39, s6
	s_and_b32 s0, exec_lo, s27
	s_delay_alu instid0(SALU_CYCLE_1) | instskip(NEXT) | instid1(SALU_CYCLE_1)
	s_or_b32 s26, s0, s26
	s_and_not1_b32 exec_lo, exec_lo, s26
	s_cbranch_execz .LBB1707_288
.LBB1707_286:                           ; =>This Inner Loop Header: Depth=1
	s_or_b32 s27, s27, exec_lo
	s_cmp_eq_u64 s[4:5], s[6:7]
	s_cbranch_scc0 .LBB1707_284
; %bb.287:                              ;   in Loop: Header=BB1707_286 Depth=1
	s_mov_b64 s[6:7], s[14:15]
                                        ; implicit-def: $vgpr33_vgpr34
                                        ; implicit-def: $vgpr37_vgpr38
	s_branch .LBB1707_285
.LBB1707_288:
	s_set_inst_prefetch_distance 0x2
	s_or_b32 exec_lo, exec_lo, s26
	v_cmp_gt_i64_e32 vcc_lo, s[14:15], v[39:40]
	s_or_not1_b32 s0, vcc_lo, exec_lo
.LBB1707_289:
	s_or_b32 exec_lo, exec_lo, s25
.LBB1707_290:
	s_delay_alu instid0(SALU_CYCLE_1)
	s_and_b32 s0, s0, exec_lo
	s_or_b32 s1, s1, exec_lo
.LBB1707_291:
	s_or_b32 exec_lo, exec_lo, s24
	s_branch .LBB1707_383
.LBB1707_292:
	s_waitcnt vmcnt(0) lgkmcnt(1)
	v_or_b32_e32 v33, 7, v55
	s_mov_b32 s24, 0
	s_mov_b32 s25, 0
	s_mov_b32 s26, exec_lo
	s_delay_alu instid0(VALU_DEP_1)
	v_cmpx_gt_u32_e64 s31, v33
	s_cbranch_execz .LBB1707_303
; %bb.293:
	s_and_not1_b32 vcc_lo, exec_lo, s13
	s_mov_b32 s0, 0
	s_cbranch_vccnz .LBB1707_302
; %bb.294:
	v_mul_lo_u32 v37, v18, s14
	v_mul_lo_u32 v38, v17, s15
	v_mad_u64_u32 v[33:34], null, v17, s14, 0
	v_mul_lo_u32 v39, v20, s14
	v_mul_lo_u32 v40, v19, s15
	v_mad_u64_u32 v[35:36], null, v19, s14, 0
	s_mov_b32 s0, -1
	s_mov_b32 s25, exec_lo
	s_delay_alu instid0(VALU_DEP_4) | instskip(NEXT) | instid1(VALU_DEP_2)
	v_add3_u32 v34, v34, v38, v37
	v_add3_u32 v36, v36, v40, v39
	s_delay_alu instid0(VALU_DEP_2) | instskip(NEXT) | instid1(VALU_DEP_2)
	v_lshlrev_b64 v[33:34], 3, v[33:34]
	v_lshlrev_b64 v[37:38], 3, v[35:36]
	s_delay_alu instid0(VALU_DEP_2) | instskip(NEXT) | instid1(VALU_DEP_3)
	v_add_co_u32 v35, vcc_lo, s20, v33
	v_add_co_ci_u32_e32 v36, vcc_lo, s21, v34, vcc_lo
	s_delay_alu instid0(VALU_DEP_3) | instskip(NEXT) | instid1(VALU_DEP_4)
	v_add_co_u32 v33, vcc_lo, s20, v37
	v_add_co_ci_u32_e32 v34, vcc_lo, s21, v38, vcc_lo
	s_clause 0x1
	global_load_b64 v[37:38], v[35:36], off
	global_load_b64 v[39:40], v[33:34], off
	s_waitcnt vmcnt(0)
	v_cmpx_eq_u64_e64 v[37:38], v[39:40]
	s_cbranch_execz .LBB1707_301
; %bb.295:
	v_add_co_u32 v33, vcc_lo, v33, 8
	v_add_co_ci_u32_e32 v34, vcc_lo, 0, v34, vcc_lo
	v_add_co_u32 v35, vcc_lo, v35, 8
	v_add_co_ci_u32_e32 v36, vcc_lo, 0, v36, vcc_lo
	s_add_u32 s4, s14, -1
	s_addc_u32 s5, s15, -1
	s_mov_b64 s[6:7], 0
	s_mov_b32 s27, 0
                                        ; implicit-def: $sgpr34
	s_set_inst_prefetch_distance 0x1
	s_branch .LBB1707_298
	.p2align	6
.LBB1707_296:                           ;   in Loop: Header=BB1707_298 Depth=1
	global_load_b64 v[37:38], v[35:36], off
	global_load_b64 v[39:40], v[33:34], off
	v_add_co_u32 v33, vcc_lo, v33, 8
	v_add_co_ci_u32_e32 v34, vcc_lo, 0, v34, vcc_lo
	v_add_co_u32 v35, s0, v35, 8
	s_delay_alu instid0(VALU_DEP_1)
	v_add_co_ci_u32_e64 v36, s0, 0, v36, s0
	s_add_u32 s6, s6, 1
	s_addc_u32 s7, s7, 0
	s_and_not1_b32 s0, s34, exec_lo
	s_waitcnt vmcnt(0)
	v_cmp_ne_u64_e32 vcc_lo, v[37:38], v[39:40]
	s_and_b32 s34, vcc_lo, exec_lo
	s_delay_alu instid0(SALU_CYCLE_1)
	s_or_b32 s34, s0, s34
.LBB1707_297:                           ;   in Loop: Header=BB1707_298 Depth=1
	v_dual_mov_b32 v38, s7 :: v_dual_mov_b32 v37, s6
	s_and_b32 s0, exec_lo, s34
	s_delay_alu instid0(SALU_CYCLE_1) | instskip(NEXT) | instid1(SALU_CYCLE_1)
	s_or_b32 s27, s0, s27
	s_and_not1_b32 exec_lo, exec_lo, s27
	s_cbranch_execz .LBB1707_300
.LBB1707_298:                           ; =>This Inner Loop Header: Depth=1
	s_or_b32 s34, s34, exec_lo
	s_cmp_eq_u64 s[4:5], s[6:7]
	s_cbranch_scc0 .LBB1707_296
; %bb.299:                              ;   in Loop: Header=BB1707_298 Depth=1
	s_mov_b64 s[6:7], s[14:15]
                                        ; implicit-def: $vgpr33_vgpr34
                                        ; implicit-def: $vgpr35_vgpr36
	s_branch .LBB1707_297
.LBB1707_300:
	s_set_inst_prefetch_distance 0x2
	s_or_b32 exec_lo, exec_lo, s27
	v_cmp_gt_i64_e32 vcc_lo, s[14:15], v[37:38]
	s_or_not1_b32 s0, vcc_lo, exec_lo
.LBB1707_301:
	s_or_b32 exec_lo, exec_lo, s25
.LBB1707_302:
	s_delay_alu instid0(SALU_CYCLE_1)
	s_and_b32 s25, s0, exec_lo
.LBB1707_303:
	s_or_b32 exec_lo, exec_lo, s26
	v_or_b32_e32 v33, 6, v55
	s_mov_b32 s26, exec_lo
	s_delay_alu instid0(VALU_DEP_1)
	v_cmpx_gt_u32_e64 s31, v33
	s_cbranch_execz .LBB1707_314
; %bb.304:
	s_and_not1_b32 vcc_lo, exec_lo, s13
	s_mov_b32 s0, 0
	s_cbranch_vccnz .LBB1707_313
; %bb.305:
	v_mul_lo_u32 v37, v24, s14
	v_mul_lo_u32 v38, v23, s15
	v_mad_u64_u32 v[33:34], null, v23, s14, 0
	v_mul_lo_u32 v39, v18, s14
	v_mul_lo_u32 v40, v17, s15
	v_mad_u64_u32 v[35:36], null, v17, s14, 0
	s_mov_b32 s0, -1
	s_mov_b32 s24, exec_lo
	s_delay_alu instid0(VALU_DEP_4) | instskip(NEXT) | instid1(VALU_DEP_2)
	v_add3_u32 v34, v34, v38, v37
	v_add3_u32 v36, v36, v40, v39
	s_delay_alu instid0(VALU_DEP_2) | instskip(NEXT) | instid1(VALU_DEP_2)
	v_lshlrev_b64 v[33:34], 3, v[33:34]
	v_lshlrev_b64 v[37:38], 3, v[35:36]
	s_delay_alu instid0(VALU_DEP_2) | instskip(NEXT) | instid1(VALU_DEP_3)
	v_add_co_u32 v35, vcc_lo, s20, v33
	v_add_co_ci_u32_e32 v36, vcc_lo, s21, v34, vcc_lo
	s_delay_alu instid0(VALU_DEP_3) | instskip(NEXT) | instid1(VALU_DEP_4)
	v_add_co_u32 v33, vcc_lo, s20, v37
	v_add_co_ci_u32_e32 v34, vcc_lo, s21, v38, vcc_lo
	s_clause 0x1
	global_load_b64 v[37:38], v[35:36], off
	global_load_b64 v[39:40], v[33:34], off
	s_waitcnt vmcnt(0)
	v_cmpx_eq_u64_e64 v[37:38], v[39:40]
	s_cbranch_execz .LBB1707_312
; %bb.306:
	v_add_co_u32 v33, vcc_lo, v33, 8
	v_add_co_ci_u32_e32 v34, vcc_lo, 0, v34, vcc_lo
	v_add_co_u32 v35, vcc_lo, v35, 8
	v_add_co_ci_u32_e32 v36, vcc_lo, 0, v36, vcc_lo
	s_add_u32 s4, s14, -1
	s_addc_u32 s5, s15, -1
	s_mov_b64 s[6:7], 0
	s_mov_b32 s27, 0
                                        ; implicit-def: $sgpr34
	s_set_inst_prefetch_distance 0x1
	s_branch .LBB1707_309
	.p2align	6
.LBB1707_307:                           ;   in Loop: Header=BB1707_309 Depth=1
	global_load_b64 v[37:38], v[35:36], off
	global_load_b64 v[39:40], v[33:34], off
	v_add_co_u32 v33, vcc_lo, v33, 8
	v_add_co_ci_u32_e32 v34, vcc_lo, 0, v34, vcc_lo
	v_add_co_u32 v35, s0, v35, 8
	s_delay_alu instid0(VALU_DEP_1)
	v_add_co_ci_u32_e64 v36, s0, 0, v36, s0
	s_add_u32 s6, s6, 1
	s_addc_u32 s7, s7, 0
	s_and_not1_b32 s0, s34, exec_lo
	s_waitcnt vmcnt(0)
	v_cmp_ne_u64_e32 vcc_lo, v[37:38], v[39:40]
	s_and_b32 s34, vcc_lo, exec_lo
	s_delay_alu instid0(SALU_CYCLE_1)
	s_or_b32 s34, s0, s34
.LBB1707_308:                           ;   in Loop: Header=BB1707_309 Depth=1
	v_dual_mov_b32 v38, s7 :: v_dual_mov_b32 v37, s6
	s_and_b32 s0, exec_lo, s34
	s_delay_alu instid0(SALU_CYCLE_1) | instskip(NEXT) | instid1(SALU_CYCLE_1)
	s_or_b32 s27, s0, s27
	s_and_not1_b32 exec_lo, exec_lo, s27
	s_cbranch_execz .LBB1707_311
.LBB1707_309:                           ; =>This Inner Loop Header: Depth=1
	s_or_b32 s34, s34, exec_lo
	s_cmp_eq_u64 s[4:5], s[6:7]
	s_cbranch_scc0 .LBB1707_307
; %bb.310:                              ;   in Loop: Header=BB1707_309 Depth=1
	s_mov_b64 s[6:7], s[14:15]
                                        ; implicit-def: $vgpr33_vgpr34
                                        ; implicit-def: $vgpr35_vgpr36
	s_branch .LBB1707_308
.LBB1707_311:
	s_set_inst_prefetch_distance 0x2
	s_or_b32 exec_lo, exec_lo, s27
	v_cmp_gt_i64_e32 vcc_lo, s[14:15], v[37:38]
	s_or_not1_b32 s0, vcc_lo, exec_lo
.LBB1707_312:
	s_or_b32 exec_lo, exec_lo, s24
.LBB1707_313:
	s_delay_alu instid0(SALU_CYCLE_1)
	s_and_b32 s24, s0, exec_lo
.LBB1707_314:
	s_or_b32 exec_lo, exec_lo, s26
	v_or_b32_e32 v33, 5, v55
	s_mov_b32 s26, 0
	s_mov_b32 s27, 0
	s_mov_b32 s34, exec_lo
	s_delay_alu instid0(VALU_DEP_1)
	v_cmpx_gt_u32_e64 s31, v33
	s_cbranch_execz .LBB1707_325
; %bb.315:
	s_and_not1_b32 vcc_lo, exec_lo, s13
	s_mov_b32 s0, 0
	s_cbranch_vccnz .LBB1707_324
; %bb.316:
	v_mul_lo_u32 v37, v22, s14
	v_mul_lo_u32 v38, v21, s15
	v_mad_u64_u32 v[33:34], null, v21, s14, 0
	v_mul_lo_u32 v39, v24, s14
	v_mul_lo_u32 v40, v23, s15
	v_mad_u64_u32 v[35:36], null, v23, s14, 0
	s_mov_b32 s0, -1
	s_mov_b32 s27, exec_lo
	s_delay_alu instid0(VALU_DEP_4) | instskip(NEXT) | instid1(VALU_DEP_2)
	v_add3_u32 v34, v34, v38, v37
	v_add3_u32 v36, v36, v40, v39
	s_delay_alu instid0(VALU_DEP_2) | instskip(NEXT) | instid1(VALU_DEP_2)
	v_lshlrev_b64 v[33:34], 3, v[33:34]
	v_lshlrev_b64 v[37:38], 3, v[35:36]
	s_delay_alu instid0(VALU_DEP_2) | instskip(NEXT) | instid1(VALU_DEP_3)
	v_add_co_u32 v35, vcc_lo, s20, v33
	v_add_co_ci_u32_e32 v36, vcc_lo, s21, v34, vcc_lo
	s_delay_alu instid0(VALU_DEP_3) | instskip(NEXT) | instid1(VALU_DEP_4)
	v_add_co_u32 v33, vcc_lo, s20, v37
	v_add_co_ci_u32_e32 v34, vcc_lo, s21, v38, vcc_lo
	s_clause 0x1
	global_load_b64 v[37:38], v[35:36], off
	global_load_b64 v[39:40], v[33:34], off
	s_waitcnt vmcnt(0)
	v_cmpx_eq_u64_e64 v[37:38], v[39:40]
	s_cbranch_execz .LBB1707_323
; %bb.317:
	v_add_co_u32 v33, vcc_lo, v33, 8
	v_add_co_ci_u32_e32 v34, vcc_lo, 0, v34, vcc_lo
	v_add_co_u32 v35, vcc_lo, v35, 8
	v_add_co_ci_u32_e32 v36, vcc_lo, 0, v36, vcc_lo
	s_add_u32 s4, s14, -1
	s_addc_u32 s5, s15, -1
	s_mov_b64 s[6:7], 0
	s_mov_b32 s35, 0
                                        ; implicit-def: $sgpr36
	s_set_inst_prefetch_distance 0x1
	s_branch .LBB1707_320
	.p2align	6
.LBB1707_318:                           ;   in Loop: Header=BB1707_320 Depth=1
	global_load_b64 v[37:38], v[35:36], off
	global_load_b64 v[39:40], v[33:34], off
	v_add_co_u32 v33, vcc_lo, v33, 8
	v_add_co_ci_u32_e32 v34, vcc_lo, 0, v34, vcc_lo
	v_add_co_u32 v35, s0, v35, 8
	s_delay_alu instid0(VALU_DEP_1)
	v_add_co_ci_u32_e64 v36, s0, 0, v36, s0
	s_add_u32 s6, s6, 1
	s_addc_u32 s7, s7, 0
	s_and_not1_b32 s0, s36, exec_lo
	s_waitcnt vmcnt(0)
	v_cmp_ne_u64_e32 vcc_lo, v[37:38], v[39:40]
	s_and_b32 s36, vcc_lo, exec_lo
	s_delay_alu instid0(SALU_CYCLE_1)
	s_or_b32 s36, s0, s36
.LBB1707_319:                           ;   in Loop: Header=BB1707_320 Depth=1
	v_dual_mov_b32 v38, s7 :: v_dual_mov_b32 v37, s6
	s_and_b32 s0, exec_lo, s36
	s_delay_alu instid0(SALU_CYCLE_1) | instskip(NEXT) | instid1(SALU_CYCLE_1)
	s_or_b32 s35, s0, s35
	s_and_not1_b32 exec_lo, exec_lo, s35
	s_cbranch_execz .LBB1707_322
.LBB1707_320:                           ; =>This Inner Loop Header: Depth=1
	s_or_b32 s36, s36, exec_lo
	s_cmp_eq_u64 s[4:5], s[6:7]
	s_cbranch_scc0 .LBB1707_318
; %bb.321:                              ;   in Loop: Header=BB1707_320 Depth=1
	s_mov_b64 s[6:7], s[14:15]
                                        ; implicit-def: $vgpr33_vgpr34
                                        ; implicit-def: $vgpr35_vgpr36
	s_branch .LBB1707_319
.LBB1707_322:
	s_set_inst_prefetch_distance 0x2
	s_or_b32 exec_lo, exec_lo, s35
	v_cmp_gt_i64_e32 vcc_lo, s[14:15], v[37:38]
	s_or_not1_b32 s0, vcc_lo, exec_lo
.LBB1707_323:
	s_or_b32 exec_lo, exec_lo, s27
.LBB1707_324:
	s_delay_alu instid0(SALU_CYCLE_1)
	s_and_b32 s27, s0, exec_lo
.LBB1707_325:
	s_or_b32 exec_lo, exec_lo, s34
	v_or_b32_e32 v33, 4, v55
	s_mov_b32 s34, exec_lo
	s_delay_alu instid0(VALU_DEP_1)
	v_cmpx_gt_u32_e64 s31, v33
	s_cbranch_execz .LBB1707_336
; %bb.326:
	s_and_not1_b32 vcc_lo, exec_lo, s13
	s_mov_b32 s0, 0
	s_cbranch_vccnz .LBB1707_335
; %bb.327:
	v_mul_lo_u32 v37, v28, s14
	v_mul_lo_u32 v38, v27, s15
	v_mad_u64_u32 v[33:34], null, v27, s14, 0
	v_mul_lo_u32 v39, v22, s14
	v_mul_lo_u32 v40, v21, s15
	v_mad_u64_u32 v[35:36], null, v21, s14, 0
	s_mov_b32 s0, -1
	s_mov_b32 s26, exec_lo
	s_delay_alu instid0(VALU_DEP_4) | instskip(NEXT) | instid1(VALU_DEP_2)
	v_add3_u32 v34, v34, v38, v37
	v_add3_u32 v36, v36, v40, v39
	s_delay_alu instid0(VALU_DEP_2) | instskip(NEXT) | instid1(VALU_DEP_2)
	v_lshlrev_b64 v[33:34], 3, v[33:34]
	v_lshlrev_b64 v[37:38], 3, v[35:36]
	s_delay_alu instid0(VALU_DEP_2) | instskip(NEXT) | instid1(VALU_DEP_3)
	v_add_co_u32 v35, vcc_lo, s20, v33
	v_add_co_ci_u32_e32 v36, vcc_lo, s21, v34, vcc_lo
	s_delay_alu instid0(VALU_DEP_3) | instskip(NEXT) | instid1(VALU_DEP_4)
	v_add_co_u32 v33, vcc_lo, s20, v37
	v_add_co_ci_u32_e32 v34, vcc_lo, s21, v38, vcc_lo
	s_clause 0x1
	global_load_b64 v[37:38], v[35:36], off
	global_load_b64 v[39:40], v[33:34], off
	s_waitcnt vmcnt(0)
	v_cmpx_eq_u64_e64 v[37:38], v[39:40]
	s_cbranch_execz .LBB1707_334
; %bb.328:
	v_add_co_u32 v33, vcc_lo, v33, 8
	v_add_co_ci_u32_e32 v34, vcc_lo, 0, v34, vcc_lo
	v_add_co_u32 v35, vcc_lo, v35, 8
	v_add_co_ci_u32_e32 v36, vcc_lo, 0, v36, vcc_lo
	s_add_u32 s4, s14, -1
	s_addc_u32 s5, s15, -1
	s_mov_b64 s[6:7], 0
	s_mov_b32 s35, 0
                                        ; implicit-def: $sgpr36
	s_set_inst_prefetch_distance 0x1
	s_branch .LBB1707_331
	.p2align	6
.LBB1707_329:                           ;   in Loop: Header=BB1707_331 Depth=1
	global_load_b64 v[37:38], v[35:36], off
	global_load_b64 v[39:40], v[33:34], off
	v_add_co_u32 v33, vcc_lo, v33, 8
	v_add_co_ci_u32_e32 v34, vcc_lo, 0, v34, vcc_lo
	v_add_co_u32 v35, s0, v35, 8
	s_delay_alu instid0(VALU_DEP_1)
	v_add_co_ci_u32_e64 v36, s0, 0, v36, s0
	s_add_u32 s6, s6, 1
	s_addc_u32 s7, s7, 0
	s_and_not1_b32 s0, s36, exec_lo
	s_waitcnt vmcnt(0)
	v_cmp_ne_u64_e32 vcc_lo, v[37:38], v[39:40]
	s_and_b32 s36, vcc_lo, exec_lo
	s_delay_alu instid0(SALU_CYCLE_1)
	s_or_b32 s36, s0, s36
.LBB1707_330:                           ;   in Loop: Header=BB1707_331 Depth=1
	v_dual_mov_b32 v38, s7 :: v_dual_mov_b32 v37, s6
	s_and_b32 s0, exec_lo, s36
	s_delay_alu instid0(SALU_CYCLE_1) | instskip(NEXT) | instid1(SALU_CYCLE_1)
	s_or_b32 s35, s0, s35
	s_and_not1_b32 exec_lo, exec_lo, s35
	s_cbranch_execz .LBB1707_333
.LBB1707_331:                           ; =>This Inner Loop Header: Depth=1
	s_or_b32 s36, s36, exec_lo
	s_cmp_eq_u64 s[4:5], s[6:7]
	s_cbranch_scc0 .LBB1707_329
; %bb.332:                              ;   in Loop: Header=BB1707_331 Depth=1
	s_mov_b64 s[6:7], s[14:15]
                                        ; implicit-def: $vgpr33_vgpr34
                                        ; implicit-def: $vgpr35_vgpr36
	s_branch .LBB1707_330
.LBB1707_333:
	s_set_inst_prefetch_distance 0x2
	s_or_b32 exec_lo, exec_lo, s35
	v_cmp_gt_i64_e32 vcc_lo, s[14:15], v[37:38]
	s_or_not1_b32 s0, vcc_lo, exec_lo
.LBB1707_334:
	s_or_b32 exec_lo, exec_lo, s26
.LBB1707_335:
	s_delay_alu instid0(SALU_CYCLE_1)
	s_and_b32 s26, s0, exec_lo
.LBB1707_336:
	s_or_b32 exec_lo, exec_lo, s34
	v_or_b32_e32 v33, 3, v55
	s_mov_b32 s35, 0
	s_mov_b32 s34, 0
	s_mov_b32 s36, exec_lo
	s_delay_alu instid0(VALU_DEP_1)
	v_cmpx_gt_u32_e64 s31, v33
	s_cbranch_execz .LBB1707_347
; %bb.337:
	s_and_not1_b32 vcc_lo, exec_lo, s13
	s_mov_b32 s0, 0
	s_cbranch_vccnz .LBB1707_346
; %bb.338:
	v_mul_lo_u32 v37, v26, s14
	v_mul_lo_u32 v38, v25, s15
	v_mad_u64_u32 v[33:34], null, v25, s14, 0
	v_mul_lo_u32 v39, v28, s14
	v_mul_lo_u32 v40, v27, s15
	v_mad_u64_u32 v[35:36], null, v27, s14, 0
	s_mov_b32 s0, -1
	s_mov_b32 s34, exec_lo
	s_delay_alu instid0(VALU_DEP_4) | instskip(NEXT) | instid1(VALU_DEP_2)
	v_add3_u32 v34, v34, v38, v37
	v_add3_u32 v36, v36, v40, v39
	s_delay_alu instid0(VALU_DEP_2) | instskip(NEXT) | instid1(VALU_DEP_2)
	v_lshlrev_b64 v[33:34], 3, v[33:34]
	v_lshlrev_b64 v[37:38], 3, v[35:36]
	s_delay_alu instid0(VALU_DEP_2) | instskip(NEXT) | instid1(VALU_DEP_3)
	v_add_co_u32 v35, vcc_lo, s20, v33
	v_add_co_ci_u32_e32 v36, vcc_lo, s21, v34, vcc_lo
	s_delay_alu instid0(VALU_DEP_3) | instskip(NEXT) | instid1(VALU_DEP_4)
	v_add_co_u32 v33, vcc_lo, s20, v37
	v_add_co_ci_u32_e32 v34, vcc_lo, s21, v38, vcc_lo
	s_clause 0x1
	global_load_b64 v[37:38], v[35:36], off
	global_load_b64 v[39:40], v[33:34], off
	s_waitcnt vmcnt(0)
	v_cmpx_eq_u64_e64 v[37:38], v[39:40]
	s_cbranch_execz .LBB1707_345
; %bb.339:
	v_add_co_u32 v33, vcc_lo, v33, 8
	v_add_co_ci_u32_e32 v34, vcc_lo, 0, v34, vcc_lo
	v_add_co_u32 v35, vcc_lo, v35, 8
	v_add_co_ci_u32_e32 v36, vcc_lo, 0, v36, vcc_lo
	s_add_u32 s4, s14, -1
	s_addc_u32 s5, s15, -1
	s_mov_b64 s[6:7], 0
	s_mov_b32 s37, 0
                                        ; implicit-def: $sgpr38
	s_set_inst_prefetch_distance 0x1
	s_branch .LBB1707_342
	.p2align	6
.LBB1707_340:                           ;   in Loop: Header=BB1707_342 Depth=1
	global_load_b64 v[37:38], v[35:36], off
	global_load_b64 v[39:40], v[33:34], off
	v_add_co_u32 v33, vcc_lo, v33, 8
	v_add_co_ci_u32_e32 v34, vcc_lo, 0, v34, vcc_lo
	v_add_co_u32 v35, s0, v35, 8
	s_delay_alu instid0(VALU_DEP_1)
	v_add_co_ci_u32_e64 v36, s0, 0, v36, s0
	s_add_u32 s6, s6, 1
	s_addc_u32 s7, s7, 0
	s_and_not1_b32 s0, s38, exec_lo
	s_waitcnt vmcnt(0)
	v_cmp_ne_u64_e32 vcc_lo, v[37:38], v[39:40]
	s_and_b32 s38, vcc_lo, exec_lo
	s_delay_alu instid0(SALU_CYCLE_1)
	s_or_b32 s38, s0, s38
.LBB1707_341:                           ;   in Loop: Header=BB1707_342 Depth=1
	v_dual_mov_b32 v38, s7 :: v_dual_mov_b32 v37, s6
	s_and_b32 s0, exec_lo, s38
	s_delay_alu instid0(SALU_CYCLE_1) | instskip(NEXT) | instid1(SALU_CYCLE_1)
	s_or_b32 s37, s0, s37
	s_and_not1_b32 exec_lo, exec_lo, s37
	s_cbranch_execz .LBB1707_344
.LBB1707_342:                           ; =>This Inner Loop Header: Depth=1
	s_or_b32 s38, s38, exec_lo
	s_cmp_eq_u64 s[4:5], s[6:7]
	s_cbranch_scc0 .LBB1707_340
; %bb.343:                              ;   in Loop: Header=BB1707_342 Depth=1
	s_mov_b64 s[6:7], s[14:15]
                                        ; implicit-def: $vgpr33_vgpr34
                                        ; implicit-def: $vgpr35_vgpr36
	s_branch .LBB1707_341
.LBB1707_344:
	s_set_inst_prefetch_distance 0x2
	s_or_b32 exec_lo, exec_lo, s37
	v_cmp_gt_i64_e32 vcc_lo, s[14:15], v[37:38]
	s_or_not1_b32 s0, vcc_lo, exec_lo
.LBB1707_345:
	s_or_b32 exec_lo, exec_lo, s34
.LBB1707_346:
	s_delay_alu instid0(SALU_CYCLE_1)
	s_and_b32 s34, s0, exec_lo
.LBB1707_347:
	s_or_b32 exec_lo, exec_lo, s36
	v_or_b32_e32 v33, 2, v55
	s_mov_b32 s36, exec_lo
	s_delay_alu instid0(VALU_DEP_1)
	v_cmpx_gt_u32_e64 s31, v33
	s_cbranch_execz .LBB1707_358
; %bb.348:
	s_and_not1_b32 vcc_lo, exec_lo, s13
	s_mov_b32 s0, 0
	s_cbranch_vccnz .LBB1707_357
; %bb.349:
	v_mul_lo_u32 v37, v32, s14
	v_mul_lo_u32 v38, v31, s15
	v_mad_u64_u32 v[33:34], null, v31, s14, 0
	v_mul_lo_u32 v39, v26, s14
	v_mul_lo_u32 v40, v25, s15
	v_mad_u64_u32 v[35:36], null, v25, s14, 0
	s_mov_b32 s0, -1
	s_mov_b32 s35, exec_lo
	s_delay_alu instid0(VALU_DEP_4) | instskip(NEXT) | instid1(VALU_DEP_2)
	v_add3_u32 v34, v34, v38, v37
	v_add3_u32 v36, v36, v40, v39
	s_delay_alu instid0(VALU_DEP_2) | instskip(NEXT) | instid1(VALU_DEP_2)
	v_lshlrev_b64 v[33:34], 3, v[33:34]
	v_lshlrev_b64 v[37:38], 3, v[35:36]
	s_delay_alu instid0(VALU_DEP_2) | instskip(NEXT) | instid1(VALU_DEP_3)
	v_add_co_u32 v35, vcc_lo, s20, v33
	v_add_co_ci_u32_e32 v36, vcc_lo, s21, v34, vcc_lo
	s_delay_alu instid0(VALU_DEP_3) | instskip(NEXT) | instid1(VALU_DEP_4)
	v_add_co_u32 v33, vcc_lo, s20, v37
	v_add_co_ci_u32_e32 v34, vcc_lo, s21, v38, vcc_lo
	s_clause 0x1
	global_load_b64 v[37:38], v[35:36], off
	global_load_b64 v[39:40], v[33:34], off
	s_waitcnt vmcnt(0)
	v_cmpx_eq_u64_e64 v[37:38], v[39:40]
	s_cbranch_execz .LBB1707_356
; %bb.350:
	v_add_co_u32 v33, vcc_lo, v33, 8
	v_add_co_ci_u32_e32 v34, vcc_lo, 0, v34, vcc_lo
	v_add_co_u32 v35, vcc_lo, v35, 8
	v_add_co_ci_u32_e32 v36, vcc_lo, 0, v36, vcc_lo
	s_add_u32 s4, s14, -1
	s_addc_u32 s5, s15, -1
	s_mov_b64 s[6:7], 0
	s_mov_b32 s37, 0
                                        ; implicit-def: $sgpr38
	s_set_inst_prefetch_distance 0x1
	s_branch .LBB1707_353
	.p2align	6
.LBB1707_351:                           ;   in Loop: Header=BB1707_353 Depth=1
	global_load_b64 v[37:38], v[35:36], off
	global_load_b64 v[39:40], v[33:34], off
	v_add_co_u32 v33, vcc_lo, v33, 8
	v_add_co_ci_u32_e32 v34, vcc_lo, 0, v34, vcc_lo
	v_add_co_u32 v35, s0, v35, 8
	s_delay_alu instid0(VALU_DEP_1)
	v_add_co_ci_u32_e64 v36, s0, 0, v36, s0
	s_add_u32 s6, s6, 1
	s_addc_u32 s7, s7, 0
	s_and_not1_b32 s0, s38, exec_lo
	s_waitcnt vmcnt(0)
	v_cmp_ne_u64_e32 vcc_lo, v[37:38], v[39:40]
	s_and_b32 s38, vcc_lo, exec_lo
	s_delay_alu instid0(SALU_CYCLE_1)
	s_or_b32 s38, s0, s38
.LBB1707_352:                           ;   in Loop: Header=BB1707_353 Depth=1
	v_dual_mov_b32 v38, s7 :: v_dual_mov_b32 v37, s6
	s_and_b32 s0, exec_lo, s38
	s_delay_alu instid0(SALU_CYCLE_1) | instskip(NEXT) | instid1(SALU_CYCLE_1)
	s_or_b32 s37, s0, s37
	s_and_not1_b32 exec_lo, exec_lo, s37
	s_cbranch_execz .LBB1707_355
.LBB1707_353:                           ; =>This Inner Loop Header: Depth=1
	s_or_b32 s38, s38, exec_lo
	s_cmp_eq_u64 s[4:5], s[6:7]
	s_cbranch_scc0 .LBB1707_351
; %bb.354:                              ;   in Loop: Header=BB1707_353 Depth=1
	s_mov_b64 s[6:7], s[14:15]
                                        ; implicit-def: $vgpr33_vgpr34
                                        ; implicit-def: $vgpr35_vgpr36
	s_branch .LBB1707_352
.LBB1707_355:
	s_set_inst_prefetch_distance 0x2
	s_or_b32 exec_lo, exec_lo, s37
	v_cmp_gt_i64_e32 vcc_lo, s[14:15], v[37:38]
	s_or_not1_b32 s0, vcc_lo, exec_lo
.LBB1707_356:
	s_or_b32 exec_lo, exec_lo, s35
.LBB1707_357:
	s_delay_alu instid0(SALU_CYCLE_1)
	s_and_b32 s35, s0, exec_lo
.LBB1707_358:
	s_or_b32 exec_lo, exec_lo, s36
	v_or_b32_e32 v33, 1, v55
	s_mov_b32 s0, 0
	s_mov_b32 s36, exec_lo
	s_delay_alu instid0(VALU_DEP_1)
	v_cmpx_gt_u32_e64 s31, v33
	s_cbranch_execz .LBB1707_369
; %bb.359:
	s_and_not1_b32 vcc_lo, exec_lo, s13
	s_cbranch_vccnz .LBB1707_368
; %bb.360:
	v_mul_lo_u32 v37, v30, s14
	v_mul_lo_u32 v38, v29, s15
	v_mad_u64_u32 v[33:34], null, v29, s14, 0
	v_mul_lo_u32 v39, v32, s14
	v_mul_lo_u32 v40, v31, s15
	v_mad_u64_u32 v[35:36], null, v31, s14, 0
	s_mov_b32 s0, -1
	s_mov_b32 s37, exec_lo
	s_delay_alu instid0(VALU_DEP_4) | instskip(NEXT) | instid1(VALU_DEP_2)
	v_add3_u32 v34, v34, v38, v37
	v_add3_u32 v36, v36, v40, v39
	s_delay_alu instid0(VALU_DEP_2) | instskip(NEXT) | instid1(VALU_DEP_2)
	v_lshlrev_b64 v[33:34], 3, v[33:34]
	v_lshlrev_b64 v[37:38], 3, v[35:36]
	s_delay_alu instid0(VALU_DEP_2) | instskip(NEXT) | instid1(VALU_DEP_3)
	v_add_co_u32 v35, vcc_lo, s20, v33
	v_add_co_ci_u32_e32 v36, vcc_lo, s21, v34, vcc_lo
	s_delay_alu instid0(VALU_DEP_3) | instskip(NEXT) | instid1(VALU_DEP_4)
	v_add_co_u32 v33, vcc_lo, s20, v37
	v_add_co_ci_u32_e32 v34, vcc_lo, s21, v38, vcc_lo
	s_clause 0x1
	global_load_b64 v[37:38], v[35:36], off
	global_load_b64 v[39:40], v[33:34], off
	s_waitcnt vmcnt(0)
	v_cmpx_eq_u64_e64 v[37:38], v[39:40]
	s_cbranch_execz .LBB1707_367
; %bb.361:
	v_add_co_u32 v33, vcc_lo, v33, 8
	v_add_co_ci_u32_e32 v34, vcc_lo, 0, v34, vcc_lo
	v_add_co_u32 v35, vcc_lo, v35, 8
	v_add_co_ci_u32_e32 v36, vcc_lo, 0, v36, vcc_lo
	s_add_u32 s4, s14, -1
	s_addc_u32 s5, s15, -1
	s_mov_b64 s[6:7], 0
	s_mov_b32 s38, 0
                                        ; implicit-def: $sgpr39
	s_set_inst_prefetch_distance 0x1
	s_branch .LBB1707_364
	.p2align	6
.LBB1707_362:                           ;   in Loop: Header=BB1707_364 Depth=1
	global_load_b64 v[37:38], v[35:36], off
	global_load_b64 v[39:40], v[33:34], off
	v_add_co_u32 v33, vcc_lo, v33, 8
	v_add_co_ci_u32_e32 v34, vcc_lo, 0, v34, vcc_lo
	v_add_co_u32 v35, s0, v35, 8
	s_delay_alu instid0(VALU_DEP_1)
	v_add_co_ci_u32_e64 v36, s0, 0, v36, s0
	s_add_u32 s6, s6, 1
	s_addc_u32 s7, s7, 0
	s_and_not1_b32 s0, s39, exec_lo
	s_waitcnt vmcnt(0)
	v_cmp_ne_u64_e32 vcc_lo, v[37:38], v[39:40]
	s_and_b32 s39, vcc_lo, exec_lo
	s_delay_alu instid0(SALU_CYCLE_1)
	s_or_b32 s39, s0, s39
.LBB1707_363:                           ;   in Loop: Header=BB1707_364 Depth=1
	v_dual_mov_b32 v38, s7 :: v_dual_mov_b32 v37, s6
	s_and_b32 s0, exec_lo, s39
	s_delay_alu instid0(SALU_CYCLE_1) | instskip(NEXT) | instid1(SALU_CYCLE_1)
	s_or_b32 s38, s0, s38
	s_and_not1_b32 exec_lo, exec_lo, s38
	s_cbranch_execz .LBB1707_366
.LBB1707_364:                           ; =>This Inner Loop Header: Depth=1
	s_or_b32 s39, s39, exec_lo
	s_cmp_eq_u64 s[4:5], s[6:7]
	s_cbranch_scc0 .LBB1707_362
; %bb.365:                              ;   in Loop: Header=BB1707_364 Depth=1
	s_mov_b64 s[6:7], s[14:15]
                                        ; implicit-def: $vgpr33_vgpr34
                                        ; implicit-def: $vgpr35_vgpr36
	s_branch .LBB1707_363
.LBB1707_366:
	s_set_inst_prefetch_distance 0x2
	s_or_b32 exec_lo, exec_lo, s38
	v_cmp_gt_i64_e32 vcc_lo, s[14:15], v[37:38]
	s_or_not1_b32 s0, vcc_lo, exec_lo
.LBB1707_367:
	s_or_b32 exec_lo, exec_lo, s37
.LBB1707_368:
	s_delay_alu instid0(SALU_CYCLE_1)
	s_and_b32 s0, s0, exec_lo
.LBB1707_369:
	s_or_b32 exec_lo, exec_lo, s36
	v_cndmask_b32_e64 v34, 0, 1, s34
	v_cndmask_b32_e64 v35, 0, 1, s27
	;; [unrolled: 1-line block ×7, first 2 shown]
	v_lshlrev_b16 v35, 8, v35
	v_lshlrev_b16 v36, 8, v36
	;; [unrolled: 1-line block ×4, first 2 shown]
	s_waitcnt lgkmcnt(0)
	v_or_b32_e32 v35, v38, v35
	v_or_b32_e32 v36, v39, v36
	;; [unrolled: 1-line block ×4, first 2 shown]
	s_barrier
	v_and_b32_e32 v34, 0xffff, v35
	v_lshlrev_b32_e32 v35, 16, v36
	v_and_b32_e32 v37, 0xffff, v37
	v_lshlrev_b32_e32 v33, 16, v33
	buffer_gl0_inv
                                        ; implicit-def: $sgpr0
	v_or_b32_e32 v36, v34, v35
	v_or_b32_e32 v35, v37, v33
	s_and_saveexec_b32 s24, s3
	s_cbranch_execz .LBB1707_382
; %bb.370:
	s_mov_b32 s0, 0
	s_mov_b32 s3, exec_lo
	v_cmpx_gt_u32_e64 s31, v55
	s_cbranch_execz .LBB1707_381
; %bb.371:
	s_and_not1_b32 vcc_lo, exec_lo, s13
	s_cbranch_vccnz .LBB1707_380
; %bb.372:
	v_add_nc_u32_e32 v33, -8, v55
	v_mul_lo_u32 v41, v30, s14
	v_mul_lo_u32 v42, v29, s15
	s_mov_b32 s0, -1
	s_mov_b32 s13, exec_lo
	ds_load_b64 v[33:34], v33
	s_waitcnt lgkmcnt(0)
	v_mul_lo_u32 v39, v34, s14
	v_mul_lo_u32 v40, v33, s15
	v_mad_u64_u32 v[37:38], null, v33, s14, 0
	v_mad_u64_u32 v[33:34], null, v29, s14, 0
	s_delay_alu instid0(VALU_DEP_2) | instskip(NEXT) | instid1(VALU_DEP_2)
	v_add3_u32 v38, v38, v40, v39
	v_add3_u32 v34, v34, v42, v41
	s_delay_alu instid0(VALU_DEP_2) | instskip(NEXT) | instid1(VALU_DEP_2)
	v_lshlrev_b64 v[37:38], 3, v[37:38]
	v_lshlrev_b64 v[33:34], 3, v[33:34]
	s_delay_alu instid0(VALU_DEP_2) | instskip(NEXT) | instid1(VALU_DEP_3)
	v_add_co_u32 v37, vcc_lo, s20, v37
	v_add_co_ci_u32_e32 v38, vcc_lo, s21, v38, vcc_lo
	s_delay_alu instid0(VALU_DEP_3) | instskip(NEXT) | instid1(VALU_DEP_4)
	v_add_co_u32 v33, vcc_lo, s20, v33
	v_add_co_ci_u32_e32 v34, vcc_lo, s21, v34, vcc_lo
	s_clause 0x1
	global_load_b64 v[39:40], v[37:38], off
	global_load_b64 v[41:42], v[33:34], off
	s_waitcnt vmcnt(0)
	v_cmpx_eq_u64_e64 v[39:40], v[41:42]
	s_cbranch_execz .LBB1707_379
; %bb.373:
	v_add_co_u32 v33, vcc_lo, v33, 8
	v_add_co_ci_u32_e32 v34, vcc_lo, 0, v34, vcc_lo
	v_add_co_u32 v37, vcc_lo, v37, 8
	v_add_co_ci_u32_e32 v38, vcc_lo, 0, v38, vcc_lo
	s_add_u32 s4, s14, -1
	s_addc_u32 s5, s15, -1
	s_mov_b64 s[6:7], 0
	s_mov_b32 s20, 0
                                        ; implicit-def: $sgpr21
	s_set_inst_prefetch_distance 0x1
	s_branch .LBB1707_376
	.p2align	6
.LBB1707_374:                           ;   in Loop: Header=BB1707_376 Depth=1
	global_load_b64 v[39:40], v[37:38], off
	global_load_b64 v[41:42], v[33:34], off
	v_add_co_u32 v33, vcc_lo, v33, 8
	v_add_co_ci_u32_e32 v34, vcc_lo, 0, v34, vcc_lo
	v_add_co_u32 v37, s0, v37, 8
	s_delay_alu instid0(VALU_DEP_1)
	v_add_co_ci_u32_e64 v38, s0, 0, v38, s0
	s_add_u32 s6, s6, 1
	s_addc_u32 s7, s7, 0
	s_and_not1_b32 s0, s21, exec_lo
	s_waitcnt vmcnt(0)
	v_cmp_ne_u64_e32 vcc_lo, v[39:40], v[41:42]
	s_and_b32 s21, vcc_lo, exec_lo
	s_delay_alu instid0(SALU_CYCLE_1)
	s_or_b32 s21, s0, s21
.LBB1707_375:                           ;   in Loop: Header=BB1707_376 Depth=1
	v_dual_mov_b32 v40, s7 :: v_dual_mov_b32 v39, s6
	s_and_b32 s0, exec_lo, s21
	s_delay_alu instid0(SALU_CYCLE_1) | instskip(NEXT) | instid1(SALU_CYCLE_1)
	s_or_b32 s20, s0, s20
	s_and_not1_b32 exec_lo, exec_lo, s20
	s_cbranch_execz .LBB1707_378
.LBB1707_376:                           ; =>This Inner Loop Header: Depth=1
	s_or_b32 s21, s21, exec_lo
	s_cmp_eq_u64 s[4:5], s[6:7]
	s_cbranch_scc0 .LBB1707_374
; %bb.377:                              ;   in Loop: Header=BB1707_376 Depth=1
	s_mov_b64 s[6:7], s[14:15]
                                        ; implicit-def: $vgpr33_vgpr34
                                        ; implicit-def: $vgpr37_vgpr38
	s_branch .LBB1707_375
.LBB1707_378:
	s_set_inst_prefetch_distance 0x2
	s_or_b32 exec_lo, exec_lo, s20
	v_cmp_gt_i64_e32 vcc_lo, s[14:15], v[39:40]
	s_or_not1_b32 s0, vcc_lo, exec_lo
.LBB1707_379:
	s_or_b32 exec_lo, exec_lo, s13
.LBB1707_380:
	s_delay_alu instid0(SALU_CYCLE_1)
	s_and_b32 s0, s0, exec_lo
.LBB1707_381:
	s_or_b32 exec_lo, exec_lo, s3
	s_delay_alu instid0(SALU_CYCLE_1)
	s_and_b32 s0, s0, exec_lo
	s_or_b32 s1, s1, exec_lo
.LBB1707_382:
	s_or_b32 exec_lo, exec_lo, s24
.LBB1707_383:
	s_and_saveexec_b32 s3, s1
	s_cbranch_execz .LBB1707_385
; %bb.384:
	s_waitcnt vmcnt(0) lgkmcnt(0)
	v_and_b32_e32 v33, 0xffffff00, v35
	v_cndmask_b32_e64 v34, 0, 1, s0
	s_delay_alu instid0(VALU_DEP_1) | instskip(NEXT) | instid1(VALU_DEP_1)
	v_or_b32_e32 v33, v34, v33
	v_and_b32_e32 v33, 0xffff, v33
	s_delay_alu instid0(VALU_DEP_1)
	v_and_or_b32 v35, 0xffff0000, v35, v33
.LBB1707_385:
	s_or_b32 exec_lo, exec_lo, s3
	s_delay_alu instid0(SALU_CYCLE_1)
	s_and_not1_b32 vcc_lo, exec_lo, s33
	s_cbranch_vccnz .LBB1707_387
; %bb.386:
	v_cmp_gt_u32_e32 vcc_lo, s31, v55
	s_waitcnt vmcnt(0) lgkmcnt(0)
	v_or_b32_e32 v34, 1, v55
	v_and_b32_e32 v37, 0xffffff00, v36
	v_or_b32_e32 v38, 2, v55
	v_cndmask_b32_e32 v33, 0, v35, vcc_lo
	s_delay_alu instid0(VALU_DEP_4) | instskip(SKIP_1) | instid1(VALU_DEP_4)
	v_cmp_gt_u32_e32 vcc_lo, s31, v34
	v_or_b32_e32 v34, 4, v55
	v_cmp_gt_u32_e64 s0, s31, v38
	v_or_b32_e32 v38, 3, v55
	v_and_b32_e32 v33, 0xff, v33
	s_delay_alu instid0(VALU_DEP_2) | instskip(NEXT) | instid1(VALU_DEP_2)
	v_cmp_gt_u32_e64 s1, s31, v38
	v_cndmask_b32_e32 v33, v33, v35, vcc_lo
	v_cmp_gt_u32_e32 vcc_lo, s31, v34
	v_cndmask_b32_e32 v34, v37, v36, vcc_lo
	v_or_b32_e32 v37, 5, v55
	s_delay_alu instid0(VALU_DEP_2) | instskip(SKIP_1) | instid1(VALU_DEP_1)
	v_and_b32_e32 v34, 0xffff00ff, v34
	v_and_b32_e32 v33, 0xffff, v33
	v_cndmask_b32_e64 v33, v33, v35, s0
	s_delay_alu instid0(VALU_DEP_4) | instskip(SKIP_1) | instid1(VALU_DEP_3)
	v_cmp_gt_u32_e64 s0, s31, v37
	v_or_b32_e32 v37, 6, v55
	v_and_b32_e32 v33, 0xffffff, v33
	s_delay_alu instid0(VALU_DEP_3) | instskip(NEXT) | instid1(VALU_DEP_2)
	v_cndmask_b32_e64 v34, v34, v36, s0
	v_cndmask_b32_e64 v33, v33, v35, s1
	s_delay_alu instid0(VALU_DEP_1) | instskip(SKIP_2) | instid1(VALU_DEP_3)
	v_dual_cndmask_b32 v33, v33, v35 :: v_dual_and_b32 v34, 0xff00ffff, v34
	v_cmp_gt_u32_e32 vcc_lo, s31, v37
	v_or_b32_e32 v37, 7, v55
	v_cndmask_b32_e64 v33, v33, v35, s0
	s_delay_alu instid0(VALU_DEP_1) | instskip(NEXT) | instid1(VALU_DEP_1)
	v_dual_cndmask_b32 v34, v34, v36 :: v_dual_cndmask_b32 v33, v33, v35
	v_and_b32_e32 v34, 0xffffff, v34
	s_delay_alu instid0(VALU_DEP_4) | instskip(NEXT) | instid1(VALU_DEP_2)
	v_cmp_gt_u32_e32 vcc_lo, s31, v37
	v_dual_cndmask_b32 v36, v34, v36 :: v_dual_cndmask_b32 v35, v33, v35
.LBB1707_387:
	s_delay_alu instid0(VALU_DEP_1) | instskip(SKIP_1) | instid1(VALU_DEP_2)
	v_and_b32_e32 v44, 0xff, v35
	s_waitcnt vmcnt(0) lgkmcnt(0)
	v_alignbit_b32 v33, v36, v35, 24
	v_bfe_u32 v46, v35, 8, 8
	v_bfe_u32 v48, v35, 16, 8
	v_and_b32_e32 v52, 0xff, v36
	v_bfe_u32 v54, v36, 8, 8
	v_and_b32_e32 v50, 0xff, v33
	v_add_nc_u32_e32 v33, v46, v44
	v_mbcnt_lo_u32_b32 v58, -1, 0
	v_bfe_u32 v57, v36, 16, 8
	v_lshrrev_b32_e32 v56, 24, v36
	v_lshrrev_b32_e32 v59, 5, v0
	v_add3_u32 v33, v33, v48, v50
	v_and_b32_e32 v34, 15, v58
	v_and_b32_e32 v37, 16, v58
	s_and_b32 vcc_lo, exec_lo, s12
	s_mov_b32 s7, -1
	v_add3_u32 v33, v33, v52, v54
	v_cmp_eq_u32_e64 s3, 0, v34
	v_cmp_lt_u32_e64 s0, 1, v34
	v_cmp_lt_u32_e64 s4, 3, v34
	;; [unrolled: 1-line block ×3, first 2 shown]
	v_add3_u32 v60, v33, v57, v56
	v_or_b32_e32 v33, 31, v0
	v_cmp_eq_u32_e64 s6, 0, v37
	s_barrier
	buffer_gl0_inv
	v_cmp_eq_u32_e64 s5, v33, v0
	s_cbranch_vccz .LBB1707_418
; %bb.388:
	v_mov_b32_dpp v33, v60 row_shr:1 row_mask:0xf bank_mask:0xf
	s_delay_alu instid0(VALU_DEP_1) | instskip(NEXT) | instid1(VALU_DEP_1)
	v_cndmask_b32_e64 v33, v33, 0, s3
	v_add_nc_u32_e32 v33, v33, v60
	s_delay_alu instid0(VALU_DEP_1) | instskip(NEXT) | instid1(VALU_DEP_1)
	v_mov_b32_dpp v34, v33 row_shr:2 row_mask:0xf bank_mask:0xf
	v_cndmask_b32_e64 v34, 0, v34, s0
	s_delay_alu instid0(VALU_DEP_1) | instskip(NEXT) | instid1(VALU_DEP_1)
	v_add_nc_u32_e32 v33, v33, v34
	v_mov_b32_dpp v34, v33 row_shr:4 row_mask:0xf bank_mask:0xf
	s_delay_alu instid0(VALU_DEP_1) | instskip(NEXT) | instid1(VALU_DEP_1)
	v_cndmask_b32_e64 v34, 0, v34, s4
	v_add_nc_u32_e32 v33, v33, v34
	s_delay_alu instid0(VALU_DEP_1) | instskip(NEXT) | instid1(VALU_DEP_1)
	v_mov_b32_dpp v34, v33 row_shr:8 row_mask:0xf bank_mask:0xf
	v_cndmask_b32_e64 v34, 0, v34, s1
	s_delay_alu instid0(VALU_DEP_1) | instskip(SKIP_3) | instid1(VALU_DEP_1)
	v_add_nc_u32_e32 v33, v33, v34
	ds_swizzle_b32 v34, v33 offset:swizzle(BROADCAST,32,15)
	s_waitcnt lgkmcnt(0)
	v_cndmask_b32_e64 v34, v34, 0, s6
	v_add_nc_u32_e32 v33, v33, v34
	s_and_saveexec_b32 s7, s5
	s_cbranch_execz .LBB1707_390
; %bb.389:
	v_lshlrev_b32_e32 v34, 2, v59
	ds_store_b32 v34, v33
.LBB1707_390:
	s_or_b32 exec_lo, exec_lo, s7
	s_delay_alu instid0(SALU_CYCLE_1)
	s_mov_b32 s7, exec_lo
	s_waitcnt lgkmcnt(0)
	s_barrier
	buffer_gl0_inv
	v_cmpx_gt_u32_e32 16, v0
	s_cbranch_execz .LBB1707_392
; %bb.391:
	v_lshlrev_b32_e32 v34, 2, v0
	ds_load_b32 v37, v34
	s_waitcnt lgkmcnt(0)
	v_mov_b32_dpp v38, v37 row_shr:1 row_mask:0xf bank_mask:0xf
	s_delay_alu instid0(VALU_DEP_1) | instskip(NEXT) | instid1(VALU_DEP_1)
	v_cndmask_b32_e64 v38, v38, 0, s3
	v_add_nc_u32_e32 v37, v38, v37
	s_delay_alu instid0(VALU_DEP_1) | instskip(NEXT) | instid1(VALU_DEP_1)
	v_mov_b32_dpp v38, v37 row_shr:2 row_mask:0xf bank_mask:0xf
	v_cndmask_b32_e64 v38, 0, v38, s0
	s_delay_alu instid0(VALU_DEP_1) | instskip(NEXT) | instid1(VALU_DEP_1)
	v_add_nc_u32_e32 v37, v37, v38
	v_mov_b32_dpp v38, v37 row_shr:4 row_mask:0xf bank_mask:0xf
	s_delay_alu instid0(VALU_DEP_1) | instskip(NEXT) | instid1(VALU_DEP_1)
	v_cndmask_b32_e64 v38, 0, v38, s4
	v_add_nc_u32_e32 v37, v37, v38
	s_delay_alu instid0(VALU_DEP_1) | instskip(NEXT) | instid1(VALU_DEP_1)
	v_mov_b32_dpp v38, v37 row_shr:8 row_mask:0xf bank_mask:0xf
	v_cndmask_b32_e64 v38, 0, v38, s1
	s_delay_alu instid0(VALU_DEP_1)
	v_add_nc_u32_e32 v37, v37, v38
	ds_store_b32 v34, v37
.LBB1707_392:
	s_or_b32 exec_lo, exec_lo, s7
	v_cmp_gt_u32_e32 vcc_lo, 32, v0
	s_mov_b32 s12, exec_lo
	s_waitcnt lgkmcnt(0)
	s_barrier
	buffer_gl0_inv
                                        ; implicit-def: $vgpr43
	v_cmpx_lt_u32_e32 31, v0
	s_cbranch_execz .LBB1707_394
; %bb.393:
	v_lshl_add_u32 v34, v59, 2, -4
	ds_load_b32 v43, v34
	s_waitcnt lgkmcnt(0)
	v_add_nc_u32_e32 v33, v43, v33
.LBB1707_394:
	s_or_b32 exec_lo, exec_lo, s12
	v_add_nc_u32_e32 v34, -1, v58
	s_delay_alu instid0(VALU_DEP_1) | instskip(NEXT) | instid1(VALU_DEP_1)
	v_cmp_gt_i32_e64 s7, 0, v34
	v_cndmask_b32_e64 v34, v34, v58, s7
	v_cmp_eq_u32_e64 s7, 0, v58
	s_delay_alu instid0(VALU_DEP_2)
	v_lshlrev_b32_e32 v34, 2, v34
	ds_bpermute_b32 v45, v34, v33
	s_and_saveexec_b32 s12, vcc_lo
	s_cbranch_execz .LBB1707_417
; %bb.395:
	v_mov_b32_e32 v39, 0
	ds_load_b32 v33, v39 offset:60
	s_and_saveexec_b32 s13, s7
	s_cbranch_execz .LBB1707_397
; %bb.396:
	s_add_i32 s14, s30, 32
	s_mov_b32 s15, 0
	v_mov_b32_e32 v34, 1
	s_lshl_b64 s[14:15], s[14:15], 3
	s_delay_alu instid0(SALU_CYCLE_1)
	s_add_u32 s14, s22, s14
	s_addc_u32 s15, s23, s15
	s_waitcnt lgkmcnt(0)
	global_store_b64 v39, v[33:34], s[14:15]
.LBB1707_397:
	s_or_b32 exec_lo, exec_lo, s13
	v_xad_u32 v37, v58, -1, s30
	s_mov_b32 s14, 0
	s_mov_b32 s13, exec_lo
	s_delay_alu instid0(VALU_DEP_1) | instskip(NEXT) | instid1(VALU_DEP_1)
	v_add_nc_u32_e32 v38, 32, v37
	v_lshlrev_b64 v[38:39], 3, v[38:39]
	s_delay_alu instid0(VALU_DEP_1) | instskip(NEXT) | instid1(VALU_DEP_2)
	v_add_co_u32 v41, vcc_lo, s22, v38
	v_add_co_ci_u32_e32 v42, vcc_lo, s23, v39, vcc_lo
	global_load_b64 v[39:40], v[41:42], off glc
	s_waitcnt vmcnt(0)
	v_and_b32_e32 v34, 0xff, v40
	s_delay_alu instid0(VALU_DEP_1)
	v_cmpx_eq_u16_e32 0, v34
	s_cbranch_execz .LBB1707_403
; %bb.398:
	s_mov_b32 s15, 1
	.p2align	6
.LBB1707_399:                           ; =>This Loop Header: Depth=1
                                        ;     Child Loop BB1707_400 Depth 2
	s_delay_alu instid0(SALU_CYCLE_1)
	s_max_u32 s20, s15, 1
.LBB1707_400:                           ;   Parent Loop BB1707_399 Depth=1
                                        ; =>  This Inner Loop Header: Depth=2
	s_delay_alu instid0(SALU_CYCLE_1)
	s_add_i32 s20, s20, -1
	s_sleep 1
	s_cmp_eq_u32 s20, 0
	s_cbranch_scc0 .LBB1707_400
; %bb.401:                              ;   in Loop: Header=BB1707_399 Depth=1
	global_load_b64 v[39:40], v[41:42], off glc
	s_cmp_lt_u32 s15, 32
	s_cselect_b32 s20, -1, 0
	s_delay_alu instid0(SALU_CYCLE_1) | instskip(SKIP_3) | instid1(VALU_DEP_1)
	s_cmp_lg_u32 s20, 0
	s_addc_u32 s15, s15, 0
	s_waitcnt vmcnt(0)
	v_and_b32_e32 v34, 0xff, v40
	v_cmp_ne_u16_e32 vcc_lo, 0, v34
	s_or_b32 s14, vcc_lo, s14
	s_delay_alu instid0(SALU_CYCLE_1)
	s_and_not1_b32 exec_lo, exec_lo, s14
	s_cbranch_execnz .LBB1707_399
; %bb.402:
	s_or_b32 exec_lo, exec_lo, s14
.LBB1707_403:
	s_delay_alu instid0(SALU_CYCLE_1)
	s_or_b32 exec_lo, exec_lo, s13
	v_cmp_ne_u32_e32 vcc_lo, 31, v58
	v_and_b32_e32 v38, 0xff, v40
	v_lshlrev_b32_e64 v47, v58, -1
	v_add_nc_u32_e32 v51, 2, v58
	v_add_nc_u32_e32 v61, 4, v58
	v_add_co_ci_u32_e32 v34, vcc_lo, 0, v58, vcc_lo
	v_cmp_eq_u16_e32 vcc_lo, 2, v38
	v_add_nc_u32_e32 v64, 8, v58
	v_add_nc_u32_e32 v66, 16, v58
	v_and_or_b32 v38, vcc_lo, v47, 0x80000000
	v_cmp_gt_u32_e32 vcc_lo, 30, v58
	s_delay_alu instid0(VALU_DEP_2) | instskip(SKIP_1) | instid1(VALU_DEP_2)
	v_ctz_i32_b32_e32 v38, v38
	v_cndmask_b32_e64 v42, 0, 1, vcc_lo
	v_cmp_lt_u32_e32 vcc_lo, v58, v38
	v_lshlrev_b32_e32 v34, 2, v34
	s_delay_alu instid0(VALU_DEP_3)
	v_lshlrev_b32_e32 v42, 1, v42
	ds_bpermute_b32 v41, v34, v39
	v_add_lshl_u32 v49, v42, v58, 2
	s_waitcnt lgkmcnt(0)
	v_cndmask_b32_e32 v41, 0, v41, vcc_lo
	v_cmp_gt_u32_e32 vcc_lo, 28, v58
	s_delay_alu instid0(VALU_DEP_2) | instskip(SKIP_4) | instid1(VALU_DEP_1)
	v_add_nc_u32_e32 v39, v41, v39
	v_cndmask_b32_e64 v42, 0, 1, vcc_lo
	v_cmp_le_u32_e32 vcc_lo, v51, v38
	ds_bpermute_b32 v41, v49, v39
	v_lshlrev_b32_e32 v42, 2, v42
	v_add_lshl_u32 v53, v42, v58, 2
	s_waitcnt lgkmcnt(0)
	v_cndmask_b32_e32 v41, 0, v41, vcc_lo
	v_cmp_gt_u32_e32 vcc_lo, 24, v58
	s_delay_alu instid0(VALU_DEP_2) | instskip(SKIP_4) | instid1(VALU_DEP_1)
	v_add_nc_u32_e32 v39, v39, v41
	v_cndmask_b32_e64 v42, 0, 1, vcc_lo
	v_cmp_le_u32_e32 vcc_lo, v61, v38
	ds_bpermute_b32 v41, v53, v39
	v_lshlrev_b32_e32 v42, 3, v42
	;; [unrolled: 10-line block ×3, first 2 shown]
	v_add_lshl_u32 v65, v42, v58, 2
	s_waitcnt lgkmcnt(0)
	v_cndmask_b32_e32 v41, 0, v41, vcc_lo
	v_cmp_le_u32_e32 vcc_lo, v66, v38
	s_delay_alu instid0(VALU_DEP_2) | instskip(SKIP_3) | instid1(VALU_DEP_1)
	v_add_nc_u32_e32 v39, v39, v41
	ds_bpermute_b32 v41, v65, v39
	s_waitcnt lgkmcnt(0)
	v_cndmask_b32_e32 v38, 0, v41, vcc_lo
	v_dual_mov_b32 v38, 0 :: v_dual_add_nc_u32 v39, v39, v38
	s_branch .LBB1707_405
.LBB1707_404:                           ;   in Loop: Header=BB1707_405 Depth=1
	s_or_b32 exec_lo, exec_lo, s13
	ds_bpermute_b32 v42, v34, v39
	v_and_b32_e32 v41, 0xff, v40
	v_subrev_nc_u32_e32 v37, 32, v37
	s_delay_alu instid0(VALU_DEP_2) | instskip(SKIP_1) | instid1(VALU_DEP_1)
	v_cmp_eq_u16_e32 vcc_lo, 2, v41
	v_and_or_b32 v41, vcc_lo, v47, 0x80000000
	v_ctz_i32_b32_e32 v41, v41
	s_delay_alu instid0(VALU_DEP_1) | instskip(SKIP_3) | instid1(VALU_DEP_2)
	v_cmp_lt_u32_e32 vcc_lo, v58, v41
	s_waitcnt lgkmcnt(0)
	v_cndmask_b32_e32 v42, 0, v42, vcc_lo
	v_cmp_le_u32_e32 vcc_lo, v51, v41
	v_add_nc_u32_e32 v39, v42, v39
	ds_bpermute_b32 v42, v49, v39
	s_waitcnt lgkmcnt(0)
	v_cndmask_b32_e32 v42, 0, v42, vcc_lo
	v_cmp_le_u32_e32 vcc_lo, v61, v41
	s_delay_alu instid0(VALU_DEP_2) | instskip(SKIP_4) | instid1(VALU_DEP_2)
	v_add_nc_u32_e32 v39, v39, v42
	ds_bpermute_b32 v42, v53, v39
	s_waitcnt lgkmcnt(0)
	v_cndmask_b32_e32 v42, 0, v42, vcc_lo
	v_cmp_le_u32_e32 vcc_lo, v64, v41
	v_add_nc_u32_e32 v39, v39, v42
	ds_bpermute_b32 v42, v63, v39
	s_waitcnt lgkmcnt(0)
	v_cndmask_b32_e32 v42, 0, v42, vcc_lo
	v_cmp_le_u32_e32 vcc_lo, v66, v41
	s_delay_alu instid0(VALU_DEP_2) | instskip(SKIP_3) | instid1(VALU_DEP_1)
	v_add_nc_u32_e32 v39, v39, v42
	ds_bpermute_b32 v42, v65, v39
	s_waitcnt lgkmcnt(0)
	v_cndmask_b32_e32 v41, 0, v42, vcc_lo
	v_add3_u32 v39, v41, v62, v39
.LBB1707_405:                           ; =>This Loop Header: Depth=1
                                        ;     Child Loop BB1707_408 Depth 2
                                        ;       Child Loop BB1707_409 Depth 3
	v_and_b32_e32 v40, 0xff, v40
	s_delay_alu instid0(VALU_DEP_2) | instskip(NEXT) | instid1(VALU_DEP_2)
	v_mov_b32_e32 v62, v39
	v_cmp_ne_u16_e32 vcc_lo, 2, v40
	v_cndmask_b32_e64 v40, 0, 1, vcc_lo
	;;#ASMSTART
	;;#ASMEND
	s_delay_alu instid0(VALU_DEP_1)
	v_cmp_ne_u32_e32 vcc_lo, 0, v40
	s_cmp_lg_u32 vcc_lo, exec_lo
	s_cbranch_scc1 .LBB1707_412
; %bb.406:                              ;   in Loop: Header=BB1707_405 Depth=1
	v_lshlrev_b64 v[39:40], 3, v[37:38]
	s_mov_b32 s13, exec_lo
	s_delay_alu instid0(VALU_DEP_1) | instskip(NEXT) | instid1(VALU_DEP_2)
	v_add_co_u32 v41, vcc_lo, s22, v39
	v_add_co_ci_u32_e32 v42, vcc_lo, s23, v40, vcc_lo
	global_load_b64 v[39:40], v[41:42], off glc
	s_waitcnt vmcnt(0)
	v_and_b32_e32 v67, 0xff, v40
	s_delay_alu instid0(VALU_DEP_1)
	v_cmpx_eq_u16_e32 0, v67
	s_cbranch_execz .LBB1707_404
; %bb.407:                              ;   in Loop: Header=BB1707_405 Depth=1
	s_mov_b32 s15, 1
	s_mov_b32 s14, 0
	.p2align	6
.LBB1707_408:                           ;   Parent Loop BB1707_405 Depth=1
                                        ; =>  This Loop Header: Depth=2
                                        ;       Child Loop BB1707_409 Depth 3
	s_max_u32 s20, s15, 1
.LBB1707_409:                           ;   Parent Loop BB1707_405 Depth=1
                                        ;     Parent Loop BB1707_408 Depth=2
                                        ; =>    This Inner Loop Header: Depth=3
	s_delay_alu instid0(SALU_CYCLE_1)
	s_add_i32 s20, s20, -1
	s_sleep 1
	s_cmp_eq_u32 s20, 0
	s_cbranch_scc0 .LBB1707_409
; %bb.410:                              ;   in Loop: Header=BB1707_408 Depth=2
	global_load_b64 v[39:40], v[41:42], off glc
	s_cmp_lt_u32 s15, 32
	s_cselect_b32 s20, -1, 0
	s_delay_alu instid0(SALU_CYCLE_1) | instskip(SKIP_3) | instid1(VALU_DEP_1)
	s_cmp_lg_u32 s20, 0
	s_addc_u32 s15, s15, 0
	s_waitcnt vmcnt(0)
	v_and_b32_e32 v67, 0xff, v40
	v_cmp_ne_u16_e32 vcc_lo, 0, v67
	s_or_b32 s14, vcc_lo, s14
	s_delay_alu instid0(SALU_CYCLE_1)
	s_and_not1_b32 exec_lo, exec_lo, s14
	s_cbranch_execnz .LBB1707_408
; %bb.411:                              ;   in Loop: Header=BB1707_405 Depth=1
	s_or_b32 exec_lo, exec_lo, s14
	s_branch .LBB1707_404
.LBB1707_412:                           ;   in Loop: Header=BB1707_405 Depth=1
                                        ; implicit-def: $vgpr39
                                        ; implicit-def: $vgpr40
	s_cbranch_execz .LBB1707_405
; %bb.413:
	s_and_saveexec_b32 s13, s7
	s_cbranch_execz .LBB1707_415
; %bb.414:
	s_add_i32 s14, s30, 32
	s_mov_b32 s15, 0
	v_dual_mov_b32 v38, 2 :: v_dual_add_nc_u32 v37, v62, v33
	s_lshl_b64 s[14:15], s[14:15], 3
	v_mov_b32_e32 v34, 0
	v_add_nc_u32_e64 v39, 0x8400, 0
	s_add_u32 s14, s22, s14
	s_addc_u32 s15, s23, s15
	global_store_b64 v34, v[37:38], s[14:15]
	ds_store_2addr_b32 v39, v33, v62 offset1:2
.LBB1707_415:
	s_or_b32 exec_lo, exec_lo, s13
	s_delay_alu instid0(SALU_CYCLE_1)
	s_and_b32 exec_lo, exec_lo, s2
	s_cbranch_execz .LBB1707_417
; %bb.416:
	v_mov_b32_e32 v33, 0
	ds_store_b32 v33, v62 offset:60
.LBB1707_417:
	s_or_b32 exec_lo, exec_lo, s12
	v_mov_b32_e32 v33, 0
	s_waitcnt lgkmcnt(0)
	s_waitcnt_vscnt null, 0x0
	s_barrier
	buffer_gl0_inv
	v_cndmask_b32_e64 v34, v45, v43, s7
	ds_load_b32 v33, v33 offset:60
	s_waitcnt lgkmcnt(0)
	s_barrier
	buffer_gl0_inv
	v_cndmask_b32_e64 v34, v34, 0, s2
	s_delay_alu instid0(VALU_DEP_1) | instskip(SKIP_1) | instid1(VALU_DEP_2)
	v_add_nc_u32_e32 v53, v33, v34
	v_add_nc_u32_e64 v33, 0x8400, 0
	v_add_nc_u32_e32 v51, v53, v44
	ds_load_2addr_b32 v[33:34], v33 offset1:2
	v_add_nc_u32_e32 v49, v51, v46
	s_delay_alu instid0(VALU_DEP_1) | instskip(NEXT) | instid1(VALU_DEP_1)
	v_add_nc_u32_e32 v47, v49, v48
	v_add_nc_u32_e32 v45, v47, v50
	s_delay_alu instid0(VALU_DEP_1) | instskip(SKIP_2) | instid1(VALU_DEP_2)
	v_add_nc_u32_e32 v43, v45, v52
	s_waitcnt lgkmcnt(0)
	v_readfirstlane_b32 s12, v34
	v_add_nc_u32_e32 v41, v43, v54
	s_delay_alu instid0(VALU_DEP_1)
	v_add_nc_u32_e32 v39, v41, v57
	v_lshrrev_b64 v[37:38], 24, v[35:36]
	s_branch .LBB1707_428
.LBB1707_418:
                                        ; implicit-def: $vgpr39
                                        ; implicit-def: $vgpr41
                                        ; implicit-def: $vgpr43
                                        ; implicit-def: $vgpr45
                                        ; implicit-def: $vgpr47
                                        ; implicit-def: $vgpr49
                                        ; implicit-def: $vgpr51
                                        ; implicit-def: $vgpr53
                                        ; implicit-def: $sgpr12
                                        ; implicit-def: $vgpr33
	v_lshrrev_b64 v[37:38], 24, v[35:36]
	s_and_b32 vcc_lo, exec_lo, s7
	s_cbranch_vccz .LBB1707_428
; %bb.419:
	v_mov_b32_dpp v33, v60 row_shr:1 row_mask:0xf bank_mask:0xf
	s_delay_alu instid0(VALU_DEP_1) | instskip(NEXT) | instid1(VALU_DEP_1)
	v_cndmask_b32_e64 v33, v33, 0, s3
	v_add_nc_u32_e32 v33, v33, v60
	s_delay_alu instid0(VALU_DEP_1) | instskip(NEXT) | instid1(VALU_DEP_1)
	v_mov_b32_dpp v34, v33 row_shr:2 row_mask:0xf bank_mask:0xf
	v_cndmask_b32_e64 v34, 0, v34, s0
	s_delay_alu instid0(VALU_DEP_1) | instskip(NEXT) | instid1(VALU_DEP_1)
	v_add_nc_u32_e32 v33, v33, v34
	v_mov_b32_dpp v34, v33 row_shr:4 row_mask:0xf bank_mask:0xf
	s_delay_alu instid0(VALU_DEP_1) | instskip(NEXT) | instid1(VALU_DEP_1)
	v_cndmask_b32_e64 v34, 0, v34, s4
	v_add_nc_u32_e32 v33, v33, v34
	s_delay_alu instid0(VALU_DEP_1) | instskip(NEXT) | instid1(VALU_DEP_1)
	v_mov_b32_dpp v34, v33 row_shr:8 row_mask:0xf bank_mask:0xf
	v_cndmask_b32_e64 v34, 0, v34, s1
	s_delay_alu instid0(VALU_DEP_1) | instskip(SKIP_3) | instid1(VALU_DEP_1)
	v_add_nc_u32_e32 v33, v33, v34
	ds_swizzle_b32 v34, v33 offset:swizzle(BROADCAST,32,15)
	s_waitcnt lgkmcnt(0)
	v_cndmask_b32_e64 v34, v34, 0, s6
	v_add_nc_u32_e32 v33, v33, v34
	s_and_saveexec_b32 s6, s5
	s_cbranch_execz .LBB1707_421
; %bb.420:
	v_lshlrev_b32_e32 v34, 2, v59
	ds_store_b32 v34, v33
.LBB1707_421:
	s_or_b32 exec_lo, exec_lo, s6
	s_delay_alu instid0(SALU_CYCLE_1)
	s_mov_b32 s5, exec_lo
	s_waitcnt lgkmcnt(0)
	s_barrier
	buffer_gl0_inv
	v_cmpx_gt_u32_e32 16, v0
	s_cbranch_execz .LBB1707_423
; %bb.422:
	v_lshlrev_b32_e32 v34, 2, v0
	ds_load_b32 v38, v34
	s_waitcnt lgkmcnt(0)
	v_mov_b32_dpp v39, v38 row_shr:1 row_mask:0xf bank_mask:0xf
	s_delay_alu instid0(VALU_DEP_1) | instskip(NEXT) | instid1(VALU_DEP_1)
	v_cndmask_b32_e64 v39, v39, 0, s3
	v_add_nc_u32_e32 v38, v39, v38
	s_delay_alu instid0(VALU_DEP_1) | instskip(NEXT) | instid1(VALU_DEP_1)
	v_mov_b32_dpp v39, v38 row_shr:2 row_mask:0xf bank_mask:0xf
	v_cndmask_b32_e64 v39, 0, v39, s0
	s_delay_alu instid0(VALU_DEP_1) | instskip(NEXT) | instid1(VALU_DEP_1)
	v_add_nc_u32_e32 v38, v38, v39
	v_mov_b32_dpp v39, v38 row_shr:4 row_mask:0xf bank_mask:0xf
	s_delay_alu instid0(VALU_DEP_1) | instskip(NEXT) | instid1(VALU_DEP_1)
	v_cndmask_b32_e64 v39, 0, v39, s4
	v_add_nc_u32_e32 v38, v38, v39
	s_delay_alu instid0(VALU_DEP_1) | instskip(NEXT) | instid1(VALU_DEP_1)
	v_mov_b32_dpp v39, v38 row_shr:8 row_mask:0xf bank_mask:0xf
	v_cndmask_b32_e64 v39, 0, v39, s1
	s_delay_alu instid0(VALU_DEP_1)
	v_add_nc_u32_e32 v38, v38, v39
	ds_store_b32 v34, v38
.LBB1707_423:
	s_or_b32 exec_lo, exec_lo, s5
	v_mov_b32_e32 v34, 0
	v_mov_b32_e32 v38, 0
	s_mov_b32 s0, exec_lo
	s_waitcnt lgkmcnt(0)
	s_barrier
	buffer_gl0_inv
	v_cmpx_lt_u32_e32 31, v0
	s_cbranch_execz .LBB1707_425
; %bb.424:
	v_lshl_add_u32 v38, v59, 2, -4
	ds_load_b32 v38, v38
.LBB1707_425:
	s_or_b32 exec_lo, exec_lo, s0
	v_add_nc_u32_e32 v39, -1, v58
	s_waitcnt lgkmcnt(0)
	v_add_nc_u32_e32 v33, v38, v33
	s_mov_b32 s12, 0
	s_delay_alu instid0(VALU_DEP_2) | instskip(SKIP_1) | instid1(VALU_DEP_1)
	v_cmp_gt_i32_e32 vcc_lo, 0, v39
	v_cndmask_b32_e32 v39, v39, v58, vcc_lo
	v_lshlrev_b32_e32 v39, 2, v39
	ds_bpermute_b32 v39, v39, v33
	ds_load_b32 v33, v34 offset:60
	s_and_saveexec_b32 s0, s2
	s_cbranch_execz .LBB1707_427
; %bb.426:
	v_mov_b32_e32 v40, 0
	v_mov_b32_e32 v34, 2
	s_waitcnt lgkmcnt(0)
	global_store_b64 v40, v[33:34], s[22:23] offset:256
.LBB1707_427:
	s_or_b32 exec_lo, exec_lo, s0
	v_cmp_eq_u32_e32 vcc_lo, 0, v58
	s_waitcnt lgkmcnt(0)
	s_waitcnt_vscnt null, 0x0
	s_barrier
	buffer_gl0_inv
	v_cndmask_b32_e32 v34, v39, v38, vcc_lo
	s_delay_alu instid0(VALU_DEP_1) | instskip(NEXT) | instid1(VALU_DEP_1)
	v_cndmask_b32_e64 v53, v34, 0, s2
	v_add_nc_u32_e32 v51, v53, v44
	s_delay_alu instid0(VALU_DEP_1) | instskip(NEXT) | instid1(VALU_DEP_1)
	v_add_nc_u32_e32 v49, v51, v46
	v_add_nc_u32_e32 v47, v49, v48
	s_delay_alu instid0(VALU_DEP_1) | instskip(NEXT) | instid1(VALU_DEP_1)
	v_add_nc_u32_e32 v45, v47, v50
	;; [unrolled: 3-line block ×3, first 2 shown]
	v_add_nc_u32_e32 v39, v41, v57
.LBB1707_428:
	v_add_nc_u32_e32 v59, s12, v33
	v_cmp_gt_u32_e64 s0, 0x201, v33
	v_lshrrev_b32_e32 v58, 8, v35
	v_lshrrev_b32_e32 v57, 16, v35
	;; [unrolled: 1-line block ×4, first 2 shown]
	v_cmp_lt_u32_e64 s1, v53, v59
	s_and_b32 vcc_lo, exec_lo, s0
	s_mov_b32 s3, -1
	s_cbranch_vccz .LBB1707_454
; %bb.429:
	s_delay_alu instid0(VALU_DEP_1) | instskip(NEXT) | instid1(SALU_CYCLE_1)
	s_or_b32 s3, s29, s1
	s_and_saveexec_b32 s1, s3
	s_cbranch_execz .LBB1707_432
; %bb.430:
	v_and_b32_e32 v40, 1, v35
	s_delay_alu instid0(VALU_DEP_1)
	v_cmp_eq_u32_e32 vcc_lo, 1, v40
	s_and_b32 exec_lo, exec_lo, vcc_lo
	s_cbranch_execz .LBB1707_432
; %bb.431:
	v_mov_b32_e32 v54, 0
	s_lshl_b64 s[4:5], s[10:11], 3
	s_delay_alu instid0(SALU_CYCLE_1) | instskip(SKIP_1) | instid1(VALU_DEP_1)
	s_add_u32 s3, s16, s4
	s_addc_u32 s4, s17, s5
	v_lshlrev_b64 v[60:61], 3, v[53:54]
	s_delay_alu instid0(VALU_DEP_1) | instskip(NEXT) | instid1(VALU_DEP_2)
	v_add_co_u32 v60, vcc_lo, s3, v60
	v_add_co_ci_u32_e32 v61, vcc_lo, s4, v61, vcc_lo
	global_store_b64 v[60:61], v[29:30], off
.LBB1707_432:
	s_or_b32 exec_lo, exec_lo, s1
	v_cmp_lt_u32_e32 vcc_lo, v51, v59
	s_or_b32 s3, s29, vcc_lo
	s_delay_alu instid0(SALU_CYCLE_1)
	s_and_saveexec_b32 s1, s3
	s_cbranch_execz .LBB1707_435
; %bb.433:
	v_and_b32_e32 v40, 1, v58
	s_delay_alu instid0(VALU_DEP_1)
	v_cmp_eq_u32_e32 vcc_lo, 1, v40
	s_and_b32 exec_lo, exec_lo, vcc_lo
	s_cbranch_execz .LBB1707_435
; %bb.434:
	v_mov_b32_e32 v52, 0
	s_lshl_b64 s[4:5], s[10:11], 3
	s_delay_alu instid0(SALU_CYCLE_1) | instskip(SKIP_1) | instid1(VALU_DEP_1)
	s_add_u32 s3, s16, s4
	s_addc_u32 s4, s17, s5
	v_lshlrev_b64 v[60:61], 3, v[51:52]
	s_delay_alu instid0(VALU_DEP_1) | instskip(NEXT) | instid1(VALU_DEP_2)
	v_add_co_u32 v60, vcc_lo, s3, v60
	v_add_co_ci_u32_e32 v61, vcc_lo, s4, v61, vcc_lo
	global_store_b64 v[60:61], v[31:32], off
.LBB1707_435:
	s_or_b32 exec_lo, exec_lo, s1
	v_cmp_lt_u32_e32 vcc_lo, v49, v59
	s_or_b32 s3, s29, vcc_lo
	s_delay_alu instid0(SALU_CYCLE_1)
	;; [unrolled: 24-line block ×7, first 2 shown]
	s_and_saveexec_b32 s1, s3
	s_cbranch_execz .LBB1707_453
; %bb.451:
	v_and_b32_e32 v40, 1, v56
	s_delay_alu instid0(VALU_DEP_1)
	v_cmp_eq_u32_e32 vcc_lo, 1, v40
	s_and_b32 exec_lo, exec_lo, vcc_lo
	s_cbranch_execz .LBB1707_453
; %bb.452:
	v_mov_b32_e32 v40, 0
	s_lshl_b64 s[4:5], s[10:11], 3
	s_delay_alu instid0(SALU_CYCLE_1) | instskip(SKIP_1) | instid1(VALU_DEP_1)
	s_add_u32 s3, s16, s4
	s_addc_u32 s4, s17, s5
	v_lshlrev_b64 v[60:61], 3, v[39:40]
	s_delay_alu instid0(VALU_DEP_1) | instskip(NEXT) | instid1(VALU_DEP_2)
	v_add_co_u32 v60, vcc_lo, s3, v60
	v_add_co_ci_u32_e32 v61, vcc_lo, s4, v61, vcc_lo
	global_store_b64 v[60:61], v[19:20], off
.LBB1707_453:
	s_or_b32 exec_lo, exec_lo, s1
	s_mov_b32 s3, 0
.LBB1707_454:
	v_and_b32_e32 v35, 1, v35
	s_and_b32 vcc_lo, exec_lo, s3
	s_delay_alu instid0(VALU_DEP_1)
	v_cmp_eq_u32_e64 s1, 1, v35
	s_cbranch_vccz .LBB1707_475
; %bb.455:
	s_delay_alu instid0(VALU_DEP_1)
	s_and_saveexec_b32 s3, s1
	s_cbranch_execz .LBB1707_457
; %bb.456:
	v_subrev_nc_u32_e32 v40, s12, v53
	s_delay_alu instid0(VALU_DEP_1)
	v_lshlrev_b32_e32 v40, 3, v40
	ds_store_b64 v40, v[29:30]
.LBB1707_457:
	s_or_b32 exec_lo, exec_lo, s3
	v_and_b32_e32 v29, 1, v58
	s_mov_b32 s1, exec_lo
	s_delay_alu instid0(VALU_DEP_1)
	v_cmpx_eq_u32_e32 1, v29
	s_cbranch_execz .LBB1707_459
; %bb.458:
	v_subrev_nc_u32_e32 v29, s12, v51
	s_delay_alu instid0(VALU_DEP_1)
	v_lshlrev_b32_e32 v29, 3, v29
	ds_store_b64 v29, v[31:32]
.LBB1707_459:
	s_or_b32 exec_lo, exec_lo, s1
	v_and_b32_e32 v29, 1, v57
	s_mov_b32 s1, exec_lo
	s_delay_alu instid0(VALU_DEP_1)
	v_cmpx_eq_u32_e32 1, v29
	;; [unrolled: 12-line block ×7, first 2 shown]
	s_cbranch_execz .LBB1707_471
; %bb.470:
	v_subrev_nc_u32_e32 v17, s12, v39
	s_delay_alu instid0(VALU_DEP_1)
	v_lshlrev_b32_e32 v17, 3, v17
	ds_store_b64 v17, v[19:20]
.LBB1707_471:
	s_or_b32 exec_lo, exec_lo, s1
	s_delay_alu instid0(SALU_CYCLE_1)
	s_mov_b32 s3, exec_lo
	s_waitcnt lgkmcnt(0)
	s_waitcnt_vscnt null, 0x0
	s_barrier
	buffer_gl0_inv
	v_cmpx_lt_u32_e64 v0, v33
	s_cbranch_execz .LBB1707_474
; %bb.472:
	s_mov_b32 s13, 0
	s_lshl_b64 s[4:5], s[10:11], 3
	s_lshl_b64 s[6:7], s[12:13], 3
	v_dual_mov_b32 v19, v55 :: v_dual_mov_b32 v20, v0
	s_add_u32 s1, s4, s6
	s_addc_u32 s4, s5, s7
	s_add_u32 s1, s16, s1
	s_addc_u32 s4, s17, s4
	v_add_co_u32 v17, s1, s1, v55
	s_delay_alu instid0(VALU_DEP_1)
	v_add_co_ci_u32_e64 v18, null, s4, 0, s1
	.p2align	6
.LBB1707_473:                           ; =>This Inner Loop Header: Depth=1
	ds_load_b64 v[21:22], v19
	v_add_nc_u32_e32 v20, 0x200, v20
	v_add_nc_u32_e32 v19, 0x1000, v19
	s_delay_alu instid0(VALU_DEP_2) | instskip(SKIP_4) | instid1(VALU_DEP_1)
	v_cmp_ge_u32_e32 vcc_lo, v20, v33
	s_or_b32 s13, vcc_lo, s13
	s_waitcnt lgkmcnt(0)
	global_store_b64 v[17:18], v[21:22], off
	v_add_co_u32 v17, s1, 0x1000, v17
	v_add_co_ci_u32_e64 v18, s1, 0, v18, s1
	s_and_not1_b32 exec_lo, exec_lo, s13
	s_cbranch_execnz .LBB1707_473
.LBB1707_474:
	s_or_b32 exec_lo, exec_lo, s3
.LBB1707_475:
	s_delay_alu instid0(SALU_CYCLE_1)
	s_and_b32 vcc_lo, exec_lo, s0
	s_mov_b32 s0, -1
	s_waitcnt_vscnt null, 0x0
	s_barrier
	buffer_gl0_inv
	s_cbranch_vccz .LBB1707_503
; %bb.476:
	v_cmp_lt_u32_e32 vcc_lo, v53, v59
	s_or_b32 s1, s29, vcc_lo
	s_delay_alu instid0(SALU_CYCLE_1)
	s_and_saveexec_b32 s0, s1
	s_cbranch_execz .LBB1707_479
; %bb.477:
	v_cmp_eq_u32_e32 vcc_lo, 1, v35
	s_and_b32 exec_lo, exec_lo, vcc_lo
	s_cbranch_execz .LBB1707_479
; %bb.478:
	v_mov_b32_e32 v54, 0
	s_lshl_b64 s[4:5], s[10:11], 3
	s_delay_alu instid0(SALU_CYCLE_1) | instskip(SKIP_1) | instid1(VALU_DEP_1)
	s_add_u32 s1, s18, s4
	s_addc_u32 s3, s19, s5
	v_lshlrev_b64 v[17:18], 3, v[53:54]
	s_delay_alu instid0(VALU_DEP_1) | instskip(NEXT) | instid1(VALU_DEP_2)
	v_add_co_u32 v17, vcc_lo, s1, v17
	v_add_co_ci_u32_e32 v18, vcc_lo, s3, v18, vcc_lo
	global_store_b64 v[17:18], v[13:14], off
.LBB1707_479:
	s_or_b32 exec_lo, exec_lo, s0
	v_cmp_lt_u32_e32 vcc_lo, v51, v59
	s_or_b32 s1, s29, vcc_lo
	s_delay_alu instid0(SALU_CYCLE_1)
	s_and_saveexec_b32 s0, s1
	s_cbranch_execz .LBB1707_482
; %bb.480:
	v_and_b32_e32 v17, 1, v58
	s_delay_alu instid0(VALU_DEP_1)
	v_cmp_eq_u32_e32 vcc_lo, 1, v17
	s_and_b32 exec_lo, exec_lo, vcc_lo
	s_cbranch_execz .LBB1707_482
; %bb.481:
	v_mov_b32_e32 v52, 0
	s_lshl_b64 s[4:5], s[10:11], 3
	s_delay_alu instid0(SALU_CYCLE_1) | instskip(SKIP_1) | instid1(VALU_DEP_1)
	s_add_u32 s1, s18, s4
	s_addc_u32 s3, s19, s5
	v_lshlrev_b64 v[17:18], 3, v[51:52]
	s_delay_alu instid0(VALU_DEP_1) | instskip(NEXT) | instid1(VALU_DEP_2)
	v_add_co_u32 v17, vcc_lo, s1, v17
	v_add_co_ci_u32_e32 v18, vcc_lo, s3, v18, vcc_lo
	global_store_b64 v[17:18], v[15:16], off
.LBB1707_482:
	s_or_b32 exec_lo, exec_lo, s0
	v_cmp_lt_u32_e32 vcc_lo, v49, v59
	s_or_b32 s1, s29, vcc_lo
	s_delay_alu instid0(SALU_CYCLE_1)
	s_and_saveexec_b32 s0, s1
	s_cbranch_execz .LBB1707_485
; %bb.483:
	v_and_b32_e32 v17, 1, v57
	s_delay_alu instid0(VALU_DEP_1)
	v_cmp_eq_u32_e32 vcc_lo, 1, v17
	s_and_b32 exec_lo, exec_lo, vcc_lo
	s_cbranch_execz .LBB1707_485
; %bb.484:
	v_mov_b32_e32 v50, 0
	s_lshl_b64 s[4:5], s[10:11], 3
	s_delay_alu instid0(SALU_CYCLE_1) | instskip(SKIP_1) | instid1(VALU_DEP_1)
	s_add_u32 s1, s18, s4
	s_addc_u32 s3, s19, s5
	v_lshlrev_b64 v[17:18], 3, v[49:50]
	s_delay_alu instid0(VALU_DEP_1) | instskip(NEXT) | instid1(VALU_DEP_2)
	v_add_co_u32 v17, vcc_lo, s1, v17
	v_add_co_ci_u32_e32 v18, vcc_lo, s3, v18, vcc_lo
	global_store_b64 v[17:18], v[9:10], off
.LBB1707_485:
	;; [unrolled: 24-line block ×7, first 2 shown]
	s_or_b32 exec_lo, exec_lo, s0
.LBB1707_501:
	s_and_b32 s0, s2, s28
	s_delay_alu instid0(SALU_CYCLE_1)
	s_and_saveexec_b32 s1, s0
	s_cbranch_execz .LBB1707_524
.LBB1707_502:
	v_add_co_u32 v0, s0, s10, v33
	s_delay_alu instid0(VALU_DEP_1) | instskip(SKIP_1) | instid1(VALU_DEP_3)
	v_add_co_ci_u32_e64 v1, null, s11, 0, s0
	v_mov_b32_e32 v2, 0
	v_add_co_u32 v0, vcc_lo, v0, s12
	s_delay_alu instid0(VALU_DEP_3)
	v_add_co_ci_u32_e32 v1, vcc_lo, 0, v1, vcc_lo
	global_store_b64 v2, v[0:1], s[8:9]
	s_nop 0
	s_sendmsg sendmsg(MSG_DEALLOC_VGPRS)
	s_endpgm
.LBB1707_503:
	s_and_b32 vcc_lo, exec_lo, s0
	s_cbranch_vccz .LBB1707_501
; %bb.504:
	s_mov_b32 s0, exec_lo
	v_cmpx_eq_u32_e32 1, v35
	s_cbranch_execz .LBB1707_506
; %bb.505:
	v_subrev_nc_u32_e32 v17, s12, v53
	s_delay_alu instid0(VALU_DEP_1)
	v_lshlrev_b32_e32 v17, 3, v17
	ds_store_b64 v17, v[13:14]
.LBB1707_506:
	s_or_b32 exec_lo, exec_lo, s0
	v_and_b32_e32 v13, 1, v58
	s_mov_b32 s0, exec_lo
	s_delay_alu instid0(VALU_DEP_1)
	v_cmpx_eq_u32_e32 1, v13
	s_cbranch_execz .LBB1707_508
; %bb.507:
	v_subrev_nc_u32_e32 v13, s12, v51
	s_delay_alu instid0(VALU_DEP_1)
	v_lshlrev_b32_e32 v13, 3, v13
	ds_store_b64 v13, v[15:16]
.LBB1707_508:
	s_or_b32 exec_lo, exec_lo, s0
	v_and_b32_e32 v13, 1, v57
	s_mov_b32 s0, exec_lo
	s_delay_alu instid0(VALU_DEP_1)
	;; [unrolled: 12-line block ×7, first 2 shown]
	v_cmpx_eq_u32_e32 1, v1
	s_cbranch_execz .LBB1707_520
; %bb.519:
	v_subrev_nc_u32_e32 v1, s12, v39
	s_delay_alu instid0(VALU_DEP_1)
	v_lshlrev_b32_e32 v1, 3, v1
	ds_store_b64 v1, v[3:4]
.LBB1707_520:
	s_or_b32 exec_lo, exec_lo, s0
	s_delay_alu instid0(SALU_CYCLE_1)
	s_mov_b32 s1, exec_lo
	s_waitcnt lgkmcnt(0)
	s_waitcnt_vscnt null, 0x0
	s_barrier
	buffer_gl0_inv
	v_cmpx_lt_u32_e64 v0, v33
	s_cbranch_execz .LBB1707_523
; %bb.521:
	s_mov_b32 s13, 0
	s_lshl_b64 s[4:5], s[10:11], 3
	s_lshl_b64 s[6:7], s[12:13], 3
	s_delay_alu instid0(SALU_CYCLE_1) | instskip(SKIP_4) | instid1(VALU_DEP_1)
	s_add_u32 s0, s4, s6
	s_addc_u32 s3, s5, s7
	s_add_u32 s0, s18, s0
	s_addc_u32 s3, s19, s3
	v_add_co_u32 v1, s0, s0, v55
	v_add_co_ci_u32_e64 v2, null, s3, 0, s0
	.p2align	6
.LBB1707_522:                           ; =>This Inner Loop Header: Depth=1
	ds_load_b64 v[3:4], v55
	v_add_nc_u32_e32 v0, 0x200, v0
	v_add_nc_u32_e32 v55, 0x1000, v55
	s_delay_alu instid0(VALU_DEP_2) | instskip(SKIP_4) | instid1(VALU_DEP_1)
	v_cmp_ge_u32_e32 vcc_lo, v0, v33
	s_or_b32 s13, vcc_lo, s13
	s_waitcnt lgkmcnt(0)
	global_store_b64 v[1:2], v[3:4], off
	v_add_co_u32 v1, s0, 0x1000, v1
	v_add_co_ci_u32_e64 v2, s0, 0, v2, s0
	s_and_not1_b32 exec_lo, exec_lo, s13
	s_cbranch_execnz .LBB1707_522
.LBB1707_523:
	s_or_b32 exec_lo, exec_lo, s1
	s_and_b32 s0, s2, s28
	s_delay_alu instid0(SALU_CYCLE_1)
	s_and_saveexec_b32 s1, s0
	s_cbranch_execnz .LBB1707_502
.LBB1707_524:
	s_nop 0
	s_sendmsg sendmsg(MSG_DEALLOC_VGPRS)
	s_endpgm
	.section	.rodata,"a",@progbits
	.p2align	6, 0x0
	.amdhsa_kernel _ZN7rocprim17ROCPRIM_400000_NS6detail17trampoline_kernelINS0_14default_configENS1_25partition_config_selectorILNS1_17partition_subalgoE9EllbEEZZNS1_14partition_implILS5_9ELb0ES3_jPlS8_PNS0_10empty_typeENS0_5tupleIJS8_S9_EEENSB_IJS8_SA_EEENS0_18inequality_wrapperIZN2at6native12_GLOBAL__N_124unique_dim_cuda_templateImEESt5tupleIJNSF_6TensorESK_SK_EERKSK_lbbbEUlllE0_EEPmJS9_EEE10hipError_tPvRmT3_T4_T5_T6_T7_T9_mT8_P12ihipStream_tbDpT10_ENKUlT_T0_E_clISt17integral_constantIbLb1EES1A_EEDaS15_S16_EUlS15_E_NS1_11comp_targetILNS1_3genE9ELNS1_11target_archE1100ELNS1_3gpuE3ELNS1_3repE0EEENS1_30default_config_static_selectorELNS0_4arch9wavefront6targetE0EEEvT1_
		.amdhsa_group_segment_fixed_size 33804
		.amdhsa_private_segment_fixed_size 0
		.amdhsa_kernarg_size 136
		.amdhsa_user_sgpr_count 15
		.amdhsa_user_sgpr_dispatch_ptr 0
		.amdhsa_user_sgpr_queue_ptr 0
		.amdhsa_user_sgpr_kernarg_segment_ptr 1
		.amdhsa_user_sgpr_dispatch_id 0
		.amdhsa_user_sgpr_private_segment_size 0
		.amdhsa_wavefront_size32 1
		.amdhsa_uses_dynamic_stack 0
		.amdhsa_enable_private_segment 0
		.amdhsa_system_sgpr_workgroup_id_x 1
		.amdhsa_system_sgpr_workgroup_id_y 0
		.amdhsa_system_sgpr_workgroup_id_z 0
		.amdhsa_system_sgpr_workgroup_info 0
		.amdhsa_system_vgpr_workitem_id 0
		.amdhsa_next_free_vgpr 68
		.amdhsa_next_free_sgpr 40
		.amdhsa_reserve_vcc 1
		.amdhsa_float_round_mode_32 0
		.amdhsa_float_round_mode_16_64 0
		.amdhsa_float_denorm_mode_32 3
		.amdhsa_float_denorm_mode_16_64 3
		.amdhsa_dx10_clamp 1
		.amdhsa_ieee_mode 1
		.amdhsa_fp16_overflow 0
		.amdhsa_workgroup_processor_mode 1
		.amdhsa_memory_ordered 1
		.amdhsa_forward_progress 0
		.amdhsa_shared_vgpr_count 0
		.amdhsa_exception_fp_ieee_invalid_op 0
		.amdhsa_exception_fp_denorm_src 0
		.amdhsa_exception_fp_ieee_div_zero 0
		.amdhsa_exception_fp_ieee_overflow 0
		.amdhsa_exception_fp_ieee_underflow 0
		.amdhsa_exception_fp_ieee_inexact 0
		.amdhsa_exception_int_div_zero 0
	.end_amdhsa_kernel
	.section	.text._ZN7rocprim17ROCPRIM_400000_NS6detail17trampoline_kernelINS0_14default_configENS1_25partition_config_selectorILNS1_17partition_subalgoE9EllbEEZZNS1_14partition_implILS5_9ELb0ES3_jPlS8_PNS0_10empty_typeENS0_5tupleIJS8_S9_EEENSB_IJS8_SA_EEENS0_18inequality_wrapperIZN2at6native12_GLOBAL__N_124unique_dim_cuda_templateImEESt5tupleIJNSF_6TensorESK_SK_EERKSK_lbbbEUlllE0_EEPmJS9_EEE10hipError_tPvRmT3_T4_T5_T6_T7_T9_mT8_P12ihipStream_tbDpT10_ENKUlT_T0_E_clISt17integral_constantIbLb1EES1A_EEDaS15_S16_EUlS15_E_NS1_11comp_targetILNS1_3genE9ELNS1_11target_archE1100ELNS1_3gpuE3ELNS1_3repE0EEENS1_30default_config_static_selectorELNS0_4arch9wavefront6targetE0EEEvT1_,"axG",@progbits,_ZN7rocprim17ROCPRIM_400000_NS6detail17trampoline_kernelINS0_14default_configENS1_25partition_config_selectorILNS1_17partition_subalgoE9EllbEEZZNS1_14partition_implILS5_9ELb0ES3_jPlS8_PNS0_10empty_typeENS0_5tupleIJS8_S9_EEENSB_IJS8_SA_EEENS0_18inequality_wrapperIZN2at6native12_GLOBAL__N_124unique_dim_cuda_templateImEESt5tupleIJNSF_6TensorESK_SK_EERKSK_lbbbEUlllE0_EEPmJS9_EEE10hipError_tPvRmT3_T4_T5_T6_T7_T9_mT8_P12ihipStream_tbDpT10_ENKUlT_T0_E_clISt17integral_constantIbLb1EES1A_EEDaS15_S16_EUlS15_E_NS1_11comp_targetILNS1_3genE9ELNS1_11target_archE1100ELNS1_3gpuE3ELNS1_3repE0EEENS1_30default_config_static_selectorELNS0_4arch9wavefront6targetE0EEEvT1_,comdat
.Lfunc_end1707:
	.size	_ZN7rocprim17ROCPRIM_400000_NS6detail17trampoline_kernelINS0_14default_configENS1_25partition_config_selectorILNS1_17partition_subalgoE9EllbEEZZNS1_14partition_implILS5_9ELb0ES3_jPlS8_PNS0_10empty_typeENS0_5tupleIJS8_S9_EEENSB_IJS8_SA_EEENS0_18inequality_wrapperIZN2at6native12_GLOBAL__N_124unique_dim_cuda_templateImEESt5tupleIJNSF_6TensorESK_SK_EERKSK_lbbbEUlllE0_EEPmJS9_EEE10hipError_tPvRmT3_T4_T5_T6_T7_T9_mT8_P12ihipStream_tbDpT10_ENKUlT_T0_E_clISt17integral_constantIbLb1EES1A_EEDaS15_S16_EUlS15_E_NS1_11comp_targetILNS1_3genE9ELNS1_11target_archE1100ELNS1_3gpuE3ELNS1_3repE0EEENS1_30default_config_static_selectorELNS0_4arch9wavefront6targetE0EEEvT1_, .Lfunc_end1707-_ZN7rocprim17ROCPRIM_400000_NS6detail17trampoline_kernelINS0_14default_configENS1_25partition_config_selectorILNS1_17partition_subalgoE9EllbEEZZNS1_14partition_implILS5_9ELb0ES3_jPlS8_PNS0_10empty_typeENS0_5tupleIJS8_S9_EEENSB_IJS8_SA_EEENS0_18inequality_wrapperIZN2at6native12_GLOBAL__N_124unique_dim_cuda_templateImEESt5tupleIJNSF_6TensorESK_SK_EERKSK_lbbbEUlllE0_EEPmJS9_EEE10hipError_tPvRmT3_T4_T5_T6_T7_T9_mT8_P12ihipStream_tbDpT10_ENKUlT_T0_E_clISt17integral_constantIbLb1EES1A_EEDaS15_S16_EUlS15_E_NS1_11comp_targetILNS1_3genE9ELNS1_11target_archE1100ELNS1_3gpuE3ELNS1_3repE0EEENS1_30default_config_static_selectorELNS0_4arch9wavefront6targetE0EEEvT1_
                                        ; -- End function
	.section	.AMDGPU.csdata,"",@progbits
; Kernel info:
; codeLenInByte = 20732
; NumSgprs: 42
; NumVgprs: 68
; ScratchSize: 0
; MemoryBound: 1
; FloatMode: 240
; IeeeMode: 1
; LDSByteSize: 33804 bytes/workgroup (compile time only)
; SGPRBlocks: 5
; VGPRBlocks: 8
; NumSGPRsForWavesPerEU: 42
; NumVGPRsForWavesPerEU: 68
; Occupancy: 12
; WaveLimiterHint : 1
; COMPUTE_PGM_RSRC2:SCRATCH_EN: 0
; COMPUTE_PGM_RSRC2:USER_SGPR: 15
; COMPUTE_PGM_RSRC2:TRAP_HANDLER: 0
; COMPUTE_PGM_RSRC2:TGID_X_EN: 1
; COMPUTE_PGM_RSRC2:TGID_Y_EN: 0
; COMPUTE_PGM_RSRC2:TGID_Z_EN: 0
; COMPUTE_PGM_RSRC2:TIDIG_COMP_CNT: 0
	.section	.text._ZN7rocprim17ROCPRIM_400000_NS6detail17trampoline_kernelINS0_14default_configENS1_25partition_config_selectorILNS1_17partition_subalgoE9EllbEEZZNS1_14partition_implILS5_9ELb0ES3_jPlS8_PNS0_10empty_typeENS0_5tupleIJS8_S9_EEENSB_IJS8_SA_EEENS0_18inequality_wrapperIZN2at6native12_GLOBAL__N_124unique_dim_cuda_templateImEESt5tupleIJNSF_6TensorESK_SK_EERKSK_lbbbEUlllE0_EEPmJS9_EEE10hipError_tPvRmT3_T4_T5_T6_T7_T9_mT8_P12ihipStream_tbDpT10_ENKUlT_T0_E_clISt17integral_constantIbLb1EES1A_EEDaS15_S16_EUlS15_E_NS1_11comp_targetILNS1_3genE8ELNS1_11target_archE1030ELNS1_3gpuE2ELNS1_3repE0EEENS1_30default_config_static_selectorELNS0_4arch9wavefront6targetE0EEEvT1_,"axG",@progbits,_ZN7rocprim17ROCPRIM_400000_NS6detail17trampoline_kernelINS0_14default_configENS1_25partition_config_selectorILNS1_17partition_subalgoE9EllbEEZZNS1_14partition_implILS5_9ELb0ES3_jPlS8_PNS0_10empty_typeENS0_5tupleIJS8_S9_EEENSB_IJS8_SA_EEENS0_18inequality_wrapperIZN2at6native12_GLOBAL__N_124unique_dim_cuda_templateImEESt5tupleIJNSF_6TensorESK_SK_EERKSK_lbbbEUlllE0_EEPmJS9_EEE10hipError_tPvRmT3_T4_T5_T6_T7_T9_mT8_P12ihipStream_tbDpT10_ENKUlT_T0_E_clISt17integral_constantIbLb1EES1A_EEDaS15_S16_EUlS15_E_NS1_11comp_targetILNS1_3genE8ELNS1_11target_archE1030ELNS1_3gpuE2ELNS1_3repE0EEENS1_30default_config_static_selectorELNS0_4arch9wavefront6targetE0EEEvT1_,comdat
	.globl	_ZN7rocprim17ROCPRIM_400000_NS6detail17trampoline_kernelINS0_14default_configENS1_25partition_config_selectorILNS1_17partition_subalgoE9EllbEEZZNS1_14partition_implILS5_9ELb0ES3_jPlS8_PNS0_10empty_typeENS0_5tupleIJS8_S9_EEENSB_IJS8_SA_EEENS0_18inequality_wrapperIZN2at6native12_GLOBAL__N_124unique_dim_cuda_templateImEESt5tupleIJNSF_6TensorESK_SK_EERKSK_lbbbEUlllE0_EEPmJS9_EEE10hipError_tPvRmT3_T4_T5_T6_T7_T9_mT8_P12ihipStream_tbDpT10_ENKUlT_T0_E_clISt17integral_constantIbLb1EES1A_EEDaS15_S16_EUlS15_E_NS1_11comp_targetILNS1_3genE8ELNS1_11target_archE1030ELNS1_3gpuE2ELNS1_3repE0EEENS1_30default_config_static_selectorELNS0_4arch9wavefront6targetE0EEEvT1_ ; -- Begin function _ZN7rocprim17ROCPRIM_400000_NS6detail17trampoline_kernelINS0_14default_configENS1_25partition_config_selectorILNS1_17partition_subalgoE9EllbEEZZNS1_14partition_implILS5_9ELb0ES3_jPlS8_PNS0_10empty_typeENS0_5tupleIJS8_S9_EEENSB_IJS8_SA_EEENS0_18inequality_wrapperIZN2at6native12_GLOBAL__N_124unique_dim_cuda_templateImEESt5tupleIJNSF_6TensorESK_SK_EERKSK_lbbbEUlllE0_EEPmJS9_EEE10hipError_tPvRmT3_T4_T5_T6_T7_T9_mT8_P12ihipStream_tbDpT10_ENKUlT_T0_E_clISt17integral_constantIbLb1EES1A_EEDaS15_S16_EUlS15_E_NS1_11comp_targetILNS1_3genE8ELNS1_11target_archE1030ELNS1_3gpuE2ELNS1_3repE0EEENS1_30default_config_static_selectorELNS0_4arch9wavefront6targetE0EEEvT1_
	.p2align	8
	.type	_ZN7rocprim17ROCPRIM_400000_NS6detail17trampoline_kernelINS0_14default_configENS1_25partition_config_selectorILNS1_17partition_subalgoE9EllbEEZZNS1_14partition_implILS5_9ELb0ES3_jPlS8_PNS0_10empty_typeENS0_5tupleIJS8_S9_EEENSB_IJS8_SA_EEENS0_18inequality_wrapperIZN2at6native12_GLOBAL__N_124unique_dim_cuda_templateImEESt5tupleIJNSF_6TensorESK_SK_EERKSK_lbbbEUlllE0_EEPmJS9_EEE10hipError_tPvRmT3_T4_T5_T6_T7_T9_mT8_P12ihipStream_tbDpT10_ENKUlT_T0_E_clISt17integral_constantIbLb1EES1A_EEDaS15_S16_EUlS15_E_NS1_11comp_targetILNS1_3genE8ELNS1_11target_archE1030ELNS1_3gpuE2ELNS1_3repE0EEENS1_30default_config_static_selectorELNS0_4arch9wavefront6targetE0EEEvT1_,@function
_ZN7rocprim17ROCPRIM_400000_NS6detail17trampoline_kernelINS0_14default_configENS1_25partition_config_selectorILNS1_17partition_subalgoE9EllbEEZZNS1_14partition_implILS5_9ELb0ES3_jPlS8_PNS0_10empty_typeENS0_5tupleIJS8_S9_EEENSB_IJS8_SA_EEENS0_18inequality_wrapperIZN2at6native12_GLOBAL__N_124unique_dim_cuda_templateImEESt5tupleIJNSF_6TensorESK_SK_EERKSK_lbbbEUlllE0_EEPmJS9_EEE10hipError_tPvRmT3_T4_T5_T6_T7_T9_mT8_P12ihipStream_tbDpT10_ENKUlT_T0_E_clISt17integral_constantIbLb1EES1A_EEDaS15_S16_EUlS15_E_NS1_11comp_targetILNS1_3genE8ELNS1_11target_archE1030ELNS1_3gpuE2ELNS1_3repE0EEENS1_30default_config_static_selectorELNS0_4arch9wavefront6targetE0EEEvT1_: ; @_ZN7rocprim17ROCPRIM_400000_NS6detail17trampoline_kernelINS0_14default_configENS1_25partition_config_selectorILNS1_17partition_subalgoE9EllbEEZZNS1_14partition_implILS5_9ELb0ES3_jPlS8_PNS0_10empty_typeENS0_5tupleIJS8_S9_EEENSB_IJS8_SA_EEENS0_18inequality_wrapperIZN2at6native12_GLOBAL__N_124unique_dim_cuda_templateImEESt5tupleIJNSF_6TensorESK_SK_EERKSK_lbbbEUlllE0_EEPmJS9_EEE10hipError_tPvRmT3_T4_T5_T6_T7_T9_mT8_P12ihipStream_tbDpT10_ENKUlT_T0_E_clISt17integral_constantIbLb1EES1A_EEDaS15_S16_EUlS15_E_NS1_11comp_targetILNS1_3genE8ELNS1_11target_archE1030ELNS1_3gpuE2ELNS1_3repE0EEENS1_30default_config_static_selectorELNS0_4arch9wavefront6targetE0EEEvT1_
; %bb.0:
	.section	.rodata,"a",@progbits
	.p2align	6, 0x0
	.amdhsa_kernel _ZN7rocprim17ROCPRIM_400000_NS6detail17trampoline_kernelINS0_14default_configENS1_25partition_config_selectorILNS1_17partition_subalgoE9EllbEEZZNS1_14partition_implILS5_9ELb0ES3_jPlS8_PNS0_10empty_typeENS0_5tupleIJS8_S9_EEENSB_IJS8_SA_EEENS0_18inequality_wrapperIZN2at6native12_GLOBAL__N_124unique_dim_cuda_templateImEESt5tupleIJNSF_6TensorESK_SK_EERKSK_lbbbEUlllE0_EEPmJS9_EEE10hipError_tPvRmT3_T4_T5_T6_T7_T9_mT8_P12ihipStream_tbDpT10_ENKUlT_T0_E_clISt17integral_constantIbLb1EES1A_EEDaS15_S16_EUlS15_E_NS1_11comp_targetILNS1_3genE8ELNS1_11target_archE1030ELNS1_3gpuE2ELNS1_3repE0EEENS1_30default_config_static_selectorELNS0_4arch9wavefront6targetE0EEEvT1_
		.amdhsa_group_segment_fixed_size 0
		.amdhsa_private_segment_fixed_size 0
		.amdhsa_kernarg_size 136
		.amdhsa_user_sgpr_count 15
		.amdhsa_user_sgpr_dispatch_ptr 0
		.amdhsa_user_sgpr_queue_ptr 0
		.amdhsa_user_sgpr_kernarg_segment_ptr 1
		.amdhsa_user_sgpr_dispatch_id 0
		.amdhsa_user_sgpr_private_segment_size 0
		.amdhsa_wavefront_size32 1
		.amdhsa_uses_dynamic_stack 0
		.amdhsa_enable_private_segment 0
		.amdhsa_system_sgpr_workgroup_id_x 1
		.amdhsa_system_sgpr_workgroup_id_y 0
		.amdhsa_system_sgpr_workgroup_id_z 0
		.amdhsa_system_sgpr_workgroup_info 0
		.amdhsa_system_vgpr_workitem_id 0
		.amdhsa_next_free_vgpr 1
		.amdhsa_next_free_sgpr 1
		.amdhsa_reserve_vcc 0
		.amdhsa_float_round_mode_32 0
		.amdhsa_float_round_mode_16_64 0
		.amdhsa_float_denorm_mode_32 3
		.amdhsa_float_denorm_mode_16_64 3
		.amdhsa_dx10_clamp 1
		.amdhsa_ieee_mode 1
		.amdhsa_fp16_overflow 0
		.amdhsa_workgroup_processor_mode 1
		.amdhsa_memory_ordered 1
		.amdhsa_forward_progress 0
		.amdhsa_shared_vgpr_count 0
		.amdhsa_exception_fp_ieee_invalid_op 0
		.amdhsa_exception_fp_denorm_src 0
		.amdhsa_exception_fp_ieee_div_zero 0
		.amdhsa_exception_fp_ieee_overflow 0
		.amdhsa_exception_fp_ieee_underflow 0
		.amdhsa_exception_fp_ieee_inexact 0
		.amdhsa_exception_int_div_zero 0
	.end_amdhsa_kernel
	.section	.text._ZN7rocprim17ROCPRIM_400000_NS6detail17trampoline_kernelINS0_14default_configENS1_25partition_config_selectorILNS1_17partition_subalgoE9EllbEEZZNS1_14partition_implILS5_9ELb0ES3_jPlS8_PNS0_10empty_typeENS0_5tupleIJS8_S9_EEENSB_IJS8_SA_EEENS0_18inequality_wrapperIZN2at6native12_GLOBAL__N_124unique_dim_cuda_templateImEESt5tupleIJNSF_6TensorESK_SK_EERKSK_lbbbEUlllE0_EEPmJS9_EEE10hipError_tPvRmT3_T4_T5_T6_T7_T9_mT8_P12ihipStream_tbDpT10_ENKUlT_T0_E_clISt17integral_constantIbLb1EES1A_EEDaS15_S16_EUlS15_E_NS1_11comp_targetILNS1_3genE8ELNS1_11target_archE1030ELNS1_3gpuE2ELNS1_3repE0EEENS1_30default_config_static_selectorELNS0_4arch9wavefront6targetE0EEEvT1_,"axG",@progbits,_ZN7rocprim17ROCPRIM_400000_NS6detail17trampoline_kernelINS0_14default_configENS1_25partition_config_selectorILNS1_17partition_subalgoE9EllbEEZZNS1_14partition_implILS5_9ELb0ES3_jPlS8_PNS0_10empty_typeENS0_5tupleIJS8_S9_EEENSB_IJS8_SA_EEENS0_18inequality_wrapperIZN2at6native12_GLOBAL__N_124unique_dim_cuda_templateImEESt5tupleIJNSF_6TensorESK_SK_EERKSK_lbbbEUlllE0_EEPmJS9_EEE10hipError_tPvRmT3_T4_T5_T6_T7_T9_mT8_P12ihipStream_tbDpT10_ENKUlT_T0_E_clISt17integral_constantIbLb1EES1A_EEDaS15_S16_EUlS15_E_NS1_11comp_targetILNS1_3genE8ELNS1_11target_archE1030ELNS1_3gpuE2ELNS1_3repE0EEENS1_30default_config_static_selectorELNS0_4arch9wavefront6targetE0EEEvT1_,comdat
.Lfunc_end1708:
	.size	_ZN7rocprim17ROCPRIM_400000_NS6detail17trampoline_kernelINS0_14default_configENS1_25partition_config_selectorILNS1_17partition_subalgoE9EllbEEZZNS1_14partition_implILS5_9ELb0ES3_jPlS8_PNS0_10empty_typeENS0_5tupleIJS8_S9_EEENSB_IJS8_SA_EEENS0_18inequality_wrapperIZN2at6native12_GLOBAL__N_124unique_dim_cuda_templateImEESt5tupleIJNSF_6TensorESK_SK_EERKSK_lbbbEUlllE0_EEPmJS9_EEE10hipError_tPvRmT3_T4_T5_T6_T7_T9_mT8_P12ihipStream_tbDpT10_ENKUlT_T0_E_clISt17integral_constantIbLb1EES1A_EEDaS15_S16_EUlS15_E_NS1_11comp_targetILNS1_3genE8ELNS1_11target_archE1030ELNS1_3gpuE2ELNS1_3repE0EEENS1_30default_config_static_selectorELNS0_4arch9wavefront6targetE0EEEvT1_, .Lfunc_end1708-_ZN7rocprim17ROCPRIM_400000_NS6detail17trampoline_kernelINS0_14default_configENS1_25partition_config_selectorILNS1_17partition_subalgoE9EllbEEZZNS1_14partition_implILS5_9ELb0ES3_jPlS8_PNS0_10empty_typeENS0_5tupleIJS8_S9_EEENSB_IJS8_SA_EEENS0_18inequality_wrapperIZN2at6native12_GLOBAL__N_124unique_dim_cuda_templateImEESt5tupleIJNSF_6TensorESK_SK_EERKSK_lbbbEUlllE0_EEPmJS9_EEE10hipError_tPvRmT3_T4_T5_T6_T7_T9_mT8_P12ihipStream_tbDpT10_ENKUlT_T0_E_clISt17integral_constantIbLb1EES1A_EEDaS15_S16_EUlS15_E_NS1_11comp_targetILNS1_3genE8ELNS1_11target_archE1030ELNS1_3gpuE2ELNS1_3repE0EEENS1_30default_config_static_selectorELNS0_4arch9wavefront6targetE0EEEvT1_
                                        ; -- End function
	.section	.AMDGPU.csdata,"",@progbits
; Kernel info:
; codeLenInByte = 0
; NumSgprs: 0
; NumVgprs: 0
; ScratchSize: 0
; MemoryBound: 0
; FloatMode: 240
; IeeeMode: 1
; LDSByteSize: 0 bytes/workgroup (compile time only)
; SGPRBlocks: 0
; VGPRBlocks: 0
; NumSGPRsForWavesPerEU: 1
; NumVGPRsForWavesPerEU: 1
; Occupancy: 16
; WaveLimiterHint : 0
; COMPUTE_PGM_RSRC2:SCRATCH_EN: 0
; COMPUTE_PGM_RSRC2:USER_SGPR: 15
; COMPUTE_PGM_RSRC2:TRAP_HANDLER: 0
; COMPUTE_PGM_RSRC2:TGID_X_EN: 1
; COMPUTE_PGM_RSRC2:TGID_Y_EN: 0
; COMPUTE_PGM_RSRC2:TGID_Z_EN: 0
; COMPUTE_PGM_RSRC2:TIDIG_COMP_CNT: 0
	.section	.text._ZN7rocprim17ROCPRIM_400000_NS6detail17trampoline_kernelINS0_14default_configENS1_25partition_config_selectorILNS1_17partition_subalgoE9EllbEEZZNS1_14partition_implILS5_9ELb0ES3_jPlS8_PNS0_10empty_typeENS0_5tupleIJS8_S9_EEENSB_IJS8_SA_EEENS0_18inequality_wrapperIZN2at6native12_GLOBAL__N_124unique_dim_cuda_templateImEESt5tupleIJNSF_6TensorESK_SK_EERKSK_lbbbEUlllE0_EEPmJS9_EEE10hipError_tPvRmT3_T4_T5_T6_T7_T9_mT8_P12ihipStream_tbDpT10_ENKUlT_T0_E_clISt17integral_constantIbLb1EES19_IbLb0EEEEDaS15_S16_EUlS15_E_NS1_11comp_targetILNS1_3genE0ELNS1_11target_archE4294967295ELNS1_3gpuE0ELNS1_3repE0EEENS1_30default_config_static_selectorELNS0_4arch9wavefront6targetE0EEEvT1_,"axG",@progbits,_ZN7rocprim17ROCPRIM_400000_NS6detail17trampoline_kernelINS0_14default_configENS1_25partition_config_selectorILNS1_17partition_subalgoE9EllbEEZZNS1_14partition_implILS5_9ELb0ES3_jPlS8_PNS0_10empty_typeENS0_5tupleIJS8_S9_EEENSB_IJS8_SA_EEENS0_18inequality_wrapperIZN2at6native12_GLOBAL__N_124unique_dim_cuda_templateImEESt5tupleIJNSF_6TensorESK_SK_EERKSK_lbbbEUlllE0_EEPmJS9_EEE10hipError_tPvRmT3_T4_T5_T6_T7_T9_mT8_P12ihipStream_tbDpT10_ENKUlT_T0_E_clISt17integral_constantIbLb1EES19_IbLb0EEEEDaS15_S16_EUlS15_E_NS1_11comp_targetILNS1_3genE0ELNS1_11target_archE4294967295ELNS1_3gpuE0ELNS1_3repE0EEENS1_30default_config_static_selectorELNS0_4arch9wavefront6targetE0EEEvT1_,comdat
	.globl	_ZN7rocprim17ROCPRIM_400000_NS6detail17trampoline_kernelINS0_14default_configENS1_25partition_config_selectorILNS1_17partition_subalgoE9EllbEEZZNS1_14partition_implILS5_9ELb0ES3_jPlS8_PNS0_10empty_typeENS0_5tupleIJS8_S9_EEENSB_IJS8_SA_EEENS0_18inequality_wrapperIZN2at6native12_GLOBAL__N_124unique_dim_cuda_templateImEESt5tupleIJNSF_6TensorESK_SK_EERKSK_lbbbEUlllE0_EEPmJS9_EEE10hipError_tPvRmT3_T4_T5_T6_T7_T9_mT8_P12ihipStream_tbDpT10_ENKUlT_T0_E_clISt17integral_constantIbLb1EES19_IbLb0EEEEDaS15_S16_EUlS15_E_NS1_11comp_targetILNS1_3genE0ELNS1_11target_archE4294967295ELNS1_3gpuE0ELNS1_3repE0EEENS1_30default_config_static_selectorELNS0_4arch9wavefront6targetE0EEEvT1_ ; -- Begin function _ZN7rocprim17ROCPRIM_400000_NS6detail17trampoline_kernelINS0_14default_configENS1_25partition_config_selectorILNS1_17partition_subalgoE9EllbEEZZNS1_14partition_implILS5_9ELb0ES3_jPlS8_PNS0_10empty_typeENS0_5tupleIJS8_S9_EEENSB_IJS8_SA_EEENS0_18inequality_wrapperIZN2at6native12_GLOBAL__N_124unique_dim_cuda_templateImEESt5tupleIJNSF_6TensorESK_SK_EERKSK_lbbbEUlllE0_EEPmJS9_EEE10hipError_tPvRmT3_T4_T5_T6_T7_T9_mT8_P12ihipStream_tbDpT10_ENKUlT_T0_E_clISt17integral_constantIbLb1EES19_IbLb0EEEEDaS15_S16_EUlS15_E_NS1_11comp_targetILNS1_3genE0ELNS1_11target_archE4294967295ELNS1_3gpuE0ELNS1_3repE0EEENS1_30default_config_static_selectorELNS0_4arch9wavefront6targetE0EEEvT1_
	.p2align	8
	.type	_ZN7rocprim17ROCPRIM_400000_NS6detail17trampoline_kernelINS0_14default_configENS1_25partition_config_selectorILNS1_17partition_subalgoE9EllbEEZZNS1_14partition_implILS5_9ELb0ES3_jPlS8_PNS0_10empty_typeENS0_5tupleIJS8_S9_EEENSB_IJS8_SA_EEENS0_18inequality_wrapperIZN2at6native12_GLOBAL__N_124unique_dim_cuda_templateImEESt5tupleIJNSF_6TensorESK_SK_EERKSK_lbbbEUlllE0_EEPmJS9_EEE10hipError_tPvRmT3_T4_T5_T6_T7_T9_mT8_P12ihipStream_tbDpT10_ENKUlT_T0_E_clISt17integral_constantIbLb1EES19_IbLb0EEEEDaS15_S16_EUlS15_E_NS1_11comp_targetILNS1_3genE0ELNS1_11target_archE4294967295ELNS1_3gpuE0ELNS1_3repE0EEENS1_30default_config_static_selectorELNS0_4arch9wavefront6targetE0EEEvT1_,@function
_ZN7rocprim17ROCPRIM_400000_NS6detail17trampoline_kernelINS0_14default_configENS1_25partition_config_selectorILNS1_17partition_subalgoE9EllbEEZZNS1_14partition_implILS5_9ELb0ES3_jPlS8_PNS0_10empty_typeENS0_5tupleIJS8_S9_EEENSB_IJS8_SA_EEENS0_18inequality_wrapperIZN2at6native12_GLOBAL__N_124unique_dim_cuda_templateImEESt5tupleIJNSF_6TensorESK_SK_EERKSK_lbbbEUlllE0_EEPmJS9_EEE10hipError_tPvRmT3_T4_T5_T6_T7_T9_mT8_P12ihipStream_tbDpT10_ENKUlT_T0_E_clISt17integral_constantIbLb1EES19_IbLb0EEEEDaS15_S16_EUlS15_E_NS1_11comp_targetILNS1_3genE0ELNS1_11target_archE4294967295ELNS1_3gpuE0ELNS1_3repE0EEENS1_30default_config_static_selectorELNS0_4arch9wavefront6targetE0EEEvT1_: ; @_ZN7rocprim17ROCPRIM_400000_NS6detail17trampoline_kernelINS0_14default_configENS1_25partition_config_selectorILNS1_17partition_subalgoE9EllbEEZZNS1_14partition_implILS5_9ELb0ES3_jPlS8_PNS0_10empty_typeENS0_5tupleIJS8_S9_EEENSB_IJS8_SA_EEENS0_18inequality_wrapperIZN2at6native12_GLOBAL__N_124unique_dim_cuda_templateImEESt5tupleIJNSF_6TensorESK_SK_EERKSK_lbbbEUlllE0_EEPmJS9_EEE10hipError_tPvRmT3_T4_T5_T6_T7_T9_mT8_P12ihipStream_tbDpT10_ENKUlT_T0_E_clISt17integral_constantIbLb1EES19_IbLb0EEEEDaS15_S16_EUlS15_E_NS1_11comp_targetILNS1_3genE0ELNS1_11target_archE4294967295ELNS1_3gpuE0ELNS1_3repE0EEENS1_30default_config_static_selectorELNS0_4arch9wavefront6targetE0EEEvT1_
; %bb.0:
	.section	.rodata,"a",@progbits
	.p2align	6, 0x0
	.amdhsa_kernel _ZN7rocprim17ROCPRIM_400000_NS6detail17trampoline_kernelINS0_14default_configENS1_25partition_config_selectorILNS1_17partition_subalgoE9EllbEEZZNS1_14partition_implILS5_9ELb0ES3_jPlS8_PNS0_10empty_typeENS0_5tupleIJS8_S9_EEENSB_IJS8_SA_EEENS0_18inequality_wrapperIZN2at6native12_GLOBAL__N_124unique_dim_cuda_templateImEESt5tupleIJNSF_6TensorESK_SK_EERKSK_lbbbEUlllE0_EEPmJS9_EEE10hipError_tPvRmT3_T4_T5_T6_T7_T9_mT8_P12ihipStream_tbDpT10_ENKUlT_T0_E_clISt17integral_constantIbLb1EES19_IbLb0EEEEDaS15_S16_EUlS15_E_NS1_11comp_targetILNS1_3genE0ELNS1_11target_archE4294967295ELNS1_3gpuE0ELNS1_3repE0EEENS1_30default_config_static_selectorELNS0_4arch9wavefront6targetE0EEEvT1_
		.amdhsa_group_segment_fixed_size 0
		.amdhsa_private_segment_fixed_size 0
		.amdhsa_kernarg_size 120
		.amdhsa_user_sgpr_count 15
		.amdhsa_user_sgpr_dispatch_ptr 0
		.amdhsa_user_sgpr_queue_ptr 0
		.amdhsa_user_sgpr_kernarg_segment_ptr 1
		.amdhsa_user_sgpr_dispatch_id 0
		.amdhsa_user_sgpr_private_segment_size 0
		.amdhsa_wavefront_size32 1
		.amdhsa_uses_dynamic_stack 0
		.amdhsa_enable_private_segment 0
		.amdhsa_system_sgpr_workgroup_id_x 1
		.amdhsa_system_sgpr_workgroup_id_y 0
		.amdhsa_system_sgpr_workgroup_id_z 0
		.amdhsa_system_sgpr_workgroup_info 0
		.amdhsa_system_vgpr_workitem_id 0
		.amdhsa_next_free_vgpr 1
		.amdhsa_next_free_sgpr 1
		.amdhsa_reserve_vcc 0
		.amdhsa_float_round_mode_32 0
		.amdhsa_float_round_mode_16_64 0
		.amdhsa_float_denorm_mode_32 3
		.amdhsa_float_denorm_mode_16_64 3
		.amdhsa_dx10_clamp 1
		.amdhsa_ieee_mode 1
		.amdhsa_fp16_overflow 0
		.amdhsa_workgroup_processor_mode 1
		.amdhsa_memory_ordered 1
		.amdhsa_forward_progress 0
		.amdhsa_shared_vgpr_count 0
		.amdhsa_exception_fp_ieee_invalid_op 0
		.amdhsa_exception_fp_denorm_src 0
		.amdhsa_exception_fp_ieee_div_zero 0
		.amdhsa_exception_fp_ieee_overflow 0
		.amdhsa_exception_fp_ieee_underflow 0
		.amdhsa_exception_fp_ieee_inexact 0
		.amdhsa_exception_int_div_zero 0
	.end_amdhsa_kernel
	.section	.text._ZN7rocprim17ROCPRIM_400000_NS6detail17trampoline_kernelINS0_14default_configENS1_25partition_config_selectorILNS1_17partition_subalgoE9EllbEEZZNS1_14partition_implILS5_9ELb0ES3_jPlS8_PNS0_10empty_typeENS0_5tupleIJS8_S9_EEENSB_IJS8_SA_EEENS0_18inequality_wrapperIZN2at6native12_GLOBAL__N_124unique_dim_cuda_templateImEESt5tupleIJNSF_6TensorESK_SK_EERKSK_lbbbEUlllE0_EEPmJS9_EEE10hipError_tPvRmT3_T4_T5_T6_T7_T9_mT8_P12ihipStream_tbDpT10_ENKUlT_T0_E_clISt17integral_constantIbLb1EES19_IbLb0EEEEDaS15_S16_EUlS15_E_NS1_11comp_targetILNS1_3genE0ELNS1_11target_archE4294967295ELNS1_3gpuE0ELNS1_3repE0EEENS1_30default_config_static_selectorELNS0_4arch9wavefront6targetE0EEEvT1_,"axG",@progbits,_ZN7rocprim17ROCPRIM_400000_NS6detail17trampoline_kernelINS0_14default_configENS1_25partition_config_selectorILNS1_17partition_subalgoE9EllbEEZZNS1_14partition_implILS5_9ELb0ES3_jPlS8_PNS0_10empty_typeENS0_5tupleIJS8_S9_EEENSB_IJS8_SA_EEENS0_18inequality_wrapperIZN2at6native12_GLOBAL__N_124unique_dim_cuda_templateImEESt5tupleIJNSF_6TensorESK_SK_EERKSK_lbbbEUlllE0_EEPmJS9_EEE10hipError_tPvRmT3_T4_T5_T6_T7_T9_mT8_P12ihipStream_tbDpT10_ENKUlT_T0_E_clISt17integral_constantIbLb1EES19_IbLb0EEEEDaS15_S16_EUlS15_E_NS1_11comp_targetILNS1_3genE0ELNS1_11target_archE4294967295ELNS1_3gpuE0ELNS1_3repE0EEENS1_30default_config_static_selectorELNS0_4arch9wavefront6targetE0EEEvT1_,comdat
.Lfunc_end1709:
	.size	_ZN7rocprim17ROCPRIM_400000_NS6detail17trampoline_kernelINS0_14default_configENS1_25partition_config_selectorILNS1_17partition_subalgoE9EllbEEZZNS1_14partition_implILS5_9ELb0ES3_jPlS8_PNS0_10empty_typeENS0_5tupleIJS8_S9_EEENSB_IJS8_SA_EEENS0_18inequality_wrapperIZN2at6native12_GLOBAL__N_124unique_dim_cuda_templateImEESt5tupleIJNSF_6TensorESK_SK_EERKSK_lbbbEUlllE0_EEPmJS9_EEE10hipError_tPvRmT3_T4_T5_T6_T7_T9_mT8_P12ihipStream_tbDpT10_ENKUlT_T0_E_clISt17integral_constantIbLb1EES19_IbLb0EEEEDaS15_S16_EUlS15_E_NS1_11comp_targetILNS1_3genE0ELNS1_11target_archE4294967295ELNS1_3gpuE0ELNS1_3repE0EEENS1_30default_config_static_selectorELNS0_4arch9wavefront6targetE0EEEvT1_, .Lfunc_end1709-_ZN7rocprim17ROCPRIM_400000_NS6detail17trampoline_kernelINS0_14default_configENS1_25partition_config_selectorILNS1_17partition_subalgoE9EllbEEZZNS1_14partition_implILS5_9ELb0ES3_jPlS8_PNS0_10empty_typeENS0_5tupleIJS8_S9_EEENSB_IJS8_SA_EEENS0_18inequality_wrapperIZN2at6native12_GLOBAL__N_124unique_dim_cuda_templateImEESt5tupleIJNSF_6TensorESK_SK_EERKSK_lbbbEUlllE0_EEPmJS9_EEE10hipError_tPvRmT3_T4_T5_T6_T7_T9_mT8_P12ihipStream_tbDpT10_ENKUlT_T0_E_clISt17integral_constantIbLb1EES19_IbLb0EEEEDaS15_S16_EUlS15_E_NS1_11comp_targetILNS1_3genE0ELNS1_11target_archE4294967295ELNS1_3gpuE0ELNS1_3repE0EEENS1_30default_config_static_selectorELNS0_4arch9wavefront6targetE0EEEvT1_
                                        ; -- End function
	.section	.AMDGPU.csdata,"",@progbits
; Kernel info:
; codeLenInByte = 0
; NumSgprs: 0
; NumVgprs: 0
; ScratchSize: 0
; MemoryBound: 0
; FloatMode: 240
; IeeeMode: 1
; LDSByteSize: 0 bytes/workgroup (compile time only)
; SGPRBlocks: 0
; VGPRBlocks: 0
; NumSGPRsForWavesPerEU: 1
; NumVGPRsForWavesPerEU: 1
; Occupancy: 16
; WaveLimiterHint : 0
; COMPUTE_PGM_RSRC2:SCRATCH_EN: 0
; COMPUTE_PGM_RSRC2:USER_SGPR: 15
; COMPUTE_PGM_RSRC2:TRAP_HANDLER: 0
; COMPUTE_PGM_RSRC2:TGID_X_EN: 1
; COMPUTE_PGM_RSRC2:TGID_Y_EN: 0
; COMPUTE_PGM_RSRC2:TGID_Z_EN: 0
; COMPUTE_PGM_RSRC2:TIDIG_COMP_CNT: 0
	.section	.text._ZN7rocprim17ROCPRIM_400000_NS6detail17trampoline_kernelINS0_14default_configENS1_25partition_config_selectorILNS1_17partition_subalgoE9EllbEEZZNS1_14partition_implILS5_9ELb0ES3_jPlS8_PNS0_10empty_typeENS0_5tupleIJS8_S9_EEENSB_IJS8_SA_EEENS0_18inequality_wrapperIZN2at6native12_GLOBAL__N_124unique_dim_cuda_templateImEESt5tupleIJNSF_6TensorESK_SK_EERKSK_lbbbEUlllE0_EEPmJS9_EEE10hipError_tPvRmT3_T4_T5_T6_T7_T9_mT8_P12ihipStream_tbDpT10_ENKUlT_T0_E_clISt17integral_constantIbLb1EES19_IbLb0EEEEDaS15_S16_EUlS15_E_NS1_11comp_targetILNS1_3genE5ELNS1_11target_archE942ELNS1_3gpuE9ELNS1_3repE0EEENS1_30default_config_static_selectorELNS0_4arch9wavefront6targetE0EEEvT1_,"axG",@progbits,_ZN7rocprim17ROCPRIM_400000_NS6detail17trampoline_kernelINS0_14default_configENS1_25partition_config_selectorILNS1_17partition_subalgoE9EllbEEZZNS1_14partition_implILS5_9ELb0ES3_jPlS8_PNS0_10empty_typeENS0_5tupleIJS8_S9_EEENSB_IJS8_SA_EEENS0_18inequality_wrapperIZN2at6native12_GLOBAL__N_124unique_dim_cuda_templateImEESt5tupleIJNSF_6TensorESK_SK_EERKSK_lbbbEUlllE0_EEPmJS9_EEE10hipError_tPvRmT3_T4_T5_T6_T7_T9_mT8_P12ihipStream_tbDpT10_ENKUlT_T0_E_clISt17integral_constantIbLb1EES19_IbLb0EEEEDaS15_S16_EUlS15_E_NS1_11comp_targetILNS1_3genE5ELNS1_11target_archE942ELNS1_3gpuE9ELNS1_3repE0EEENS1_30default_config_static_selectorELNS0_4arch9wavefront6targetE0EEEvT1_,comdat
	.globl	_ZN7rocprim17ROCPRIM_400000_NS6detail17trampoline_kernelINS0_14default_configENS1_25partition_config_selectorILNS1_17partition_subalgoE9EllbEEZZNS1_14partition_implILS5_9ELb0ES3_jPlS8_PNS0_10empty_typeENS0_5tupleIJS8_S9_EEENSB_IJS8_SA_EEENS0_18inequality_wrapperIZN2at6native12_GLOBAL__N_124unique_dim_cuda_templateImEESt5tupleIJNSF_6TensorESK_SK_EERKSK_lbbbEUlllE0_EEPmJS9_EEE10hipError_tPvRmT3_T4_T5_T6_T7_T9_mT8_P12ihipStream_tbDpT10_ENKUlT_T0_E_clISt17integral_constantIbLb1EES19_IbLb0EEEEDaS15_S16_EUlS15_E_NS1_11comp_targetILNS1_3genE5ELNS1_11target_archE942ELNS1_3gpuE9ELNS1_3repE0EEENS1_30default_config_static_selectorELNS0_4arch9wavefront6targetE0EEEvT1_ ; -- Begin function _ZN7rocprim17ROCPRIM_400000_NS6detail17trampoline_kernelINS0_14default_configENS1_25partition_config_selectorILNS1_17partition_subalgoE9EllbEEZZNS1_14partition_implILS5_9ELb0ES3_jPlS8_PNS0_10empty_typeENS0_5tupleIJS8_S9_EEENSB_IJS8_SA_EEENS0_18inequality_wrapperIZN2at6native12_GLOBAL__N_124unique_dim_cuda_templateImEESt5tupleIJNSF_6TensorESK_SK_EERKSK_lbbbEUlllE0_EEPmJS9_EEE10hipError_tPvRmT3_T4_T5_T6_T7_T9_mT8_P12ihipStream_tbDpT10_ENKUlT_T0_E_clISt17integral_constantIbLb1EES19_IbLb0EEEEDaS15_S16_EUlS15_E_NS1_11comp_targetILNS1_3genE5ELNS1_11target_archE942ELNS1_3gpuE9ELNS1_3repE0EEENS1_30default_config_static_selectorELNS0_4arch9wavefront6targetE0EEEvT1_
	.p2align	8
	.type	_ZN7rocprim17ROCPRIM_400000_NS6detail17trampoline_kernelINS0_14default_configENS1_25partition_config_selectorILNS1_17partition_subalgoE9EllbEEZZNS1_14partition_implILS5_9ELb0ES3_jPlS8_PNS0_10empty_typeENS0_5tupleIJS8_S9_EEENSB_IJS8_SA_EEENS0_18inequality_wrapperIZN2at6native12_GLOBAL__N_124unique_dim_cuda_templateImEESt5tupleIJNSF_6TensorESK_SK_EERKSK_lbbbEUlllE0_EEPmJS9_EEE10hipError_tPvRmT3_T4_T5_T6_T7_T9_mT8_P12ihipStream_tbDpT10_ENKUlT_T0_E_clISt17integral_constantIbLb1EES19_IbLb0EEEEDaS15_S16_EUlS15_E_NS1_11comp_targetILNS1_3genE5ELNS1_11target_archE942ELNS1_3gpuE9ELNS1_3repE0EEENS1_30default_config_static_selectorELNS0_4arch9wavefront6targetE0EEEvT1_,@function
_ZN7rocprim17ROCPRIM_400000_NS6detail17trampoline_kernelINS0_14default_configENS1_25partition_config_selectorILNS1_17partition_subalgoE9EllbEEZZNS1_14partition_implILS5_9ELb0ES3_jPlS8_PNS0_10empty_typeENS0_5tupleIJS8_S9_EEENSB_IJS8_SA_EEENS0_18inequality_wrapperIZN2at6native12_GLOBAL__N_124unique_dim_cuda_templateImEESt5tupleIJNSF_6TensorESK_SK_EERKSK_lbbbEUlllE0_EEPmJS9_EEE10hipError_tPvRmT3_T4_T5_T6_T7_T9_mT8_P12ihipStream_tbDpT10_ENKUlT_T0_E_clISt17integral_constantIbLb1EES19_IbLb0EEEEDaS15_S16_EUlS15_E_NS1_11comp_targetILNS1_3genE5ELNS1_11target_archE942ELNS1_3gpuE9ELNS1_3repE0EEENS1_30default_config_static_selectorELNS0_4arch9wavefront6targetE0EEEvT1_: ; @_ZN7rocprim17ROCPRIM_400000_NS6detail17trampoline_kernelINS0_14default_configENS1_25partition_config_selectorILNS1_17partition_subalgoE9EllbEEZZNS1_14partition_implILS5_9ELb0ES3_jPlS8_PNS0_10empty_typeENS0_5tupleIJS8_S9_EEENSB_IJS8_SA_EEENS0_18inequality_wrapperIZN2at6native12_GLOBAL__N_124unique_dim_cuda_templateImEESt5tupleIJNSF_6TensorESK_SK_EERKSK_lbbbEUlllE0_EEPmJS9_EEE10hipError_tPvRmT3_T4_T5_T6_T7_T9_mT8_P12ihipStream_tbDpT10_ENKUlT_T0_E_clISt17integral_constantIbLb1EES19_IbLb0EEEEDaS15_S16_EUlS15_E_NS1_11comp_targetILNS1_3genE5ELNS1_11target_archE942ELNS1_3gpuE9ELNS1_3repE0EEENS1_30default_config_static_selectorELNS0_4arch9wavefront6targetE0EEEvT1_
; %bb.0:
	.section	.rodata,"a",@progbits
	.p2align	6, 0x0
	.amdhsa_kernel _ZN7rocprim17ROCPRIM_400000_NS6detail17trampoline_kernelINS0_14default_configENS1_25partition_config_selectorILNS1_17partition_subalgoE9EllbEEZZNS1_14partition_implILS5_9ELb0ES3_jPlS8_PNS0_10empty_typeENS0_5tupleIJS8_S9_EEENSB_IJS8_SA_EEENS0_18inequality_wrapperIZN2at6native12_GLOBAL__N_124unique_dim_cuda_templateImEESt5tupleIJNSF_6TensorESK_SK_EERKSK_lbbbEUlllE0_EEPmJS9_EEE10hipError_tPvRmT3_T4_T5_T6_T7_T9_mT8_P12ihipStream_tbDpT10_ENKUlT_T0_E_clISt17integral_constantIbLb1EES19_IbLb0EEEEDaS15_S16_EUlS15_E_NS1_11comp_targetILNS1_3genE5ELNS1_11target_archE942ELNS1_3gpuE9ELNS1_3repE0EEENS1_30default_config_static_selectorELNS0_4arch9wavefront6targetE0EEEvT1_
		.amdhsa_group_segment_fixed_size 0
		.amdhsa_private_segment_fixed_size 0
		.amdhsa_kernarg_size 120
		.amdhsa_user_sgpr_count 15
		.amdhsa_user_sgpr_dispatch_ptr 0
		.amdhsa_user_sgpr_queue_ptr 0
		.amdhsa_user_sgpr_kernarg_segment_ptr 1
		.amdhsa_user_sgpr_dispatch_id 0
		.amdhsa_user_sgpr_private_segment_size 0
		.amdhsa_wavefront_size32 1
		.amdhsa_uses_dynamic_stack 0
		.amdhsa_enable_private_segment 0
		.amdhsa_system_sgpr_workgroup_id_x 1
		.amdhsa_system_sgpr_workgroup_id_y 0
		.amdhsa_system_sgpr_workgroup_id_z 0
		.amdhsa_system_sgpr_workgroup_info 0
		.amdhsa_system_vgpr_workitem_id 0
		.amdhsa_next_free_vgpr 1
		.amdhsa_next_free_sgpr 1
		.amdhsa_reserve_vcc 0
		.amdhsa_float_round_mode_32 0
		.amdhsa_float_round_mode_16_64 0
		.amdhsa_float_denorm_mode_32 3
		.amdhsa_float_denorm_mode_16_64 3
		.amdhsa_dx10_clamp 1
		.amdhsa_ieee_mode 1
		.amdhsa_fp16_overflow 0
		.amdhsa_workgroup_processor_mode 1
		.amdhsa_memory_ordered 1
		.amdhsa_forward_progress 0
		.amdhsa_shared_vgpr_count 0
		.amdhsa_exception_fp_ieee_invalid_op 0
		.amdhsa_exception_fp_denorm_src 0
		.amdhsa_exception_fp_ieee_div_zero 0
		.amdhsa_exception_fp_ieee_overflow 0
		.amdhsa_exception_fp_ieee_underflow 0
		.amdhsa_exception_fp_ieee_inexact 0
		.amdhsa_exception_int_div_zero 0
	.end_amdhsa_kernel
	.section	.text._ZN7rocprim17ROCPRIM_400000_NS6detail17trampoline_kernelINS0_14default_configENS1_25partition_config_selectorILNS1_17partition_subalgoE9EllbEEZZNS1_14partition_implILS5_9ELb0ES3_jPlS8_PNS0_10empty_typeENS0_5tupleIJS8_S9_EEENSB_IJS8_SA_EEENS0_18inequality_wrapperIZN2at6native12_GLOBAL__N_124unique_dim_cuda_templateImEESt5tupleIJNSF_6TensorESK_SK_EERKSK_lbbbEUlllE0_EEPmJS9_EEE10hipError_tPvRmT3_T4_T5_T6_T7_T9_mT8_P12ihipStream_tbDpT10_ENKUlT_T0_E_clISt17integral_constantIbLb1EES19_IbLb0EEEEDaS15_S16_EUlS15_E_NS1_11comp_targetILNS1_3genE5ELNS1_11target_archE942ELNS1_3gpuE9ELNS1_3repE0EEENS1_30default_config_static_selectorELNS0_4arch9wavefront6targetE0EEEvT1_,"axG",@progbits,_ZN7rocprim17ROCPRIM_400000_NS6detail17trampoline_kernelINS0_14default_configENS1_25partition_config_selectorILNS1_17partition_subalgoE9EllbEEZZNS1_14partition_implILS5_9ELb0ES3_jPlS8_PNS0_10empty_typeENS0_5tupleIJS8_S9_EEENSB_IJS8_SA_EEENS0_18inequality_wrapperIZN2at6native12_GLOBAL__N_124unique_dim_cuda_templateImEESt5tupleIJNSF_6TensorESK_SK_EERKSK_lbbbEUlllE0_EEPmJS9_EEE10hipError_tPvRmT3_T4_T5_T6_T7_T9_mT8_P12ihipStream_tbDpT10_ENKUlT_T0_E_clISt17integral_constantIbLb1EES19_IbLb0EEEEDaS15_S16_EUlS15_E_NS1_11comp_targetILNS1_3genE5ELNS1_11target_archE942ELNS1_3gpuE9ELNS1_3repE0EEENS1_30default_config_static_selectorELNS0_4arch9wavefront6targetE0EEEvT1_,comdat
.Lfunc_end1710:
	.size	_ZN7rocprim17ROCPRIM_400000_NS6detail17trampoline_kernelINS0_14default_configENS1_25partition_config_selectorILNS1_17partition_subalgoE9EllbEEZZNS1_14partition_implILS5_9ELb0ES3_jPlS8_PNS0_10empty_typeENS0_5tupleIJS8_S9_EEENSB_IJS8_SA_EEENS0_18inequality_wrapperIZN2at6native12_GLOBAL__N_124unique_dim_cuda_templateImEESt5tupleIJNSF_6TensorESK_SK_EERKSK_lbbbEUlllE0_EEPmJS9_EEE10hipError_tPvRmT3_T4_T5_T6_T7_T9_mT8_P12ihipStream_tbDpT10_ENKUlT_T0_E_clISt17integral_constantIbLb1EES19_IbLb0EEEEDaS15_S16_EUlS15_E_NS1_11comp_targetILNS1_3genE5ELNS1_11target_archE942ELNS1_3gpuE9ELNS1_3repE0EEENS1_30default_config_static_selectorELNS0_4arch9wavefront6targetE0EEEvT1_, .Lfunc_end1710-_ZN7rocprim17ROCPRIM_400000_NS6detail17trampoline_kernelINS0_14default_configENS1_25partition_config_selectorILNS1_17partition_subalgoE9EllbEEZZNS1_14partition_implILS5_9ELb0ES3_jPlS8_PNS0_10empty_typeENS0_5tupleIJS8_S9_EEENSB_IJS8_SA_EEENS0_18inequality_wrapperIZN2at6native12_GLOBAL__N_124unique_dim_cuda_templateImEESt5tupleIJNSF_6TensorESK_SK_EERKSK_lbbbEUlllE0_EEPmJS9_EEE10hipError_tPvRmT3_T4_T5_T6_T7_T9_mT8_P12ihipStream_tbDpT10_ENKUlT_T0_E_clISt17integral_constantIbLb1EES19_IbLb0EEEEDaS15_S16_EUlS15_E_NS1_11comp_targetILNS1_3genE5ELNS1_11target_archE942ELNS1_3gpuE9ELNS1_3repE0EEENS1_30default_config_static_selectorELNS0_4arch9wavefront6targetE0EEEvT1_
                                        ; -- End function
	.section	.AMDGPU.csdata,"",@progbits
; Kernel info:
; codeLenInByte = 0
; NumSgprs: 0
; NumVgprs: 0
; ScratchSize: 0
; MemoryBound: 0
; FloatMode: 240
; IeeeMode: 1
; LDSByteSize: 0 bytes/workgroup (compile time only)
; SGPRBlocks: 0
; VGPRBlocks: 0
; NumSGPRsForWavesPerEU: 1
; NumVGPRsForWavesPerEU: 1
; Occupancy: 16
; WaveLimiterHint : 0
; COMPUTE_PGM_RSRC2:SCRATCH_EN: 0
; COMPUTE_PGM_RSRC2:USER_SGPR: 15
; COMPUTE_PGM_RSRC2:TRAP_HANDLER: 0
; COMPUTE_PGM_RSRC2:TGID_X_EN: 1
; COMPUTE_PGM_RSRC2:TGID_Y_EN: 0
; COMPUTE_PGM_RSRC2:TGID_Z_EN: 0
; COMPUTE_PGM_RSRC2:TIDIG_COMP_CNT: 0
	.section	.text._ZN7rocprim17ROCPRIM_400000_NS6detail17trampoline_kernelINS0_14default_configENS1_25partition_config_selectorILNS1_17partition_subalgoE9EllbEEZZNS1_14partition_implILS5_9ELb0ES3_jPlS8_PNS0_10empty_typeENS0_5tupleIJS8_S9_EEENSB_IJS8_SA_EEENS0_18inequality_wrapperIZN2at6native12_GLOBAL__N_124unique_dim_cuda_templateImEESt5tupleIJNSF_6TensorESK_SK_EERKSK_lbbbEUlllE0_EEPmJS9_EEE10hipError_tPvRmT3_T4_T5_T6_T7_T9_mT8_P12ihipStream_tbDpT10_ENKUlT_T0_E_clISt17integral_constantIbLb1EES19_IbLb0EEEEDaS15_S16_EUlS15_E_NS1_11comp_targetILNS1_3genE4ELNS1_11target_archE910ELNS1_3gpuE8ELNS1_3repE0EEENS1_30default_config_static_selectorELNS0_4arch9wavefront6targetE0EEEvT1_,"axG",@progbits,_ZN7rocprim17ROCPRIM_400000_NS6detail17trampoline_kernelINS0_14default_configENS1_25partition_config_selectorILNS1_17partition_subalgoE9EllbEEZZNS1_14partition_implILS5_9ELb0ES3_jPlS8_PNS0_10empty_typeENS0_5tupleIJS8_S9_EEENSB_IJS8_SA_EEENS0_18inequality_wrapperIZN2at6native12_GLOBAL__N_124unique_dim_cuda_templateImEESt5tupleIJNSF_6TensorESK_SK_EERKSK_lbbbEUlllE0_EEPmJS9_EEE10hipError_tPvRmT3_T4_T5_T6_T7_T9_mT8_P12ihipStream_tbDpT10_ENKUlT_T0_E_clISt17integral_constantIbLb1EES19_IbLb0EEEEDaS15_S16_EUlS15_E_NS1_11comp_targetILNS1_3genE4ELNS1_11target_archE910ELNS1_3gpuE8ELNS1_3repE0EEENS1_30default_config_static_selectorELNS0_4arch9wavefront6targetE0EEEvT1_,comdat
	.globl	_ZN7rocprim17ROCPRIM_400000_NS6detail17trampoline_kernelINS0_14default_configENS1_25partition_config_selectorILNS1_17partition_subalgoE9EllbEEZZNS1_14partition_implILS5_9ELb0ES3_jPlS8_PNS0_10empty_typeENS0_5tupleIJS8_S9_EEENSB_IJS8_SA_EEENS0_18inequality_wrapperIZN2at6native12_GLOBAL__N_124unique_dim_cuda_templateImEESt5tupleIJNSF_6TensorESK_SK_EERKSK_lbbbEUlllE0_EEPmJS9_EEE10hipError_tPvRmT3_T4_T5_T6_T7_T9_mT8_P12ihipStream_tbDpT10_ENKUlT_T0_E_clISt17integral_constantIbLb1EES19_IbLb0EEEEDaS15_S16_EUlS15_E_NS1_11comp_targetILNS1_3genE4ELNS1_11target_archE910ELNS1_3gpuE8ELNS1_3repE0EEENS1_30default_config_static_selectorELNS0_4arch9wavefront6targetE0EEEvT1_ ; -- Begin function _ZN7rocprim17ROCPRIM_400000_NS6detail17trampoline_kernelINS0_14default_configENS1_25partition_config_selectorILNS1_17partition_subalgoE9EllbEEZZNS1_14partition_implILS5_9ELb0ES3_jPlS8_PNS0_10empty_typeENS0_5tupleIJS8_S9_EEENSB_IJS8_SA_EEENS0_18inequality_wrapperIZN2at6native12_GLOBAL__N_124unique_dim_cuda_templateImEESt5tupleIJNSF_6TensorESK_SK_EERKSK_lbbbEUlllE0_EEPmJS9_EEE10hipError_tPvRmT3_T4_T5_T6_T7_T9_mT8_P12ihipStream_tbDpT10_ENKUlT_T0_E_clISt17integral_constantIbLb1EES19_IbLb0EEEEDaS15_S16_EUlS15_E_NS1_11comp_targetILNS1_3genE4ELNS1_11target_archE910ELNS1_3gpuE8ELNS1_3repE0EEENS1_30default_config_static_selectorELNS0_4arch9wavefront6targetE0EEEvT1_
	.p2align	8
	.type	_ZN7rocprim17ROCPRIM_400000_NS6detail17trampoline_kernelINS0_14default_configENS1_25partition_config_selectorILNS1_17partition_subalgoE9EllbEEZZNS1_14partition_implILS5_9ELb0ES3_jPlS8_PNS0_10empty_typeENS0_5tupleIJS8_S9_EEENSB_IJS8_SA_EEENS0_18inequality_wrapperIZN2at6native12_GLOBAL__N_124unique_dim_cuda_templateImEESt5tupleIJNSF_6TensorESK_SK_EERKSK_lbbbEUlllE0_EEPmJS9_EEE10hipError_tPvRmT3_T4_T5_T6_T7_T9_mT8_P12ihipStream_tbDpT10_ENKUlT_T0_E_clISt17integral_constantIbLb1EES19_IbLb0EEEEDaS15_S16_EUlS15_E_NS1_11comp_targetILNS1_3genE4ELNS1_11target_archE910ELNS1_3gpuE8ELNS1_3repE0EEENS1_30default_config_static_selectorELNS0_4arch9wavefront6targetE0EEEvT1_,@function
_ZN7rocprim17ROCPRIM_400000_NS6detail17trampoline_kernelINS0_14default_configENS1_25partition_config_selectorILNS1_17partition_subalgoE9EllbEEZZNS1_14partition_implILS5_9ELb0ES3_jPlS8_PNS0_10empty_typeENS0_5tupleIJS8_S9_EEENSB_IJS8_SA_EEENS0_18inequality_wrapperIZN2at6native12_GLOBAL__N_124unique_dim_cuda_templateImEESt5tupleIJNSF_6TensorESK_SK_EERKSK_lbbbEUlllE0_EEPmJS9_EEE10hipError_tPvRmT3_T4_T5_T6_T7_T9_mT8_P12ihipStream_tbDpT10_ENKUlT_T0_E_clISt17integral_constantIbLb1EES19_IbLb0EEEEDaS15_S16_EUlS15_E_NS1_11comp_targetILNS1_3genE4ELNS1_11target_archE910ELNS1_3gpuE8ELNS1_3repE0EEENS1_30default_config_static_selectorELNS0_4arch9wavefront6targetE0EEEvT1_: ; @_ZN7rocprim17ROCPRIM_400000_NS6detail17trampoline_kernelINS0_14default_configENS1_25partition_config_selectorILNS1_17partition_subalgoE9EllbEEZZNS1_14partition_implILS5_9ELb0ES3_jPlS8_PNS0_10empty_typeENS0_5tupleIJS8_S9_EEENSB_IJS8_SA_EEENS0_18inequality_wrapperIZN2at6native12_GLOBAL__N_124unique_dim_cuda_templateImEESt5tupleIJNSF_6TensorESK_SK_EERKSK_lbbbEUlllE0_EEPmJS9_EEE10hipError_tPvRmT3_T4_T5_T6_T7_T9_mT8_P12ihipStream_tbDpT10_ENKUlT_T0_E_clISt17integral_constantIbLb1EES19_IbLb0EEEEDaS15_S16_EUlS15_E_NS1_11comp_targetILNS1_3genE4ELNS1_11target_archE910ELNS1_3gpuE8ELNS1_3repE0EEENS1_30default_config_static_selectorELNS0_4arch9wavefront6targetE0EEEvT1_
; %bb.0:
	.section	.rodata,"a",@progbits
	.p2align	6, 0x0
	.amdhsa_kernel _ZN7rocprim17ROCPRIM_400000_NS6detail17trampoline_kernelINS0_14default_configENS1_25partition_config_selectorILNS1_17partition_subalgoE9EllbEEZZNS1_14partition_implILS5_9ELb0ES3_jPlS8_PNS0_10empty_typeENS0_5tupleIJS8_S9_EEENSB_IJS8_SA_EEENS0_18inequality_wrapperIZN2at6native12_GLOBAL__N_124unique_dim_cuda_templateImEESt5tupleIJNSF_6TensorESK_SK_EERKSK_lbbbEUlllE0_EEPmJS9_EEE10hipError_tPvRmT3_T4_T5_T6_T7_T9_mT8_P12ihipStream_tbDpT10_ENKUlT_T0_E_clISt17integral_constantIbLb1EES19_IbLb0EEEEDaS15_S16_EUlS15_E_NS1_11comp_targetILNS1_3genE4ELNS1_11target_archE910ELNS1_3gpuE8ELNS1_3repE0EEENS1_30default_config_static_selectorELNS0_4arch9wavefront6targetE0EEEvT1_
		.amdhsa_group_segment_fixed_size 0
		.amdhsa_private_segment_fixed_size 0
		.amdhsa_kernarg_size 120
		.amdhsa_user_sgpr_count 15
		.amdhsa_user_sgpr_dispatch_ptr 0
		.amdhsa_user_sgpr_queue_ptr 0
		.amdhsa_user_sgpr_kernarg_segment_ptr 1
		.amdhsa_user_sgpr_dispatch_id 0
		.amdhsa_user_sgpr_private_segment_size 0
		.amdhsa_wavefront_size32 1
		.amdhsa_uses_dynamic_stack 0
		.amdhsa_enable_private_segment 0
		.amdhsa_system_sgpr_workgroup_id_x 1
		.amdhsa_system_sgpr_workgroup_id_y 0
		.amdhsa_system_sgpr_workgroup_id_z 0
		.amdhsa_system_sgpr_workgroup_info 0
		.amdhsa_system_vgpr_workitem_id 0
		.amdhsa_next_free_vgpr 1
		.amdhsa_next_free_sgpr 1
		.amdhsa_reserve_vcc 0
		.amdhsa_float_round_mode_32 0
		.amdhsa_float_round_mode_16_64 0
		.amdhsa_float_denorm_mode_32 3
		.amdhsa_float_denorm_mode_16_64 3
		.amdhsa_dx10_clamp 1
		.amdhsa_ieee_mode 1
		.amdhsa_fp16_overflow 0
		.amdhsa_workgroup_processor_mode 1
		.amdhsa_memory_ordered 1
		.amdhsa_forward_progress 0
		.amdhsa_shared_vgpr_count 0
		.amdhsa_exception_fp_ieee_invalid_op 0
		.amdhsa_exception_fp_denorm_src 0
		.amdhsa_exception_fp_ieee_div_zero 0
		.amdhsa_exception_fp_ieee_overflow 0
		.amdhsa_exception_fp_ieee_underflow 0
		.amdhsa_exception_fp_ieee_inexact 0
		.amdhsa_exception_int_div_zero 0
	.end_amdhsa_kernel
	.section	.text._ZN7rocprim17ROCPRIM_400000_NS6detail17trampoline_kernelINS0_14default_configENS1_25partition_config_selectorILNS1_17partition_subalgoE9EllbEEZZNS1_14partition_implILS5_9ELb0ES3_jPlS8_PNS0_10empty_typeENS0_5tupleIJS8_S9_EEENSB_IJS8_SA_EEENS0_18inequality_wrapperIZN2at6native12_GLOBAL__N_124unique_dim_cuda_templateImEESt5tupleIJNSF_6TensorESK_SK_EERKSK_lbbbEUlllE0_EEPmJS9_EEE10hipError_tPvRmT3_T4_T5_T6_T7_T9_mT8_P12ihipStream_tbDpT10_ENKUlT_T0_E_clISt17integral_constantIbLb1EES19_IbLb0EEEEDaS15_S16_EUlS15_E_NS1_11comp_targetILNS1_3genE4ELNS1_11target_archE910ELNS1_3gpuE8ELNS1_3repE0EEENS1_30default_config_static_selectorELNS0_4arch9wavefront6targetE0EEEvT1_,"axG",@progbits,_ZN7rocprim17ROCPRIM_400000_NS6detail17trampoline_kernelINS0_14default_configENS1_25partition_config_selectorILNS1_17partition_subalgoE9EllbEEZZNS1_14partition_implILS5_9ELb0ES3_jPlS8_PNS0_10empty_typeENS0_5tupleIJS8_S9_EEENSB_IJS8_SA_EEENS0_18inequality_wrapperIZN2at6native12_GLOBAL__N_124unique_dim_cuda_templateImEESt5tupleIJNSF_6TensorESK_SK_EERKSK_lbbbEUlllE0_EEPmJS9_EEE10hipError_tPvRmT3_T4_T5_T6_T7_T9_mT8_P12ihipStream_tbDpT10_ENKUlT_T0_E_clISt17integral_constantIbLb1EES19_IbLb0EEEEDaS15_S16_EUlS15_E_NS1_11comp_targetILNS1_3genE4ELNS1_11target_archE910ELNS1_3gpuE8ELNS1_3repE0EEENS1_30default_config_static_selectorELNS0_4arch9wavefront6targetE0EEEvT1_,comdat
.Lfunc_end1711:
	.size	_ZN7rocprim17ROCPRIM_400000_NS6detail17trampoline_kernelINS0_14default_configENS1_25partition_config_selectorILNS1_17partition_subalgoE9EllbEEZZNS1_14partition_implILS5_9ELb0ES3_jPlS8_PNS0_10empty_typeENS0_5tupleIJS8_S9_EEENSB_IJS8_SA_EEENS0_18inequality_wrapperIZN2at6native12_GLOBAL__N_124unique_dim_cuda_templateImEESt5tupleIJNSF_6TensorESK_SK_EERKSK_lbbbEUlllE0_EEPmJS9_EEE10hipError_tPvRmT3_T4_T5_T6_T7_T9_mT8_P12ihipStream_tbDpT10_ENKUlT_T0_E_clISt17integral_constantIbLb1EES19_IbLb0EEEEDaS15_S16_EUlS15_E_NS1_11comp_targetILNS1_3genE4ELNS1_11target_archE910ELNS1_3gpuE8ELNS1_3repE0EEENS1_30default_config_static_selectorELNS0_4arch9wavefront6targetE0EEEvT1_, .Lfunc_end1711-_ZN7rocprim17ROCPRIM_400000_NS6detail17trampoline_kernelINS0_14default_configENS1_25partition_config_selectorILNS1_17partition_subalgoE9EllbEEZZNS1_14partition_implILS5_9ELb0ES3_jPlS8_PNS0_10empty_typeENS0_5tupleIJS8_S9_EEENSB_IJS8_SA_EEENS0_18inequality_wrapperIZN2at6native12_GLOBAL__N_124unique_dim_cuda_templateImEESt5tupleIJNSF_6TensorESK_SK_EERKSK_lbbbEUlllE0_EEPmJS9_EEE10hipError_tPvRmT3_T4_T5_T6_T7_T9_mT8_P12ihipStream_tbDpT10_ENKUlT_T0_E_clISt17integral_constantIbLb1EES19_IbLb0EEEEDaS15_S16_EUlS15_E_NS1_11comp_targetILNS1_3genE4ELNS1_11target_archE910ELNS1_3gpuE8ELNS1_3repE0EEENS1_30default_config_static_selectorELNS0_4arch9wavefront6targetE0EEEvT1_
                                        ; -- End function
	.section	.AMDGPU.csdata,"",@progbits
; Kernel info:
; codeLenInByte = 0
; NumSgprs: 0
; NumVgprs: 0
; ScratchSize: 0
; MemoryBound: 0
; FloatMode: 240
; IeeeMode: 1
; LDSByteSize: 0 bytes/workgroup (compile time only)
; SGPRBlocks: 0
; VGPRBlocks: 0
; NumSGPRsForWavesPerEU: 1
; NumVGPRsForWavesPerEU: 1
; Occupancy: 16
; WaveLimiterHint : 0
; COMPUTE_PGM_RSRC2:SCRATCH_EN: 0
; COMPUTE_PGM_RSRC2:USER_SGPR: 15
; COMPUTE_PGM_RSRC2:TRAP_HANDLER: 0
; COMPUTE_PGM_RSRC2:TGID_X_EN: 1
; COMPUTE_PGM_RSRC2:TGID_Y_EN: 0
; COMPUTE_PGM_RSRC2:TGID_Z_EN: 0
; COMPUTE_PGM_RSRC2:TIDIG_COMP_CNT: 0
	.section	.text._ZN7rocprim17ROCPRIM_400000_NS6detail17trampoline_kernelINS0_14default_configENS1_25partition_config_selectorILNS1_17partition_subalgoE9EllbEEZZNS1_14partition_implILS5_9ELb0ES3_jPlS8_PNS0_10empty_typeENS0_5tupleIJS8_S9_EEENSB_IJS8_SA_EEENS0_18inequality_wrapperIZN2at6native12_GLOBAL__N_124unique_dim_cuda_templateImEESt5tupleIJNSF_6TensorESK_SK_EERKSK_lbbbEUlllE0_EEPmJS9_EEE10hipError_tPvRmT3_T4_T5_T6_T7_T9_mT8_P12ihipStream_tbDpT10_ENKUlT_T0_E_clISt17integral_constantIbLb1EES19_IbLb0EEEEDaS15_S16_EUlS15_E_NS1_11comp_targetILNS1_3genE3ELNS1_11target_archE908ELNS1_3gpuE7ELNS1_3repE0EEENS1_30default_config_static_selectorELNS0_4arch9wavefront6targetE0EEEvT1_,"axG",@progbits,_ZN7rocprim17ROCPRIM_400000_NS6detail17trampoline_kernelINS0_14default_configENS1_25partition_config_selectorILNS1_17partition_subalgoE9EllbEEZZNS1_14partition_implILS5_9ELb0ES3_jPlS8_PNS0_10empty_typeENS0_5tupleIJS8_S9_EEENSB_IJS8_SA_EEENS0_18inequality_wrapperIZN2at6native12_GLOBAL__N_124unique_dim_cuda_templateImEESt5tupleIJNSF_6TensorESK_SK_EERKSK_lbbbEUlllE0_EEPmJS9_EEE10hipError_tPvRmT3_T4_T5_T6_T7_T9_mT8_P12ihipStream_tbDpT10_ENKUlT_T0_E_clISt17integral_constantIbLb1EES19_IbLb0EEEEDaS15_S16_EUlS15_E_NS1_11comp_targetILNS1_3genE3ELNS1_11target_archE908ELNS1_3gpuE7ELNS1_3repE0EEENS1_30default_config_static_selectorELNS0_4arch9wavefront6targetE0EEEvT1_,comdat
	.globl	_ZN7rocprim17ROCPRIM_400000_NS6detail17trampoline_kernelINS0_14default_configENS1_25partition_config_selectorILNS1_17partition_subalgoE9EllbEEZZNS1_14partition_implILS5_9ELb0ES3_jPlS8_PNS0_10empty_typeENS0_5tupleIJS8_S9_EEENSB_IJS8_SA_EEENS0_18inequality_wrapperIZN2at6native12_GLOBAL__N_124unique_dim_cuda_templateImEESt5tupleIJNSF_6TensorESK_SK_EERKSK_lbbbEUlllE0_EEPmJS9_EEE10hipError_tPvRmT3_T4_T5_T6_T7_T9_mT8_P12ihipStream_tbDpT10_ENKUlT_T0_E_clISt17integral_constantIbLb1EES19_IbLb0EEEEDaS15_S16_EUlS15_E_NS1_11comp_targetILNS1_3genE3ELNS1_11target_archE908ELNS1_3gpuE7ELNS1_3repE0EEENS1_30default_config_static_selectorELNS0_4arch9wavefront6targetE0EEEvT1_ ; -- Begin function _ZN7rocprim17ROCPRIM_400000_NS6detail17trampoline_kernelINS0_14default_configENS1_25partition_config_selectorILNS1_17partition_subalgoE9EllbEEZZNS1_14partition_implILS5_9ELb0ES3_jPlS8_PNS0_10empty_typeENS0_5tupleIJS8_S9_EEENSB_IJS8_SA_EEENS0_18inequality_wrapperIZN2at6native12_GLOBAL__N_124unique_dim_cuda_templateImEESt5tupleIJNSF_6TensorESK_SK_EERKSK_lbbbEUlllE0_EEPmJS9_EEE10hipError_tPvRmT3_T4_T5_T6_T7_T9_mT8_P12ihipStream_tbDpT10_ENKUlT_T0_E_clISt17integral_constantIbLb1EES19_IbLb0EEEEDaS15_S16_EUlS15_E_NS1_11comp_targetILNS1_3genE3ELNS1_11target_archE908ELNS1_3gpuE7ELNS1_3repE0EEENS1_30default_config_static_selectorELNS0_4arch9wavefront6targetE0EEEvT1_
	.p2align	8
	.type	_ZN7rocprim17ROCPRIM_400000_NS6detail17trampoline_kernelINS0_14default_configENS1_25partition_config_selectorILNS1_17partition_subalgoE9EllbEEZZNS1_14partition_implILS5_9ELb0ES3_jPlS8_PNS0_10empty_typeENS0_5tupleIJS8_S9_EEENSB_IJS8_SA_EEENS0_18inequality_wrapperIZN2at6native12_GLOBAL__N_124unique_dim_cuda_templateImEESt5tupleIJNSF_6TensorESK_SK_EERKSK_lbbbEUlllE0_EEPmJS9_EEE10hipError_tPvRmT3_T4_T5_T6_T7_T9_mT8_P12ihipStream_tbDpT10_ENKUlT_T0_E_clISt17integral_constantIbLb1EES19_IbLb0EEEEDaS15_S16_EUlS15_E_NS1_11comp_targetILNS1_3genE3ELNS1_11target_archE908ELNS1_3gpuE7ELNS1_3repE0EEENS1_30default_config_static_selectorELNS0_4arch9wavefront6targetE0EEEvT1_,@function
_ZN7rocprim17ROCPRIM_400000_NS6detail17trampoline_kernelINS0_14default_configENS1_25partition_config_selectorILNS1_17partition_subalgoE9EllbEEZZNS1_14partition_implILS5_9ELb0ES3_jPlS8_PNS0_10empty_typeENS0_5tupleIJS8_S9_EEENSB_IJS8_SA_EEENS0_18inequality_wrapperIZN2at6native12_GLOBAL__N_124unique_dim_cuda_templateImEESt5tupleIJNSF_6TensorESK_SK_EERKSK_lbbbEUlllE0_EEPmJS9_EEE10hipError_tPvRmT3_T4_T5_T6_T7_T9_mT8_P12ihipStream_tbDpT10_ENKUlT_T0_E_clISt17integral_constantIbLb1EES19_IbLb0EEEEDaS15_S16_EUlS15_E_NS1_11comp_targetILNS1_3genE3ELNS1_11target_archE908ELNS1_3gpuE7ELNS1_3repE0EEENS1_30default_config_static_selectorELNS0_4arch9wavefront6targetE0EEEvT1_: ; @_ZN7rocprim17ROCPRIM_400000_NS6detail17trampoline_kernelINS0_14default_configENS1_25partition_config_selectorILNS1_17partition_subalgoE9EllbEEZZNS1_14partition_implILS5_9ELb0ES3_jPlS8_PNS0_10empty_typeENS0_5tupleIJS8_S9_EEENSB_IJS8_SA_EEENS0_18inequality_wrapperIZN2at6native12_GLOBAL__N_124unique_dim_cuda_templateImEESt5tupleIJNSF_6TensorESK_SK_EERKSK_lbbbEUlllE0_EEPmJS9_EEE10hipError_tPvRmT3_T4_T5_T6_T7_T9_mT8_P12ihipStream_tbDpT10_ENKUlT_T0_E_clISt17integral_constantIbLb1EES19_IbLb0EEEEDaS15_S16_EUlS15_E_NS1_11comp_targetILNS1_3genE3ELNS1_11target_archE908ELNS1_3gpuE7ELNS1_3repE0EEENS1_30default_config_static_selectorELNS0_4arch9wavefront6targetE0EEEvT1_
; %bb.0:
	.section	.rodata,"a",@progbits
	.p2align	6, 0x0
	.amdhsa_kernel _ZN7rocprim17ROCPRIM_400000_NS6detail17trampoline_kernelINS0_14default_configENS1_25partition_config_selectorILNS1_17partition_subalgoE9EllbEEZZNS1_14partition_implILS5_9ELb0ES3_jPlS8_PNS0_10empty_typeENS0_5tupleIJS8_S9_EEENSB_IJS8_SA_EEENS0_18inequality_wrapperIZN2at6native12_GLOBAL__N_124unique_dim_cuda_templateImEESt5tupleIJNSF_6TensorESK_SK_EERKSK_lbbbEUlllE0_EEPmJS9_EEE10hipError_tPvRmT3_T4_T5_T6_T7_T9_mT8_P12ihipStream_tbDpT10_ENKUlT_T0_E_clISt17integral_constantIbLb1EES19_IbLb0EEEEDaS15_S16_EUlS15_E_NS1_11comp_targetILNS1_3genE3ELNS1_11target_archE908ELNS1_3gpuE7ELNS1_3repE0EEENS1_30default_config_static_selectorELNS0_4arch9wavefront6targetE0EEEvT1_
		.amdhsa_group_segment_fixed_size 0
		.amdhsa_private_segment_fixed_size 0
		.amdhsa_kernarg_size 120
		.amdhsa_user_sgpr_count 15
		.amdhsa_user_sgpr_dispatch_ptr 0
		.amdhsa_user_sgpr_queue_ptr 0
		.amdhsa_user_sgpr_kernarg_segment_ptr 1
		.amdhsa_user_sgpr_dispatch_id 0
		.amdhsa_user_sgpr_private_segment_size 0
		.amdhsa_wavefront_size32 1
		.amdhsa_uses_dynamic_stack 0
		.amdhsa_enable_private_segment 0
		.amdhsa_system_sgpr_workgroup_id_x 1
		.amdhsa_system_sgpr_workgroup_id_y 0
		.amdhsa_system_sgpr_workgroup_id_z 0
		.amdhsa_system_sgpr_workgroup_info 0
		.amdhsa_system_vgpr_workitem_id 0
		.amdhsa_next_free_vgpr 1
		.amdhsa_next_free_sgpr 1
		.amdhsa_reserve_vcc 0
		.amdhsa_float_round_mode_32 0
		.amdhsa_float_round_mode_16_64 0
		.amdhsa_float_denorm_mode_32 3
		.amdhsa_float_denorm_mode_16_64 3
		.amdhsa_dx10_clamp 1
		.amdhsa_ieee_mode 1
		.amdhsa_fp16_overflow 0
		.amdhsa_workgroup_processor_mode 1
		.amdhsa_memory_ordered 1
		.amdhsa_forward_progress 0
		.amdhsa_shared_vgpr_count 0
		.amdhsa_exception_fp_ieee_invalid_op 0
		.amdhsa_exception_fp_denorm_src 0
		.amdhsa_exception_fp_ieee_div_zero 0
		.amdhsa_exception_fp_ieee_overflow 0
		.amdhsa_exception_fp_ieee_underflow 0
		.amdhsa_exception_fp_ieee_inexact 0
		.amdhsa_exception_int_div_zero 0
	.end_amdhsa_kernel
	.section	.text._ZN7rocprim17ROCPRIM_400000_NS6detail17trampoline_kernelINS0_14default_configENS1_25partition_config_selectorILNS1_17partition_subalgoE9EllbEEZZNS1_14partition_implILS5_9ELb0ES3_jPlS8_PNS0_10empty_typeENS0_5tupleIJS8_S9_EEENSB_IJS8_SA_EEENS0_18inequality_wrapperIZN2at6native12_GLOBAL__N_124unique_dim_cuda_templateImEESt5tupleIJNSF_6TensorESK_SK_EERKSK_lbbbEUlllE0_EEPmJS9_EEE10hipError_tPvRmT3_T4_T5_T6_T7_T9_mT8_P12ihipStream_tbDpT10_ENKUlT_T0_E_clISt17integral_constantIbLb1EES19_IbLb0EEEEDaS15_S16_EUlS15_E_NS1_11comp_targetILNS1_3genE3ELNS1_11target_archE908ELNS1_3gpuE7ELNS1_3repE0EEENS1_30default_config_static_selectorELNS0_4arch9wavefront6targetE0EEEvT1_,"axG",@progbits,_ZN7rocprim17ROCPRIM_400000_NS6detail17trampoline_kernelINS0_14default_configENS1_25partition_config_selectorILNS1_17partition_subalgoE9EllbEEZZNS1_14partition_implILS5_9ELb0ES3_jPlS8_PNS0_10empty_typeENS0_5tupleIJS8_S9_EEENSB_IJS8_SA_EEENS0_18inequality_wrapperIZN2at6native12_GLOBAL__N_124unique_dim_cuda_templateImEESt5tupleIJNSF_6TensorESK_SK_EERKSK_lbbbEUlllE0_EEPmJS9_EEE10hipError_tPvRmT3_T4_T5_T6_T7_T9_mT8_P12ihipStream_tbDpT10_ENKUlT_T0_E_clISt17integral_constantIbLb1EES19_IbLb0EEEEDaS15_S16_EUlS15_E_NS1_11comp_targetILNS1_3genE3ELNS1_11target_archE908ELNS1_3gpuE7ELNS1_3repE0EEENS1_30default_config_static_selectorELNS0_4arch9wavefront6targetE0EEEvT1_,comdat
.Lfunc_end1712:
	.size	_ZN7rocprim17ROCPRIM_400000_NS6detail17trampoline_kernelINS0_14default_configENS1_25partition_config_selectorILNS1_17partition_subalgoE9EllbEEZZNS1_14partition_implILS5_9ELb0ES3_jPlS8_PNS0_10empty_typeENS0_5tupleIJS8_S9_EEENSB_IJS8_SA_EEENS0_18inequality_wrapperIZN2at6native12_GLOBAL__N_124unique_dim_cuda_templateImEESt5tupleIJNSF_6TensorESK_SK_EERKSK_lbbbEUlllE0_EEPmJS9_EEE10hipError_tPvRmT3_T4_T5_T6_T7_T9_mT8_P12ihipStream_tbDpT10_ENKUlT_T0_E_clISt17integral_constantIbLb1EES19_IbLb0EEEEDaS15_S16_EUlS15_E_NS1_11comp_targetILNS1_3genE3ELNS1_11target_archE908ELNS1_3gpuE7ELNS1_3repE0EEENS1_30default_config_static_selectorELNS0_4arch9wavefront6targetE0EEEvT1_, .Lfunc_end1712-_ZN7rocprim17ROCPRIM_400000_NS6detail17trampoline_kernelINS0_14default_configENS1_25partition_config_selectorILNS1_17partition_subalgoE9EllbEEZZNS1_14partition_implILS5_9ELb0ES3_jPlS8_PNS0_10empty_typeENS0_5tupleIJS8_S9_EEENSB_IJS8_SA_EEENS0_18inequality_wrapperIZN2at6native12_GLOBAL__N_124unique_dim_cuda_templateImEESt5tupleIJNSF_6TensorESK_SK_EERKSK_lbbbEUlllE0_EEPmJS9_EEE10hipError_tPvRmT3_T4_T5_T6_T7_T9_mT8_P12ihipStream_tbDpT10_ENKUlT_T0_E_clISt17integral_constantIbLb1EES19_IbLb0EEEEDaS15_S16_EUlS15_E_NS1_11comp_targetILNS1_3genE3ELNS1_11target_archE908ELNS1_3gpuE7ELNS1_3repE0EEENS1_30default_config_static_selectorELNS0_4arch9wavefront6targetE0EEEvT1_
                                        ; -- End function
	.section	.AMDGPU.csdata,"",@progbits
; Kernel info:
; codeLenInByte = 0
; NumSgprs: 0
; NumVgprs: 0
; ScratchSize: 0
; MemoryBound: 0
; FloatMode: 240
; IeeeMode: 1
; LDSByteSize: 0 bytes/workgroup (compile time only)
; SGPRBlocks: 0
; VGPRBlocks: 0
; NumSGPRsForWavesPerEU: 1
; NumVGPRsForWavesPerEU: 1
; Occupancy: 16
; WaveLimiterHint : 0
; COMPUTE_PGM_RSRC2:SCRATCH_EN: 0
; COMPUTE_PGM_RSRC2:USER_SGPR: 15
; COMPUTE_PGM_RSRC2:TRAP_HANDLER: 0
; COMPUTE_PGM_RSRC2:TGID_X_EN: 1
; COMPUTE_PGM_RSRC2:TGID_Y_EN: 0
; COMPUTE_PGM_RSRC2:TGID_Z_EN: 0
; COMPUTE_PGM_RSRC2:TIDIG_COMP_CNT: 0
	.section	.text._ZN7rocprim17ROCPRIM_400000_NS6detail17trampoline_kernelINS0_14default_configENS1_25partition_config_selectorILNS1_17partition_subalgoE9EllbEEZZNS1_14partition_implILS5_9ELb0ES3_jPlS8_PNS0_10empty_typeENS0_5tupleIJS8_S9_EEENSB_IJS8_SA_EEENS0_18inequality_wrapperIZN2at6native12_GLOBAL__N_124unique_dim_cuda_templateImEESt5tupleIJNSF_6TensorESK_SK_EERKSK_lbbbEUlllE0_EEPmJS9_EEE10hipError_tPvRmT3_T4_T5_T6_T7_T9_mT8_P12ihipStream_tbDpT10_ENKUlT_T0_E_clISt17integral_constantIbLb1EES19_IbLb0EEEEDaS15_S16_EUlS15_E_NS1_11comp_targetILNS1_3genE2ELNS1_11target_archE906ELNS1_3gpuE6ELNS1_3repE0EEENS1_30default_config_static_selectorELNS0_4arch9wavefront6targetE0EEEvT1_,"axG",@progbits,_ZN7rocprim17ROCPRIM_400000_NS6detail17trampoline_kernelINS0_14default_configENS1_25partition_config_selectorILNS1_17partition_subalgoE9EllbEEZZNS1_14partition_implILS5_9ELb0ES3_jPlS8_PNS0_10empty_typeENS0_5tupleIJS8_S9_EEENSB_IJS8_SA_EEENS0_18inequality_wrapperIZN2at6native12_GLOBAL__N_124unique_dim_cuda_templateImEESt5tupleIJNSF_6TensorESK_SK_EERKSK_lbbbEUlllE0_EEPmJS9_EEE10hipError_tPvRmT3_T4_T5_T6_T7_T9_mT8_P12ihipStream_tbDpT10_ENKUlT_T0_E_clISt17integral_constantIbLb1EES19_IbLb0EEEEDaS15_S16_EUlS15_E_NS1_11comp_targetILNS1_3genE2ELNS1_11target_archE906ELNS1_3gpuE6ELNS1_3repE0EEENS1_30default_config_static_selectorELNS0_4arch9wavefront6targetE0EEEvT1_,comdat
	.globl	_ZN7rocprim17ROCPRIM_400000_NS6detail17trampoline_kernelINS0_14default_configENS1_25partition_config_selectorILNS1_17partition_subalgoE9EllbEEZZNS1_14partition_implILS5_9ELb0ES3_jPlS8_PNS0_10empty_typeENS0_5tupleIJS8_S9_EEENSB_IJS8_SA_EEENS0_18inequality_wrapperIZN2at6native12_GLOBAL__N_124unique_dim_cuda_templateImEESt5tupleIJNSF_6TensorESK_SK_EERKSK_lbbbEUlllE0_EEPmJS9_EEE10hipError_tPvRmT3_T4_T5_T6_T7_T9_mT8_P12ihipStream_tbDpT10_ENKUlT_T0_E_clISt17integral_constantIbLb1EES19_IbLb0EEEEDaS15_S16_EUlS15_E_NS1_11comp_targetILNS1_3genE2ELNS1_11target_archE906ELNS1_3gpuE6ELNS1_3repE0EEENS1_30default_config_static_selectorELNS0_4arch9wavefront6targetE0EEEvT1_ ; -- Begin function _ZN7rocprim17ROCPRIM_400000_NS6detail17trampoline_kernelINS0_14default_configENS1_25partition_config_selectorILNS1_17partition_subalgoE9EllbEEZZNS1_14partition_implILS5_9ELb0ES3_jPlS8_PNS0_10empty_typeENS0_5tupleIJS8_S9_EEENSB_IJS8_SA_EEENS0_18inequality_wrapperIZN2at6native12_GLOBAL__N_124unique_dim_cuda_templateImEESt5tupleIJNSF_6TensorESK_SK_EERKSK_lbbbEUlllE0_EEPmJS9_EEE10hipError_tPvRmT3_T4_T5_T6_T7_T9_mT8_P12ihipStream_tbDpT10_ENKUlT_T0_E_clISt17integral_constantIbLb1EES19_IbLb0EEEEDaS15_S16_EUlS15_E_NS1_11comp_targetILNS1_3genE2ELNS1_11target_archE906ELNS1_3gpuE6ELNS1_3repE0EEENS1_30default_config_static_selectorELNS0_4arch9wavefront6targetE0EEEvT1_
	.p2align	8
	.type	_ZN7rocprim17ROCPRIM_400000_NS6detail17trampoline_kernelINS0_14default_configENS1_25partition_config_selectorILNS1_17partition_subalgoE9EllbEEZZNS1_14partition_implILS5_9ELb0ES3_jPlS8_PNS0_10empty_typeENS0_5tupleIJS8_S9_EEENSB_IJS8_SA_EEENS0_18inequality_wrapperIZN2at6native12_GLOBAL__N_124unique_dim_cuda_templateImEESt5tupleIJNSF_6TensorESK_SK_EERKSK_lbbbEUlllE0_EEPmJS9_EEE10hipError_tPvRmT3_T4_T5_T6_T7_T9_mT8_P12ihipStream_tbDpT10_ENKUlT_T0_E_clISt17integral_constantIbLb1EES19_IbLb0EEEEDaS15_S16_EUlS15_E_NS1_11comp_targetILNS1_3genE2ELNS1_11target_archE906ELNS1_3gpuE6ELNS1_3repE0EEENS1_30default_config_static_selectorELNS0_4arch9wavefront6targetE0EEEvT1_,@function
_ZN7rocprim17ROCPRIM_400000_NS6detail17trampoline_kernelINS0_14default_configENS1_25partition_config_selectorILNS1_17partition_subalgoE9EllbEEZZNS1_14partition_implILS5_9ELb0ES3_jPlS8_PNS0_10empty_typeENS0_5tupleIJS8_S9_EEENSB_IJS8_SA_EEENS0_18inequality_wrapperIZN2at6native12_GLOBAL__N_124unique_dim_cuda_templateImEESt5tupleIJNSF_6TensorESK_SK_EERKSK_lbbbEUlllE0_EEPmJS9_EEE10hipError_tPvRmT3_T4_T5_T6_T7_T9_mT8_P12ihipStream_tbDpT10_ENKUlT_T0_E_clISt17integral_constantIbLb1EES19_IbLb0EEEEDaS15_S16_EUlS15_E_NS1_11comp_targetILNS1_3genE2ELNS1_11target_archE906ELNS1_3gpuE6ELNS1_3repE0EEENS1_30default_config_static_selectorELNS0_4arch9wavefront6targetE0EEEvT1_: ; @_ZN7rocprim17ROCPRIM_400000_NS6detail17trampoline_kernelINS0_14default_configENS1_25partition_config_selectorILNS1_17partition_subalgoE9EllbEEZZNS1_14partition_implILS5_9ELb0ES3_jPlS8_PNS0_10empty_typeENS0_5tupleIJS8_S9_EEENSB_IJS8_SA_EEENS0_18inequality_wrapperIZN2at6native12_GLOBAL__N_124unique_dim_cuda_templateImEESt5tupleIJNSF_6TensorESK_SK_EERKSK_lbbbEUlllE0_EEPmJS9_EEE10hipError_tPvRmT3_T4_T5_T6_T7_T9_mT8_P12ihipStream_tbDpT10_ENKUlT_T0_E_clISt17integral_constantIbLb1EES19_IbLb0EEEEDaS15_S16_EUlS15_E_NS1_11comp_targetILNS1_3genE2ELNS1_11target_archE906ELNS1_3gpuE6ELNS1_3repE0EEENS1_30default_config_static_selectorELNS0_4arch9wavefront6targetE0EEEvT1_
; %bb.0:
	.section	.rodata,"a",@progbits
	.p2align	6, 0x0
	.amdhsa_kernel _ZN7rocprim17ROCPRIM_400000_NS6detail17trampoline_kernelINS0_14default_configENS1_25partition_config_selectorILNS1_17partition_subalgoE9EllbEEZZNS1_14partition_implILS5_9ELb0ES3_jPlS8_PNS0_10empty_typeENS0_5tupleIJS8_S9_EEENSB_IJS8_SA_EEENS0_18inequality_wrapperIZN2at6native12_GLOBAL__N_124unique_dim_cuda_templateImEESt5tupleIJNSF_6TensorESK_SK_EERKSK_lbbbEUlllE0_EEPmJS9_EEE10hipError_tPvRmT3_T4_T5_T6_T7_T9_mT8_P12ihipStream_tbDpT10_ENKUlT_T0_E_clISt17integral_constantIbLb1EES19_IbLb0EEEEDaS15_S16_EUlS15_E_NS1_11comp_targetILNS1_3genE2ELNS1_11target_archE906ELNS1_3gpuE6ELNS1_3repE0EEENS1_30default_config_static_selectorELNS0_4arch9wavefront6targetE0EEEvT1_
		.amdhsa_group_segment_fixed_size 0
		.amdhsa_private_segment_fixed_size 0
		.amdhsa_kernarg_size 120
		.amdhsa_user_sgpr_count 15
		.amdhsa_user_sgpr_dispatch_ptr 0
		.amdhsa_user_sgpr_queue_ptr 0
		.amdhsa_user_sgpr_kernarg_segment_ptr 1
		.amdhsa_user_sgpr_dispatch_id 0
		.amdhsa_user_sgpr_private_segment_size 0
		.amdhsa_wavefront_size32 1
		.amdhsa_uses_dynamic_stack 0
		.amdhsa_enable_private_segment 0
		.amdhsa_system_sgpr_workgroup_id_x 1
		.amdhsa_system_sgpr_workgroup_id_y 0
		.amdhsa_system_sgpr_workgroup_id_z 0
		.amdhsa_system_sgpr_workgroup_info 0
		.amdhsa_system_vgpr_workitem_id 0
		.amdhsa_next_free_vgpr 1
		.amdhsa_next_free_sgpr 1
		.amdhsa_reserve_vcc 0
		.amdhsa_float_round_mode_32 0
		.amdhsa_float_round_mode_16_64 0
		.amdhsa_float_denorm_mode_32 3
		.amdhsa_float_denorm_mode_16_64 3
		.amdhsa_dx10_clamp 1
		.amdhsa_ieee_mode 1
		.amdhsa_fp16_overflow 0
		.amdhsa_workgroup_processor_mode 1
		.amdhsa_memory_ordered 1
		.amdhsa_forward_progress 0
		.amdhsa_shared_vgpr_count 0
		.amdhsa_exception_fp_ieee_invalid_op 0
		.amdhsa_exception_fp_denorm_src 0
		.amdhsa_exception_fp_ieee_div_zero 0
		.amdhsa_exception_fp_ieee_overflow 0
		.amdhsa_exception_fp_ieee_underflow 0
		.amdhsa_exception_fp_ieee_inexact 0
		.amdhsa_exception_int_div_zero 0
	.end_amdhsa_kernel
	.section	.text._ZN7rocprim17ROCPRIM_400000_NS6detail17trampoline_kernelINS0_14default_configENS1_25partition_config_selectorILNS1_17partition_subalgoE9EllbEEZZNS1_14partition_implILS5_9ELb0ES3_jPlS8_PNS0_10empty_typeENS0_5tupleIJS8_S9_EEENSB_IJS8_SA_EEENS0_18inequality_wrapperIZN2at6native12_GLOBAL__N_124unique_dim_cuda_templateImEESt5tupleIJNSF_6TensorESK_SK_EERKSK_lbbbEUlllE0_EEPmJS9_EEE10hipError_tPvRmT3_T4_T5_T6_T7_T9_mT8_P12ihipStream_tbDpT10_ENKUlT_T0_E_clISt17integral_constantIbLb1EES19_IbLb0EEEEDaS15_S16_EUlS15_E_NS1_11comp_targetILNS1_3genE2ELNS1_11target_archE906ELNS1_3gpuE6ELNS1_3repE0EEENS1_30default_config_static_selectorELNS0_4arch9wavefront6targetE0EEEvT1_,"axG",@progbits,_ZN7rocprim17ROCPRIM_400000_NS6detail17trampoline_kernelINS0_14default_configENS1_25partition_config_selectorILNS1_17partition_subalgoE9EllbEEZZNS1_14partition_implILS5_9ELb0ES3_jPlS8_PNS0_10empty_typeENS0_5tupleIJS8_S9_EEENSB_IJS8_SA_EEENS0_18inequality_wrapperIZN2at6native12_GLOBAL__N_124unique_dim_cuda_templateImEESt5tupleIJNSF_6TensorESK_SK_EERKSK_lbbbEUlllE0_EEPmJS9_EEE10hipError_tPvRmT3_T4_T5_T6_T7_T9_mT8_P12ihipStream_tbDpT10_ENKUlT_T0_E_clISt17integral_constantIbLb1EES19_IbLb0EEEEDaS15_S16_EUlS15_E_NS1_11comp_targetILNS1_3genE2ELNS1_11target_archE906ELNS1_3gpuE6ELNS1_3repE0EEENS1_30default_config_static_selectorELNS0_4arch9wavefront6targetE0EEEvT1_,comdat
.Lfunc_end1713:
	.size	_ZN7rocprim17ROCPRIM_400000_NS6detail17trampoline_kernelINS0_14default_configENS1_25partition_config_selectorILNS1_17partition_subalgoE9EllbEEZZNS1_14partition_implILS5_9ELb0ES3_jPlS8_PNS0_10empty_typeENS0_5tupleIJS8_S9_EEENSB_IJS8_SA_EEENS0_18inequality_wrapperIZN2at6native12_GLOBAL__N_124unique_dim_cuda_templateImEESt5tupleIJNSF_6TensorESK_SK_EERKSK_lbbbEUlllE0_EEPmJS9_EEE10hipError_tPvRmT3_T4_T5_T6_T7_T9_mT8_P12ihipStream_tbDpT10_ENKUlT_T0_E_clISt17integral_constantIbLb1EES19_IbLb0EEEEDaS15_S16_EUlS15_E_NS1_11comp_targetILNS1_3genE2ELNS1_11target_archE906ELNS1_3gpuE6ELNS1_3repE0EEENS1_30default_config_static_selectorELNS0_4arch9wavefront6targetE0EEEvT1_, .Lfunc_end1713-_ZN7rocprim17ROCPRIM_400000_NS6detail17trampoline_kernelINS0_14default_configENS1_25partition_config_selectorILNS1_17partition_subalgoE9EllbEEZZNS1_14partition_implILS5_9ELb0ES3_jPlS8_PNS0_10empty_typeENS0_5tupleIJS8_S9_EEENSB_IJS8_SA_EEENS0_18inequality_wrapperIZN2at6native12_GLOBAL__N_124unique_dim_cuda_templateImEESt5tupleIJNSF_6TensorESK_SK_EERKSK_lbbbEUlllE0_EEPmJS9_EEE10hipError_tPvRmT3_T4_T5_T6_T7_T9_mT8_P12ihipStream_tbDpT10_ENKUlT_T0_E_clISt17integral_constantIbLb1EES19_IbLb0EEEEDaS15_S16_EUlS15_E_NS1_11comp_targetILNS1_3genE2ELNS1_11target_archE906ELNS1_3gpuE6ELNS1_3repE0EEENS1_30default_config_static_selectorELNS0_4arch9wavefront6targetE0EEEvT1_
                                        ; -- End function
	.section	.AMDGPU.csdata,"",@progbits
; Kernel info:
; codeLenInByte = 0
; NumSgprs: 0
; NumVgprs: 0
; ScratchSize: 0
; MemoryBound: 0
; FloatMode: 240
; IeeeMode: 1
; LDSByteSize: 0 bytes/workgroup (compile time only)
; SGPRBlocks: 0
; VGPRBlocks: 0
; NumSGPRsForWavesPerEU: 1
; NumVGPRsForWavesPerEU: 1
; Occupancy: 15
; WaveLimiterHint : 0
; COMPUTE_PGM_RSRC2:SCRATCH_EN: 0
; COMPUTE_PGM_RSRC2:USER_SGPR: 15
; COMPUTE_PGM_RSRC2:TRAP_HANDLER: 0
; COMPUTE_PGM_RSRC2:TGID_X_EN: 1
; COMPUTE_PGM_RSRC2:TGID_Y_EN: 0
; COMPUTE_PGM_RSRC2:TGID_Z_EN: 0
; COMPUTE_PGM_RSRC2:TIDIG_COMP_CNT: 0
	.section	.text._ZN7rocprim17ROCPRIM_400000_NS6detail17trampoline_kernelINS0_14default_configENS1_25partition_config_selectorILNS1_17partition_subalgoE9EllbEEZZNS1_14partition_implILS5_9ELb0ES3_jPlS8_PNS0_10empty_typeENS0_5tupleIJS8_S9_EEENSB_IJS8_SA_EEENS0_18inequality_wrapperIZN2at6native12_GLOBAL__N_124unique_dim_cuda_templateImEESt5tupleIJNSF_6TensorESK_SK_EERKSK_lbbbEUlllE0_EEPmJS9_EEE10hipError_tPvRmT3_T4_T5_T6_T7_T9_mT8_P12ihipStream_tbDpT10_ENKUlT_T0_E_clISt17integral_constantIbLb1EES19_IbLb0EEEEDaS15_S16_EUlS15_E_NS1_11comp_targetILNS1_3genE10ELNS1_11target_archE1200ELNS1_3gpuE4ELNS1_3repE0EEENS1_30default_config_static_selectorELNS0_4arch9wavefront6targetE0EEEvT1_,"axG",@progbits,_ZN7rocprim17ROCPRIM_400000_NS6detail17trampoline_kernelINS0_14default_configENS1_25partition_config_selectorILNS1_17partition_subalgoE9EllbEEZZNS1_14partition_implILS5_9ELb0ES3_jPlS8_PNS0_10empty_typeENS0_5tupleIJS8_S9_EEENSB_IJS8_SA_EEENS0_18inequality_wrapperIZN2at6native12_GLOBAL__N_124unique_dim_cuda_templateImEESt5tupleIJNSF_6TensorESK_SK_EERKSK_lbbbEUlllE0_EEPmJS9_EEE10hipError_tPvRmT3_T4_T5_T6_T7_T9_mT8_P12ihipStream_tbDpT10_ENKUlT_T0_E_clISt17integral_constantIbLb1EES19_IbLb0EEEEDaS15_S16_EUlS15_E_NS1_11comp_targetILNS1_3genE10ELNS1_11target_archE1200ELNS1_3gpuE4ELNS1_3repE0EEENS1_30default_config_static_selectorELNS0_4arch9wavefront6targetE0EEEvT1_,comdat
	.globl	_ZN7rocprim17ROCPRIM_400000_NS6detail17trampoline_kernelINS0_14default_configENS1_25partition_config_selectorILNS1_17partition_subalgoE9EllbEEZZNS1_14partition_implILS5_9ELb0ES3_jPlS8_PNS0_10empty_typeENS0_5tupleIJS8_S9_EEENSB_IJS8_SA_EEENS0_18inequality_wrapperIZN2at6native12_GLOBAL__N_124unique_dim_cuda_templateImEESt5tupleIJNSF_6TensorESK_SK_EERKSK_lbbbEUlllE0_EEPmJS9_EEE10hipError_tPvRmT3_T4_T5_T6_T7_T9_mT8_P12ihipStream_tbDpT10_ENKUlT_T0_E_clISt17integral_constantIbLb1EES19_IbLb0EEEEDaS15_S16_EUlS15_E_NS1_11comp_targetILNS1_3genE10ELNS1_11target_archE1200ELNS1_3gpuE4ELNS1_3repE0EEENS1_30default_config_static_selectorELNS0_4arch9wavefront6targetE0EEEvT1_ ; -- Begin function _ZN7rocprim17ROCPRIM_400000_NS6detail17trampoline_kernelINS0_14default_configENS1_25partition_config_selectorILNS1_17partition_subalgoE9EllbEEZZNS1_14partition_implILS5_9ELb0ES3_jPlS8_PNS0_10empty_typeENS0_5tupleIJS8_S9_EEENSB_IJS8_SA_EEENS0_18inequality_wrapperIZN2at6native12_GLOBAL__N_124unique_dim_cuda_templateImEESt5tupleIJNSF_6TensorESK_SK_EERKSK_lbbbEUlllE0_EEPmJS9_EEE10hipError_tPvRmT3_T4_T5_T6_T7_T9_mT8_P12ihipStream_tbDpT10_ENKUlT_T0_E_clISt17integral_constantIbLb1EES19_IbLb0EEEEDaS15_S16_EUlS15_E_NS1_11comp_targetILNS1_3genE10ELNS1_11target_archE1200ELNS1_3gpuE4ELNS1_3repE0EEENS1_30default_config_static_selectorELNS0_4arch9wavefront6targetE0EEEvT1_
	.p2align	8
	.type	_ZN7rocprim17ROCPRIM_400000_NS6detail17trampoline_kernelINS0_14default_configENS1_25partition_config_selectorILNS1_17partition_subalgoE9EllbEEZZNS1_14partition_implILS5_9ELb0ES3_jPlS8_PNS0_10empty_typeENS0_5tupleIJS8_S9_EEENSB_IJS8_SA_EEENS0_18inequality_wrapperIZN2at6native12_GLOBAL__N_124unique_dim_cuda_templateImEESt5tupleIJNSF_6TensorESK_SK_EERKSK_lbbbEUlllE0_EEPmJS9_EEE10hipError_tPvRmT3_T4_T5_T6_T7_T9_mT8_P12ihipStream_tbDpT10_ENKUlT_T0_E_clISt17integral_constantIbLb1EES19_IbLb0EEEEDaS15_S16_EUlS15_E_NS1_11comp_targetILNS1_3genE10ELNS1_11target_archE1200ELNS1_3gpuE4ELNS1_3repE0EEENS1_30default_config_static_selectorELNS0_4arch9wavefront6targetE0EEEvT1_,@function
_ZN7rocprim17ROCPRIM_400000_NS6detail17trampoline_kernelINS0_14default_configENS1_25partition_config_selectorILNS1_17partition_subalgoE9EllbEEZZNS1_14partition_implILS5_9ELb0ES3_jPlS8_PNS0_10empty_typeENS0_5tupleIJS8_S9_EEENSB_IJS8_SA_EEENS0_18inequality_wrapperIZN2at6native12_GLOBAL__N_124unique_dim_cuda_templateImEESt5tupleIJNSF_6TensorESK_SK_EERKSK_lbbbEUlllE0_EEPmJS9_EEE10hipError_tPvRmT3_T4_T5_T6_T7_T9_mT8_P12ihipStream_tbDpT10_ENKUlT_T0_E_clISt17integral_constantIbLb1EES19_IbLb0EEEEDaS15_S16_EUlS15_E_NS1_11comp_targetILNS1_3genE10ELNS1_11target_archE1200ELNS1_3gpuE4ELNS1_3repE0EEENS1_30default_config_static_selectorELNS0_4arch9wavefront6targetE0EEEvT1_: ; @_ZN7rocprim17ROCPRIM_400000_NS6detail17trampoline_kernelINS0_14default_configENS1_25partition_config_selectorILNS1_17partition_subalgoE9EllbEEZZNS1_14partition_implILS5_9ELb0ES3_jPlS8_PNS0_10empty_typeENS0_5tupleIJS8_S9_EEENSB_IJS8_SA_EEENS0_18inequality_wrapperIZN2at6native12_GLOBAL__N_124unique_dim_cuda_templateImEESt5tupleIJNSF_6TensorESK_SK_EERKSK_lbbbEUlllE0_EEPmJS9_EEE10hipError_tPvRmT3_T4_T5_T6_T7_T9_mT8_P12ihipStream_tbDpT10_ENKUlT_T0_E_clISt17integral_constantIbLb1EES19_IbLb0EEEEDaS15_S16_EUlS15_E_NS1_11comp_targetILNS1_3genE10ELNS1_11target_archE1200ELNS1_3gpuE4ELNS1_3repE0EEENS1_30default_config_static_selectorELNS0_4arch9wavefront6targetE0EEEvT1_
; %bb.0:
	.section	.rodata,"a",@progbits
	.p2align	6, 0x0
	.amdhsa_kernel _ZN7rocprim17ROCPRIM_400000_NS6detail17trampoline_kernelINS0_14default_configENS1_25partition_config_selectorILNS1_17partition_subalgoE9EllbEEZZNS1_14partition_implILS5_9ELb0ES3_jPlS8_PNS0_10empty_typeENS0_5tupleIJS8_S9_EEENSB_IJS8_SA_EEENS0_18inequality_wrapperIZN2at6native12_GLOBAL__N_124unique_dim_cuda_templateImEESt5tupleIJNSF_6TensorESK_SK_EERKSK_lbbbEUlllE0_EEPmJS9_EEE10hipError_tPvRmT3_T4_T5_T6_T7_T9_mT8_P12ihipStream_tbDpT10_ENKUlT_T0_E_clISt17integral_constantIbLb1EES19_IbLb0EEEEDaS15_S16_EUlS15_E_NS1_11comp_targetILNS1_3genE10ELNS1_11target_archE1200ELNS1_3gpuE4ELNS1_3repE0EEENS1_30default_config_static_selectorELNS0_4arch9wavefront6targetE0EEEvT1_
		.amdhsa_group_segment_fixed_size 0
		.amdhsa_private_segment_fixed_size 0
		.amdhsa_kernarg_size 120
		.amdhsa_user_sgpr_count 15
		.amdhsa_user_sgpr_dispatch_ptr 0
		.amdhsa_user_sgpr_queue_ptr 0
		.amdhsa_user_sgpr_kernarg_segment_ptr 1
		.amdhsa_user_sgpr_dispatch_id 0
		.amdhsa_user_sgpr_private_segment_size 0
		.amdhsa_wavefront_size32 1
		.amdhsa_uses_dynamic_stack 0
		.amdhsa_enable_private_segment 0
		.amdhsa_system_sgpr_workgroup_id_x 1
		.amdhsa_system_sgpr_workgroup_id_y 0
		.amdhsa_system_sgpr_workgroup_id_z 0
		.amdhsa_system_sgpr_workgroup_info 0
		.amdhsa_system_vgpr_workitem_id 0
		.amdhsa_next_free_vgpr 1
		.amdhsa_next_free_sgpr 1
		.amdhsa_reserve_vcc 0
		.amdhsa_float_round_mode_32 0
		.amdhsa_float_round_mode_16_64 0
		.amdhsa_float_denorm_mode_32 3
		.amdhsa_float_denorm_mode_16_64 3
		.amdhsa_dx10_clamp 1
		.amdhsa_ieee_mode 1
		.amdhsa_fp16_overflow 0
		.amdhsa_workgroup_processor_mode 1
		.amdhsa_memory_ordered 1
		.amdhsa_forward_progress 0
		.amdhsa_shared_vgpr_count 0
		.amdhsa_exception_fp_ieee_invalid_op 0
		.amdhsa_exception_fp_denorm_src 0
		.amdhsa_exception_fp_ieee_div_zero 0
		.amdhsa_exception_fp_ieee_overflow 0
		.amdhsa_exception_fp_ieee_underflow 0
		.amdhsa_exception_fp_ieee_inexact 0
		.amdhsa_exception_int_div_zero 0
	.end_amdhsa_kernel
	.section	.text._ZN7rocprim17ROCPRIM_400000_NS6detail17trampoline_kernelINS0_14default_configENS1_25partition_config_selectorILNS1_17partition_subalgoE9EllbEEZZNS1_14partition_implILS5_9ELb0ES3_jPlS8_PNS0_10empty_typeENS0_5tupleIJS8_S9_EEENSB_IJS8_SA_EEENS0_18inequality_wrapperIZN2at6native12_GLOBAL__N_124unique_dim_cuda_templateImEESt5tupleIJNSF_6TensorESK_SK_EERKSK_lbbbEUlllE0_EEPmJS9_EEE10hipError_tPvRmT3_T4_T5_T6_T7_T9_mT8_P12ihipStream_tbDpT10_ENKUlT_T0_E_clISt17integral_constantIbLb1EES19_IbLb0EEEEDaS15_S16_EUlS15_E_NS1_11comp_targetILNS1_3genE10ELNS1_11target_archE1200ELNS1_3gpuE4ELNS1_3repE0EEENS1_30default_config_static_selectorELNS0_4arch9wavefront6targetE0EEEvT1_,"axG",@progbits,_ZN7rocprim17ROCPRIM_400000_NS6detail17trampoline_kernelINS0_14default_configENS1_25partition_config_selectorILNS1_17partition_subalgoE9EllbEEZZNS1_14partition_implILS5_9ELb0ES3_jPlS8_PNS0_10empty_typeENS0_5tupleIJS8_S9_EEENSB_IJS8_SA_EEENS0_18inequality_wrapperIZN2at6native12_GLOBAL__N_124unique_dim_cuda_templateImEESt5tupleIJNSF_6TensorESK_SK_EERKSK_lbbbEUlllE0_EEPmJS9_EEE10hipError_tPvRmT3_T4_T5_T6_T7_T9_mT8_P12ihipStream_tbDpT10_ENKUlT_T0_E_clISt17integral_constantIbLb1EES19_IbLb0EEEEDaS15_S16_EUlS15_E_NS1_11comp_targetILNS1_3genE10ELNS1_11target_archE1200ELNS1_3gpuE4ELNS1_3repE0EEENS1_30default_config_static_selectorELNS0_4arch9wavefront6targetE0EEEvT1_,comdat
.Lfunc_end1714:
	.size	_ZN7rocprim17ROCPRIM_400000_NS6detail17trampoline_kernelINS0_14default_configENS1_25partition_config_selectorILNS1_17partition_subalgoE9EllbEEZZNS1_14partition_implILS5_9ELb0ES3_jPlS8_PNS0_10empty_typeENS0_5tupleIJS8_S9_EEENSB_IJS8_SA_EEENS0_18inequality_wrapperIZN2at6native12_GLOBAL__N_124unique_dim_cuda_templateImEESt5tupleIJNSF_6TensorESK_SK_EERKSK_lbbbEUlllE0_EEPmJS9_EEE10hipError_tPvRmT3_T4_T5_T6_T7_T9_mT8_P12ihipStream_tbDpT10_ENKUlT_T0_E_clISt17integral_constantIbLb1EES19_IbLb0EEEEDaS15_S16_EUlS15_E_NS1_11comp_targetILNS1_3genE10ELNS1_11target_archE1200ELNS1_3gpuE4ELNS1_3repE0EEENS1_30default_config_static_selectorELNS0_4arch9wavefront6targetE0EEEvT1_, .Lfunc_end1714-_ZN7rocprim17ROCPRIM_400000_NS6detail17trampoline_kernelINS0_14default_configENS1_25partition_config_selectorILNS1_17partition_subalgoE9EllbEEZZNS1_14partition_implILS5_9ELb0ES3_jPlS8_PNS0_10empty_typeENS0_5tupleIJS8_S9_EEENSB_IJS8_SA_EEENS0_18inequality_wrapperIZN2at6native12_GLOBAL__N_124unique_dim_cuda_templateImEESt5tupleIJNSF_6TensorESK_SK_EERKSK_lbbbEUlllE0_EEPmJS9_EEE10hipError_tPvRmT3_T4_T5_T6_T7_T9_mT8_P12ihipStream_tbDpT10_ENKUlT_T0_E_clISt17integral_constantIbLb1EES19_IbLb0EEEEDaS15_S16_EUlS15_E_NS1_11comp_targetILNS1_3genE10ELNS1_11target_archE1200ELNS1_3gpuE4ELNS1_3repE0EEENS1_30default_config_static_selectorELNS0_4arch9wavefront6targetE0EEEvT1_
                                        ; -- End function
	.section	.AMDGPU.csdata,"",@progbits
; Kernel info:
; codeLenInByte = 0
; NumSgprs: 0
; NumVgprs: 0
; ScratchSize: 0
; MemoryBound: 0
; FloatMode: 240
; IeeeMode: 1
; LDSByteSize: 0 bytes/workgroup (compile time only)
; SGPRBlocks: 0
; VGPRBlocks: 0
; NumSGPRsForWavesPerEU: 1
; NumVGPRsForWavesPerEU: 1
; Occupancy: 15
; WaveLimiterHint : 0
; COMPUTE_PGM_RSRC2:SCRATCH_EN: 0
; COMPUTE_PGM_RSRC2:USER_SGPR: 15
; COMPUTE_PGM_RSRC2:TRAP_HANDLER: 0
; COMPUTE_PGM_RSRC2:TGID_X_EN: 1
; COMPUTE_PGM_RSRC2:TGID_Y_EN: 0
; COMPUTE_PGM_RSRC2:TGID_Z_EN: 0
; COMPUTE_PGM_RSRC2:TIDIG_COMP_CNT: 0
	.section	.text._ZN7rocprim17ROCPRIM_400000_NS6detail17trampoline_kernelINS0_14default_configENS1_25partition_config_selectorILNS1_17partition_subalgoE9EllbEEZZNS1_14partition_implILS5_9ELb0ES3_jPlS8_PNS0_10empty_typeENS0_5tupleIJS8_S9_EEENSB_IJS8_SA_EEENS0_18inequality_wrapperIZN2at6native12_GLOBAL__N_124unique_dim_cuda_templateImEESt5tupleIJNSF_6TensorESK_SK_EERKSK_lbbbEUlllE0_EEPmJS9_EEE10hipError_tPvRmT3_T4_T5_T6_T7_T9_mT8_P12ihipStream_tbDpT10_ENKUlT_T0_E_clISt17integral_constantIbLb1EES19_IbLb0EEEEDaS15_S16_EUlS15_E_NS1_11comp_targetILNS1_3genE9ELNS1_11target_archE1100ELNS1_3gpuE3ELNS1_3repE0EEENS1_30default_config_static_selectorELNS0_4arch9wavefront6targetE0EEEvT1_,"axG",@progbits,_ZN7rocprim17ROCPRIM_400000_NS6detail17trampoline_kernelINS0_14default_configENS1_25partition_config_selectorILNS1_17partition_subalgoE9EllbEEZZNS1_14partition_implILS5_9ELb0ES3_jPlS8_PNS0_10empty_typeENS0_5tupleIJS8_S9_EEENSB_IJS8_SA_EEENS0_18inequality_wrapperIZN2at6native12_GLOBAL__N_124unique_dim_cuda_templateImEESt5tupleIJNSF_6TensorESK_SK_EERKSK_lbbbEUlllE0_EEPmJS9_EEE10hipError_tPvRmT3_T4_T5_T6_T7_T9_mT8_P12ihipStream_tbDpT10_ENKUlT_T0_E_clISt17integral_constantIbLb1EES19_IbLb0EEEEDaS15_S16_EUlS15_E_NS1_11comp_targetILNS1_3genE9ELNS1_11target_archE1100ELNS1_3gpuE3ELNS1_3repE0EEENS1_30default_config_static_selectorELNS0_4arch9wavefront6targetE0EEEvT1_,comdat
	.globl	_ZN7rocprim17ROCPRIM_400000_NS6detail17trampoline_kernelINS0_14default_configENS1_25partition_config_selectorILNS1_17partition_subalgoE9EllbEEZZNS1_14partition_implILS5_9ELb0ES3_jPlS8_PNS0_10empty_typeENS0_5tupleIJS8_S9_EEENSB_IJS8_SA_EEENS0_18inequality_wrapperIZN2at6native12_GLOBAL__N_124unique_dim_cuda_templateImEESt5tupleIJNSF_6TensorESK_SK_EERKSK_lbbbEUlllE0_EEPmJS9_EEE10hipError_tPvRmT3_T4_T5_T6_T7_T9_mT8_P12ihipStream_tbDpT10_ENKUlT_T0_E_clISt17integral_constantIbLb1EES19_IbLb0EEEEDaS15_S16_EUlS15_E_NS1_11comp_targetILNS1_3genE9ELNS1_11target_archE1100ELNS1_3gpuE3ELNS1_3repE0EEENS1_30default_config_static_selectorELNS0_4arch9wavefront6targetE0EEEvT1_ ; -- Begin function _ZN7rocprim17ROCPRIM_400000_NS6detail17trampoline_kernelINS0_14default_configENS1_25partition_config_selectorILNS1_17partition_subalgoE9EllbEEZZNS1_14partition_implILS5_9ELb0ES3_jPlS8_PNS0_10empty_typeENS0_5tupleIJS8_S9_EEENSB_IJS8_SA_EEENS0_18inequality_wrapperIZN2at6native12_GLOBAL__N_124unique_dim_cuda_templateImEESt5tupleIJNSF_6TensorESK_SK_EERKSK_lbbbEUlllE0_EEPmJS9_EEE10hipError_tPvRmT3_T4_T5_T6_T7_T9_mT8_P12ihipStream_tbDpT10_ENKUlT_T0_E_clISt17integral_constantIbLb1EES19_IbLb0EEEEDaS15_S16_EUlS15_E_NS1_11comp_targetILNS1_3genE9ELNS1_11target_archE1100ELNS1_3gpuE3ELNS1_3repE0EEENS1_30default_config_static_selectorELNS0_4arch9wavefront6targetE0EEEvT1_
	.p2align	8
	.type	_ZN7rocprim17ROCPRIM_400000_NS6detail17trampoline_kernelINS0_14default_configENS1_25partition_config_selectorILNS1_17partition_subalgoE9EllbEEZZNS1_14partition_implILS5_9ELb0ES3_jPlS8_PNS0_10empty_typeENS0_5tupleIJS8_S9_EEENSB_IJS8_SA_EEENS0_18inequality_wrapperIZN2at6native12_GLOBAL__N_124unique_dim_cuda_templateImEESt5tupleIJNSF_6TensorESK_SK_EERKSK_lbbbEUlllE0_EEPmJS9_EEE10hipError_tPvRmT3_T4_T5_T6_T7_T9_mT8_P12ihipStream_tbDpT10_ENKUlT_T0_E_clISt17integral_constantIbLb1EES19_IbLb0EEEEDaS15_S16_EUlS15_E_NS1_11comp_targetILNS1_3genE9ELNS1_11target_archE1100ELNS1_3gpuE3ELNS1_3repE0EEENS1_30default_config_static_selectorELNS0_4arch9wavefront6targetE0EEEvT1_,@function
_ZN7rocprim17ROCPRIM_400000_NS6detail17trampoline_kernelINS0_14default_configENS1_25partition_config_selectorILNS1_17partition_subalgoE9EllbEEZZNS1_14partition_implILS5_9ELb0ES3_jPlS8_PNS0_10empty_typeENS0_5tupleIJS8_S9_EEENSB_IJS8_SA_EEENS0_18inequality_wrapperIZN2at6native12_GLOBAL__N_124unique_dim_cuda_templateImEESt5tupleIJNSF_6TensorESK_SK_EERKSK_lbbbEUlllE0_EEPmJS9_EEE10hipError_tPvRmT3_T4_T5_T6_T7_T9_mT8_P12ihipStream_tbDpT10_ENKUlT_T0_E_clISt17integral_constantIbLb1EES19_IbLb0EEEEDaS15_S16_EUlS15_E_NS1_11comp_targetILNS1_3genE9ELNS1_11target_archE1100ELNS1_3gpuE3ELNS1_3repE0EEENS1_30default_config_static_selectorELNS0_4arch9wavefront6targetE0EEEvT1_: ; @_ZN7rocprim17ROCPRIM_400000_NS6detail17trampoline_kernelINS0_14default_configENS1_25partition_config_selectorILNS1_17partition_subalgoE9EllbEEZZNS1_14partition_implILS5_9ELb0ES3_jPlS8_PNS0_10empty_typeENS0_5tupleIJS8_S9_EEENSB_IJS8_SA_EEENS0_18inequality_wrapperIZN2at6native12_GLOBAL__N_124unique_dim_cuda_templateImEESt5tupleIJNSF_6TensorESK_SK_EERKSK_lbbbEUlllE0_EEPmJS9_EEE10hipError_tPvRmT3_T4_T5_T6_T7_T9_mT8_P12ihipStream_tbDpT10_ENKUlT_T0_E_clISt17integral_constantIbLb1EES19_IbLb0EEEEDaS15_S16_EUlS15_E_NS1_11comp_targetILNS1_3genE9ELNS1_11target_archE1100ELNS1_3gpuE3ELNS1_3repE0EEENS1_30default_config_static_selectorELNS0_4arch9wavefront6targetE0EEEvT1_
; %bb.0:
	s_clause 0x3
	s_load_b128 s[4:7], s[0:1], 0x8
	s_load_b32 s8, s[0:1], 0x70
	s_load_b256 s[16:23], s[0:1], 0x40
	s_load_b64 s[24:25], s[0:1], 0x18
	s_mov_b32 s3, 0
	v_lshlrev_b32_e32 v55, 3, v0
	v_lshrrev_b32_e32 v33, 2, v0
	v_or_b32_e32 v38, 0x200, v0
	v_or_b32_e32 v36, 0x400, v0
	;; [unrolled: 1-line block ×7, first 2 shown]
	s_waitcnt lgkmcnt(0)
	s_lshl_b64 s[26:27], s[6:7], 3
	s_delay_alu instid0(SALU_CYCLE_1)
	s_add_u32 s9, s4, s26
	s_addc_u32 s10, s5, s27
	s_add_i32 s11, s8, -1
	s_load_b64 s[12:13], s[18:19], 0x0
	s_lshl_b32 s4, s11, 12
	s_lshl_b32 s5, s8, 12
	s_add_i32 s4, s6, s4
	s_lshl_b32 s2, s15, 12
	s_sub_i32 s28, s20, s4
	s_add_u32 s4, s6, s5
	s_addc_u32 s5, s7, 0
	s_cmp_eq_u32 s15, s11
	v_cmp_ge_u64_e64 s4, s[4:5], s[20:21]
	s_cselect_b32 s14, -1, 0
	s_lshl_b64 s[18:19], s[2:3], 3
	s_mov_b32 s3, -1
	s_delay_alu instid0(VALU_DEP_1) | instskip(NEXT) | instid1(SALU_CYCLE_1)
	s_and_b32 s21, s14, s4
	s_xor_b32 s20, s21, -1
	s_add_u32 s4, s9, s18
	s_addc_u32 s5, s10, s19
	s_and_b32 vcc_lo, exec_lo, s20
	s_cbranch_vccz .LBB1715_2
; %bb.1:
	v_add_co_u32 v9, s2, s4, v55
	s_delay_alu instid0(VALU_DEP_1)
	v_add_co_ci_u32_e64 v10, null, s5, 0, s2
	global_load_b64 v[1:2], v55, s[4:5]
	v_add_co_u32 v3, vcc_lo, v9, 0x2000
	v_add_co_ci_u32_e32 v4, vcc_lo, 0, v10, vcc_lo
	v_add_co_u32 v5, vcc_lo, v9, 0x4000
	v_add_co_ci_u32_e32 v6, vcc_lo, 0, v10, vcc_lo
	;; [unrolled: 2-line block ×4, first 2 shown]
	s_clause 0x6
	global_load_b64 v[11:12], v[3:4], off offset:-4096
	global_load_b64 v[3:4], v[3:4], off
	global_load_b64 v[13:14], v[5:6], off offset:-4096
	global_load_b64 v[5:6], v[5:6], off
	;; [unrolled: 2-line block ×3, first 2 shown]
	global_load_b64 v[9:10], v[9:10], off
	v_lshrrev_b32_e32 v18, 2, v38
	v_lshrrev_b32_e32 v19, 2, v36
	;; [unrolled: 1-line block ×4, first 2 shown]
	v_and_b32_e32 v17, 0x78, v33
	v_lshrrev_b32_e32 v22, 2, v37
	v_lshrrev_b32_e32 v23, 2, v34
	;; [unrolled: 1-line block ×3, first 2 shown]
	v_and_b32_e32 v18, 0xf8, v18
	v_and_b32_e32 v19, 0x178, v19
	;; [unrolled: 1-line block ×4, first 2 shown]
	v_add_nc_u32_e32 v17, v17, v55
	v_and_b32_e32 v22, 0x2f8, v22
	v_and_b32_e32 v23, 0x378, v23
	;; [unrolled: 1-line block ×3, first 2 shown]
	v_add_nc_u32_e32 v18, v18, v55
	v_add_nc_u32_e32 v19, v19, v55
	;; [unrolled: 1-line block ×4, first 2 shown]
	s_mov_b32 s3, 0
	v_add_nc_u32_e32 v22, v22, v55
	v_add_nc_u32_e32 v23, v23, v55
	;; [unrolled: 1-line block ×3, first 2 shown]
	s_waitcnt vmcnt(7)
	ds_store_b64 v17, v[1:2]
	s_waitcnt vmcnt(6)
	ds_store_b64 v18, v[11:12] offset:4096
	s_waitcnt vmcnt(5)
	ds_store_b64 v19, v[3:4] offset:8192
	;; [unrolled: 2-line block ×7, first 2 shown]
	s_waitcnt lgkmcnt(0)
	s_barrier
.LBB1715_2:
	s_load_b128 s[8:11], s[0:1], 0x60
	v_cmp_gt_u32_e64 s2, s28, v0
	s_and_not1_b32 vcc_lo, exec_lo, s3
	s_cbranch_vccnz .LBB1715_20
; %bb.3:
                                        ; implicit-def: $vgpr1_vgpr2_vgpr3_vgpr4_vgpr5_vgpr6_vgpr7_vgpr8_vgpr9_vgpr10_vgpr11_vgpr12_vgpr13_vgpr14_vgpr15_vgpr16
	s_delay_alu instid0(VALU_DEP_1)
	s_and_saveexec_b32 s3, s2
	s_cbranch_execz .LBB1715_11
; %bb.4:
	global_load_b64 v[1:2], v55, s[4:5]
	s_or_b32 exec_lo, exec_lo, s3
	s_delay_alu instid0(SALU_CYCLE_1)
	s_mov_b32 s2, exec_lo
	v_cmpx_gt_u32_e64 s28, v38
	s_cbranch_execnz .LBB1715_12
.LBB1715_5:
	s_or_b32 exec_lo, exec_lo, s2
	s_delay_alu instid0(SALU_CYCLE_1)
	s_mov_b32 s2, exec_lo
	v_cmpx_gt_u32_e64 s28, v36
	s_cbranch_execz .LBB1715_13
.LBB1715_6:
	v_lshlrev_b32_e32 v5, 3, v36
	global_load_b64 v[5:6], v5, s[4:5]
	s_or_b32 exec_lo, exec_lo, s2
	s_delay_alu instid0(SALU_CYCLE_1)
	s_mov_b32 s2, exec_lo
	v_cmpx_gt_u32_e64 s28, v40
	s_cbranch_execnz .LBB1715_14
.LBB1715_7:
	s_or_b32 exec_lo, exec_lo, s2
	s_delay_alu instid0(SALU_CYCLE_1)
	s_mov_b32 s2, exec_lo
	v_cmpx_gt_u32_e64 s28, v39
	s_cbranch_execz .LBB1715_15
.LBB1715_8:
	v_lshlrev_b32_e32 v9, 3, v39
	global_load_b64 v[9:10], v9, s[4:5]
	s_or_b32 exec_lo, exec_lo, s2
	s_delay_alu instid0(SALU_CYCLE_1)
	s_mov_b32 s2, exec_lo
	v_cmpx_gt_u32_e64 s28, v37
	s_cbranch_execnz .LBB1715_16
.LBB1715_9:
	s_or_b32 exec_lo, exec_lo, s2
	s_delay_alu instid0(SALU_CYCLE_1)
	s_mov_b32 s2, exec_lo
	v_cmpx_gt_u32_e64 s28, v34
	s_cbranch_execz .LBB1715_17
.LBB1715_10:
	v_lshlrev_b32_e32 v13, 3, v34
	global_load_b64 v[13:14], v13, s[4:5]
	s_or_b32 exec_lo, exec_lo, s2
	s_delay_alu instid0(SALU_CYCLE_1)
	s_mov_b32 s2, exec_lo
	v_cmpx_gt_u32_e64 s28, v35
	s_cbranch_execnz .LBB1715_18
	s_branch .LBB1715_19
.LBB1715_11:
	s_or_b32 exec_lo, exec_lo, s3
	s_delay_alu instid0(SALU_CYCLE_1)
	s_mov_b32 s2, exec_lo
	v_cmpx_gt_u32_e64 s28, v38
	s_cbranch_execz .LBB1715_5
.LBB1715_12:
	v_lshlrev_b32_e32 v3, 3, v38
	global_load_b64 v[3:4], v3, s[4:5]
	s_or_b32 exec_lo, exec_lo, s2
	s_delay_alu instid0(SALU_CYCLE_1)
	s_mov_b32 s2, exec_lo
	v_cmpx_gt_u32_e64 s28, v36
	s_cbranch_execnz .LBB1715_6
.LBB1715_13:
	s_or_b32 exec_lo, exec_lo, s2
	s_delay_alu instid0(SALU_CYCLE_1)
	s_mov_b32 s2, exec_lo
	v_cmpx_gt_u32_e64 s28, v40
	s_cbranch_execz .LBB1715_7
.LBB1715_14:
	v_lshlrev_b32_e32 v7, 3, v40
	global_load_b64 v[7:8], v7, s[4:5]
	s_or_b32 exec_lo, exec_lo, s2
	s_delay_alu instid0(SALU_CYCLE_1)
	s_mov_b32 s2, exec_lo
	v_cmpx_gt_u32_e64 s28, v39
	s_cbranch_execnz .LBB1715_8
.LBB1715_15:
	s_or_b32 exec_lo, exec_lo, s2
	s_delay_alu instid0(SALU_CYCLE_1)
	s_mov_b32 s2, exec_lo
	v_cmpx_gt_u32_e64 s28, v37
	s_cbranch_execz .LBB1715_9
.LBB1715_16:
	v_lshlrev_b32_e32 v11, 3, v37
	global_load_b64 v[11:12], v11, s[4:5]
	s_or_b32 exec_lo, exec_lo, s2
	s_delay_alu instid0(SALU_CYCLE_1)
	s_mov_b32 s2, exec_lo
	v_cmpx_gt_u32_e64 s28, v34
	s_cbranch_execnz .LBB1715_10
.LBB1715_17:
	s_or_b32 exec_lo, exec_lo, s2
	s_delay_alu instid0(SALU_CYCLE_1)
	s_mov_b32 s2, exec_lo
	v_cmpx_gt_u32_e64 s28, v35
	s_cbranch_execz .LBB1715_19
.LBB1715_18:
	v_lshlrev_b32_e32 v15, 3, v35
	global_load_b64 v[15:16], v15, s[4:5]
.LBB1715_19:
	s_or_b32 exec_lo, exec_lo, s2
	v_lshrrev_b32_e32 v17, 2, v38
	v_lshrrev_b32_e32 v18, 2, v36
	;; [unrolled: 1-line block ×4, first 2 shown]
	v_and_b32_e32 v19, 0x78, v33
	v_lshrrev_b32_e32 v22, 2, v37
	v_lshrrev_b32_e32 v23, 2, v34
	;; [unrolled: 1-line block ×3, first 2 shown]
	v_and_b32_e32 v17, 0xf8, v17
	v_and_b32_e32 v18, 0x1f8, v18
	;; [unrolled: 1-line block ×4, first 2 shown]
	v_add_nc_u32_e32 v19, v19, v55
	v_and_b32_e32 v22, 0x3f8, v22
	v_and_b32_e32 v23, 0x3f8, v23
	;; [unrolled: 1-line block ×3, first 2 shown]
	v_add_nc_u32_e32 v17, v17, v55
	v_add_nc_u32_e32 v18, v18, v55
	;; [unrolled: 1-line block ×7, first 2 shown]
	s_waitcnt vmcnt(0)
	ds_store_b64 v19, v[1:2]
	ds_store_b64 v17, v[3:4] offset:4096
	ds_store_b64 v18, v[5:6] offset:8192
	;; [unrolled: 1-line block ×7, first 2 shown]
	s_waitcnt lgkmcnt(0)
	s_barrier
.LBB1715_20:
	v_add_lshl_u32 v41, v33, v55, 3
	s_waitcnt lgkmcnt(0)
	buffer_gl0_inv
	s_add_u32 s2, s24, s26
	s_addc_u32 s3, s25, s27
	s_add_u32 s2, s2, s18
	ds_load_2addr_b64 v[29:32], v41 offset1:1
	ds_load_2addr_b64 v[25:28], v41 offset0:2 offset1:3
	ds_load_2addr_b64 v[21:24], v41 offset0:4 offset1:5
	ds_load_2addr_b64 v[17:20], v41 offset0:6 offset1:7
	s_addc_u32 s3, s3, s19
	s_and_b32 vcc_lo, exec_lo, s20
	s_mov_b32 s18, -1
	s_waitcnt lgkmcnt(0)
	s_barrier
	buffer_gl0_inv
	s_cbranch_vccz .LBB1715_22
; %bb.21:
	v_add_co_u32 v9, s18, s2, v55
	s_delay_alu instid0(VALU_DEP_1)
	v_add_co_ci_u32_e64 v10, null, s3, 0, s18
	global_load_b64 v[1:2], v55, s[2:3]
	v_add_co_u32 v3, vcc_lo, v9, 0x2000
	v_add_co_ci_u32_e32 v4, vcc_lo, 0, v10, vcc_lo
	v_add_co_u32 v5, vcc_lo, v9, 0x4000
	v_add_co_ci_u32_e32 v6, vcc_lo, 0, v10, vcc_lo
	;; [unrolled: 2-line block ×4, first 2 shown]
	s_clause 0x6
	global_load_b64 v[11:12], v[3:4], off offset:-4096
	global_load_b64 v[3:4], v[3:4], off
	global_load_b64 v[13:14], v[5:6], off offset:-4096
	global_load_b64 v[5:6], v[5:6], off
	;; [unrolled: 2-line block ×3, first 2 shown]
	global_load_b64 v[9:10], v[9:10], off
	v_lshrrev_b32_e32 v43, 2, v38
	v_lshrrev_b32_e32 v44, 2, v36
	;; [unrolled: 1-line block ×4, first 2 shown]
	v_and_b32_e32 v42, 0x78, v33
	v_lshrrev_b32_e32 v47, 2, v37
	v_lshrrev_b32_e32 v48, 2, v34
	;; [unrolled: 1-line block ×3, first 2 shown]
	v_and_b32_e32 v43, 0xf8, v43
	v_and_b32_e32 v44, 0x178, v44
	;; [unrolled: 1-line block ×4, first 2 shown]
	v_add_nc_u32_e32 v42, v42, v55
	v_and_b32_e32 v47, 0x2f8, v47
	v_and_b32_e32 v48, 0x378, v48
	;; [unrolled: 1-line block ×3, first 2 shown]
	v_add_nc_u32_e32 v43, v43, v55
	v_add_nc_u32_e32 v44, v44, v55
	;; [unrolled: 1-line block ×4, first 2 shown]
	s_mov_b32 s18, 0
	v_add_nc_u32_e32 v47, v47, v55
	v_add_nc_u32_e32 v48, v48, v55
	;; [unrolled: 1-line block ×3, first 2 shown]
	s_waitcnt vmcnt(7)
	ds_store_b64 v42, v[1:2]
	s_waitcnt vmcnt(6)
	ds_store_b64 v43, v[11:12] offset:4096
	s_waitcnt vmcnt(5)
	ds_store_b64 v44, v[3:4] offset:8192
	s_waitcnt vmcnt(4)
	ds_store_b64 v45, v[13:14] offset:12288
	s_waitcnt vmcnt(3)
	ds_store_b64 v46, v[5:6] offset:16384
	s_waitcnt vmcnt(2)
	ds_store_b64 v47, v[15:16] offset:20480
	s_waitcnt vmcnt(1)
	ds_store_b64 v48, v[7:8] offset:24576
	s_waitcnt vmcnt(0)
	ds_store_b64 v49, v[9:10] offset:28672
	s_waitcnt lgkmcnt(0)
	s_barrier
.LBB1715_22:
	s_and_not1_b32 vcc_lo, exec_lo, s18
	s_cbranch_vccnz .LBB1715_40
; %bb.23:
	s_mov_b32 s18, exec_lo
                                        ; implicit-def: $vgpr1_vgpr2
	v_cmpx_gt_u32_e64 s28, v0
	s_cbranch_execz .LBB1715_25
; %bb.24:
	global_load_b64 v[1:2], v55, s[2:3]
.LBB1715_25:
	s_or_b32 exec_lo, exec_lo, s18
	s_delay_alu instid0(SALU_CYCLE_1)
	s_mov_b32 s18, exec_lo
                                        ; implicit-def: $vgpr3_vgpr4
	v_cmpx_gt_u32_e64 s28, v38
	s_cbranch_execz .LBB1715_27
; %bb.26:
	v_lshlrev_b32_e32 v3, 3, v38
	global_load_b64 v[3:4], v3, s[2:3]
.LBB1715_27:
	s_or_b32 exec_lo, exec_lo, s18
	s_delay_alu instid0(SALU_CYCLE_1)
	s_mov_b32 s18, exec_lo
                                        ; implicit-def: $vgpr5_vgpr6
	v_cmpx_gt_u32_e64 s28, v36
	s_cbranch_execz .LBB1715_29
; %bb.28:
	v_lshlrev_b32_e32 v5, 3, v36
	global_load_b64 v[5:6], v5, s[2:3]
.LBB1715_29:
	s_or_b32 exec_lo, exec_lo, s18
	s_delay_alu instid0(SALU_CYCLE_1)
	s_mov_b32 s18, exec_lo
                                        ; implicit-def: $vgpr7_vgpr8
	v_cmpx_gt_u32_e64 s28, v40
	s_cbranch_execz .LBB1715_31
; %bb.30:
	v_lshlrev_b32_e32 v7, 3, v40
	global_load_b64 v[7:8], v7, s[2:3]
.LBB1715_31:
	s_or_b32 exec_lo, exec_lo, s18
	s_delay_alu instid0(SALU_CYCLE_1)
	s_mov_b32 s18, exec_lo
                                        ; implicit-def: $vgpr9_vgpr10
	v_cmpx_gt_u32_e64 s28, v39
	s_cbranch_execz .LBB1715_33
; %bb.32:
	v_lshlrev_b32_e32 v9, 3, v39
	global_load_b64 v[9:10], v9, s[2:3]
.LBB1715_33:
	s_or_b32 exec_lo, exec_lo, s18
	s_delay_alu instid0(SALU_CYCLE_1)
	s_mov_b32 s18, exec_lo
                                        ; implicit-def: $vgpr11_vgpr12
	v_cmpx_gt_u32_e64 s28, v37
	s_cbranch_execz .LBB1715_35
; %bb.34:
	v_lshlrev_b32_e32 v11, 3, v37
	global_load_b64 v[11:12], v11, s[2:3]
.LBB1715_35:
	s_or_b32 exec_lo, exec_lo, s18
	s_delay_alu instid0(SALU_CYCLE_1)
	s_mov_b32 s18, exec_lo
                                        ; implicit-def: $vgpr13_vgpr14
	v_cmpx_gt_u32_e64 s28, v34
	s_cbranch_execz .LBB1715_37
; %bb.36:
	v_lshlrev_b32_e32 v13, 3, v34
	global_load_b64 v[13:14], v13, s[2:3]
.LBB1715_37:
	s_or_b32 exec_lo, exec_lo, s18
	s_delay_alu instid0(SALU_CYCLE_1)
	s_mov_b32 s18, exec_lo
                                        ; implicit-def: $vgpr15_vgpr16
	v_cmpx_gt_u32_e64 s28, v35
	s_cbranch_execz .LBB1715_39
; %bb.38:
	v_lshlrev_b32_e32 v15, 3, v35
	global_load_b64 v[15:16], v15, s[2:3]
.LBB1715_39:
	s_or_b32 exec_lo, exec_lo, s18
	v_lshrrev_b32_e32 v38, 2, v38
	v_lshrrev_b32_e32 v36, 2, v36
	;; [unrolled: 1-line block ×4, first 2 shown]
	v_and_b32_e32 v33, 0x78, v33
	v_lshrrev_b32_e32 v37, 2, v37
	v_lshrrev_b32_e32 v34, 2, v34
	v_lshrrev_b32_e32 v35, 2, v35
	v_and_b32_e32 v38, 0xf8, v38
	v_and_b32_e32 v36, 0x1f8, v36
	;; [unrolled: 1-line block ×4, first 2 shown]
	v_add_nc_u32_e32 v33, v33, v55
	v_and_b32_e32 v37, 0x3f8, v37
	v_and_b32_e32 v34, 0x3f8, v34
	;; [unrolled: 1-line block ×3, first 2 shown]
	v_add_nc_u32_e32 v38, v38, v55
	v_add_nc_u32_e32 v36, v36, v55
	;; [unrolled: 1-line block ×7, first 2 shown]
	s_waitcnt vmcnt(0)
	ds_store_b64 v33, v[1:2]
	ds_store_b64 v38, v[3:4] offset:4096
	ds_store_b64 v36, v[5:6] offset:8192
	;; [unrolled: 1-line block ×7, first 2 shown]
	s_waitcnt lgkmcnt(0)
	s_barrier
.LBB1715_40:
	buffer_gl0_inv
	ds_load_2addr_b64 v[13:16], v41 offset1:1
	ds_load_2addr_b64 v[9:12], v41 offset0:2 offset1:3
	ds_load_2addr_b64 v[5:8], v41 offset0:4 offset1:5
	;; [unrolled: 1-line block ×3, first 2 shown]
	s_cmp_lg_u32 s15, 0
	v_cmp_gt_i64_e64 s25, s[22:23], 0
	s_cselect_b32 s24, -1, 0
	s_cmp_lg_u64 s[6:7], 0
	s_mov_b32 s3, 0
	s_cselect_b32 s2, -1, 0
	s_waitcnt lgkmcnt(0)
	s_or_b32 s2, s24, s2
	s_barrier
	s_and_b32 vcc_lo, exec_lo, s2
	buffer_gl0_inv
	s_cbranch_vccz .LBB1715_49
; %bb.41:
	s_add_u32 s2, s4, -8
	s_addc_u32 s3, s5, -1
	v_cndmask_b32_e64 v41, 0, 1, s25
	s_load_b64 s[4:5], s[2:3], 0x0
	s_and_b32 vcc_lo, exec_lo, s20
	ds_store_b64 v55, v[19:20]
	v_cmp_ne_u32_e64 s2, 1, v41
	s_cbranch_vccz .LBB1715_50
; %bb.42:
	v_mul_lo_u32 v35, v18, s22
	v_mul_lo_u32 v36, v17, s23
	v_mad_u64_u32 v[33:34], null, v17, s22, 0
	s_mov_b32 s3, 0
	s_and_b32 vcc_lo, exec_lo, s2
	s_mov_b32 s26, 0
	s_delay_alu instid0(VALU_DEP_1) | instskip(NEXT) | instid1(VALU_DEP_1)
	v_add3_u32 v34, v34, v36, v35
	v_lshlrev_b64 v[33:34], 3, v[33:34]
	s_cbranch_vccnz .LBB1715_53
; %bb.43:
	v_mul_lo_u32 v37, v20, s22
	v_mul_lo_u32 v38, v19, s23
	v_mad_u64_u32 v[35:36], null, v19, s22, 0
	s_mov_b32 s26, -1
	s_mov_b32 s27, exec_lo
	s_delay_alu instid0(VALU_DEP_1) | instskip(SKIP_2) | instid1(VALU_DEP_3)
	v_add3_u32 v36, v36, v38, v37
	v_add_co_u32 v37, vcc_lo, s8, v33
	v_add_co_ci_u32_e32 v38, vcc_lo, s9, v34, vcc_lo
	v_lshlrev_b64 v[35:36], 3, v[35:36]
	s_delay_alu instid0(VALU_DEP_1) | instskip(NEXT) | instid1(VALU_DEP_2)
	v_add_co_u32 v35, vcc_lo, s8, v35
	v_add_co_ci_u32_e32 v36, vcc_lo, s9, v36, vcc_lo
	s_clause 0x1
	global_load_b64 v[39:40], v[37:38], off
	global_load_b64 v[42:43], v[35:36], off
	s_waitcnt vmcnt(0)
	v_cmpx_eq_u64_e64 v[39:40], v[42:43]
	s_cbranch_execz .LBB1715_52
; %bb.44:
	v_add_co_u32 v35, vcc_lo, v35, 8
	v_add_co_ci_u32_e32 v36, vcc_lo, 0, v36, vcc_lo
	v_add_co_u32 v37, vcc_lo, v37, 8
	v_add_co_ci_u32_e32 v38, vcc_lo, 0, v38, vcc_lo
	s_add_u32 s6, s22, -1
	s_addc_u32 s7, s23, -1
	s_mov_b64 s[18:19], 0
	s_mov_b32 s26, 0
                                        ; implicit-def: $sgpr29
	s_set_inst_prefetch_distance 0x1
	s_branch .LBB1715_47
	.p2align	6
.LBB1715_45:                            ;   in Loop: Header=BB1715_47 Depth=1
	global_load_b64 v[39:40], v[37:38], off
	global_load_b64 v[42:43], v[35:36], off
	v_add_co_u32 v35, vcc_lo, v35, 8
	v_add_co_ci_u32_e32 v36, vcc_lo, 0, v36, vcc_lo
	v_add_co_u32 v37, s2, v37, 8
	s_delay_alu instid0(VALU_DEP_1)
	v_add_co_ci_u32_e64 v38, s2, 0, v38, s2
	s_add_u32 s18, s18, 1
	s_addc_u32 s19, s19, 0
	s_and_not1_b32 s2, s29, exec_lo
	s_waitcnt vmcnt(0)
	v_cmp_ne_u64_e32 vcc_lo, v[39:40], v[42:43]
	s_and_b32 s29, vcc_lo, exec_lo
	s_delay_alu instid0(SALU_CYCLE_1)
	s_or_b32 s29, s2, s29
.LBB1715_46:                            ;   in Loop: Header=BB1715_47 Depth=1
	v_dual_mov_b32 v40, s19 :: v_dual_mov_b32 v39, s18
	s_and_b32 s2, exec_lo, s29
	s_delay_alu instid0(SALU_CYCLE_1) | instskip(NEXT) | instid1(SALU_CYCLE_1)
	s_or_b32 s26, s2, s26
	s_and_not1_b32 exec_lo, exec_lo, s26
	s_cbranch_execz .LBB1715_51
.LBB1715_47:                            ; =>This Inner Loop Header: Depth=1
	s_or_b32 s29, s29, exec_lo
	s_cmp_eq_u64 s[6:7], s[18:19]
	s_cbranch_scc0 .LBB1715_45
; %bb.48:                               ;   in Loop: Header=BB1715_47 Depth=1
	s_mov_b64 s[18:19], s[22:23]
                                        ; implicit-def: $vgpr35_vgpr36
                                        ; implicit-def: $vgpr37_vgpr38
	s_branch .LBB1715_46
.LBB1715_49:
                                        ; implicit-def: $sgpr2
                                        ; implicit-def: $vgpr34
	s_branch .LBB1715_211
.LBB1715_50:
                                        ; implicit-def: $sgpr2
                                        ; implicit-def: $vgpr34
	s_cbranch_execnz .LBB1715_119
	s_branch .LBB1715_210
.LBB1715_51:
	s_set_inst_prefetch_distance 0x2
	s_or_b32 exec_lo, exec_lo, s26
	v_cmp_gt_i64_e32 vcc_lo, s[22:23], v[39:40]
	s_or_not1_b32 s26, vcc_lo, exec_lo
.LBB1715_52:
	s_or_b32 exec_lo, exec_lo, s27
.LBB1715_53:
	v_mul_lo_u32 v37, v24, s22
	v_mul_lo_u32 v38, v23, s23
	v_mad_u64_u32 v[35:36], null, v23, s22, 0
	s_and_not1_b32 vcc_lo, exec_lo, s25
	s_delay_alu instid0(VALU_DEP_1) | instskip(NEXT) | instid1(VALU_DEP_1)
	v_add3_u32 v36, v36, v38, v37
	v_lshlrev_b64 v[35:36], 3, v[35:36]
	s_cbranch_vccnz .LBB1715_62
; %bb.54:
	s_delay_alu instid0(VALU_DEP_1) | instskip(NEXT) | instid1(VALU_DEP_2)
	v_add_co_u32 v37, vcc_lo, s8, v35
	v_add_co_ci_u32_e32 v38, vcc_lo, s9, v36, vcc_lo
	v_add_co_u32 v33, vcc_lo, s8, v33
	v_add_co_ci_u32_e32 v34, vcc_lo, s9, v34, vcc_lo
	s_mov_b32 s3, -1
	s_clause 0x1
	global_load_b64 v[39:40], v[37:38], off
	global_load_b64 v[42:43], v[33:34], off
	s_mov_b32 s27, exec_lo
	s_waitcnt vmcnt(0)
	v_cmpx_eq_u64_e64 v[39:40], v[42:43]
	s_cbranch_execz .LBB1715_61
; %bb.55:
	v_add_co_u32 v33, vcc_lo, v33, 8
	v_add_co_ci_u32_e32 v34, vcc_lo, 0, v34, vcc_lo
	v_add_co_u32 v37, vcc_lo, v37, 8
	v_add_co_ci_u32_e32 v38, vcc_lo, 0, v38, vcc_lo
	s_add_u32 s6, s22, -1
	s_addc_u32 s7, s23, -1
	s_mov_b64 s[18:19], 0
	s_mov_b32 s3, 0
                                        ; implicit-def: $sgpr29
	s_set_inst_prefetch_distance 0x1
	s_branch .LBB1715_58
	.p2align	6
.LBB1715_56:                            ;   in Loop: Header=BB1715_58 Depth=1
	global_load_b64 v[39:40], v[37:38], off
	global_load_b64 v[42:43], v[33:34], off
	v_add_co_u32 v33, vcc_lo, v33, 8
	v_add_co_ci_u32_e32 v34, vcc_lo, 0, v34, vcc_lo
	v_add_co_u32 v37, s2, v37, 8
	s_delay_alu instid0(VALU_DEP_1)
	v_add_co_ci_u32_e64 v38, s2, 0, v38, s2
	s_add_u32 s18, s18, 1
	s_addc_u32 s19, s19, 0
	s_and_not1_b32 s2, s29, exec_lo
	s_waitcnt vmcnt(0)
	v_cmp_ne_u64_e32 vcc_lo, v[39:40], v[42:43]
	s_and_b32 s29, vcc_lo, exec_lo
	s_delay_alu instid0(SALU_CYCLE_1)
	s_or_b32 s29, s2, s29
.LBB1715_57:                            ;   in Loop: Header=BB1715_58 Depth=1
	v_dual_mov_b32 v40, s19 :: v_dual_mov_b32 v39, s18
	s_and_b32 s2, exec_lo, s29
	s_delay_alu instid0(SALU_CYCLE_1) | instskip(NEXT) | instid1(SALU_CYCLE_1)
	s_or_b32 s3, s2, s3
	s_and_not1_b32 exec_lo, exec_lo, s3
	s_cbranch_execz .LBB1715_60
.LBB1715_58:                            ; =>This Inner Loop Header: Depth=1
	s_or_b32 s29, s29, exec_lo
	s_cmp_eq_u64 s[6:7], s[18:19]
	s_cbranch_scc0 .LBB1715_56
; %bb.59:                               ;   in Loop: Header=BB1715_58 Depth=1
	s_mov_b64 s[18:19], s[22:23]
                                        ; implicit-def: $vgpr33_vgpr34
                                        ; implicit-def: $vgpr37_vgpr38
	s_branch .LBB1715_57
.LBB1715_60:
	s_set_inst_prefetch_distance 0x2
	s_or_b32 exec_lo, exec_lo, s3
	v_cmp_gt_i64_e32 vcc_lo, s[22:23], v[39:40]
	s_or_not1_b32 s3, vcc_lo, exec_lo
.LBB1715_61:
	s_or_b32 exec_lo, exec_lo, s27
.LBB1715_62:
	v_mul_lo_u32 v37, v22, s22
	v_mul_lo_u32 v38, v21, s23
	v_mad_u64_u32 v[33:34], null, v21, s22, 0
	s_mov_b32 s27, 0
	s_and_not1_b32 vcc_lo, exec_lo, s25
	s_mov_b32 s29, 0
	s_delay_alu instid0(VALU_DEP_1) | instskip(NEXT) | instid1(VALU_DEP_1)
	v_add3_u32 v34, v34, v38, v37
	v_lshlrev_b64 v[37:38], 3, v[33:34]
	s_cbranch_vccnz .LBB1715_71
; %bb.63:
	s_delay_alu instid0(VALU_DEP_1) | instskip(NEXT) | instid1(VALU_DEP_2)
	v_add_co_u32 v39, vcc_lo, s8, v37
	v_add_co_ci_u32_e32 v40, vcc_lo, s9, v38, vcc_lo
	v_add_co_u32 v33, vcc_lo, s8, v35
	v_add_co_ci_u32_e32 v34, vcc_lo, s9, v36, vcc_lo
	s_mov_b32 s29, -1
	s_clause 0x1
	global_load_b64 v[35:36], v[39:40], off
	global_load_b64 v[42:43], v[33:34], off
	s_mov_b32 s30, exec_lo
	s_waitcnt vmcnt(0)
	v_cmpx_eq_u64_e64 v[35:36], v[42:43]
	s_cbranch_execz .LBB1715_70
; %bb.64:
	v_add_co_u32 v33, vcc_lo, v33, 8
	v_add_co_ci_u32_e32 v34, vcc_lo, 0, v34, vcc_lo
	v_add_co_u32 v35, vcc_lo, v39, 8
	v_add_co_ci_u32_e32 v36, vcc_lo, 0, v40, vcc_lo
	s_add_u32 s6, s22, -1
	s_addc_u32 s7, s23, -1
	s_mov_b64 s[18:19], 0
	s_mov_b32 s29, 0
                                        ; implicit-def: $sgpr31
	s_set_inst_prefetch_distance 0x1
	s_branch .LBB1715_67
	.p2align	6
.LBB1715_65:                            ;   in Loop: Header=BB1715_67 Depth=1
	global_load_b64 v[39:40], v[35:36], off
	global_load_b64 v[42:43], v[33:34], off
	v_add_co_u32 v33, vcc_lo, v33, 8
	v_add_co_ci_u32_e32 v34, vcc_lo, 0, v34, vcc_lo
	v_add_co_u32 v35, s2, v35, 8
	s_delay_alu instid0(VALU_DEP_1)
	v_add_co_ci_u32_e64 v36, s2, 0, v36, s2
	s_add_u32 s18, s18, 1
	s_addc_u32 s19, s19, 0
	s_and_not1_b32 s2, s31, exec_lo
	s_waitcnt vmcnt(0)
	v_cmp_ne_u64_e32 vcc_lo, v[39:40], v[42:43]
	s_and_b32 s31, vcc_lo, exec_lo
	s_delay_alu instid0(SALU_CYCLE_1)
	s_or_b32 s31, s2, s31
.LBB1715_66:                            ;   in Loop: Header=BB1715_67 Depth=1
	v_dual_mov_b32 v40, s19 :: v_dual_mov_b32 v39, s18
	s_and_b32 s2, exec_lo, s31
	s_delay_alu instid0(SALU_CYCLE_1) | instskip(NEXT) | instid1(SALU_CYCLE_1)
	s_or_b32 s29, s2, s29
	s_and_not1_b32 exec_lo, exec_lo, s29
	s_cbranch_execz .LBB1715_69
.LBB1715_67:                            ; =>This Inner Loop Header: Depth=1
	s_or_b32 s31, s31, exec_lo
	s_cmp_eq_u64 s[6:7], s[18:19]
	s_cbranch_scc0 .LBB1715_65
; %bb.68:                               ;   in Loop: Header=BB1715_67 Depth=1
	s_mov_b64 s[18:19], s[22:23]
                                        ; implicit-def: $vgpr33_vgpr34
                                        ; implicit-def: $vgpr35_vgpr36
	s_branch .LBB1715_66
.LBB1715_69:
	s_set_inst_prefetch_distance 0x2
	s_or_b32 exec_lo, exec_lo, s29
	v_cmp_gt_i64_e32 vcc_lo, s[22:23], v[39:40]
	s_or_not1_b32 s29, vcc_lo, exec_lo
.LBB1715_70:
	s_or_b32 exec_lo, exec_lo, s30
.LBB1715_71:
	v_mul_lo_u32 v35, v28, s22
	v_mul_lo_u32 v36, v27, s23
	v_mad_u64_u32 v[33:34], null, v27, s22, 0
	s_and_not1_b32 vcc_lo, exec_lo, s25
	s_delay_alu instid0(VALU_DEP_1) | instskip(NEXT) | instid1(VALU_DEP_1)
	v_add3_u32 v34, v34, v36, v35
	v_lshlrev_b64 v[33:34], 3, v[33:34]
	s_cbranch_vccnz .LBB1715_80
; %bb.72:
	s_delay_alu instid0(VALU_DEP_1) | instskip(NEXT) | instid1(VALU_DEP_2)
	v_add_co_u32 v39, vcc_lo, s8, v33
	v_add_co_ci_u32_e32 v40, vcc_lo, s9, v34, vcc_lo
	v_add_co_u32 v35, vcc_lo, s8, v37
	v_add_co_ci_u32_e32 v36, vcc_lo, s9, v38, vcc_lo
	s_mov_b32 s27, -1
	s_clause 0x1
	global_load_b64 v[37:38], v[39:40], off
	global_load_b64 v[42:43], v[35:36], off
	s_mov_b32 s30, exec_lo
	s_waitcnt vmcnt(0)
	v_cmpx_eq_u64_e64 v[37:38], v[42:43]
	s_cbranch_execz .LBB1715_79
; %bb.73:
	v_add_co_u32 v35, vcc_lo, v35, 8
	v_add_co_ci_u32_e32 v36, vcc_lo, 0, v36, vcc_lo
	v_add_co_u32 v37, vcc_lo, v39, 8
	v_add_co_ci_u32_e32 v38, vcc_lo, 0, v40, vcc_lo
	s_add_u32 s6, s22, -1
	s_addc_u32 s7, s23, -1
	s_mov_b64 s[18:19], 0
	s_mov_b32 s27, 0
                                        ; implicit-def: $sgpr31
	s_set_inst_prefetch_distance 0x1
	s_branch .LBB1715_76
	.p2align	6
.LBB1715_74:                            ;   in Loop: Header=BB1715_76 Depth=1
	global_load_b64 v[39:40], v[37:38], off
	global_load_b64 v[42:43], v[35:36], off
	v_add_co_u32 v35, vcc_lo, v35, 8
	v_add_co_ci_u32_e32 v36, vcc_lo, 0, v36, vcc_lo
	v_add_co_u32 v37, s2, v37, 8
	s_delay_alu instid0(VALU_DEP_1)
	v_add_co_ci_u32_e64 v38, s2, 0, v38, s2
	s_add_u32 s18, s18, 1
	s_addc_u32 s19, s19, 0
	s_and_not1_b32 s2, s31, exec_lo
	s_waitcnt vmcnt(0)
	v_cmp_ne_u64_e32 vcc_lo, v[39:40], v[42:43]
	s_and_b32 s31, vcc_lo, exec_lo
	s_delay_alu instid0(SALU_CYCLE_1)
	s_or_b32 s31, s2, s31
.LBB1715_75:                            ;   in Loop: Header=BB1715_76 Depth=1
	v_dual_mov_b32 v40, s19 :: v_dual_mov_b32 v39, s18
	s_and_b32 s2, exec_lo, s31
	s_delay_alu instid0(SALU_CYCLE_1) | instskip(NEXT) | instid1(SALU_CYCLE_1)
	s_or_b32 s27, s2, s27
	s_and_not1_b32 exec_lo, exec_lo, s27
	s_cbranch_execz .LBB1715_78
.LBB1715_76:                            ; =>This Inner Loop Header: Depth=1
	s_or_b32 s31, s31, exec_lo
	s_cmp_eq_u64 s[6:7], s[18:19]
	s_cbranch_scc0 .LBB1715_74
; %bb.77:                               ;   in Loop: Header=BB1715_76 Depth=1
	s_mov_b64 s[18:19], s[22:23]
                                        ; implicit-def: $vgpr35_vgpr36
                                        ; implicit-def: $vgpr37_vgpr38
	s_branch .LBB1715_75
.LBB1715_78:
	s_set_inst_prefetch_distance 0x2
	s_or_b32 exec_lo, exec_lo, s27
	v_cmp_gt_i64_e32 vcc_lo, s[22:23], v[39:40]
	s_or_not1_b32 s27, vcc_lo, exec_lo
.LBB1715_79:
	s_or_b32 exec_lo, exec_lo, s30
.LBB1715_80:
	v_mul_lo_u32 v37, v26, s22
	v_mul_lo_u32 v38, v25, s23
	v_mad_u64_u32 v[35:36], null, v25, s22, 0
	s_mov_b32 s30, 0
	s_and_not1_b32 vcc_lo, exec_lo, s25
	s_mov_b32 s31, 0
	s_delay_alu instid0(VALU_DEP_1) | instskip(NEXT) | instid1(VALU_DEP_1)
	v_add3_u32 v36, v36, v38, v37
	v_lshlrev_b64 v[37:38], 3, v[35:36]
	s_cbranch_vccnz .LBB1715_89
; %bb.81:
	s_delay_alu instid0(VALU_DEP_1) | instskip(NEXT) | instid1(VALU_DEP_2)
	v_add_co_u32 v35, vcc_lo, s8, v37
	v_add_co_ci_u32_e32 v36, vcc_lo, s9, v38, vcc_lo
	v_add_co_u32 v33, vcc_lo, s8, v33
	v_add_co_ci_u32_e32 v34, vcc_lo, s9, v34, vcc_lo
	s_mov_b32 s31, -1
	s_clause 0x1
	global_load_b64 v[39:40], v[35:36], off
	global_load_b64 v[42:43], v[33:34], off
	s_mov_b32 s33, exec_lo
	s_waitcnt vmcnt(0)
	v_cmpx_eq_u64_e64 v[39:40], v[42:43]
	s_cbranch_execz .LBB1715_88
; %bb.82:
	v_add_co_u32 v33, vcc_lo, v33, 8
	v_add_co_ci_u32_e32 v34, vcc_lo, 0, v34, vcc_lo
	v_add_co_u32 v35, vcc_lo, v35, 8
	v_add_co_ci_u32_e32 v36, vcc_lo, 0, v36, vcc_lo
	s_add_u32 s6, s22, -1
	s_addc_u32 s7, s23, -1
	s_mov_b64 s[18:19], 0
	s_mov_b32 s31, 0
                                        ; implicit-def: $sgpr34
	s_set_inst_prefetch_distance 0x1
	s_branch .LBB1715_85
	.p2align	6
.LBB1715_83:                            ;   in Loop: Header=BB1715_85 Depth=1
	global_load_b64 v[39:40], v[35:36], off
	global_load_b64 v[42:43], v[33:34], off
	v_add_co_u32 v33, vcc_lo, v33, 8
	v_add_co_ci_u32_e32 v34, vcc_lo, 0, v34, vcc_lo
	v_add_co_u32 v35, s2, v35, 8
	s_delay_alu instid0(VALU_DEP_1)
	v_add_co_ci_u32_e64 v36, s2, 0, v36, s2
	s_add_u32 s18, s18, 1
	s_addc_u32 s19, s19, 0
	s_and_not1_b32 s2, s34, exec_lo
	s_waitcnt vmcnt(0)
	v_cmp_ne_u64_e32 vcc_lo, v[39:40], v[42:43]
	s_and_b32 s34, vcc_lo, exec_lo
	s_delay_alu instid0(SALU_CYCLE_1)
	s_or_b32 s34, s2, s34
.LBB1715_84:                            ;   in Loop: Header=BB1715_85 Depth=1
	v_dual_mov_b32 v40, s19 :: v_dual_mov_b32 v39, s18
	s_and_b32 s2, exec_lo, s34
	s_delay_alu instid0(SALU_CYCLE_1) | instskip(NEXT) | instid1(SALU_CYCLE_1)
	s_or_b32 s31, s2, s31
	s_and_not1_b32 exec_lo, exec_lo, s31
	s_cbranch_execz .LBB1715_87
.LBB1715_85:                            ; =>This Inner Loop Header: Depth=1
	s_or_b32 s34, s34, exec_lo
	s_cmp_eq_u64 s[6:7], s[18:19]
	s_cbranch_scc0 .LBB1715_83
; %bb.86:                               ;   in Loop: Header=BB1715_85 Depth=1
	s_mov_b64 s[18:19], s[22:23]
                                        ; implicit-def: $vgpr33_vgpr34
                                        ; implicit-def: $vgpr35_vgpr36
	s_branch .LBB1715_84
.LBB1715_87:
	s_set_inst_prefetch_distance 0x2
	s_or_b32 exec_lo, exec_lo, s31
	v_cmp_gt_i64_e32 vcc_lo, s[22:23], v[39:40]
	s_or_not1_b32 s31, vcc_lo, exec_lo
.LBB1715_88:
	s_or_b32 exec_lo, exec_lo, s33
.LBB1715_89:
	v_mul_lo_u32 v35, v32, s22
	v_mul_lo_u32 v36, v31, s23
	v_mad_u64_u32 v[33:34], null, v31, s22, 0
	s_and_not1_b32 vcc_lo, exec_lo, s25
	s_delay_alu instid0(VALU_DEP_1) | instskip(NEXT) | instid1(VALU_DEP_1)
	v_add3_u32 v34, v34, v36, v35
	v_lshlrev_b64 v[35:36], 3, v[33:34]
	s_cbranch_vccnz .LBB1715_98
; %bb.90:
	s_delay_alu instid0(VALU_DEP_1) | instskip(NEXT) | instid1(VALU_DEP_2)
	v_add_co_u32 v39, vcc_lo, s8, v35
	v_add_co_ci_u32_e32 v40, vcc_lo, s9, v36, vcc_lo
	v_add_co_u32 v33, vcc_lo, s8, v37
	v_add_co_ci_u32_e32 v34, vcc_lo, s9, v38, vcc_lo
	s_mov_b32 s30, -1
	s_clause 0x1
	global_load_b64 v[37:38], v[39:40], off
	global_load_b64 v[42:43], v[33:34], off
	s_mov_b32 s33, exec_lo
	s_waitcnt vmcnt(0)
	v_cmpx_eq_u64_e64 v[37:38], v[42:43]
	s_cbranch_execz .LBB1715_97
; %bb.91:
	v_add_co_u32 v33, vcc_lo, v33, 8
	v_add_co_ci_u32_e32 v34, vcc_lo, 0, v34, vcc_lo
	v_add_co_u32 v37, vcc_lo, v39, 8
	v_add_co_ci_u32_e32 v38, vcc_lo, 0, v40, vcc_lo
	s_add_u32 s6, s22, -1
	s_addc_u32 s7, s23, -1
	s_mov_b64 s[18:19], 0
	s_mov_b32 s30, 0
                                        ; implicit-def: $sgpr34
	s_set_inst_prefetch_distance 0x1
	s_branch .LBB1715_94
	.p2align	6
.LBB1715_92:                            ;   in Loop: Header=BB1715_94 Depth=1
	global_load_b64 v[39:40], v[37:38], off
	global_load_b64 v[42:43], v[33:34], off
	v_add_co_u32 v33, vcc_lo, v33, 8
	v_add_co_ci_u32_e32 v34, vcc_lo, 0, v34, vcc_lo
	v_add_co_u32 v37, s2, v37, 8
	s_delay_alu instid0(VALU_DEP_1)
	v_add_co_ci_u32_e64 v38, s2, 0, v38, s2
	s_add_u32 s18, s18, 1
	s_addc_u32 s19, s19, 0
	s_and_not1_b32 s2, s34, exec_lo
	s_waitcnt vmcnt(0)
	v_cmp_ne_u64_e32 vcc_lo, v[39:40], v[42:43]
	s_and_b32 s34, vcc_lo, exec_lo
	s_delay_alu instid0(SALU_CYCLE_1)
	s_or_b32 s34, s2, s34
.LBB1715_93:                            ;   in Loop: Header=BB1715_94 Depth=1
	v_dual_mov_b32 v40, s19 :: v_dual_mov_b32 v39, s18
	s_and_b32 s2, exec_lo, s34
	s_delay_alu instid0(SALU_CYCLE_1) | instskip(NEXT) | instid1(SALU_CYCLE_1)
	s_or_b32 s30, s2, s30
	s_and_not1_b32 exec_lo, exec_lo, s30
	s_cbranch_execz .LBB1715_96
.LBB1715_94:                            ; =>This Inner Loop Header: Depth=1
	s_or_b32 s34, s34, exec_lo
	s_cmp_eq_u64 s[6:7], s[18:19]
	s_cbranch_scc0 .LBB1715_92
; %bb.95:                               ;   in Loop: Header=BB1715_94 Depth=1
	s_mov_b64 s[18:19], s[22:23]
                                        ; implicit-def: $vgpr33_vgpr34
                                        ; implicit-def: $vgpr37_vgpr38
	s_branch .LBB1715_93
.LBB1715_96:
	s_set_inst_prefetch_distance 0x2
	s_or_b32 exec_lo, exec_lo, s30
	v_cmp_gt_i64_e32 vcc_lo, s[22:23], v[39:40]
	s_or_not1_b32 s30, vcc_lo, exec_lo
.LBB1715_97:
	s_or_b32 exec_lo, exec_lo, s33
.LBB1715_98:
	v_mul_lo_u32 v37, v30, s22
	v_mul_lo_u32 v38, v29, s23
	v_mad_u64_u32 v[33:34], null, v29, s22, 0
	s_and_not1_b32 vcc_lo, exec_lo, s25
	s_mov_b32 s2, 0
	s_delay_alu instid0(VALU_DEP_1) | instskip(NEXT) | instid1(VALU_DEP_1)
	v_add3_u32 v34, v34, v38, v37
	v_lshlrev_b64 v[33:34], 3, v[33:34]
	s_cbranch_vccnz .LBB1715_107
; %bb.99:
	s_delay_alu instid0(VALU_DEP_1) | instskip(NEXT) | instid1(VALU_DEP_2)
	v_add_co_u32 v37, vcc_lo, s8, v33
	v_add_co_ci_u32_e32 v38, vcc_lo, s9, v34, vcc_lo
	v_add_co_u32 v35, vcc_lo, s8, v35
	v_add_co_ci_u32_e32 v36, vcc_lo, s9, v36, vcc_lo
	s_mov_b32 s2, -1
	s_clause 0x1
	global_load_b64 v[39:40], v[37:38], off
	global_load_b64 v[42:43], v[35:36], off
	s_mov_b32 s33, exec_lo
	s_waitcnt vmcnt(0)
	v_cmpx_eq_u64_e64 v[39:40], v[42:43]
	s_cbranch_execz .LBB1715_106
; %bb.100:
	v_add_co_u32 v35, vcc_lo, v35, 8
	v_add_co_ci_u32_e32 v36, vcc_lo, 0, v36, vcc_lo
	v_add_co_u32 v37, vcc_lo, v37, 8
	v_add_co_ci_u32_e32 v38, vcc_lo, 0, v38, vcc_lo
	s_add_u32 s6, s22, -1
	s_addc_u32 s7, s23, -1
	s_mov_b64 s[18:19], 0
	s_mov_b32 s34, 0
                                        ; implicit-def: $sgpr35
	s_set_inst_prefetch_distance 0x1
	s_branch .LBB1715_103
	.p2align	6
.LBB1715_101:                           ;   in Loop: Header=BB1715_103 Depth=1
	global_load_b64 v[39:40], v[37:38], off
	global_load_b64 v[42:43], v[35:36], off
	v_add_co_u32 v35, vcc_lo, v35, 8
	v_add_co_ci_u32_e32 v36, vcc_lo, 0, v36, vcc_lo
	v_add_co_u32 v37, s2, v37, 8
	s_delay_alu instid0(VALU_DEP_1)
	v_add_co_ci_u32_e64 v38, s2, 0, v38, s2
	s_add_u32 s18, s18, 1
	s_addc_u32 s19, s19, 0
	s_and_not1_b32 s2, s35, exec_lo
	s_waitcnt vmcnt(0)
	v_cmp_ne_u64_e32 vcc_lo, v[39:40], v[42:43]
	s_and_b32 s35, vcc_lo, exec_lo
	s_delay_alu instid0(SALU_CYCLE_1)
	s_or_b32 s35, s2, s35
.LBB1715_102:                           ;   in Loop: Header=BB1715_103 Depth=1
	v_dual_mov_b32 v40, s19 :: v_dual_mov_b32 v39, s18
	s_and_b32 s2, exec_lo, s35
	s_delay_alu instid0(SALU_CYCLE_1) | instskip(NEXT) | instid1(SALU_CYCLE_1)
	s_or_b32 s34, s2, s34
	s_and_not1_b32 exec_lo, exec_lo, s34
	s_cbranch_execz .LBB1715_105
.LBB1715_103:                           ; =>This Inner Loop Header: Depth=1
	s_or_b32 s35, s35, exec_lo
	s_cmp_eq_u64 s[6:7], s[18:19]
	s_cbranch_scc0 .LBB1715_101
; %bb.104:                              ;   in Loop: Header=BB1715_103 Depth=1
	s_mov_b64 s[18:19], s[22:23]
                                        ; implicit-def: $vgpr35_vgpr36
                                        ; implicit-def: $vgpr37_vgpr38
	s_branch .LBB1715_102
.LBB1715_105:
	s_set_inst_prefetch_distance 0x2
	s_or_b32 exec_lo, exec_lo, s34
	v_cmp_gt_i64_e32 vcc_lo, s[22:23], v[39:40]
	s_or_not1_b32 s2, vcc_lo, exec_lo
.LBB1715_106:
	s_or_b32 exec_lo, exec_lo, s33
.LBB1715_107:
	s_waitcnt lgkmcnt(0)
	v_dual_mov_b32 v36, s5 :: v_dual_mov_b32 v35, s4
	s_mov_b32 s6, exec_lo
	s_barrier
	buffer_gl0_inv
	v_cmpx_ne_u32_e32 0, v0
	s_cbranch_execz .LBB1715_109
; %bb.108:
	v_add_nc_u32_e32 v35, -8, v55
	ds_load_b64 v[35:36], v35
.LBB1715_109:
	s_or_b32 exec_lo, exec_lo, s6
	v_cndmask_b32_e64 v38, 0, 1, s31
	v_cndmask_b32_e64 v40, 0, 1, s29
	;; [unrolled: 1-line block ×7, first 2 shown]
	v_lshlrev_b16 v38, 8, v38
	v_lshlrev_b16 v40, 8, v40
	;; [unrolled: 1-line block ×4, first 2 shown]
	s_mov_b32 s3, 0
	v_or_b32_e32 v37, v37, v38
	v_or_b32_e32 v38, v39, v40
	;; [unrolled: 1-line block ×3, first 2 shown]
	v_and_b32_e32 v39, 0xffff, v43
	s_and_not1_b32 vcc_lo, exec_lo, s25
	v_lshlrev_b32_e32 v40, 16, v37
	v_and_b32_e32 v42, 0xffff, v38
	v_lshlrev_b32_e32 v43, 16, v44
	s_mov_b32 s2, 0
	s_cbranch_vccnz .LBB1715_118
; %bb.110:
	s_waitcnt lgkmcnt(0)
	v_mul_lo_u32 v38, v36, s22
	v_mul_lo_u32 v44, v35, s23
	v_mad_u64_u32 v[36:37], null, v35, s22, 0
	s_mov_b32 s2, -1
	s_mov_b32 s26, exec_lo
	s_delay_alu instid0(VALU_DEP_1) | instskip(NEXT) | instid1(VALU_DEP_1)
	v_add3_u32 v37, v37, v44, v38
	v_lshlrev_b64 v[35:36], 3, v[36:37]
	s_delay_alu instid0(VALU_DEP_1) | instskip(NEXT) | instid1(VALU_DEP_2)
	v_add_co_u32 v35, vcc_lo, s8, v35
	v_add_co_ci_u32_e32 v36, vcc_lo, s9, v36, vcc_lo
	v_add_co_u32 v33, vcc_lo, s8, v33
	v_add_co_ci_u32_e32 v34, vcc_lo, s9, v34, vcc_lo
	s_clause 0x1
	global_load_b64 v[37:38], v[35:36], off
	global_load_b64 v[44:45], v[33:34], off
	s_waitcnt vmcnt(0)
	v_cmpx_eq_u64_e64 v[37:38], v[44:45]
	s_cbranch_execz .LBB1715_117
; %bb.111:
	v_add_co_u32 v33, vcc_lo, v33, 8
	v_add_co_ci_u32_e32 v34, vcc_lo, 0, v34, vcc_lo
	v_add_co_u32 v35, vcc_lo, v35, 8
	v_add_co_ci_u32_e32 v36, vcc_lo, 0, v36, vcc_lo
	s_add_u32 s6, s22, -1
	s_addc_u32 s7, s23, -1
	s_mov_b64 s[18:19], 0
	s_mov_b32 s27, 0
                                        ; implicit-def: $sgpr29
	s_set_inst_prefetch_distance 0x1
	s_branch .LBB1715_114
	.p2align	6
.LBB1715_112:                           ;   in Loop: Header=BB1715_114 Depth=1
	global_load_b64 v[37:38], v[35:36], off
	global_load_b64 v[44:45], v[33:34], off
	v_add_co_u32 v33, vcc_lo, v33, 8
	v_add_co_ci_u32_e32 v34, vcc_lo, 0, v34, vcc_lo
	v_add_co_u32 v35, s2, v35, 8
	s_delay_alu instid0(VALU_DEP_1)
	v_add_co_ci_u32_e64 v36, s2, 0, v36, s2
	s_add_u32 s18, s18, 1
	s_addc_u32 s19, s19, 0
	s_and_not1_b32 s2, s29, exec_lo
	s_waitcnt vmcnt(0)
	v_cmp_ne_u64_e32 vcc_lo, v[37:38], v[44:45]
	s_and_b32 s29, vcc_lo, exec_lo
	s_delay_alu instid0(SALU_CYCLE_1)
	s_or_b32 s29, s2, s29
.LBB1715_113:                           ;   in Loop: Header=BB1715_114 Depth=1
	v_dual_mov_b32 v38, s19 :: v_dual_mov_b32 v37, s18
	s_and_b32 s2, exec_lo, s29
	s_delay_alu instid0(SALU_CYCLE_1) | instskip(NEXT) | instid1(SALU_CYCLE_1)
	s_or_b32 s27, s2, s27
	s_and_not1_b32 exec_lo, exec_lo, s27
	s_cbranch_execz .LBB1715_116
.LBB1715_114:                           ; =>This Inner Loop Header: Depth=1
	s_or_b32 s29, s29, exec_lo
	s_cmp_eq_u64 s[6:7], s[18:19]
	s_cbranch_scc0 .LBB1715_112
; %bb.115:                              ;   in Loop: Header=BB1715_114 Depth=1
	s_mov_b64 s[18:19], s[22:23]
                                        ; implicit-def: $vgpr33_vgpr34
                                        ; implicit-def: $vgpr35_vgpr36
	s_branch .LBB1715_113
.LBB1715_116:
	s_set_inst_prefetch_distance 0x2
	s_or_b32 exec_lo, exec_lo, s27
	v_cmp_gt_i64_e32 vcc_lo, s[22:23], v[37:38]
	s_or_not1_b32 s2, vcc_lo, exec_lo
.LBB1715_117:
	s_or_b32 exec_lo, exec_lo, s26
.LBB1715_118:
	v_or_b32_e32 v33, v39, v40
	s_delay_alu instid0(VALU_DEP_2)
	v_or_b32_e32 v34, v42, v43
	s_and_b32 vcc_lo, exec_lo, s3
	s_cbranch_vccz .LBB1715_210
.LBB1715_119:
	v_or_b32_e32 v33, 7, v55
	s_mov_b32 s3, 0
	s_mov_b32 s26, 0
	s_mov_b32 s27, exec_lo
	s_delay_alu instid0(VALU_DEP_1)
	v_cmpx_gt_u32_e64 s28, v33
	s_cbranch_execz .LBB1715_130
; %bb.120:
	s_and_not1_b32 vcc_lo, exec_lo, s25
	s_mov_b32 s2, 0
	s_cbranch_vccnz .LBB1715_129
; %bb.121:
	v_mul_lo_u32 v37, v18, s22
	v_mul_lo_u32 v38, v17, s23
	v_mad_u64_u32 v[33:34], null, v17, s22, 0
	v_mul_lo_u32 v39, v20, s22
	v_mul_lo_u32 v40, v19, s23
	s_waitcnt lgkmcnt(0)
	v_mad_u64_u32 v[35:36], null, v19, s22, 0
	s_mov_b32 s2, -1
	s_mov_b32 s25, exec_lo
	s_delay_alu instid0(VALU_DEP_4) | instskip(NEXT) | instid1(VALU_DEP_2)
	v_add3_u32 v34, v34, v38, v37
	v_add3_u32 v36, v36, v40, v39
	s_delay_alu instid0(VALU_DEP_2) | instskip(NEXT) | instid1(VALU_DEP_2)
	v_lshlrev_b64 v[33:34], 3, v[33:34]
	v_lshlrev_b64 v[37:38], 3, v[35:36]
	s_delay_alu instid0(VALU_DEP_2) | instskip(NEXT) | instid1(VALU_DEP_3)
	v_add_co_u32 v35, vcc_lo, s8, v33
	v_add_co_ci_u32_e32 v36, vcc_lo, s9, v34, vcc_lo
	s_delay_alu instid0(VALU_DEP_3) | instskip(NEXT) | instid1(VALU_DEP_4)
	v_add_co_u32 v33, vcc_lo, s8, v37
	v_add_co_ci_u32_e32 v34, vcc_lo, s9, v38, vcc_lo
	s_clause 0x1
	global_load_b64 v[37:38], v[35:36], off
	global_load_b64 v[39:40], v[33:34], off
	s_waitcnt vmcnt(0)
	v_cmpx_eq_u64_e64 v[37:38], v[39:40]
	s_cbranch_execz .LBB1715_128
; %bb.122:
	v_add_co_u32 v33, vcc_lo, v33, 8
	v_add_co_ci_u32_e32 v34, vcc_lo, 0, v34, vcc_lo
	v_add_co_u32 v35, vcc_lo, v35, 8
	v_add_co_ci_u32_e32 v36, vcc_lo, 0, v36, vcc_lo
	s_add_u32 s6, s22, -1
	s_addc_u32 s7, s23, -1
	s_mov_b64 s[18:19], 0
                                        ; implicit-def: $sgpr29
	s_set_inst_prefetch_distance 0x1
	s_branch .LBB1715_125
	.p2align	6
.LBB1715_123:                           ;   in Loop: Header=BB1715_125 Depth=1
	global_load_b64 v[37:38], v[35:36], off
	global_load_b64 v[39:40], v[33:34], off
	v_add_co_u32 v33, vcc_lo, v33, 8
	v_add_co_ci_u32_e32 v34, vcc_lo, 0, v34, vcc_lo
	v_add_co_u32 v35, s2, v35, 8
	s_delay_alu instid0(VALU_DEP_1)
	v_add_co_ci_u32_e64 v36, s2, 0, v36, s2
	s_add_u32 s18, s18, 1
	s_addc_u32 s19, s19, 0
	s_and_not1_b32 s2, s29, exec_lo
	s_waitcnt vmcnt(0)
	v_cmp_ne_u64_e32 vcc_lo, v[37:38], v[39:40]
	s_and_b32 s29, vcc_lo, exec_lo
	s_delay_alu instid0(SALU_CYCLE_1)
	s_or_b32 s29, s2, s29
.LBB1715_124:                           ;   in Loop: Header=BB1715_125 Depth=1
	v_dual_mov_b32 v38, s19 :: v_dual_mov_b32 v37, s18
	s_and_b32 s2, exec_lo, s29
	s_delay_alu instid0(SALU_CYCLE_1) | instskip(NEXT) | instid1(SALU_CYCLE_1)
	s_or_b32 s26, s2, s26
	s_and_not1_b32 exec_lo, exec_lo, s26
	s_cbranch_execz .LBB1715_127
.LBB1715_125:                           ; =>This Inner Loop Header: Depth=1
	s_or_b32 s29, s29, exec_lo
	s_cmp_eq_u64 s[6:7], s[18:19]
	s_cbranch_scc0 .LBB1715_123
; %bb.126:                              ;   in Loop: Header=BB1715_125 Depth=1
	s_mov_b64 s[18:19], s[22:23]
                                        ; implicit-def: $vgpr33_vgpr34
                                        ; implicit-def: $vgpr35_vgpr36
	s_branch .LBB1715_124
.LBB1715_127:
	s_set_inst_prefetch_distance 0x2
	s_or_b32 exec_lo, exec_lo, s26
	v_cmp_gt_i64_e32 vcc_lo, s[22:23], v[37:38]
	s_or_not1_b32 s2, vcc_lo, exec_lo
.LBB1715_128:
	s_or_b32 exec_lo, exec_lo, s25
.LBB1715_129:
	s_delay_alu instid0(SALU_CYCLE_1)
	s_and_b32 s26, s2, exec_lo
.LBB1715_130:
	s_or_b32 exec_lo, exec_lo, s27
	v_or_b32_e32 v33, 6, v55
	s_mov_b32 s25, exec_lo
	s_delay_alu instid0(VALU_DEP_1)
	v_cmpx_gt_u32_e64 s28, v33
	s_cbranch_execz .LBB1715_141
; %bb.131:
	v_cmp_ne_u32_e32 vcc_lo, 1, v41
	s_mov_b32 s2, 0
	s_cbranch_vccnz .LBB1715_140
; %bb.132:
	v_mul_lo_u32 v37, v24, s22
	v_mul_lo_u32 v38, v23, s23
	v_mad_u64_u32 v[33:34], null, v23, s22, 0
	v_mul_lo_u32 v39, v18, s22
	v_mul_lo_u32 v40, v17, s23
	s_waitcnt lgkmcnt(0)
	v_mad_u64_u32 v[35:36], null, v17, s22, 0
	s_mov_b32 s2, -1
	s_mov_b32 s3, exec_lo
	s_delay_alu instid0(VALU_DEP_4) | instskip(NEXT) | instid1(VALU_DEP_2)
	v_add3_u32 v34, v34, v38, v37
	v_add3_u32 v36, v36, v40, v39
	s_delay_alu instid0(VALU_DEP_2) | instskip(NEXT) | instid1(VALU_DEP_2)
	v_lshlrev_b64 v[33:34], 3, v[33:34]
	v_lshlrev_b64 v[37:38], 3, v[35:36]
	s_delay_alu instid0(VALU_DEP_2) | instskip(NEXT) | instid1(VALU_DEP_3)
	v_add_co_u32 v35, vcc_lo, s8, v33
	v_add_co_ci_u32_e32 v36, vcc_lo, s9, v34, vcc_lo
	s_delay_alu instid0(VALU_DEP_3) | instskip(NEXT) | instid1(VALU_DEP_4)
	v_add_co_u32 v33, vcc_lo, s8, v37
	v_add_co_ci_u32_e32 v34, vcc_lo, s9, v38, vcc_lo
	s_clause 0x1
	global_load_b64 v[37:38], v[35:36], off
	global_load_b64 v[39:40], v[33:34], off
	s_waitcnt vmcnt(0)
	v_cmpx_eq_u64_e64 v[37:38], v[39:40]
	s_cbranch_execz .LBB1715_139
; %bb.133:
	v_add_co_u32 v33, vcc_lo, v33, 8
	v_add_co_ci_u32_e32 v34, vcc_lo, 0, v34, vcc_lo
	v_add_co_u32 v35, vcc_lo, v35, 8
	v_add_co_ci_u32_e32 v36, vcc_lo, 0, v36, vcc_lo
	s_add_u32 s6, s22, -1
	s_addc_u32 s7, s23, -1
	s_mov_b64 s[18:19], 0
	s_mov_b32 s27, 0
                                        ; implicit-def: $sgpr29
	s_set_inst_prefetch_distance 0x1
	s_branch .LBB1715_136
	.p2align	6
.LBB1715_134:                           ;   in Loop: Header=BB1715_136 Depth=1
	global_load_b64 v[37:38], v[35:36], off
	global_load_b64 v[39:40], v[33:34], off
	v_add_co_u32 v33, vcc_lo, v33, 8
	v_add_co_ci_u32_e32 v34, vcc_lo, 0, v34, vcc_lo
	v_add_co_u32 v35, s2, v35, 8
	s_delay_alu instid0(VALU_DEP_1)
	v_add_co_ci_u32_e64 v36, s2, 0, v36, s2
	s_add_u32 s18, s18, 1
	s_addc_u32 s19, s19, 0
	s_and_not1_b32 s2, s29, exec_lo
	s_waitcnt vmcnt(0)
	v_cmp_ne_u64_e32 vcc_lo, v[37:38], v[39:40]
	s_and_b32 s29, vcc_lo, exec_lo
	s_delay_alu instid0(SALU_CYCLE_1)
	s_or_b32 s29, s2, s29
.LBB1715_135:                           ;   in Loop: Header=BB1715_136 Depth=1
	v_dual_mov_b32 v38, s19 :: v_dual_mov_b32 v37, s18
	s_and_b32 s2, exec_lo, s29
	s_delay_alu instid0(SALU_CYCLE_1) | instskip(NEXT) | instid1(SALU_CYCLE_1)
	s_or_b32 s27, s2, s27
	s_and_not1_b32 exec_lo, exec_lo, s27
	s_cbranch_execz .LBB1715_138
.LBB1715_136:                           ; =>This Inner Loop Header: Depth=1
	s_or_b32 s29, s29, exec_lo
	s_cmp_eq_u64 s[6:7], s[18:19]
	s_cbranch_scc0 .LBB1715_134
; %bb.137:                              ;   in Loop: Header=BB1715_136 Depth=1
	s_mov_b64 s[18:19], s[22:23]
                                        ; implicit-def: $vgpr33_vgpr34
                                        ; implicit-def: $vgpr35_vgpr36
	s_branch .LBB1715_135
.LBB1715_138:
	s_set_inst_prefetch_distance 0x2
	s_or_b32 exec_lo, exec_lo, s27
	v_cmp_gt_i64_e32 vcc_lo, s[22:23], v[37:38]
	s_or_not1_b32 s2, vcc_lo, exec_lo
.LBB1715_139:
	s_or_b32 exec_lo, exec_lo, s3
.LBB1715_140:
	s_delay_alu instid0(SALU_CYCLE_1)
	s_and_b32 s3, s2, exec_lo
.LBB1715_141:
	s_or_b32 exec_lo, exec_lo, s25
	v_or_b32_e32 v33, 5, v55
	s_mov_b32 s27, 0
	s_mov_b32 s25, 0
	s_mov_b32 s29, exec_lo
	s_delay_alu instid0(VALU_DEP_1)
	v_cmpx_gt_u32_e64 s28, v33
	s_cbranch_execz .LBB1715_152
; %bb.142:
	v_cmp_ne_u32_e32 vcc_lo, 1, v41
	s_mov_b32 s2, 0
	s_cbranch_vccnz .LBB1715_151
; %bb.143:
	v_mul_lo_u32 v37, v22, s22
	v_mul_lo_u32 v38, v21, s23
	v_mad_u64_u32 v[33:34], null, v21, s22, 0
	v_mul_lo_u32 v39, v24, s22
	v_mul_lo_u32 v40, v23, s23
	s_waitcnt lgkmcnt(0)
	v_mad_u64_u32 v[35:36], null, v23, s22, 0
	s_mov_b32 s2, -1
	s_mov_b32 s25, exec_lo
	s_delay_alu instid0(VALU_DEP_4) | instskip(NEXT) | instid1(VALU_DEP_2)
	v_add3_u32 v34, v34, v38, v37
	v_add3_u32 v36, v36, v40, v39
	s_delay_alu instid0(VALU_DEP_2) | instskip(NEXT) | instid1(VALU_DEP_2)
	v_lshlrev_b64 v[33:34], 3, v[33:34]
	v_lshlrev_b64 v[37:38], 3, v[35:36]
	s_delay_alu instid0(VALU_DEP_2) | instskip(NEXT) | instid1(VALU_DEP_3)
	v_add_co_u32 v35, vcc_lo, s8, v33
	v_add_co_ci_u32_e32 v36, vcc_lo, s9, v34, vcc_lo
	s_delay_alu instid0(VALU_DEP_3) | instskip(NEXT) | instid1(VALU_DEP_4)
	v_add_co_u32 v33, vcc_lo, s8, v37
	v_add_co_ci_u32_e32 v34, vcc_lo, s9, v38, vcc_lo
	s_clause 0x1
	global_load_b64 v[37:38], v[35:36], off
	global_load_b64 v[39:40], v[33:34], off
	s_waitcnt vmcnt(0)
	v_cmpx_eq_u64_e64 v[37:38], v[39:40]
	s_cbranch_execz .LBB1715_150
; %bb.144:
	v_add_co_u32 v33, vcc_lo, v33, 8
	v_add_co_ci_u32_e32 v34, vcc_lo, 0, v34, vcc_lo
	v_add_co_u32 v35, vcc_lo, v35, 8
	v_add_co_ci_u32_e32 v36, vcc_lo, 0, v36, vcc_lo
	s_add_u32 s6, s22, -1
	s_addc_u32 s7, s23, -1
	s_mov_b64 s[18:19], 0
	s_mov_b32 s30, 0
                                        ; implicit-def: $sgpr31
	s_set_inst_prefetch_distance 0x1
	s_branch .LBB1715_147
	.p2align	6
.LBB1715_145:                           ;   in Loop: Header=BB1715_147 Depth=1
	global_load_b64 v[37:38], v[35:36], off
	global_load_b64 v[39:40], v[33:34], off
	v_add_co_u32 v33, vcc_lo, v33, 8
	v_add_co_ci_u32_e32 v34, vcc_lo, 0, v34, vcc_lo
	v_add_co_u32 v35, s2, v35, 8
	s_delay_alu instid0(VALU_DEP_1)
	v_add_co_ci_u32_e64 v36, s2, 0, v36, s2
	s_add_u32 s18, s18, 1
	s_addc_u32 s19, s19, 0
	s_and_not1_b32 s2, s31, exec_lo
	s_waitcnt vmcnt(0)
	v_cmp_ne_u64_e32 vcc_lo, v[37:38], v[39:40]
	s_and_b32 s31, vcc_lo, exec_lo
	s_delay_alu instid0(SALU_CYCLE_1)
	s_or_b32 s31, s2, s31
.LBB1715_146:                           ;   in Loop: Header=BB1715_147 Depth=1
	v_dual_mov_b32 v38, s19 :: v_dual_mov_b32 v37, s18
	s_and_b32 s2, exec_lo, s31
	s_delay_alu instid0(SALU_CYCLE_1) | instskip(NEXT) | instid1(SALU_CYCLE_1)
	s_or_b32 s30, s2, s30
	s_and_not1_b32 exec_lo, exec_lo, s30
	s_cbranch_execz .LBB1715_149
.LBB1715_147:                           ; =>This Inner Loop Header: Depth=1
	s_or_b32 s31, s31, exec_lo
	s_cmp_eq_u64 s[6:7], s[18:19]
	s_cbranch_scc0 .LBB1715_145
; %bb.148:                              ;   in Loop: Header=BB1715_147 Depth=1
	s_mov_b64 s[18:19], s[22:23]
                                        ; implicit-def: $vgpr33_vgpr34
                                        ; implicit-def: $vgpr35_vgpr36
	s_branch .LBB1715_146
.LBB1715_149:
	s_set_inst_prefetch_distance 0x2
	s_or_b32 exec_lo, exec_lo, s30
	v_cmp_gt_i64_e32 vcc_lo, s[22:23], v[37:38]
	s_or_not1_b32 s2, vcc_lo, exec_lo
.LBB1715_150:
	s_or_b32 exec_lo, exec_lo, s25
.LBB1715_151:
	s_delay_alu instid0(SALU_CYCLE_1)
	s_and_b32 s25, s2, exec_lo
.LBB1715_152:
	s_or_b32 exec_lo, exec_lo, s29
	v_or_b32_e32 v33, 4, v55
	s_mov_b32 s29, exec_lo
	s_delay_alu instid0(VALU_DEP_1)
	v_cmpx_gt_u32_e64 s28, v33
	s_cbranch_execz .LBB1715_163
; %bb.153:
	v_cmp_ne_u32_e32 vcc_lo, 1, v41
	s_mov_b32 s2, 0
	s_cbranch_vccnz .LBB1715_162
; %bb.154:
	v_mul_lo_u32 v37, v28, s22
	v_mul_lo_u32 v38, v27, s23
	v_mad_u64_u32 v[33:34], null, v27, s22, 0
	v_mul_lo_u32 v39, v22, s22
	v_mul_lo_u32 v40, v21, s23
	s_waitcnt lgkmcnt(0)
	v_mad_u64_u32 v[35:36], null, v21, s22, 0
	s_mov_b32 s2, -1
	s_mov_b32 s27, exec_lo
	s_delay_alu instid0(VALU_DEP_4) | instskip(NEXT) | instid1(VALU_DEP_2)
	v_add3_u32 v34, v34, v38, v37
	v_add3_u32 v36, v36, v40, v39
	s_delay_alu instid0(VALU_DEP_2) | instskip(NEXT) | instid1(VALU_DEP_2)
	v_lshlrev_b64 v[33:34], 3, v[33:34]
	v_lshlrev_b64 v[37:38], 3, v[35:36]
	s_delay_alu instid0(VALU_DEP_2) | instskip(NEXT) | instid1(VALU_DEP_3)
	v_add_co_u32 v35, vcc_lo, s8, v33
	v_add_co_ci_u32_e32 v36, vcc_lo, s9, v34, vcc_lo
	s_delay_alu instid0(VALU_DEP_3) | instskip(NEXT) | instid1(VALU_DEP_4)
	v_add_co_u32 v33, vcc_lo, s8, v37
	v_add_co_ci_u32_e32 v34, vcc_lo, s9, v38, vcc_lo
	s_clause 0x1
	global_load_b64 v[37:38], v[35:36], off
	global_load_b64 v[39:40], v[33:34], off
	s_waitcnt vmcnt(0)
	v_cmpx_eq_u64_e64 v[37:38], v[39:40]
	s_cbranch_execz .LBB1715_161
; %bb.155:
	v_add_co_u32 v33, vcc_lo, v33, 8
	v_add_co_ci_u32_e32 v34, vcc_lo, 0, v34, vcc_lo
	v_add_co_u32 v35, vcc_lo, v35, 8
	v_add_co_ci_u32_e32 v36, vcc_lo, 0, v36, vcc_lo
	s_add_u32 s6, s22, -1
	s_addc_u32 s7, s23, -1
	s_mov_b64 s[18:19], 0
	s_mov_b32 s30, 0
                                        ; implicit-def: $sgpr31
	s_set_inst_prefetch_distance 0x1
	s_branch .LBB1715_158
	.p2align	6
.LBB1715_156:                           ;   in Loop: Header=BB1715_158 Depth=1
	global_load_b64 v[37:38], v[35:36], off
	global_load_b64 v[39:40], v[33:34], off
	v_add_co_u32 v33, vcc_lo, v33, 8
	v_add_co_ci_u32_e32 v34, vcc_lo, 0, v34, vcc_lo
	v_add_co_u32 v35, s2, v35, 8
	s_delay_alu instid0(VALU_DEP_1)
	v_add_co_ci_u32_e64 v36, s2, 0, v36, s2
	s_add_u32 s18, s18, 1
	s_addc_u32 s19, s19, 0
	s_and_not1_b32 s2, s31, exec_lo
	s_waitcnt vmcnt(0)
	v_cmp_ne_u64_e32 vcc_lo, v[37:38], v[39:40]
	s_and_b32 s31, vcc_lo, exec_lo
	s_delay_alu instid0(SALU_CYCLE_1)
	s_or_b32 s31, s2, s31
.LBB1715_157:                           ;   in Loop: Header=BB1715_158 Depth=1
	v_dual_mov_b32 v38, s19 :: v_dual_mov_b32 v37, s18
	s_and_b32 s2, exec_lo, s31
	s_delay_alu instid0(SALU_CYCLE_1) | instskip(NEXT) | instid1(SALU_CYCLE_1)
	s_or_b32 s30, s2, s30
	s_and_not1_b32 exec_lo, exec_lo, s30
	s_cbranch_execz .LBB1715_160
.LBB1715_158:                           ; =>This Inner Loop Header: Depth=1
	s_or_b32 s31, s31, exec_lo
	s_cmp_eq_u64 s[6:7], s[18:19]
	s_cbranch_scc0 .LBB1715_156
; %bb.159:                              ;   in Loop: Header=BB1715_158 Depth=1
	s_mov_b64 s[18:19], s[22:23]
                                        ; implicit-def: $vgpr33_vgpr34
                                        ; implicit-def: $vgpr35_vgpr36
	s_branch .LBB1715_157
.LBB1715_160:
	s_set_inst_prefetch_distance 0x2
	s_or_b32 exec_lo, exec_lo, s30
	v_cmp_gt_i64_e32 vcc_lo, s[22:23], v[37:38]
	s_or_not1_b32 s2, vcc_lo, exec_lo
.LBB1715_161:
	s_or_b32 exec_lo, exec_lo, s27
.LBB1715_162:
	s_delay_alu instid0(SALU_CYCLE_1)
	s_and_b32 s27, s2, exec_lo
.LBB1715_163:
	s_or_b32 exec_lo, exec_lo, s29
	v_or_b32_e32 v33, 3, v55
	s_mov_b32 s30, 0
	s_mov_b32 s29, 0
	s_mov_b32 s31, exec_lo
	s_delay_alu instid0(VALU_DEP_1)
	v_cmpx_gt_u32_e64 s28, v33
	s_cbranch_execz .LBB1715_174
; %bb.164:
	v_cmp_ne_u32_e32 vcc_lo, 1, v41
	s_mov_b32 s2, 0
	s_cbranch_vccnz .LBB1715_173
; %bb.165:
	v_mul_lo_u32 v37, v26, s22
	v_mul_lo_u32 v38, v25, s23
	v_mad_u64_u32 v[33:34], null, v25, s22, 0
	v_mul_lo_u32 v39, v28, s22
	v_mul_lo_u32 v40, v27, s23
	s_waitcnt lgkmcnt(0)
	v_mad_u64_u32 v[35:36], null, v27, s22, 0
	s_mov_b32 s2, -1
	s_mov_b32 s29, exec_lo
	s_delay_alu instid0(VALU_DEP_4) | instskip(NEXT) | instid1(VALU_DEP_2)
	v_add3_u32 v34, v34, v38, v37
	v_add3_u32 v36, v36, v40, v39
	s_delay_alu instid0(VALU_DEP_2) | instskip(NEXT) | instid1(VALU_DEP_2)
	v_lshlrev_b64 v[33:34], 3, v[33:34]
	v_lshlrev_b64 v[37:38], 3, v[35:36]
	s_delay_alu instid0(VALU_DEP_2) | instskip(NEXT) | instid1(VALU_DEP_3)
	v_add_co_u32 v35, vcc_lo, s8, v33
	v_add_co_ci_u32_e32 v36, vcc_lo, s9, v34, vcc_lo
	s_delay_alu instid0(VALU_DEP_3) | instskip(NEXT) | instid1(VALU_DEP_4)
	v_add_co_u32 v33, vcc_lo, s8, v37
	v_add_co_ci_u32_e32 v34, vcc_lo, s9, v38, vcc_lo
	s_clause 0x1
	global_load_b64 v[37:38], v[35:36], off
	global_load_b64 v[39:40], v[33:34], off
	s_waitcnt vmcnt(0)
	v_cmpx_eq_u64_e64 v[37:38], v[39:40]
	s_cbranch_execz .LBB1715_172
; %bb.166:
	v_add_co_u32 v33, vcc_lo, v33, 8
	v_add_co_ci_u32_e32 v34, vcc_lo, 0, v34, vcc_lo
	v_add_co_u32 v35, vcc_lo, v35, 8
	v_add_co_ci_u32_e32 v36, vcc_lo, 0, v36, vcc_lo
	s_add_u32 s6, s22, -1
	s_addc_u32 s7, s23, -1
	s_mov_b64 s[18:19], 0
	s_mov_b32 s33, 0
                                        ; implicit-def: $sgpr34
	s_set_inst_prefetch_distance 0x1
	s_branch .LBB1715_169
	.p2align	6
.LBB1715_167:                           ;   in Loop: Header=BB1715_169 Depth=1
	global_load_b64 v[37:38], v[35:36], off
	global_load_b64 v[39:40], v[33:34], off
	v_add_co_u32 v33, vcc_lo, v33, 8
	v_add_co_ci_u32_e32 v34, vcc_lo, 0, v34, vcc_lo
	v_add_co_u32 v35, s2, v35, 8
	s_delay_alu instid0(VALU_DEP_1)
	v_add_co_ci_u32_e64 v36, s2, 0, v36, s2
	s_add_u32 s18, s18, 1
	s_addc_u32 s19, s19, 0
	s_and_not1_b32 s2, s34, exec_lo
	s_waitcnt vmcnt(0)
	v_cmp_ne_u64_e32 vcc_lo, v[37:38], v[39:40]
	s_and_b32 s34, vcc_lo, exec_lo
	s_delay_alu instid0(SALU_CYCLE_1)
	s_or_b32 s34, s2, s34
.LBB1715_168:                           ;   in Loop: Header=BB1715_169 Depth=1
	v_dual_mov_b32 v38, s19 :: v_dual_mov_b32 v37, s18
	s_and_b32 s2, exec_lo, s34
	s_delay_alu instid0(SALU_CYCLE_1) | instskip(NEXT) | instid1(SALU_CYCLE_1)
	s_or_b32 s33, s2, s33
	s_and_not1_b32 exec_lo, exec_lo, s33
	s_cbranch_execz .LBB1715_171
.LBB1715_169:                           ; =>This Inner Loop Header: Depth=1
	s_or_b32 s34, s34, exec_lo
	s_cmp_eq_u64 s[6:7], s[18:19]
	s_cbranch_scc0 .LBB1715_167
; %bb.170:                              ;   in Loop: Header=BB1715_169 Depth=1
	s_mov_b64 s[18:19], s[22:23]
                                        ; implicit-def: $vgpr33_vgpr34
                                        ; implicit-def: $vgpr35_vgpr36
	s_branch .LBB1715_168
.LBB1715_171:
	s_set_inst_prefetch_distance 0x2
	s_or_b32 exec_lo, exec_lo, s33
	v_cmp_gt_i64_e32 vcc_lo, s[22:23], v[37:38]
	s_or_not1_b32 s2, vcc_lo, exec_lo
.LBB1715_172:
	s_or_b32 exec_lo, exec_lo, s29
.LBB1715_173:
	s_delay_alu instid0(SALU_CYCLE_1)
	s_and_b32 s29, s2, exec_lo
.LBB1715_174:
	s_or_b32 exec_lo, exec_lo, s31
	v_or_b32_e32 v33, 2, v55
	s_mov_b32 s31, exec_lo
	s_delay_alu instid0(VALU_DEP_1)
	v_cmpx_gt_u32_e64 s28, v33
	s_cbranch_execz .LBB1715_185
; %bb.175:
	v_cmp_ne_u32_e32 vcc_lo, 1, v41
	s_mov_b32 s2, 0
	s_cbranch_vccnz .LBB1715_184
; %bb.176:
	v_mul_lo_u32 v37, v32, s22
	v_mul_lo_u32 v38, v31, s23
	v_mad_u64_u32 v[33:34], null, v31, s22, 0
	v_mul_lo_u32 v39, v26, s22
	v_mul_lo_u32 v40, v25, s23
	s_waitcnt lgkmcnt(0)
	v_mad_u64_u32 v[35:36], null, v25, s22, 0
	s_mov_b32 s2, -1
	s_mov_b32 s30, exec_lo
	s_delay_alu instid0(VALU_DEP_4) | instskip(NEXT) | instid1(VALU_DEP_2)
	v_add3_u32 v34, v34, v38, v37
	v_add3_u32 v36, v36, v40, v39
	s_delay_alu instid0(VALU_DEP_2) | instskip(NEXT) | instid1(VALU_DEP_2)
	v_lshlrev_b64 v[33:34], 3, v[33:34]
	v_lshlrev_b64 v[37:38], 3, v[35:36]
	s_delay_alu instid0(VALU_DEP_2) | instskip(NEXT) | instid1(VALU_DEP_3)
	v_add_co_u32 v35, vcc_lo, s8, v33
	v_add_co_ci_u32_e32 v36, vcc_lo, s9, v34, vcc_lo
	s_delay_alu instid0(VALU_DEP_3) | instskip(NEXT) | instid1(VALU_DEP_4)
	v_add_co_u32 v33, vcc_lo, s8, v37
	v_add_co_ci_u32_e32 v34, vcc_lo, s9, v38, vcc_lo
	s_clause 0x1
	global_load_b64 v[37:38], v[35:36], off
	global_load_b64 v[39:40], v[33:34], off
	s_waitcnt vmcnt(0)
	v_cmpx_eq_u64_e64 v[37:38], v[39:40]
	s_cbranch_execz .LBB1715_183
; %bb.177:
	v_add_co_u32 v33, vcc_lo, v33, 8
	v_add_co_ci_u32_e32 v34, vcc_lo, 0, v34, vcc_lo
	v_add_co_u32 v35, vcc_lo, v35, 8
	v_add_co_ci_u32_e32 v36, vcc_lo, 0, v36, vcc_lo
	s_add_u32 s6, s22, -1
	s_addc_u32 s7, s23, -1
	s_mov_b64 s[18:19], 0
	s_mov_b32 s33, 0
                                        ; implicit-def: $sgpr34
	s_set_inst_prefetch_distance 0x1
	s_branch .LBB1715_180
	.p2align	6
.LBB1715_178:                           ;   in Loop: Header=BB1715_180 Depth=1
	global_load_b64 v[37:38], v[35:36], off
	global_load_b64 v[39:40], v[33:34], off
	v_add_co_u32 v33, vcc_lo, v33, 8
	v_add_co_ci_u32_e32 v34, vcc_lo, 0, v34, vcc_lo
	v_add_co_u32 v35, s2, v35, 8
	s_delay_alu instid0(VALU_DEP_1)
	v_add_co_ci_u32_e64 v36, s2, 0, v36, s2
	s_add_u32 s18, s18, 1
	s_addc_u32 s19, s19, 0
	s_and_not1_b32 s2, s34, exec_lo
	s_waitcnt vmcnt(0)
	v_cmp_ne_u64_e32 vcc_lo, v[37:38], v[39:40]
	s_and_b32 s34, vcc_lo, exec_lo
	s_delay_alu instid0(SALU_CYCLE_1)
	s_or_b32 s34, s2, s34
.LBB1715_179:                           ;   in Loop: Header=BB1715_180 Depth=1
	v_dual_mov_b32 v38, s19 :: v_dual_mov_b32 v37, s18
	s_and_b32 s2, exec_lo, s34
	s_delay_alu instid0(SALU_CYCLE_1) | instskip(NEXT) | instid1(SALU_CYCLE_1)
	s_or_b32 s33, s2, s33
	s_and_not1_b32 exec_lo, exec_lo, s33
	s_cbranch_execz .LBB1715_182
.LBB1715_180:                           ; =>This Inner Loop Header: Depth=1
	s_or_b32 s34, s34, exec_lo
	s_cmp_eq_u64 s[6:7], s[18:19]
	s_cbranch_scc0 .LBB1715_178
; %bb.181:                              ;   in Loop: Header=BB1715_180 Depth=1
	s_mov_b64 s[18:19], s[22:23]
                                        ; implicit-def: $vgpr33_vgpr34
                                        ; implicit-def: $vgpr35_vgpr36
	s_branch .LBB1715_179
.LBB1715_182:
	s_set_inst_prefetch_distance 0x2
	s_or_b32 exec_lo, exec_lo, s33
	v_cmp_gt_i64_e32 vcc_lo, s[22:23], v[37:38]
	s_or_not1_b32 s2, vcc_lo, exec_lo
.LBB1715_183:
	s_or_b32 exec_lo, exec_lo, s30
.LBB1715_184:
	s_delay_alu instid0(SALU_CYCLE_1)
	s_and_b32 s30, s2, exec_lo
.LBB1715_185:
	s_or_b32 exec_lo, exec_lo, s31
	v_or_b32_e32 v33, 1, v55
	s_mov_b32 s2, 0
	s_mov_b32 s31, exec_lo
	s_delay_alu instid0(VALU_DEP_1)
	v_cmpx_gt_u32_e64 s28, v33
	s_cbranch_execz .LBB1715_196
; %bb.186:
	v_cmp_ne_u32_e32 vcc_lo, 1, v41
	s_cbranch_vccnz .LBB1715_195
; %bb.187:
	v_mul_lo_u32 v37, v30, s22
	v_mul_lo_u32 v38, v29, s23
	v_mad_u64_u32 v[33:34], null, v29, s22, 0
	v_mul_lo_u32 v39, v32, s22
	v_mul_lo_u32 v40, v31, s23
	s_waitcnt lgkmcnt(0)
	v_mad_u64_u32 v[35:36], null, v31, s22, 0
	s_mov_b32 s2, -1
	s_mov_b32 s33, exec_lo
	s_delay_alu instid0(VALU_DEP_4) | instskip(NEXT) | instid1(VALU_DEP_2)
	v_add3_u32 v34, v34, v38, v37
	v_add3_u32 v36, v36, v40, v39
	s_delay_alu instid0(VALU_DEP_2) | instskip(NEXT) | instid1(VALU_DEP_2)
	v_lshlrev_b64 v[33:34], 3, v[33:34]
	v_lshlrev_b64 v[37:38], 3, v[35:36]
	s_delay_alu instid0(VALU_DEP_2) | instskip(NEXT) | instid1(VALU_DEP_3)
	v_add_co_u32 v35, vcc_lo, s8, v33
	v_add_co_ci_u32_e32 v36, vcc_lo, s9, v34, vcc_lo
	s_delay_alu instid0(VALU_DEP_3) | instskip(NEXT) | instid1(VALU_DEP_4)
	v_add_co_u32 v33, vcc_lo, s8, v37
	v_add_co_ci_u32_e32 v34, vcc_lo, s9, v38, vcc_lo
	s_clause 0x1
	global_load_b64 v[37:38], v[35:36], off
	global_load_b64 v[39:40], v[33:34], off
	s_waitcnt vmcnt(0)
	v_cmpx_eq_u64_e64 v[37:38], v[39:40]
	s_cbranch_execz .LBB1715_194
; %bb.188:
	v_add_co_u32 v33, vcc_lo, v33, 8
	v_add_co_ci_u32_e32 v34, vcc_lo, 0, v34, vcc_lo
	v_add_co_u32 v35, vcc_lo, v35, 8
	v_add_co_ci_u32_e32 v36, vcc_lo, 0, v36, vcc_lo
	s_add_u32 s6, s22, -1
	s_addc_u32 s7, s23, -1
	s_mov_b64 s[18:19], 0
	s_mov_b32 s34, 0
                                        ; implicit-def: $sgpr35
	s_set_inst_prefetch_distance 0x1
	s_branch .LBB1715_191
	.p2align	6
.LBB1715_189:                           ;   in Loop: Header=BB1715_191 Depth=1
	global_load_b64 v[37:38], v[35:36], off
	global_load_b64 v[39:40], v[33:34], off
	v_add_co_u32 v33, vcc_lo, v33, 8
	v_add_co_ci_u32_e32 v34, vcc_lo, 0, v34, vcc_lo
	v_add_co_u32 v35, s2, v35, 8
	s_delay_alu instid0(VALU_DEP_1)
	v_add_co_ci_u32_e64 v36, s2, 0, v36, s2
	s_add_u32 s18, s18, 1
	s_addc_u32 s19, s19, 0
	s_and_not1_b32 s2, s35, exec_lo
	s_waitcnt vmcnt(0)
	v_cmp_ne_u64_e32 vcc_lo, v[37:38], v[39:40]
	s_and_b32 s35, vcc_lo, exec_lo
	s_delay_alu instid0(SALU_CYCLE_1)
	s_or_b32 s35, s2, s35
.LBB1715_190:                           ;   in Loop: Header=BB1715_191 Depth=1
	v_dual_mov_b32 v38, s19 :: v_dual_mov_b32 v37, s18
	s_and_b32 s2, exec_lo, s35
	s_delay_alu instid0(SALU_CYCLE_1) | instskip(NEXT) | instid1(SALU_CYCLE_1)
	s_or_b32 s34, s2, s34
	s_and_not1_b32 exec_lo, exec_lo, s34
	s_cbranch_execz .LBB1715_193
.LBB1715_191:                           ; =>This Inner Loop Header: Depth=1
	s_or_b32 s35, s35, exec_lo
	s_cmp_eq_u64 s[6:7], s[18:19]
	s_cbranch_scc0 .LBB1715_189
; %bb.192:                              ;   in Loop: Header=BB1715_191 Depth=1
	s_mov_b64 s[18:19], s[22:23]
                                        ; implicit-def: $vgpr33_vgpr34
                                        ; implicit-def: $vgpr35_vgpr36
	s_branch .LBB1715_190
.LBB1715_193:
	s_set_inst_prefetch_distance 0x2
	s_or_b32 exec_lo, exec_lo, s34
	v_cmp_gt_i64_e32 vcc_lo, s[22:23], v[37:38]
	s_or_not1_b32 s2, vcc_lo, exec_lo
.LBB1715_194:
	s_or_b32 exec_lo, exec_lo, s33
.LBB1715_195:
	s_delay_alu instid0(SALU_CYCLE_1)
	s_and_b32 s2, s2, exec_lo
.LBB1715_196:
	s_or_b32 exec_lo, exec_lo, s31
	s_waitcnt lgkmcnt(0)
	v_dual_mov_b32 v34, s5 :: v_dual_mov_b32 v33, s4
	s_mov_b32 s4, exec_lo
	s_barrier
	buffer_gl0_inv
	v_cmpx_ne_u32_e32 0, v0
	s_cbranch_execz .LBB1715_198
; %bb.197:
	v_add_nc_u32_e32 v33, -8, v55
	ds_load_b64 v[33:34], v33
.LBB1715_198:
	s_or_b32 exec_lo, exec_lo, s4
	v_cndmask_b32_e64 v36, 0, 1, s29
	v_cndmask_b32_e64 v38, 0, 1, s25
	;; [unrolled: 1-line block ×7, first 2 shown]
	v_lshlrev_b16 v36, 8, v36
	v_lshlrev_b16 v38, 8, v38
	;; [unrolled: 1-line block ×3, first 2 shown]
	s_mov_b32 s2, 0
	v_lshlrev_b16 v42, 8, v42
	v_or_b32_e32 v35, v35, v36
	v_or_b32_e32 v36, v37, v38
	;; [unrolled: 1-line block ×3, first 2 shown]
	s_mov_b32 s3, exec_lo
	v_and_b32_e32 v39, 0xffff, v42
	v_lshlrev_b32_e32 v40, 16, v35
	v_and_b32_e32 v42, 0xffff, v36
	v_lshlrev_b32_e32 v43, 16, v37
	v_cmpx_gt_u32_e64 s28, v55
	s_cbranch_execz .LBB1715_209
; %bb.199:
	v_cmp_ne_u32_e32 vcc_lo, 1, v41
	s_cbranch_vccnz .LBB1715_208
; %bb.200:
	s_waitcnt lgkmcnt(0)
	v_mul_lo_u32 v38, v34, s22
	v_mul_lo_u32 v41, v33, s23
	v_mad_u64_u32 v[34:35], null, v33, s22, 0
	v_mul_lo_u32 v33, v30, s22
	v_mul_lo_u32 v44, v29, s23
	v_mad_u64_u32 v[36:37], null, v29, s22, 0
	s_mov_b32 s2, -1
	s_mov_b32 s18, exec_lo
	s_delay_alu instid0(VALU_DEP_4) | instskip(NEXT) | instid1(VALU_DEP_2)
	v_add3_u32 v35, v35, v41, v38
	v_add3_u32 v37, v37, v44, v33
	s_delay_alu instid0(VALU_DEP_2) | instskip(NEXT) | instid1(VALU_DEP_2)
	v_lshlrev_b64 v[33:34], 3, v[34:35]
	v_lshlrev_b64 v[37:38], 3, v[36:37]
	s_delay_alu instid0(VALU_DEP_2) | instskip(NEXT) | instid1(VALU_DEP_3)
	v_add_co_u32 v35, vcc_lo, s8, v33
	v_add_co_ci_u32_e32 v36, vcc_lo, s9, v34, vcc_lo
	s_delay_alu instid0(VALU_DEP_3) | instskip(NEXT) | instid1(VALU_DEP_4)
	v_add_co_u32 v33, vcc_lo, s8, v37
	v_add_co_ci_u32_e32 v34, vcc_lo, s9, v38, vcc_lo
	s_clause 0x1
	global_load_b64 v[37:38], v[35:36], off
	global_load_b64 v[44:45], v[33:34], off
	s_waitcnt vmcnt(0)
	v_cmpx_eq_u64_e64 v[37:38], v[44:45]
	s_cbranch_execz .LBB1715_207
; %bb.201:
	v_add_co_u32 v33, vcc_lo, v33, 8
	v_add_co_ci_u32_e32 v34, vcc_lo, 0, v34, vcc_lo
	v_add_co_u32 v35, vcc_lo, v35, 8
	v_add_co_ci_u32_e32 v36, vcc_lo, 0, v36, vcc_lo
	s_add_u32 s4, s22, -1
	s_addc_u32 s5, s23, -1
	s_mov_b64 s[6:7], 0
	s_mov_b32 s19, 0
                                        ; implicit-def: $sgpr25
	s_set_inst_prefetch_distance 0x1
	s_branch .LBB1715_204
	.p2align	6
.LBB1715_202:                           ;   in Loop: Header=BB1715_204 Depth=1
	global_load_b64 v[37:38], v[35:36], off
	global_load_b64 v[44:45], v[33:34], off
	v_add_co_u32 v33, vcc_lo, v33, 8
	v_add_co_ci_u32_e32 v34, vcc_lo, 0, v34, vcc_lo
	v_add_co_u32 v35, s2, v35, 8
	s_delay_alu instid0(VALU_DEP_1)
	v_add_co_ci_u32_e64 v36, s2, 0, v36, s2
	s_add_u32 s6, s6, 1
	s_addc_u32 s7, s7, 0
	s_and_not1_b32 s2, s25, exec_lo
	s_waitcnt vmcnt(0)
	v_cmp_ne_u64_e32 vcc_lo, v[37:38], v[44:45]
	s_and_b32 s25, vcc_lo, exec_lo
	s_delay_alu instid0(SALU_CYCLE_1)
	s_or_b32 s25, s2, s25
.LBB1715_203:                           ;   in Loop: Header=BB1715_204 Depth=1
	v_dual_mov_b32 v38, s7 :: v_dual_mov_b32 v37, s6
	s_and_b32 s2, exec_lo, s25
	s_delay_alu instid0(SALU_CYCLE_1) | instskip(NEXT) | instid1(SALU_CYCLE_1)
	s_or_b32 s19, s2, s19
	s_and_not1_b32 exec_lo, exec_lo, s19
	s_cbranch_execz .LBB1715_206
.LBB1715_204:                           ; =>This Inner Loop Header: Depth=1
	s_or_b32 s25, s25, exec_lo
	s_cmp_eq_u64 s[4:5], s[6:7]
	s_cbranch_scc0 .LBB1715_202
; %bb.205:                              ;   in Loop: Header=BB1715_204 Depth=1
	s_mov_b64 s[6:7], s[22:23]
                                        ; implicit-def: $vgpr33_vgpr34
                                        ; implicit-def: $vgpr35_vgpr36
	s_branch .LBB1715_203
.LBB1715_206:
	s_set_inst_prefetch_distance 0x2
	s_or_b32 exec_lo, exec_lo, s19
	v_cmp_gt_i64_e32 vcc_lo, s[22:23], v[37:38]
	s_or_not1_b32 s2, vcc_lo, exec_lo
.LBB1715_207:
	s_or_b32 exec_lo, exec_lo, s18
.LBB1715_208:
	s_delay_alu instid0(SALU_CYCLE_1)
	s_and_b32 s2, s2, exec_lo
.LBB1715_209:
	s_or_b32 exec_lo, exec_lo, s3
	s_waitcnt lgkmcnt(0)
	v_or_b32_e32 v33, v39, v40
	v_or_b32_e32 v34, v42, v43
.LBB1715_210:
	s_waitcnt lgkmcnt(0)
	s_mov_b32 s3, -1
	s_cbranch_execnz .LBB1715_379
.LBB1715_211:
	v_cmp_gt_i64_e64 s18, s[22:23], 0
	s_and_b32 vcc_lo, exec_lo, s20
	ds_store_b64 v55, v[19:20]
	s_cbranch_vccz .LBB1715_219
; %bb.212:
	v_mul_lo_u32 v35, v18, s22
	v_mul_lo_u32 v36, v17, s23
	v_mad_u64_u32 v[33:34], null, v17, s22, 0
	s_mov_b32 s19, 0
	s_and_not1_b32 vcc_lo, exec_lo, s18
	s_mov_b32 s25, 0
	s_delay_alu instid0(VALU_DEP_1) | instskip(NEXT) | instid1(VALU_DEP_1)
	v_add3_u32 v34, v34, v36, v35
	v_lshlrev_b64 v[33:34], 3, v[33:34]
	s_cbranch_vccnz .LBB1715_222
; %bb.213:
	v_mul_lo_u32 v37, v20, s22
	v_mul_lo_u32 v38, v19, s23
	v_mad_u64_u32 v[35:36], null, v19, s22, 0
	s_mov_b32 s25, -1
	s_mov_b32 s26, exec_lo
	s_delay_alu instid0(VALU_DEP_1) | instskip(SKIP_2) | instid1(VALU_DEP_3)
	v_add3_u32 v36, v36, v38, v37
	v_add_co_u32 v37, vcc_lo, s8, v33
	v_add_co_ci_u32_e32 v38, vcc_lo, s9, v34, vcc_lo
	v_lshlrev_b64 v[35:36], 3, v[35:36]
	s_delay_alu instid0(VALU_DEP_1) | instskip(NEXT) | instid1(VALU_DEP_2)
	v_add_co_u32 v35, vcc_lo, s8, v35
	v_add_co_ci_u32_e32 v36, vcc_lo, s9, v36, vcc_lo
	s_clause 0x1
	global_load_b64 v[39:40], v[37:38], off
	global_load_b64 v[41:42], v[35:36], off
	s_waitcnt vmcnt(0)
	v_cmpx_eq_u64_e64 v[39:40], v[41:42]
	s_cbranch_execz .LBB1715_221
; %bb.214:
	v_add_co_u32 v35, vcc_lo, v35, 8
	v_add_co_ci_u32_e32 v36, vcc_lo, 0, v36, vcc_lo
	v_add_co_u32 v37, vcc_lo, v37, 8
	v_add_co_ci_u32_e32 v38, vcc_lo, 0, v38, vcc_lo
	s_add_u32 s4, s22, -1
	s_addc_u32 s5, s23, -1
	s_mov_b64 s[6:7], 0
	s_mov_b32 s25, 0
                                        ; implicit-def: $sgpr27
	s_set_inst_prefetch_distance 0x1
	s_branch .LBB1715_217
	.p2align	6
.LBB1715_215:                           ;   in Loop: Header=BB1715_217 Depth=1
	global_load_b64 v[39:40], v[37:38], off
	global_load_b64 v[41:42], v[35:36], off
	v_add_co_u32 v35, vcc_lo, v35, 8
	v_add_co_ci_u32_e32 v36, vcc_lo, 0, v36, vcc_lo
	v_add_co_u32 v37, s2, v37, 8
	s_delay_alu instid0(VALU_DEP_1)
	v_add_co_ci_u32_e64 v38, s2, 0, v38, s2
	s_add_u32 s6, s6, 1
	s_addc_u32 s7, s7, 0
	s_and_not1_b32 s2, s27, exec_lo
	s_waitcnt vmcnt(0)
	v_cmp_ne_u64_e32 vcc_lo, v[39:40], v[41:42]
	s_and_b32 s27, vcc_lo, exec_lo
	s_delay_alu instid0(SALU_CYCLE_1)
	s_or_b32 s27, s2, s27
.LBB1715_216:                           ;   in Loop: Header=BB1715_217 Depth=1
	v_dual_mov_b32 v40, s7 :: v_dual_mov_b32 v39, s6
	s_and_b32 s2, exec_lo, s27
	s_delay_alu instid0(SALU_CYCLE_1) | instskip(NEXT) | instid1(SALU_CYCLE_1)
	s_or_b32 s25, s2, s25
	s_and_not1_b32 exec_lo, exec_lo, s25
	s_cbranch_execz .LBB1715_220
.LBB1715_217:                           ; =>This Inner Loop Header: Depth=1
	s_or_b32 s27, s27, exec_lo
	s_cmp_eq_u64 s[4:5], s[6:7]
	s_cbranch_scc0 .LBB1715_215
; %bb.218:                              ;   in Loop: Header=BB1715_217 Depth=1
	s_mov_b64 s[6:7], s[22:23]
                                        ; implicit-def: $vgpr35_vgpr36
                                        ; implicit-def: $vgpr37_vgpr38
	s_branch .LBB1715_216
.LBB1715_219:
                                        ; implicit-def: $sgpr2
                                        ; implicit-def: $vgpr34
	s_cbranch_execnz .LBB1715_288
	s_branch .LBB1715_379
.LBB1715_220:
	s_set_inst_prefetch_distance 0x2
	s_or_b32 exec_lo, exec_lo, s25
	v_cmp_gt_i64_e32 vcc_lo, s[22:23], v[39:40]
	s_or_not1_b32 s25, vcc_lo, exec_lo
.LBB1715_221:
	s_or_b32 exec_lo, exec_lo, s26
.LBB1715_222:
	v_mul_lo_u32 v37, v24, s22
	v_mul_lo_u32 v38, v23, s23
	v_mad_u64_u32 v[35:36], null, v23, s22, 0
	s_and_not1_b32 vcc_lo, exec_lo, s18
	s_delay_alu instid0(VALU_DEP_1) | instskip(NEXT) | instid1(VALU_DEP_1)
	v_add3_u32 v36, v36, v38, v37
	v_lshlrev_b64 v[35:36], 3, v[35:36]
	s_cbranch_vccnz .LBB1715_231
; %bb.223:
	s_delay_alu instid0(VALU_DEP_1) | instskip(NEXT) | instid1(VALU_DEP_2)
	v_add_co_u32 v37, vcc_lo, s8, v35
	v_add_co_ci_u32_e32 v38, vcc_lo, s9, v36, vcc_lo
	v_add_co_u32 v33, vcc_lo, s8, v33
	v_add_co_ci_u32_e32 v34, vcc_lo, s9, v34, vcc_lo
	s_mov_b32 s19, -1
	s_clause 0x1
	global_load_b64 v[39:40], v[37:38], off
	global_load_b64 v[41:42], v[33:34], off
	s_mov_b32 s26, exec_lo
	s_waitcnt vmcnt(0)
	v_cmpx_eq_u64_e64 v[39:40], v[41:42]
	s_cbranch_execz .LBB1715_230
; %bb.224:
	v_add_co_u32 v33, vcc_lo, v33, 8
	v_add_co_ci_u32_e32 v34, vcc_lo, 0, v34, vcc_lo
	v_add_co_u32 v37, vcc_lo, v37, 8
	v_add_co_ci_u32_e32 v38, vcc_lo, 0, v38, vcc_lo
	s_add_u32 s4, s22, -1
	s_addc_u32 s5, s23, -1
	s_mov_b64 s[6:7], 0
	s_mov_b32 s19, 0
                                        ; implicit-def: $sgpr27
	s_set_inst_prefetch_distance 0x1
	s_branch .LBB1715_227
	.p2align	6
.LBB1715_225:                           ;   in Loop: Header=BB1715_227 Depth=1
	global_load_b64 v[39:40], v[37:38], off
	global_load_b64 v[41:42], v[33:34], off
	v_add_co_u32 v33, vcc_lo, v33, 8
	v_add_co_ci_u32_e32 v34, vcc_lo, 0, v34, vcc_lo
	v_add_co_u32 v37, s2, v37, 8
	s_delay_alu instid0(VALU_DEP_1)
	v_add_co_ci_u32_e64 v38, s2, 0, v38, s2
	s_add_u32 s6, s6, 1
	s_addc_u32 s7, s7, 0
	s_and_not1_b32 s2, s27, exec_lo
	s_waitcnt vmcnt(0)
	v_cmp_ne_u64_e32 vcc_lo, v[39:40], v[41:42]
	s_and_b32 s27, vcc_lo, exec_lo
	s_delay_alu instid0(SALU_CYCLE_1)
	s_or_b32 s27, s2, s27
.LBB1715_226:                           ;   in Loop: Header=BB1715_227 Depth=1
	v_dual_mov_b32 v40, s7 :: v_dual_mov_b32 v39, s6
	s_and_b32 s2, exec_lo, s27
	s_delay_alu instid0(SALU_CYCLE_1) | instskip(NEXT) | instid1(SALU_CYCLE_1)
	s_or_b32 s19, s2, s19
	s_and_not1_b32 exec_lo, exec_lo, s19
	s_cbranch_execz .LBB1715_229
.LBB1715_227:                           ; =>This Inner Loop Header: Depth=1
	s_or_b32 s27, s27, exec_lo
	s_cmp_eq_u64 s[4:5], s[6:7]
	s_cbranch_scc0 .LBB1715_225
; %bb.228:                              ;   in Loop: Header=BB1715_227 Depth=1
	s_mov_b64 s[6:7], s[22:23]
                                        ; implicit-def: $vgpr33_vgpr34
                                        ; implicit-def: $vgpr37_vgpr38
	s_branch .LBB1715_226
.LBB1715_229:
	s_set_inst_prefetch_distance 0x2
	s_or_b32 exec_lo, exec_lo, s19
	v_cmp_gt_i64_e32 vcc_lo, s[22:23], v[39:40]
	s_or_not1_b32 s19, vcc_lo, exec_lo
.LBB1715_230:
	s_or_b32 exec_lo, exec_lo, s26
.LBB1715_231:
	v_mul_lo_u32 v37, v22, s22
	v_mul_lo_u32 v38, v21, s23
	v_mad_u64_u32 v[33:34], null, v21, s22, 0
	s_mov_b32 s26, 0
	s_and_not1_b32 vcc_lo, exec_lo, s18
	s_mov_b32 s27, 0
	s_delay_alu instid0(VALU_DEP_1) | instskip(NEXT) | instid1(VALU_DEP_1)
	v_add3_u32 v34, v34, v38, v37
	v_lshlrev_b64 v[37:38], 3, v[33:34]
	s_cbranch_vccnz .LBB1715_240
; %bb.232:
	s_delay_alu instid0(VALU_DEP_1) | instskip(NEXT) | instid1(VALU_DEP_2)
	v_add_co_u32 v39, vcc_lo, s8, v37
	v_add_co_ci_u32_e32 v40, vcc_lo, s9, v38, vcc_lo
	v_add_co_u32 v33, vcc_lo, s8, v35
	v_add_co_ci_u32_e32 v34, vcc_lo, s9, v36, vcc_lo
	s_mov_b32 s27, -1
	s_clause 0x1
	global_load_b64 v[35:36], v[39:40], off
	global_load_b64 v[41:42], v[33:34], off
	s_mov_b32 s29, exec_lo
	s_waitcnt vmcnt(0)
	v_cmpx_eq_u64_e64 v[35:36], v[41:42]
	s_cbranch_execz .LBB1715_239
; %bb.233:
	v_add_co_u32 v33, vcc_lo, v33, 8
	v_add_co_ci_u32_e32 v34, vcc_lo, 0, v34, vcc_lo
	v_add_co_u32 v35, vcc_lo, v39, 8
	v_add_co_ci_u32_e32 v36, vcc_lo, 0, v40, vcc_lo
	s_add_u32 s4, s22, -1
	s_addc_u32 s5, s23, -1
	s_mov_b64 s[6:7], 0
	s_mov_b32 s27, 0
                                        ; implicit-def: $sgpr30
	s_set_inst_prefetch_distance 0x1
	s_branch .LBB1715_236
	.p2align	6
.LBB1715_234:                           ;   in Loop: Header=BB1715_236 Depth=1
	global_load_b64 v[39:40], v[35:36], off
	global_load_b64 v[41:42], v[33:34], off
	v_add_co_u32 v33, vcc_lo, v33, 8
	v_add_co_ci_u32_e32 v34, vcc_lo, 0, v34, vcc_lo
	v_add_co_u32 v35, s2, v35, 8
	s_delay_alu instid0(VALU_DEP_1)
	v_add_co_ci_u32_e64 v36, s2, 0, v36, s2
	s_add_u32 s6, s6, 1
	s_addc_u32 s7, s7, 0
	s_and_not1_b32 s2, s30, exec_lo
	s_waitcnt vmcnt(0)
	v_cmp_ne_u64_e32 vcc_lo, v[39:40], v[41:42]
	s_and_b32 s30, vcc_lo, exec_lo
	s_delay_alu instid0(SALU_CYCLE_1)
	s_or_b32 s30, s2, s30
.LBB1715_235:                           ;   in Loop: Header=BB1715_236 Depth=1
	v_dual_mov_b32 v40, s7 :: v_dual_mov_b32 v39, s6
	s_and_b32 s2, exec_lo, s30
	s_delay_alu instid0(SALU_CYCLE_1) | instskip(NEXT) | instid1(SALU_CYCLE_1)
	s_or_b32 s27, s2, s27
	s_and_not1_b32 exec_lo, exec_lo, s27
	s_cbranch_execz .LBB1715_238
.LBB1715_236:                           ; =>This Inner Loop Header: Depth=1
	s_or_b32 s30, s30, exec_lo
	s_cmp_eq_u64 s[4:5], s[6:7]
	s_cbranch_scc0 .LBB1715_234
; %bb.237:                              ;   in Loop: Header=BB1715_236 Depth=1
	s_mov_b64 s[6:7], s[22:23]
                                        ; implicit-def: $vgpr33_vgpr34
                                        ; implicit-def: $vgpr35_vgpr36
	s_branch .LBB1715_235
.LBB1715_238:
	s_set_inst_prefetch_distance 0x2
	s_or_b32 exec_lo, exec_lo, s27
	v_cmp_gt_i64_e32 vcc_lo, s[22:23], v[39:40]
	s_or_not1_b32 s27, vcc_lo, exec_lo
.LBB1715_239:
	s_or_b32 exec_lo, exec_lo, s29
.LBB1715_240:
	v_mul_lo_u32 v35, v28, s22
	v_mul_lo_u32 v36, v27, s23
	v_mad_u64_u32 v[33:34], null, v27, s22, 0
	s_and_not1_b32 vcc_lo, exec_lo, s18
	s_delay_alu instid0(VALU_DEP_1) | instskip(NEXT) | instid1(VALU_DEP_1)
	v_add3_u32 v34, v34, v36, v35
	v_lshlrev_b64 v[33:34], 3, v[33:34]
	s_cbranch_vccnz .LBB1715_249
; %bb.241:
	s_delay_alu instid0(VALU_DEP_1) | instskip(NEXT) | instid1(VALU_DEP_2)
	v_add_co_u32 v39, vcc_lo, s8, v33
	v_add_co_ci_u32_e32 v40, vcc_lo, s9, v34, vcc_lo
	v_add_co_u32 v35, vcc_lo, s8, v37
	v_add_co_ci_u32_e32 v36, vcc_lo, s9, v38, vcc_lo
	s_mov_b32 s26, -1
	s_clause 0x1
	global_load_b64 v[37:38], v[39:40], off
	global_load_b64 v[41:42], v[35:36], off
	s_mov_b32 s29, exec_lo
	s_waitcnt vmcnt(0)
	v_cmpx_eq_u64_e64 v[37:38], v[41:42]
	s_cbranch_execz .LBB1715_248
; %bb.242:
	v_add_co_u32 v35, vcc_lo, v35, 8
	v_add_co_ci_u32_e32 v36, vcc_lo, 0, v36, vcc_lo
	v_add_co_u32 v37, vcc_lo, v39, 8
	v_add_co_ci_u32_e32 v38, vcc_lo, 0, v40, vcc_lo
	s_add_u32 s4, s22, -1
	s_addc_u32 s5, s23, -1
	s_mov_b64 s[6:7], 0
	s_mov_b32 s26, 0
                                        ; implicit-def: $sgpr30
	s_set_inst_prefetch_distance 0x1
	s_branch .LBB1715_245
	.p2align	6
.LBB1715_243:                           ;   in Loop: Header=BB1715_245 Depth=1
	global_load_b64 v[39:40], v[37:38], off
	global_load_b64 v[41:42], v[35:36], off
	v_add_co_u32 v35, vcc_lo, v35, 8
	v_add_co_ci_u32_e32 v36, vcc_lo, 0, v36, vcc_lo
	v_add_co_u32 v37, s2, v37, 8
	s_delay_alu instid0(VALU_DEP_1)
	v_add_co_ci_u32_e64 v38, s2, 0, v38, s2
	s_add_u32 s6, s6, 1
	s_addc_u32 s7, s7, 0
	s_and_not1_b32 s2, s30, exec_lo
	s_waitcnt vmcnt(0)
	v_cmp_ne_u64_e32 vcc_lo, v[39:40], v[41:42]
	s_and_b32 s30, vcc_lo, exec_lo
	s_delay_alu instid0(SALU_CYCLE_1)
	s_or_b32 s30, s2, s30
.LBB1715_244:                           ;   in Loop: Header=BB1715_245 Depth=1
	v_dual_mov_b32 v40, s7 :: v_dual_mov_b32 v39, s6
	s_and_b32 s2, exec_lo, s30
	s_delay_alu instid0(SALU_CYCLE_1) | instskip(NEXT) | instid1(SALU_CYCLE_1)
	s_or_b32 s26, s2, s26
	s_and_not1_b32 exec_lo, exec_lo, s26
	s_cbranch_execz .LBB1715_247
.LBB1715_245:                           ; =>This Inner Loop Header: Depth=1
	s_or_b32 s30, s30, exec_lo
	s_cmp_eq_u64 s[4:5], s[6:7]
	s_cbranch_scc0 .LBB1715_243
; %bb.246:                              ;   in Loop: Header=BB1715_245 Depth=1
	s_mov_b64 s[6:7], s[22:23]
                                        ; implicit-def: $vgpr35_vgpr36
                                        ; implicit-def: $vgpr37_vgpr38
	s_branch .LBB1715_244
.LBB1715_247:
	s_set_inst_prefetch_distance 0x2
	s_or_b32 exec_lo, exec_lo, s26
	v_cmp_gt_i64_e32 vcc_lo, s[22:23], v[39:40]
	s_or_not1_b32 s26, vcc_lo, exec_lo
.LBB1715_248:
	s_or_b32 exec_lo, exec_lo, s29
.LBB1715_249:
	v_mul_lo_u32 v37, v26, s22
	v_mul_lo_u32 v38, v25, s23
	v_mad_u64_u32 v[35:36], null, v25, s22, 0
	s_mov_b32 s29, 0
	s_and_not1_b32 vcc_lo, exec_lo, s18
	s_mov_b32 s30, 0
	s_delay_alu instid0(VALU_DEP_1) | instskip(NEXT) | instid1(VALU_DEP_1)
	v_add3_u32 v36, v36, v38, v37
	v_lshlrev_b64 v[35:36], 3, v[35:36]
	s_cbranch_vccnz .LBB1715_258
; %bb.250:
	s_delay_alu instid0(VALU_DEP_1) | instskip(NEXT) | instid1(VALU_DEP_2)
	v_add_co_u32 v37, vcc_lo, s8, v35
	v_add_co_ci_u32_e32 v38, vcc_lo, s9, v36, vcc_lo
	v_add_co_u32 v33, vcc_lo, s8, v33
	v_add_co_ci_u32_e32 v34, vcc_lo, s9, v34, vcc_lo
	s_mov_b32 s30, -1
	s_clause 0x1
	global_load_b64 v[39:40], v[37:38], off
	global_load_b64 v[41:42], v[33:34], off
	s_mov_b32 s31, exec_lo
	s_waitcnt vmcnt(0)
	v_cmpx_eq_u64_e64 v[39:40], v[41:42]
	s_cbranch_execz .LBB1715_257
; %bb.251:
	v_add_co_u32 v33, vcc_lo, v33, 8
	v_add_co_ci_u32_e32 v34, vcc_lo, 0, v34, vcc_lo
	v_add_co_u32 v37, vcc_lo, v37, 8
	v_add_co_ci_u32_e32 v38, vcc_lo, 0, v38, vcc_lo
	s_add_u32 s4, s22, -1
	s_addc_u32 s5, s23, -1
	s_mov_b64 s[6:7], 0
	s_mov_b32 s30, 0
                                        ; implicit-def: $sgpr33
	s_set_inst_prefetch_distance 0x1
	s_branch .LBB1715_254
	.p2align	6
.LBB1715_252:                           ;   in Loop: Header=BB1715_254 Depth=1
	global_load_b64 v[39:40], v[37:38], off
	global_load_b64 v[41:42], v[33:34], off
	v_add_co_u32 v33, vcc_lo, v33, 8
	v_add_co_ci_u32_e32 v34, vcc_lo, 0, v34, vcc_lo
	v_add_co_u32 v37, s2, v37, 8
	s_delay_alu instid0(VALU_DEP_1)
	v_add_co_ci_u32_e64 v38, s2, 0, v38, s2
	s_add_u32 s6, s6, 1
	s_addc_u32 s7, s7, 0
	s_and_not1_b32 s2, s33, exec_lo
	s_waitcnt vmcnt(0)
	v_cmp_ne_u64_e32 vcc_lo, v[39:40], v[41:42]
	s_and_b32 s33, vcc_lo, exec_lo
	s_delay_alu instid0(SALU_CYCLE_1)
	s_or_b32 s33, s2, s33
.LBB1715_253:                           ;   in Loop: Header=BB1715_254 Depth=1
	v_dual_mov_b32 v40, s7 :: v_dual_mov_b32 v39, s6
	s_and_b32 s2, exec_lo, s33
	s_delay_alu instid0(SALU_CYCLE_1) | instskip(NEXT) | instid1(SALU_CYCLE_1)
	s_or_b32 s30, s2, s30
	s_and_not1_b32 exec_lo, exec_lo, s30
	s_cbranch_execz .LBB1715_256
.LBB1715_254:                           ; =>This Inner Loop Header: Depth=1
	s_or_b32 s33, s33, exec_lo
	s_cmp_eq_u64 s[4:5], s[6:7]
	s_cbranch_scc0 .LBB1715_252
; %bb.255:                              ;   in Loop: Header=BB1715_254 Depth=1
	s_mov_b64 s[6:7], s[22:23]
                                        ; implicit-def: $vgpr33_vgpr34
                                        ; implicit-def: $vgpr37_vgpr38
	s_branch .LBB1715_253
.LBB1715_256:
	s_set_inst_prefetch_distance 0x2
	s_or_b32 exec_lo, exec_lo, s30
	v_cmp_gt_i64_e32 vcc_lo, s[22:23], v[39:40]
	s_or_not1_b32 s30, vcc_lo, exec_lo
.LBB1715_257:
	s_or_b32 exec_lo, exec_lo, s31
.LBB1715_258:
	v_mul_lo_u32 v37, v32, s22
	v_mul_lo_u32 v38, v31, s23
	v_mad_u64_u32 v[33:34], null, v31, s22, 0
	s_and_not1_b32 vcc_lo, exec_lo, s18
	s_delay_alu instid0(VALU_DEP_1) | instskip(NEXT) | instid1(VALU_DEP_1)
	v_add3_u32 v34, v34, v38, v37
	v_lshlrev_b64 v[33:34], 3, v[33:34]
	s_cbranch_vccnz .LBB1715_267
; %bb.259:
	s_delay_alu instid0(VALU_DEP_1) | instskip(NEXT) | instid1(VALU_DEP_2)
	v_add_co_u32 v37, vcc_lo, s8, v33
	v_add_co_ci_u32_e32 v38, vcc_lo, s9, v34, vcc_lo
	v_add_co_u32 v35, vcc_lo, s8, v35
	v_add_co_ci_u32_e32 v36, vcc_lo, s9, v36, vcc_lo
	s_mov_b32 s29, -1
	s_clause 0x1
	global_load_b64 v[39:40], v[37:38], off
	global_load_b64 v[41:42], v[35:36], off
	s_mov_b32 s31, exec_lo
	s_waitcnt vmcnt(0)
	v_cmpx_eq_u64_e64 v[39:40], v[41:42]
	s_cbranch_execz .LBB1715_266
; %bb.260:
	v_add_co_u32 v35, vcc_lo, v35, 8
	v_add_co_ci_u32_e32 v36, vcc_lo, 0, v36, vcc_lo
	v_add_co_u32 v37, vcc_lo, v37, 8
	v_add_co_ci_u32_e32 v38, vcc_lo, 0, v38, vcc_lo
	s_add_u32 s4, s22, -1
	s_addc_u32 s5, s23, -1
	s_mov_b64 s[6:7], 0
	s_mov_b32 s29, 0
                                        ; implicit-def: $sgpr33
	s_set_inst_prefetch_distance 0x1
	s_branch .LBB1715_263
	.p2align	6
.LBB1715_261:                           ;   in Loop: Header=BB1715_263 Depth=1
	global_load_b64 v[39:40], v[37:38], off
	global_load_b64 v[41:42], v[35:36], off
	v_add_co_u32 v35, vcc_lo, v35, 8
	v_add_co_ci_u32_e32 v36, vcc_lo, 0, v36, vcc_lo
	v_add_co_u32 v37, s2, v37, 8
	s_delay_alu instid0(VALU_DEP_1)
	v_add_co_ci_u32_e64 v38, s2, 0, v38, s2
	s_add_u32 s6, s6, 1
	s_addc_u32 s7, s7, 0
	s_and_not1_b32 s2, s33, exec_lo
	s_waitcnt vmcnt(0)
	v_cmp_ne_u64_e32 vcc_lo, v[39:40], v[41:42]
	s_and_b32 s33, vcc_lo, exec_lo
	s_delay_alu instid0(SALU_CYCLE_1)
	s_or_b32 s33, s2, s33
.LBB1715_262:                           ;   in Loop: Header=BB1715_263 Depth=1
	v_dual_mov_b32 v40, s7 :: v_dual_mov_b32 v39, s6
	s_and_b32 s2, exec_lo, s33
	s_delay_alu instid0(SALU_CYCLE_1) | instskip(NEXT) | instid1(SALU_CYCLE_1)
	s_or_b32 s29, s2, s29
	s_and_not1_b32 exec_lo, exec_lo, s29
	s_cbranch_execz .LBB1715_265
.LBB1715_263:                           ; =>This Inner Loop Header: Depth=1
	s_or_b32 s33, s33, exec_lo
	s_cmp_eq_u64 s[4:5], s[6:7]
	s_cbranch_scc0 .LBB1715_261
; %bb.264:                              ;   in Loop: Header=BB1715_263 Depth=1
	s_mov_b64 s[6:7], s[22:23]
                                        ; implicit-def: $vgpr35_vgpr36
                                        ; implicit-def: $vgpr37_vgpr38
	s_branch .LBB1715_262
.LBB1715_265:
	s_set_inst_prefetch_distance 0x2
	s_or_b32 exec_lo, exec_lo, s29
	v_cmp_gt_i64_e32 vcc_lo, s[22:23], v[39:40]
	s_or_not1_b32 s29, vcc_lo, exec_lo
.LBB1715_266:
	s_or_b32 exec_lo, exec_lo, s31
.LBB1715_267:
	v_mul_lo_u32 v37, v30, s22
	v_mul_lo_u32 v38, v29, s23
	v_mad_u64_u32 v[35:36], null, v29, s22, 0
	s_and_not1_b32 vcc_lo, exec_lo, s18
	s_mov_b32 s2, 0
	s_delay_alu instid0(VALU_DEP_1)
	v_add3_u32 v36, v36, v38, v37
	s_cbranch_vccnz .LBB1715_276
; %bb.268:
	s_delay_alu instid0(VALU_DEP_1) | instskip(SKIP_2) | instid1(VALU_DEP_1)
	v_lshlrev_b64 v[37:38], 3, v[35:36]
	s_mov_b32 s2, -1
	s_mov_b32 s31, exec_lo
	v_add_co_u32 v37, vcc_lo, s8, v37
	s_delay_alu instid0(VALU_DEP_2)
	v_add_co_ci_u32_e32 v38, vcc_lo, s9, v38, vcc_lo
	v_add_co_u32 v33, vcc_lo, s8, v33
	v_add_co_ci_u32_e32 v34, vcc_lo, s9, v34, vcc_lo
	s_clause 0x1
	global_load_b64 v[39:40], v[37:38], off
	global_load_b64 v[41:42], v[33:34], off
	s_waitcnt vmcnt(0)
	v_cmpx_eq_u64_e64 v[39:40], v[41:42]
	s_cbranch_execz .LBB1715_275
; %bb.269:
	v_add_co_u32 v33, vcc_lo, v33, 8
	v_add_co_ci_u32_e32 v34, vcc_lo, 0, v34, vcc_lo
	v_add_co_u32 v37, vcc_lo, v37, 8
	v_add_co_ci_u32_e32 v38, vcc_lo, 0, v38, vcc_lo
	s_add_u32 s4, s22, -1
	s_addc_u32 s5, s23, -1
	s_mov_b64 s[6:7], 0
	s_mov_b32 s33, 0
                                        ; implicit-def: $sgpr34
	s_set_inst_prefetch_distance 0x1
	s_branch .LBB1715_272
	.p2align	6
.LBB1715_270:                           ;   in Loop: Header=BB1715_272 Depth=1
	global_load_b64 v[39:40], v[37:38], off
	global_load_b64 v[41:42], v[33:34], off
	v_add_co_u32 v33, vcc_lo, v33, 8
	v_add_co_ci_u32_e32 v34, vcc_lo, 0, v34, vcc_lo
	v_add_co_u32 v37, s2, v37, 8
	s_delay_alu instid0(VALU_DEP_1)
	v_add_co_ci_u32_e64 v38, s2, 0, v38, s2
	s_add_u32 s6, s6, 1
	s_addc_u32 s7, s7, 0
	s_and_not1_b32 s2, s34, exec_lo
	s_waitcnt vmcnt(0)
	v_cmp_ne_u64_e32 vcc_lo, v[39:40], v[41:42]
	s_and_b32 s34, vcc_lo, exec_lo
	s_delay_alu instid0(SALU_CYCLE_1)
	s_or_b32 s34, s2, s34
.LBB1715_271:                           ;   in Loop: Header=BB1715_272 Depth=1
	v_dual_mov_b32 v40, s7 :: v_dual_mov_b32 v39, s6
	s_and_b32 s2, exec_lo, s34
	s_delay_alu instid0(SALU_CYCLE_1) | instskip(NEXT) | instid1(SALU_CYCLE_1)
	s_or_b32 s33, s2, s33
	s_and_not1_b32 exec_lo, exec_lo, s33
	s_cbranch_execz .LBB1715_274
.LBB1715_272:                           ; =>This Inner Loop Header: Depth=1
	s_or_b32 s34, s34, exec_lo
	s_cmp_eq_u64 s[4:5], s[6:7]
	s_cbranch_scc0 .LBB1715_270
; %bb.273:                              ;   in Loop: Header=BB1715_272 Depth=1
	s_mov_b64 s[6:7], s[22:23]
                                        ; implicit-def: $vgpr33_vgpr34
                                        ; implicit-def: $vgpr37_vgpr38
	s_branch .LBB1715_271
.LBB1715_274:
	s_set_inst_prefetch_distance 0x2
	s_or_b32 exec_lo, exec_lo, s33
	v_cmp_gt_i64_e32 vcc_lo, s[22:23], v[39:40]
	s_or_not1_b32 s2, vcc_lo, exec_lo
.LBB1715_275:
	s_or_b32 exec_lo, exec_lo, s31
.LBB1715_276:
	v_cndmask_b32_e64 v34, 0, 1, s30
	v_cndmask_b32_e64 v37, 0, 1, s27
	;; [unrolled: 1-line block ×7, first 2 shown]
	v_lshlrev_b16 v37, 8, v37
	v_lshlrev_b16 v38, 8, v38
	;; [unrolled: 1-line block ×4, first 2 shown]
	s_waitcnt lgkmcnt(0)
	v_or_b32_e32 v37, v40, v37
	v_or_b32_e32 v38, v41, v38
	;; [unrolled: 1-line block ×4, first 2 shown]
	s_barrier
	v_and_b32_e32 v34, 0xffff, v37
	v_lshlrev_b32_e32 v37, 16, v38
	v_and_b32_e32 v38, 0xffff, v39
	v_lshlrev_b32_e32 v33, 16, v33
	buffer_gl0_inv
                                        ; implicit-def: $sgpr2
	s_mov_b32 s4, exec_lo
	v_or_b32_e32 v34, v34, v37
	v_or_b32_e32 v33, v38, v33
	v_cmpx_ne_u32_e32 0, v0
	s_xor_b32 s19, exec_lo, s4
	s_cbranch_execz .LBB1715_287
; %bb.277:
	s_and_not1_b32 vcc_lo, exec_lo, s18
	s_mov_b32 s2, 0
	s_cbranch_vccnz .LBB1715_286
; %bb.278:
	v_add_nc_u32_e32 v37, -8, v55
	v_lshlrev_b64 v[35:36], 3, v[35:36]
	s_mov_b32 s2, -1
	s_mov_b32 s25, exec_lo
	ds_load_b64 v[37:38], v37
	s_waitcnt lgkmcnt(0)
	v_mul_lo_u32 v40, v38, s22
	v_mul_lo_u32 v41, v37, s23
	v_mad_u64_u32 v[38:39], null, v37, s22, 0
	s_delay_alu instid0(VALU_DEP_1) | instskip(NEXT) | instid1(VALU_DEP_1)
	v_add3_u32 v39, v39, v41, v40
	v_lshlrev_b64 v[37:38], 3, v[38:39]
	s_delay_alu instid0(VALU_DEP_1) | instskip(NEXT) | instid1(VALU_DEP_2)
	v_add_co_u32 v37, vcc_lo, s8, v37
	v_add_co_ci_u32_e32 v38, vcc_lo, s9, v38, vcc_lo
	v_add_co_u32 v35, vcc_lo, s8, v35
	v_add_co_ci_u32_e32 v36, vcc_lo, s9, v36, vcc_lo
	s_clause 0x1
	global_load_b64 v[39:40], v[37:38], off
	global_load_b64 v[41:42], v[35:36], off
	s_waitcnt vmcnt(0)
	v_cmpx_eq_u64_e64 v[39:40], v[41:42]
	s_cbranch_execz .LBB1715_285
; %bb.279:
	v_add_co_u32 v35, vcc_lo, v35, 8
	v_add_co_ci_u32_e32 v36, vcc_lo, 0, v36, vcc_lo
	v_add_co_u32 v37, vcc_lo, v37, 8
	v_add_co_ci_u32_e32 v38, vcc_lo, 0, v38, vcc_lo
	s_add_u32 s4, s22, -1
	s_addc_u32 s5, s23, -1
	s_mov_b64 s[6:7], 0
	s_mov_b32 s26, 0
                                        ; implicit-def: $sgpr27
	s_set_inst_prefetch_distance 0x1
	s_branch .LBB1715_282
	.p2align	6
.LBB1715_280:                           ;   in Loop: Header=BB1715_282 Depth=1
	global_load_b64 v[39:40], v[37:38], off
	global_load_b64 v[41:42], v[35:36], off
	v_add_co_u32 v35, vcc_lo, v35, 8
	v_add_co_ci_u32_e32 v36, vcc_lo, 0, v36, vcc_lo
	v_add_co_u32 v37, s2, v37, 8
	s_delay_alu instid0(VALU_DEP_1)
	v_add_co_ci_u32_e64 v38, s2, 0, v38, s2
	s_add_u32 s6, s6, 1
	s_addc_u32 s7, s7, 0
	s_and_not1_b32 s2, s27, exec_lo
	s_waitcnt vmcnt(0)
	v_cmp_ne_u64_e32 vcc_lo, v[39:40], v[41:42]
	s_and_b32 s27, vcc_lo, exec_lo
	s_delay_alu instid0(SALU_CYCLE_1)
	s_or_b32 s27, s2, s27
.LBB1715_281:                           ;   in Loop: Header=BB1715_282 Depth=1
	v_dual_mov_b32 v40, s7 :: v_dual_mov_b32 v39, s6
	s_and_b32 s2, exec_lo, s27
	s_delay_alu instid0(SALU_CYCLE_1) | instskip(NEXT) | instid1(SALU_CYCLE_1)
	s_or_b32 s26, s2, s26
	s_and_not1_b32 exec_lo, exec_lo, s26
	s_cbranch_execz .LBB1715_284
.LBB1715_282:                           ; =>This Inner Loop Header: Depth=1
	s_or_b32 s27, s27, exec_lo
	s_cmp_eq_u64 s[4:5], s[6:7]
	s_cbranch_scc0 .LBB1715_280
; %bb.283:                              ;   in Loop: Header=BB1715_282 Depth=1
	s_mov_b64 s[6:7], s[22:23]
                                        ; implicit-def: $vgpr35_vgpr36
                                        ; implicit-def: $vgpr37_vgpr38
	s_branch .LBB1715_281
.LBB1715_284:
	s_set_inst_prefetch_distance 0x2
	s_or_b32 exec_lo, exec_lo, s26
	v_cmp_gt_i64_e32 vcc_lo, s[22:23], v[39:40]
	s_or_not1_b32 s2, vcc_lo, exec_lo
.LBB1715_285:
	s_or_b32 exec_lo, exec_lo, s25
.LBB1715_286:
	s_delay_alu instid0(SALU_CYCLE_1)
	s_and_b32 s2, s2, exec_lo
	s_or_b32 s3, s3, exec_lo
.LBB1715_287:
	s_or_b32 exec_lo, exec_lo, s19
	s_branch .LBB1715_379
.LBB1715_288:
	v_or_b32_e32 v33, 7, v55
	s_mov_b32 s19, 0
	s_mov_b32 s25, 0
	s_mov_b32 s26, exec_lo
	s_delay_alu instid0(VALU_DEP_1)
	v_cmpx_gt_u32_e64 s28, v33
	s_cbranch_execz .LBB1715_299
; %bb.289:
	s_and_not1_b32 vcc_lo, exec_lo, s18
	s_mov_b32 s2, 0
	s_cbranch_vccnz .LBB1715_298
; %bb.290:
	v_mul_lo_u32 v37, v18, s22
	v_mul_lo_u32 v38, v17, s23
	v_mad_u64_u32 v[33:34], null, v17, s22, 0
	v_mul_lo_u32 v39, v20, s22
	v_mul_lo_u32 v40, v19, s23
	v_mad_u64_u32 v[35:36], null, v19, s22, 0
	s_mov_b32 s2, -1
	s_mov_b32 s25, exec_lo
	s_delay_alu instid0(VALU_DEP_4) | instskip(NEXT) | instid1(VALU_DEP_2)
	v_add3_u32 v34, v34, v38, v37
	v_add3_u32 v36, v36, v40, v39
	s_delay_alu instid0(VALU_DEP_2) | instskip(NEXT) | instid1(VALU_DEP_2)
	v_lshlrev_b64 v[33:34], 3, v[33:34]
	v_lshlrev_b64 v[37:38], 3, v[35:36]
	s_delay_alu instid0(VALU_DEP_2) | instskip(NEXT) | instid1(VALU_DEP_3)
	v_add_co_u32 v35, vcc_lo, s8, v33
	v_add_co_ci_u32_e32 v36, vcc_lo, s9, v34, vcc_lo
	s_delay_alu instid0(VALU_DEP_3) | instskip(NEXT) | instid1(VALU_DEP_4)
	v_add_co_u32 v33, vcc_lo, s8, v37
	v_add_co_ci_u32_e32 v34, vcc_lo, s9, v38, vcc_lo
	s_clause 0x1
	global_load_b64 v[37:38], v[35:36], off
	global_load_b64 v[39:40], v[33:34], off
	s_waitcnt vmcnt(0)
	v_cmpx_eq_u64_e64 v[37:38], v[39:40]
	s_cbranch_execz .LBB1715_297
; %bb.291:
	v_add_co_u32 v33, vcc_lo, v33, 8
	v_add_co_ci_u32_e32 v34, vcc_lo, 0, v34, vcc_lo
	v_add_co_u32 v35, vcc_lo, v35, 8
	v_add_co_ci_u32_e32 v36, vcc_lo, 0, v36, vcc_lo
	s_add_u32 s4, s22, -1
	s_addc_u32 s5, s23, -1
	s_mov_b64 s[6:7], 0
	s_mov_b32 s27, 0
                                        ; implicit-def: $sgpr29
	s_set_inst_prefetch_distance 0x1
	s_branch .LBB1715_294
	.p2align	6
.LBB1715_292:                           ;   in Loop: Header=BB1715_294 Depth=1
	global_load_b64 v[37:38], v[35:36], off
	global_load_b64 v[39:40], v[33:34], off
	v_add_co_u32 v33, vcc_lo, v33, 8
	v_add_co_ci_u32_e32 v34, vcc_lo, 0, v34, vcc_lo
	v_add_co_u32 v35, s2, v35, 8
	s_delay_alu instid0(VALU_DEP_1)
	v_add_co_ci_u32_e64 v36, s2, 0, v36, s2
	s_add_u32 s6, s6, 1
	s_addc_u32 s7, s7, 0
	s_and_not1_b32 s2, s29, exec_lo
	s_waitcnt vmcnt(0)
	v_cmp_ne_u64_e32 vcc_lo, v[37:38], v[39:40]
	s_and_b32 s29, vcc_lo, exec_lo
	s_delay_alu instid0(SALU_CYCLE_1)
	s_or_b32 s29, s2, s29
.LBB1715_293:                           ;   in Loop: Header=BB1715_294 Depth=1
	v_dual_mov_b32 v38, s7 :: v_dual_mov_b32 v37, s6
	s_and_b32 s2, exec_lo, s29
	s_delay_alu instid0(SALU_CYCLE_1) | instskip(NEXT) | instid1(SALU_CYCLE_1)
	s_or_b32 s27, s2, s27
	s_and_not1_b32 exec_lo, exec_lo, s27
	s_cbranch_execz .LBB1715_296
.LBB1715_294:                           ; =>This Inner Loop Header: Depth=1
	s_or_b32 s29, s29, exec_lo
	s_cmp_eq_u64 s[4:5], s[6:7]
	s_cbranch_scc0 .LBB1715_292
; %bb.295:                              ;   in Loop: Header=BB1715_294 Depth=1
	s_mov_b64 s[6:7], s[22:23]
                                        ; implicit-def: $vgpr33_vgpr34
                                        ; implicit-def: $vgpr35_vgpr36
	s_branch .LBB1715_293
.LBB1715_296:
	s_set_inst_prefetch_distance 0x2
	s_or_b32 exec_lo, exec_lo, s27
	v_cmp_gt_i64_e32 vcc_lo, s[22:23], v[37:38]
	s_or_not1_b32 s2, vcc_lo, exec_lo
.LBB1715_297:
	s_or_b32 exec_lo, exec_lo, s25
.LBB1715_298:
	s_delay_alu instid0(SALU_CYCLE_1)
	s_and_b32 s25, s2, exec_lo
.LBB1715_299:
	s_or_b32 exec_lo, exec_lo, s26
	v_or_b32_e32 v33, 6, v55
	s_mov_b32 s26, exec_lo
	s_delay_alu instid0(VALU_DEP_1)
	v_cmpx_gt_u32_e64 s28, v33
	s_cbranch_execz .LBB1715_310
; %bb.300:
	s_and_not1_b32 vcc_lo, exec_lo, s18
	s_mov_b32 s2, 0
	s_cbranch_vccnz .LBB1715_309
; %bb.301:
	v_mul_lo_u32 v37, v24, s22
	v_mul_lo_u32 v38, v23, s23
	v_mad_u64_u32 v[33:34], null, v23, s22, 0
	v_mul_lo_u32 v39, v18, s22
	v_mul_lo_u32 v40, v17, s23
	v_mad_u64_u32 v[35:36], null, v17, s22, 0
	s_mov_b32 s2, -1
	s_mov_b32 s19, exec_lo
	s_delay_alu instid0(VALU_DEP_4) | instskip(NEXT) | instid1(VALU_DEP_2)
	v_add3_u32 v34, v34, v38, v37
	v_add3_u32 v36, v36, v40, v39
	s_delay_alu instid0(VALU_DEP_2) | instskip(NEXT) | instid1(VALU_DEP_2)
	v_lshlrev_b64 v[33:34], 3, v[33:34]
	v_lshlrev_b64 v[37:38], 3, v[35:36]
	s_delay_alu instid0(VALU_DEP_2) | instskip(NEXT) | instid1(VALU_DEP_3)
	v_add_co_u32 v35, vcc_lo, s8, v33
	v_add_co_ci_u32_e32 v36, vcc_lo, s9, v34, vcc_lo
	s_delay_alu instid0(VALU_DEP_3) | instskip(NEXT) | instid1(VALU_DEP_4)
	v_add_co_u32 v33, vcc_lo, s8, v37
	v_add_co_ci_u32_e32 v34, vcc_lo, s9, v38, vcc_lo
	s_clause 0x1
	global_load_b64 v[37:38], v[35:36], off
	global_load_b64 v[39:40], v[33:34], off
	s_waitcnt vmcnt(0)
	v_cmpx_eq_u64_e64 v[37:38], v[39:40]
	s_cbranch_execz .LBB1715_308
; %bb.302:
	v_add_co_u32 v33, vcc_lo, v33, 8
	v_add_co_ci_u32_e32 v34, vcc_lo, 0, v34, vcc_lo
	v_add_co_u32 v35, vcc_lo, v35, 8
	v_add_co_ci_u32_e32 v36, vcc_lo, 0, v36, vcc_lo
	s_add_u32 s4, s22, -1
	s_addc_u32 s5, s23, -1
	s_mov_b64 s[6:7], 0
	s_mov_b32 s27, 0
                                        ; implicit-def: $sgpr29
	s_set_inst_prefetch_distance 0x1
	s_branch .LBB1715_305
	.p2align	6
.LBB1715_303:                           ;   in Loop: Header=BB1715_305 Depth=1
	global_load_b64 v[37:38], v[35:36], off
	global_load_b64 v[39:40], v[33:34], off
	v_add_co_u32 v33, vcc_lo, v33, 8
	v_add_co_ci_u32_e32 v34, vcc_lo, 0, v34, vcc_lo
	v_add_co_u32 v35, s2, v35, 8
	s_delay_alu instid0(VALU_DEP_1)
	v_add_co_ci_u32_e64 v36, s2, 0, v36, s2
	s_add_u32 s6, s6, 1
	s_addc_u32 s7, s7, 0
	s_and_not1_b32 s2, s29, exec_lo
	s_waitcnt vmcnt(0)
	v_cmp_ne_u64_e32 vcc_lo, v[37:38], v[39:40]
	s_and_b32 s29, vcc_lo, exec_lo
	s_delay_alu instid0(SALU_CYCLE_1)
	s_or_b32 s29, s2, s29
.LBB1715_304:                           ;   in Loop: Header=BB1715_305 Depth=1
	v_dual_mov_b32 v38, s7 :: v_dual_mov_b32 v37, s6
	s_and_b32 s2, exec_lo, s29
	s_delay_alu instid0(SALU_CYCLE_1) | instskip(NEXT) | instid1(SALU_CYCLE_1)
	s_or_b32 s27, s2, s27
	s_and_not1_b32 exec_lo, exec_lo, s27
	s_cbranch_execz .LBB1715_307
.LBB1715_305:                           ; =>This Inner Loop Header: Depth=1
	s_or_b32 s29, s29, exec_lo
	s_cmp_eq_u64 s[4:5], s[6:7]
	s_cbranch_scc0 .LBB1715_303
; %bb.306:                              ;   in Loop: Header=BB1715_305 Depth=1
	s_mov_b64 s[6:7], s[22:23]
                                        ; implicit-def: $vgpr33_vgpr34
                                        ; implicit-def: $vgpr35_vgpr36
	s_branch .LBB1715_304
.LBB1715_307:
	s_set_inst_prefetch_distance 0x2
	s_or_b32 exec_lo, exec_lo, s27
	v_cmp_gt_i64_e32 vcc_lo, s[22:23], v[37:38]
	s_or_not1_b32 s2, vcc_lo, exec_lo
.LBB1715_308:
	s_or_b32 exec_lo, exec_lo, s19
.LBB1715_309:
	s_delay_alu instid0(SALU_CYCLE_1)
	s_and_b32 s19, s2, exec_lo
.LBB1715_310:
	s_or_b32 exec_lo, exec_lo, s26
	v_or_b32_e32 v33, 5, v55
	s_mov_b32 s26, 0
	s_mov_b32 s27, 0
	s_mov_b32 s29, exec_lo
	s_delay_alu instid0(VALU_DEP_1)
	v_cmpx_gt_u32_e64 s28, v33
	s_cbranch_execz .LBB1715_321
; %bb.311:
	s_and_not1_b32 vcc_lo, exec_lo, s18
	s_mov_b32 s2, 0
	s_cbranch_vccnz .LBB1715_320
; %bb.312:
	v_mul_lo_u32 v37, v22, s22
	v_mul_lo_u32 v38, v21, s23
	v_mad_u64_u32 v[33:34], null, v21, s22, 0
	v_mul_lo_u32 v39, v24, s22
	v_mul_lo_u32 v40, v23, s23
	v_mad_u64_u32 v[35:36], null, v23, s22, 0
	s_mov_b32 s2, -1
	s_mov_b32 s27, exec_lo
	s_delay_alu instid0(VALU_DEP_4) | instskip(NEXT) | instid1(VALU_DEP_2)
	v_add3_u32 v34, v34, v38, v37
	v_add3_u32 v36, v36, v40, v39
	s_delay_alu instid0(VALU_DEP_2) | instskip(NEXT) | instid1(VALU_DEP_2)
	v_lshlrev_b64 v[33:34], 3, v[33:34]
	v_lshlrev_b64 v[37:38], 3, v[35:36]
	s_delay_alu instid0(VALU_DEP_2) | instskip(NEXT) | instid1(VALU_DEP_3)
	v_add_co_u32 v35, vcc_lo, s8, v33
	v_add_co_ci_u32_e32 v36, vcc_lo, s9, v34, vcc_lo
	s_delay_alu instid0(VALU_DEP_3) | instskip(NEXT) | instid1(VALU_DEP_4)
	v_add_co_u32 v33, vcc_lo, s8, v37
	v_add_co_ci_u32_e32 v34, vcc_lo, s9, v38, vcc_lo
	s_clause 0x1
	global_load_b64 v[37:38], v[35:36], off
	global_load_b64 v[39:40], v[33:34], off
	s_waitcnt vmcnt(0)
	v_cmpx_eq_u64_e64 v[37:38], v[39:40]
	s_cbranch_execz .LBB1715_319
; %bb.313:
	v_add_co_u32 v33, vcc_lo, v33, 8
	v_add_co_ci_u32_e32 v34, vcc_lo, 0, v34, vcc_lo
	v_add_co_u32 v35, vcc_lo, v35, 8
	v_add_co_ci_u32_e32 v36, vcc_lo, 0, v36, vcc_lo
	s_add_u32 s4, s22, -1
	s_addc_u32 s5, s23, -1
	s_mov_b64 s[6:7], 0
	s_mov_b32 s30, 0
                                        ; implicit-def: $sgpr31
	s_set_inst_prefetch_distance 0x1
	s_branch .LBB1715_316
	.p2align	6
.LBB1715_314:                           ;   in Loop: Header=BB1715_316 Depth=1
	global_load_b64 v[37:38], v[35:36], off
	global_load_b64 v[39:40], v[33:34], off
	v_add_co_u32 v33, vcc_lo, v33, 8
	v_add_co_ci_u32_e32 v34, vcc_lo, 0, v34, vcc_lo
	v_add_co_u32 v35, s2, v35, 8
	s_delay_alu instid0(VALU_DEP_1)
	v_add_co_ci_u32_e64 v36, s2, 0, v36, s2
	s_add_u32 s6, s6, 1
	s_addc_u32 s7, s7, 0
	s_and_not1_b32 s2, s31, exec_lo
	s_waitcnt vmcnt(0)
	v_cmp_ne_u64_e32 vcc_lo, v[37:38], v[39:40]
	s_and_b32 s31, vcc_lo, exec_lo
	s_delay_alu instid0(SALU_CYCLE_1)
	s_or_b32 s31, s2, s31
.LBB1715_315:                           ;   in Loop: Header=BB1715_316 Depth=1
	v_dual_mov_b32 v38, s7 :: v_dual_mov_b32 v37, s6
	s_and_b32 s2, exec_lo, s31
	s_delay_alu instid0(SALU_CYCLE_1) | instskip(NEXT) | instid1(SALU_CYCLE_1)
	s_or_b32 s30, s2, s30
	s_and_not1_b32 exec_lo, exec_lo, s30
	s_cbranch_execz .LBB1715_318
.LBB1715_316:                           ; =>This Inner Loop Header: Depth=1
	s_or_b32 s31, s31, exec_lo
	s_cmp_eq_u64 s[4:5], s[6:7]
	s_cbranch_scc0 .LBB1715_314
; %bb.317:                              ;   in Loop: Header=BB1715_316 Depth=1
	s_mov_b64 s[6:7], s[22:23]
                                        ; implicit-def: $vgpr33_vgpr34
                                        ; implicit-def: $vgpr35_vgpr36
	s_branch .LBB1715_315
.LBB1715_318:
	s_set_inst_prefetch_distance 0x2
	s_or_b32 exec_lo, exec_lo, s30
	v_cmp_gt_i64_e32 vcc_lo, s[22:23], v[37:38]
	s_or_not1_b32 s2, vcc_lo, exec_lo
.LBB1715_319:
	s_or_b32 exec_lo, exec_lo, s27
.LBB1715_320:
	s_delay_alu instid0(SALU_CYCLE_1)
	s_and_b32 s27, s2, exec_lo
.LBB1715_321:
	s_or_b32 exec_lo, exec_lo, s29
	v_or_b32_e32 v33, 4, v55
	s_mov_b32 s29, exec_lo
	s_delay_alu instid0(VALU_DEP_1)
	v_cmpx_gt_u32_e64 s28, v33
	s_cbranch_execz .LBB1715_332
; %bb.322:
	s_and_not1_b32 vcc_lo, exec_lo, s18
	s_mov_b32 s2, 0
	s_cbranch_vccnz .LBB1715_331
; %bb.323:
	v_mul_lo_u32 v37, v28, s22
	v_mul_lo_u32 v38, v27, s23
	v_mad_u64_u32 v[33:34], null, v27, s22, 0
	v_mul_lo_u32 v39, v22, s22
	v_mul_lo_u32 v40, v21, s23
	v_mad_u64_u32 v[35:36], null, v21, s22, 0
	s_mov_b32 s2, -1
	s_mov_b32 s26, exec_lo
	s_delay_alu instid0(VALU_DEP_4) | instskip(NEXT) | instid1(VALU_DEP_2)
	v_add3_u32 v34, v34, v38, v37
	v_add3_u32 v36, v36, v40, v39
	s_delay_alu instid0(VALU_DEP_2) | instskip(NEXT) | instid1(VALU_DEP_2)
	v_lshlrev_b64 v[33:34], 3, v[33:34]
	v_lshlrev_b64 v[37:38], 3, v[35:36]
	s_delay_alu instid0(VALU_DEP_2) | instskip(NEXT) | instid1(VALU_DEP_3)
	v_add_co_u32 v35, vcc_lo, s8, v33
	v_add_co_ci_u32_e32 v36, vcc_lo, s9, v34, vcc_lo
	s_delay_alu instid0(VALU_DEP_3) | instskip(NEXT) | instid1(VALU_DEP_4)
	v_add_co_u32 v33, vcc_lo, s8, v37
	v_add_co_ci_u32_e32 v34, vcc_lo, s9, v38, vcc_lo
	s_clause 0x1
	global_load_b64 v[37:38], v[35:36], off
	global_load_b64 v[39:40], v[33:34], off
	s_waitcnt vmcnt(0)
	v_cmpx_eq_u64_e64 v[37:38], v[39:40]
	s_cbranch_execz .LBB1715_330
; %bb.324:
	v_add_co_u32 v33, vcc_lo, v33, 8
	v_add_co_ci_u32_e32 v34, vcc_lo, 0, v34, vcc_lo
	v_add_co_u32 v35, vcc_lo, v35, 8
	v_add_co_ci_u32_e32 v36, vcc_lo, 0, v36, vcc_lo
	s_add_u32 s4, s22, -1
	s_addc_u32 s5, s23, -1
	s_mov_b64 s[6:7], 0
	s_mov_b32 s30, 0
                                        ; implicit-def: $sgpr31
	s_set_inst_prefetch_distance 0x1
	s_branch .LBB1715_327
	.p2align	6
.LBB1715_325:                           ;   in Loop: Header=BB1715_327 Depth=1
	global_load_b64 v[37:38], v[35:36], off
	global_load_b64 v[39:40], v[33:34], off
	v_add_co_u32 v33, vcc_lo, v33, 8
	v_add_co_ci_u32_e32 v34, vcc_lo, 0, v34, vcc_lo
	v_add_co_u32 v35, s2, v35, 8
	s_delay_alu instid0(VALU_DEP_1)
	v_add_co_ci_u32_e64 v36, s2, 0, v36, s2
	s_add_u32 s6, s6, 1
	s_addc_u32 s7, s7, 0
	s_and_not1_b32 s2, s31, exec_lo
	s_waitcnt vmcnt(0)
	v_cmp_ne_u64_e32 vcc_lo, v[37:38], v[39:40]
	s_and_b32 s31, vcc_lo, exec_lo
	s_delay_alu instid0(SALU_CYCLE_1)
	s_or_b32 s31, s2, s31
.LBB1715_326:                           ;   in Loop: Header=BB1715_327 Depth=1
	v_dual_mov_b32 v38, s7 :: v_dual_mov_b32 v37, s6
	s_and_b32 s2, exec_lo, s31
	s_delay_alu instid0(SALU_CYCLE_1) | instskip(NEXT) | instid1(SALU_CYCLE_1)
	s_or_b32 s30, s2, s30
	s_and_not1_b32 exec_lo, exec_lo, s30
	s_cbranch_execz .LBB1715_329
.LBB1715_327:                           ; =>This Inner Loop Header: Depth=1
	s_or_b32 s31, s31, exec_lo
	s_cmp_eq_u64 s[4:5], s[6:7]
	s_cbranch_scc0 .LBB1715_325
; %bb.328:                              ;   in Loop: Header=BB1715_327 Depth=1
	s_mov_b64 s[6:7], s[22:23]
                                        ; implicit-def: $vgpr33_vgpr34
                                        ; implicit-def: $vgpr35_vgpr36
	s_branch .LBB1715_326
.LBB1715_329:
	s_set_inst_prefetch_distance 0x2
	s_or_b32 exec_lo, exec_lo, s30
	v_cmp_gt_i64_e32 vcc_lo, s[22:23], v[37:38]
	s_or_not1_b32 s2, vcc_lo, exec_lo
.LBB1715_330:
	s_or_b32 exec_lo, exec_lo, s26
.LBB1715_331:
	s_delay_alu instid0(SALU_CYCLE_1)
	s_and_b32 s26, s2, exec_lo
.LBB1715_332:
	s_or_b32 exec_lo, exec_lo, s29
	v_or_b32_e32 v33, 3, v55
	s_mov_b32 s30, 0
	s_mov_b32 s29, 0
	s_mov_b32 s31, exec_lo
	s_delay_alu instid0(VALU_DEP_1)
	v_cmpx_gt_u32_e64 s28, v33
	s_cbranch_execz .LBB1715_343
; %bb.333:
	s_and_not1_b32 vcc_lo, exec_lo, s18
	s_mov_b32 s2, 0
	s_cbranch_vccnz .LBB1715_342
; %bb.334:
	v_mul_lo_u32 v37, v26, s22
	v_mul_lo_u32 v38, v25, s23
	v_mad_u64_u32 v[33:34], null, v25, s22, 0
	v_mul_lo_u32 v39, v28, s22
	v_mul_lo_u32 v40, v27, s23
	v_mad_u64_u32 v[35:36], null, v27, s22, 0
	s_mov_b32 s2, -1
	s_mov_b32 s29, exec_lo
	s_delay_alu instid0(VALU_DEP_4) | instskip(NEXT) | instid1(VALU_DEP_2)
	v_add3_u32 v34, v34, v38, v37
	v_add3_u32 v36, v36, v40, v39
	s_delay_alu instid0(VALU_DEP_2) | instskip(NEXT) | instid1(VALU_DEP_2)
	v_lshlrev_b64 v[33:34], 3, v[33:34]
	v_lshlrev_b64 v[37:38], 3, v[35:36]
	s_delay_alu instid0(VALU_DEP_2) | instskip(NEXT) | instid1(VALU_DEP_3)
	v_add_co_u32 v35, vcc_lo, s8, v33
	v_add_co_ci_u32_e32 v36, vcc_lo, s9, v34, vcc_lo
	s_delay_alu instid0(VALU_DEP_3) | instskip(NEXT) | instid1(VALU_DEP_4)
	v_add_co_u32 v33, vcc_lo, s8, v37
	v_add_co_ci_u32_e32 v34, vcc_lo, s9, v38, vcc_lo
	s_clause 0x1
	global_load_b64 v[37:38], v[35:36], off
	global_load_b64 v[39:40], v[33:34], off
	s_waitcnt vmcnt(0)
	v_cmpx_eq_u64_e64 v[37:38], v[39:40]
	s_cbranch_execz .LBB1715_341
; %bb.335:
	v_add_co_u32 v33, vcc_lo, v33, 8
	v_add_co_ci_u32_e32 v34, vcc_lo, 0, v34, vcc_lo
	v_add_co_u32 v35, vcc_lo, v35, 8
	v_add_co_ci_u32_e32 v36, vcc_lo, 0, v36, vcc_lo
	s_add_u32 s4, s22, -1
	s_addc_u32 s5, s23, -1
	s_mov_b64 s[6:7], 0
	s_mov_b32 s33, 0
                                        ; implicit-def: $sgpr34
	s_set_inst_prefetch_distance 0x1
	s_branch .LBB1715_338
	.p2align	6
.LBB1715_336:                           ;   in Loop: Header=BB1715_338 Depth=1
	global_load_b64 v[37:38], v[35:36], off
	global_load_b64 v[39:40], v[33:34], off
	v_add_co_u32 v33, vcc_lo, v33, 8
	v_add_co_ci_u32_e32 v34, vcc_lo, 0, v34, vcc_lo
	v_add_co_u32 v35, s2, v35, 8
	s_delay_alu instid0(VALU_DEP_1)
	v_add_co_ci_u32_e64 v36, s2, 0, v36, s2
	s_add_u32 s6, s6, 1
	s_addc_u32 s7, s7, 0
	s_and_not1_b32 s2, s34, exec_lo
	s_waitcnt vmcnt(0)
	v_cmp_ne_u64_e32 vcc_lo, v[37:38], v[39:40]
	s_and_b32 s34, vcc_lo, exec_lo
	s_delay_alu instid0(SALU_CYCLE_1)
	s_or_b32 s34, s2, s34
.LBB1715_337:                           ;   in Loop: Header=BB1715_338 Depth=1
	v_dual_mov_b32 v38, s7 :: v_dual_mov_b32 v37, s6
	s_and_b32 s2, exec_lo, s34
	s_delay_alu instid0(SALU_CYCLE_1) | instskip(NEXT) | instid1(SALU_CYCLE_1)
	s_or_b32 s33, s2, s33
	s_and_not1_b32 exec_lo, exec_lo, s33
	s_cbranch_execz .LBB1715_340
.LBB1715_338:                           ; =>This Inner Loop Header: Depth=1
	s_or_b32 s34, s34, exec_lo
	s_cmp_eq_u64 s[4:5], s[6:7]
	s_cbranch_scc0 .LBB1715_336
; %bb.339:                              ;   in Loop: Header=BB1715_338 Depth=1
	s_mov_b64 s[6:7], s[22:23]
                                        ; implicit-def: $vgpr33_vgpr34
                                        ; implicit-def: $vgpr35_vgpr36
	s_branch .LBB1715_337
.LBB1715_340:
	s_set_inst_prefetch_distance 0x2
	s_or_b32 exec_lo, exec_lo, s33
	v_cmp_gt_i64_e32 vcc_lo, s[22:23], v[37:38]
	s_or_not1_b32 s2, vcc_lo, exec_lo
.LBB1715_341:
	s_or_b32 exec_lo, exec_lo, s29
.LBB1715_342:
	s_delay_alu instid0(SALU_CYCLE_1)
	s_and_b32 s29, s2, exec_lo
.LBB1715_343:
	s_or_b32 exec_lo, exec_lo, s31
	v_or_b32_e32 v33, 2, v55
	s_mov_b32 s31, exec_lo
	s_delay_alu instid0(VALU_DEP_1)
	v_cmpx_gt_u32_e64 s28, v33
	s_cbranch_execz .LBB1715_354
; %bb.344:
	s_and_not1_b32 vcc_lo, exec_lo, s18
	s_mov_b32 s2, 0
	s_cbranch_vccnz .LBB1715_353
; %bb.345:
	v_mul_lo_u32 v37, v32, s22
	v_mul_lo_u32 v38, v31, s23
	v_mad_u64_u32 v[33:34], null, v31, s22, 0
	v_mul_lo_u32 v39, v26, s22
	v_mul_lo_u32 v40, v25, s23
	v_mad_u64_u32 v[35:36], null, v25, s22, 0
	s_mov_b32 s2, -1
	s_mov_b32 s30, exec_lo
	s_delay_alu instid0(VALU_DEP_4) | instskip(NEXT) | instid1(VALU_DEP_2)
	v_add3_u32 v34, v34, v38, v37
	v_add3_u32 v36, v36, v40, v39
	s_delay_alu instid0(VALU_DEP_2) | instskip(NEXT) | instid1(VALU_DEP_2)
	v_lshlrev_b64 v[33:34], 3, v[33:34]
	v_lshlrev_b64 v[37:38], 3, v[35:36]
	s_delay_alu instid0(VALU_DEP_2) | instskip(NEXT) | instid1(VALU_DEP_3)
	v_add_co_u32 v35, vcc_lo, s8, v33
	v_add_co_ci_u32_e32 v36, vcc_lo, s9, v34, vcc_lo
	s_delay_alu instid0(VALU_DEP_3) | instskip(NEXT) | instid1(VALU_DEP_4)
	v_add_co_u32 v33, vcc_lo, s8, v37
	v_add_co_ci_u32_e32 v34, vcc_lo, s9, v38, vcc_lo
	s_clause 0x1
	global_load_b64 v[37:38], v[35:36], off
	global_load_b64 v[39:40], v[33:34], off
	s_waitcnt vmcnt(0)
	v_cmpx_eq_u64_e64 v[37:38], v[39:40]
	s_cbranch_execz .LBB1715_352
; %bb.346:
	v_add_co_u32 v33, vcc_lo, v33, 8
	v_add_co_ci_u32_e32 v34, vcc_lo, 0, v34, vcc_lo
	v_add_co_u32 v35, vcc_lo, v35, 8
	v_add_co_ci_u32_e32 v36, vcc_lo, 0, v36, vcc_lo
	s_add_u32 s4, s22, -1
	s_addc_u32 s5, s23, -1
	s_mov_b64 s[6:7], 0
	s_mov_b32 s33, 0
                                        ; implicit-def: $sgpr34
	s_set_inst_prefetch_distance 0x1
	s_branch .LBB1715_349
	.p2align	6
.LBB1715_347:                           ;   in Loop: Header=BB1715_349 Depth=1
	global_load_b64 v[37:38], v[35:36], off
	global_load_b64 v[39:40], v[33:34], off
	v_add_co_u32 v33, vcc_lo, v33, 8
	v_add_co_ci_u32_e32 v34, vcc_lo, 0, v34, vcc_lo
	v_add_co_u32 v35, s2, v35, 8
	s_delay_alu instid0(VALU_DEP_1)
	v_add_co_ci_u32_e64 v36, s2, 0, v36, s2
	s_add_u32 s6, s6, 1
	s_addc_u32 s7, s7, 0
	s_and_not1_b32 s2, s34, exec_lo
	s_waitcnt vmcnt(0)
	v_cmp_ne_u64_e32 vcc_lo, v[37:38], v[39:40]
	s_and_b32 s34, vcc_lo, exec_lo
	s_delay_alu instid0(SALU_CYCLE_1)
	s_or_b32 s34, s2, s34
.LBB1715_348:                           ;   in Loop: Header=BB1715_349 Depth=1
	v_dual_mov_b32 v38, s7 :: v_dual_mov_b32 v37, s6
	s_and_b32 s2, exec_lo, s34
	s_delay_alu instid0(SALU_CYCLE_1) | instskip(NEXT) | instid1(SALU_CYCLE_1)
	s_or_b32 s33, s2, s33
	s_and_not1_b32 exec_lo, exec_lo, s33
	s_cbranch_execz .LBB1715_351
.LBB1715_349:                           ; =>This Inner Loop Header: Depth=1
	s_or_b32 s34, s34, exec_lo
	s_cmp_eq_u64 s[4:5], s[6:7]
	s_cbranch_scc0 .LBB1715_347
; %bb.350:                              ;   in Loop: Header=BB1715_349 Depth=1
	s_mov_b64 s[6:7], s[22:23]
                                        ; implicit-def: $vgpr33_vgpr34
                                        ; implicit-def: $vgpr35_vgpr36
	s_branch .LBB1715_348
.LBB1715_351:
	s_set_inst_prefetch_distance 0x2
	s_or_b32 exec_lo, exec_lo, s33
	v_cmp_gt_i64_e32 vcc_lo, s[22:23], v[37:38]
	s_or_not1_b32 s2, vcc_lo, exec_lo
.LBB1715_352:
	s_or_b32 exec_lo, exec_lo, s30
.LBB1715_353:
	s_delay_alu instid0(SALU_CYCLE_1)
	s_and_b32 s30, s2, exec_lo
.LBB1715_354:
	s_or_b32 exec_lo, exec_lo, s31
	v_or_b32_e32 v33, 1, v55
	s_mov_b32 s2, 0
	s_mov_b32 s31, exec_lo
	s_delay_alu instid0(VALU_DEP_1)
	v_cmpx_gt_u32_e64 s28, v33
	s_cbranch_execz .LBB1715_365
; %bb.355:
	s_and_not1_b32 vcc_lo, exec_lo, s18
	s_cbranch_vccnz .LBB1715_364
; %bb.356:
	v_mul_lo_u32 v37, v30, s22
	v_mul_lo_u32 v38, v29, s23
	v_mad_u64_u32 v[33:34], null, v29, s22, 0
	v_mul_lo_u32 v39, v32, s22
	v_mul_lo_u32 v40, v31, s23
	v_mad_u64_u32 v[35:36], null, v31, s22, 0
	s_mov_b32 s2, -1
	s_mov_b32 s33, exec_lo
	s_delay_alu instid0(VALU_DEP_4) | instskip(NEXT) | instid1(VALU_DEP_2)
	v_add3_u32 v34, v34, v38, v37
	v_add3_u32 v36, v36, v40, v39
	s_delay_alu instid0(VALU_DEP_2) | instskip(NEXT) | instid1(VALU_DEP_2)
	v_lshlrev_b64 v[33:34], 3, v[33:34]
	v_lshlrev_b64 v[37:38], 3, v[35:36]
	s_delay_alu instid0(VALU_DEP_2) | instskip(NEXT) | instid1(VALU_DEP_3)
	v_add_co_u32 v35, vcc_lo, s8, v33
	v_add_co_ci_u32_e32 v36, vcc_lo, s9, v34, vcc_lo
	s_delay_alu instid0(VALU_DEP_3) | instskip(NEXT) | instid1(VALU_DEP_4)
	v_add_co_u32 v33, vcc_lo, s8, v37
	v_add_co_ci_u32_e32 v34, vcc_lo, s9, v38, vcc_lo
	s_clause 0x1
	global_load_b64 v[37:38], v[35:36], off
	global_load_b64 v[39:40], v[33:34], off
	s_waitcnt vmcnt(0)
	v_cmpx_eq_u64_e64 v[37:38], v[39:40]
	s_cbranch_execz .LBB1715_363
; %bb.357:
	v_add_co_u32 v33, vcc_lo, v33, 8
	v_add_co_ci_u32_e32 v34, vcc_lo, 0, v34, vcc_lo
	v_add_co_u32 v35, vcc_lo, v35, 8
	v_add_co_ci_u32_e32 v36, vcc_lo, 0, v36, vcc_lo
	s_add_u32 s4, s22, -1
	s_addc_u32 s5, s23, -1
	s_mov_b64 s[6:7], 0
	s_mov_b32 s34, 0
                                        ; implicit-def: $sgpr35
	s_set_inst_prefetch_distance 0x1
	s_branch .LBB1715_360
	.p2align	6
.LBB1715_358:                           ;   in Loop: Header=BB1715_360 Depth=1
	global_load_b64 v[37:38], v[35:36], off
	global_load_b64 v[39:40], v[33:34], off
	v_add_co_u32 v33, vcc_lo, v33, 8
	v_add_co_ci_u32_e32 v34, vcc_lo, 0, v34, vcc_lo
	v_add_co_u32 v35, s2, v35, 8
	s_delay_alu instid0(VALU_DEP_1)
	v_add_co_ci_u32_e64 v36, s2, 0, v36, s2
	s_add_u32 s6, s6, 1
	s_addc_u32 s7, s7, 0
	s_and_not1_b32 s2, s35, exec_lo
	s_waitcnt vmcnt(0)
	v_cmp_ne_u64_e32 vcc_lo, v[37:38], v[39:40]
	s_and_b32 s35, vcc_lo, exec_lo
	s_delay_alu instid0(SALU_CYCLE_1)
	s_or_b32 s35, s2, s35
.LBB1715_359:                           ;   in Loop: Header=BB1715_360 Depth=1
	v_dual_mov_b32 v38, s7 :: v_dual_mov_b32 v37, s6
	s_and_b32 s2, exec_lo, s35
	s_delay_alu instid0(SALU_CYCLE_1) | instskip(NEXT) | instid1(SALU_CYCLE_1)
	s_or_b32 s34, s2, s34
	s_and_not1_b32 exec_lo, exec_lo, s34
	s_cbranch_execz .LBB1715_362
.LBB1715_360:                           ; =>This Inner Loop Header: Depth=1
	s_or_b32 s35, s35, exec_lo
	s_cmp_eq_u64 s[4:5], s[6:7]
	s_cbranch_scc0 .LBB1715_358
; %bb.361:                              ;   in Loop: Header=BB1715_360 Depth=1
	s_mov_b64 s[6:7], s[22:23]
                                        ; implicit-def: $vgpr33_vgpr34
                                        ; implicit-def: $vgpr35_vgpr36
	s_branch .LBB1715_359
.LBB1715_362:
	s_set_inst_prefetch_distance 0x2
	s_or_b32 exec_lo, exec_lo, s34
	v_cmp_gt_i64_e32 vcc_lo, s[22:23], v[37:38]
	s_or_not1_b32 s2, vcc_lo, exec_lo
.LBB1715_363:
	s_or_b32 exec_lo, exec_lo, s33
.LBB1715_364:
	s_delay_alu instid0(SALU_CYCLE_1)
	s_and_b32 s2, s2, exec_lo
.LBB1715_365:
	s_or_b32 exec_lo, exec_lo, s31
	v_cndmask_b32_e64 v34, 0, 1, s29
	v_cndmask_b32_e64 v35, 0, 1, s27
	;; [unrolled: 1-line block ×7, first 2 shown]
	v_lshlrev_b16 v35, 8, v35
	v_lshlrev_b16 v36, 8, v36
	;; [unrolled: 1-line block ×4, first 2 shown]
	s_mov_b32 s19, exec_lo
	v_or_b32_e32 v35, v38, v35
	v_or_b32_e32 v36, v39, v36
	;; [unrolled: 1-line block ×4, first 2 shown]
	s_waitcnt lgkmcnt(0)
	v_and_b32_e32 v34, 0xffff, v35
	v_lshlrev_b32_e32 v35, 16, v36
	v_and_b32_e32 v36, 0xffff, v37
	v_lshlrev_b32_e32 v33, 16, v33
	s_barrier
	buffer_gl0_inv
	v_or_b32_e32 v34, v34, v35
                                        ; implicit-def: $sgpr2
	v_or_b32_e32 v33, v36, v33
	v_cmpx_ne_u32_e32 0, v0
	s_cbranch_execz .LBB1715_378
; %bb.366:
	s_mov_b32 s2, 0
	s_mov_b32 s25, exec_lo
	v_cmpx_gt_u32_e64 s28, v55
	s_cbranch_execz .LBB1715_377
; %bb.367:
	s_and_not1_b32 vcc_lo, exec_lo, s18
	s_cbranch_vccnz .LBB1715_376
; %bb.368:
	v_add_nc_u32_e32 v35, -8, v55
	v_mul_lo_u32 v42, v29, s23
	v_mad_u64_u32 v[38:39], null, v29, s22, 0
	s_mov_b32 s2, -1
	ds_load_b64 v[35:36], v35
	s_waitcnt lgkmcnt(0)
	v_mul_lo_u32 v40, v36, s22
	v_mul_lo_u32 v41, v35, s23
	v_mad_u64_u32 v[36:37], null, v35, s22, 0
	v_mul_lo_u32 v35, v30, s22
	s_delay_alu instid0(VALU_DEP_2) | instskip(NEXT) | instid1(VALU_DEP_2)
	v_add3_u32 v37, v37, v41, v40
	v_add3_u32 v39, v39, v42, v35
	s_delay_alu instid0(VALU_DEP_2) | instskip(NEXT) | instid1(VALU_DEP_2)
	v_lshlrev_b64 v[35:36], 3, v[36:37]
	v_lshlrev_b64 v[39:40], 3, v[38:39]
	s_delay_alu instid0(VALU_DEP_2) | instskip(NEXT) | instid1(VALU_DEP_3)
	v_add_co_u32 v37, vcc_lo, s8, v35
	v_add_co_ci_u32_e32 v38, vcc_lo, s9, v36, vcc_lo
	s_delay_alu instid0(VALU_DEP_3) | instskip(NEXT) | instid1(VALU_DEP_4)
	v_add_co_u32 v35, vcc_lo, s8, v39
	v_add_co_ci_u32_e32 v36, vcc_lo, s9, v40, vcc_lo
	s_clause 0x1
	global_load_b64 v[39:40], v[37:38], off
	global_load_b64 v[41:42], v[35:36], off
	s_mov_b32 s8, exec_lo
	s_waitcnt vmcnt(0)
	v_cmpx_eq_u64_e64 v[39:40], v[41:42]
	s_cbranch_execz .LBB1715_375
; %bb.369:
	v_add_co_u32 v35, vcc_lo, v35, 8
	v_add_co_ci_u32_e32 v36, vcc_lo, 0, v36, vcc_lo
	v_add_co_u32 v37, vcc_lo, v37, 8
	v_add_co_ci_u32_e32 v38, vcc_lo, 0, v38, vcc_lo
	s_add_u32 s4, s22, -1
	s_addc_u32 s5, s23, -1
	s_mov_b64 s[6:7], 0
	s_mov_b32 s9, 0
                                        ; implicit-def: $sgpr18
	s_set_inst_prefetch_distance 0x1
	s_branch .LBB1715_372
	.p2align	6
.LBB1715_370:                           ;   in Loop: Header=BB1715_372 Depth=1
	global_load_b64 v[39:40], v[37:38], off
	global_load_b64 v[41:42], v[35:36], off
	v_add_co_u32 v35, vcc_lo, v35, 8
	v_add_co_ci_u32_e32 v36, vcc_lo, 0, v36, vcc_lo
	v_add_co_u32 v37, s2, v37, 8
	s_delay_alu instid0(VALU_DEP_1)
	v_add_co_ci_u32_e64 v38, s2, 0, v38, s2
	s_add_u32 s6, s6, 1
	s_addc_u32 s7, s7, 0
	s_and_not1_b32 s2, s18, exec_lo
	s_waitcnt vmcnt(0)
	v_cmp_ne_u64_e32 vcc_lo, v[39:40], v[41:42]
	s_and_b32 s18, vcc_lo, exec_lo
	s_delay_alu instid0(SALU_CYCLE_1)
	s_or_b32 s18, s2, s18
.LBB1715_371:                           ;   in Loop: Header=BB1715_372 Depth=1
	v_dual_mov_b32 v40, s7 :: v_dual_mov_b32 v39, s6
	s_and_b32 s2, exec_lo, s18
	s_delay_alu instid0(SALU_CYCLE_1) | instskip(NEXT) | instid1(SALU_CYCLE_1)
	s_or_b32 s9, s2, s9
	s_and_not1_b32 exec_lo, exec_lo, s9
	s_cbranch_execz .LBB1715_374
.LBB1715_372:                           ; =>This Inner Loop Header: Depth=1
	s_or_b32 s18, s18, exec_lo
	s_cmp_eq_u64 s[4:5], s[6:7]
	s_cbranch_scc0 .LBB1715_370
; %bb.373:                              ;   in Loop: Header=BB1715_372 Depth=1
	s_mov_b64 s[6:7], s[22:23]
                                        ; implicit-def: $vgpr35_vgpr36
                                        ; implicit-def: $vgpr37_vgpr38
	s_branch .LBB1715_371
.LBB1715_374:
	s_set_inst_prefetch_distance 0x2
	s_or_b32 exec_lo, exec_lo, s9
	v_cmp_gt_i64_e32 vcc_lo, s[22:23], v[39:40]
	s_or_not1_b32 s2, vcc_lo, exec_lo
.LBB1715_375:
	s_or_b32 exec_lo, exec_lo, s8
.LBB1715_376:
	s_delay_alu instid0(SALU_CYCLE_1)
	s_and_b32 s2, s2, exec_lo
.LBB1715_377:
	s_or_b32 exec_lo, exec_lo, s25
	s_delay_alu instid0(SALU_CYCLE_1)
	s_and_b32 s2, s2, exec_lo
	s_or_b32 s3, s3, exec_lo
.LBB1715_378:
	s_or_b32 exec_lo, exec_lo, s19
.LBB1715_379:
	s_and_saveexec_b32 s4, s3
; %bb.380:
	v_and_b32_e32 v35, 0xffffff00, v33
	v_cndmask_b32_e64 v36, 0, 1, s2
	s_delay_alu instid0(VALU_DEP_1) | instskip(NEXT) | instid1(VALU_DEP_1)
	v_or_b32_e32 v35, v36, v35
	v_and_b32_e32 v35, 0xffff, v35
	s_delay_alu instid0(VALU_DEP_1)
	v_and_or_b32 v33, 0xffff0000, v33, v35
; %bb.381:
	s_or_b32 exec_lo, exec_lo, s4
	s_delay_alu instid0(SALU_CYCLE_1)
	s_and_not1_b32 vcc_lo, exec_lo, s21
	s_cbranch_vccnz .LBB1715_383
; %bb.382:
	v_cmp_gt_u32_e32 vcc_lo, s28, v55
	v_or_b32_e32 v36, 1, v55
	v_and_b32_e32 v37, 0xffffff00, v34
	v_or_b32_e32 v38, 2, v55
	v_cndmask_b32_e32 v35, 0, v33, vcc_lo
	s_delay_alu instid0(VALU_DEP_4) | instskip(SKIP_1) | instid1(VALU_DEP_4)
	v_cmp_gt_u32_e32 vcc_lo, s28, v36
	v_or_b32_e32 v36, 4, v55
	v_cmp_gt_u32_e64 s2, s28, v38
	v_or_b32_e32 v38, 3, v55
	v_and_b32_e32 v35, 0xff, v35
	s_delay_alu instid0(VALU_DEP_2) | instskip(NEXT) | instid1(VALU_DEP_2)
	v_cmp_gt_u32_e64 s3, s28, v38
	v_cndmask_b32_e32 v35, v35, v33, vcc_lo
	v_cmp_gt_u32_e32 vcc_lo, s28, v36
	v_cndmask_b32_e32 v36, v37, v34, vcc_lo
	v_or_b32_e32 v37, 5, v55
	s_delay_alu instid0(VALU_DEP_2) | instskip(SKIP_1) | instid1(VALU_DEP_1)
	v_and_b32_e32 v36, 0xffff00ff, v36
	v_and_b32_e32 v35, 0xffff, v35
	v_cndmask_b32_e64 v35, v35, v33, s2
	s_delay_alu instid0(VALU_DEP_4) | instskip(SKIP_1) | instid1(VALU_DEP_3)
	v_cmp_gt_u32_e64 s2, s28, v37
	v_or_b32_e32 v37, 6, v55
	v_and_b32_e32 v35, 0xffffff, v35
	s_delay_alu instid0(VALU_DEP_3) | instskip(NEXT) | instid1(VALU_DEP_2)
	v_cndmask_b32_e64 v36, v36, v34, s2
	v_cndmask_b32_e64 v35, v35, v33, s3
	s_delay_alu instid0(VALU_DEP_1) | instskip(SKIP_2) | instid1(VALU_DEP_3)
	v_dual_cndmask_b32 v35, v35, v33 :: v_dual_and_b32 v36, 0xff00ffff, v36
	v_cmp_gt_u32_e32 vcc_lo, s28, v37
	v_or_b32_e32 v37, 7, v55
	v_cndmask_b32_e64 v35, v35, v33, s2
	s_delay_alu instid0(VALU_DEP_1) | instskip(NEXT) | instid1(VALU_DEP_1)
	v_dual_cndmask_b32 v36, v36, v34 :: v_dual_cndmask_b32 v35, v35, v33
	v_and_b32_e32 v36, 0xffffff, v36
	s_delay_alu instid0(VALU_DEP_4) | instskip(NEXT) | instid1(VALU_DEP_2)
	v_cmp_gt_u32_e32 vcc_lo, s28, v37
	v_dual_cndmask_b32 v34, v36, v34 :: v_dual_cndmask_b32 v33, v35, v33
.LBB1715_383:
	s_delay_alu instid0(VALU_DEP_1) | instskip(NEXT) | instid1(VALU_DEP_2)
	v_and_b32_e32 v42, 0xff, v33
	v_alignbit_b32 v35, v34, v33, 24
	v_bfe_u32 v44, v33, 8, 8
	v_bfe_u32 v46, v33, 16, 8
	v_and_b32_e32 v50, 0xff, v34
	v_bfe_u32 v52, v34, 8, 8
	v_and_b32_e32 v48, 0xff, v35
	v_add_nc_u32_e32 v35, v44, v42
	v_mbcnt_lo_u32_b32 v57, -1, 0
	v_bfe_u32 v54, v34, 16, 8
	v_lshrrev_b32_e32 v56, 24, v34
	v_lshrrev_b32_e32 v58, 5, v0
	v_add3_u32 v35, v35, v46, v48
	v_and_b32_e32 v36, 15, v57
	v_and_b32_e32 v37, 16, v57
	s_and_b32 vcc_lo, exec_lo, s24
	s_mov_b32 s9, -1
	v_add3_u32 v35, v35, v50, v52
	v_cmp_eq_u32_e64 s4, 0, v36
	v_cmp_lt_u32_e64 s2, 1, v36
	v_cmp_lt_u32_e64 s5, 3, v36
	;; [unrolled: 1-line block ×3, first 2 shown]
	v_add3_u32 v59, v35, v54, v56
	v_or_b32_e32 v35, 31, v0
	v_cmp_eq_u32_e64 s7, 0, v37
	s_waitcnt lgkmcnt(0)
	s_barrier
	buffer_gl0_inv
	v_cmp_eq_u32_e64 s6, v35, v0
	s_cbranch_vccz .LBB1715_414
; %bb.384:
	v_mov_b32_dpp v35, v59 row_shr:1 row_mask:0xf bank_mask:0xf
	s_delay_alu instid0(VALU_DEP_1) | instskip(NEXT) | instid1(VALU_DEP_1)
	v_cndmask_b32_e64 v35, v35, 0, s4
	v_add_nc_u32_e32 v35, v35, v59
	s_delay_alu instid0(VALU_DEP_1) | instskip(NEXT) | instid1(VALU_DEP_1)
	v_mov_b32_dpp v36, v35 row_shr:2 row_mask:0xf bank_mask:0xf
	v_cndmask_b32_e64 v36, 0, v36, s2
	s_delay_alu instid0(VALU_DEP_1) | instskip(NEXT) | instid1(VALU_DEP_1)
	v_add_nc_u32_e32 v35, v35, v36
	v_mov_b32_dpp v36, v35 row_shr:4 row_mask:0xf bank_mask:0xf
	s_delay_alu instid0(VALU_DEP_1) | instskip(NEXT) | instid1(VALU_DEP_1)
	v_cndmask_b32_e64 v36, 0, v36, s5
	v_add_nc_u32_e32 v35, v35, v36
	s_delay_alu instid0(VALU_DEP_1) | instskip(NEXT) | instid1(VALU_DEP_1)
	v_mov_b32_dpp v36, v35 row_shr:8 row_mask:0xf bank_mask:0xf
	v_cndmask_b32_e64 v36, 0, v36, s3
	s_delay_alu instid0(VALU_DEP_1) | instskip(SKIP_3) | instid1(VALU_DEP_1)
	v_add_nc_u32_e32 v35, v35, v36
	ds_swizzle_b32 v36, v35 offset:swizzle(BROADCAST,32,15)
	s_waitcnt lgkmcnt(0)
	v_cndmask_b32_e64 v36, v36, 0, s7
	v_add_nc_u32_e32 v35, v35, v36
	s_and_saveexec_b32 s8, s6
	s_cbranch_execz .LBB1715_386
; %bb.385:
	v_lshlrev_b32_e32 v36, 2, v58
	ds_store_b32 v36, v35
.LBB1715_386:
	s_or_b32 exec_lo, exec_lo, s8
	s_delay_alu instid0(SALU_CYCLE_1)
	s_mov_b32 s8, exec_lo
	s_waitcnt lgkmcnt(0)
	s_barrier
	buffer_gl0_inv
	v_cmpx_gt_u32_e32 16, v0
	s_cbranch_execz .LBB1715_388
; %bb.387:
	v_lshlrev_b32_e32 v36, 2, v0
	ds_load_b32 v37, v36
	s_waitcnt lgkmcnt(0)
	v_mov_b32_dpp v38, v37 row_shr:1 row_mask:0xf bank_mask:0xf
	s_delay_alu instid0(VALU_DEP_1) | instskip(NEXT) | instid1(VALU_DEP_1)
	v_cndmask_b32_e64 v38, v38, 0, s4
	v_add_nc_u32_e32 v37, v38, v37
	s_delay_alu instid0(VALU_DEP_1) | instskip(NEXT) | instid1(VALU_DEP_1)
	v_mov_b32_dpp v38, v37 row_shr:2 row_mask:0xf bank_mask:0xf
	v_cndmask_b32_e64 v38, 0, v38, s2
	s_delay_alu instid0(VALU_DEP_1) | instskip(NEXT) | instid1(VALU_DEP_1)
	v_add_nc_u32_e32 v37, v37, v38
	v_mov_b32_dpp v38, v37 row_shr:4 row_mask:0xf bank_mask:0xf
	s_delay_alu instid0(VALU_DEP_1) | instskip(NEXT) | instid1(VALU_DEP_1)
	v_cndmask_b32_e64 v38, 0, v38, s5
	v_add_nc_u32_e32 v37, v37, v38
	s_delay_alu instid0(VALU_DEP_1) | instskip(NEXT) | instid1(VALU_DEP_1)
	v_mov_b32_dpp v38, v37 row_shr:8 row_mask:0xf bank_mask:0xf
	v_cndmask_b32_e64 v38, 0, v38, s3
	s_delay_alu instid0(VALU_DEP_1)
	v_add_nc_u32_e32 v37, v37, v38
	ds_store_b32 v36, v37
.LBB1715_388:
	s_or_b32 exec_lo, exec_lo, s8
	v_cmp_gt_u32_e32 vcc_lo, 32, v0
	s_mov_b32 s9, exec_lo
	s_waitcnt lgkmcnt(0)
	s_barrier
	buffer_gl0_inv
                                        ; implicit-def: $vgpr43
	v_cmpx_lt_u32_e32 31, v0
	s_cbranch_execz .LBB1715_390
; %bb.389:
	v_lshl_add_u32 v36, v58, 2, -4
	ds_load_b32 v43, v36
	s_waitcnt lgkmcnt(0)
	v_add_nc_u32_e32 v35, v43, v35
.LBB1715_390:
	s_or_b32 exec_lo, exec_lo, s9
	v_add_nc_u32_e32 v36, -1, v57
	s_delay_alu instid0(VALU_DEP_1) | instskip(NEXT) | instid1(VALU_DEP_1)
	v_cmp_gt_i32_e64 s8, 0, v36
	v_cndmask_b32_e64 v36, v36, v57, s8
	v_cmp_eq_u32_e64 s8, 0, v57
	s_delay_alu instid0(VALU_DEP_2)
	v_lshlrev_b32_e32 v36, 2, v36
	ds_bpermute_b32 v45, v36, v35
	s_and_saveexec_b32 s9, vcc_lo
	s_cbranch_execz .LBB1715_413
; %bb.391:
	v_mov_b32_e32 v38, 0
	ds_load_b32 v35, v38 offset:60
	s_and_saveexec_b32 s18, s8
	s_cbranch_execz .LBB1715_393
; %bb.392:
	s_add_i32 s22, s15, 32
	s_mov_b32 s23, 0
	v_mov_b32_e32 v36, 1
	s_lshl_b64 s[22:23], s[22:23], 3
	s_delay_alu instid0(SALU_CYCLE_1)
	s_add_u32 s22, s10, s22
	s_addc_u32 s23, s11, s23
	s_waitcnt lgkmcnt(0)
	global_store_b64 v38, v[35:36], s[22:23]
.LBB1715_393:
	s_or_b32 exec_lo, exec_lo, s18
	v_xad_u32 v36, v57, -1, s15
	s_mov_b32 s19, 0
	s_mov_b32 s18, exec_lo
	s_delay_alu instid0(VALU_DEP_1) | instskip(NEXT) | instid1(VALU_DEP_1)
	v_add_nc_u32_e32 v37, 32, v36
	v_lshlrev_b64 v[37:38], 3, v[37:38]
	s_delay_alu instid0(VALU_DEP_1) | instskip(NEXT) | instid1(VALU_DEP_2)
	v_add_co_u32 v40, vcc_lo, s10, v37
	v_add_co_ci_u32_e32 v41, vcc_lo, s11, v38, vcc_lo
	global_load_b64 v[38:39], v[40:41], off glc
	s_waitcnt vmcnt(0)
	v_and_b32_e32 v37, 0xff, v39
	s_delay_alu instid0(VALU_DEP_1)
	v_cmpx_eq_u16_e32 0, v37
	s_cbranch_execz .LBB1715_399
; %bb.394:
	s_mov_b32 s21, 1
	.p2align	6
.LBB1715_395:                           ; =>This Loop Header: Depth=1
                                        ;     Child Loop BB1715_396 Depth 2
	s_delay_alu instid0(SALU_CYCLE_1)
	s_max_u32 s22, s21, 1
.LBB1715_396:                           ;   Parent Loop BB1715_395 Depth=1
                                        ; =>  This Inner Loop Header: Depth=2
	s_delay_alu instid0(SALU_CYCLE_1)
	s_add_i32 s22, s22, -1
	s_sleep 1
	s_cmp_eq_u32 s22, 0
	s_cbranch_scc0 .LBB1715_396
; %bb.397:                              ;   in Loop: Header=BB1715_395 Depth=1
	global_load_b64 v[38:39], v[40:41], off glc
	s_cmp_lt_u32 s21, 32
	s_cselect_b32 s22, -1, 0
	s_delay_alu instid0(SALU_CYCLE_1) | instskip(SKIP_3) | instid1(VALU_DEP_1)
	s_cmp_lg_u32 s22, 0
	s_addc_u32 s21, s21, 0
	s_waitcnt vmcnt(0)
	v_and_b32_e32 v37, 0xff, v39
	v_cmp_ne_u16_e32 vcc_lo, 0, v37
	s_or_b32 s19, vcc_lo, s19
	s_delay_alu instid0(SALU_CYCLE_1)
	s_and_not1_b32 exec_lo, exec_lo, s19
	s_cbranch_execnz .LBB1715_395
; %bb.398:
	s_or_b32 exec_lo, exec_lo, s19
.LBB1715_399:
	s_delay_alu instid0(SALU_CYCLE_1)
	s_or_b32 exec_lo, exec_lo, s18
	v_cmp_ne_u32_e32 vcc_lo, 31, v57
	v_lshlrev_b32_e64 v49, v57, -1
	v_add_nc_u32_e32 v53, 2, v57
	v_add_nc_u32_e32 v62, 4, v57
	;; [unrolled: 1-line block ×3, first 2 shown]
	v_add_co_ci_u32_e32 v37, vcc_lo, 0, v57, vcc_lo
	v_add_nc_u32_e32 v66, 16, v57
	s_delay_alu instid0(VALU_DEP_2)
	v_lshlrev_b32_e32 v47, 2, v37
	v_and_b32_e32 v37, 0xff, v39
	ds_bpermute_b32 v40, v47, v38
	v_cmp_eq_u16_e32 vcc_lo, 2, v37
	v_and_or_b32 v37, vcc_lo, v49, 0x80000000
	v_cmp_gt_u32_e32 vcc_lo, 30, v57
	s_delay_alu instid0(VALU_DEP_2) | instskip(SKIP_1) | instid1(VALU_DEP_2)
	v_ctz_i32_b32_e32 v37, v37
	v_cndmask_b32_e64 v41, 0, 1, vcc_lo
	v_cmp_lt_u32_e32 vcc_lo, v57, v37
	s_waitcnt lgkmcnt(0)
	s_delay_alu instid0(VALU_DEP_2) | instskip(NEXT) | instid1(VALU_DEP_1)
	v_dual_cndmask_b32 v40, 0, v40 :: v_dual_lshlrev_b32 v41, 1, v41
	v_add_lshl_u32 v51, v41, v57, 2
	v_cmp_gt_u32_e32 vcc_lo, 28, v57
	s_delay_alu instid0(VALU_DEP_3) | instskip(SKIP_4) | instid1(VALU_DEP_1)
	v_add_nc_u32_e32 v38, v40, v38
	v_cndmask_b32_e64 v41, 0, 1, vcc_lo
	v_cmp_le_u32_e32 vcc_lo, v53, v37
	ds_bpermute_b32 v40, v51, v38
	v_lshlrev_b32_e32 v41, 2, v41
	v_add_lshl_u32 v60, v41, v57, 2
	s_waitcnt lgkmcnt(0)
	v_cndmask_b32_e32 v40, 0, v40, vcc_lo
	v_cmp_gt_u32_e32 vcc_lo, 24, v57
	s_delay_alu instid0(VALU_DEP_2) | instskip(SKIP_4) | instid1(VALU_DEP_1)
	v_add_nc_u32_e32 v38, v38, v40
	v_cndmask_b32_e64 v41, 0, 1, vcc_lo
	v_cmp_le_u32_e32 vcc_lo, v62, v37
	ds_bpermute_b32 v40, v60, v38
	v_lshlrev_b32_e32 v41, 3, v41
	v_add_lshl_u32 v63, v41, v57, 2
	s_waitcnt lgkmcnt(0)
	v_cndmask_b32_e32 v40, 0, v40, vcc_lo
	v_cmp_gt_u32_e32 vcc_lo, 16, v57
	s_delay_alu instid0(VALU_DEP_2) | instskip(SKIP_4) | instid1(VALU_DEP_1)
	v_add_nc_u32_e32 v38, v38, v40
	v_cndmask_b32_e64 v41, 0, 1, vcc_lo
	v_cmp_le_u32_e32 vcc_lo, v64, v37
	ds_bpermute_b32 v40, v63, v38
	v_lshlrev_b32_e32 v41, 4, v41
	v_add_lshl_u32 v65, v41, v57, 2
	s_waitcnt lgkmcnt(0)
	v_cndmask_b32_e32 v40, 0, v40, vcc_lo
	v_cmp_le_u32_e32 vcc_lo, v66, v37
	s_delay_alu instid0(VALU_DEP_2) | instskip(SKIP_3) | instid1(VALU_DEP_1)
	v_add_nc_u32_e32 v38, v38, v40
	ds_bpermute_b32 v40, v65, v38
	s_waitcnt lgkmcnt(0)
	v_cndmask_b32_e32 v37, 0, v40, vcc_lo
	v_dual_mov_b32 v37, 0 :: v_dual_add_nc_u32 v38, v38, v37
	s_branch .LBB1715_401
.LBB1715_400:                           ;   in Loop: Header=BB1715_401 Depth=1
	s_or_b32 exec_lo, exec_lo, s18
	ds_bpermute_b32 v41, v47, v38
	v_and_b32_e32 v40, 0xff, v39
	v_subrev_nc_u32_e32 v36, 32, v36
	s_delay_alu instid0(VALU_DEP_2) | instskip(SKIP_1) | instid1(VALU_DEP_1)
	v_cmp_eq_u16_e32 vcc_lo, 2, v40
	v_and_or_b32 v40, vcc_lo, v49, 0x80000000
	v_ctz_i32_b32_e32 v40, v40
	s_delay_alu instid0(VALU_DEP_1) | instskip(SKIP_3) | instid1(VALU_DEP_2)
	v_cmp_lt_u32_e32 vcc_lo, v57, v40
	s_waitcnt lgkmcnt(0)
	v_cndmask_b32_e32 v41, 0, v41, vcc_lo
	v_cmp_le_u32_e32 vcc_lo, v53, v40
	v_add_nc_u32_e32 v38, v41, v38
	ds_bpermute_b32 v41, v51, v38
	s_waitcnt lgkmcnt(0)
	v_cndmask_b32_e32 v41, 0, v41, vcc_lo
	v_cmp_le_u32_e32 vcc_lo, v62, v40
	s_delay_alu instid0(VALU_DEP_2) | instskip(SKIP_4) | instid1(VALU_DEP_2)
	v_add_nc_u32_e32 v38, v38, v41
	ds_bpermute_b32 v41, v60, v38
	s_waitcnt lgkmcnt(0)
	v_cndmask_b32_e32 v41, 0, v41, vcc_lo
	v_cmp_le_u32_e32 vcc_lo, v64, v40
	v_add_nc_u32_e32 v38, v38, v41
	ds_bpermute_b32 v41, v63, v38
	s_waitcnt lgkmcnt(0)
	v_cndmask_b32_e32 v41, 0, v41, vcc_lo
	v_cmp_le_u32_e32 vcc_lo, v66, v40
	s_delay_alu instid0(VALU_DEP_2) | instskip(SKIP_3) | instid1(VALU_DEP_1)
	v_add_nc_u32_e32 v38, v38, v41
	ds_bpermute_b32 v41, v65, v38
	s_waitcnt lgkmcnt(0)
	v_cndmask_b32_e32 v40, 0, v41, vcc_lo
	v_add3_u32 v38, v40, v61, v38
.LBB1715_401:                           ; =>This Loop Header: Depth=1
                                        ;     Child Loop BB1715_404 Depth 2
                                        ;       Child Loop BB1715_405 Depth 3
	v_and_b32_e32 v39, 0xff, v39
	s_delay_alu instid0(VALU_DEP_2) | instskip(NEXT) | instid1(VALU_DEP_2)
	v_mov_b32_e32 v61, v38
	v_cmp_ne_u16_e32 vcc_lo, 2, v39
	v_cndmask_b32_e64 v39, 0, 1, vcc_lo
	;;#ASMSTART
	;;#ASMEND
	s_delay_alu instid0(VALU_DEP_1)
	v_cmp_ne_u32_e32 vcc_lo, 0, v39
	s_cmp_lg_u32 vcc_lo, exec_lo
	s_cbranch_scc1 .LBB1715_408
; %bb.402:                              ;   in Loop: Header=BB1715_401 Depth=1
	v_lshlrev_b64 v[38:39], 3, v[36:37]
	s_mov_b32 s18, exec_lo
	s_delay_alu instid0(VALU_DEP_1) | instskip(NEXT) | instid1(VALU_DEP_2)
	v_add_co_u32 v40, vcc_lo, s10, v38
	v_add_co_ci_u32_e32 v41, vcc_lo, s11, v39, vcc_lo
	global_load_b64 v[38:39], v[40:41], off glc
	s_waitcnt vmcnt(0)
	v_and_b32_e32 v67, 0xff, v39
	s_delay_alu instid0(VALU_DEP_1)
	v_cmpx_eq_u16_e32 0, v67
	s_cbranch_execz .LBB1715_400
; %bb.403:                              ;   in Loop: Header=BB1715_401 Depth=1
	s_mov_b32 s21, 1
	s_mov_b32 s19, 0
	.p2align	6
.LBB1715_404:                           ;   Parent Loop BB1715_401 Depth=1
                                        ; =>  This Loop Header: Depth=2
                                        ;       Child Loop BB1715_405 Depth 3
	s_max_u32 s22, s21, 1
.LBB1715_405:                           ;   Parent Loop BB1715_401 Depth=1
                                        ;     Parent Loop BB1715_404 Depth=2
                                        ; =>    This Inner Loop Header: Depth=3
	s_delay_alu instid0(SALU_CYCLE_1)
	s_add_i32 s22, s22, -1
	s_sleep 1
	s_cmp_eq_u32 s22, 0
	s_cbranch_scc0 .LBB1715_405
; %bb.406:                              ;   in Loop: Header=BB1715_404 Depth=2
	global_load_b64 v[38:39], v[40:41], off glc
	s_cmp_lt_u32 s21, 32
	s_cselect_b32 s22, -1, 0
	s_delay_alu instid0(SALU_CYCLE_1) | instskip(SKIP_3) | instid1(VALU_DEP_1)
	s_cmp_lg_u32 s22, 0
	s_addc_u32 s21, s21, 0
	s_waitcnt vmcnt(0)
	v_and_b32_e32 v67, 0xff, v39
	v_cmp_ne_u16_e32 vcc_lo, 0, v67
	s_or_b32 s19, vcc_lo, s19
	s_delay_alu instid0(SALU_CYCLE_1)
	s_and_not1_b32 exec_lo, exec_lo, s19
	s_cbranch_execnz .LBB1715_404
; %bb.407:                              ;   in Loop: Header=BB1715_401 Depth=1
	s_or_b32 exec_lo, exec_lo, s19
	s_branch .LBB1715_400
.LBB1715_408:                           ;   in Loop: Header=BB1715_401 Depth=1
                                        ; implicit-def: $vgpr38
                                        ; implicit-def: $vgpr39
	s_cbranch_execz .LBB1715_401
; %bb.409:
	s_and_saveexec_b32 s18, s8
	s_cbranch_execz .LBB1715_411
; %bb.410:
	s_add_i32 s22, s15, 32
	s_mov_b32 s23, 0
	v_dual_mov_b32 v37, 2 :: v_dual_add_nc_u32 v36, v61, v35
	s_lshl_b64 s[22:23], s[22:23], 3
	v_mov_b32_e32 v38, 0
	v_add_nc_u32_e64 v39, 0x8400, 0
	s_add_u32 s22, s10, s22
	s_addc_u32 s23, s11, s23
	global_store_b64 v38, v[36:37], s[22:23]
	ds_store_2addr_b32 v39, v35, v61 offset1:2
.LBB1715_411:
	s_or_b32 exec_lo, exec_lo, s18
	v_cmp_eq_u32_e32 vcc_lo, 0, v0
	s_and_b32 exec_lo, exec_lo, vcc_lo
	s_cbranch_execz .LBB1715_413
; %bb.412:
	v_mov_b32_e32 v35, 0
	ds_store_b32 v35, v61 offset:60
.LBB1715_413:
	s_or_b32 exec_lo, exec_lo, s9
	s_waitcnt lgkmcnt(0)
	v_cndmask_b32_e64 v36, v45, v43, s8
	v_cmp_ne_u32_e32 vcc_lo, 0, v0
	v_mov_b32_e32 v35, 0
	s_waitcnt_vscnt null, 0x0
	s_barrier
	buffer_gl0_inv
	v_cndmask_b32_e32 v36, 0, v36, vcc_lo
	ds_load_b32 v35, v35 offset:60
	s_waitcnt lgkmcnt(0)
	s_barrier
	buffer_gl0_inv
	v_add_nc_u32_e32 v53, v35, v36
	v_add_nc_u32_e64 v35, 0x8400, 0
	s_delay_alu instid0(VALU_DEP_2) | instskip(SKIP_2) | instid1(VALU_DEP_1)
	v_add_nc_u32_e32 v51, v53, v42
	ds_load_2addr_b32 v[35:36], v35 offset1:2
	v_add_nc_u32_e32 v49, v51, v44
	v_add_nc_u32_e32 v47, v49, v46
	s_delay_alu instid0(VALU_DEP_1) | instskip(NEXT) | instid1(VALU_DEP_1)
	v_add_nc_u32_e32 v45, v47, v48
	v_add_nc_u32_e32 v43, v45, v50
	s_waitcnt lgkmcnt(0)
	v_readfirstlane_b32 s8, v36
	s_delay_alu instid0(VALU_DEP_2) | instskip(NEXT) | instid1(VALU_DEP_1)
	v_add_nc_u32_e32 v41, v43, v52
	v_add_nc_u32_e32 v39, v41, v54
	v_lshrrev_b64 v[37:38], 24, v[33:34]
	s_branch .LBB1715_424
.LBB1715_414:
                                        ; implicit-def: $vgpr39
                                        ; implicit-def: $vgpr41
                                        ; implicit-def: $vgpr43
                                        ; implicit-def: $vgpr45
                                        ; implicit-def: $vgpr47
                                        ; implicit-def: $vgpr49
                                        ; implicit-def: $vgpr51
                                        ; implicit-def: $vgpr53
                                        ; implicit-def: $sgpr8
                                        ; implicit-def: $vgpr35
	v_lshrrev_b64 v[37:38], 24, v[33:34]
	s_and_b32 vcc_lo, exec_lo, s9
	s_cbranch_vccz .LBB1715_424
; %bb.415:
	v_mov_b32_dpp v35, v59 row_shr:1 row_mask:0xf bank_mask:0xf
	s_delay_alu instid0(VALU_DEP_1) | instskip(NEXT) | instid1(VALU_DEP_1)
	v_cndmask_b32_e64 v35, v35, 0, s4
	v_add_nc_u32_e32 v35, v35, v59
	s_delay_alu instid0(VALU_DEP_1) | instskip(NEXT) | instid1(VALU_DEP_1)
	v_mov_b32_dpp v36, v35 row_shr:2 row_mask:0xf bank_mask:0xf
	v_cndmask_b32_e64 v36, 0, v36, s2
	s_delay_alu instid0(VALU_DEP_1) | instskip(NEXT) | instid1(VALU_DEP_1)
	v_add_nc_u32_e32 v35, v35, v36
	v_mov_b32_dpp v36, v35 row_shr:4 row_mask:0xf bank_mask:0xf
	s_delay_alu instid0(VALU_DEP_1) | instskip(NEXT) | instid1(VALU_DEP_1)
	v_cndmask_b32_e64 v36, 0, v36, s5
	v_add_nc_u32_e32 v35, v35, v36
	s_delay_alu instid0(VALU_DEP_1) | instskip(NEXT) | instid1(VALU_DEP_1)
	v_mov_b32_dpp v36, v35 row_shr:8 row_mask:0xf bank_mask:0xf
	v_cndmask_b32_e64 v36, 0, v36, s3
	s_delay_alu instid0(VALU_DEP_1) | instskip(SKIP_3) | instid1(VALU_DEP_1)
	v_add_nc_u32_e32 v35, v35, v36
	ds_swizzle_b32 v36, v35 offset:swizzle(BROADCAST,32,15)
	s_waitcnt lgkmcnt(0)
	v_cndmask_b32_e64 v36, v36, 0, s7
	v_add_nc_u32_e32 v35, v35, v36
	s_and_saveexec_b32 s7, s6
	s_cbranch_execz .LBB1715_417
; %bb.416:
	v_lshlrev_b32_e32 v36, 2, v58
	ds_store_b32 v36, v35
.LBB1715_417:
	s_or_b32 exec_lo, exec_lo, s7
	s_delay_alu instid0(SALU_CYCLE_1)
	s_mov_b32 s6, exec_lo
	s_waitcnt lgkmcnt(0)
	s_barrier
	buffer_gl0_inv
	v_cmpx_gt_u32_e32 16, v0
	s_cbranch_execz .LBB1715_419
; %bb.418:
	v_lshlrev_b32_e32 v36, 2, v0
	ds_load_b32 v38, v36
	s_waitcnt lgkmcnt(0)
	v_mov_b32_dpp v39, v38 row_shr:1 row_mask:0xf bank_mask:0xf
	s_delay_alu instid0(VALU_DEP_1) | instskip(NEXT) | instid1(VALU_DEP_1)
	v_cndmask_b32_e64 v39, v39, 0, s4
	v_add_nc_u32_e32 v38, v39, v38
	s_delay_alu instid0(VALU_DEP_1) | instskip(NEXT) | instid1(VALU_DEP_1)
	v_mov_b32_dpp v39, v38 row_shr:2 row_mask:0xf bank_mask:0xf
	v_cndmask_b32_e64 v39, 0, v39, s2
	s_delay_alu instid0(VALU_DEP_1) | instskip(NEXT) | instid1(VALU_DEP_1)
	v_add_nc_u32_e32 v38, v38, v39
	v_mov_b32_dpp v39, v38 row_shr:4 row_mask:0xf bank_mask:0xf
	s_delay_alu instid0(VALU_DEP_1) | instskip(NEXT) | instid1(VALU_DEP_1)
	v_cndmask_b32_e64 v39, 0, v39, s5
	v_add_nc_u32_e32 v38, v38, v39
	s_delay_alu instid0(VALU_DEP_1) | instskip(NEXT) | instid1(VALU_DEP_1)
	v_mov_b32_dpp v39, v38 row_shr:8 row_mask:0xf bank_mask:0xf
	v_cndmask_b32_e64 v39, 0, v39, s3
	s_delay_alu instid0(VALU_DEP_1)
	v_add_nc_u32_e32 v38, v38, v39
	ds_store_b32 v36, v38
.LBB1715_419:
	s_or_b32 exec_lo, exec_lo, s6
	v_mov_b32_e32 v36, 0
	v_mov_b32_e32 v38, 0
	s_mov_b32 s2, exec_lo
	s_waitcnt lgkmcnt(0)
	s_barrier
	buffer_gl0_inv
	v_cmpx_lt_u32_e32 31, v0
	s_cbranch_execz .LBB1715_421
; %bb.420:
	v_lshl_add_u32 v38, v58, 2, -4
	ds_load_b32 v38, v38
.LBB1715_421:
	s_or_b32 exec_lo, exec_lo, s2
	v_add_nc_u32_e32 v39, -1, v57
	s_waitcnt lgkmcnt(0)
	v_add_nc_u32_e32 v35, v38, v35
	s_mov_b32 s8, 0
	s_delay_alu instid0(VALU_DEP_2) | instskip(SKIP_2) | instid1(VALU_DEP_2)
	v_cmp_gt_i32_e32 vcc_lo, 0, v39
	v_cndmask_b32_e32 v39, v39, v57, vcc_lo
	v_cmp_eq_u32_e32 vcc_lo, 0, v0
	v_lshlrev_b32_e32 v39, 2, v39
	ds_bpermute_b32 v39, v39, v35
	ds_load_b32 v35, v36 offset:60
	s_and_saveexec_b32 s2, vcc_lo
	s_cbranch_execz .LBB1715_423
; %bb.422:
	v_mov_b32_e32 v40, 0
	v_mov_b32_e32 v36, 2
	s_waitcnt lgkmcnt(0)
	global_store_b64 v40, v[35:36], s[10:11] offset:256
.LBB1715_423:
	s_or_b32 exec_lo, exec_lo, s2
	v_cmp_eq_u32_e64 s2, 0, v57
	s_waitcnt lgkmcnt(0)
	s_waitcnt_vscnt null, 0x0
	s_barrier
	buffer_gl0_inv
	v_cndmask_b32_e64 v36, v39, v38, s2
	s_delay_alu instid0(VALU_DEP_1) | instskip(NEXT) | instid1(VALU_DEP_1)
	v_cndmask_b32_e64 v53, v36, 0, vcc_lo
	v_add_nc_u32_e32 v51, v53, v42
	s_delay_alu instid0(VALU_DEP_1) | instskip(NEXT) | instid1(VALU_DEP_1)
	v_add_nc_u32_e32 v49, v51, v44
	v_add_nc_u32_e32 v47, v49, v46
	s_delay_alu instid0(VALU_DEP_1) | instskip(NEXT) | instid1(VALU_DEP_1)
	v_add_nc_u32_e32 v45, v47, v48
	;; [unrolled: 3-line block ×3, first 2 shown]
	v_add_nc_u32_e32 v39, v41, v54
.LBB1715_424:
	s_load_b128 s[4:7], s[0:1], 0x28
	v_add_nc_u32_e32 v59, s8, v35
	v_cmp_gt_u32_e64 s0, 0x201, v35
	v_lshrrev_b32_e32 v58, 8, v33
	v_lshrrev_b32_e32 v57, 16, v33
	;; [unrolled: 1-line block ×4, first 2 shown]
	v_cmp_lt_u32_e64 s1, v53, v59
	s_and_b32 vcc_lo, exec_lo, s0
	s_mov_b32 s2, -1
	s_cbranch_vccz .LBB1715_450
; %bb.425:
	s_delay_alu instid0(VALU_DEP_1) | instskip(NEXT) | instid1(SALU_CYCLE_1)
	s_or_b32 s2, s20, s1
	s_and_saveexec_b32 s1, s2
	s_cbranch_execz .LBB1715_428
; %bb.426:
	v_and_b32_e32 v40, 1, v33
	s_delay_alu instid0(VALU_DEP_1)
	v_cmp_eq_u32_e32 vcc_lo, 1, v40
	s_and_b32 exec_lo, exec_lo, vcc_lo
	s_cbranch_execz .LBB1715_428
; %bb.427:
	v_mov_b32_e32 v54, 0
	s_lshl_b64 s[2:3], s[12:13], 3
	s_waitcnt lgkmcnt(0)
	s_add_u32 s2, s4, s2
	s_addc_u32 s3, s5, s3
	v_lshlrev_b64 v[60:61], 3, v[53:54]
	s_delay_alu instid0(VALU_DEP_1) | instskip(NEXT) | instid1(VALU_DEP_2)
	v_add_co_u32 v60, vcc_lo, s2, v60
	v_add_co_ci_u32_e32 v61, vcc_lo, s3, v61, vcc_lo
	global_store_b64 v[60:61], v[29:30], off
.LBB1715_428:
	s_or_b32 exec_lo, exec_lo, s1
	v_cmp_lt_u32_e32 vcc_lo, v51, v59
	s_or_b32 s2, s20, vcc_lo
	s_delay_alu instid0(SALU_CYCLE_1)
	s_and_saveexec_b32 s1, s2
	s_cbranch_execz .LBB1715_431
; %bb.429:
	v_and_b32_e32 v40, 1, v58
	s_delay_alu instid0(VALU_DEP_1)
	v_cmp_eq_u32_e32 vcc_lo, 1, v40
	s_and_b32 exec_lo, exec_lo, vcc_lo
	s_cbranch_execz .LBB1715_431
; %bb.430:
	v_mov_b32_e32 v52, 0
	s_lshl_b64 s[2:3], s[12:13], 3
	s_waitcnt lgkmcnt(0)
	s_add_u32 s2, s4, s2
	s_addc_u32 s3, s5, s3
	v_lshlrev_b64 v[60:61], 3, v[51:52]
	s_delay_alu instid0(VALU_DEP_1) | instskip(NEXT) | instid1(VALU_DEP_2)
	v_add_co_u32 v60, vcc_lo, s2, v60
	v_add_co_ci_u32_e32 v61, vcc_lo, s3, v61, vcc_lo
	global_store_b64 v[60:61], v[31:32], off
.LBB1715_431:
	s_or_b32 exec_lo, exec_lo, s1
	v_cmp_lt_u32_e32 vcc_lo, v49, v59
	s_or_b32 s2, s20, vcc_lo
	s_delay_alu instid0(SALU_CYCLE_1)
	;; [unrolled: 24-line block ×7, first 2 shown]
	s_and_saveexec_b32 s1, s2
	s_cbranch_execz .LBB1715_449
; %bb.447:
	v_and_b32_e32 v40, 1, v56
	s_delay_alu instid0(VALU_DEP_1)
	v_cmp_eq_u32_e32 vcc_lo, 1, v40
	s_and_b32 exec_lo, exec_lo, vcc_lo
	s_cbranch_execz .LBB1715_449
; %bb.448:
	v_mov_b32_e32 v40, 0
	s_lshl_b64 s[2:3], s[12:13], 3
	s_waitcnt lgkmcnt(0)
	s_add_u32 s2, s4, s2
	s_addc_u32 s3, s5, s3
	v_lshlrev_b64 v[60:61], 3, v[39:40]
	s_delay_alu instid0(VALU_DEP_1) | instskip(NEXT) | instid1(VALU_DEP_2)
	v_add_co_u32 v60, vcc_lo, s2, v60
	v_add_co_ci_u32_e32 v61, vcc_lo, s3, v61, vcc_lo
	global_store_b64 v[60:61], v[19:20], off
.LBB1715_449:
	s_or_b32 exec_lo, exec_lo, s1
	s_mov_b32 s2, 0
.LBB1715_450:
	v_and_b32_e32 v33, 1, v33
	s_and_b32 vcc_lo, exec_lo, s2
	s_delay_alu instid0(VALU_DEP_1)
	v_cmp_eq_u32_e64 s1, 1, v33
	s_cbranch_vccz .LBB1715_471
; %bb.451:
	s_delay_alu instid0(VALU_DEP_1)
	s_and_saveexec_b32 s2, s1
	s_cbranch_execz .LBB1715_453
; %bb.452:
	v_subrev_nc_u32_e32 v40, s8, v53
	s_delay_alu instid0(VALU_DEP_1)
	v_lshlrev_b32_e32 v40, 3, v40
	ds_store_b64 v40, v[29:30]
.LBB1715_453:
	s_or_b32 exec_lo, exec_lo, s2
	v_and_b32_e32 v29, 1, v58
	s_mov_b32 s1, exec_lo
	s_delay_alu instid0(VALU_DEP_1)
	v_cmpx_eq_u32_e32 1, v29
	s_cbranch_execz .LBB1715_455
; %bb.454:
	v_subrev_nc_u32_e32 v29, s8, v51
	s_delay_alu instid0(VALU_DEP_1)
	v_lshlrev_b32_e32 v29, 3, v29
	ds_store_b64 v29, v[31:32]
.LBB1715_455:
	s_or_b32 exec_lo, exec_lo, s1
	v_and_b32_e32 v29, 1, v57
	s_mov_b32 s1, exec_lo
	s_delay_alu instid0(VALU_DEP_1)
	v_cmpx_eq_u32_e32 1, v29
	;; [unrolled: 12-line block ×7, first 2 shown]
	s_cbranch_execz .LBB1715_467
; %bb.466:
	v_subrev_nc_u32_e32 v17, s8, v39
	s_delay_alu instid0(VALU_DEP_1)
	v_lshlrev_b32_e32 v17, 3, v17
	ds_store_b64 v17, v[19:20]
.LBB1715_467:
	s_or_b32 exec_lo, exec_lo, s1
	s_delay_alu instid0(SALU_CYCLE_1)
	s_mov_b32 s2, exec_lo
	s_waitcnt lgkmcnt(0)
	s_waitcnt_vscnt null, 0x0
	s_barrier
	buffer_gl0_inv
	v_cmpx_lt_u32_e64 v0, v35
	s_cbranch_execz .LBB1715_470
; %bb.468:
	s_mov_b32 s9, 0
	s_lshl_b64 s[10:11], s[12:13], 3
	s_lshl_b64 s[18:19], s[8:9], 3
	v_dual_mov_b32 v19, v55 :: v_dual_mov_b32 v20, v0
	s_add_u32 s1, s10, s18
	s_addc_u32 s3, s11, s19
	s_add_u32 s1, s4, s1
	s_addc_u32 s3, s5, s3
	v_add_co_u32 v17, s1, s1, v55
	s_delay_alu instid0(VALU_DEP_1)
	v_add_co_ci_u32_e64 v18, null, s3, 0, s1
	.p2align	6
.LBB1715_469:                           ; =>This Inner Loop Header: Depth=1
	ds_load_b64 v[21:22], v19
	v_add_nc_u32_e32 v20, 0x200, v20
	v_add_nc_u32_e32 v19, 0x1000, v19
	s_delay_alu instid0(VALU_DEP_2) | instskip(SKIP_4) | instid1(VALU_DEP_1)
	v_cmp_ge_u32_e32 vcc_lo, v20, v35
	s_or_b32 s9, vcc_lo, s9
	s_waitcnt lgkmcnt(0)
	global_store_b64 v[17:18], v[21:22], off
	v_add_co_u32 v17, s1, 0x1000, v17
	v_add_co_ci_u32_e64 v18, s1, 0, v18, s1
	s_and_not1_b32 exec_lo, exec_lo, s9
	s_cbranch_execnz .LBB1715_469
.LBB1715_470:
	s_or_b32 exec_lo, exec_lo, s2
.LBB1715_471:
	s_delay_alu instid0(SALU_CYCLE_1)
	s_and_b32 vcc_lo, exec_lo, s0
	s_mov_b32 s0, -1
	s_waitcnt lgkmcnt(0)
	s_waitcnt_vscnt null, 0x0
	s_barrier
	buffer_gl0_inv
	s_cbranch_vccz .LBB1715_499
; %bb.472:
	v_cmp_lt_u32_e32 vcc_lo, v53, v59
	s_or_b32 s1, s20, vcc_lo
	s_delay_alu instid0(SALU_CYCLE_1)
	s_and_saveexec_b32 s0, s1
	s_cbranch_execz .LBB1715_475
; %bb.473:
	v_cmp_eq_u32_e32 vcc_lo, 1, v33
	s_and_b32 exec_lo, exec_lo, vcc_lo
	s_cbranch_execz .LBB1715_475
; %bb.474:
	v_mov_b32_e32 v54, 0
	s_lshl_b64 s[2:3], s[12:13], 3
	s_delay_alu instid0(SALU_CYCLE_1) | instskip(SKIP_1) | instid1(VALU_DEP_1)
	s_add_u32 s1, s6, s2
	s_addc_u32 s2, s7, s3
	v_lshlrev_b64 v[17:18], 3, v[53:54]
	s_delay_alu instid0(VALU_DEP_1) | instskip(NEXT) | instid1(VALU_DEP_2)
	v_add_co_u32 v17, vcc_lo, s1, v17
	v_add_co_ci_u32_e32 v18, vcc_lo, s2, v18, vcc_lo
	global_store_b64 v[17:18], v[13:14], off
.LBB1715_475:
	s_or_b32 exec_lo, exec_lo, s0
	v_cmp_lt_u32_e32 vcc_lo, v51, v59
	s_or_b32 s1, s20, vcc_lo
	s_delay_alu instid0(SALU_CYCLE_1)
	s_and_saveexec_b32 s0, s1
	s_cbranch_execz .LBB1715_478
; %bb.476:
	v_and_b32_e32 v17, 1, v58
	s_delay_alu instid0(VALU_DEP_1)
	v_cmp_eq_u32_e32 vcc_lo, 1, v17
	s_and_b32 exec_lo, exec_lo, vcc_lo
	s_cbranch_execz .LBB1715_478
; %bb.477:
	v_mov_b32_e32 v52, 0
	s_lshl_b64 s[2:3], s[12:13], 3
	s_delay_alu instid0(SALU_CYCLE_1) | instskip(SKIP_1) | instid1(VALU_DEP_1)
	s_add_u32 s1, s6, s2
	s_addc_u32 s2, s7, s3
	v_lshlrev_b64 v[17:18], 3, v[51:52]
	s_delay_alu instid0(VALU_DEP_1) | instskip(NEXT) | instid1(VALU_DEP_2)
	v_add_co_u32 v17, vcc_lo, s1, v17
	v_add_co_ci_u32_e32 v18, vcc_lo, s2, v18, vcc_lo
	global_store_b64 v[17:18], v[15:16], off
.LBB1715_478:
	s_or_b32 exec_lo, exec_lo, s0
	v_cmp_lt_u32_e32 vcc_lo, v49, v59
	s_or_b32 s1, s20, vcc_lo
	s_delay_alu instid0(SALU_CYCLE_1)
	s_and_saveexec_b32 s0, s1
	s_cbranch_execz .LBB1715_481
; %bb.479:
	v_and_b32_e32 v17, 1, v57
	s_delay_alu instid0(VALU_DEP_1)
	v_cmp_eq_u32_e32 vcc_lo, 1, v17
	s_and_b32 exec_lo, exec_lo, vcc_lo
	s_cbranch_execz .LBB1715_481
; %bb.480:
	v_mov_b32_e32 v50, 0
	s_lshl_b64 s[2:3], s[12:13], 3
	s_delay_alu instid0(SALU_CYCLE_1) | instskip(SKIP_1) | instid1(VALU_DEP_1)
	s_add_u32 s1, s6, s2
	s_addc_u32 s2, s7, s3
	v_lshlrev_b64 v[17:18], 3, v[49:50]
	s_delay_alu instid0(VALU_DEP_1) | instskip(NEXT) | instid1(VALU_DEP_2)
	v_add_co_u32 v17, vcc_lo, s1, v17
	v_add_co_ci_u32_e32 v18, vcc_lo, s2, v18, vcc_lo
	global_store_b64 v[17:18], v[9:10], off
.LBB1715_481:
	;; [unrolled: 24-line block ×7, first 2 shown]
	s_or_b32 exec_lo, exec_lo, s0
.LBB1715_497:
	v_cmp_eq_u32_e32 vcc_lo, 0, v0
	s_and_b32 s0, vcc_lo, s14
	s_delay_alu instid0(SALU_CYCLE_1)
	s_and_saveexec_b32 s1, s0
	s_cbranch_execz .LBB1715_520
.LBB1715_498:
	v_add_co_u32 v0, s0, s12, v35
	s_delay_alu instid0(VALU_DEP_1) | instskip(SKIP_1) | instid1(VALU_DEP_3)
	v_add_co_ci_u32_e64 v1, null, s13, 0, s0
	v_mov_b32_e32 v2, 0
	v_add_co_u32 v0, vcc_lo, v0, s8
	s_delay_alu instid0(VALU_DEP_3)
	v_add_co_ci_u32_e32 v1, vcc_lo, 0, v1, vcc_lo
	global_store_b64 v2, v[0:1], s[16:17]
	s_nop 0
	s_sendmsg sendmsg(MSG_DEALLOC_VGPRS)
	s_endpgm
.LBB1715_499:
	s_and_b32 vcc_lo, exec_lo, s0
	s_cbranch_vccz .LBB1715_497
; %bb.500:
	s_mov_b32 s0, exec_lo
	v_cmpx_eq_u32_e32 1, v33
	s_cbranch_execz .LBB1715_502
; %bb.501:
	v_subrev_nc_u32_e32 v17, s8, v53
	s_delay_alu instid0(VALU_DEP_1)
	v_lshlrev_b32_e32 v17, 3, v17
	ds_store_b64 v17, v[13:14]
.LBB1715_502:
	s_or_b32 exec_lo, exec_lo, s0
	v_and_b32_e32 v13, 1, v58
	s_mov_b32 s0, exec_lo
	s_delay_alu instid0(VALU_DEP_1)
	v_cmpx_eq_u32_e32 1, v13
	s_cbranch_execz .LBB1715_504
; %bb.503:
	v_subrev_nc_u32_e32 v13, s8, v51
	s_delay_alu instid0(VALU_DEP_1)
	v_lshlrev_b32_e32 v13, 3, v13
	ds_store_b64 v13, v[15:16]
.LBB1715_504:
	s_or_b32 exec_lo, exec_lo, s0
	v_and_b32_e32 v13, 1, v57
	s_mov_b32 s0, exec_lo
	s_delay_alu instid0(VALU_DEP_1)
	;; [unrolled: 12-line block ×7, first 2 shown]
	v_cmpx_eq_u32_e32 1, v1
	s_cbranch_execz .LBB1715_516
; %bb.515:
	v_subrev_nc_u32_e32 v1, s8, v39
	s_delay_alu instid0(VALU_DEP_1)
	v_lshlrev_b32_e32 v1, 3, v1
	ds_store_b64 v1, v[3:4]
.LBB1715_516:
	s_or_b32 exec_lo, exec_lo, s0
	s_delay_alu instid0(SALU_CYCLE_1)
	s_mov_b32 s1, exec_lo
	s_waitcnt lgkmcnt(0)
	s_waitcnt_vscnt null, 0x0
	s_barrier
	buffer_gl0_inv
	v_cmpx_lt_u32_e64 v0, v35
	s_cbranch_execz .LBB1715_519
; %bb.517:
	s_mov_b32 s9, 0
	s_lshl_b64 s[2:3], s[12:13], 3
	s_lshl_b64 s[4:5], s[8:9], 3
	v_mov_b32_e32 v3, v0
	s_add_u32 s0, s2, s4
	s_addc_u32 s2, s3, s5
	s_add_u32 s0, s6, s0
	s_addc_u32 s2, s7, s2
	v_add_co_u32 v1, s0, s0, v55
	s_delay_alu instid0(VALU_DEP_1)
	v_add_co_ci_u32_e64 v2, null, s2, 0, s0
	.p2align	6
.LBB1715_518:                           ; =>This Inner Loop Header: Depth=1
	ds_load_b64 v[4:5], v55
	v_add_nc_u32_e32 v3, 0x200, v3
	v_add_nc_u32_e32 v55, 0x1000, v55
	s_delay_alu instid0(VALU_DEP_2) | instskip(SKIP_4) | instid1(VALU_DEP_1)
	v_cmp_ge_u32_e32 vcc_lo, v3, v35
	s_or_b32 s9, vcc_lo, s9
	s_waitcnt lgkmcnt(0)
	global_store_b64 v[1:2], v[4:5], off
	v_add_co_u32 v1, s0, 0x1000, v1
	v_add_co_ci_u32_e64 v2, s0, 0, v2, s0
	s_and_not1_b32 exec_lo, exec_lo, s9
	s_cbranch_execnz .LBB1715_518
.LBB1715_519:
	s_or_b32 exec_lo, exec_lo, s1
	v_cmp_eq_u32_e32 vcc_lo, 0, v0
	s_and_b32 s0, vcc_lo, s14
	s_delay_alu instid0(SALU_CYCLE_1)
	s_and_saveexec_b32 s1, s0
	s_cbranch_execnz .LBB1715_498
.LBB1715_520:
	s_nop 0
	s_sendmsg sendmsg(MSG_DEALLOC_VGPRS)
	s_endpgm
	.section	.rodata,"a",@progbits
	.p2align	6, 0x0
	.amdhsa_kernel _ZN7rocprim17ROCPRIM_400000_NS6detail17trampoline_kernelINS0_14default_configENS1_25partition_config_selectorILNS1_17partition_subalgoE9EllbEEZZNS1_14partition_implILS5_9ELb0ES3_jPlS8_PNS0_10empty_typeENS0_5tupleIJS8_S9_EEENSB_IJS8_SA_EEENS0_18inequality_wrapperIZN2at6native12_GLOBAL__N_124unique_dim_cuda_templateImEESt5tupleIJNSF_6TensorESK_SK_EERKSK_lbbbEUlllE0_EEPmJS9_EEE10hipError_tPvRmT3_T4_T5_T6_T7_T9_mT8_P12ihipStream_tbDpT10_ENKUlT_T0_E_clISt17integral_constantIbLb1EES19_IbLb0EEEEDaS15_S16_EUlS15_E_NS1_11comp_targetILNS1_3genE9ELNS1_11target_archE1100ELNS1_3gpuE3ELNS1_3repE0EEENS1_30default_config_static_selectorELNS0_4arch9wavefront6targetE0EEEvT1_
		.amdhsa_group_segment_fixed_size 33804
		.amdhsa_private_segment_fixed_size 0
		.amdhsa_kernarg_size 120
		.amdhsa_user_sgpr_count 15
		.amdhsa_user_sgpr_dispatch_ptr 0
		.amdhsa_user_sgpr_queue_ptr 0
		.amdhsa_user_sgpr_kernarg_segment_ptr 1
		.amdhsa_user_sgpr_dispatch_id 0
		.amdhsa_user_sgpr_private_segment_size 0
		.amdhsa_wavefront_size32 1
		.amdhsa_uses_dynamic_stack 0
		.amdhsa_enable_private_segment 0
		.amdhsa_system_sgpr_workgroup_id_x 1
		.amdhsa_system_sgpr_workgroup_id_y 0
		.amdhsa_system_sgpr_workgroup_id_z 0
		.amdhsa_system_sgpr_workgroup_info 0
		.amdhsa_system_vgpr_workitem_id 0
		.amdhsa_next_free_vgpr 68
		.amdhsa_next_free_sgpr 36
		.amdhsa_reserve_vcc 1
		.amdhsa_float_round_mode_32 0
		.amdhsa_float_round_mode_16_64 0
		.amdhsa_float_denorm_mode_32 3
		.amdhsa_float_denorm_mode_16_64 3
		.amdhsa_dx10_clamp 1
		.amdhsa_ieee_mode 1
		.amdhsa_fp16_overflow 0
		.amdhsa_workgroup_processor_mode 1
		.amdhsa_memory_ordered 1
		.amdhsa_forward_progress 0
		.amdhsa_shared_vgpr_count 0
		.amdhsa_exception_fp_ieee_invalid_op 0
		.amdhsa_exception_fp_denorm_src 0
		.amdhsa_exception_fp_ieee_div_zero 0
		.amdhsa_exception_fp_ieee_overflow 0
		.amdhsa_exception_fp_ieee_underflow 0
		.amdhsa_exception_fp_ieee_inexact 0
		.amdhsa_exception_int_div_zero 0
	.end_amdhsa_kernel
	.section	.text._ZN7rocprim17ROCPRIM_400000_NS6detail17trampoline_kernelINS0_14default_configENS1_25partition_config_selectorILNS1_17partition_subalgoE9EllbEEZZNS1_14partition_implILS5_9ELb0ES3_jPlS8_PNS0_10empty_typeENS0_5tupleIJS8_S9_EEENSB_IJS8_SA_EEENS0_18inequality_wrapperIZN2at6native12_GLOBAL__N_124unique_dim_cuda_templateImEESt5tupleIJNSF_6TensorESK_SK_EERKSK_lbbbEUlllE0_EEPmJS9_EEE10hipError_tPvRmT3_T4_T5_T6_T7_T9_mT8_P12ihipStream_tbDpT10_ENKUlT_T0_E_clISt17integral_constantIbLb1EES19_IbLb0EEEEDaS15_S16_EUlS15_E_NS1_11comp_targetILNS1_3genE9ELNS1_11target_archE1100ELNS1_3gpuE3ELNS1_3repE0EEENS1_30default_config_static_selectorELNS0_4arch9wavefront6targetE0EEEvT1_,"axG",@progbits,_ZN7rocprim17ROCPRIM_400000_NS6detail17trampoline_kernelINS0_14default_configENS1_25partition_config_selectorILNS1_17partition_subalgoE9EllbEEZZNS1_14partition_implILS5_9ELb0ES3_jPlS8_PNS0_10empty_typeENS0_5tupleIJS8_S9_EEENSB_IJS8_SA_EEENS0_18inequality_wrapperIZN2at6native12_GLOBAL__N_124unique_dim_cuda_templateImEESt5tupleIJNSF_6TensorESK_SK_EERKSK_lbbbEUlllE0_EEPmJS9_EEE10hipError_tPvRmT3_T4_T5_T6_T7_T9_mT8_P12ihipStream_tbDpT10_ENKUlT_T0_E_clISt17integral_constantIbLb1EES19_IbLb0EEEEDaS15_S16_EUlS15_E_NS1_11comp_targetILNS1_3genE9ELNS1_11target_archE1100ELNS1_3gpuE3ELNS1_3repE0EEENS1_30default_config_static_selectorELNS0_4arch9wavefront6targetE0EEEvT1_,comdat
.Lfunc_end1715:
	.size	_ZN7rocprim17ROCPRIM_400000_NS6detail17trampoline_kernelINS0_14default_configENS1_25partition_config_selectorILNS1_17partition_subalgoE9EllbEEZZNS1_14partition_implILS5_9ELb0ES3_jPlS8_PNS0_10empty_typeENS0_5tupleIJS8_S9_EEENSB_IJS8_SA_EEENS0_18inequality_wrapperIZN2at6native12_GLOBAL__N_124unique_dim_cuda_templateImEESt5tupleIJNSF_6TensorESK_SK_EERKSK_lbbbEUlllE0_EEPmJS9_EEE10hipError_tPvRmT3_T4_T5_T6_T7_T9_mT8_P12ihipStream_tbDpT10_ENKUlT_T0_E_clISt17integral_constantIbLb1EES19_IbLb0EEEEDaS15_S16_EUlS15_E_NS1_11comp_targetILNS1_3genE9ELNS1_11target_archE1100ELNS1_3gpuE3ELNS1_3repE0EEENS1_30default_config_static_selectorELNS0_4arch9wavefront6targetE0EEEvT1_, .Lfunc_end1715-_ZN7rocprim17ROCPRIM_400000_NS6detail17trampoline_kernelINS0_14default_configENS1_25partition_config_selectorILNS1_17partition_subalgoE9EllbEEZZNS1_14partition_implILS5_9ELb0ES3_jPlS8_PNS0_10empty_typeENS0_5tupleIJS8_S9_EEENSB_IJS8_SA_EEENS0_18inequality_wrapperIZN2at6native12_GLOBAL__N_124unique_dim_cuda_templateImEESt5tupleIJNSF_6TensorESK_SK_EERKSK_lbbbEUlllE0_EEPmJS9_EEE10hipError_tPvRmT3_T4_T5_T6_T7_T9_mT8_P12ihipStream_tbDpT10_ENKUlT_T0_E_clISt17integral_constantIbLb1EES19_IbLb0EEEEDaS15_S16_EUlS15_E_NS1_11comp_targetILNS1_3genE9ELNS1_11target_archE1100ELNS1_3gpuE3ELNS1_3repE0EEENS1_30default_config_static_selectorELNS0_4arch9wavefront6targetE0EEEvT1_
                                        ; -- End function
	.section	.AMDGPU.csdata,"",@progbits
; Kernel info:
; codeLenInByte = 20588
; NumSgprs: 38
; NumVgprs: 68
; ScratchSize: 0
; MemoryBound: 1
; FloatMode: 240
; IeeeMode: 1
; LDSByteSize: 33804 bytes/workgroup (compile time only)
; SGPRBlocks: 4
; VGPRBlocks: 8
; NumSGPRsForWavesPerEU: 38
; NumVGPRsForWavesPerEU: 68
; Occupancy: 12
; WaveLimiterHint : 1
; COMPUTE_PGM_RSRC2:SCRATCH_EN: 0
; COMPUTE_PGM_RSRC2:USER_SGPR: 15
; COMPUTE_PGM_RSRC2:TRAP_HANDLER: 0
; COMPUTE_PGM_RSRC2:TGID_X_EN: 1
; COMPUTE_PGM_RSRC2:TGID_Y_EN: 0
; COMPUTE_PGM_RSRC2:TGID_Z_EN: 0
; COMPUTE_PGM_RSRC2:TIDIG_COMP_CNT: 0
	.section	.text._ZN7rocprim17ROCPRIM_400000_NS6detail17trampoline_kernelINS0_14default_configENS1_25partition_config_selectorILNS1_17partition_subalgoE9EllbEEZZNS1_14partition_implILS5_9ELb0ES3_jPlS8_PNS0_10empty_typeENS0_5tupleIJS8_S9_EEENSB_IJS8_SA_EEENS0_18inequality_wrapperIZN2at6native12_GLOBAL__N_124unique_dim_cuda_templateImEESt5tupleIJNSF_6TensorESK_SK_EERKSK_lbbbEUlllE0_EEPmJS9_EEE10hipError_tPvRmT3_T4_T5_T6_T7_T9_mT8_P12ihipStream_tbDpT10_ENKUlT_T0_E_clISt17integral_constantIbLb1EES19_IbLb0EEEEDaS15_S16_EUlS15_E_NS1_11comp_targetILNS1_3genE8ELNS1_11target_archE1030ELNS1_3gpuE2ELNS1_3repE0EEENS1_30default_config_static_selectorELNS0_4arch9wavefront6targetE0EEEvT1_,"axG",@progbits,_ZN7rocprim17ROCPRIM_400000_NS6detail17trampoline_kernelINS0_14default_configENS1_25partition_config_selectorILNS1_17partition_subalgoE9EllbEEZZNS1_14partition_implILS5_9ELb0ES3_jPlS8_PNS0_10empty_typeENS0_5tupleIJS8_S9_EEENSB_IJS8_SA_EEENS0_18inequality_wrapperIZN2at6native12_GLOBAL__N_124unique_dim_cuda_templateImEESt5tupleIJNSF_6TensorESK_SK_EERKSK_lbbbEUlllE0_EEPmJS9_EEE10hipError_tPvRmT3_T4_T5_T6_T7_T9_mT8_P12ihipStream_tbDpT10_ENKUlT_T0_E_clISt17integral_constantIbLb1EES19_IbLb0EEEEDaS15_S16_EUlS15_E_NS1_11comp_targetILNS1_3genE8ELNS1_11target_archE1030ELNS1_3gpuE2ELNS1_3repE0EEENS1_30default_config_static_selectorELNS0_4arch9wavefront6targetE0EEEvT1_,comdat
	.globl	_ZN7rocprim17ROCPRIM_400000_NS6detail17trampoline_kernelINS0_14default_configENS1_25partition_config_selectorILNS1_17partition_subalgoE9EllbEEZZNS1_14partition_implILS5_9ELb0ES3_jPlS8_PNS0_10empty_typeENS0_5tupleIJS8_S9_EEENSB_IJS8_SA_EEENS0_18inequality_wrapperIZN2at6native12_GLOBAL__N_124unique_dim_cuda_templateImEESt5tupleIJNSF_6TensorESK_SK_EERKSK_lbbbEUlllE0_EEPmJS9_EEE10hipError_tPvRmT3_T4_T5_T6_T7_T9_mT8_P12ihipStream_tbDpT10_ENKUlT_T0_E_clISt17integral_constantIbLb1EES19_IbLb0EEEEDaS15_S16_EUlS15_E_NS1_11comp_targetILNS1_3genE8ELNS1_11target_archE1030ELNS1_3gpuE2ELNS1_3repE0EEENS1_30default_config_static_selectorELNS0_4arch9wavefront6targetE0EEEvT1_ ; -- Begin function _ZN7rocprim17ROCPRIM_400000_NS6detail17trampoline_kernelINS0_14default_configENS1_25partition_config_selectorILNS1_17partition_subalgoE9EllbEEZZNS1_14partition_implILS5_9ELb0ES3_jPlS8_PNS0_10empty_typeENS0_5tupleIJS8_S9_EEENSB_IJS8_SA_EEENS0_18inequality_wrapperIZN2at6native12_GLOBAL__N_124unique_dim_cuda_templateImEESt5tupleIJNSF_6TensorESK_SK_EERKSK_lbbbEUlllE0_EEPmJS9_EEE10hipError_tPvRmT3_T4_T5_T6_T7_T9_mT8_P12ihipStream_tbDpT10_ENKUlT_T0_E_clISt17integral_constantIbLb1EES19_IbLb0EEEEDaS15_S16_EUlS15_E_NS1_11comp_targetILNS1_3genE8ELNS1_11target_archE1030ELNS1_3gpuE2ELNS1_3repE0EEENS1_30default_config_static_selectorELNS0_4arch9wavefront6targetE0EEEvT1_
	.p2align	8
	.type	_ZN7rocprim17ROCPRIM_400000_NS6detail17trampoline_kernelINS0_14default_configENS1_25partition_config_selectorILNS1_17partition_subalgoE9EllbEEZZNS1_14partition_implILS5_9ELb0ES3_jPlS8_PNS0_10empty_typeENS0_5tupleIJS8_S9_EEENSB_IJS8_SA_EEENS0_18inequality_wrapperIZN2at6native12_GLOBAL__N_124unique_dim_cuda_templateImEESt5tupleIJNSF_6TensorESK_SK_EERKSK_lbbbEUlllE0_EEPmJS9_EEE10hipError_tPvRmT3_T4_T5_T6_T7_T9_mT8_P12ihipStream_tbDpT10_ENKUlT_T0_E_clISt17integral_constantIbLb1EES19_IbLb0EEEEDaS15_S16_EUlS15_E_NS1_11comp_targetILNS1_3genE8ELNS1_11target_archE1030ELNS1_3gpuE2ELNS1_3repE0EEENS1_30default_config_static_selectorELNS0_4arch9wavefront6targetE0EEEvT1_,@function
_ZN7rocprim17ROCPRIM_400000_NS6detail17trampoline_kernelINS0_14default_configENS1_25partition_config_selectorILNS1_17partition_subalgoE9EllbEEZZNS1_14partition_implILS5_9ELb0ES3_jPlS8_PNS0_10empty_typeENS0_5tupleIJS8_S9_EEENSB_IJS8_SA_EEENS0_18inequality_wrapperIZN2at6native12_GLOBAL__N_124unique_dim_cuda_templateImEESt5tupleIJNSF_6TensorESK_SK_EERKSK_lbbbEUlllE0_EEPmJS9_EEE10hipError_tPvRmT3_T4_T5_T6_T7_T9_mT8_P12ihipStream_tbDpT10_ENKUlT_T0_E_clISt17integral_constantIbLb1EES19_IbLb0EEEEDaS15_S16_EUlS15_E_NS1_11comp_targetILNS1_3genE8ELNS1_11target_archE1030ELNS1_3gpuE2ELNS1_3repE0EEENS1_30default_config_static_selectorELNS0_4arch9wavefront6targetE0EEEvT1_: ; @_ZN7rocprim17ROCPRIM_400000_NS6detail17trampoline_kernelINS0_14default_configENS1_25partition_config_selectorILNS1_17partition_subalgoE9EllbEEZZNS1_14partition_implILS5_9ELb0ES3_jPlS8_PNS0_10empty_typeENS0_5tupleIJS8_S9_EEENSB_IJS8_SA_EEENS0_18inequality_wrapperIZN2at6native12_GLOBAL__N_124unique_dim_cuda_templateImEESt5tupleIJNSF_6TensorESK_SK_EERKSK_lbbbEUlllE0_EEPmJS9_EEE10hipError_tPvRmT3_T4_T5_T6_T7_T9_mT8_P12ihipStream_tbDpT10_ENKUlT_T0_E_clISt17integral_constantIbLb1EES19_IbLb0EEEEDaS15_S16_EUlS15_E_NS1_11comp_targetILNS1_3genE8ELNS1_11target_archE1030ELNS1_3gpuE2ELNS1_3repE0EEENS1_30default_config_static_selectorELNS0_4arch9wavefront6targetE0EEEvT1_
; %bb.0:
	.section	.rodata,"a",@progbits
	.p2align	6, 0x0
	.amdhsa_kernel _ZN7rocprim17ROCPRIM_400000_NS6detail17trampoline_kernelINS0_14default_configENS1_25partition_config_selectorILNS1_17partition_subalgoE9EllbEEZZNS1_14partition_implILS5_9ELb0ES3_jPlS8_PNS0_10empty_typeENS0_5tupleIJS8_S9_EEENSB_IJS8_SA_EEENS0_18inequality_wrapperIZN2at6native12_GLOBAL__N_124unique_dim_cuda_templateImEESt5tupleIJNSF_6TensorESK_SK_EERKSK_lbbbEUlllE0_EEPmJS9_EEE10hipError_tPvRmT3_T4_T5_T6_T7_T9_mT8_P12ihipStream_tbDpT10_ENKUlT_T0_E_clISt17integral_constantIbLb1EES19_IbLb0EEEEDaS15_S16_EUlS15_E_NS1_11comp_targetILNS1_3genE8ELNS1_11target_archE1030ELNS1_3gpuE2ELNS1_3repE0EEENS1_30default_config_static_selectorELNS0_4arch9wavefront6targetE0EEEvT1_
		.amdhsa_group_segment_fixed_size 0
		.amdhsa_private_segment_fixed_size 0
		.amdhsa_kernarg_size 120
		.amdhsa_user_sgpr_count 15
		.amdhsa_user_sgpr_dispatch_ptr 0
		.amdhsa_user_sgpr_queue_ptr 0
		.amdhsa_user_sgpr_kernarg_segment_ptr 1
		.amdhsa_user_sgpr_dispatch_id 0
		.amdhsa_user_sgpr_private_segment_size 0
		.amdhsa_wavefront_size32 1
		.amdhsa_uses_dynamic_stack 0
		.amdhsa_enable_private_segment 0
		.amdhsa_system_sgpr_workgroup_id_x 1
		.amdhsa_system_sgpr_workgroup_id_y 0
		.amdhsa_system_sgpr_workgroup_id_z 0
		.amdhsa_system_sgpr_workgroup_info 0
		.amdhsa_system_vgpr_workitem_id 0
		.amdhsa_next_free_vgpr 1
		.amdhsa_next_free_sgpr 1
		.amdhsa_reserve_vcc 0
		.amdhsa_float_round_mode_32 0
		.amdhsa_float_round_mode_16_64 0
		.amdhsa_float_denorm_mode_32 3
		.amdhsa_float_denorm_mode_16_64 3
		.amdhsa_dx10_clamp 1
		.amdhsa_ieee_mode 1
		.amdhsa_fp16_overflow 0
		.amdhsa_workgroup_processor_mode 1
		.amdhsa_memory_ordered 1
		.amdhsa_forward_progress 0
		.amdhsa_shared_vgpr_count 0
		.amdhsa_exception_fp_ieee_invalid_op 0
		.amdhsa_exception_fp_denorm_src 0
		.amdhsa_exception_fp_ieee_div_zero 0
		.amdhsa_exception_fp_ieee_overflow 0
		.amdhsa_exception_fp_ieee_underflow 0
		.amdhsa_exception_fp_ieee_inexact 0
		.amdhsa_exception_int_div_zero 0
	.end_amdhsa_kernel
	.section	.text._ZN7rocprim17ROCPRIM_400000_NS6detail17trampoline_kernelINS0_14default_configENS1_25partition_config_selectorILNS1_17partition_subalgoE9EllbEEZZNS1_14partition_implILS5_9ELb0ES3_jPlS8_PNS0_10empty_typeENS0_5tupleIJS8_S9_EEENSB_IJS8_SA_EEENS0_18inequality_wrapperIZN2at6native12_GLOBAL__N_124unique_dim_cuda_templateImEESt5tupleIJNSF_6TensorESK_SK_EERKSK_lbbbEUlllE0_EEPmJS9_EEE10hipError_tPvRmT3_T4_T5_T6_T7_T9_mT8_P12ihipStream_tbDpT10_ENKUlT_T0_E_clISt17integral_constantIbLb1EES19_IbLb0EEEEDaS15_S16_EUlS15_E_NS1_11comp_targetILNS1_3genE8ELNS1_11target_archE1030ELNS1_3gpuE2ELNS1_3repE0EEENS1_30default_config_static_selectorELNS0_4arch9wavefront6targetE0EEEvT1_,"axG",@progbits,_ZN7rocprim17ROCPRIM_400000_NS6detail17trampoline_kernelINS0_14default_configENS1_25partition_config_selectorILNS1_17partition_subalgoE9EllbEEZZNS1_14partition_implILS5_9ELb0ES3_jPlS8_PNS0_10empty_typeENS0_5tupleIJS8_S9_EEENSB_IJS8_SA_EEENS0_18inequality_wrapperIZN2at6native12_GLOBAL__N_124unique_dim_cuda_templateImEESt5tupleIJNSF_6TensorESK_SK_EERKSK_lbbbEUlllE0_EEPmJS9_EEE10hipError_tPvRmT3_T4_T5_T6_T7_T9_mT8_P12ihipStream_tbDpT10_ENKUlT_T0_E_clISt17integral_constantIbLb1EES19_IbLb0EEEEDaS15_S16_EUlS15_E_NS1_11comp_targetILNS1_3genE8ELNS1_11target_archE1030ELNS1_3gpuE2ELNS1_3repE0EEENS1_30default_config_static_selectorELNS0_4arch9wavefront6targetE0EEEvT1_,comdat
.Lfunc_end1716:
	.size	_ZN7rocprim17ROCPRIM_400000_NS6detail17trampoline_kernelINS0_14default_configENS1_25partition_config_selectorILNS1_17partition_subalgoE9EllbEEZZNS1_14partition_implILS5_9ELb0ES3_jPlS8_PNS0_10empty_typeENS0_5tupleIJS8_S9_EEENSB_IJS8_SA_EEENS0_18inequality_wrapperIZN2at6native12_GLOBAL__N_124unique_dim_cuda_templateImEESt5tupleIJNSF_6TensorESK_SK_EERKSK_lbbbEUlllE0_EEPmJS9_EEE10hipError_tPvRmT3_T4_T5_T6_T7_T9_mT8_P12ihipStream_tbDpT10_ENKUlT_T0_E_clISt17integral_constantIbLb1EES19_IbLb0EEEEDaS15_S16_EUlS15_E_NS1_11comp_targetILNS1_3genE8ELNS1_11target_archE1030ELNS1_3gpuE2ELNS1_3repE0EEENS1_30default_config_static_selectorELNS0_4arch9wavefront6targetE0EEEvT1_, .Lfunc_end1716-_ZN7rocprim17ROCPRIM_400000_NS6detail17trampoline_kernelINS0_14default_configENS1_25partition_config_selectorILNS1_17partition_subalgoE9EllbEEZZNS1_14partition_implILS5_9ELb0ES3_jPlS8_PNS0_10empty_typeENS0_5tupleIJS8_S9_EEENSB_IJS8_SA_EEENS0_18inequality_wrapperIZN2at6native12_GLOBAL__N_124unique_dim_cuda_templateImEESt5tupleIJNSF_6TensorESK_SK_EERKSK_lbbbEUlllE0_EEPmJS9_EEE10hipError_tPvRmT3_T4_T5_T6_T7_T9_mT8_P12ihipStream_tbDpT10_ENKUlT_T0_E_clISt17integral_constantIbLb1EES19_IbLb0EEEEDaS15_S16_EUlS15_E_NS1_11comp_targetILNS1_3genE8ELNS1_11target_archE1030ELNS1_3gpuE2ELNS1_3repE0EEENS1_30default_config_static_selectorELNS0_4arch9wavefront6targetE0EEEvT1_
                                        ; -- End function
	.section	.AMDGPU.csdata,"",@progbits
; Kernel info:
; codeLenInByte = 0
; NumSgprs: 0
; NumVgprs: 0
; ScratchSize: 0
; MemoryBound: 0
; FloatMode: 240
; IeeeMode: 1
; LDSByteSize: 0 bytes/workgroup (compile time only)
; SGPRBlocks: 0
; VGPRBlocks: 0
; NumSGPRsForWavesPerEU: 1
; NumVGPRsForWavesPerEU: 1
; Occupancy: 16
; WaveLimiterHint : 0
; COMPUTE_PGM_RSRC2:SCRATCH_EN: 0
; COMPUTE_PGM_RSRC2:USER_SGPR: 15
; COMPUTE_PGM_RSRC2:TRAP_HANDLER: 0
; COMPUTE_PGM_RSRC2:TGID_X_EN: 1
; COMPUTE_PGM_RSRC2:TGID_Y_EN: 0
; COMPUTE_PGM_RSRC2:TGID_Z_EN: 0
; COMPUTE_PGM_RSRC2:TIDIG_COMP_CNT: 0
	.section	.text._ZN7rocprim17ROCPRIM_400000_NS6detail17trampoline_kernelINS0_14default_configENS1_25partition_config_selectorILNS1_17partition_subalgoE9EllbEEZZNS1_14partition_implILS5_9ELb0ES3_jPlS8_PNS0_10empty_typeENS0_5tupleIJS8_S9_EEENSB_IJS8_SA_EEENS0_18inequality_wrapperIZN2at6native12_GLOBAL__N_124unique_dim_cuda_templateImEESt5tupleIJNSF_6TensorESK_SK_EERKSK_lbbbEUlllE0_EEPmJS9_EEE10hipError_tPvRmT3_T4_T5_T6_T7_T9_mT8_P12ihipStream_tbDpT10_ENKUlT_T0_E_clISt17integral_constantIbLb0EES19_IbLb1EEEEDaS15_S16_EUlS15_E_NS1_11comp_targetILNS1_3genE0ELNS1_11target_archE4294967295ELNS1_3gpuE0ELNS1_3repE0EEENS1_30default_config_static_selectorELNS0_4arch9wavefront6targetE0EEEvT1_,"axG",@progbits,_ZN7rocprim17ROCPRIM_400000_NS6detail17trampoline_kernelINS0_14default_configENS1_25partition_config_selectorILNS1_17partition_subalgoE9EllbEEZZNS1_14partition_implILS5_9ELb0ES3_jPlS8_PNS0_10empty_typeENS0_5tupleIJS8_S9_EEENSB_IJS8_SA_EEENS0_18inequality_wrapperIZN2at6native12_GLOBAL__N_124unique_dim_cuda_templateImEESt5tupleIJNSF_6TensorESK_SK_EERKSK_lbbbEUlllE0_EEPmJS9_EEE10hipError_tPvRmT3_T4_T5_T6_T7_T9_mT8_P12ihipStream_tbDpT10_ENKUlT_T0_E_clISt17integral_constantIbLb0EES19_IbLb1EEEEDaS15_S16_EUlS15_E_NS1_11comp_targetILNS1_3genE0ELNS1_11target_archE4294967295ELNS1_3gpuE0ELNS1_3repE0EEENS1_30default_config_static_selectorELNS0_4arch9wavefront6targetE0EEEvT1_,comdat
	.globl	_ZN7rocprim17ROCPRIM_400000_NS6detail17trampoline_kernelINS0_14default_configENS1_25partition_config_selectorILNS1_17partition_subalgoE9EllbEEZZNS1_14partition_implILS5_9ELb0ES3_jPlS8_PNS0_10empty_typeENS0_5tupleIJS8_S9_EEENSB_IJS8_SA_EEENS0_18inequality_wrapperIZN2at6native12_GLOBAL__N_124unique_dim_cuda_templateImEESt5tupleIJNSF_6TensorESK_SK_EERKSK_lbbbEUlllE0_EEPmJS9_EEE10hipError_tPvRmT3_T4_T5_T6_T7_T9_mT8_P12ihipStream_tbDpT10_ENKUlT_T0_E_clISt17integral_constantIbLb0EES19_IbLb1EEEEDaS15_S16_EUlS15_E_NS1_11comp_targetILNS1_3genE0ELNS1_11target_archE4294967295ELNS1_3gpuE0ELNS1_3repE0EEENS1_30default_config_static_selectorELNS0_4arch9wavefront6targetE0EEEvT1_ ; -- Begin function _ZN7rocprim17ROCPRIM_400000_NS6detail17trampoline_kernelINS0_14default_configENS1_25partition_config_selectorILNS1_17partition_subalgoE9EllbEEZZNS1_14partition_implILS5_9ELb0ES3_jPlS8_PNS0_10empty_typeENS0_5tupleIJS8_S9_EEENSB_IJS8_SA_EEENS0_18inequality_wrapperIZN2at6native12_GLOBAL__N_124unique_dim_cuda_templateImEESt5tupleIJNSF_6TensorESK_SK_EERKSK_lbbbEUlllE0_EEPmJS9_EEE10hipError_tPvRmT3_T4_T5_T6_T7_T9_mT8_P12ihipStream_tbDpT10_ENKUlT_T0_E_clISt17integral_constantIbLb0EES19_IbLb1EEEEDaS15_S16_EUlS15_E_NS1_11comp_targetILNS1_3genE0ELNS1_11target_archE4294967295ELNS1_3gpuE0ELNS1_3repE0EEENS1_30default_config_static_selectorELNS0_4arch9wavefront6targetE0EEEvT1_
	.p2align	8
	.type	_ZN7rocprim17ROCPRIM_400000_NS6detail17trampoline_kernelINS0_14default_configENS1_25partition_config_selectorILNS1_17partition_subalgoE9EllbEEZZNS1_14partition_implILS5_9ELb0ES3_jPlS8_PNS0_10empty_typeENS0_5tupleIJS8_S9_EEENSB_IJS8_SA_EEENS0_18inequality_wrapperIZN2at6native12_GLOBAL__N_124unique_dim_cuda_templateImEESt5tupleIJNSF_6TensorESK_SK_EERKSK_lbbbEUlllE0_EEPmJS9_EEE10hipError_tPvRmT3_T4_T5_T6_T7_T9_mT8_P12ihipStream_tbDpT10_ENKUlT_T0_E_clISt17integral_constantIbLb0EES19_IbLb1EEEEDaS15_S16_EUlS15_E_NS1_11comp_targetILNS1_3genE0ELNS1_11target_archE4294967295ELNS1_3gpuE0ELNS1_3repE0EEENS1_30default_config_static_selectorELNS0_4arch9wavefront6targetE0EEEvT1_,@function
_ZN7rocprim17ROCPRIM_400000_NS6detail17trampoline_kernelINS0_14default_configENS1_25partition_config_selectorILNS1_17partition_subalgoE9EllbEEZZNS1_14partition_implILS5_9ELb0ES3_jPlS8_PNS0_10empty_typeENS0_5tupleIJS8_S9_EEENSB_IJS8_SA_EEENS0_18inequality_wrapperIZN2at6native12_GLOBAL__N_124unique_dim_cuda_templateImEESt5tupleIJNSF_6TensorESK_SK_EERKSK_lbbbEUlllE0_EEPmJS9_EEE10hipError_tPvRmT3_T4_T5_T6_T7_T9_mT8_P12ihipStream_tbDpT10_ENKUlT_T0_E_clISt17integral_constantIbLb0EES19_IbLb1EEEEDaS15_S16_EUlS15_E_NS1_11comp_targetILNS1_3genE0ELNS1_11target_archE4294967295ELNS1_3gpuE0ELNS1_3repE0EEENS1_30default_config_static_selectorELNS0_4arch9wavefront6targetE0EEEvT1_: ; @_ZN7rocprim17ROCPRIM_400000_NS6detail17trampoline_kernelINS0_14default_configENS1_25partition_config_selectorILNS1_17partition_subalgoE9EllbEEZZNS1_14partition_implILS5_9ELb0ES3_jPlS8_PNS0_10empty_typeENS0_5tupleIJS8_S9_EEENSB_IJS8_SA_EEENS0_18inequality_wrapperIZN2at6native12_GLOBAL__N_124unique_dim_cuda_templateImEESt5tupleIJNSF_6TensorESK_SK_EERKSK_lbbbEUlllE0_EEPmJS9_EEE10hipError_tPvRmT3_T4_T5_T6_T7_T9_mT8_P12ihipStream_tbDpT10_ENKUlT_T0_E_clISt17integral_constantIbLb0EES19_IbLb1EEEEDaS15_S16_EUlS15_E_NS1_11comp_targetILNS1_3genE0ELNS1_11target_archE4294967295ELNS1_3gpuE0ELNS1_3repE0EEENS1_30default_config_static_selectorELNS0_4arch9wavefront6targetE0EEEvT1_
; %bb.0:
	.section	.rodata,"a",@progbits
	.p2align	6, 0x0
	.amdhsa_kernel _ZN7rocprim17ROCPRIM_400000_NS6detail17trampoline_kernelINS0_14default_configENS1_25partition_config_selectorILNS1_17partition_subalgoE9EllbEEZZNS1_14partition_implILS5_9ELb0ES3_jPlS8_PNS0_10empty_typeENS0_5tupleIJS8_S9_EEENSB_IJS8_SA_EEENS0_18inequality_wrapperIZN2at6native12_GLOBAL__N_124unique_dim_cuda_templateImEESt5tupleIJNSF_6TensorESK_SK_EERKSK_lbbbEUlllE0_EEPmJS9_EEE10hipError_tPvRmT3_T4_T5_T6_T7_T9_mT8_P12ihipStream_tbDpT10_ENKUlT_T0_E_clISt17integral_constantIbLb0EES19_IbLb1EEEEDaS15_S16_EUlS15_E_NS1_11comp_targetILNS1_3genE0ELNS1_11target_archE4294967295ELNS1_3gpuE0ELNS1_3repE0EEENS1_30default_config_static_selectorELNS0_4arch9wavefront6targetE0EEEvT1_
		.amdhsa_group_segment_fixed_size 0
		.amdhsa_private_segment_fixed_size 0
		.amdhsa_kernarg_size 136
		.amdhsa_user_sgpr_count 15
		.amdhsa_user_sgpr_dispatch_ptr 0
		.amdhsa_user_sgpr_queue_ptr 0
		.amdhsa_user_sgpr_kernarg_segment_ptr 1
		.amdhsa_user_sgpr_dispatch_id 0
		.amdhsa_user_sgpr_private_segment_size 0
		.amdhsa_wavefront_size32 1
		.amdhsa_uses_dynamic_stack 0
		.amdhsa_enable_private_segment 0
		.amdhsa_system_sgpr_workgroup_id_x 1
		.amdhsa_system_sgpr_workgroup_id_y 0
		.amdhsa_system_sgpr_workgroup_id_z 0
		.amdhsa_system_sgpr_workgroup_info 0
		.amdhsa_system_vgpr_workitem_id 0
		.amdhsa_next_free_vgpr 1
		.amdhsa_next_free_sgpr 1
		.amdhsa_reserve_vcc 0
		.amdhsa_float_round_mode_32 0
		.amdhsa_float_round_mode_16_64 0
		.amdhsa_float_denorm_mode_32 3
		.amdhsa_float_denorm_mode_16_64 3
		.amdhsa_dx10_clamp 1
		.amdhsa_ieee_mode 1
		.amdhsa_fp16_overflow 0
		.amdhsa_workgroup_processor_mode 1
		.amdhsa_memory_ordered 1
		.amdhsa_forward_progress 0
		.amdhsa_shared_vgpr_count 0
		.amdhsa_exception_fp_ieee_invalid_op 0
		.amdhsa_exception_fp_denorm_src 0
		.amdhsa_exception_fp_ieee_div_zero 0
		.amdhsa_exception_fp_ieee_overflow 0
		.amdhsa_exception_fp_ieee_underflow 0
		.amdhsa_exception_fp_ieee_inexact 0
		.amdhsa_exception_int_div_zero 0
	.end_amdhsa_kernel
	.section	.text._ZN7rocprim17ROCPRIM_400000_NS6detail17trampoline_kernelINS0_14default_configENS1_25partition_config_selectorILNS1_17partition_subalgoE9EllbEEZZNS1_14partition_implILS5_9ELb0ES3_jPlS8_PNS0_10empty_typeENS0_5tupleIJS8_S9_EEENSB_IJS8_SA_EEENS0_18inequality_wrapperIZN2at6native12_GLOBAL__N_124unique_dim_cuda_templateImEESt5tupleIJNSF_6TensorESK_SK_EERKSK_lbbbEUlllE0_EEPmJS9_EEE10hipError_tPvRmT3_T4_T5_T6_T7_T9_mT8_P12ihipStream_tbDpT10_ENKUlT_T0_E_clISt17integral_constantIbLb0EES19_IbLb1EEEEDaS15_S16_EUlS15_E_NS1_11comp_targetILNS1_3genE0ELNS1_11target_archE4294967295ELNS1_3gpuE0ELNS1_3repE0EEENS1_30default_config_static_selectorELNS0_4arch9wavefront6targetE0EEEvT1_,"axG",@progbits,_ZN7rocprim17ROCPRIM_400000_NS6detail17trampoline_kernelINS0_14default_configENS1_25partition_config_selectorILNS1_17partition_subalgoE9EllbEEZZNS1_14partition_implILS5_9ELb0ES3_jPlS8_PNS0_10empty_typeENS0_5tupleIJS8_S9_EEENSB_IJS8_SA_EEENS0_18inequality_wrapperIZN2at6native12_GLOBAL__N_124unique_dim_cuda_templateImEESt5tupleIJNSF_6TensorESK_SK_EERKSK_lbbbEUlllE0_EEPmJS9_EEE10hipError_tPvRmT3_T4_T5_T6_T7_T9_mT8_P12ihipStream_tbDpT10_ENKUlT_T0_E_clISt17integral_constantIbLb0EES19_IbLb1EEEEDaS15_S16_EUlS15_E_NS1_11comp_targetILNS1_3genE0ELNS1_11target_archE4294967295ELNS1_3gpuE0ELNS1_3repE0EEENS1_30default_config_static_selectorELNS0_4arch9wavefront6targetE0EEEvT1_,comdat
.Lfunc_end1717:
	.size	_ZN7rocprim17ROCPRIM_400000_NS6detail17trampoline_kernelINS0_14default_configENS1_25partition_config_selectorILNS1_17partition_subalgoE9EllbEEZZNS1_14partition_implILS5_9ELb0ES3_jPlS8_PNS0_10empty_typeENS0_5tupleIJS8_S9_EEENSB_IJS8_SA_EEENS0_18inequality_wrapperIZN2at6native12_GLOBAL__N_124unique_dim_cuda_templateImEESt5tupleIJNSF_6TensorESK_SK_EERKSK_lbbbEUlllE0_EEPmJS9_EEE10hipError_tPvRmT3_T4_T5_T6_T7_T9_mT8_P12ihipStream_tbDpT10_ENKUlT_T0_E_clISt17integral_constantIbLb0EES19_IbLb1EEEEDaS15_S16_EUlS15_E_NS1_11comp_targetILNS1_3genE0ELNS1_11target_archE4294967295ELNS1_3gpuE0ELNS1_3repE0EEENS1_30default_config_static_selectorELNS0_4arch9wavefront6targetE0EEEvT1_, .Lfunc_end1717-_ZN7rocprim17ROCPRIM_400000_NS6detail17trampoline_kernelINS0_14default_configENS1_25partition_config_selectorILNS1_17partition_subalgoE9EllbEEZZNS1_14partition_implILS5_9ELb0ES3_jPlS8_PNS0_10empty_typeENS0_5tupleIJS8_S9_EEENSB_IJS8_SA_EEENS0_18inequality_wrapperIZN2at6native12_GLOBAL__N_124unique_dim_cuda_templateImEESt5tupleIJNSF_6TensorESK_SK_EERKSK_lbbbEUlllE0_EEPmJS9_EEE10hipError_tPvRmT3_T4_T5_T6_T7_T9_mT8_P12ihipStream_tbDpT10_ENKUlT_T0_E_clISt17integral_constantIbLb0EES19_IbLb1EEEEDaS15_S16_EUlS15_E_NS1_11comp_targetILNS1_3genE0ELNS1_11target_archE4294967295ELNS1_3gpuE0ELNS1_3repE0EEENS1_30default_config_static_selectorELNS0_4arch9wavefront6targetE0EEEvT1_
                                        ; -- End function
	.section	.AMDGPU.csdata,"",@progbits
; Kernel info:
; codeLenInByte = 0
; NumSgprs: 0
; NumVgprs: 0
; ScratchSize: 0
; MemoryBound: 0
; FloatMode: 240
; IeeeMode: 1
; LDSByteSize: 0 bytes/workgroup (compile time only)
; SGPRBlocks: 0
; VGPRBlocks: 0
; NumSGPRsForWavesPerEU: 1
; NumVGPRsForWavesPerEU: 1
; Occupancy: 16
; WaveLimiterHint : 0
; COMPUTE_PGM_RSRC2:SCRATCH_EN: 0
; COMPUTE_PGM_RSRC2:USER_SGPR: 15
; COMPUTE_PGM_RSRC2:TRAP_HANDLER: 0
; COMPUTE_PGM_RSRC2:TGID_X_EN: 1
; COMPUTE_PGM_RSRC2:TGID_Y_EN: 0
; COMPUTE_PGM_RSRC2:TGID_Z_EN: 0
; COMPUTE_PGM_RSRC2:TIDIG_COMP_CNT: 0
	.section	.text._ZN7rocprim17ROCPRIM_400000_NS6detail17trampoline_kernelINS0_14default_configENS1_25partition_config_selectorILNS1_17partition_subalgoE9EllbEEZZNS1_14partition_implILS5_9ELb0ES3_jPlS8_PNS0_10empty_typeENS0_5tupleIJS8_S9_EEENSB_IJS8_SA_EEENS0_18inequality_wrapperIZN2at6native12_GLOBAL__N_124unique_dim_cuda_templateImEESt5tupleIJNSF_6TensorESK_SK_EERKSK_lbbbEUlllE0_EEPmJS9_EEE10hipError_tPvRmT3_T4_T5_T6_T7_T9_mT8_P12ihipStream_tbDpT10_ENKUlT_T0_E_clISt17integral_constantIbLb0EES19_IbLb1EEEEDaS15_S16_EUlS15_E_NS1_11comp_targetILNS1_3genE5ELNS1_11target_archE942ELNS1_3gpuE9ELNS1_3repE0EEENS1_30default_config_static_selectorELNS0_4arch9wavefront6targetE0EEEvT1_,"axG",@progbits,_ZN7rocprim17ROCPRIM_400000_NS6detail17trampoline_kernelINS0_14default_configENS1_25partition_config_selectorILNS1_17partition_subalgoE9EllbEEZZNS1_14partition_implILS5_9ELb0ES3_jPlS8_PNS0_10empty_typeENS0_5tupleIJS8_S9_EEENSB_IJS8_SA_EEENS0_18inequality_wrapperIZN2at6native12_GLOBAL__N_124unique_dim_cuda_templateImEESt5tupleIJNSF_6TensorESK_SK_EERKSK_lbbbEUlllE0_EEPmJS9_EEE10hipError_tPvRmT3_T4_T5_T6_T7_T9_mT8_P12ihipStream_tbDpT10_ENKUlT_T0_E_clISt17integral_constantIbLb0EES19_IbLb1EEEEDaS15_S16_EUlS15_E_NS1_11comp_targetILNS1_3genE5ELNS1_11target_archE942ELNS1_3gpuE9ELNS1_3repE0EEENS1_30default_config_static_selectorELNS0_4arch9wavefront6targetE0EEEvT1_,comdat
	.globl	_ZN7rocprim17ROCPRIM_400000_NS6detail17trampoline_kernelINS0_14default_configENS1_25partition_config_selectorILNS1_17partition_subalgoE9EllbEEZZNS1_14partition_implILS5_9ELb0ES3_jPlS8_PNS0_10empty_typeENS0_5tupleIJS8_S9_EEENSB_IJS8_SA_EEENS0_18inequality_wrapperIZN2at6native12_GLOBAL__N_124unique_dim_cuda_templateImEESt5tupleIJNSF_6TensorESK_SK_EERKSK_lbbbEUlllE0_EEPmJS9_EEE10hipError_tPvRmT3_T4_T5_T6_T7_T9_mT8_P12ihipStream_tbDpT10_ENKUlT_T0_E_clISt17integral_constantIbLb0EES19_IbLb1EEEEDaS15_S16_EUlS15_E_NS1_11comp_targetILNS1_3genE5ELNS1_11target_archE942ELNS1_3gpuE9ELNS1_3repE0EEENS1_30default_config_static_selectorELNS0_4arch9wavefront6targetE0EEEvT1_ ; -- Begin function _ZN7rocprim17ROCPRIM_400000_NS6detail17trampoline_kernelINS0_14default_configENS1_25partition_config_selectorILNS1_17partition_subalgoE9EllbEEZZNS1_14partition_implILS5_9ELb0ES3_jPlS8_PNS0_10empty_typeENS0_5tupleIJS8_S9_EEENSB_IJS8_SA_EEENS0_18inequality_wrapperIZN2at6native12_GLOBAL__N_124unique_dim_cuda_templateImEESt5tupleIJNSF_6TensorESK_SK_EERKSK_lbbbEUlllE0_EEPmJS9_EEE10hipError_tPvRmT3_T4_T5_T6_T7_T9_mT8_P12ihipStream_tbDpT10_ENKUlT_T0_E_clISt17integral_constantIbLb0EES19_IbLb1EEEEDaS15_S16_EUlS15_E_NS1_11comp_targetILNS1_3genE5ELNS1_11target_archE942ELNS1_3gpuE9ELNS1_3repE0EEENS1_30default_config_static_selectorELNS0_4arch9wavefront6targetE0EEEvT1_
	.p2align	8
	.type	_ZN7rocprim17ROCPRIM_400000_NS6detail17trampoline_kernelINS0_14default_configENS1_25partition_config_selectorILNS1_17partition_subalgoE9EllbEEZZNS1_14partition_implILS5_9ELb0ES3_jPlS8_PNS0_10empty_typeENS0_5tupleIJS8_S9_EEENSB_IJS8_SA_EEENS0_18inequality_wrapperIZN2at6native12_GLOBAL__N_124unique_dim_cuda_templateImEESt5tupleIJNSF_6TensorESK_SK_EERKSK_lbbbEUlllE0_EEPmJS9_EEE10hipError_tPvRmT3_T4_T5_T6_T7_T9_mT8_P12ihipStream_tbDpT10_ENKUlT_T0_E_clISt17integral_constantIbLb0EES19_IbLb1EEEEDaS15_S16_EUlS15_E_NS1_11comp_targetILNS1_3genE5ELNS1_11target_archE942ELNS1_3gpuE9ELNS1_3repE0EEENS1_30default_config_static_selectorELNS0_4arch9wavefront6targetE0EEEvT1_,@function
_ZN7rocprim17ROCPRIM_400000_NS6detail17trampoline_kernelINS0_14default_configENS1_25partition_config_selectorILNS1_17partition_subalgoE9EllbEEZZNS1_14partition_implILS5_9ELb0ES3_jPlS8_PNS0_10empty_typeENS0_5tupleIJS8_S9_EEENSB_IJS8_SA_EEENS0_18inequality_wrapperIZN2at6native12_GLOBAL__N_124unique_dim_cuda_templateImEESt5tupleIJNSF_6TensorESK_SK_EERKSK_lbbbEUlllE0_EEPmJS9_EEE10hipError_tPvRmT3_T4_T5_T6_T7_T9_mT8_P12ihipStream_tbDpT10_ENKUlT_T0_E_clISt17integral_constantIbLb0EES19_IbLb1EEEEDaS15_S16_EUlS15_E_NS1_11comp_targetILNS1_3genE5ELNS1_11target_archE942ELNS1_3gpuE9ELNS1_3repE0EEENS1_30default_config_static_selectorELNS0_4arch9wavefront6targetE0EEEvT1_: ; @_ZN7rocprim17ROCPRIM_400000_NS6detail17trampoline_kernelINS0_14default_configENS1_25partition_config_selectorILNS1_17partition_subalgoE9EllbEEZZNS1_14partition_implILS5_9ELb0ES3_jPlS8_PNS0_10empty_typeENS0_5tupleIJS8_S9_EEENSB_IJS8_SA_EEENS0_18inequality_wrapperIZN2at6native12_GLOBAL__N_124unique_dim_cuda_templateImEESt5tupleIJNSF_6TensorESK_SK_EERKSK_lbbbEUlllE0_EEPmJS9_EEE10hipError_tPvRmT3_T4_T5_T6_T7_T9_mT8_P12ihipStream_tbDpT10_ENKUlT_T0_E_clISt17integral_constantIbLb0EES19_IbLb1EEEEDaS15_S16_EUlS15_E_NS1_11comp_targetILNS1_3genE5ELNS1_11target_archE942ELNS1_3gpuE9ELNS1_3repE0EEENS1_30default_config_static_selectorELNS0_4arch9wavefront6targetE0EEEvT1_
; %bb.0:
	.section	.rodata,"a",@progbits
	.p2align	6, 0x0
	.amdhsa_kernel _ZN7rocprim17ROCPRIM_400000_NS6detail17trampoline_kernelINS0_14default_configENS1_25partition_config_selectorILNS1_17partition_subalgoE9EllbEEZZNS1_14partition_implILS5_9ELb0ES3_jPlS8_PNS0_10empty_typeENS0_5tupleIJS8_S9_EEENSB_IJS8_SA_EEENS0_18inequality_wrapperIZN2at6native12_GLOBAL__N_124unique_dim_cuda_templateImEESt5tupleIJNSF_6TensorESK_SK_EERKSK_lbbbEUlllE0_EEPmJS9_EEE10hipError_tPvRmT3_T4_T5_T6_T7_T9_mT8_P12ihipStream_tbDpT10_ENKUlT_T0_E_clISt17integral_constantIbLb0EES19_IbLb1EEEEDaS15_S16_EUlS15_E_NS1_11comp_targetILNS1_3genE5ELNS1_11target_archE942ELNS1_3gpuE9ELNS1_3repE0EEENS1_30default_config_static_selectorELNS0_4arch9wavefront6targetE0EEEvT1_
		.amdhsa_group_segment_fixed_size 0
		.amdhsa_private_segment_fixed_size 0
		.amdhsa_kernarg_size 136
		.amdhsa_user_sgpr_count 15
		.amdhsa_user_sgpr_dispatch_ptr 0
		.amdhsa_user_sgpr_queue_ptr 0
		.amdhsa_user_sgpr_kernarg_segment_ptr 1
		.amdhsa_user_sgpr_dispatch_id 0
		.amdhsa_user_sgpr_private_segment_size 0
		.amdhsa_wavefront_size32 1
		.amdhsa_uses_dynamic_stack 0
		.amdhsa_enable_private_segment 0
		.amdhsa_system_sgpr_workgroup_id_x 1
		.amdhsa_system_sgpr_workgroup_id_y 0
		.amdhsa_system_sgpr_workgroup_id_z 0
		.amdhsa_system_sgpr_workgroup_info 0
		.amdhsa_system_vgpr_workitem_id 0
		.amdhsa_next_free_vgpr 1
		.amdhsa_next_free_sgpr 1
		.amdhsa_reserve_vcc 0
		.amdhsa_float_round_mode_32 0
		.amdhsa_float_round_mode_16_64 0
		.amdhsa_float_denorm_mode_32 3
		.amdhsa_float_denorm_mode_16_64 3
		.amdhsa_dx10_clamp 1
		.amdhsa_ieee_mode 1
		.amdhsa_fp16_overflow 0
		.amdhsa_workgroup_processor_mode 1
		.amdhsa_memory_ordered 1
		.amdhsa_forward_progress 0
		.amdhsa_shared_vgpr_count 0
		.amdhsa_exception_fp_ieee_invalid_op 0
		.amdhsa_exception_fp_denorm_src 0
		.amdhsa_exception_fp_ieee_div_zero 0
		.amdhsa_exception_fp_ieee_overflow 0
		.amdhsa_exception_fp_ieee_underflow 0
		.amdhsa_exception_fp_ieee_inexact 0
		.amdhsa_exception_int_div_zero 0
	.end_amdhsa_kernel
	.section	.text._ZN7rocprim17ROCPRIM_400000_NS6detail17trampoline_kernelINS0_14default_configENS1_25partition_config_selectorILNS1_17partition_subalgoE9EllbEEZZNS1_14partition_implILS5_9ELb0ES3_jPlS8_PNS0_10empty_typeENS0_5tupleIJS8_S9_EEENSB_IJS8_SA_EEENS0_18inequality_wrapperIZN2at6native12_GLOBAL__N_124unique_dim_cuda_templateImEESt5tupleIJNSF_6TensorESK_SK_EERKSK_lbbbEUlllE0_EEPmJS9_EEE10hipError_tPvRmT3_T4_T5_T6_T7_T9_mT8_P12ihipStream_tbDpT10_ENKUlT_T0_E_clISt17integral_constantIbLb0EES19_IbLb1EEEEDaS15_S16_EUlS15_E_NS1_11comp_targetILNS1_3genE5ELNS1_11target_archE942ELNS1_3gpuE9ELNS1_3repE0EEENS1_30default_config_static_selectorELNS0_4arch9wavefront6targetE0EEEvT1_,"axG",@progbits,_ZN7rocprim17ROCPRIM_400000_NS6detail17trampoline_kernelINS0_14default_configENS1_25partition_config_selectorILNS1_17partition_subalgoE9EllbEEZZNS1_14partition_implILS5_9ELb0ES3_jPlS8_PNS0_10empty_typeENS0_5tupleIJS8_S9_EEENSB_IJS8_SA_EEENS0_18inequality_wrapperIZN2at6native12_GLOBAL__N_124unique_dim_cuda_templateImEESt5tupleIJNSF_6TensorESK_SK_EERKSK_lbbbEUlllE0_EEPmJS9_EEE10hipError_tPvRmT3_T4_T5_T6_T7_T9_mT8_P12ihipStream_tbDpT10_ENKUlT_T0_E_clISt17integral_constantIbLb0EES19_IbLb1EEEEDaS15_S16_EUlS15_E_NS1_11comp_targetILNS1_3genE5ELNS1_11target_archE942ELNS1_3gpuE9ELNS1_3repE0EEENS1_30default_config_static_selectorELNS0_4arch9wavefront6targetE0EEEvT1_,comdat
.Lfunc_end1718:
	.size	_ZN7rocprim17ROCPRIM_400000_NS6detail17trampoline_kernelINS0_14default_configENS1_25partition_config_selectorILNS1_17partition_subalgoE9EllbEEZZNS1_14partition_implILS5_9ELb0ES3_jPlS8_PNS0_10empty_typeENS0_5tupleIJS8_S9_EEENSB_IJS8_SA_EEENS0_18inequality_wrapperIZN2at6native12_GLOBAL__N_124unique_dim_cuda_templateImEESt5tupleIJNSF_6TensorESK_SK_EERKSK_lbbbEUlllE0_EEPmJS9_EEE10hipError_tPvRmT3_T4_T5_T6_T7_T9_mT8_P12ihipStream_tbDpT10_ENKUlT_T0_E_clISt17integral_constantIbLb0EES19_IbLb1EEEEDaS15_S16_EUlS15_E_NS1_11comp_targetILNS1_3genE5ELNS1_11target_archE942ELNS1_3gpuE9ELNS1_3repE0EEENS1_30default_config_static_selectorELNS0_4arch9wavefront6targetE0EEEvT1_, .Lfunc_end1718-_ZN7rocprim17ROCPRIM_400000_NS6detail17trampoline_kernelINS0_14default_configENS1_25partition_config_selectorILNS1_17partition_subalgoE9EllbEEZZNS1_14partition_implILS5_9ELb0ES3_jPlS8_PNS0_10empty_typeENS0_5tupleIJS8_S9_EEENSB_IJS8_SA_EEENS0_18inequality_wrapperIZN2at6native12_GLOBAL__N_124unique_dim_cuda_templateImEESt5tupleIJNSF_6TensorESK_SK_EERKSK_lbbbEUlllE0_EEPmJS9_EEE10hipError_tPvRmT3_T4_T5_T6_T7_T9_mT8_P12ihipStream_tbDpT10_ENKUlT_T0_E_clISt17integral_constantIbLb0EES19_IbLb1EEEEDaS15_S16_EUlS15_E_NS1_11comp_targetILNS1_3genE5ELNS1_11target_archE942ELNS1_3gpuE9ELNS1_3repE0EEENS1_30default_config_static_selectorELNS0_4arch9wavefront6targetE0EEEvT1_
                                        ; -- End function
	.section	.AMDGPU.csdata,"",@progbits
; Kernel info:
; codeLenInByte = 0
; NumSgprs: 0
; NumVgprs: 0
; ScratchSize: 0
; MemoryBound: 0
; FloatMode: 240
; IeeeMode: 1
; LDSByteSize: 0 bytes/workgroup (compile time only)
; SGPRBlocks: 0
; VGPRBlocks: 0
; NumSGPRsForWavesPerEU: 1
; NumVGPRsForWavesPerEU: 1
; Occupancy: 16
; WaveLimiterHint : 0
; COMPUTE_PGM_RSRC2:SCRATCH_EN: 0
; COMPUTE_PGM_RSRC2:USER_SGPR: 15
; COMPUTE_PGM_RSRC2:TRAP_HANDLER: 0
; COMPUTE_PGM_RSRC2:TGID_X_EN: 1
; COMPUTE_PGM_RSRC2:TGID_Y_EN: 0
; COMPUTE_PGM_RSRC2:TGID_Z_EN: 0
; COMPUTE_PGM_RSRC2:TIDIG_COMP_CNT: 0
	.section	.text._ZN7rocprim17ROCPRIM_400000_NS6detail17trampoline_kernelINS0_14default_configENS1_25partition_config_selectorILNS1_17partition_subalgoE9EllbEEZZNS1_14partition_implILS5_9ELb0ES3_jPlS8_PNS0_10empty_typeENS0_5tupleIJS8_S9_EEENSB_IJS8_SA_EEENS0_18inequality_wrapperIZN2at6native12_GLOBAL__N_124unique_dim_cuda_templateImEESt5tupleIJNSF_6TensorESK_SK_EERKSK_lbbbEUlllE0_EEPmJS9_EEE10hipError_tPvRmT3_T4_T5_T6_T7_T9_mT8_P12ihipStream_tbDpT10_ENKUlT_T0_E_clISt17integral_constantIbLb0EES19_IbLb1EEEEDaS15_S16_EUlS15_E_NS1_11comp_targetILNS1_3genE4ELNS1_11target_archE910ELNS1_3gpuE8ELNS1_3repE0EEENS1_30default_config_static_selectorELNS0_4arch9wavefront6targetE0EEEvT1_,"axG",@progbits,_ZN7rocprim17ROCPRIM_400000_NS6detail17trampoline_kernelINS0_14default_configENS1_25partition_config_selectorILNS1_17partition_subalgoE9EllbEEZZNS1_14partition_implILS5_9ELb0ES3_jPlS8_PNS0_10empty_typeENS0_5tupleIJS8_S9_EEENSB_IJS8_SA_EEENS0_18inequality_wrapperIZN2at6native12_GLOBAL__N_124unique_dim_cuda_templateImEESt5tupleIJNSF_6TensorESK_SK_EERKSK_lbbbEUlllE0_EEPmJS9_EEE10hipError_tPvRmT3_T4_T5_T6_T7_T9_mT8_P12ihipStream_tbDpT10_ENKUlT_T0_E_clISt17integral_constantIbLb0EES19_IbLb1EEEEDaS15_S16_EUlS15_E_NS1_11comp_targetILNS1_3genE4ELNS1_11target_archE910ELNS1_3gpuE8ELNS1_3repE0EEENS1_30default_config_static_selectorELNS0_4arch9wavefront6targetE0EEEvT1_,comdat
	.globl	_ZN7rocprim17ROCPRIM_400000_NS6detail17trampoline_kernelINS0_14default_configENS1_25partition_config_selectorILNS1_17partition_subalgoE9EllbEEZZNS1_14partition_implILS5_9ELb0ES3_jPlS8_PNS0_10empty_typeENS0_5tupleIJS8_S9_EEENSB_IJS8_SA_EEENS0_18inequality_wrapperIZN2at6native12_GLOBAL__N_124unique_dim_cuda_templateImEESt5tupleIJNSF_6TensorESK_SK_EERKSK_lbbbEUlllE0_EEPmJS9_EEE10hipError_tPvRmT3_T4_T5_T6_T7_T9_mT8_P12ihipStream_tbDpT10_ENKUlT_T0_E_clISt17integral_constantIbLb0EES19_IbLb1EEEEDaS15_S16_EUlS15_E_NS1_11comp_targetILNS1_3genE4ELNS1_11target_archE910ELNS1_3gpuE8ELNS1_3repE0EEENS1_30default_config_static_selectorELNS0_4arch9wavefront6targetE0EEEvT1_ ; -- Begin function _ZN7rocprim17ROCPRIM_400000_NS6detail17trampoline_kernelINS0_14default_configENS1_25partition_config_selectorILNS1_17partition_subalgoE9EllbEEZZNS1_14partition_implILS5_9ELb0ES3_jPlS8_PNS0_10empty_typeENS0_5tupleIJS8_S9_EEENSB_IJS8_SA_EEENS0_18inequality_wrapperIZN2at6native12_GLOBAL__N_124unique_dim_cuda_templateImEESt5tupleIJNSF_6TensorESK_SK_EERKSK_lbbbEUlllE0_EEPmJS9_EEE10hipError_tPvRmT3_T4_T5_T6_T7_T9_mT8_P12ihipStream_tbDpT10_ENKUlT_T0_E_clISt17integral_constantIbLb0EES19_IbLb1EEEEDaS15_S16_EUlS15_E_NS1_11comp_targetILNS1_3genE4ELNS1_11target_archE910ELNS1_3gpuE8ELNS1_3repE0EEENS1_30default_config_static_selectorELNS0_4arch9wavefront6targetE0EEEvT1_
	.p2align	8
	.type	_ZN7rocprim17ROCPRIM_400000_NS6detail17trampoline_kernelINS0_14default_configENS1_25partition_config_selectorILNS1_17partition_subalgoE9EllbEEZZNS1_14partition_implILS5_9ELb0ES3_jPlS8_PNS0_10empty_typeENS0_5tupleIJS8_S9_EEENSB_IJS8_SA_EEENS0_18inequality_wrapperIZN2at6native12_GLOBAL__N_124unique_dim_cuda_templateImEESt5tupleIJNSF_6TensorESK_SK_EERKSK_lbbbEUlllE0_EEPmJS9_EEE10hipError_tPvRmT3_T4_T5_T6_T7_T9_mT8_P12ihipStream_tbDpT10_ENKUlT_T0_E_clISt17integral_constantIbLb0EES19_IbLb1EEEEDaS15_S16_EUlS15_E_NS1_11comp_targetILNS1_3genE4ELNS1_11target_archE910ELNS1_3gpuE8ELNS1_3repE0EEENS1_30default_config_static_selectorELNS0_4arch9wavefront6targetE0EEEvT1_,@function
_ZN7rocprim17ROCPRIM_400000_NS6detail17trampoline_kernelINS0_14default_configENS1_25partition_config_selectorILNS1_17partition_subalgoE9EllbEEZZNS1_14partition_implILS5_9ELb0ES3_jPlS8_PNS0_10empty_typeENS0_5tupleIJS8_S9_EEENSB_IJS8_SA_EEENS0_18inequality_wrapperIZN2at6native12_GLOBAL__N_124unique_dim_cuda_templateImEESt5tupleIJNSF_6TensorESK_SK_EERKSK_lbbbEUlllE0_EEPmJS9_EEE10hipError_tPvRmT3_T4_T5_T6_T7_T9_mT8_P12ihipStream_tbDpT10_ENKUlT_T0_E_clISt17integral_constantIbLb0EES19_IbLb1EEEEDaS15_S16_EUlS15_E_NS1_11comp_targetILNS1_3genE4ELNS1_11target_archE910ELNS1_3gpuE8ELNS1_3repE0EEENS1_30default_config_static_selectorELNS0_4arch9wavefront6targetE0EEEvT1_: ; @_ZN7rocprim17ROCPRIM_400000_NS6detail17trampoline_kernelINS0_14default_configENS1_25partition_config_selectorILNS1_17partition_subalgoE9EllbEEZZNS1_14partition_implILS5_9ELb0ES3_jPlS8_PNS0_10empty_typeENS0_5tupleIJS8_S9_EEENSB_IJS8_SA_EEENS0_18inequality_wrapperIZN2at6native12_GLOBAL__N_124unique_dim_cuda_templateImEESt5tupleIJNSF_6TensorESK_SK_EERKSK_lbbbEUlllE0_EEPmJS9_EEE10hipError_tPvRmT3_T4_T5_T6_T7_T9_mT8_P12ihipStream_tbDpT10_ENKUlT_T0_E_clISt17integral_constantIbLb0EES19_IbLb1EEEEDaS15_S16_EUlS15_E_NS1_11comp_targetILNS1_3genE4ELNS1_11target_archE910ELNS1_3gpuE8ELNS1_3repE0EEENS1_30default_config_static_selectorELNS0_4arch9wavefront6targetE0EEEvT1_
; %bb.0:
	.section	.rodata,"a",@progbits
	.p2align	6, 0x0
	.amdhsa_kernel _ZN7rocprim17ROCPRIM_400000_NS6detail17trampoline_kernelINS0_14default_configENS1_25partition_config_selectorILNS1_17partition_subalgoE9EllbEEZZNS1_14partition_implILS5_9ELb0ES3_jPlS8_PNS0_10empty_typeENS0_5tupleIJS8_S9_EEENSB_IJS8_SA_EEENS0_18inequality_wrapperIZN2at6native12_GLOBAL__N_124unique_dim_cuda_templateImEESt5tupleIJNSF_6TensorESK_SK_EERKSK_lbbbEUlllE0_EEPmJS9_EEE10hipError_tPvRmT3_T4_T5_T6_T7_T9_mT8_P12ihipStream_tbDpT10_ENKUlT_T0_E_clISt17integral_constantIbLb0EES19_IbLb1EEEEDaS15_S16_EUlS15_E_NS1_11comp_targetILNS1_3genE4ELNS1_11target_archE910ELNS1_3gpuE8ELNS1_3repE0EEENS1_30default_config_static_selectorELNS0_4arch9wavefront6targetE0EEEvT1_
		.amdhsa_group_segment_fixed_size 0
		.amdhsa_private_segment_fixed_size 0
		.amdhsa_kernarg_size 136
		.amdhsa_user_sgpr_count 15
		.amdhsa_user_sgpr_dispatch_ptr 0
		.amdhsa_user_sgpr_queue_ptr 0
		.amdhsa_user_sgpr_kernarg_segment_ptr 1
		.amdhsa_user_sgpr_dispatch_id 0
		.amdhsa_user_sgpr_private_segment_size 0
		.amdhsa_wavefront_size32 1
		.amdhsa_uses_dynamic_stack 0
		.amdhsa_enable_private_segment 0
		.amdhsa_system_sgpr_workgroup_id_x 1
		.amdhsa_system_sgpr_workgroup_id_y 0
		.amdhsa_system_sgpr_workgroup_id_z 0
		.amdhsa_system_sgpr_workgroup_info 0
		.amdhsa_system_vgpr_workitem_id 0
		.amdhsa_next_free_vgpr 1
		.amdhsa_next_free_sgpr 1
		.amdhsa_reserve_vcc 0
		.amdhsa_float_round_mode_32 0
		.amdhsa_float_round_mode_16_64 0
		.amdhsa_float_denorm_mode_32 3
		.amdhsa_float_denorm_mode_16_64 3
		.amdhsa_dx10_clamp 1
		.amdhsa_ieee_mode 1
		.amdhsa_fp16_overflow 0
		.amdhsa_workgroup_processor_mode 1
		.amdhsa_memory_ordered 1
		.amdhsa_forward_progress 0
		.amdhsa_shared_vgpr_count 0
		.amdhsa_exception_fp_ieee_invalid_op 0
		.amdhsa_exception_fp_denorm_src 0
		.amdhsa_exception_fp_ieee_div_zero 0
		.amdhsa_exception_fp_ieee_overflow 0
		.amdhsa_exception_fp_ieee_underflow 0
		.amdhsa_exception_fp_ieee_inexact 0
		.amdhsa_exception_int_div_zero 0
	.end_amdhsa_kernel
	.section	.text._ZN7rocprim17ROCPRIM_400000_NS6detail17trampoline_kernelINS0_14default_configENS1_25partition_config_selectorILNS1_17partition_subalgoE9EllbEEZZNS1_14partition_implILS5_9ELb0ES3_jPlS8_PNS0_10empty_typeENS0_5tupleIJS8_S9_EEENSB_IJS8_SA_EEENS0_18inequality_wrapperIZN2at6native12_GLOBAL__N_124unique_dim_cuda_templateImEESt5tupleIJNSF_6TensorESK_SK_EERKSK_lbbbEUlllE0_EEPmJS9_EEE10hipError_tPvRmT3_T4_T5_T6_T7_T9_mT8_P12ihipStream_tbDpT10_ENKUlT_T0_E_clISt17integral_constantIbLb0EES19_IbLb1EEEEDaS15_S16_EUlS15_E_NS1_11comp_targetILNS1_3genE4ELNS1_11target_archE910ELNS1_3gpuE8ELNS1_3repE0EEENS1_30default_config_static_selectorELNS0_4arch9wavefront6targetE0EEEvT1_,"axG",@progbits,_ZN7rocprim17ROCPRIM_400000_NS6detail17trampoline_kernelINS0_14default_configENS1_25partition_config_selectorILNS1_17partition_subalgoE9EllbEEZZNS1_14partition_implILS5_9ELb0ES3_jPlS8_PNS0_10empty_typeENS0_5tupleIJS8_S9_EEENSB_IJS8_SA_EEENS0_18inequality_wrapperIZN2at6native12_GLOBAL__N_124unique_dim_cuda_templateImEESt5tupleIJNSF_6TensorESK_SK_EERKSK_lbbbEUlllE0_EEPmJS9_EEE10hipError_tPvRmT3_T4_T5_T6_T7_T9_mT8_P12ihipStream_tbDpT10_ENKUlT_T0_E_clISt17integral_constantIbLb0EES19_IbLb1EEEEDaS15_S16_EUlS15_E_NS1_11comp_targetILNS1_3genE4ELNS1_11target_archE910ELNS1_3gpuE8ELNS1_3repE0EEENS1_30default_config_static_selectorELNS0_4arch9wavefront6targetE0EEEvT1_,comdat
.Lfunc_end1719:
	.size	_ZN7rocprim17ROCPRIM_400000_NS6detail17trampoline_kernelINS0_14default_configENS1_25partition_config_selectorILNS1_17partition_subalgoE9EllbEEZZNS1_14partition_implILS5_9ELb0ES3_jPlS8_PNS0_10empty_typeENS0_5tupleIJS8_S9_EEENSB_IJS8_SA_EEENS0_18inequality_wrapperIZN2at6native12_GLOBAL__N_124unique_dim_cuda_templateImEESt5tupleIJNSF_6TensorESK_SK_EERKSK_lbbbEUlllE0_EEPmJS9_EEE10hipError_tPvRmT3_T4_T5_T6_T7_T9_mT8_P12ihipStream_tbDpT10_ENKUlT_T0_E_clISt17integral_constantIbLb0EES19_IbLb1EEEEDaS15_S16_EUlS15_E_NS1_11comp_targetILNS1_3genE4ELNS1_11target_archE910ELNS1_3gpuE8ELNS1_3repE0EEENS1_30default_config_static_selectorELNS0_4arch9wavefront6targetE0EEEvT1_, .Lfunc_end1719-_ZN7rocprim17ROCPRIM_400000_NS6detail17trampoline_kernelINS0_14default_configENS1_25partition_config_selectorILNS1_17partition_subalgoE9EllbEEZZNS1_14partition_implILS5_9ELb0ES3_jPlS8_PNS0_10empty_typeENS0_5tupleIJS8_S9_EEENSB_IJS8_SA_EEENS0_18inequality_wrapperIZN2at6native12_GLOBAL__N_124unique_dim_cuda_templateImEESt5tupleIJNSF_6TensorESK_SK_EERKSK_lbbbEUlllE0_EEPmJS9_EEE10hipError_tPvRmT3_T4_T5_T6_T7_T9_mT8_P12ihipStream_tbDpT10_ENKUlT_T0_E_clISt17integral_constantIbLb0EES19_IbLb1EEEEDaS15_S16_EUlS15_E_NS1_11comp_targetILNS1_3genE4ELNS1_11target_archE910ELNS1_3gpuE8ELNS1_3repE0EEENS1_30default_config_static_selectorELNS0_4arch9wavefront6targetE0EEEvT1_
                                        ; -- End function
	.section	.AMDGPU.csdata,"",@progbits
; Kernel info:
; codeLenInByte = 0
; NumSgprs: 0
; NumVgprs: 0
; ScratchSize: 0
; MemoryBound: 0
; FloatMode: 240
; IeeeMode: 1
; LDSByteSize: 0 bytes/workgroup (compile time only)
; SGPRBlocks: 0
; VGPRBlocks: 0
; NumSGPRsForWavesPerEU: 1
; NumVGPRsForWavesPerEU: 1
; Occupancy: 16
; WaveLimiterHint : 0
; COMPUTE_PGM_RSRC2:SCRATCH_EN: 0
; COMPUTE_PGM_RSRC2:USER_SGPR: 15
; COMPUTE_PGM_RSRC2:TRAP_HANDLER: 0
; COMPUTE_PGM_RSRC2:TGID_X_EN: 1
; COMPUTE_PGM_RSRC2:TGID_Y_EN: 0
; COMPUTE_PGM_RSRC2:TGID_Z_EN: 0
; COMPUTE_PGM_RSRC2:TIDIG_COMP_CNT: 0
	.section	.text._ZN7rocprim17ROCPRIM_400000_NS6detail17trampoline_kernelINS0_14default_configENS1_25partition_config_selectorILNS1_17partition_subalgoE9EllbEEZZNS1_14partition_implILS5_9ELb0ES3_jPlS8_PNS0_10empty_typeENS0_5tupleIJS8_S9_EEENSB_IJS8_SA_EEENS0_18inequality_wrapperIZN2at6native12_GLOBAL__N_124unique_dim_cuda_templateImEESt5tupleIJNSF_6TensorESK_SK_EERKSK_lbbbEUlllE0_EEPmJS9_EEE10hipError_tPvRmT3_T4_T5_T6_T7_T9_mT8_P12ihipStream_tbDpT10_ENKUlT_T0_E_clISt17integral_constantIbLb0EES19_IbLb1EEEEDaS15_S16_EUlS15_E_NS1_11comp_targetILNS1_3genE3ELNS1_11target_archE908ELNS1_3gpuE7ELNS1_3repE0EEENS1_30default_config_static_selectorELNS0_4arch9wavefront6targetE0EEEvT1_,"axG",@progbits,_ZN7rocprim17ROCPRIM_400000_NS6detail17trampoline_kernelINS0_14default_configENS1_25partition_config_selectorILNS1_17partition_subalgoE9EllbEEZZNS1_14partition_implILS5_9ELb0ES3_jPlS8_PNS0_10empty_typeENS0_5tupleIJS8_S9_EEENSB_IJS8_SA_EEENS0_18inequality_wrapperIZN2at6native12_GLOBAL__N_124unique_dim_cuda_templateImEESt5tupleIJNSF_6TensorESK_SK_EERKSK_lbbbEUlllE0_EEPmJS9_EEE10hipError_tPvRmT3_T4_T5_T6_T7_T9_mT8_P12ihipStream_tbDpT10_ENKUlT_T0_E_clISt17integral_constantIbLb0EES19_IbLb1EEEEDaS15_S16_EUlS15_E_NS1_11comp_targetILNS1_3genE3ELNS1_11target_archE908ELNS1_3gpuE7ELNS1_3repE0EEENS1_30default_config_static_selectorELNS0_4arch9wavefront6targetE0EEEvT1_,comdat
	.globl	_ZN7rocprim17ROCPRIM_400000_NS6detail17trampoline_kernelINS0_14default_configENS1_25partition_config_selectorILNS1_17partition_subalgoE9EllbEEZZNS1_14partition_implILS5_9ELb0ES3_jPlS8_PNS0_10empty_typeENS0_5tupleIJS8_S9_EEENSB_IJS8_SA_EEENS0_18inequality_wrapperIZN2at6native12_GLOBAL__N_124unique_dim_cuda_templateImEESt5tupleIJNSF_6TensorESK_SK_EERKSK_lbbbEUlllE0_EEPmJS9_EEE10hipError_tPvRmT3_T4_T5_T6_T7_T9_mT8_P12ihipStream_tbDpT10_ENKUlT_T0_E_clISt17integral_constantIbLb0EES19_IbLb1EEEEDaS15_S16_EUlS15_E_NS1_11comp_targetILNS1_3genE3ELNS1_11target_archE908ELNS1_3gpuE7ELNS1_3repE0EEENS1_30default_config_static_selectorELNS0_4arch9wavefront6targetE0EEEvT1_ ; -- Begin function _ZN7rocprim17ROCPRIM_400000_NS6detail17trampoline_kernelINS0_14default_configENS1_25partition_config_selectorILNS1_17partition_subalgoE9EllbEEZZNS1_14partition_implILS5_9ELb0ES3_jPlS8_PNS0_10empty_typeENS0_5tupleIJS8_S9_EEENSB_IJS8_SA_EEENS0_18inequality_wrapperIZN2at6native12_GLOBAL__N_124unique_dim_cuda_templateImEESt5tupleIJNSF_6TensorESK_SK_EERKSK_lbbbEUlllE0_EEPmJS9_EEE10hipError_tPvRmT3_T4_T5_T6_T7_T9_mT8_P12ihipStream_tbDpT10_ENKUlT_T0_E_clISt17integral_constantIbLb0EES19_IbLb1EEEEDaS15_S16_EUlS15_E_NS1_11comp_targetILNS1_3genE3ELNS1_11target_archE908ELNS1_3gpuE7ELNS1_3repE0EEENS1_30default_config_static_selectorELNS0_4arch9wavefront6targetE0EEEvT1_
	.p2align	8
	.type	_ZN7rocprim17ROCPRIM_400000_NS6detail17trampoline_kernelINS0_14default_configENS1_25partition_config_selectorILNS1_17partition_subalgoE9EllbEEZZNS1_14partition_implILS5_9ELb0ES3_jPlS8_PNS0_10empty_typeENS0_5tupleIJS8_S9_EEENSB_IJS8_SA_EEENS0_18inequality_wrapperIZN2at6native12_GLOBAL__N_124unique_dim_cuda_templateImEESt5tupleIJNSF_6TensorESK_SK_EERKSK_lbbbEUlllE0_EEPmJS9_EEE10hipError_tPvRmT3_T4_T5_T6_T7_T9_mT8_P12ihipStream_tbDpT10_ENKUlT_T0_E_clISt17integral_constantIbLb0EES19_IbLb1EEEEDaS15_S16_EUlS15_E_NS1_11comp_targetILNS1_3genE3ELNS1_11target_archE908ELNS1_3gpuE7ELNS1_3repE0EEENS1_30default_config_static_selectorELNS0_4arch9wavefront6targetE0EEEvT1_,@function
_ZN7rocprim17ROCPRIM_400000_NS6detail17trampoline_kernelINS0_14default_configENS1_25partition_config_selectorILNS1_17partition_subalgoE9EllbEEZZNS1_14partition_implILS5_9ELb0ES3_jPlS8_PNS0_10empty_typeENS0_5tupleIJS8_S9_EEENSB_IJS8_SA_EEENS0_18inequality_wrapperIZN2at6native12_GLOBAL__N_124unique_dim_cuda_templateImEESt5tupleIJNSF_6TensorESK_SK_EERKSK_lbbbEUlllE0_EEPmJS9_EEE10hipError_tPvRmT3_T4_T5_T6_T7_T9_mT8_P12ihipStream_tbDpT10_ENKUlT_T0_E_clISt17integral_constantIbLb0EES19_IbLb1EEEEDaS15_S16_EUlS15_E_NS1_11comp_targetILNS1_3genE3ELNS1_11target_archE908ELNS1_3gpuE7ELNS1_3repE0EEENS1_30default_config_static_selectorELNS0_4arch9wavefront6targetE0EEEvT1_: ; @_ZN7rocprim17ROCPRIM_400000_NS6detail17trampoline_kernelINS0_14default_configENS1_25partition_config_selectorILNS1_17partition_subalgoE9EllbEEZZNS1_14partition_implILS5_9ELb0ES3_jPlS8_PNS0_10empty_typeENS0_5tupleIJS8_S9_EEENSB_IJS8_SA_EEENS0_18inequality_wrapperIZN2at6native12_GLOBAL__N_124unique_dim_cuda_templateImEESt5tupleIJNSF_6TensorESK_SK_EERKSK_lbbbEUlllE0_EEPmJS9_EEE10hipError_tPvRmT3_T4_T5_T6_T7_T9_mT8_P12ihipStream_tbDpT10_ENKUlT_T0_E_clISt17integral_constantIbLb0EES19_IbLb1EEEEDaS15_S16_EUlS15_E_NS1_11comp_targetILNS1_3genE3ELNS1_11target_archE908ELNS1_3gpuE7ELNS1_3repE0EEENS1_30default_config_static_selectorELNS0_4arch9wavefront6targetE0EEEvT1_
; %bb.0:
	.section	.rodata,"a",@progbits
	.p2align	6, 0x0
	.amdhsa_kernel _ZN7rocprim17ROCPRIM_400000_NS6detail17trampoline_kernelINS0_14default_configENS1_25partition_config_selectorILNS1_17partition_subalgoE9EllbEEZZNS1_14partition_implILS5_9ELb0ES3_jPlS8_PNS0_10empty_typeENS0_5tupleIJS8_S9_EEENSB_IJS8_SA_EEENS0_18inequality_wrapperIZN2at6native12_GLOBAL__N_124unique_dim_cuda_templateImEESt5tupleIJNSF_6TensorESK_SK_EERKSK_lbbbEUlllE0_EEPmJS9_EEE10hipError_tPvRmT3_T4_T5_T6_T7_T9_mT8_P12ihipStream_tbDpT10_ENKUlT_T0_E_clISt17integral_constantIbLb0EES19_IbLb1EEEEDaS15_S16_EUlS15_E_NS1_11comp_targetILNS1_3genE3ELNS1_11target_archE908ELNS1_3gpuE7ELNS1_3repE0EEENS1_30default_config_static_selectorELNS0_4arch9wavefront6targetE0EEEvT1_
		.amdhsa_group_segment_fixed_size 0
		.amdhsa_private_segment_fixed_size 0
		.amdhsa_kernarg_size 136
		.amdhsa_user_sgpr_count 15
		.amdhsa_user_sgpr_dispatch_ptr 0
		.amdhsa_user_sgpr_queue_ptr 0
		.amdhsa_user_sgpr_kernarg_segment_ptr 1
		.amdhsa_user_sgpr_dispatch_id 0
		.amdhsa_user_sgpr_private_segment_size 0
		.amdhsa_wavefront_size32 1
		.amdhsa_uses_dynamic_stack 0
		.amdhsa_enable_private_segment 0
		.amdhsa_system_sgpr_workgroup_id_x 1
		.amdhsa_system_sgpr_workgroup_id_y 0
		.amdhsa_system_sgpr_workgroup_id_z 0
		.amdhsa_system_sgpr_workgroup_info 0
		.amdhsa_system_vgpr_workitem_id 0
		.amdhsa_next_free_vgpr 1
		.amdhsa_next_free_sgpr 1
		.amdhsa_reserve_vcc 0
		.amdhsa_float_round_mode_32 0
		.amdhsa_float_round_mode_16_64 0
		.amdhsa_float_denorm_mode_32 3
		.amdhsa_float_denorm_mode_16_64 3
		.amdhsa_dx10_clamp 1
		.amdhsa_ieee_mode 1
		.amdhsa_fp16_overflow 0
		.amdhsa_workgroup_processor_mode 1
		.amdhsa_memory_ordered 1
		.amdhsa_forward_progress 0
		.amdhsa_shared_vgpr_count 0
		.amdhsa_exception_fp_ieee_invalid_op 0
		.amdhsa_exception_fp_denorm_src 0
		.amdhsa_exception_fp_ieee_div_zero 0
		.amdhsa_exception_fp_ieee_overflow 0
		.amdhsa_exception_fp_ieee_underflow 0
		.amdhsa_exception_fp_ieee_inexact 0
		.amdhsa_exception_int_div_zero 0
	.end_amdhsa_kernel
	.section	.text._ZN7rocprim17ROCPRIM_400000_NS6detail17trampoline_kernelINS0_14default_configENS1_25partition_config_selectorILNS1_17partition_subalgoE9EllbEEZZNS1_14partition_implILS5_9ELb0ES3_jPlS8_PNS0_10empty_typeENS0_5tupleIJS8_S9_EEENSB_IJS8_SA_EEENS0_18inequality_wrapperIZN2at6native12_GLOBAL__N_124unique_dim_cuda_templateImEESt5tupleIJNSF_6TensorESK_SK_EERKSK_lbbbEUlllE0_EEPmJS9_EEE10hipError_tPvRmT3_T4_T5_T6_T7_T9_mT8_P12ihipStream_tbDpT10_ENKUlT_T0_E_clISt17integral_constantIbLb0EES19_IbLb1EEEEDaS15_S16_EUlS15_E_NS1_11comp_targetILNS1_3genE3ELNS1_11target_archE908ELNS1_3gpuE7ELNS1_3repE0EEENS1_30default_config_static_selectorELNS0_4arch9wavefront6targetE0EEEvT1_,"axG",@progbits,_ZN7rocprim17ROCPRIM_400000_NS6detail17trampoline_kernelINS0_14default_configENS1_25partition_config_selectorILNS1_17partition_subalgoE9EllbEEZZNS1_14partition_implILS5_9ELb0ES3_jPlS8_PNS0_10empty_typeENS0_5tupleIJS8_S9_EEENSB_IJS8_SA_EEENS0_18inequality_wrapperIZN2at6native12_GLOBAL__N_124unique_dim_cuda_templateImEESt5tupleIJNSF_6TensorESK_SK_EERKSK_lbbbEUlllE0_EEPmJS9_EEE10hipError_tPvRmT3_T4_T5_T6_T7_T9_mT8_P12ihipStream_tbDpT10_ENKUlT_T0_E_clISt17integral_constantIbLb0EES19_IbLb1EEEEDaS15_S16_EUlS15_E_NS1_11comp_targetILNS1_3genE3ELNS1_11target_archE908ELNS1_3gpuE7ELNS1_3repE0EEENS1_30default_config_static_selectorELNS0_4arch9wavefront6targetE0EEEvT1_,comdat
.Lfunc_end1720:
	.size	_ZN7rocprim17ROCPRIM_400000_NS6detail17trampoline_kernelINS0_14default_configENS1_25partition_config_selectorILNS1_17partition_subalgoE9EllbEEZZNS1_14partition_implILS5_9ELb0ES3_jPlS8_PNS0_10empty_typeENS0_5tupleIJS8_S9_EEENSB_IJS8_SA_EEENS0_18inequality_wrapperIZN2at6native12_GLOBAL__N_124unique_dim_cuda_templateImEESt5tupleIJNSF_6TensorESK_SK_EERKSK_lbbbEUlllE0_EEPmJS9_EEE10hipError_tPvRmT3_T4_T5_T6_T7_T9_mT8_P12ihipStream_tbDpT10_ENKUlT_T0_E_clISt17integral_constantIbLb0EES19_IbLb1EEEEDaS15_S16_EUlS15_E_NS1_11comp_targetILNS1_3genE3ELNS1_11target_archE908ELNS1_3gpuE7ELNS1_3repE0EEENS1_30default_config_static_selectorELNS0_4arch9wavefront6targetE0EEEvT1_, .Lfunc_end1720-_ZN7rocprim17ROCPRIM_400000_NS6detail17trampoline_kernelINS0_14default_configENS1_25partition_config_selectorILNS1_17partition_subalgoE9EllbEEZZNS1_14partition_implILS5_9ELb0ES3_jPlS8_PNS0_10empty_typeENS0_5tupleIJS8_S9_EEENSB_IJS8_SA_EEENS0_18inequality_wrapperIZN2at6native12_GLOBAL__N_124unique_dim_cuda_templateImEESt5tupleIJNSF_6TensorESK_SK_EERKSK_lbbbEUlllE0_EEPmJS9_EEE10hipError_tPvRmT3_T4_T5_T6_T7_T9_mT8_P12ihipStream_tbDpT10_ENKUlT_T0_E_clISt17integral_constantIbLb0EES19_IbLb1EEEEDaS15_S16_EUlS15_E_NS1_11comp_targetILNS1_3genE3ELNS1_11target_archE908ELNS1_3gpuE7ELNS1_3repE0EEENS1_30default_config_static_selectorELNS0_4arch9wavefront6targetE0EEEvT1_
                                        ; -- End function
	.section	.AMDGPU.csdata,"",@progbits
; Kernel info:
; codeLenInByte = 0
; NumSgprs: 0
; NumVgprs: 0
; ScratchSize: 0
; MemoryBound: 0
; FloatMode: 240
; IeeeMode: 1
; LDSByteSize: 0 bytes/workgroup (compile time only)
; SGPRBlocks: 0
; VGPRBlocks: 0
; NumSGPRsForWavesPerEU: 1
; NumVGPRsForWavesPerEU: 1
; Occupancy: 16
; WaveLimiterHint : 0
; COMPUTE_PGM_RSRC2:SCRATCH_EN: 0
; COMPUTE_PGM_RSRC2:USER_SGPR: 15
; COMPUTE_PGM_RSRC2:TRAP_HANDLER: 0
; COMPUTE_PGM_RSRC2:TGID_X_EN: 1
; COMPUTE_PGM_RSRC2:TGID_Y_EN: 0
; COMPUTE_PGM_RSRC2:TGID_Z_EN: 0
; COMPUTE_PGM_RSRC2:TIDIG_COMP_CNT: 0
	.section	.text._ZN7rocprim17ROCPRIM_400000_NS6detail17trampoline_kernelINS0_14default_configENS1_25partition_config_selectorILNS1_17partition_subalgoE9EllbEEZZNS1_14partition_implILS5_9ELb0ES3_jPlS8_PNS0_10empty_typeENS0_5tupleIJS8_S9_EEENSB_IJS8_SA_EEENS0_18inequality_wrapperIZN2at6native12_GLOBAL__N_124unique_dim_cuda_templateImEESt5tupleIJNSF_6TensorESK_SK_EERKSK_lbbbEUlllE0_EEPmJS9_EEE10hipError_tPvRmT3_T4_T5_T6_T7_T9_mT8_P12ihipStream_tbDpT10_ENKUlT_T0_E_clISt17integral_constantIbLb0EES19_IbLb1EEEEDaS15_S16_EUlS15_E_NS1_11comp_targetILNS1_3genE2ELNS1_11target_archE906ELNS1_3gpuE6ELNS1_3repE0EEENS1_30default_config_static_selectorELNS0_4arch9wavefront6targetE0EEEvT1_,"axG",@progbits,_ZN7rocprim17ROCPRIM_400000_NS6detail17trampoline_kernelINS0_14default_configENS1_25partition_config_selectorILNS1_17partition_subalgoE9EllbEEZZNS1_14partition_implILS5_9ELb0ES3_jPlS8_PNS0_10empty_typeENS0_5tupleIJS8_S9_EEENSB_IJS8_SA_EEENS0_18inequality_wrapperIZN2at6native12_GLOBAL__N_124unique_dim_cuda_templateImEESt5tupleIJNSF_6TensorESK_SK_EERKSK_lbbbEUlllE0_EEPmJS9_EEE10hipError_tPvRmT3_T4_T5_T6_T7_T9_mT8_P12ihipStream_tbDpT10_ENKUlT_T0_E_clISt17integral_constantIbLb0EES19_IbLb1EEEEDaS15_S16_EUlS15_E_NS1_11comp_targetILNS1_3genE2ELNS1_11target_archE906ELNS1_3gpuE6ELNS1_3repE0EEENS1_30default_config_static_selectorELNS0_4arch9wavefront6targetE0EEEvT1_,comdat
	.globl	_ZN7rocprim17ROCPRIM_400000_NS6detail17trampoline_kernelINS0_14default_configENS1_25partition_config_selectorILNS1_17partition_subalgoE9EllbEEZZNS1_14partition_implILS5_9ELb0ES3_jPlS8_PNS0_10empty_typeENS0_5tupleIJS8_S9_EEENSB_IJS8_SA_EEENS0_18inequality_wrapperIZN2at6native12_GLOBAL__N_124unique_dim_cuda_templateImEESt5tupleIJNSF_6TensorESK_SK_EERKSK_lbbbEUlllE0_EEPmJS9_EEE10hipError_tPvRmT3_T4_T5_T6_T7_T9_mT8_P12ihipStream_tbDpT10_ENKUlT_T0_E_clISt17integral_constantIbLb0EES19_IbLb1EEEEDaS15_S16_EUlS15_E_NS1_11comp_targetILNS1_3genE2ELNS1_11target_archE906ELNS1_3gpuE6ELNS1_3repE0EEENS1_30default_config_static_selectorELNS0_4arch9wavefront6targetE0EEEvT1_ ; -- Begin function _ZN7rocprim17ROCPRIM_400000_NS6detail17trampoline_kernelINS0_14default_configENS1_25partition_config_selectorILNS1_17partition_subalgoE9EllbEEZZNS1_14partition_implILS5_9ELb0ES3_jPlS8_PNS0_10empty_typeENS0_5tupleIJS8_S9_EEENSB_IJS8_SA_EEENS0_18inequality_wrapperIZN2at6native12_GLOBAL__N_124unique_dim_cuda_templateImEESt5tupleIJNSF_6TensorESK_SK_EERKSK_lbbbEUlllE0_EEPmJS9_EEE10hipError_tPvRmT3_T4_T5_T6_T7_T9_mT8_P12ihipStream_tbDpT10_ENKUlT_T0_E_clISt17integral_constantIbLb0EES19_IbLb1EEEEDaS15_S16_EUlS15_E_NS1_11comp_targetILNS1_3genE2ELNS1_11target_archE906ELNS1_3gpuE6ELNS1_3repE0EEENS1_30default_config_static_selectorELNS0_4arch9wavefront6targetE0EEEvT1_
	.p2align	8
	.type	_ZN7rocprim17ROCPRIM_400000_NS6detail17trampoline_kernelINS0_14default_configENS1_25partition_config_selectorILNS1_17partition_subalgoE9EllbEEZZNS1_14partition_implILS5_9ELb0ES3_jPlS8_PNS0_10empty_typeENS0_5tupleIJS8_S9_EEENSB_IJS8_SA_EEENS0_18inequality_wrapperIZN2at6native12_GLOBAL__N_124unique_dim_cuda_templateImEESt5tupleIJNSF_6TensorESK_SK_EERKSK_lbbbEUlllE0_EEPmJS9_EEE10hipError_tPvRmT3_T4_T5_T6_T7_T9_mT8_P12ihipStream_tbDpT10_ENKUlT_T0_E_clISt17integral_constantIbLb0EES19_IbLb1EEEEDaS15_S16_EUlS15_E_NS1_11comp_targetILNS1_3genE2ELNS1_11target_archE906ELNS1_3gpuE6ELNS1_3repE0EEENS1_30default_config_static_selectorELNS0_4arch9wavefront6targetE0EEEvT1_,@function
_ZN7rocprim17ROCPRIM_400000_NS6detail17trampoline_kernelINS0_14default_configENS1_25partition_config_selectorILNS1_17partition_subalgoE9EllbEEZZNS1_14partition_implILS5_9ELb0ES3_jPlS8_PNS0_10empty_typeENS0_5tupleIJS8_S9_EEENSB_IJS8_SA_EEENS0_18inequality_wrapperIZN2at6native12_GLOBAL__N_124unique_dim_cuda_templateImEESt5tupleIJNSF_6TensorESK_SK_EERKSK_lbbbEUlllE0_EEPmJS9_EEE10hipError_tPvRmT3_T4_T5_T6_T7_T9_mT8_P12ihipStream_tbDpT10_ENKUlT_T0_E_clISt17integral_constantIbLb0EES19_IbLb1EEEEDaS15_S16_EUlS15_E_NS1_11comp_targetILNS1_3genE2ELNS1_11target_archE906ELNS1_3gpuE6ELNS1_3repE0EEENS1_30default_config_static_selectorELNS0_4arch9wavefront6targetE0EEEvT1_: ; @_ZN7rocprim17ROCPRIM_400000_NS6detail17trampoline_kernelINS0_14default_configENS1_25partition_config_selectorILNS1_17partition_subalgoE9EllbEEZZNS1_14partition_implILS5_9ELb0ES3_jPlS8_PNS0_10empty_typeENS0_5tupleIJS8_S9_EEENSB_IJS8_SA_EEENS0_18inequality_wrapperIZN2at6native12_GLOBAL__N_124unique_dim_cuda_templateImEESt5tupleIJNSF_6TensorESK_SK_EERKSK_lbbbEUlllE0_EEPmJS9_EEE10hipError_tPvRmT3_T4_T5_T6_T7_T9_mT8_P12ihipStream_tbDpT10_ENKUlT_T0_E_clISt17integral_constantIbLb0EES19_IbLb1EEEEDaS15_S16_EUlS15_E_NS1_11comp_targetILNS1_3genE2ELNS1_11target_archE906ELNS1_3gpuE6ELNS1_3repE0EEENS1_30default_config_static_selectorELNS0_4arch9wavefront6targetE0EEEvT1_
; %bb.0:
	.section	.rodata,"a",@progbits
	.p2align	6, 0x0
	.amdhsa_kernel _ZN7rocprim17ROCPRIM_400000_NS6detail17trampoline_kernelINS0_14default_configENS1_25partition_config_selectorILNS1_17partition_subalgoE9EllbEEZZNS1_14partition_implILS5_9ELb0ES3_jPlS8_PNS0_10empty_typeENS0_5tupleIJS8_S9_EEENSB_IJS8_SA_EEENS0_18inequality_wrapperIZN2at6native12_GLOBAL__N_124unique_dim_cuda_templateImEESt5tupleIJNSF_6TensorESK_SK_EERKSK_lbbbEUlllE0_EEPmJS9_EEE10hipError_tPvRmT3_T4_T5_T6_T7_T9_mT8_P12ihipStream_tbDpT10_ENKUlT_T0_E_clISt17integral_constantIbLb0EES19_IbLb1EEEEDaS15_S16_EUlS15_E_NS1_11comp_targetILNS1_3genE2ELNS1_11target_archE906ELNS1_3gpuE6ELNS1_3repE0EEENS1_30default_config_static_selectorELNS0_4arch9wavefront6targetE0EEEvT1_
		.amdhsa_group_segment_fixed_size 0
		.amdhsa_private_segment_fixed_size 0
		.amdhsa_kernarg_size 136
		.amdhsa_user_sgpr_count 15
		.amdhsa_user_sgpr_dispatch_ptr 0
		.amdhsa_user_sgpr_queue_ptr 0
		.amdhsa_user_sgpr_kernarg_segment_ptr 1
		.amdhsa_user_sgpr_dispatch_id 0
		.amdhsa_user_sgpr_private_segment_size 0
		.amdhsa_wavefront_size32 1
		.amdhsa_uses_dynamic_stack 0
		.amdhsa_enable_private_segment 0
		.amdhsa_system_sgpr_workgroup_id_x 1
		.amdhsa_system_sgpr_workgroup_id_y 0
		.amdhsa_system_sgpr_workgroup_id_z 0
		.amdhsa_system_sgpr_workgroup_info 0
		.amdhsa_system_vgpr_workitem_id 0
		.amdhsa_next_free_vgpr 1
		.amdhsa_next_free_sgpr 1
		.amdhsa_reserve_vcc 0
		.amdhsa_float_round_mode_32 0
		.amdhsa_float_round_mode_16_64 0
		.amdhsa_float_denorm_mode_32 3
		.amdhsa_float_denorm_mode_16_64 3
		.amdhsa_dx10_clamp 1
		.amdhsa_ieee_mode 1
		.amdhsa_fp16_overflow 0
		.amdhsa_workgroup_processor_mode 1
		.amdhsa_memory_ordered 1
		.amdhsa_forward_progress 0
		.amdhsa_shared_vgpr_count 0
		.amdhsa_exception_fp_ieee_invalid_op 0
		.amdhsa_exception_fp_denorm_src 0
		.amdhsa_exception_fp_ieee_div_zero 0
		.amdhsa_exception_fp_ieee_overflow 0
		.amdhsa_exception_fp_ieee_underflow 0
		.amdhsa_exception_fp_ieee_inexact 0
		.amdhsa_exception_int_div_zero 0
	.end_amdhsa_kernel
	.section	.text._ZN7rocprim17ROCPRIM_400000_NS6detail17trampoline_kernelINS0_14default_configENS1_25partition_config_selectorILNS1_17partition_subalgoE9EllbEEZZNS1_14partition_implILS5_9ELb0ES3_jPlS8_PNS0_10empty_typeENS0_5tupleIJS8_S9_EEENSB_IJS8_SA_EEENS0_18inequality_wrapperIZN2at6native12_GLOBAL__N_124unique_dim_cuda_templateImEESt5tupleIJNSF_6TensorESK_SK_EERKSK_lbbbEUlllE0_EEPmJS9_EEE10hipError_tPvRmT3_T4_T5_T6_T7_T9_mT8_P12ihipStream_tbDpT10_ENKUlT_T0_E_clISt17integral_constantIbLb0EES19_IbLb1EEEEDaS15_S16_EUlS15_E_NS1_11comp_targetILNS1_3genE2ELNS1_11target_archE906ELNS1_3gpuE6ELNS1_3repE0EEENS1_30default_config_static_selectorELNS0_4arch9wavefront6targetE0EEEvT1_,"axG",@progbits,_ZN7rocprim17ROCPRIM_400000_NS6detail17trampoline_kernelINS0_14default_configENS1_25partition_config_selectorILNS1_17partition_subalgoE9EllbEEZZNS1_14partition_implILS5_9ELb0ES3_jPlS8_PNS0_10empty_typeENS0_5tupleIJS8_S9_EEENSB_IJS8_SA_EEENS0_18inequality_wrapperIZN2at6native12_GLOBAL__N_124unique_dim_cuda_templateImEESt5tupleIJNSF_6TensorESK_SK_EERKSK_lbbbEUlllE0_EEPmJS9_EEE10hipError_tPvRmT3_T4_T5_T6_T7_T9_mT8_P12ihipStream_tbDpT10_ENKUlT_T0_E_clISt17integral_constantIbLb0EES19_IbLb1EEEEDaS15_S16_EUlS15_E_NS1_11comp_targetILNS1_3genE2ELNS1_11target_archE906ELNS1_3gpuE6ELNS1_3repE0EEENS1_30default_config_static_selectorELNS0_4arch9wavefront6targetE0EEEvT1_,comdat
.Lfunc_end1721:
	.size	_ZN7rocprim17ROCPRIM_400000_NS6detail17trampoline_kernelINS0_14default_configENS1_25partition_config_selectorILNS1_17partition_subalgoE9EllbEEZZNS1_14partition_implILS5_9ELb0ES3_jPlS8_PNS0_10empty_typeENS0_5tupleIJS8_S9_EEENSB_IJS8_SA_EEENS0_18inequality_wrapperIZN2at6native12_GLOBAL__N_124unique_dim_cuda_templateImEESt5tupleIJNSF_6TensorESK_SK_EERKSK_lbbbEUlllE0_EEPmJS9_EEE10hipError_tPvRmT3_T4_T5_T6_T7_T9_mT8_P12ihipStream_tbDpT10_ENKUlT_T0_E_clISt17integral_constantIbLb0EES19_IbLb1EEEEDaS15_S16_EUlS15_E_NS1_11comp_targetILNS1_3genE2ELNS1_11target_archE906ELNS1_3gpuE6ELNS1_3repE0EEENS1_30default_config_static_selectorELNS0_4arch9wavefront6targetE0EEEvT1_, .Lfunc_end1721-_ZN7rocprim17ROCPRIM_400000_NS6detail17trampoline_kernelINS0_14default_configENS1_25partition_config_selectorILNS1_17partition_subalgoE9EllbEEZZNS1_14partition_implILS5_9ELb0ES3_jPlS8_PNS0_10empty_typeENS0_5tupleIJS8_S9_EEENSB_IJS8_SA_EEENS0_18inequality_wrapperIZN2at6native12_GLOBAL__N_124unique_dim_cuda_templateImEESt5tupleIJNSF_6TensorESK_SK_EERKSK_lbbbEUlllE0_EEPmJS9_EEE10hipError_tPvRmT3_T4_T5_T6_T7_T9_mT8_P12ihipStream_tbDpT10_ENKUlT_T0_E_clISt17integral_constantIbLb0EES19_IbLb1EEEEDaS15_S16_EUlS15_E_NS1_11comp_targetILNS1_3genE2ELNS1_11target_archE906ELNS1_3gpuE6ELNS1_3repE0EEENS1_30default_config_static_selectorELNS0_4arch9wavefront6targetE0EEEvT1_
                                        ; -- End function
	.section	.AMDGPU.csdata,"",@progbits
; Kernel info:
; codeLenInByte = 0
; NumSgprs: 0
; NumVgprs: 0
; ScratchSize: 0
; MemoryBound: 0
; FloatMode: 240
; IeeeMode: 1
; LDSByteSize: 0 bytes/workgroup (compile time only)
; SGPRBlocks: 0
; VGPRBlocks: 0
; NumSGPRsForWavesPerEU: 1
; NumVGPRsForWavesPerEU: 1
; Occupancy: 15
; WaveLimiterHint : 0
; COMPUTE_PGM_RSRC2:SCRATCH_EN: 0
; COMPUTE_PGM_RSRC2:USER_SGPR: 15
; COMPUTE_PGM_RSRC2:TRAP_HANDLER: 0
; COMPUTE_PGM_RSRC2:TGID_X_EN: 1
; COMPUTE_PGM_RSRC2:TGID_Y_EN: 0
; COMPUTE_PGM_RSRC2:TGID_Z_EN: 0
; COMPUTE_PGM_RSRC2:TIDIG_COMP_CNT: 0
	.section	.text._ZN7rocprim17ROCPRIM_400000_NS6detail17trampoline_kernelINS0_14default_configENS1_25partition_config_selectorILNS1_17partition_subalgoE9EllbEEZZNS1_14partition_implILS5_9ELb0ES3_jPlS8_PNS0_10empty_typeENS0_5tupleIJS8_S9_EEENSB_IJS8_SA_EEENS0_18inequality_wrapperIZN2at6native12_GLOBAL__N_124unique_dim_cuda_templateImEESt5tupleIJNSF_6TensorESK_SK_EERKSK_lbbbEUlllE0_EEPmJS9_EEE10hipError_tPvRmT3_T4_T5_T6_T7_T9_mT8_P12ihipStream_tbDpT10_ENKUlT_T0_E_clISt17integral_constantIbLb0EES19_IbLb1EEEEDaS15_S16_EUlS15_E_NS1_11comp_targetILNS1_3genE10ELNS1_11target_archE1200ELNS1_3gpuE4ELNS1_3repE0EEENS1_30default_config_static_selectorELNS0_4arch9wavefront6targetE0EEEvT1_,"axG",@progbits,_ZN7rocprim17ROCPRIM_400000_NS6detail17trampoline_kernelINS0_14default_configENS1_25partition_config_selectorILNS1_17partition_subalgoE9EllbEEZZNS1_14partition_implILS5_9ELb0ES3_jPlS8_PNS0_10empty_typeENS0_5tupleIJS8_S9_EEENSB_IJS8_SA_EEENS0_18inequality_wrapperIZN2at6native12_GLOBAL__N_124unique_dim_cuda_templateImEESt5tupleIJNSF_6TensorESK_SK_EERKSK_lbbbEUlllE0_EEPmJS9_EEE10hipError_tPvRmT3_T4_T5_T6_T7_T9_mT8_P12ihipStream_tbDpT10_ENKUlT_T0_E_clISt17integral_constantIbLb0EES19_IbLb1EEEEDaS15_S16_EUlS15_E_NS1_11comp_targetILNS1_3genE10ELNS1_11target_archE1200ELNS1_3gpuE4ELNS1_3repE0EEENS1_30default_config_static_selectorELNS0_4arch9wavefront6targetE0EEEvT1_,comdat
	.globl	_ZN7rocprim17ROCPRIM_400000_NS6detail17trampoline_kernelINS0_14default_configENS1_25partition_config_selectorILNS1_17partition_subalgoE9EllbEEZZNS1_14partition_implILS5_9ELb0ES3_jPlS8_PNS0_10empty_typeENS0_5tupleIJS8_S9_EEENSB_IJS8_SA_EEENS0_18inequality_wrapperIZN2at6native12_GLOBAL__N_124unique_dim_cuda_templateImEESt5tupleIJNSF_6TensorESK_SK_EERKSK_lbbbEUlllE0_EEPmJS9_EEE10hipError_tPvRmT3_T4_T5_T6_T7_T9_mT8_P12ihipStream_tbDpT10_ENKUlT_T0_E_clISt17integral_constantIbLb0EES19_IbLb1EEEEDaS15_S16_EUlS15_E_NS1_11comp_targetILNS1_3genE10ELNS1_11target_archE1200ELNS1_3gpuE4ELNS1_3repE0EEENS1_30default_config_static_selectorELNS0_4arch9wavefront6targetE0EEEvT1_ ; -- Begin function _ZN7rocprim17ROCPRIM_400000_NS6detail17trampoline_kernelINS0_14default_configENS1_25partition_config_selectorILNS1_17partition_subalgoE9EllbEEZZNS1_14partition_implILS5_9ELb0ES3_jPlS8_PNS0_10empty_typeENS0_5tupleIJS8_S9_EEENSB_IJS8_SA_EEENS0_18inequality_wrapperIZN2at6native12_GLOBAL__N_124unique_dim_cuda_templateImEESt5tupleIJNSF_6TensorESK_SK_EERKSK_lbbbEUlllE0_EEPmJS9_EEE10hipError_tPvRmT3_T4_T5_T6_T7_T9_mT8_P12ihipStream_tbDpT10_ENKUlT_T0_E_clISt17integral_constantIbLb0EES19_IbLb1EEEEDaS15_S16_EUlS15_E_NS1_11comp_targetILNS1_3genE10ELNS1_11target_archE1200ELNS1_3gpuE4ELNS1_3repE0EEENS1_30default_config_static_selectorELNS0_4arch9wavefront6targetE0EEEvT1_
	.p2align	8
	.type	_ZN7rocprim17ROCPRIM_400000_NS6detail17trampoline_kernelINS0_14default_configENS1_25partition_config_selectorILNS1_17partition_subalgoE9EllbEEZZNS1_14partition_implILS5_9ELb0ES3_jPlS8_PNS0_10empty_typeENS0_5tupleIJS8_S9_EEENSB_IJS8_SA_EEENS0_18inequality_wrapperIZN2at6native12_GLOBAL__N_124unique_dim_cuda_templateImEESt5tupleIJNSF_6TensorESK_SK_EERKSK_lbbbEUlllE0_EEPmJS9_EEE10hipError_tPvRmT3_T4_T5_T6_T7_T9_mT8_P12ihipStream_tbDpT10_ENKUlT_T0_E_clISt17integral_constantIbLb0EES19_IbLb1EEEEDaS15_S16_EUlS15_E_NS1_11comp_targetILNS1_3genE10ELNS1_11target_archE1200ELNS1_3gpuE4ELNS1_3repE0EEENS1_30default_config_static_selectorELNS0_4arch9wavefront6targetE0EEEvT1_,@function
_ZN7rocprim17ROCPRIM_400000_NS6detail17trampoline_kernelINS0_14default_configENS1_25partition_config_selectorILNS1_17partition_subalgoE9EllbEEZZNS1_14partition_implILS5_9ELb0ES3_jPlS8_PNS0_10empty_typeENS0_5tupleIJS8_S9_EEENSB_IJS8_SA_EEENS0_18inequality_wrapperIZN2at6native12_GLOBAL__N_124unique_dim_cuda_templateImEESt5tupleIJNSF_6TensorESK_SK_EERKSK_lbbbEUlllE0_EEPmJS9_EEE10hipError_tPvRmT3_T4_T5_T6_T7_T9_mT8_P12ihipStream_tbDpT10_ENKUlT_T0_E_clISt17integral_constantIbLb0EES19_IbLb1EEEEDaS15_S16_EUlS15_E_NS1_11comp_targetILNS1_3genE10ELNS1_11target_archE1200ELNS1_3gpuE4ELNS1_3repE0EEENS1_30default_config_static_selectorELNS0_4arch9wavefront6targetE0EEEvT1_: ; @_ZN7rocprim17ROCPRIM_400000_NS6detail17trampoline_kernelINS0_14default_configENS1_25partition_config_selectorILNS1_17partition_subalgoE9EllbEEZZNS1_14partition_implILS5_9ELb0ES3_jPlS8_PNS0_10empty_typeENS0_5tupleIJS8_S9_EEENSB_IJS8_SA_EEENS0_18inequality_wrapperIZN2at6native12_GLOBAL__N_124unique_dim_cuda_templateImEESt5tupleIJNSF_6TensorESK_SK_EERKSK_lbbbEUlllE0_EEPmJS9_EEE10hipError_tPvRmT3_T4_T5_T6_T7_T9_mT8_P12ihipStream_tbDpT10_ENKUlT_T0_E_clISt17integral_constantIbLb0EES19_IbLb1EEEEDaS15_S16_EUlS15_E_NS1_11comp_targetILNS1_3genE10ELNS1_11target_archE1200ELNS1_3gpuE4ELNS1_3repE0EEENS1_30default_config_static_selectorELNS0_4arch9wavefront6targetE0EEEvT1_
; %bb.0:
	.section	.rodata,"a",@progbits
	.p2align	6, 0x0
	.amdhsa_kernel _ZN7rocprim17ROCPRIM_400000_NS6detail17trampoline_kernelINS0_14default_configENS1_25partition_config_selectorILNS1_17partition_subalgoE9EllbEEZZNS1_14partition_implILS5_9ELb0ES3_jPlS8_PNS0_10empty_typeENS0_5tupleIJS8_S9_EEENSB_IJS8_SA_EEENS0_18inequality_wrapperIZN2at6native12_GLOBAL__N_124unique_dim_cuda_templateImEESt5tupleIJNSF_6TensorESK_SK_EERKSK_lbbbEUlllE0_EEPmJS9_EEE10hipError_tPvRmT3_T4_T5_T6_T7_T9_mT8_P12ihipStream_tbDpT10_ENKUlT_T0_E_clISt17integral_constantIbLb0EES19_IbLb1EEEEDaS15_S16_EUlS15_E_NS1_11comp_targetILNS1_3genE10ELNS1_11target_archE1200ELNS1_3gpuE4ELNS1_3repE0EEENS1_30default_config_static_selectorELNS0_4arch9wavefront6targetE0EEEvT1_
		.amdhsa_group_segment_fixed_size 0
		.amdhsa_private_segment_fixed_size 0
		.amdhsa_kernarg_size 136
		.amdhsa_user_sgpr_count 15
		.amdhsa_user_sgpr_dispatch_ptr 0
		.amdhsa_user_sgpr_queue_ptr 0
		.amdhsa_user_sgpr_kernarg_segment_ptr 1
		.amdhsa_user_sgpr_dispatch_id 0
		.amdhsa_user_sgpr_private_segment_size 0
		.amdhsa_wavefront_size32 1
		.amdhsa_uses_dynamic_stack 0
		.amdhsa_enable_private_segment 0
		.amdhsa_system_sgpr_workgroup_id_x 1
		.amdhsa_system_sgpr_workgroup_id_y 0
		.amdhsa_system_sgpr_workgroup_id_z 0
		.amdhsa_system_sgpr_workgroup_info 0
		.amdhsa_system_vgpr_workitem_id 0
		.amdhsa_next_free_vgpr 1
		.amdhsa_next_free_sgpr 1
		.amdhsa_reserve_vcc 0
		.amdhsa_float_round_mode_32 0
		.amdhsa_float_round_mode_16_64 0
		.amdhsa_float_denorm_mode_32 3
		.amdhsa_float_denorm_mode_16_64 3
		.amdhsa_dx10_clamp 1
		.amdhsa_ieee_mode 1
		.amdhsa_fp16_overflow 0
		.amdhsa_workgroup_processor_mode 1
		.amdhsa_memory_ordered 1
		.amdhsa_forward_progress 0
		.amdhsa_shared_vgpr_count 0
		.amdhsa_exception_fp_ieee_invalid_op 0
		.amdhsa_exception_fp_denorm_src 0
		.amdhsa_exception_fp_ieee_div_zero 0
		.amdhsa_exception_fp_ieee_overflow 0
		.amdhsa_exception_fp_ieee_underflow 0
		.amdhsa_exception_fp_ieee_inexact 0
		.amdhsa_exception_int_div_zero 0
	.end_amdhsa_kernel
	.section	.text._ZN7rocprim17ROCPRIM_400000_NS6detail17trampoline_kernelINS0_14default_configENS1_25partition_config_selectorILNS1_17partition_subalgoE9EllbEEZZNS1_14partition_implILS5_9ELb0ES3_jPlS8_PNS0_10empty_typeENS0_5tupleIJS8_S9_EEENSB_IJS8_SA_EEENS0_18inequality_wrapperIZN2at6native12_GLOBAL__N_124unique_dim_cuda_templateImEESt5tupleIJNSF_6TensorESK_SK_EERKSK_lbbbEUlllE0_EEPmJS9_EEE10hipError_tPvRmT3_T4_T5_T6_T7_T9_mT8_P12ihipStream_tbDpT10_ENKUlT_T0_E_clISt17integral_constantIbLb0EES19_IbLb1EEEEDaS15_S16_EUlS15_E_NS1_11comp_targetILNS1_3genE10ELNS1_11target_archE1200ELNS1_3gpuE4ELNS1_3repE0EEENS1_30default_config_static_selectorELNS0_4arch9wavefront6targetE0EEEvT1_,"axG",@progbits,_ZN7rocprim17ROCPRIM_400000_NS6detail17trampoline_kernelINS0_14default_configENS1_25partition_config_selectorILNS1_17partition_subalgoE9EllbEEZZNS1_14partition_implILS5_9ELb0ES3_jPlS8_PNS0_10empty_typeENS0_5tupleIJS8_S9_EEENSB_IJS8_SA_EEENS0_18inequality_wrapperIZN2at6native12_GLOBAL__N_124unique_dim_cuda_templateImEESt5tupleIJNSF_6TensorESK_SK_EERKSK_lbbbEUlllE0_EEPmJS9_EEE10hipError_tPvRmT3_T4_T5_T6_T7_T9_mT8_P12ihipStream_tbDpT10_ENKUlT_T0_E_clISt17integral_constantIbLb0EES19_IbLb1EEEEDaS15_S16_EUlS15_E_NS1_11comp_targetILNS1_3genE10ELNS1_11target_archE1200ELNS1_3gpuE4ELNS1_3repE0EEENS1_30default_config_static_selectorELNS0_4arch9wavefront6targetE0EEEvT1_,comdat
.Lfunc_end1722:
	.size	_ZN7rocprim17ROCPRIM_400000_NS6detail17trampoline_kernelINS0_14default_configENS1_25partition_config_selectorILNS1_17partition_subalgoE9EllbEEZZNS1_14partition_implILS5_9ELb0ES3_jPlS8_PNS0_10empty_typeENS0_5tupleIJS8_S9_EEENSB_IJS8_SA_EEENS0_18inequality_wrapperIZN2at6native12_GLOBAL__N_124unique_dim_cuda_templateImEESt5tupleIJNSF_6TensorESK_SK_EERKSK_lbbbEUlllE0_EEPmJS9_EEE10hipError_tPvRmT3_T4_T5_T6_T7_T9_mT8_P12ihipStream_tbDpT10_ENKUlT_T0_E_clISt17integral_constantIbLb0EES19_IbLb1EEEEDaS15_S16_EUlS15_E_NS1_11comp_targetILNS1_3genE10ELNS1_11target_archE1200ELNS1_3gpuE4ELNS1_3repE0EEENS1_30default_config_static_selectorELNS0_4arch9wavefront6targetE0EEEvT1_, .Lfunc_end1722-_ZN7rocprim17ROCPRIM_400000_NS6detail17trampoline_kernelINS0_14default_configENS1_25partition_config_selectorILNS1_17partition_subalgoE9EllbEEZZNS1_14partition_implILS5_9ELb0ES3_jPlS8_PNS0_10empty_typeENS0_5tupleIJS8_S9_EEENSB_IJS8_SA_EEENS0_18inequality_wrapperIZN2at6native12_GLOBAL__N_124unique_dim_cuda_templateImEESt5tupleIJNSF_6TensorESK_SK_EERKSK_lbbbEUlllE0_EEPmJS9_EEE10hipError_tPvRmT3_T4_T5_T6_T7_T9_mT8_P12ihipStream_tbDpT10_ENKUlT_T0_E_clISt17integral_constantIbLb0EES19_IbLb1EEEEDaS15_S16_EUlS15_E_NS1_11comp_targetILNS1_3genE10ELNS1_11target_archE1200ELNS1_3gpuE4ELNS1_3repE0EEENS1_30default_config_static_selectorELNS0_4arch9wavefront6targetE0EEEvT1_
                                        ; -- End function
	.section	.AMDGPU.csdata,"",@progbits
; Kernel info:
; codeLenInByte = 0
; NumSgprs: 0
; NumVgprs: 0
; ScratchSize: 0
; MemoryBound: 0
; FloatMode: 240
; IeeeMode: 1
; LDSByteSize: 0 bytes/workgroup (compile time only)
; SGPRBlocks: 0
; VGPRBlocks: 0
; NumSGPRsForWavesPerEU: 1
; NumVGPRsForWavesPerEU: 1
; Occupancy: 15
; WaveLimiterHint : 0
; COMPUTE_PGM_RSRC2:SCRATCH_EN: 0
; COMPUTE_PGM_RSRC2:USER_SGPR: 15
; COMPUTE_PGM_RSRC2:TRAP_HANDLER: 0
; COMPUTE_PGM_RSRC2:TGID_X_EN: 1
; COMPUTE_PGM_RSRC2:TGID_Y_EN: 0
; COMPUTE_PGM_RSRC2:TGID_Z_EN: 0
; COMPUTE_PGM_RSRC2:TIDIG_COMP_CNT: 0
	.section	.text._ZN7rocprim17ROCPRIM_400000_NS6detail17trampoline_kernelINS0_14default_configENS1_25partition_config_selectorILNS1_17partition_subalgoE9EllbEEZZNS1_14partition_implILS5_9ELb0ES3_jPlS8_PNS0_10empty_typeENS0_5tupleIJS8_S9_EEENSB_IJS8_SA_EEENS0_18inequality_wrapperIZN2at6native12_GLOBAL__N_124unique_dim_cuda_templateImEESt5tupleIJNSF_6TensorESK_SK_EERKSK_lbbbEUlllE0_EEPmJS9_EEE10hipError_tPvRmT3_T4_T5_T6_T7_T9_mT8_P12ihipStream_tbDpT10_ENKUlT_T0_E_clISt17integral_constantIbLb0EES19_IbLb1EEEEDaS15_S16_EUlS15_E_NS1_11comp_targetILNS1_3genE9ELNS1_11target_archE1100ELNS1_3gpuE3ELNS1_3repE0EEENS1_30default_config_static_selectorELNS0_4arch9wavefront6targetE0EEEvT1_,"axG",@progbits,_ZN7rocprim17ROCPRIM_400000_NS6detail17trampoline_kernelINS0_14default_configENS1_25partition_config_selectorILNS1_17partition_subalgoE9EllbEEZZNS1_14partition_implILS5_9ELb0ES3_jPlS8_PNS0_10empty_typeENS0_5tupleIJS8_S9_EEENSB_IJS8_SA_EEENS0_18inequality_wrapperIZN2at6native12_GLOBAL__N_124unique_dim_cuda_templateImEESt5tupleIJNSF_6TensorESK_SK_EERKSK_lbbbEUlllE0_EEPmJS9_EEE10hipError_tPvRmT3_T4_T5_T6_T7_T9_mT8_P12ihipStream_tbDpT10_ENKUlT_T0_E_clISt17integral_constantIbLb0EES19_IbLb1EEEEDaS15_S16_EUlS15_E_NS1_11comp_targetILNS1_3genE9ELNS1_11target_archE1100ELNS1_3gpuE3ELNS1_3repE0EEENS1_30default_config_static_selectorELNS0_4arch9wavefront6targetE0EEEvT1_,comdat
	.globl	_ZN7rocprim17ROCPRIM_400000_NS6detail17trampoline_kernelINS0_14default_configENS1_25partition_config_selectorILNS1_17partition_subalgoE9EllbEEZZNS1_14partition_implILS5_9ELb0ES3_jPlS8_PNS0_10empty_typeENS0_5tupleIJS8_S9_EEENSB_IJS8_SA_EEENS0_18inequality_wrapperIZN2at6native12_GLOBAL__N_124unique_dim_cuda_templateImEESt5tupleIJNSF_6TensorESK_SK_EERKSK_lbbbEUlllE0_EEPmJS9_EEE10hipError_tPvRmT3_T4_T5_T6_T7_T9_mT8_P12ihipStream_tbDpT10_ENKUlT_T0_E_clISt17integral_constantIbLb0EES19_IbLb1EEEEDaS15_S16_EUlS15_E_NS1_11comp_targetILNS1_3genE9ELNS1_11target_archE1100ELNS1_3gpuE3ELNS1_3repE0EEENS1_30default_config_static_selectorELNS0_4arch9wavefront6targetE0EEEvT1_ ; -- Begin function _ZN7rocprim17ROCPRIM_400000_NS6detail17trampoline_kernelINS0_14default_configENS1_25partition_config_selectorILNS1_17partition_subalgoE9EllbEEZZNS1_14partition_implILS5_9ELb0ES3_jPlS8_PNS0_10empty_typeENS0_5tupleIJS8_S9_EEENSB_IJS8_SA_EEENS0_18inequality_wrapperIZN2at6native12_GLOBAL__N_124unique_dim_cuda_templateImEESt5tupleIJNSF_6TensorESK_SK_EERKSK_lbbbEUlllE0_EEPmJS9_EEE10hipError_tPvRmT3_T4_T5_T6_T7_T9_mT8_P12ihipStream_tbDpT10_ENKUlT_T0_E_clISt17integral_constantIbLb0EES19_IbLb1EEEEDaS15_S16_EUlS15_E_NS1_11comp_targetILNS1_3genE9ELNS1_11target_archE1100ELNS1_3gpuE3ELNS1_3repE0EEENS1_30default_config_static_selectorELNS0_4arch9wavefront6targetE0EEEvT1_
	.p2align	8
	.type	_ZN7rocprim17ROCPRIM_400000_NS6detail17trampoline_kernelINS0_14default_configENS1_25partition_config_selectorILNS1_17partition_subalgoE9EllbEEZZNS1_14partition_implILS5_9ELb0ES3_jPlS8_PNS0_10empty_typeENS0_5tupleIJS8_S9_EEENSB_IJS8_SA_EEENS0_18inequality_wrapperIZN2at6native12_GLOBAL__N_124unique_dim_cuda_templateImEESt5tupleIJNSF_6TensorESK_SK_EERKSK_lbbbEUlllE0_EEPmJS9_EEE10hipError_tPvRmT3_T4_T5_T6_T7_T9_mT8_P12ihipStream_tbDpT10_ENKUlT_T0_E_clISt17integral_constantIbLb0EES19_IbLb1EEEEDaS15_S16_EUlS15_E_NS1_11comp_targetILNS1_3genE9ELNS1_11target_archE1100ELNS1_3gpuE3ELNS1_3repE0EEENS1_30default_config_static_selectorELNS0_4arch9wavefront6targetE0EEEvT1_,@function
_ZN7rocprim17ROCPRIM_400000_NS6detail17trampoline_kernelINS0_14default_configENS1_25partition_config_selectorILNS1_17partition_subalgoE9EllbEEZZNS1_14partition_implILS5_9ELb0ES3_jPlS8_PNS0_10empty_typeENS0_5tupleIJS8_S9_EEENSB_IJS8_SA_EEENS0_18inequality_wrapperIZN2at6native12_GLOBAL__N_124unique_dim_cuda_templateImEESt5tupleIJNSF_6TensorESK_SK_EERKSK_lbbbEUlllE0_EEPmJS9_EEE10hipError_tPvRmT3_T4_T5_T6_T7_T9_mT8_P12ihipStream_tbDpT10_ENKUlT_T0_E_clISt17integral_constantIbLb0EES19_IbLb1EEEEDaS15_S16_EUlS15_E_NS1_11comp_targetILNS1_3genE9ELNS1_11target_archE1100ELNS1_3gpuE3ELNS1_3repE0EEENS1_30default_config_static_selectorELNS0_4arch9wavefront6targetE0EEEvT1_: ; @_ZN7rocprim17ROCPRIM_400000_NS6detail17trampoline_kernelINS0_14default_configENS1_25partition_config_selectorILNS1_17partition_subalgoE9EllbEEZZNS1_14partition_implILS5_9ELb0ES3_jPlS8_PNS0_10empty_typeENS0_5tupleIJS8_S9_EEENSB_IJS8_SA_EEENS0_18inequality_wrapperIZN2at6native12_GLOBAL__N_124unique_dim_cuda_templateImEESt5tupleIJNSF_6TensorESK_SK_EERKSK_lbbbEUlllE0_EEPmJS9_EEE10hipError_tPvRmT3_T4_T5_T6_T7_T9_mT8_P12ihipStream_tbDpT10_ENKUlT_T0_E_clISt17integral_constantIbLb0EES19_IbLb1EEEEDaS15_S16_EUlS15_E_NS1_11comp_targetILNS1_3genE9ELNS1_11target_archE1100ELNS1_3gpuE3ELNS1_3repE0EEENS1_30default_config_static_selectorELNS0_4arch9wavefront6targetE0EEEvT1_
; %bb.0:
	s_clause 0x3
	s_load_b128 s[4:7], s[0:1], 0x8
	s_load_b64 s[24:25], s[0:1], 0x18
	s_load_b256 s[8:15], s[0:1], 0x40
	s_load_b128 s[20:23], s[0:1], 0x60
	v_cmp_ne_u32_e64 s3, 0, v0
	v_cmp_eq_u32_e64 s2, 0, v0
	s_delay_alu instid0(VALU_DEP_1)
	s_and_saveexec_b32 s16, s2
	s_cbranch_execz .LBB1723_4
; %bb.1:
	s_mov_b32 s18, exec_lo
	s_mov_b32 s17, exec_lo
	v_mbcnt_lo_u32_b32 v1, s18, 0
                                        ; implicit-def: $vgpr2
	s_delay_alu instid0(VALU_DEP_1)
	v_cmpx_eq_u32_e32 0, v1
	s_cbranch_execz .LBB1723_3
; %bb.2:
	s_load_b64 s[26:27], s[0:1], 0x78
	s_bcnt1_i32_b32 s18, s18
	s_delay_alu instid0(SALU_CYCLE_1)
	v_dual_mov_b32 v2, 0 :: v_dual_mov_b32 v3, s18
	s_waitcnt lgkmcnt(0)
	global_atomic_add_u32 v2, v2, v3, s[26:27] glc
.LBB1723_3:
	s_or_b32 exec_lo, exec_lo, s17
	s_waitcnt vmcnt(0)
	v_readfirstlane_b32 s17, v2
	s_delay_alu instid0(VALU_DEP_1)
	v_dual_mov_b32 v2, 0 :: v_dual_add_nc_u32 v1, s17, v1
	ds_store_b32 v2, v1
.LBB1723_4:
	s_or_b32 exec_lo, exec_lo, s16
	v_mov_b32_e32 v1, 0
	s_clause 0x1
	s_load_b128 s[16:19], s[0:1], 0x28
	s_load_b32 s0, s[0:1], 0x70
	s_waitcnt lgkmcnt(0)
	s_barrier
	buffer_gl0_inv
	ds_load_b32 v3, v1
	s_waitcnt lgkmcnt(0)
	s_barrier
	buffer_gl0_inv
	global_load_b64 v[1:2], v1, s[10:11]
	s_lshl_b64 s[26:27], s[6:7], 3
	s_mov_b32 s1, 0
	s_add_u32 s10, s4, s26
	s_addc_u32 s11, s5, s27
	v_lshlrev_b32_e32 v55, 3, v0
	v_lshrrev_b32_e32 v34, 2, v0
	v_or_b32_e32 v39, 0x200, v0
	v_or_b32_e32 v38, 0x400, v0
	;; [unrolled: 1-line block ×5, first 2 shown]
	s_add_i32 s28, s0, -1
	s_lshl_b32 s5, s0, 12
	s_lshl_b32 s4, s28, 12
	v_or_b32_e32 v33, 0xc00, v0
	v_readfirstlane_b32 s30, v3
	s_add_i32 s4, s6, s4
	v_or_b32_e32 v36, 0xe00, v0
	s_sub_i32 s31, s12, s4
	s_delay_alu instid0(VALU_DEP_2)
	s_lshl_b32 s0, s30, 12
	s_add_u32 s4, s6, s5
	s_addc_u32 s5, s7, 0
	s_cmp_eq_u32 s30, s28
	v_cmp_ge_u64_e64 s4, s[4:5], s[12:13]
	s_cselect_b32 s28, -1, 0
	s_lshl_b64 s[12:13], s[0:1], 3
	s_mov_b32 s1, -1
	s_delay_alu instid0(VALU_DEP_1) | instskip(NEXT) | instid1(SALU_CYCLE_1)
	s_and_b32 s33, s4, s28
	s_xor_b32 s29, s33, -1
	s_add_u32 s4, s10, s12
	s_addc_u32 s5, s11, s13
	s_and_b32 vcc_lo, exec_lo, s29
	s_waitcnt vmcnt(0)
	v_readfirstlane_b32 s10, v1
	v_readfirstlane_b32 s11, v2
	s_cbranch_vccz .LBB1723_6
; %bb.5:
	v_add_co_u32 v9, s0, s4, v55
	s_delay_alu instid0(VALU_DEP_1)
	v_add_co_ci_u32_e64 v10, null, s5, 0, s0
	global_load_b64 v[1:2], v55, s[4:5]
	v_add_co_u32 v3, vcc_lo, v9, 0x2000
	v_add_co_ci_u32_e32 v4, vcc_lo, 0, v10, vcc_lo
	v_add_co_u32 v5, vcc_lo, v9, 0x4000
	v_add_co_ci_u32_e32 v6, vcc_lo, 0, v10, vcc_lo
	;; [unrolled: 2-line block ×4, first 2 shown]
	s_clause 0x6
	global_load_b64 v[11:12], v[3:4], off offset:-4096
	global_load_b64 v[3:4], v[3:4], off
	global_load_b64 v[13:14], v[5:6], off offset:-4096
	global_load_b64 v[5:6], v[5:6], off
	;; [unrolled: 2-line block ×3, first 2 shown]
	global_load_b64 v[9:10], v[9:10], off
	v_lshrrev_b32_e32 v18, 2, v39
	v_lshrrev_b32_e32 v19, 2, v38
	;; [unrolled: 1-line block ×4, first 2 shown]
	v_and_b32_e32 v17, 0x78, v34
	v_lshrrev_b32_e32 v22, 2, v35
	v_lshrrev_b32_e32 v23, 2, v33
	;; [unrolled: 1-line block ×3, first 2 shown]
	v_and_b32_e32 v18, 0xf8, v18
	v_and_b32_e32 v19, 0x178, v19
	;; [unrolled: 1-line block ×4, first 2 shown]
	v_add_nc_u32_e32 v17, v17, v55
	v_and_b32_e32 v22, 0x2f8, v22
	v_and_b32_e32 v23, 0x378, v23
	;; [unrolled: 1-line block ×3, first 2 shown]
	v_add_nc_u32_e32 v18, v18, v55
	v_add_nc_u32_e32 v19, v19, v55
	v_add_nc_u32_e32 v20, v20, v55
	v_add_nc_u32_e32 v21, v21, v55
	s_mov_b32 s1, 0
	v_add_nc_u32_e32 v22, v22, v55
	v_add_nc_u32_e32 v23, v23, v55
	;; [unrolled: 1-line block ×3, first 2 shown]
	s_waitcnt vmcnt(7)
	ds_store_b64 v17, v[1:2]
	s_waitcnt vmcnt(6)
	ds_store_b64 v18, v[11:12] offset:4096
	s_waitcnt vmcnt(5)
	ds_store_b64 v19, v[3:4] offset:8192
	;; [unrolled: 2-line block ×7, first 2 shown]
	s_waitcnt lgkmcnt(0)
	s_barrier
.LBB1723_6:
	v_cmp_gt_u32_e64 s0, s31, v0
	s_and_not1_b32 vcc_lo, exec_lo, s1
	s_cbranch_vccnz .LBB1723_24
; %bb.7:
                                        ; implicit-def: $vgpr1_vgpr2_vgpr3_vgpr4_vgpr5_vgpr6_vgpr7_vgpr8_vgpr9_vgpr10_vgpr11_vgpr12_vgpr13_vgpr14_vgpr15_vgpr16
	s_delay_alu instid0(VALU_DEP_1)
	s_and_saveexec_b32 s1, s0
	s_cbranch_execz .LBB1723_15
; %bb.8:
	global_load_b64 v[1:2], v55, s[4:5]
	s_or_b32 exec_lo, exec_lo, s1
	s_delay_alu instid0(SALU_CYCLE_1)
	s_mov_b32 s0, exec_lo
	v_cmpx_gt_u32_e64 s31, v39
	s_cbranch_execnz .LBB1723_16
.LBB1723_9:
	s_or_b32 exec_lo, exec_lo, s0
	s_delay_alu instid0(SALU_CYCLE_1)
	s_mov_b32 s0, exec_lo
	v_cmpx_gt_u32_e64 s31, v38
	s_cbranch_execz .LBB1723_17
.LBB1723_10:
	v_lshlrev_b32_e32 v5, 3, v38
	global_load_b64 v[5:6], v5, s[4:5]
	s_or_b32 exec_lo, exec_lo, s0
	s_delay_alu instid0(SALU_CYCLE_1)
	s_mov_b32 s0, exec_lo
	v_cmpx_gt_u32_e64 s31, v40
	s_cbranch_execnz .LBB1723_18
.LBB1723_11:
	s_or_b32 exec_lo, exec_lo, s0
	s_delay_alu instid0(SALU_CYCLE_1)
	s_mov_b32 s0, exec_lo
	v_cmpx_gt_u32_e64 s31, v37
	s_cbranch_execz .LBB1723_19
.LBB1723_12:
	v_lshlrev_b32_e32 v9, 3, v37
	global_load_b64 v[9:10], v9, s[4:5]
	s_or_b32 exec_lo, exec_lo, s0
	s_delay_alu instid0(SALU_CYCLE_1)
	s_mov_b32 s0, exec_lo
	v_cmpx_gt_u32_e64 s31, v35
	s_cbranch_execnz .LBB1723_20
.LBB1723_13:
	s_or_b32 exec_lo, exec_lo, s0
	s_delay_alu instid0(SALU_CYCLE_1)
	s_mov_b32 s0, exec_lo
	v_cmpx_gt_u32_e64 s31, v33
	s_cbranch_execz .LBB1723_21
.LBB1723_14:
	v_lshlrev_b32_e32 v13, 3, v33
	global_load_b64 v[13:14], v13, s[4:5]
	s_or_b32 exec_lo, exec_lo, s0
	s_delay_alu instid0(SALU_CYCLE_1)
	s_mov_b32 s0, exec_lo
	v_cmpx_gt_u32_e64 s31, v36
	s_cbranch_execnz .LBB1723_22
	s_branch .LBB1723_23
.LBB1723_15:
	s_or_b32 exec_lo, exec_lo, s1
	s_delay_alu instid0(SALU_CYCLE_1)
	s_mov_b32 s0, exec_lo
	v_cmpx_gt_u32_e64 s31, v39
	s_cbranch_execz .LBB1723_9
.LBB1723_16:
	v_lshlrev_b32_e32 v3, 3, v39
	global_load_b64 v[3:4], v3, s[4:5]
	s_or_b32 exec_lo, exec_lo, s0
	s_delay_alu instid0(SALU_CYCLE_1)
	s_mov_b32 s0, exec_lo
	v_cmpx_gt_u32_e64 s31, v38
	s_cbranch_execnz .LBB1723_10
.LBB1723_17:
	s_or_b32 exec_lo, exec_lo, s0
	s_delay_alu instid0(SALU_CYCLE_1)
	s_mov_b32 s0, exec_lo
	v_cmpx_gt_u32_e64 s31, v40
	s_cbranch_execz .LBB1723_11
.LBB1723_18:
	v_lshlrev_b32_e32 v7, 3, v40
	global_load_b64 v[7:8], v7, s[4:5]
	s_or_b32 exec_lo, exec_lo, s0
	s_delay_alu instid0(SALU_CYCLE_1)
	s_mov_b32 s0, exec_lo
	v_cmpx_gt_u32_e64 s31, v37
	s_cbranch_execnz .LBB1723_12
.LBB1723_19:
	s_or_b32 exec_lo, exec_lo, s0
	s_delay_alu instid0(SALU_CYCLE_1)
	s_mov_b32 s0, exec_lo
	v_cmpx_gt_u32_e64 s31, v35
	s_cbranch_execz .LBB1723_13
.LBB1723_20:
	v_lshlrev_b32_e32 v11, 3, v35
	global_load_b64 v[11:12], v11, s[4:5]
	s_or_b32 exec_lo, exec_lo, s0
	s_delay_alu instid0(SALU_CYCLE_1)
	s_mov_b32 s0, exec_lo
	v_cmpx_gt_u32_e64 s31, v33
	s_cbranch_execnz .LBB1723_14
.LBB1723_21:
	s_or_b32 exec_lo, exec_lo, s0
	s_delay_alu instid0(SALU_CYCLE_1)
	s_mov_b32 s0, exec_lo
	v_cmpx_gt_u32_e64 s31, v36
	s_cbranch_execz .LBB1723_23
.LBB1723_22:
	v_lshlrev_b32_e32 v15, 3, v36
	global_load_b64 v[15:16], v15, s[4:5]
.LBB1723_23:
	s_or_b32 exec_lo, exec_lo, s0
	v_lshrrev_b32_e32 v17, 2, v39
	v_lshrrev_b32_e32 v18, 2, v38
	;; [unrolled: 1-line block ×4, first 2 shown]
	v_and_b32_e32 v19, 0x78, v34
	v_lshrrev_b32_e32 v22, 2, v35
	v_lshrrev_b32_e32 v23, 2, v33
	;; [unrolled: 1-line block ×3, first 2 shown]
	v_and_b32_e32 v17, 0xf8, v17
	v_and_b32_e32 v18, 0x1f8, v18
	;; [unrolled: 1-line block ×4, first 2 shown]
	v_add_nc_u32_e32 v19, v19, v55
	v_and_b32_e32 v22, 0x3f8, v22
	v_and_b32_e32 v23, 0x3f8, v23
	;; [unrolled: 1-line block ×3, first 2 shown]
	v_add_nc_u32_e32 v17, v17, v55
	v_add_nc_u32_e32 v18, v18, v55
	;; [unrolled: 1-line block ×7, first 2 shown]
	s_waitcnt vmcnt(0)
	ds_store_b64 v19, v[1:2]
	ds_store_b64 v17, v[3:4] offset:4096
	ds_store_b64 v18, v[5:6] offset:8192
	;; [unrolled: 1-line block ×7, first 2 shown]
	s_waitcnt lgkmcnt(0)
	s_barrier
.LBB1723_24:
	v_add_lshl_u32 v41, v34, v55, 3
	buffer_gl0_inv
	s_add_u32 s0, s24, s26
	s_addc_u32 s1, s25, s27
	s_add_u32 s0, s0, s12
	ds_load_2addr_b64 v[29:32], v41 offset1:1
	ds_load_2addr_b64 v[25:28], v41 offset0:2 offset1:3
	ds_load_2addr_b64 v[21:24], v41 offset0:4 offset1:5
	;; [unrolled: 1-line block ×3, first 2 shown]
	s_addc_u32 s1, s1, s13
	s_and_b32 vcc_lo, exec_lo, s29
	s_mov_b32 s12, -1
	s_waitcnt lgkmcnt(0)
	s_barrier
	buffer_gl0_inv
	s_cbranch_vccz .LBB1723_26
; %bb.25:
	v_add_co_u32 v9, s12, s0, v55
	s_delay_alu instid0(VALU_DEP_1)
	v_add_co_ci_u32_e64 v10, null, s1, 0, s12
	global_load_b64 v[1:2], v55, s[0:1]
	v_add_co_u32 v3, vcc_lo, v9, 0x2000
	v_add_co_ci_u32_e32 v4, vcc_lo, 0, v10, vcc_lo
	v_add_co_u32 v5, vcc_lo, v9, 0x4000
	v_add_co_ci_u32_e32 v6, vcc_lo, 0, v10, vcc_lo
	;; [unrolled: 2-line block ×4, first 2 shown]
	s_clause 0x6
	global_load_b64 v[11:12], v[3:4], off offset:-4096
	global_load_b64 v[3:4], v[3:4], off
	global_load_b64 v[13:14], v[5:6], off offset:-4096
	global_load_b64 v[5:6], v[5:6], off
	;; [unrolled: 2-line block ×3, first 2 shown]
	global_load_b64 v[9:10], v[9:10], off
	v_lshrrev_b32_e32 v43, 2, v39
	v_lshrrev_b32_e32 v44, 2, v38
	;; [unrolled: 1-line block ×4, first 2 shown]
	v_and_b32_e32 v42, 0x78, v34
	v_lshrrev_b32_e32 v47, 2, v35
	v_lshrrev_b32_e32 v48, 2, v33
	;; [unrolled: 1-line block ×3, first 2 shown]
	v_and_b32_e32 v43, 0xf8, v43
	v_and_b32_e32 v44, 0x178, v44
	;; [unrolled: 1-line block ×4, first 2 shown]
	v_add_nc_u32_e32 v42, v42, v55
	v_and_b32_e32 v47, 0x2f8, v47
	v_and_b32_e32 v48, 0x378, v48
	;; [unrolled: 1-line block ×3, first 2 shown]
	v_add_nc_u32_e32 v43, v43, v55
	v_add_nc_u32_e32 v44, v44, v55
	;; [unrolled: 1-line block ×4, first 2 shown]
	s_mov_b32 s12, 0
	v_add_nc_u32_e32 v47, v47, v55
	v_add_nc_u32_e32 v48, v48, v55
	;; [unrolled: 1-line block ×3, first 2 shown]
	s_waitcnt vmcnt(7)
	ds_store_b64 v42, v[1:2]
	s_waitcnt vmcnt(6)
	ds_store_b64 v43, v[11:12] offset:4096
	s_waitcnt vmcnt(5)
	ds_store_b64 v44, v[3:4] offset:8192
	s_waitcnt vmcnt(4)
	ds_store_b64 v45, v[13:14] offset:12288
	s_waitcnt vmcnt(3)
	ds_store_b64 v46, v[5:6] offset:16384
	s_waitcnt vmcnt(2)
	ds_store_b64 v47, v[15:16] offset:20480
	s_waitcnt vmcnt(1)
	ds_store_b64 v48, v[7:8] offset:24576
	s_waitcnt vmcnt(0)
	ds_store_b64 v49, v[9:10] offset:28672
	s_waitcnt lgkmcnt(0)
	s_barrier
.LBB1723_26:
	s_and_not1_b32 vcc_lo, exec_lo, s12
	s_cbranch_vccnz .LBB1723_44
; %bb.27:
	s_mov_b32 s12, exec_lo
                                        ; implicit-def: $vgpr1_vgpr2
	v_cmpx_gt_u32_e64 s31, v0
	s_cbranch_execz .LBB1723_29
; %bb.28:
	global_load_b64 v[1:2], v55, s[0:1]
.LBB1723_29:
	s_or_b32 exec_lo, exec_lo, s12
	s_delay_alu instid0(SALU_CYCLE_1)
	s_mov_b32 s12, exec_lo
                                        ; implicit-def: $vgpr3_vgpr4
	v_cmpx_gt_u32_e64 s31, v39
	s_cbranch_execz .LBB1723_31
; %bb.30:
	v_lshlrev_b32_e32 v3, 3, v39
	global_load_b64 v[3:4], v3, s[0:1]
.LBB1723_31:
	s_or_b32 exec_lo, exec_lo, s12
	s_delay_alu instid0(SALU_CYCLE_1)
	s_mov_b32 s12, exec_lo
                                        ; implicit-def: $vgpr5_vgpr6
	v_cmpx_gt_u32_e64 s31, v38
	s_cbranch_execz .LBB1723_33
; %bb.32:
	v_lshlrev_b32_e32 v5, 3, v38
	global_load_b64 v[5:6], v5, s[0:1]
.LBB1723_33:
	s_or_b32 exec_lo, exec_lo, s12
	s_delay_alu instid0(SALU_CYCLE_1)
	s_mov_b32 s12, exec_lo
                                        ; implicit-def: $vgpr7_vgpr8
	v_cmpx_gt_u32_e64 s31, v40
	s_cbranch_execz .LBB1723_35
; %bb.34:
	v_lshlrev_b32_e32 v7, 3, v40
	global_load_b64 v[7:8], v7, s[0:1]
.LBB1723_35:
	s_or_b32 exec_lo, exec_lo, s12
	s_delay_alu instid0(SALU_CYCLE_1)
	s_mov_b32 s12, exec_lo
                                        ; implicit-def: $vgpr9_vgpr10
	v_cmpx_gt_u32_e64 s31, v37
	s_cbranch_execz .LBB1723_37
; %bb.36:
	v_lshlrev_b32_e32 v9, 3, v37
	global_load_b64 v[9:10], v9, s[0:1]
.LBB1723_37:
	s_or_b32 exec_lo, exec_lo, s12
	s_delay_alu instid0(SALU_CYCLE_1)
	s_mov_b32 s12, exec_lo
                                        ; implicit-def: $vgpr11_vgpr12
	v_cmpx_gt_u32_e64 s31, v35
	s_cbranch_execz .LBB1723_39
; %bb.38:
	v_lshlrev_b32_e32 v11, 3, v35
	global_load_b64 v[11:12], v11, s[0:1]
.LBB1723_39:
	s_or_b32 exec_lo, exec_lo, s12
	s_delay_alu instid0(SALU_CYCLE_1)
	s_mov_b32 s12, exec_lo
                                        ; implicit-def: $vgpr13_vgpr14
	v_cmpx_gt_u32_e64 s31, v33
	s_cbranch_execz .LBB1723_41
; %bb.40:
	v_lshlrev_b32_e32 v13, 3, v33
	global_load_b64 v[13:14], v13, s[0:1]
.LBB1723_41:
	s_or_b32 exec_lo, exec_lo, s12
	s_delay_alu instid0(SALU_CYCLE_1)
	s_mov_b32 s12, exec_lo
                                        ; implicit-def: $vgpr15_vgpr16
	v_cmpx_gt_u32_e64 s31, v36
	s_cbranch_execz .LBB1723_43
; %bb.42:
	v_lshlrev_b32_e32 v15, 3, v36
	global_load_b64 v[15:16], v15, s[0:1]
.LBB1723_43:
	s_or_b32 exec_lo, exec_lo, s12
	v_lshrrev_b32_e32 v39, 2, v39
	v_lshrrev_b32_e32 v38, 2, v38
	;; [unrolled: 1-line block ×4, first 2 shown]
	v_and_b32_e32 v34, 0x78, v34
	v_lshrrev_b32_e32 v35, 2, v35
	v_lshrrev_b32_e32 v33, 2, v33
	;; [unrolled: 1-line block ×3, first 2 shown]
	v_and_b32_e32 v39, 0xf8, v39
	v_and_b32_e32 v38, 0x1f8, v38
	;; [unrolled: 1-line block ×4, first 2 shown]
	v_add_nc_u32_e32 v34, v34, v55
	v_and_b32_e32 v35, 0x3f8, v35
	v_and_b32_e32 v33, 0x3f8, v33
	;; [unrolled: 1-line block ×3, first 2 shown]
	v_add_nc_u32_e32 v39, v39, v55
	v_add_nc_u32_e32 v38, v38, v55
	;; [unrolled: 1-line block ×7, first 2 shown]
	s_waitcnt vmcnt(0)
	ds_store_b64 v34, v[1:2]
	ds_store_b64 v39, v[3:4] offset:4096
	ds_store_b64 v38, v[5:6] offset:8192
	;; [unrolled: 1-line block ×7, first 2 shown]
	s_waitcnt lgkmcnt(0)
	s_barrier
.LBB1723_44:
	buffer_gl0_inv
	ds_load_2addr_b64 v[13:16], v41 offset1:1
	ds_load_2addr_b64 v[9:12], v41 offset0:2 offset1:3
	ds_load_2addr_b64 v[5:8], v41 offset0:4 offset1:5
	;; [unrolled: 1-line block ×3, first 2 shown]
	s_cmp_lg_u32 s30, 0
	v_cmp_gt_i64_e64 s13, s[14:15], 0
	s_cselect_b32 s12, -1, 0
	s_cmp_lg_u64 s[6:7], 0
	s_mov_b32 s1, 0
	s_cselect_b32 s0, -1, 0
	s_waitcnt lgkmcnt(0)
	s_or_b32 s0, s0, s12
	s_barrier
	s_and_b32 vcc_lo, exec_lo, s0
	buffer_gl0_inv
	s_cbranch_vccz .LBB1723_53
; %bb.45:
	v_mov_b32_e32 v33, 0
	v_cndmask_b32_e64 v43, 0, 1, s13
	s_and_b32 vcc_lo, exec_lo, s29
	ds_store_b64 v55, v[19:20]
	global_load_b64 v[33:34], v33, s[4:5] offset:-8
	v_cmp_ne_u32_e64 s0, 1, v43
	s_cbranch_vccz .LBB1723_54
; %bb.46:
	v_mul_lo_u32 v37, v18, s14
	v_mul_lo_u32 v38, v17, s15
	v_mad_u64_u32 v[35:36], null, v17, s14, 0
	s_and_b32 vcc_lo, exec_lo, s0
	s_mov_b32 s24, 0
	s_delay_alu instid0(VALU_DEP_1) | instskip(NEXT) | instid1(VALU_DEP_1)
	v_add3_u32 v36, v36, v38, v37
	v_lshlrev_b64 v[35:36], 3, v[35:36]
	s_cbranch_vccnz .LBB1723_57
; %bb.47:
	v_mul_lo_u32 v39, v20, s14
	v_mul_lo_u32 v40, v19, s15
	v_mad_u64_u32 v[37:38], null, v19, s14, 0
	s_mov_b32 s24, -1
	s_mov_b32 s25, exec_lo
	s_delay_alu instid0(VALU_DEP_1) | instskip(SKIP_2) | instid1(VALU_DEP_3)
	v_add3_u32 v38, v38, v40, v39
	v_add_co_u32 v39, vcc_lo, s20, v35
	v_add_co_ci_u32_e32 v40, vcc_lo, s21, v36, vcc_lo
	v_lshlrev_b64 v[37:38], 3, v[37:38]
	s_delay_alu instid0(VALU_DEP_1) | instskip(NEXT) | instid1(VALU_DEP_2)
	v_add_co_u32 v37, vcc_lo, s20, v37
	v_add_co_ci_u32_e32 v38, vcc_lo, s21, v38, vcc_lo
	s_clause 0x1
	global_load_b64 v[41:42], v[39:40], off
	global_load_b64 v[44:45], v[37:38], off
	s_waitcnt vmcnt(0)
	v_cmpx_eq_u64_e64 v[41:42], v[44:45]
	s_cbranch_execz .LBB1723_56
; %bb.48:
	v_add_co_u32 v37, vcc_lo, v37, 8
	v_add_co_ci_u32_e32 v38, vcc_lo, 0, v38, vcc_lo
	v_add_co_u32 v39, vcc_lo, v39, 8
	v_add_co_ci_u32_e32 v40, vcc_lo, 0, v40, vcc_lo
	s_add_u32 s4, s14, -1
	s_addc_u32 s5, s15, -1
	s_mov_b64 s[6:7], 0
	s_mov_b32 s24, 0
                                        ; implicit-def: $sgpr26
	s_set_inst_prefetch_distance 0x1
	s_branch .LBB1723_51
	.p2align	6
.LBB1723_49:                            ;   in Loop: Header=BB1723_51 Depth=1
	global_load_b64 v[41:42], v[39:40], off
	global_load_b64 v[44:45], v[37:38], off
	v_add_co_u32 v37, vcc_lo, v37, 8
	v_add_co_ci_u32_e32 v38, vcc_lo, 0, v38, vcc_lo
	v_add_co_u32 v39, s0, v39, 8
	s_delay_alu instid0(VALU_DEP_1)
	v_add_co_ci_u32_e64 v40, s0, 0, v40, s0
	s_add_u32 s6, s6, 1
	s_addc_u32 s7, s7, 0
	s_and_not1_b32 s0, s26, exec_lo
	s_waitcnt vmcnt(0)
	v_cmp_ne_u64_e32 vcc_lo, v[41:42], v[44:45]
	s_and_b32 s26, vcc_lo, exec_lo
	s_delay_alu instid0(SALU_CYCLE_1)
	s_or_b32 s26, s0, s26
.LBB1723_50:                            ;   in Loop: Header=BB1723_51 Depth=1
	v_dual_mov_b32 v42, s7 :: v_dual_mov_b32 v41, s6
	s_and_b32 s0, exec_lo, s26
	s_delay_alu instid0(SALU_CYCLE_1) | instskip(NEXT) | instid1(SALU_CYCLE_1)
	s_or_b32 s24, s0, s24
	s_and_not1_b32 exec_lo, exec_lo, s24
	s_cbranch_execz .LBB1723_55
.LBB1723_51:                            ; =>This Inner Loop Header: Depth=1
	s_or_b32 s26, s26, exec_lo
	s_cmp_eq_u64 s[4:5], s[6:7]
	s_cbranch_scc0 .LBB1723_49
; %bb.52:                               ;   in Loop: Header=BB1723_51 Depth=1
	s_mov_b64 s[6:7], s[14:15]
                                        ; implicit-def: $vgpr37_vgpr38
                                        ; implicit-def: $vgpr39_vgpr40
	s_branch .LBB1723_50
.LBB1723_53:
                                        ; implicit-def: $sgpr0
                                        ; implicit-def: $vgpr36
	s_branch .LBB1723_215
.LBB1723_54:
                                        ; implicit-def: $sgpr0
                                        ; implicit-def: $vgpr36
	s_cbranch_execnz .LBB1723_123
	s_branch .LBB1723_214
.LBB1723_55:
	s_set_inst_prefetch_distance 0x2
	s_or_b32 exec_lo, exec_lo, s24
	v_cmp_gt_i64_e32 vcc_lo, s[14:15], v[41:42]
	s_or_not1_b32 s24, vcc_lo, exec_lo
.LBB1723_56:
	s_or_b32 exec_lo, exec_lo, s25
.LBB1723_57:
	v_mul_lo_u32 v39, v24, s14
	v_mul_lo_u32 v40, v23, s15
	v_mad_u64_u32 v[37:38], null, v23, s14, 0
	s_and_not1_b32 vcc_lo, exec_lo, s13
	s_delay_alu instid0(VALU_DEP_1) | instskip(NEXT) | instid1(VALU_DEP_1)
	v_add3_u32 v38, v38, v40, v39
	v_lshlrev_b64 v[37:38], 3, v[37:38]
	s_cbranch_vccnz .LBB1723_66
; %bb.58:
	s_delay_alu instid0(VALU_DEP_1) | instskip(NEXT) | instid1(VALU_DEP_2)
	v_add_co_u32 v39, vcc_lo, s20, v37
	v_add_co_ci_u32_e32 v40, vcc_lo, s21, v38, vcc_lo
	v_add_co_u32 v35, vcc_lo, s20, v35
	v_add_co_ci_u32_e32 v36, vcc_lo, s21, v36, vcc_lo
	s_mov_b32 s1, -1
	s_clause 0x1
	global_load_b64 v[41:42], v[39:40], off
	global_load_b64 v[44:45], v[35:36], off
	s_mov_b32 s25, exec_lo
	s_waitcnt vmcnt(0)
	v_cmpx_eq_u64_e64 v[41:42], v[44:45]
	s_cbranch_execz .LBB1723_65
; %bb.59:
	v_add_co_u32 v35, vcc_lo, v35, 8
	v_add_co_ci_u32_e32 v36, vcc_lo, 0, v36, vcc_lo
	v_add_co_u32 v39, vcc_lo, v39, 8
	v_add_co_ci_u32_e32 v40, vcc_lo, 0, v40, vcc_lo
	s_add_u32 s4, s14, -1
	s_addc_u32 s5, s15, -1
	s_mov_b64 s[6:7], 0
	s_mov_b32 s1, 0
                                        ; implicit-def: $sgpr26
	s_set_inst_prefetch_distance 0x1
	s_branch .LBB1723_62
	.p2align	6
.LBB1723_60:                            ;   in Loop: Header=BB1723_62 Depth=1
	global_load_b64 v[41:42], v[39:40], off
	global_load_b64 v[44:45], v[35:36], off
	v_add_co_u32 v35, vcc_lo, v35, 8
	v_add_co_ci_u32_e32 v36, vcc_lo, 0, v36, vcc_lo
	v_add_co_u32 v39, s0, v39, 8
	s_delay_alu instid0(VALU_DEP_1)
	v_add_co_ci_u32_e64 v40, s0, 0, v40, s0
	s_add_u32 s6, s6, 1
	s_addc_u32 s7, s7, 0
	s_and_not1_b32 s0, s26, exec_lo
	s_waitcnt vmcnt(0)
	v_cmp_ne_u64_e32 vcc_lo, v[41:42], v[44:45]
	s_and_b32 s26, vcc_lo, exec_lo
	s_delay_alu instid0(SALU_CYCLE_1)
	s_or_b32 s26, s0, s26
.LBB1723_61:                            ;   in Loop: Header=BB1723_62 Depth=1
	v_dual_mov_b32 v42, s7 :: v_dual_mov_b32 v41, s6
	s_and_b32 s0, exec_lo, s26
	s_delay_alu instid0(SALU_CYCLE_1) | instskip(NEXT) | instid1(SALU_CYCLE_1)
	s_or_b32 s1, s0, s1
	s_and_not1_b32 exec_lo, exec_lo, s1
	s_cbranch_execz .LBB1723_64
.LBB1723_62:                            ; =>This Inner Loop Header: Depth=1
	s_or_b32 s26, s26, exec_lo
	s_cmp_eq_u64 s[4:5], s[6:7]
	s_cbranch_scc0 .LBB1723_60
; %bb.63:                               ;   in Loop: Header=BB1723_62 Depth=1
	s_mov_b64 s[6:7], s[14:15]
                                        ; implicit-def: $vgpr35_vgpr36
                                        ; implicit-def: $vgpr39_vgpr40
	s_branch .LBB1723_61
.LBB1723_64:
	s_set_inst_prefetch_distance 0x2
	s_or_b32 exec_lo, exec_lo, s1
	v_cmp_gt_i64_e32 vcc_lo, s[14:15], v[41:42]
	s_or_not1_b32 s1, vcc_lo, exec_lo
.LBB1723_65:
	s_or_b32 exec_lo, exec_lo, s25
.LBB1723_66:
	v_mul_lo_u32 v39, v22, s14
	v_mul_lo_u32 v40, v21, s15
	v_mad_u64_u32 v[35:36], null, v21, s14, 0
	s_mov_b32 s25, 0
	s_and_not1_b32 vcc_lo, exec_lo, s13
	s_mov_b32 s26, 0
	s_delay_alu instid0(VALU_DEP_1) | instskip(NEXT) | instid1(VALU_DEP_1)
	v_add3_u32 v36, v36, v40, v39
	v_lshlrev_b64 v[39:40], 3, v[35:36]
	s_cbranch_vccnz .LBB1723_75
; %bb.67:
	s_delay_alu instid0(VALU_DEP_1) | instskip(NEXT) | instid1(VALU_DEP_2)
	v_add_co_u32 v41, vcc_lo, s20, v39
	v_add_co_ci_u32_e32 v42, vcc_lo, s21, v40, vcc_lo
	v_add_co_u32 v35, vcc_lo, s20, v37
	v_add_co_ci_u32_e32 v36, vcc_lo, s21, v38, vcc_lo
	s_mov_b32 s26, -1
	s_clause 0x1
	global_load_b64 v[37:38], v[41:42], off
	global_load_b64 v[44:45], v[35:36], off
	s_mov_b32 s27, exec_lo
	s_waitcnt vmcnt(0)
	v_cmpx_eq_u64_e64 v[37:38], v[44:45]
	s_cbranch_execz .LBB1723_74
; %bb.68:
	v_add_co_u32 v35, vcc_lo, v35, 8
	v_add_co_ci_u32_e32 v36, vcc_lo, 0, v36, vcc_lo
	v_add_co_u32 v37, vcc_lo, v41, 8
	v_add_co_ci_u32_e32 v38, vcc_lo, 0, v42, vcc_lo
	s_add_u32 s4, s14, -1
	s_addc_u32 s5, s15, -1
	s_mov_b64 s[6:7], 0
	s_mov_b32 s26, 0
                                        ; implicit-def: $sgpr34
	s_set_inst_prefetch_distance 0x1
	s_branch .LBB1723_71
	.p2align	6
.LBB1723_69:                            ;   in Loop: Header=BB1723_71 Depth=1
	global_load_b64 v[41:42], v[37:38], off
	global_load_b64 v[44:45], v[35:36], off
	v_add_co_u32 v35, vcc_lo, v35, 8
	v_add_co_ci_u32_e32 v36, vcc_lo, 0, v36, vcc_lo
	v_add_co_u32 v37, s0, v37, 8
	s_delay_alu instid0(VALU_DEP_1)
	v_add_co_ci_u32_e64 v38, s0, 0, v38, s0
	s_add_u32 s6, s6, 1
	s_addc_u32 s7, s7, 0
	s_and_not1_b32 s0, s34, exec_lo
	s_waitcnt vmcnt(0)
	v_cmp_ne_u64_e32 vcc_lo, v[41:42], v[44:45]
	s_and_b32 s34, vcc_lo, exec_lo
	s_delay_alu instid0(SALU_CYCLE_1)
	s_or_b32 s34, s0, s34
.LBB1723_70:                            ;   in Loop: Header=BB1723_71 Depth=1
	v_dual_mov_b32 v42, s7 :: v_dual_mov_b32 v41, s6
	s_and_b32 s0, exec_lo, s34
	s_delay_alu instid0(SALU_CYCLE_1) | instskip(NEXT) | instid1(SALU_CYCLE_1)
	s_or_b32 s26, s0, s26
	s_and_not1_b32 exec_lo, exec_lo, s26
	s_cbranch_execz .LBB1723_73
.LBB1723_71:                            ; =>This Inner Loop Header: Depth=1
	s_or_b32 s34, s34, exec_lo
	s_cmp_eq_u64 s[4:5], s[6:7]
	s_cbranch_scc0 .LBB1723_69
; %bb.72:                               ;   in Loop: Header=BB1723_71 Depth=1
	s_mov_b64 s[6:7], s[14:15]
                                        ; implicit-def: $vgpr35_vgpr36
                                        ; implicit-def: $vgpr37_vgpr38
	s_branch .LBB1723_70
.LBB1723_73:
	s_set_inst_prefetch_distance 0x2
	s_or_b32 exec_lo, exec_lo, s26
	v_cmp_gt_i64_e32 vcc_lo, s[14:15], v[41:42]
	s_or_not1_b32 s26, vcc_lo, exec_lo
.LBB1723_74:
	s_or_b32 exec_lo, exec_lo, s27
.LBB1723_75:
	v_mul_lo_u32 v37, v28, s14
	v_mul_lo_u32 v38, v27, s15
	v_mad_u64_u32 v[35:36], null, v27, s14, 0
	s_and_not1_b32 vcc_lo, exec_lo, s13
	s_delay_alu instid0(VALU_DEP_1) | instskip(NEXT) | instid1(VALU_DEP_1)
	v_add3_u32 v36, v36, v38, v37
	v_lshlrev_b64 v[35:36], 3, v[35:36]
	s_cbranch_vccnz .LBB1723_84
; %bb.76:
	s_delay_alu instid0(VALU_DEP_1) | instskip(NEXT) | instid1(VALU_DEP_2)
	v_add_co_u32 v41, vcc_lo, s20, v35
	v_add_co_ci_u32_e32 v42, vcc_lo, s21, v36, vcc_lo
	v_add_co_u32 v37, vcc_lo, s20, v39
	v_add_co_ci_u32_e32 v38, vcc_lo, s21, v40, vcc_lo
	s_mov_b32 s25, -1
	s_clause 0x1
	global_load_b64 v[39:40], v[41:42], off
	global_load_b64 v[44:45], v[37:38], off
	s_mov_b32 s27, exec_lo
	s_waitcnt vmcnt(0)
	v_cmpx_eq_u64_e64 v[39:40], v[44:45]
	s_cbranch_execz .LBB1723_83
; %bb.77:
	v_add_co_u32 v37, vcc_lo, v37, 8
	v_add_co_ci_u32_e32 v38, vcc_lo, 0, v38, vcc_lo
	v_add_co_u32 v39, vcc_lo, v41, 8
	v_add_co_ci_u32_e32 v40, vcc_lo, 0, v42, vcc_lo
	s_add_u32 s4, s14, -1
	s_addc_u32 s5, s15, -1
	s_mov_b64 s[6:7], 0
	s_mov_b32 s25, 0
                                        ; implicit-def: $sgpr34
	s_set_inst_prefetch_distance 0x1
	s_branch .LBB1723_80
	.p2align	6
.LBB1723_78:                            ;   in Loop: Header=BB1723_80 Depth=1
	global_load_b64 v[41:42], v[39:40], off
	global_load_b64 v[44:45], v[37:38], off
	v_add_co_u32 v37, vcc_lo, v37, 8
	v_add_co_ci_u32_e32 v38, vcc_lo, 0, v38, vcc_lo
	v_add_co_u32 v39, s0, v39, 8
	s_delay_alu instid0(VALU_DEP_1)
	v_add_co_ci_u32_e64 v40, s0, 0, v40, s0
	s_add_u32 s6, s6, 1
	s_addc_u32 s7, s7, 0
	s_and_not1_b32 s0, s34, exec_lo
	s_waitcnt vmcnt(0)
	v_cmp_ne_u64_e32 vcc_lo, v[41:42], v[44:45]
	s_and_b32 s34, vcc_lo, exec_lo
	s_delay_alu instid0(SALU_CYCLE_1)
	s_or_b32 s34, s0, s34
.LBB1723_79:                            ;   in Loop: Header=BB1723_80 Depth=1
	v_dual_mov_b32 v42, s7 :: v_dual_mov_b32 v41, s6
	s_and_b32 s0, exec_lo, s34
	s_delay_alu instid0(SALU_CYCLE_1) | instskip(NEXT) | instid1(SALU_CYCLE_1)
	s_or_b32 s25, s0, s25
	s_and_not1_b32 exec_lo, exec_lo, s25
	s_cbranch_execz .LBB1723_82
.LBB1723_80:                            ; =>This Inner Loop Header: Depth=1
	s_or_b32 s34, s34, exec_lo
	s_cmp_eq_u64 s[4:5], s[6:7]
	s_cbranch_scc0 .LBB1723_78
; %bb.81:                               ;   in Loop: Header=BB1723_80 Depth=1
	s_mov_b64 s[6:7], s[14:15]
                                        ; implicit-def: $vgpr37_vgpr38
                                        ; implicit-def: $vgpr39_vgpr40
	s_branch .LBB1723_79
.LBB1723_82:
	s_set_inst_prefetch_distance 0x2
	s_or_b32 exec_lo, exec_lo, s25
	v_cmp_gt_i64_e32 vcc_lo, s[14:15], v[41:42]
	s_or_not1_b32 s25, vcc_lo, exec_lo
.LBB1723_83:
	s_or_b32 exec_lo, exec_lo, s27
.LBB1723_84:
	v_mul_lo_u32 v39, v26, s14
	v_mul_lo_u32 v40, v25, s15
	v_mad_u64_u32 v[37:38], null, v25, s14, 0
	s_mov_b32 s27, 0
	s_and_not1_b32 vcc_lo, exec_lo, s13
	s_mov_b32 s34, 0
	s_delay_alu instid0(VALU_DEP_1) | instskip(NEXT) | instid1(VALU_DEP_1)
	v_add3_u32 v38, v38, v40, v39
	v_lshlrev_b64 v[39:40], 3, v[37:38]
	s_cbranch_vccnz .LBB1723_93
; %bb.85:
	s_delay_alu instid0(VALU_DEP_1) | instskip(NEXT) | instid1(VALU_DEP_2)
	v_add_co_u32 v37, vcc_lo, s20, v39
	v_add_co_ci_u32_e32 v38, vcc_lo, s21, v40, vcc_lo
	v_add_co_u32 v35, vcc_lo, s20, v35
	v_add_co_ci_u32_e32 v36, vcc_lo, s21, v36, vcc_lo
	s_mov_b32 s34, -1
	s_clause 0x1
	global_load_b64 v[41:42], v[37:38], off
	global_load_b64 v[44:45], v[35:36], off
	s_mov_b32 s35, exec_lo
	s_waitcnt vmcnt(0)
	v_cmpx_eq_u64_e64 v[41:42], v[44:45]
	s_cbranch_execz .LBB1723_92
; %bb.86:
	v_add_co_u32 v35, vcc_lo, v35, 8
	v_add_co_ci_u32_e32 v36, vcc_lo, 0, v36, vcc_lo
	v_add_co_u32 v37, vcc_lo, v37, 8
	v_add_co_ci_u32_e32 v38, vcc_lo, 0, v38, vcc_lo
	s_add_u32 s4, s14, -1
	s_addc_u32 s5, s15, -1
	s_mov_b64 s[6:7], 0
	s_mov_b32 s34, 0
                                        ; implicit-def: $sgpr36
	s_set_inst_prefetch_distance 0x1
	s_branch .LBB1723_89
	.p2align	6
.LBB1723_87:                            ;   in Loop: Header=BB1723_89 Depth=1
	global_load_b64 v[41:42], v[37:38], off
	global_load_b64 v[44:45], v[35:36], off
	v_add_co_u32 v35, vcc_lo, v35, 8
	v_add_co_ci_u32_e32 v36, vcc_lo, 0, v36, vcc_lo
	v_add_co_u32 v37, s0, v37, 8
	s_delay_alu instid0(VALU_DEP_1)
	v_add_co_ci_u32_e64 v38, s0, 0, v38, s0
	s_add_u32 s6, s6, 1
	s_addc_u32 s7, s7, 0
	s_and_not1_b32 s0, s36, exec_lo
	s_waitcnt vmcnt(0)
	v_cmp_ne_u64_e32 vcc_lo, v[41:42], v[44:45]
	s_and_b32 s36, vcc_lo, exec_lo
	s_delay_alu instid0(SALU_CYCLE_1)
	s_or_b32 s36, s0, s36
.LBB1723_88:                            ;   in Loop: Header=BB1723_89 Depth=1
	v_dual_mov_b32 v42, s7 :: v_dual_mov_b32 v41, s6
	s_and_b32 s0, exec_lo, s36
	s_delay_alu instid0(SALU_CYCLE_1) | instskip(NEXT) | instid1(SALU_CYCLE_1)
	s_or_b32 s34, s0, s34
	s_and_not1_b32 exec_lo, exec_lo, s34
	s_cbranch_execz .LBB1723_91
.LBB1723_89:                            ; =>This Inner Loop Header: Depth=1
	s_or_b32 s36, s36, exec_lo
	s_cmp_eq_u64 s[4:5], s[6:7]
	s_cbranch_scc0 .LBB1723_87
; %bb.90:                               ;   in Loop: Header=BB1723_89 Depth=1
	s_mov_b64 s[6:7], s[14:15]
                                        ; implicit-def: $vgpr35_vgpr36
                                        ; implicit-def: $vgpr37_vgpr38
	s_branch .LBB1723_88
.LBB1723_91:
	s_set_inst_prefetch_distance 0x2
	s_or_b32 exec_lo, exec_lo, s34
	v_cmp_gt_i64_e32 vcc_lo, s[14:15], v[41:42]
	s_or_not1_b32 s34, vcc_lo, exec_lo
.LBB1723_92:
	s_or_b32 exec_lo, exec_lo, s35
.LBB1723_93:
	v_mul_lo_u32 v37, v32, s14
	v_mul_lo_u32 v38, v31, s15
	v_mad_u64_u32 v[35:36], null, v31, s14, 0
	s_and_not1_b32 vcc_lo, exec_lo, s13
	s_delay_alu instid0(VALU_DEP_1) | instskip(NEXT) | instid1(VALU_DEP_1)
	v_add3_u32 v36, v36, v38, v37
	v_lshlrev_b64 v[37:38], 3, v[35:36]
	s_cbranch_vccnz .LBB1723_102
; %bb.94:
	s_delay_alu instid0(VALU_DEP_1) | instskip(NEXT) | instid1(VALU_DEP_2)
	v_add_co_u32 v41, vcc_lo, s20, v37
	v_add_co_ci_u32_e32 v42, vcc_lo, s21, v38, vcc_lo
	v_add_co_u32 v35, vcc_lo, s20, v39
	v_add_co_ci_u32_e32 v36, vcc_lo, s21, v40, vcc_lo
	s_mov_b32 s27, -1
	s_clause 0x1
	global_load_b64 v[39:40], v[41:42], off
	global_load_b64 v[44:45], v[35:36], off
	s_mov_b32 s35, exec_lo
	s_waitcnt vmcnt(0)
	v_cmpx_eq_u64_e64 v[39:40], v[44:45]
	s_cbranch_execz .LBB1723_101
; %bb.95:
	v_add_co_u32 v35, vcc_lo, v35, 8
	v_add_co_ci_u32_e32 v36, vcc_lo, 0, v36, vcc_lo
	v_add_co_u32 v39, vcc_lo, v41, 8
	v_add_co_ci_u32_e32 v40, vcc_lo, 0, v42, vcc_lo
	s_add_u32 s4, s14, -1
	s_addc_u32 s5, s15, -1
	s_mov_b64 s[6:7], 0
	s_mov_b32 s27, 0
                                        ; implicit-def: $sgpr36
	s_set_inst_prefetch_distance 0x1
	s_branch .LBB1723_98
	.p2align	6
.LBB1723_96:                            ;   in Loop: Header=BB1723_98 Depth=1
	global_load_b64 v[41:42], v[39:40], off
	global_load_b64 v[44:45], v[35:36], off
	v_add_co_u32 v35, vcc_lo, v35, 8
	v_add_co_ci_u32_e32 v36, vcc_lo, 0, v36, vcc_lo
	v_add_co_u32 v39, s0, v39, 8
	s_delay_alu instid0(VALU_DEP_1)
	v_add_co_ci_u32_e64 v40, s0, 0, v40, s0
	s_add_u32 s6, s6, 1
	s_addc_u32 s7, s7, 0
	s_and_not1_b32 s0, s36, exec_lo
	s_waitcnt vmcnt(0)
	v_cmp_ne_u64_e32 vcc_lo, v[41:42], v[44:45]
	s_and_b32 s36, vcc_lo, exec_lo
	s_delay_alu instid0(SALU_CYCLE_1)
	s_or_b32 s36, s0, s36
.LBB1723_97:                            ;   in Loop: Header=BB1723_98 Depth=1
	v_dual_mov_b32 v42, s7 :: v_dual_mov_b32 v41, s6
	s_and_b32 s0, exec_lo, s36
	s_delay_alu instid0(SALU_CYCLE_1) | instskip(NEXT) | instid1(SALU_CYCLE_1)
	s_or_b32 s27, s0, s27
	s_and_not1_b32 exec_lo, exec_lo, s27
	s_cbranch_execz .LBB1723_100
.LBB1723_98:                            ; =>This Inner Loop Header: Depth=1
	s_or_b32 s36, s36, exec_lo
	s_cmp_eq_u64 s[4:5], s[6:7]
	s_cbranch_scc0 .LBB1723_96
; %bb.99:                               ;   in Loop: Header=BB1723_98 Depth=1
	s_mov_b64 s[6:7], s[14:15]
                                        ; implicit-def: $vgpr35_vgpr36
                                        ; implicit-def: $vgpr39_vgpr40
	s_branch .LBB1723_97
.LBB1723_100:
	s_set_inst_prefetch_distance 0x2
	s_or_b32 exec_lo, exec_lo, s27
	v_cmp_gt_i64_e32 vcc_lo, s[14:15], v[41:42]
	s_or_not1_b32 s27, vcc_lo, exec_lo
.LBB1723_101:
	s_or_b32 exec_lo, exec_lo, s35
.LBB1723_102:
	v_mul_lo_u32 v39, v30, s14
	v_mul_lo_u32 v40, v29, s15
	v_mad_u64_u32 v[35:36], null, v29, s14, 0
	s_and_not1_b32 vcc_lo, exec_lo, s13
	s_mov_b32 s0, 0
	s_delay_alu instid0(VALU_DEP_1) | instskip(NEXT) | instid1(VALU_DEP_1)
	v_add3_u32 v36, v36, v40, v39
	v_lshlrev_b64 v[35:36], 3, v[35:36]
	s_cbranch_vccnz .LBB1723_111
; %bb.103:
	s_delay_alu instid0(VALU_DEP_1) | instskip(NEXT) | instid1(VALU_DEP_2)
	v_add_co_u32 v39, vcc_lo, s20, v35
	v_add_co_ci_u32_e32 v40, vcc_lo, s21, v36, vcc_lo
	v_add_co_u32 v37, vcc_lo, s20, v37
	v_add_co_ci_u32_e32 v38, vcc_lo, s21, v38, vcc_lo
	s_mov_b32 s0, -1
	s_clause 0x1
	global_load_b64 v[41:42], v[39:40], off
	global_load_b64 v[44:45], v[37:38], off
	s_mov_b32 s35, exec_lo
	s_waitcnt vmcnt(0)
	v_cmpx_eq_u64_e64 v[41:42], v[44:45]
	s_cbranch_execz .LBB1723_110
; %bb.104:
	v_add_co_u32 v37, vcc_lo, v37, 8
	v_add_co_ci_u32_e32 v38, vcc_lo, 0, v38, vcc_lo
	v_add_co_u32 v39, vcc_lo, v39, 8
	v_add_co_ci_u32_e32 v40, vcc_lo, 0, v40, vcc_lo
	s_add_u32 s4, s14, -1
	s_addc_u32 s5, s15, -1
	s_mov_b64 s[6:7], 0
	s_mov_b32 s36, 0
                                        ; implicit-def: $sgpr37
	s_set_inst_prefetch_distance 0x1
	s_branch .LBB1723_107
	.p2align	6
.LBB1723_105:                           ;   in Loop: Header=BB1723_107 Depth=1
	global_load_b64 v[41:42], v[39:40], off
	global_load_b64 v[44:45], v[37:38], off
	v_add_co_u32 v37, vcc_lo, v37, 8
	v_add_co_ci_u32_e32 v38, vcc_lo, 0, v38, vcc_lo
	v_add_co_u32 v39, s0, v39, 8
	s_delay_alu instid0(VALU_DEP_1)
	v_add_co_ci_u32_e64 v40, s0, 0, v40, s0
	s_add_u32 s6, s6, 1
	s_addc_u32 s7, s7, 0
	s_and_not1_b32 s0, s37, exec_lo
	s_waitcnt vmcnt(0)
	v_cmp_ne_u64_e32 vcc_lo, v[41:42], v[44:45]
	s_and_b32 s37, vcc_lo, exec_lo
	s_delay_alu instid0(SALU_CYCLE_1)
	s_or_b32 s37, s0, s37
.LBB1723_106:                           ;   in Loop: Header=BB1723_107 Depth=1
	v_dual_mov_b32 v42, s7 :: v_dual_mov_b32 v41, s6
	s_and_b32 s0, exec_lo, s37
	s_delay_alu instid0(SALU_CYCLE_1) | instskip(NEXT) | instid1(SALU_CYCLE_1)
	s_or_b32 s36, s0, s36
	s_and_not1_b32 exec_lo, exec_lo, s36
	s_cbranch_execz .LBB1723_109
.LBB1723_107:                           ; =>This Inner Loop Header: Depth=1
	s_or_b32 s37, s37, exec_lo
	s_cmp_eq_u64 s[4:5], s[6:7]
	s_cbranch_scc0 .LBB1723_105
; %bb.108:                              ;   in Loop: Header=BB1723_107 Depth=1
	s_mov_b64 s[6:7], s[14:15]
                                        ; implicit-def: $vgpr37_vgpr38
                                        ; implicit-def: $vgpr39_vgpr40
	s_branch .LBB1723_106
.LBB1723_109:
	s_set_inst_prefetch_distance 0x2
	s_or_b32 exec_lo, exec_lo, s36
	v_cmp_gt_i64_e32 vcc_lo, s[14:15], v[41:42]
	s_or_not1_b32 s0, vcc_lo, exec_lo
.LBB1723_110:
	s_or_b32 exec_lo, exec_lo, s35
.LBB1723_111:
	s_waitcnt vmcnt(0)
	v_dual_mov_b32 v38, v34 :: v_dual_mov_b32 v37, v33
	s_waitcnt lgkmcnt(0)
	s_barrier
	buffer_gl0_inv
	s_and_saveexec_b32 s4, s3
	s_cbranch_execz .LBB1723_113
; %bb.112:
	v_add_nc_u32_e32 v37, -8, v55
	ds_load_b64 v[37:38], v37
.LBB1723_113:
	s_or_b32 exec_lo, exec_lo, s4
	v_cndmask_b32_e64 v40, 0, 1, s34
	v_cndmask_b32_e64 v42, 0, 1, s26
	;; [unrolled: 1-line block ×7, first 2 shown]
	v_lshlrev_b16 v40, 8, v40
	v_lshlrev_b16 v42, 8, v42
	;; [unrolled: 1-line block ×4, first 2 shown]
	s_mov_b32 s1, 0
	v_or_b32_e32 v39, v39, v40
	v_or_b32_e32 v40, v41, v42
	;; [unrolled: 1-line block ×3, first 2 shown]
	v_and_b32_e32 v41, 0xffff, v45
	s_and_not1_b32 vcc_lo, exec_lo, s13
	v_lshlrev_b32_e32 v42, 16, v39
	v_and_b32_e32 v44, 0xffff, v40
	v_lshlrev_b32_e32 v45, 16, v46
	s_mov_b32 s0, 0
	s_cbranch_vccnz .LBB1723_122
; %bb.114:
	s_waitcnt lgkmcnt(0)
	v_mul_lo_u32 v40, v38, s14
	v_mul_lo_u32 v46, v37, s15
	v_mad_u64_u32 v[38:39], null, v37, s14, 0
	s_mov_b32 s0, -1
	s_mov_b32 s24, exec_lo
	s_delay_alu instid0(VALU_DEP_1) | instskip(NEXT) | instid1(VALU_DEP_1)
	v_add3_u32 v39, v39, v46, v40
	v_lshlrev_b64 v[37:38], 3, v[38:39]
	s_delay_alu instid0(VALU_DEP_1) | instskip(NEXT) | instid1(VALU_DEP_2)
	v_add_co_u32 v37, vcc_lo, s20, v37
	v_add_co_ci_u32_e32 v38, vcc_lo, s21, v38, vcc_lo
	v_add_co_u32 v35, vcc_lo, s20, v35
	v_add_co_ci_u32_e32 v36, vcc_lo, s21, v36, vcc_lo
	s_clause 0x1
	global_load_b64 v[39:40], v[37:38], off
	global_load_b64 v[46:47], v[35:36], off
	s_waitcnt vmcnt(0)
	v_cmpx_eq_u64_e64 v[39:40], v[46:47]
	s_cbranch_execz .LBB1723_121
; %bb.115:
	v_add_co_u32 v35, vcc_lo, v35, 8
	v_add_co_ci_u32_e32 v36, vcc_lo, 0, v36, vcc_lo
	v_add_co_u32 v37, vcc_lo, v37, 8
	v_add_co_ci_u32_e32 v38, vcc_lo, 0, v38, vcc_lo
	s_add_u32 s4, s14, -1
	s_addc_u32 s5, s15, -1
	s_mov_b64 s[6:7], 0
	s_mov_b32 s25, 0
                                        ; implicit-def: $sgpr26
	s_set_inst_prefetch_distance 0x1
	s_branch .LBB1723_118
	.p2align	6
.LBB1723_116:                           ;   in Loop: Header=BB1723_118 Depth=1
	global_load_b64 v[39:40], v[37:38], off
	global_load_b64 v[46:47], v[35:36], off
	v_add_co_u32 v35, vcc_lo, v35, 8
	v_add_co_ci_u32_e32 v36, vcc_lo, 0, v36, vcc_lo
	v_add_co_u32 v37, s0, v37, 8
	s_delay_alu instid0(VALU_DEP_1)
	v_add_co_ci_u32_e64 v38, s0, 0, v38, s0
	s_add_u32 s6, s6, 1
	s_addc_u32 s7, s7, 0
	s_and_not1_b32 s0, s26, exec_lo
	s_waitcnt vmcnt(0)
	v_cmp_ne_u64_e32 vcc_lo, v[39:40], v[46:47]
	s_and_b32 s26, vcc_lo, exec_lo
	s_delay_alu instid0(SALU_CYCLE_1)
	s_or_b32 s26, s0, s26
.LBB1723_117:                           ;   in Loop: Header=BB1723_118 Depth=1
	v_dual_mov_b32 v40, s7 :: v_dual_mov_b32 v39, s6
	s_and_b32 s0, exec_lo, s26
	s_delay_alu instid0(SALU_CYCLE_1) | instskip(NEXT) | instid1(SALU_CYCLE_1)
	s_or_b32 s25, s0, s25
	s_and_not1_b32 exec_lo, exec_lo, s25
	s_cbranch_execz .LBB1723_120
.LBB1723_118:                           ; =>This Inner Loop Header: Depth=1
	s_or_b32 s26, s26, exec_lo
	s_cmp_eq_u64 s[4:5], s[6:7]
	s_cbranch_scc0 .LBB1723_116
; %bb.119:                              ;   in Loop: Header=BB1723_118 Depth=1
	s_mov_b64 s[6:7], s[14:15]
                                        ; implicit-def: $vgpr35_vgpr36
                                        ; implicit-def: $vgpr37_vgpr38
	s_branch .LBB1723_117
.LBB1723_120:
	s_set_inst_prefetch_distance 0x2
	s_or_b32 exec_lo, exec_lo, s25
	v_cmp_gt_i64_e32 vcc_lo, s[14:15], v[39:40]
	s_or_not1_b32 s0, vcc_lo, exec_lo
.LBB1723_121:
	s_or_b32 exec_lo, exec_lo, s24
.LBB1723_122:
	v_or_b32_e32 v35, v41, v42
	s_delay_alu instid0(VALU_DEP_2)
	v_or_b32_e32 v36, v44, v45
	s_and_b32 vcc_lo, exec_lo, s1
	s_cbranch_vccz .LBB1723_214
.LBB1723_123:
	v_or_b32_e32 v35, 7, v55
	s_mov_b32 s1, 0
	s_mov_b32 s24, 0
	s_mov_b32 s25, exec_lo
	s_delay_alu instid0(VALU_DEP_1)
	v_cmpx_gt_u32_e64 s31, v35
	s_cbranch_execz .LBB1723_134
; %bb.124:
	s_and_not1_b32 vcc_lo, exec_lo, s13
	s_mov_b32 s0, 0
	s_cbranch_vccnz .LBB1723_133
; %bb.125:
	v_mul_lo_u32 v39, v18, s14
	v_mul_lo_u32 v40, v17, s15
	v_mad_u64_u32 v[35:36], null, v17, s14, 0
	v_mul_lo_u32 v41, v20, s14
	v_mul_lo_u32 v42, v19, s15
	s_waitcnt lgkmcnt(0)
	v_mad_u64_u32 v[37:38], null, v19, s14, 0
	s_mov_b32 s0, -1
	s_mov_b32 s13, exec_lo
	s_delay_alu instid0(VALU_DEP_4) | instskip(NEXT) | instid1(VALU_DEP_2)
	v_add3_u32 v36, v36, v40, v39
	v_add3_u32 v38, v38, v42, v41
	s_delay_alu instid0(VALU_DEP_2) | instskip(NEXT) | instid1(VALU_DEP_2)
	v_lshlrev_b64 v[35:36], 3, v[35:36]
	v_lshlrev_b64 v[39:40], 3, v[37:38]
	s_delay_alu instid0(VALU_DEP_2) | instskip(NEXT) | instid1(VALU_DEP_3)
	v_add_co_u32 v37, vcc_lo, s20, v35
	v_add_co_ci_u32_e32 v38, vcc_lo, s21, v36, vcc_lo
	s_delay_alu instid0(VALU_DEP_3) | instskip(NEXT) | instid1(VALU_DEP_4)
	v_add_co_u32 v35, vcc_lo, s20, v39
	v_add_co_ci_u32_e32 v36, vcc_lo, s21, v40, vcc_lo
	s_clause 0x1
	global_load_b64 v[39:40], v[37:38], off
	global_load_b64 v[41:42], v[35:36], off
	s_waitcnt vmcnt(0)
	v_cmpx_eq_u64_e64 v[39:40], v[41:42]
	s_cbranch_execz .LBB1723_132
; %bb.126:
	v_add_co_u32 v35, vcc_lo, v35, 8
	v_add_co_ci_u32_e32 v36, vcc_lo, 0, v36, vcc_lo
	v_add_co_u32 v37, vcc_lo, v37, 8
	v_add_co_ci_u32_e32 v38, vcc_lo, 0, v38, vcc_lo
	s_add_u32 s4, s14, -1
	s_addc_u32 s5, s15, -1
	s_mov_b64 s[6:7], 0
                                        ; implicit-def: $sgpr26
	s_set_inst_prefetch_distance 0x1
	s_branch .LBB1723_129
	.p2align	6
.LBB1723_127:                           ;   in Loop: Header=BB1723_129 Depth=1
	global_load_b64 v[39:40], v[37:38], off
	global_load_b64 v[41:42], v[35:36], off
	v_add_co_u32 v35, vcc_lo, v35, 8
	v_add_co_ci_u32_e32 v36, vcc_lo, 0, v36, vcc_lo
	v_add_co_u32 v37, s0, v37, 8
	s_delay_alu instid0(VALU_DEP_1)
	v_add_co_ci_u32_e64 v38, s0, 0, v38, s0
	s_add_u32 s6, s6, 1
	s_addc_u32 s7, s7, 0
	s_and_not1_b32 s0, s26, exec_lo
	s_waitcnt vmcnt(0)
	v_cmp_ne_u64_e32 vcc_lo, v[39:40], v[41:42]
	s_and_b32 s26, vcc_lo, exec_lo
	s_delay_alu instid0(SALU_CYCLE_1)
	s_or_b32 s26, s0, s26
.LBB1723_128:                           ;   in Loop: Header=BB1723_129 Depth=1
	v_dual_mov_b32 v40, s7 :: v_dual_mov_b32 v39, s6
	s_and_b32 s0, exec_lo, s26
	s_delay_alu instid0(SALU_CYCLE_1) | instskip(NEXT) | instid1(SALU_CYCLE_1)
	s_or_b32 s24, s0, s24
	s_and_not1_b32 exec_lo, exec_lo, s24
	s_cbranch_execz .LBB1723_131
.LBB1723_129:                           ; =>This Inner Loop Header: Depth=1
	s_or_b32 s26, s26, exec_lo
	s_cmp_eq_u64 s[4:5], s[6:7]
	s_cbranch_scc0 .LBB1723_127
; %bb.130:                              ;   in Loop: Header=BB1723_129 Depth=1
	s_mov_b64 s[6:7], s[14:15]
                                        ; implicit-def: $vgpr35_vgpr36
                                        ; implicit-def: $vgpr37_vgpr38
	s_branch .LBB1723_128
.LBB1723_131:
	s_set_inst_prefetch_distance 0x2
	s_or_b32 exec_lo, exec_lo, s24
	v_cmp_gt_i64_e32 vcc_lo, s[14:15], v[39:40]
	s_or_not1_b32 s0, vcc_lo, exec_lo
.LBB1723_132:
	s_or_b32 exec_lo, exec_lo, s13
.LBB1723_133:
	s_delay_alu instid0(SALU_CYCLE_1)
	s_and_b32 s24, s0, exec_lo
.LBB1723_134:
	s_or_b32 exec_lo, exec_lo, s25
	v_or_b32_e32 v35, 6, v55
	s_mov_b32 s13, exec_lo
	s_delay_alu instid0(VALU_DEP_1)
	v_cmpx_gt_u32_e64 s31, v35
	s_cbranch_execz .LBB1723_145
; %bb.135:
	v_cmp_ne_u32_e32 vcc_lo, 1, v43
	s_mov_b32 s0, 0
	s_cbranch_vccnz .LBB1723_144
; %bb.136:
	v_mul_lo_u32 v39, v24, s14
	v_mul_lo_u32 v40, v23, s15
	v_mad_u64_u32 v[35:36], null, v23, s14, 0
	v_mul_lo_u32 v41, v18, s14
	v_mul_lo_u32 v42, v17, s15
	s_waitcnt lgkmcnt(0)
	v_mad_u64_u32 v[37:38], null, v17, s14, 0
	s_mov_b32 s0, -1
	s_mov_b32 s1, exec_lo
	s_delay_alu instid0(VALU_DEP_4) | instskip(NEXT) | instid1(VALU_DEP_2)
	v_add3_u32 v36, v36, v40, v39
	v_add3_u32 v38, v38, v42, v41
	s_delay_alu instid0(VALU_DEP_2) | instskip(NEXT) | instid1(VALU_DEP_2)
	v_lshlrev_b64 v[35:36], 3, v[35:36]
	v_lshlrev_b64 v[39:40], 3, v[37:38]
	s_delay_alu instid0(VALU_DEP_2) | instskip(NEXT) | instid1(VALU_DEP_3)
	v_add_co_u32 v37, vcc_lo, s20, v35
	v_add_co_ci_u32_e32 v38, vcc_lo, s21, v36, vcc_lo
	s_delay_alu instid0(VALU_DEP_3) | instskip(NEXT) | instid1(VALU_DEP_4)
	v_add_co_u32 v35, vcc_lo, s20, v39
	v_add_co_ci_u32_e32 v36, vcc_lo, s21, v40, vcc_lo
	s_clause 0x1
	global_load_b64 v[39:40], v[37:38], off
	global_load_b64 v[41:42], v[35:36], off
	s_waitcnt vmcnt(0)
	v_cmpx_eq_u64_e64 v[39:40], v[41:42]
	s_cbranch_execz .LBB1723_143
; %bb.137:
	v_add_co_u32 v35, vcc_lo, v35, 8
	v_add_co_ci_u32_e32 v36, vcc_lo, 0, v36, vcc_lo
	v_add_co_u32 v37, vcc_lo, v37, 8
	v_add_co_ci_u32_e32 v38, vcc_lo, 0, v38, vcc_lo
	s_add_u32 s4, s14, -1
	s_addc_u32 s5, s15, -1
	s_mov_b64 s[6:7], 0
	s_mov_b32 s25, 0
                                        ; implicit-def: $sgpr26
	s_set_inst_prefetch_distance 0x1
	s_branch .LBB1723_140
	.p2align	6
.LBB1723_138:                           ;   in Loop: Header=BB1723_140 Depth=1
	global_load_b64 v[39:40], v[37:38], off
	global_load_b64 v[41:42], v[35:36], off
	v_add_co_u32 v35, vcc_lo, v35, 8
	v_add_co_ci_u32_e32 v36, vcc_lo, 0, v36, vcc_lo
	v_add_co_u32 v37, s0, v37, 8
	s_delay_alu instid0(VALU_DEP_1)
	v_add_co_ci_u32_e64 v38, s0, 0, v38, s0
	s_add_u32 s6, s6, 1
	s_addc_u32 s7, s7, 0
	s_and_not1_b32 s0, s26, exec_lo
	s_waitcnt vmcnt(0)
	v_cmp_ne_u64_e32 vcc_lo, v[39:40], v[41:42]
	s_and_b32 s26, vcc_lo, exec_lo
	s_delay_alu instid0(SALU_CYCLE_1)
	s_or_b32 s26, s0, s26
.LBB1723_139:                           ;   in Loop: Header=BB1723_140 Depth=1
	v_dual_mov_b32 v40, s7 :: v_dual_mov_b32 v39, s6
	s_and_b32 s0, exec_lo, s26
	s_delay_alu instid0(SALU_CYCLE_1) | instskip(NEXT) | instid1(SALU_CYCLE_1)
	s_or_b32 s25, s0, s25
	s_and_not1_b32 exec_lo, exec_lo, s25
	s_cbranch_execz .LBB1723_142
.LBB1723_140:                           ; =>This Inner Loop Header: Depth=1
	s_or_b32 s26, s26, exec_lo
	s_cmp_eq_u64 s[4:5], s[6:7]
	s_cbranch_scc0 .LBB1723_138
; %bb.141:                              ;   in Loop: Header=BB1723_140 Depth=1
	s_mov_b64 s[6:7], s[14:15]
                                        ; implicit-def: $vgpr35_vgpr36
                                        ; implicit-def: $vgpr37_vgpr38
	s_branch .LBB1723_139
.LBB1723_142:
	s_set_inst_prefetch_distance 0x2
	s_or_b32 exec_lo, exec_lo, s25
	v_cmp_gt_i64_e32 vcc_lo, s[14:15], v[39:40]
	s_or_not1_b32 s0, vcc_lo, exec_lo
.LBB1723_143:
	s_or_b32 exec_lo, exec_lo, s1
.LBB1723_144:
	s_delay_alu instid0(SALU_CYCLE_1)
	s_and_b32 s1, s0, exec_lo
.LBB1723_145:
	s_or_b32 exec_lo, exec_lo, s13
	v_or_b32_e32 v35, 5, v55
	s_mov_b32 s25, 0
	s_mov_b32 s13, 0
	s_mov_b32 s26, exec_lo
	s_delay_alu instid0(VALU_DEP_1)
	v_cmpx_gt_u32_e64 s31, v35
	s_cbranch_execz .LBB1723_156
; %bb.146:
	v_cmp_ne_u32_e32 vcc_lo, 1, v43
	s_mov_b32 s0, 0
	s_cbranch_vccnz .LBB1723_155
; %bb.147:
	v_mul_lo_u32 v39, v22, s14
	v_mul_lo_u32 v40, v21, s15
	v_mad_u64_u32 v[35:36], null, v21, s14, 0
	v_mul_lo_u32 v41, v24, s14
	v_mul_lo_u32 v42, v23, s15
	s_waitcnt lgkmcnt(0)
	v_mad_u64_u32 v[37:38], null, v23, s14, 0
	s_mov_b32 s0, -1
	s_mov_b32 s13, exec_lo
	s_delay_alu instid0(VALU_DEP_4) | instskip(NEXT) | instid1(VALU_DEP_2)
	v_add3_u32 v36, v36, v40, v39
	v_add3_u32 v38, v38, v42, v41
	s_delay_alu instid0(VALU_DEP_2) | instskip(NEXT) | instid1(VALU_DEP_2)
	v_lshlrev_b64 v[35:36], 3, v[35:36]
	v_lshlrev_b64 v[39:40], 3, v[37:38]
	s_delay_alu instid0(VALU_DEP_2) | instskip(NEXT) | instid1(VALU_DEP_3)
	v_add_co_u32 v37, vcc_lo, s20, v35
	v_add_co_ci_u32_e32 v38, vcc_lo, s21, v36, vcc_lo
	s_delay_alu instid0(VALU_DEP_3) | instskip(NEXT) | instid1(VALU_DEP_4)
	v_add_co_u32 v35, vcc_lo, s20, v39
	v_add_co_ci_u32_e32 v36, vcc_lo, s21, v40, vcc_lo
	s_clause 0x1
	global_load_b64 v[39:40], v[37:38], off
	global_load_b64 v[41:42], v[35:36], off
	s_waitcnt vmcnt(0)
	v_cmpx_eq_u64_e64 v[39:40], v[41:42]
	s_cbranch_execz .LBB1723_154
; %bb.148:
	v_add_co_u32 v35, vcc_lo, v35, 8
	v_add_co_ci_u32_e32 v36, vcc_lo, 0, v36, vcc_lo
	v_add_co_u32 v37, vcc_lo, v37, 8
	v_add_co_ci_u32_e32 v38, vcc_lo, 0, v38, vcc_lo
	s_add_u32 s4, s14, -1
	s_addc_u32 s5, s15, -1
	s_mov_b64 s[6:7], 0
	s_mov_b32 s27, 0
                                        ; implicit-def: $sgpr34
	s_set_inst_prefetch_distance 0x1
	s_branch .LBB1723_151
	.p2align	6
.LBB1723_149:                           ;   in Loop: Header=BB1723_151 Depth=1
	global_load_b64 v[39:40], v[37:38], off
	global_load_b64 v[41:42], v[35:36], off
	v_add_co_u32 v35, vcc_lo, v35, 8
	v_add_co_ci_u32_e32 v36, vcc_lo, 0, v36, vcc_lo
	v_add_co_u32 v37, s0, v37, 8
	s_delay_alu instid0(VALU_DEP_1)
	v_add_co_ci_u32_e64 v38, s0, 0, v38, s0
	s_add_u32 s6, s6, 1
	s_addc_u32 s7, s7, 0
	s_and_not1_b32 s0, s34, exec_lo
	s_waitcnt vmcnt(0)
	v_cmp_ne_u64_e32 vcc_lo, v[39:40], v[41:42]
	s_and_b32 s34, vcc_lo, exec_lo
	s_delay_alu instid0(SALU_CYCLE_1)
	s_or_b32 s34, s0, s34
.LBB1723_150:                           ;   in Loop: Header=BB1723_151 Depth=1
	v_dual_mov_b32 v40, s7 :: v_dual_mov_b32 v39, s6
	s_and_b32 s0, exec_lo, s34
	s_delay_alu instid0(SALU_CYCLE_1) | instskip(NEXT) | instid1(SALU_CYCLE_1)
	s_or_b32 s27, s0, s27
	s_and_not1_b32 exec_lo, exec_lo, s27
	s_cbranch_execz .LBB1723_153
.LBB1723_151:                           ; =>This Inner Loop Header: Depth=1
	s_or_b32 s34, s34, exec_lo
	s_cmp_eq_u64 s[4:5], s[6:7]
	s_cbranch_scc0 .LBB1723_149
; %bb.152:                              ;   in Loop: Header=BB1723_151 Depth=1
	s_mov_b64 s[6:7], s[14:15]
                                        ; implicit-def: $vgpr35_vgpr36
                                        ; implicit-def: $vgpr37_vgpr38
	s_branch .LBB1723_150
.LBB1723_153:
	s_set_inst_prefetch_distance 0x2
	s_or_b32 exec_lo, exec_lo, s27
	v_cmp_gt_i64_e32 vcc_lo, s[14:15], v[39:40]
	s_or_not1_b32 s0, vcc_lo, exec_lo
.LBB1723_154:
	s_or_b32 exec_lo, exec_lo, s13
.LBB1723_155:
	s_delay_alu instid0(SALU_CYCLE_1)
	s_and_b32 s13, s0, exec_lo
.LBB1723_156:
	s_or_b32 exec_lo, exec_lo, s26
	v_or_b32_e32 v35, 4, v55
	s_mov_b32 s26, exec_lo
	s_delay_alu instid0(VALU_DEP_1)
	v_cmpx_gt_u32_e64 s31, v35
	s_cbranch_execz .LBB1723_167
; %bb.157:
	v_cmp_ne_u32_e32 vcc_lo, 1, v43
	s_mov_b32 s0, 0
	s_cbranch_vccnz .LBB1723_166
; %bb.158:
	v_mul_lo_u32 v39, v28, s14
	v_mul_lo_u32 v40, v27, s15
	v_mad_u64_u32 v[35:36], null, v27, s14, 0
	v_mul_lo_u32 v41, v22, s14
	v_mul_lo_u32 v42, v21, s15
	s_waitcnt lgkmcnt(0)
	v_mad_u64_u32 v[37:38], null, v21, s14, 0
	s_mov_b32 s0, -1
	s_mov_b32 s25, exec_lo
	s_delay_alu instid0(VALU_DEP_4) | instskip(NEXT) | instid1(VALU_DEP_2)
	v_add3_u32 v36, v36, v40, v39
	v_add3_u32 v38, v38, v42, v41
	s_delay_alu instid0(VALU_DEP_2) | instskip(NEXT) | instid1(VALU_DEP_2)
	v_lshlrev_b64 v[35:36], 3, v[35:36]
	v_lshlrev_b64 v[39:40], 3, v[37:38]
	s_delay_alu instid0(VALU_DEP_2) | instskip(NEXT) | instid1(VALU_DEP_3)
	v_add_co_u32 v37, vcc_lo, s20, v35
	v_add_co_ci_u32_e32 v38, vcc_lo, s21, v36, vcc_lo
	s_delay_alu instid0(VALU_DEP_3) | instskip(NEXT) | instid1(VALU_DEP_4)
	v_add_co_u32 v35, vcc_lo, s20, v39
	v_add_co_ci_u32_e32 v36, vcc_lo, s21, v40, vcc_lo
	s_clause 0x1
	global_load_b64 v[39:40], v[37:38], off
	global_load_b64 v[41:42], v[35:36], off
	s_waitcnt vmcnt(0)
	v_cmpx_eq_u64_e64 v[39:40], v[41:42]
	s_cbranch_execz .LBB1723_165
; %bb.159:
	v_add_co_u32 v35, vcc_lo, v35, 8
	v_add_co_ci_u32_e32 v36, vcc_lo, 0, v36, vcc_lo
	v_add_co_u32 v37, vcc_lo, v37, 8
	v_add_co_ci_u32_e32 v38, vcc_lo, 0, v38, vcc_lo
	s_add_u32 s4, s14, -1
	s_addc_u32 s5, s15, -1
	s_mov_b64 s[6:7], 0
	s_mov_b32 s27, 0
                                        ; implicit-def: $sgpr34
	s_set_inst_prefetch_distance 0x1
	s_branch .LBB1723_162
	.p2align	6
.LBB1723_160:                           ;   in Loop: Header=BB1723_162 Depth=1
	global_load_b64 v[39:40], v[37:38], off
	global_load_b64 v[41:42], v[35:36], off
	v_add_co_u32 v35, vcc_lo, v35, 8
	v_add_co_ci_u32_e32 v36, vcc_lo, 0, v36, vcc_lo
	v_add_co_u32 v37, s0, v37, 8
	s_delay_alu instid0(VALU_DEP_1)
	v_add_co_ci_u32_e64 v38, s0, 0, v38, s0
	s_add_u32 s6, s6, 1
	s_addc_u32 s7, s7, 0
	s_and_not1_b32 s0, s34, exec_lo
	s_waitcnt vmcnt(0)
	v_cmp_ne_u64_e32 vcc_lo, v[39:40], v[41:42]
	s_and_b32 s34, vcc_lo, exec_lo
	s_delay_alu instid0(SALU_CYCLE_1)
	s_or_b32 s34, s0, s34
.LBB1723_161:                           ;   in Loop: Header=BB1723_162 Depth=1
	v_dual_mov_b32 v40, s7 :: v_dual_mov_b32 v39, s6
	s_and_b32 s0, exec_lo, s34
	s_delay_alu instid0(SALU_CYCLE_1) | instskip(NEXT) | instid1(SALU_CYCLE_1)
	s_or_b32 s27, s0, s27
	s_and_not1_b32 exec_lo, exec_lo, s27
	s_cbranch_execz .LBB1723_164
.LBB1723_162:                           ; =>This Inner Loop Header: Depth=1
	s_or_b32 s34, s34, exec_lo
	s_cmp_eq_u64 s[4:5], s[6:7]
	s_cbranch_scc0 .LBB1723_160
; %bb.163:                              ;   in Loop: Header=BB1723_162 Depth=1
	s_mov_b64 s[6:7], s[14:15]
                                        ; implicit-def: $vgpr35_vgpr36
                                        ; implicit-def: $vgpr37_vgpr38
	s_branch .LBB1723_161
.LBB1723_164:
	s_set_inst_prefetch_distance 0x2
	s_or_b32 exec_lo, exec_lo, s27
	v_cmp_gt_i64_e32 vcc_lo, s[14:15], v[39:40]
	s_or_not1_b32 s0, vcc_lo, exec_lo
.LBB1723_165:
	s_or_b32 exec_lo, exec_lo, s25
.LBB1723_166:
	s_delay_alu instid0(SALU_CYCLE_1)
	s_and_b32 s25, s0, exec_lo
.LBB1723_167:
	s_or_b32 exec_lo, exec_lo, s26
	v_or_b32_e32 v35, 3, v55
	s_mov_b32 s27, 0
	s_mov_b32 s26, 0
	s_mov_b32 s34, exec_lo
	s_delay_alu instid0(VALU_DEP_1)
	v_cmpx_gt_u32_e64 s31, v35
	s_cbranch_execz .LBB1723_178
; %bb.168:
	v_cmp_ne_u32_e32 vcc_lo, 1, v43
	s_mov_b32 s0, 0
	s_cbranch_vccnz .LBB1723_177
; %bb.169:
	v_mul_lo_u32 v39, v26, s14
	v_mul_lo_u32 v40, v25, s15
	v_mad_u64_u32 v[35:36], null, v25, s14, 0
	v_mul_lo_u32 v41, v28, s14
	v_mul_lo_u32 v42, v27, s15
	s_waitcnt lgkmcnt(0)
	v_mad_u64_u32 v[37:38], null, v27, s14, 0
	s_mov_b32 s0, -1
	s_mov_b32 s26, exec_lo
	s_delay_alu instid0(VALU_DEP_4) | instskip(NEXT) | instid1(VALU_DEP_2)
	v_add3_u32 v36, v36, v40, v39
	v_add3_u32 v38, v38, v42, v41
	s_delay_alu instid0(VALU_DEP_2) | instskip(NEXT) | instid1(VALU_DEP_2)
	v_lshlrev_b64 v[35:36], 3, v[35:36]
	v_lshlrev_b64 v[39:40], 3, v[37:38]
	s_delay_alu instid0(VALU_DEP_2) | instskip(NEXT) | instid1(VALU_DEP_3)
	v_add_co_u32 v37, vcc_lo, s20, v35
	v_add_co_ci_u32_e32 v38, vcc_lo, s21, v36, vcc_lo
	s_delay_alu instid0(VALU_DEP_3) | instskip(NEXT) | instid1(VALU_DEP_4)
	v_add_co_u32 v35, vcc_lo, s20, v39
	v_add_co_ci_u32_e32 v36, vcc_lo, s21, v40, vcc_lo
	s_clause 0x1
	global_load_b64 v[39:40], v[37:38], off
	global_load_b64 v[41:42], v[35:36], off
	s_waitcnt vmcnt(0)
	v_cmpx_eq_u64_e64 v[39:40], v[41:42]
	s_cbranch_execz .LBB1723_176
; %bb.170:
	v_add_co_u32 v35, vcc_lo, v35, 8
	v_add_co_ci_u32_e32 v36, vcc_lo, 0, v36, vcc_lo
	v_add_co_u32 v37, vcc_lo, v37, 8
	v_add_co_ci_u32_e32 v38, vcc_lo, 0, v38, vcc_lo
	s_add_u32 s4, s14, -1
	s_addc_u32 s5, s15, -1
	s_mov_b64 s[6:7], 0
	s_mov_b32 s35, 0
                                        ; implicit-def: $sgpr36
	s_set_inst_prefetch_distance 0x1
	s_branch .LBB1723_173
	.p2align	6
.LBB1723_171:                           ;   in Loop: Header=BB1723_173 Depth=1
	global_load_b64 v[39:40], v[37:38], off
	global_load_b64 v[41:42], v[35:36], off
	v_add_co_u32 v35, vcc_lo, v35, 8
	v_add_co_ci_u32_e32 v36, vcc_lo, 0, v36, vcc_lo
	v_add_co_u32 v37, s0, v37, 8
	s_delay_alu instid0(VALU_DEP_1)
	v_add_co_ci_u32_e64 v38, s0, 0, v38, s0
	s_add_u32 s6, s6, 1
	s_addc_u32 s7, s7, 0
	s_and_not1_b32 s0, s36, exec_lo
	s_waitcnt vmcnt(0)
	v_cmp_ne_u64_e32 vcc_lo, v[39:40], v[41:42]
	s_and_b32 s36, vcc_lo, exec_lo
	s_delay_alu instid0(SALU_CYCLE_1)
	s_or_b32 s36, s0, s36
.LBB1723_172:                           ;   in Loop: Header=BB1723_173 Depth=1
	v_dual_mov_b32 v40, s7 :: v_dual_mov_b32 v39, s6
	s_and_b32 s0, exec_lo, s36
	s_delay_alu instid0(SALU_CYCLE_1) | instskip(NEXT) | instid1(SALU_CYCLE_1)
	s_or_b32 s35, s0, s35
	s_and_not1_b32 exec_lo, exec_lo, s35
	s_cbranch_execz .LBB1723_175
.LBB1723_173:                           ; =>This Inner Loop Header: Depth=1
	s_or_b32 s36, s36, exec_lo
	s_cmp_eq_u64 s[4:5], s[6:7]
	s_cbranch_scc0 .LBB1723_171
; %bb.174:                              ;   in Loop: Header=BB1723_173 Depth=1
	s_mov_b64 s[6:7], s[14:15]
                                        ; implicit-def: $vgpr35_vgpr36
                                        ; implicit-def: $vgpr37_vgpr38
	s_branch .LBB1723_172
.LBB1723_175:
	s_set_inst_prefetch_distance 0x2
	s_or_b32 exec_lo, exec_lo, s35
	v_cmp_gt_i64_e32 vcc_lo, s[14:15], v[39:40]
	s_or_not1_b32 s0, vcc_lo, exec_lo
.LBB1723_176:
	s_or_b32 exec_lo, exec_lo, s26
.LBB1723_177:
	s_delay_alu instid0(SALU_CYCLE_1)
	s_and_b32 s26, s0, exec_lo
.LBB1723_178:
	s_or_b32 exec_lo, exec_lo, s34
	v_or_b32_e32 v35, 2, v55
	s_mov_b32 s34, exec_lo
	s_delay_alu instid0(VALU_DEP_1)
	v_cmpx_gt_u32_e64 s31, v35
	s_cbranch_execz .LBB1723_189
; %bb.179:
	v_cmp_ne_u32_e32 vcc_lo, 1, v43
	s_mov_b32 s0, 0
	s_cbranch_vccnz .LBB1723_188
; %bb.180:
	v_mul_lo_u32 v39, v32, s14
	v_mul_lo_u32 v40, v31, s15
	v_mad_u64_u32 v[35:36], null, v31, s14, 0
	v_mul_lo_u32 v41, v26, s14
	v_mul_lo_u32 v42, v25, s15
	s_waitcnt lgkmcnt(0)
	v_mad_u64_u32 v[37:38], null, v25, s14, 0
	s_mov_b32 s0, -1
	s_mov_b32 s27, exec_lo
	s_delay_alu instid0(VALU_DEP_4) | instskip(NEXT) | instid1(VALU_DEP_2)
	v_add3_u32 v36, v36, v40, v39
	v_add3_u32 v38, v38, v42, v41
	s_delay_alu instid0(VALU_DEP_2) | instskip(NEXT) | instid1(VALU_DEP_2)
	v_lshlrev_b64 v[35:36], 3, v[35:36]
	v_lshlrev_b64 v[39:40], 3, v[37:38]
	s_delay_alu instid0(VALU_DEP_2) | instskip(NEXT) | instid1(VALU_DEP_3)
	v_add_co_u32 v37, vcc_lo, s20, v35
	v_add_co_ci_u32_e32 v38, vcc_lo, s21, v36, vcc_lo
	s_delay_alu instid0(VALU_DEP_3) | instskip(NEXT) | instid1(VALU_DEP_4)
	v_add_co_u32 v35, vcc_lo, s20, v39
	v_add_co_ci_u32_e32 v36, vcc_lo, s21, v40, vcc_lo
	s_clause 0x1
	global_load_b64 v[39:40], v[37:38], off
	global_load_b64 v[41:42], v[35:36], off
	s_waitcnt vmcnt(0)
	v_cmpx_eq_u64_e64 v[39:40], v[41:42]
	s_cbranch_execz .LBB1723_187
; %bb.181:
	v_add_co_u32 v35, vcc_lo, v35, 8
	v_add_co_ci_u32_e32 v36, vcc_lo, 0, v36, vcc_lo
	v_add_co_u32 v37, vcc_lo, v37, 8
	v_add_co_ci_u32_e32 v38, vcc_lo, 0, v38, vcc_lo
	s_add_u32 s4, s14, -1
	s_addc_u32 s5, s15, -1
	s_mov_b64 s[6:7], 0
	s_mov_b32 s35, 0
                                        ; implicit-def: $sgpr36
	s_set_inst_prefetch_distance 0x1
	s_branch .LBB1723_184
	.p2align	6
.LBB1723_182:                           ;   in Loop: Header=BB1723_184 Depth=1
	global_load_b64 v[39:40], v[37:38], off
	global_load_b64 v[41:42], v[35:36], off
	v_add_co_u32 v35, vcc_lo, v35, 8
	v_add_co_ci_u32_e32 v36, vcc_lo, 0, v36, vcc_lo
	v_add_co_u32 v37, s0, v37, 8
	s_delay_alu instid0(VALU_DEP_1)
	v_add_co_ci_u32_e64 v38, s0, 0, v38, s0
	s_add_u32 s6, s6, 1
	s_addc_u32 s7, s7, 0
	s_and_not1_b32 s0, s36, exec_lo
	s_waitcnt vmcnt(0)
	v_cmp_ne_u64_e32 vcc_lo, v[39:40], v[41:42]
	s_and_b32 s36, vcc_lo, exec_lo
	s_delay_alu instid0(SALU_CYCLE_1)
	s_or_b32 s36, s0, s36
.LBB1723_183:                           ;   in Loop: Header=BB1723_184 Depth=1
	v_dual_mov_b32 v40, s7 :: v_dual_mov_b32 v39, s6
	s_and_b32 s0, exec_lo, s36
	s_delay_alu instid0(SALU_CYCLE_1) | instskip(NEXT) | instid1(SALU_CYCLE_1)
	s_or_b32 s35, s0, s35
	s_and_not1_b32 exec_lo, exec_lo, s35
	s_cbranch_execz .LBB1723_186
.LBB1723_184:                           ; =>This Inner Loop Header: Depth=1
	s_or_b32 s36, s36, exec_lo
	s_cmp_eq_u64 s[4:5], s[6:7]
	s_cbranch_scc0 .LBB1723_182
; %bb.185:                              ;   in Loop: Header=BB1723_184 Depth=1
	s_mov_b64 s[6:7], s[14:15]
                                        ; implicit-def: $vgpr35_vgpr36
                                        ; implicit-def: $vgpr37_vgpr38
	s_branch .LBB1723_183
.LBB1723_186:
	s_set_inst_prefetch_distance 0x2
	s_or_b32 exec_lo, exec_lo, s35
	v_cmp_gt_i64_e32 vcc_lo, s[14:15], v[39:40]
	s_or_not1_b32 s0, vcc_lo, exec_lo
.LBB1723_187:
	s_or_b32 exec_lo, exec_lo, s27
.LBB1723_188:
	s_delay_alu instid0(SALU_CYCLE_1)
	s_and_b32 s27, s0, exec_lo
.LBB1723_189:
	s_or_b32 exec_lo, exec_lo, s34
	v_or_b32_e32 v35, 1, v55
	s_mov_b32 s0, 0
	s_mov_b32 s34, exec_lo
	s_delay_alu instid0(VALU_DEP_1)
	v_cmpx_gt_u32_e64 s31, v35
	s_cbranch_execz .LBB1723_200
; %bb.190:
	v_cmp_ne_u32_e32 vcc_lo, 1, v43
	s_cbranch_vccnz .LBB1723_199
; %bb.191:
	v_mul_lo_u32 v39, v30, s14
	v_mul_lo_u32 v40, v29, s15
	v_mad_u64_u32 v[35:36], null, v29, s14, 0
	v_mul_lo_u32 v41, v32, s14
	v_mul_lo_u32 v42, v31, s15
	s_waitcnt lgkmcnt(0)
	v_mad_u64_u32 v[37:38], null, v31, s14, 0
	s_mov_b32 s0, -1
	s_mov_b32 s35, exec_lo
	s_delay_alu instid0(VALU_DEP_4) | instskip(NEXT) | instid1(VALU_DEP_2)
	v_add3_u32 v36, v36, v40, v39
	v_add3_u32 v38, v38, v42, v41
	s_delay_alu instid0(VALU_DEP_2) | instskip(NEXT) | instid1(VALU_DEP_2)
	v_lshlrev_b64 v[35:36], 3, v[35:36]
	v_lshlrev_b64 v[39:40], 3, v[37:38]
	s_delay_alu instid0(VALU_DEP_2) | instskip(NEXT) | instid1(VALU_DEP_3)
	v_add_co_u32 v37, vcc_lo, s20, v35
	v_add_co_ci_u32_e32 v38, vcc_lo, s21, v36, vcc_lo
	s_delay_alu instid0(VALU_DEP_3) | instskip(NEXT) | instid1(VALU_DEP_4)
	v_add_co_u32 v35, vcc_lo, s20, v39
	v_add_co_ci_u32_e32 v36, vcc_lo, s21, v40, vcc_lo
	s_clause 0x1
	global_load_b64 v[39:40], v[37:38], off
	global_load_b64 v[41:42], v[35:36], off
	s_waitcnt vmcnt(0)
	v_cmpx_eq_u64_e64 v[39:40], v[41:42]
	s_cbranch_execz .LBB1723_198
; %bb.192:
	v_add_co_u32 v35, vcc_lo, v35, 8
	v_add_co_ci_u32_e32 v36, vcc_lo, 0, v36, vcc_lo
	v_add_co_u32 v37, vcc_lo, v37, 8
	v_add_co_ci_u32_e32 v38, vcc_lo, 0, v38, vcc_lo
	s_add_u32 s4, s14, -1
	s_addc_u32 s5, s15, -1
	s_mov_b64 s[6:7], 0
	s_mov_b32 s36, 0
                                        ; implicit-def: $sgpr37
	s_set_inst_prefetch_distance 0x1
	s_branch .LBB1723_195
	.p2align	6
.LBB1723_193:                           ;   in Loop: Header=BB1723_195 Depth=1
	global_load_b64 v[39:40], v[37:38], off
	global_load_b64 v[41:42], v[35:36], off
	v_add_co_u32 v35, vcc_lo, v35, 8
	v_add_co_ci_u32_e32 v36, vcc_lo, 0, v36, vcc_lo
	v_add_co_u32 v37, s0, v37, 8
	s_delay_alu instid0(VALU_DEP_1)
	v_add_co_ci_u32_e64 v38, s0, 0, v38, s0
	s_add_u32 s6, s6, 1
	s_addc_u32 s7, s7, 0
	s_and_not1_b32 s0, s37, exec_lo
	s_waitcnt vmcnt(0)
	v_cmp_ne_u64_e32 vcc_lo, v[39:40], v[41:42]
	s_and_b32 s37, vcc_lo, exec_lo
	s_delay_alu instid0(SALU_CYCLE_1)
	s_or_b32 s37, s0, s37
.LBB1723_194:                           ;   in Loop: Header=BB1723_195 Depth=1
	v_dual_mov_b32 v40, s7 :: v_dual_mov_b32 v39, s6
	s_and_b32 s0, exec_lo, s37
	s_delay_alu instid0(SALU_CYCLE_1) | instskip(NEXT) | instid1(SALU_CYCLE_1)
	s_or_b32 s36, s0, s36
	s_and_not1_b32 exec_lo, exec_lo, s36
	s_cbranch_execz .LBB1723_197
.LBB1723_195:                           ; =>This Inner Loop Header: Depth=1
	s_or_b32 s37, s37, exec_lo
	s_cmp_eq_u64 s[4:5], s[6:7]
	s_cbranch_scc0 .LBB1723_193
; %bb.196:                              ;   in Loop: Header=BB1723_195 Depth=1
	s_mov_b64 s[6:7], s[14:15]
                                        ; implicit-def: $vgpr35_vgpr36
                                        ; implicit-def: $vgpr37_vgpr38
	s_branch .LBB1723_194
.LBB1723_197:
	s_set_inst_prefetch_distance 0x2
	s_or_b32 exec_lo, exec_lo, s36
	v_cmp_gt_i64_e32 vcc_lo, s[14:15], v[39:40]
	s_or_not1_b32 s0, vcc_lo, exec_lo
.LBB1723_198:
	s_or_b32 exec_lo, exec_lo, s35
.LBB1723_199:
	s_delay_alu instid0(SALU_CYCLE_1)
	s_and_b32 s0, s0, exec_lo
.LBB1723_200:
	s_or_b32 exec_lo, exec_lo, s34
	s_waitcnt vmcnt(0) lgkmcnt(0)
	s_barrier
	buffer_gl0_inv
	s_and_saveexec_b32 s4, s3
	s_cbranch_execz .LBB1723_202
; %bb.201:
	v_add_nc_u32_e32 v33, -8, v55
	ds_load_b64 v[33:34], v33
.LBB1723_202:
	s_or_b32 exec_lo, exec_lo, s4
	v_cndmask_b32_e64 v36, 0, 1, s26
	v_cndmask_b32_e64 v38, 0, 1, s13
	;; [unrolled: 1-line block ×7, first 2 shown]
	v_lshlrev_b16 v36, 8, v36
	v_lshlrev_b16 v38, 8, v38
	v_lshlrev_b16 v39, 8, v39
	s_mov_b32 s0, 0
	v_lshlrev_b16 v41, 8, v41
	v_or_b32_e32 v35, v35, v36
	v_or_b32_e32 v36, v37, v38
	;; [unrolled: 1-line block ×3, first 2 shown]
	s_mov_b32 s1, exec_lo
	v_and_b32_e32 v39, 0xffff, v41
	v_lshlrev_b32_e32 v40, 16, v35
	v_and_b32_e32 v41, 0xffff, v36
	v_lshlrev_b32_e32 v42, 16, v37
	v_cmpx_gt_u32_e64 s31, v55
	s_cbranch_execz .LBB1723_213
; %bb.203:
	v_cmp_ne_u32_e32 vcc_lo, 1, v43
	s_cbranch_vccnz .LBB1723_212
; %bb.204:
	s_waitcnt lgkmcnt(0)
	v_mul_lo_u32 v38, v34, s14
	v_mul_lo_u32 v43, v33, s15
	v_mad_u64_u32 v[34:35], null, v33, s14, 0
	v_mul_lo_u32 v33, v30, s14
	v_mul_lo_u32 v44, v29, s15
	v_mad_u64_u32 v[36:37], null, v29, s14, 0
	s_mov_b32 s0, -1
	s_mov_b32 s13, exec_lo
	s_delay_alu instid0(VALU_DEP_4) | instskip(NEXT) | instid1(VALU_DEP_2)
	v_add3_u32 v35, v35, v43, v38
	v_add3_u32 v37, v37, v44, v33
	s_delay_alu instid0(VALU_DEP_2) | instskip(NEXT) | instid1(VALU_DEP_2)
	v_lshlrev_b64 v[33:34], 3, v[34:35]
	v_lshlrev_b64 v[37:38], 3, v[36:37]
	s_delay_alu instid0(VALU_DEP_2) | instskip(NEXT) | instid1(VALU_DEP_3)
	v_add_co_u32 v35, vcc_lo, s20, v33
	v_add_co_ci_u32_e32 v36, vcc_lo, s21, v34, vcc_lo
	s_delay_alu instid0(VALU_DEP_3) | instskip(NEXT) | instid1(VALU_DEP_4)
	v_add_co_u32 v33, vcc_lo, s20, v37
	v_add_co_ci_u32_e32 v34, vcc_lo, s21, v38, vcc_lo
	s_clause 0x1
	global_load_b64 v[37:38], v[35:36], off
	global_load_b64 v[43:44], v[33:34], off
	s_waitcnt vmcnt(0)
	v_cmpx_eq_u64_e64 v[37:38], v[43:44]
	s_cbranch_execz .LBB1723_211
; %bb.205:
	v_add_co_u32 v33, vcc_lo, v33, 8
	v_add_co_ci_u32_e32 v34, vcc_lo, 0, v34, vcc_lo
	v_add_co_u32 v35, vcc_lo, v35, 8
	v_add_co_ci_u32_e32 v36, vcc_lo, 0, v36, vcc_lo
	s_add_u32 s4, s14, -1
	s_addc_u32 s5, s15, -1
	s_mov_b64 s[6:7], 0
	s_mov_b32 s24, 0
                                        ; implicit-def: $sgpr25
	s_set_inst_prefetch_distance 0x1
	s_branch .LBB1723_208
	.p2align	6
.LBB1723_206:                           ;   in Loop: Header=BB1723_208 Depth=1
	global_load_b64 v[37:38], v[35:36], off
	global_load_b64 v[43:44], v[33:34], off
	v_add_co_u32 v33, vcc_lo, v33, 8
	v_add_co_ci_u32_e32 v34, vcc_lo, 0, v34, vcc_lo
	v_add_co_u32 v35, s0, v35, 8
	s_delay_alu instid0(VALU_DEP_1)
	v_add_co_ci_u32_e64 v36, s0, 0, v36, s0
	s_add_u32 s6, s6, 1
	s_addc_u32 s7, s7, 0
	s_and_not1_b32 s0, s25, exec_lo
	s_waitcnt vmcnt(0)
	v_cmp_ne_u64_e32 vcc_lo, v[37:38], v[43:44]
	s_and_b32 s25, vcc_lo, exec_lo
	s_delay_alu instid0(SALU_CYCLE_1)
	s_or_b32 s25, s0, s25
.LBB1723_207:                           ;   in Loop: Header=BB1723_208 Depth=1
	v_dual_mov_b32 v38, s7 :: v_dual_mov_b32 v37, s6
	s_and_b32 s0, exec_lo, s25
	s_delay_alu instid0(SALU_CYCLE_1) | instskip(NEXT) | instid1(SALU_CYCLE_1)
	s_or_b32 s24, s0, s24
	s_and_not1_b32 exec_lo, exec_lo, s24
	s_cbranch_execz .LBB1723_210
.LBB1723_208:                           ; =>This Inner Loop Header: Depth=1
	s_or_b32 s25, s25, exec_lo
	s_cmp_eq_u64 s[4:5], s[6:7]
	s_cbranch_scc0 .LBB1723_206
; %bb.209:                              ;   in Loop: Header=BB1723_208 Depth=1
	s_mov_b64 s[6:7], s[14:15]
                                        ; implicit-def: $vgpr33_vgpr34
                                        ; implicit-def: $vgpr35_vgpr36
	s_branch .LBB1723_207
.LBB1723_210:
	s_set_inst_prefetch_distance 0x2
	s_or_b32 exec_lo, exec_lo, s24
	v_cmp_gt_i64_e32 vcc_lo, s[14:15], v[37:38]
	s_or_not1_b32 s0, vcc_lo, exec_lo
.LBB1723_211:
	s_or_b32 exec_lo, exec_lo, s13
.LBB1723_212:
	s_delay_alu instid0(SALU_CYCLE_1)
	s_and_b32 s0, s0, exec_lo
.LBB1723_213:
	s_or_b32 exec_lo, exec_lo, s1
	v_or_b32_e32 v35, v39, v40
	v_or_b32_e32 v36, v41, v42
.LBB1723_214:
	s_mov_b32 s1, -1
	s_cbranch_execnz .LBB1723_383
.LBB1723_215:
	v_cmp_gt_i64_e64 s13, s[14:15], 0
	s_and_b32 vcc_lo, exec_lo, s29
	ds_store_b64 v55, v[19:20]
	s_cbranch_vccz .LBB1723_223
; %bb.216:
	v_mul_lo_u32 v35, v18, s14
	v_mul_lo_u32 v36, v17, s15
	s_waitcnt vmcnt(0) lgkmcnt(1)
	v_mad_u64_u32 v[33:34], null, v17, s14, 0
	s_mov_b32 s24, 0
	s_and_not1_b32 vcc_lo, exec_lo, s13
	s_mov_b32 s25, 0
	s_delay_alu instid0(VALU_DEP_1) | instskip(NEXT) | instid1(VALU_DEP_1)
	v_add3_u32 v34, v34, v36, v35
	v_lshlrev_b64 v[33:34], 3, v[33:34]
	s_cbranch_vccnz .LBB1723_226
; %bb.217:
	v_mul_lo_u32 v37, v20, s14
	v_mul_lo_u32 v38, v19, s15
	v_mad_u64_u32 v[35:36], null, v19, s14, 0
	s_mov_b32 s25, -1
	s_mov_b32 s26, exec_lo
	s_delay_alu instid0(VALU_DEP_1) | instskip(SKIP_2) | instid1(VALU_DEP_3)
	v_add3_u32 v36, v36, v38, v37
	v_add_co_u32 v37, vcc_lo, s20, v33
	v_add_co_ci_u32_e32 v38, vcc_lo, s21, v34, vcc_lo
	v_lshlrev_b64 v[35:36], 3, v[35:36]
	s_delay_alu instid0(VALU_DEP_1) | instskip(NEXT) | instid1(VALU_DEP_2)
	v_add_co_u32 v35, vcc_lo, s20, v35
	v_add_co_ci_u32_e32 v36, vcc_lo, s21, v36, vcc_lo
	s_clause 0x1
	global_load_b64 v[39:40], v[37:38], off
	global_load_b64 v[41:42], v[35:36], off
	s_waitcnt vmcnt(0)
	v_cmpx_eq_u64_e64 v[39:40], v[41:42]
	s_cbranch_execz .LBB1723_225
; %bb.218:
	v_add_co_u32 v35, vcc_lo, v35, 8
	v_add_co_ci_u32_e32 v36, vcc_lo, 0, v36, vcc_lo
	v_add_co_u32 v37, vcc_lo, v37, 8
	v_add_co_ci_u32_e32 v38, vcc_lo, 0, v38, vcc_lo
	s_add_u32 s4, s14, -1
	s_addc_u32 s5, s15, -1
	s_mov_b64 s[6:7], 0
	s_mov_b32 s25, 0
                                        ; implicit-def: $sgpr27
	s_set_inst_prefetch_distance 0x1
	s_branch .LBB1723_221
	.p2align	6
.LBB1723_219:                           ;   in Loop: Header=BB1723_221 Depth=1
	global_load_b64 v[39:40], v[37:38], off
	global_load_b64 v[41:42], v[35:36], off
	v_add_co_u32 v35, vcc_lo, v35, 8
	v_add_co_ci_u32_e32 v36, vcc_lo, 0, v36, vcc_lo
	v_add_co_u32 v37, s0, v37, 8
	s_delay_alu instid0(VALU_DEP_1)
	v_add_co_ci_u32_e64 v38, s0, 0, v38, s0
	s_add_u32 s6, s6, 1
	s_addc_u32 s7, s7, 0
	s_and_not1_b32 s0, s27, exec_lo
	s_waitcnt vmcnt(0)
	v_cmp_ne_u64_e32 vcc_lo, v[39:40], v[41:42]
	s_and_b32 s27, vcc_lo, exec_lo
	s_delay_alu instid0(SALU_CYCLE_1)
	s_or_b32 s27, s0, s27
.LBB1723_220:                           ;   in Loop: Header=BB1723_221 Depth=1
	v_dual_mov_b32 v40, s7 :: v_dual_mov_b32 v39, s6
	s_and_b32 s0, exec_lo, s27
	s_delay_alu instid0(SALU_CYCLE_1) | instskip(NEXT) | instid1(SALU_CYCLE_1)
	s_or_b32 s25, s0, s25
	s_and_not1_b32 exec_lo, exec_lo, s25
	s_cbranch_execz .LBB1723_224
.LBB1723_221:                           ; =>This Inner Loop Header: Depth=1
	s_or_b32 s27, s27, exec_lo
	s_cmp_eq_u64 s[4:5], s[6:7]
	s_cbranch_scc0 .LBB1723_219
; %bb.222:                              ;   in Loop: Header=BB1723_221 Depth=1
	s_mov_b64 s[6:7], s[14:15]
                                        ; implicit-def: $vgpr35_vgpr36
                                        ; implicit-def: $vgpr37_vgpr38
	s_branch .LBB1723_220
.LBB1723_223:
                                        ; implicit-def: $sgpr0
                                        ; implicit-def: $vgpr36
	s_cbranch_execnz .LBB1723_292
	s_branch .LBB1723_383
.LBB1723_224:
	s_set_inst_prefetch_distance 0x2
	s_or_b32 exec_lo, exec_lo, s25
	v_cmp_gt_i64_e32 vcc_lo, s[14:15], v[39:40]
	s_or_not1_b32 s25, vcc_lo, exec_lo
.LBB1723_225:
	s_or_b32 exec_lo, exec_lo, s26
.LBB1723_226:
	v_mul_lo_u32 v37, v24, s14
	v_mul_lo_u32 v38, v23, s15
	v_mad_u64_u32 v[35:36], null, v23, s14, 0
	s_and_not1_b32 vcc_lo, exec_lo, s13
	s_delay_alu instid0(VALU_DEP_1) | instskip(NEXT) | instid1(VALU_DEP_1)
	v_add3_u32 v36, v36, v38, v37
	v_lshlrev_b64 v[35:36], 3, v[35:36]
	s_cbranch_vccnz .LBB1723_235
; %bb.227:
	s_delay_alu instid0(VALU_DEP_1) | instskip(NEXT) | instid1(VALU_DEP_2)
	v_add_co_u32 v37, vcc_lo, s20, v35
	v_add_co_ci_u32_e32 v38, vcc_lo, s21, v36, vcc_lo
	v_add_co_u32 v33, vcc_lo, s20, v33
	v_add_co_ci_u32_e32 v34, vcc_lo, s21, v34, vcc_lo
	s_mov_b32 s24, -1
	s_clause 0x1
	global_load_b64 v[39:40], v[37:38], off
	global_load_b64 v[41:42], v[33:34], off
	s_mov_b32 s26, exec_lo
	s_waitcnt vmcnt(0)
	v_cmpx_eq_u64_e64 v[39:40], v[41:42]
	s_cbranch_execz .LBB1723_234
; %bb.228:
	v_add_co_u32 v33, vcc_lo, v33, 8
	v_add_co_ci_u32_e32 v34, vcc_lo, 0, v34, vcc_lo
	v_add_co_u32 v37, vcc_lo, v37, 8
	v_add_co_ci_u32_e32 v38, vcc_lo, 0, v38, vcc_lo
	s_add_u32 s4, s14, -1
	s_addc_u32 s5, s15, -1
	s_mov_b64 s[6:7], 0
	s_mov_b32 s24, 0
                                        ; implicit-def: $sgpr27
	s_set_inst_prefetch_distance 0x1
	s_branch .LBB1723_231
	.p2align	6
.LBB1723_229:                           ;   in Loop: Header=BB1723_231 Depth=1
	global_load_b64 v[39:40], v[37:38], off
	global_load_b64 v[41:42], v[33:34], off
	v_add_co_u32 v33, vcc_lo, v33, 8
	v_add_co_ci_u32_e32 v34, vcc_lo, 0, v34, vcc_lo
	v_add_co_u32 v37, s0, v37, 8
	s_delay_alu instid0(VALU_DEP_1)
	v_add_co_ci_u32_e64 v38, s0, 0, v38, s0
	s_add_u32 s6, s6, 1
	s_addc_u32 s7, s7, 0
	s_and_not1_b32 s0, s27, exec_lo
	s_waitcnt vmcnt(0)
	v_cmp_ne_u64_e32 vcc_lo, v[39:40], v[41:42]
	s_and_b32 s27, vcc_lo, exec_lo
	s_delay_alu instid0(SALU_CYCLE_1)
	s_or_b32 s27, s0, s27
.LBB1723_230:                           ;   in Loop: Header=BB1723_231 Depth=1
	v_dual_mov_b32 v40, s7 :: v_dual_mov_b32 v39, s6
	s_and_b32 s0, exec_lo, s27
	s_delay_alu instid0(SALU_CYCLE_1) | instskip(NEXT) | instid1(SALU_CYCLE_1)
	s_or_b32 s24, s0, s24
	s_and_not1_b32 exec_lo, exec_lo, s24
	s_cbranch_execz .LBB1723_233
.LBB1723_231:                           ; =>This Inner Loop Header: Depth=1
	s_or_b32 s27, s27, exec_lo
	s_cmp_eq_u64 s[4:5], s[6:7]
	s_cbranch_scc0 .LBB1723_229
; %bb.232:                              ;   in Loop: Header=BB1723_231 Depth=1
	s_mov_b64 s[6:7], s[14:15]
                                        ; implicit-def: $vgpr33_vgpr34
                                        ; implicit-def: $vgpr37_vgpr38
	s_branch .LBB1723_230
.LBB1723_233:
	s_set_inst_prefetch_distance 0x2
	s_or_b32 exec_lo, exec_lo, s24
	v_cmp_gt_i64_e32 vcc_lo, s[14:15], v[39:40]
	s_or_not1_b32 s24, vcc_lo, exec_lo
.LBB1723_234:
	s_or_b32 exec_lo, exec_lo, s26
.LBB1723_235:
	v_mul_lo_u32 v37, v22, s14
	v_mul_lo_u32 v38, v21, s15
	v_mad_u64_u32 v[33:34], null, v21, s14, 0
	s_mov_b32 s26, 0
	s_and_not1_b32 vcc_lo, exec_lo, s13
	s_mov_b32 s27, 0
	s_delay_alu instid0(VALU_DEP_1) | instskip(NEXT) | instid1(VALU_DEP_1)
	v_add3_u32 v34, v34, v38, v37
	v_lshlrev_b64 v[37:38], 3, v[33:34]
	s_cbranch_vccnz .LBB1723_244
; %bb.236:
	s_delay_alu instid0(VALU_DEP_1) | instskip(NEXT) | instid1(VALU_DEP_2)
	v_add_co_u32 v39, vcc_lo, s20, v37
	v_add_co_ci_u32_e32 v40, vcc_lo, s21, v38, vcc_lo
	v_add_co_u32 v33, vcc_lo, s20, v35
	v_add_co_ci_u32_e32 v34, vcc_lo, s21, v36, vcc_lo
	s_mov_b32 s27, -1
	s_clause 0x1
	global_load_b64 v[35:36], v[39:40], off
	global_load_b64 v[41:42], v[33:34], off
	s_mov_b32 s34, exec_lo
	s_waitcnt vmcnt(0)
	v_cmpx_eq_u64_e64 v[35:36], v[41:42]
	s_cbranch_execz .LBB1723_243
; %bb.237:
	v_add_co_u32 v33, vcc_lo, v33, 8
	v_add_co_ci_u32_e32 v34, vcc_lo, 0, v34, vcc_lo
	v_add_co_u32 v35, vcc_lo, v39, 8
	v_add_co_ci_u32_e32 v36, vcc_lo, 0, v40, vcc_lo
	s_add_u32 s4, s14, -1
	s_addc_u32 s5, s15, -1
	s_mov_b64 s[6:7], 0
	s_mov_b32 s27, 0
                                        ; implicit-def: $sgpr35
	s_set_inst_prefetch_distance 0x1
	s_branch .LBB1723_240
	.p2align	6
.LBB1723_238:                           ;   in Loop: Header=BB1723_240 Depth=1
	global_load_b64 v[39:40], v[35:36], off
	global_load_b64 v[41:42], v[33:34], off
	v_add_co_u32 v33, vcc_lo, v33, 8
	v_add_co_ci_u32_e32 v34, vcc_lo, 0, v34, vcc_lo
	v_add_co_u32 v35, s0, v35, 8
	s_delay_alu instid0(VALU_DEP_1)
	v_add_co_ci_u32_e64 v36, s0, 0, v36, s0
	s_add_u32 s6, s6, 1
	s_addc_u32 s7, s7, 0
	s_and_not1_b32 s0, s35, exec_lo
	s_waitcnt vmcnt(0)
	v_cmp_ne_u64_e32 vcc_lo, v[39:40], v[41:42]
	s_and_b32 s35, vcc_lo, exec_lo
	s_delay_alu instid0(SALU_CYCLE_1)
	s_or_b32 s35, s0, s35
.LBB1723_239:                           ;   in Loop: Header=BB1723_240 Depth=1
	v_dual_mov_b32 v40, s7 :: v_dual_mov_b32 v39, s6
	s_and_b32 s0, exec_lo, s35
	s_delay_alu instid0(SALU_CYCLE_1) | instskip(NEXT) | instid1(SALU_CYCLE_1)
	s_or_b32 s27, s0, s27
	s_and_not1_b32 exec_lo, exec_lo, s27
	s_cbranch_execz .LBB1723_242
.LBB1723_240:                           ; =>This Inner Loop Header: Depth=1
	s_or_b32 s35, s35, exec_lo
	s_cmp_eq_u64 s[4:5], s[6:7]
	s_cbranch_scc0 .LBB1723_238
; %bb.241:                              ;   in Loop: Header=BB1723_240 Depth=1
	s_mov_b64 s[6:7], s[14:15]
                                        ; implicit-def: $vgpr33_vgpr34
                                        ; implicit-def: $vgpr35_vgpr36
	s_branch .LBB1723_239
.LBB1723_242:
	s_set_inst_prefetch_distance 0x2
	s_or_b32 exec_lo, exec_lo, s27
	v_cmp_gt_i64_e32 vcc_lo, s[14:15], v[39:40]
	s_or_not1_b32 s27, vcc_lo, exec_lo
.LBB1723_243:
	s_or_b32 exec_lo, exec_lo, s34
.LBB1723_244:
	v_mul_lo_u32 v35, v28, s14
	v_mul_lo_u32 v36, v27, s15
	v_mad_u64_u32 v[33:34], null, v27, s14, 0
	s_and_not1_b32 vcc_lo, exec_lo, s13
	s_delay_alu instid0(VALU_DEP_1) | instskip(NEXT) | instid1(VALU_DEP_1)
	v_add3_u32 v34, v34, v36, v35
	v_lshlrev_b64 v[33:34], 3, v[33:34]
	s_cbranch_vccnz .LBB1723_253
; %bb.245:
	s_delay_alu instid0(VALU_DEP_1) | instskip(NEXT) | instid1(VALU_DEP_2)
	v_add_co_u32 v39, vcc_lo, s20, v33
	v_add_co_ci_u32_e32 v40, vcc_lo, s21, v34, vcc_lo
	v_add_co_u32 v35, vcc_lo, s20, v37
	v_add_co_ci_u32_e32 v36, vcc_lo, s21, v38, vcc_lo
	s_mov_b32 s26, -1
	s_clause 0x1
	global_load_b64 v[37:38], v[39:40], off
	global_load_b64 v[41:42], v[35:36], off
	s_mov_b32 s34, exec_lo
	s_waitcnt vmcnt(0)
	v_cmpx_eq_u64_e64 v[37:38], v[41:42]
	s_cbranch_execz .LBB1723_252
; %bb.246:
	v_add_co_u32 v35, vcc_lo, v35, 8
	v_add_co_ci_u32_e32 v36, vcc_lo, 0, v36, vcc_lo
	v_add_co_u32 v37, vcc_lo, v39, 8
	v_add_co_ci_u32_e32 v38, vcc_lo, 0, v40, vcc_lo
	s_add_u32 s4, s14, -1
	s_addc_u32 s5, s15, -1
	s_mov_b64 s[6:7], 0
	s_mov_b32 s26, 0
                                        ; implicit-def: $sgpr35
	s_set_inst_prefetch_distance 0x1
	s_branch .LBB1723_249
	.p2align	6
.LBB1723_247:                           ;   in Loop: Header=BB1723_249 Depth=1
	global_load_b64 v[39:40], v[37:38], off
	global_load_b64 v[41:42], v[35:36], off
	v_add_co_u32 v35, vcc_lo, v35, 8
	v_add_co_ci_u32_e32 v36, vcc_lo, 0, v36, vcc_lo
	v_add_co_u32 v37, s0, v37, 8
	s_delay_alu instid0(VALU_DEP_1)
	v_add_co_ci_u32_e64 v38, s0, 0, v38, s0
	s_add_u32 s6, s6, 1
	s_addc_u32 s7, s7, 0
	s_and_not1_b32 s0, s35, exec_lo
	s_waitcnt vmcnt(0)
	v_cmp_ne_u64_e32 vcc_lo, v[39:40], v[41:42]
	s_and_b32 s35, vcc_lo, exec_lo
	s_delay_alu instid0(SALU_CYCLE_1)
	s_or_b32 s35, s0, s35
.LBB1723_248:                           ;   in Loop: Header=BB1723_249 Depth=1
	v_dual_mov_b32 v40, s7 :: v_dual_mov_b32 v39, s6
	s_and_b32 s0, exec_lo, s35
	s_delay_alu instid0(SALU_CYCLE_1) | instskip(NEXT) | instid1(SALU_CYCLE_1)
	s_or_b32 s26, s0, s26
	s_and_not1_b32 exec_lo, exec_lo, s26
	s_cbranch_execz .LBB1723_251
.LBB1723_249:                           ; =>This Inner Loop Header: Depth=1
	s_or_b32 s35, s35, exec_lo
	s_cmp_eq_u64 s[4:5], s[6:7]
	s_cbranch_scc0 .LBB1723_247
; %bb.250:                              ;   in Loop: Header=BB1723_249 Depth=1
	s_mov_b64 s[6:7], s[14:15]
                                        ; implicit-def: $vgpr35_vgpr36
                                        ; implicit-def: $vgpr37_vgpr38
	s_branch .LBB1723_248
.LBB1723_251:
	s_set_inst_prefetch_distance 0x2
	s_or_b32 exec_lo, exec_lo, s26
	v_cmp_gt_i64_e32 vcc_lo, s[14:15], v[39:40]
	s_or_not1_b32 s26, vcc_lo, exec_lo
.LBB1723_252:
	s_or_b32 exec_lo, exec_lo, s34
.LBB1723_253:
	v_mul_lo_u32 v37, v26, s14
	v_mul_lo_u32 v38, v25, s15
	v_mad_u64_u32 v[35:36], null, v25, s14, 0
	s_mov_b32 s34, 0
	s_and_not1_b32 vcc_lo, exec_lo, s13
	s_mov_b32 s35, 0
	s_delay_alu instid0(VALU_DEP_1) | instskip(NEXT) | instid1(VALU_DEP_1)
	v_add3_u32 v36, v36, v38, v37
	v_lshlrev_b64 v[37:38], 3, v[35:36]
	s_cbranch_vccnz .LBB1723_262
; %bb.254:
	s_delay_alu instid0(VALU_DEP_1) | instskip(NEXT) | instid1(VALU_DEP_2)
	v_add_co_u32 v35, vcc_lo, s20, v37
	v_add_co_ci_u32_e32 v36, vcc_lo, s21, v38, vcc_lo
	v_add_co_u32 v33, vcc_lo, s20, v33
	v_add_co_ci_u32_e32 v34, vcc_lo, s21, v34, vcc_lo
	s_mov_b32 s35, -1
	s_clause 0x1
	global_load_b64 v[39:40], v[35:36], off
	global_load_b64 v[41:42], v[33:34], off
	s_mov_b32 s36, exec_lo
	s_waitcnt vmcnt(0)
	v_cmpx_eq_u64_e64 v[39:40], v[41:42]
	s_cbranch_execz .LBB1723_261
; %bb.255:
	v_add_co_u32 v33, vcc_lo, v33, 8
	v_add_co_ci_u32_e32 v34, vcc_lo, 0, v34, vcc_lo
	v_add_co_u32 v35, vcc_lo, v35, 8
	v_add_co_ci_u32_e32 v36, vcc_lo, 0, v36, vcc_lo
	s_add_u32 s4, s14, -1
	s_addc_u32 s5, s15, -1
	s_mov_b64 s[6:7], 0
	s_mov_b32 s35, 0
                                        ; implicit-def: $sgpr37
	s_set_inst_prefetch_distance 0x1
	s_branch .LBB1723_258
	.p2align	6
.LBB1723_256:                           ;   in Loop: Header=BB1723_258 Depth=1
	global_load_b64 v[39:40], v[35:36], off
	global_load_b64 v[41:42], v[33:34], off
	v_add_co_u32 v33, vcc_lo, v33, 8
	v_add_co_ci_u32_e32 v34, vcc_lo, 0, v34, vcc_lo
	v_add_co_u32 v35, s0, v35, 8
	s_delay_alu instid0(VALU_DEP_1)
	v_add_co_ci_u32_e64 v36, s0, 0, v36, s0
	s_add_u32 s6, s6, 1
	s_addc_u32 s7, s7, 0
	s_and_not1_b32 s0, s37, exec_lo
	s_waitcnt vmcnt(0)
	v_cmp_ne_u64_e32 vcc_lo, v[39:40], v[41:42]
	s_and_b32 s37, vcc_lo, exec_lo
	s_delay_alu instid0(SALU_CYCLE_1)
	s_or_b32 s37, s0, s37
.LBB1723_257:                           ;   in Loop: Header=BB1723_258 Depth=1
	v_dual_mov_b32 v40, s7 :: v_dual_mov_b32 v39, s6
	s_and_b32 s0, exec_lo, s37
	s_delay_alu instid0(SALU_CYCLE_1) | instskip(NEXT) | instid1(SALU_CYCLE_1)
	s_or_b32 s35, s0, s35
	s_and_not1_b32 exec_lo, exec_lo, s35
	s_cbranch_execz .LBB1723_260
.LBB1723_258:                           ; =>This Inner Loop Header: Depth=1
	s_or_b32 s37, s37, exec_lo
	s_cmp_eq_u64 s[4:5], s[6:7]
	s_cbranch_scc0 .LBB1723_256
; %bb.259:                              ;   in Loop: Header=BB1723_258 Depth=1
	s_mov_b64 s[6:7], s[14:15]
                                        ; implicit-def: $vgpr33_vgpr34
                                        ; implicit-def: $vgpr35_vgpr36
	s_branch .LBB1723_257
.LBB1723_260:
	s_set_inst_prefetch_distance 0x2
	s_or_b32 exec_lo, exec_lo, s35
	v_cmp_gt_i64_e32 vcc_lo, s[14:15], v[39:40]
	s_or_not1_b32 s35, vcc_lo, exec_lo
.LBB1723_261:
	s_or_b32 exec_lo, exec_lo, s36
.LBB1723_262:
	v_mul_lo_u32 v35, v32, s14
	v_mul_lo_u32 v36, v31, s15
	v_mad_u64_u32 v[33:34], null, v31, s14, 0
	s_and_not1_b32 vcc_lo, exec_lo, s13
	s_delay_alu instid0(VALU_DEP_1) | instskip(NEXT) | instid1(VALU_DEP_1)
	v_add3_u32 v34, v34, v36, v35
	v_lshlrev_b64 v[35:36], 3, v[33:34]
	s_cbranch_vccnz .LBB1723_271
; %bb.263:
	s_delay_alu instid0(VALU_DEP_1) | instskip(NEXT) | instid1(VALU_DEP_2)
	v_add_co_u32 v39, vcc_lo, s20, v35
	v_add_co_ci_u32_e32 v40, vcc_lo, s21, v36, vcc_lo
	v_add_co_u32 v33, vcc_lo, s20, v37
	v_add_co_ci_u32_e32 v34, vcc_lo, s21, v38, vcc_lo
	s_mov_b32 s34, -1
	s_clause 0x1
	global_load_b64 v[37:38], v[39:40], off
	global_load_b64 v[41:42], v[33:34], off
	s_mov_b32 s36, exec_lo
	s_waitcnt vmcnt(0)
	v_cmpx_eq_u64_e64 v[37:38], v[41:42]
	s_cbranch_execz .LBB1723_270
; %bb.264:
	v_add_co_u32 v33, vcc_lo, v33, 8
	v_add_co_ci_u32_e32 v34, vcc_lo, 0, v34, vcc_lo
	v_add_co_u32 v37, vcc_lo, v39, 8
	v_add_co_ci_u32_e32 v38, vcc_lo, 0, v40, vcc_lo
	s_add_u32 s4, s14, -1
	s_addc_u32 s5, s15, -1
	s_mov_b64 s[6:7], 0
	s_mov_b32 s34, 0
                                        ; implicit-def: $sgpr37
	s_set_inst_prefetch_distance 0x1
	s_branch .LBB1723_267
	.p2align	6
.LBB1723_265:                           ;   in Loop: Header=BB1723_267 Depth=1
	global_load_b64 v[39:40], v[37:38], off
	global_load_b64 v[41:42], v[33:34], off
	v_add_co_u32 v33, vcc_lo, v33, 8
	v_add_co_ci_u32_e32 v34, vcc_lo, 0, v34, vcc_lo
	v_add_co_u32 v37, s0, v37, 8
	s_delay_alu instid0(VALU_DEP_1)
	v_add_co_ci_u32_e64 v38, s0, 0, v38, s0
	s_add_u32 s6, s6, 1
	s_addc_u32 s7, s7, 0
	s_and_not1_b32 s0, s37, exec_lo
	s_waitcnt vmcnt(0)
	v_cmp_ne_u64_e32 vcc_lo, v[39:40], v[41:42]
	s_and_b32 s37, vcc_lo, exec_lo
	s_delay_alu instid0(SALU_CYCLE_1)
	s_or_b32 s37, s0, s37
.LBB1723_266:                           ;   in Loop: Header=BB1723_267 Depth=1
	v_dual_mov_b32 v40, s7 :: v_dual_mov_b32 v39, s6
	s_and_b32 s0, exec_lo, s37
	s_delay_alu instid0(SALU_CYCLE_1) | instskip(NEXT) | instid1(SALU_CYCLE_1)
	s_or_b32 s34, s0, s34
	s_and_not1_b32 exec_lo, exec_lo, s34
	s_cbranch_execz .LBB1723_269
.LBB1723_267:                           ; =>This Inner Loop Header: Depth=1
	s_or_b32 s37, s37, exec_lo
	s_cmp_eq_u64 s[4:5], s[6:7]
	s_cbranch_scc0 .LBB1723_265
; %bb.268:                              ;   in Loop: Header=BB1723_267 Depth=1
	s_mov_b64 s[6:7], s[14:15]
                                        ; implicit-def: $vgpr33_vgpr34
                                        ; implicit-def: $vgpr37_vgpr38
	s_branch .LBB1723_266
.LBB1723_269:
	s_set_inst_prefetch_distance 0x2
	s_or_b32 exec_lo, exec_lo, s34
	v_cmp_gt_i64_e32 vcc_lo, s[14:15], v[39:40]
	s_or_not1_b32 s34, vcc_lo, exec_lo
.LBB1723_270:
	s_or_b32 exec_lo, exec_lo, s36
.LBB1723_271:
	v_mul_lo_u32 v37, v30, s14
	v_mul_lo_u32 v38, v29, s15
	v_mad_u64_u32 v[33:34], null, v29, s14, 0
	s_and_not1_b32 vcc_lo, exec_lo, s13
	s_mov_b32 s0, 0
	s_delay_alu instid0(VALU_DEP_1)
	v_add3_u32 v34, v34, v38, v37
	s_cbranch_vccnz .LBB1723_280
; %bb.272:
	s_delay_alu instid0(VALU_DEP_1) | instskip(SKIP_2) | instid1(VALU_DEP_1)
	v_lshlrev_b64 v[37:38], 3, v[33:34]
	s_mov_b32 s0, -1
	s_mov_b32 s36, exec_lo
	v_add_co_u32 v37, vcc_lo, s20, v37
	s_delay_alu instid0(VALU_DEP_2)
	v_add_co_ci_u32_e32 v38, vcc_lo, s21, v38, vcc_lo
	v_add_co_u32 v35, vcc_lo, s20, v35
	v_add_co_ci_u32_e32 v36, vcc_lo, s21, v36, vcc_lo
	s_clause 0x1
	global_load_b64 v[39:40], v[37:38], off
	global_load_b64 v[41:42], v[35:36], off
	s_waitcnt vmcnt(0)
	v_cmpx_eq_u64_e64 v[39:40], v[41:42]
	s_cbranch_execz .LBB1723_279
; %bb.273:
	v_add_co_u32 v35, vcc_lo, v35, 8
	v_add_co_ci_u32_e32 v36, vcc_lo, 0, v36, vcc_lo
	v_add_co_u32 v37, vcc_lo, v37, 8
	v_add_co_ci_u32_e32 v38, vcc_lo, 0, v38, vcc_lo
	s_add_u32 s4, s14, -1
	s_addc_u32 s5, s15, -1
	s_mov_b64 s[6:7], 0
	s_mov_b32 s37, 0
                                        ; implicit-def: $sgpr38
	s_set_inst_prefetch_distance 0x1
	s_branch .LBB1723_276
	.p2align	6
.LBB1723_274:                           ;   in Loop: Header=BB1723_276 Depth=1
	global_load_b64 v[39:40], v[37:38], off
	global_load_b64 v[41:42], v[35:36], off
	v_add_co_u32 v35, vcc_lo, v35, 8
	v_add_co_ci_u32_e32 v36, vcc_lo, 0, v36, vcc_lo
	v_add_co_u32 v37, s0, v37, 8
	s_delay_alu instid0(VALU_DEP_1)
	v_add_co_ci_u32_e64 v38, s0, 0, v38, s0
	s_add_u32 s6, s6, 1
	s_addc_u32 s7, s7, 0
	s_and_not1_b32 s0, s38, exec_lo
	s_waitcnt vmcnt(0)
	v_cmp_ne_u64_e32 vcc_lo, v[39:40], v[41:42]
	s_and_b32 s38, vcc_lo, exec_lo
	s_delay_alu instid0(SALU_CYCLE_1)
	s_or_b32 s38, s0, s38
.LBB1723_275:                           ;   in Loop: Header=BB1723_276 Depth=1
	v_dual_mov_b32 v40, s7 :: v_dual_mov_b32 v39, s6
	s_and_b32 s0, exec_lo, s38
	s_delay_alu instid0(SALU_CYCLE_1) | instskip(NEXT) | instid1(SALU_CYCLE_1)
	s_or_b32 s37, s0, s37
	s_and_not1_b32 exec_lo, exec_lo, s37
	s_cbranch_execz .LBB1723_278
.LBB1723_276:                           ; =>This Inner Loop Header: Depth=1
	s_or_b32 s38, s38, exec_lo
	s_cmp_eq_u64 s[4:5], s[6:7]
	s_cbranch_scc0 .LBB1723_274
; %bb.277:                              ;   in Loop: Header=BB1723_276 Depth=1
	s_mov_b64 s[6:7], s[14:15]
                                        ; implicit-def: $vgpr35_vgpr36
                                        ; implicit-def: $vgpr37_vgpr38
	s_branch .LBB1723_275
.LBB1723_278:
	s_set_inst_prefetch_distance 0x2
	s_or_b32 exec_lo, exec_lo, s37
	v_cmp_gt_i64_e32 vcc_lo, s[14:15], v[39:40]
	s_or_not1_b32 s0, vcc_lo, exec_lo
.LBB1723_279:
	s_or_b32 exec_lo, exec_lo, s36
.LBB1723_280:
	v_cndmask_b32_e64 v36, 0, 1, s35
	v_cndmask_b32_e64 v37, 0, 1, s27
	;; [unrolled: 1-line block ×7, first 2 shown]
	v_lshlrev_b16 v37, 8, v37
	v_lshlrev_b16 v38, 8, v38
	;; [unrolled: 1-line block ×4, first 2 shown]
	s_waitcnt lgkmcnt(0)
	v_or_b32_e32 v37, v40, v37
	v_or_b32_e32 v38, v41, v38
	v_or_b32_e32 v39, 1, v39
	v_or_b32_e32 v35, v35, v36
	s_barrier
	v_and_b32_e32 v36, 0xffff, v37
	v_lshlrev_b32_e32 v37, 16, v38
	v_and_b32_e32 v38, 0xffff, v39
	v_lshlrev_b32_e32 v35, 16, v35
	buffer_gl0_inv
                                        ; implicit-def: $sgpr0
	v_or_b32_e32 v36, v36, v37
	v_or_b32_e32 v35, v38, v35
	s_and_saveexec_b32 s4, s3
	s_delay_alu instid0(SALU_CYCLE_1)
	s_xor_b32 s24, exec_lo, s4
	s_cbranch_execz .LBB1723_291
; %bb.281:
	s_and_not1_b32 vcc_lo, exec_lo, s13
	s_mov_b32 s0, 0
	s_cbranch_vccnz .LBB1723_290
; %bb.282:
	v_add_nc_u32_e32 v37, -8, v55
	v_lshlrev_b64 v[33:34], 3, v[33:34]
	s_mov_b32 s0, -1
	s_mov_b32 s25, exec_lo
	ds_load_b64 v[37:38], v37
	s_waitcnt lgkmcnt(0)
	v_mul_lo_u32 v40, v38, s14
	v_mul_lo_u32 v41, v37, s15
	v_mad_u64_u32 v[38:39], null, v37, s14, 0
	s_delay_alu instid0(VALU_DEP_1) | instskip(NEXT) | instid1(VALU_DEP_1)
	v_add3_u32 v39, v39, v41, v40
	v_lshlrev_b64 v[37:38], 3, v[38:39]
	s_delay_alu instid0(VALU_DEP_1) | instskip(NEXT) | instid1(VALU_DEP_2)
	v_add_co_u32 v37, vcc_lo, s20, v37
	v_add_co_ci_u32_e32 v38, vcc_lo, s21, v38, vcc_lo
	v_add_co_u32 v33, vcc_lo, s20, v33
	v_add_co_ci_u32_e32 v34, vcc_lo, s21, v34, vcc_lo
	s_clause 0x1
	global_load_b64 v[39:40], v[37:38], off
	global_load_b64 v[41:42], v[33:34], off
	s_waitcnt vmcnt(0)
	v_cmpx_eq_u64_e64 v[39:40], v[41:42]
	s_cbranch_execz .LBB1723_289
; %bb.283:
	v_add_co_u32 v33, vcc_lo, v33, 8
	v_add_co_ci_u32_e32 v34, vcc_lo, 0, v34, vcc_lo
	v_add_co_u32 v37, vcc_lo, v37, 8
	v_add_co_ci_u32_e32 v38, vcc_lo, 0, v38, vcc_lo
	s_add_u32 s4, s14, -1
	s_addc_u32 s5, s15, -1
	s_mov_b64 s[6:7], 0
	s_mov_b32 s26, 0
                                        ; implicit-def: $sgpr27
	s_set_inst_prefetch_distance 0x1
	s_branch .LBB1723_286
	.p2align	6
.LBB1723_284:                           ;   in Loop: Header=BB1723_286 Depth=1
	global_load_b64 v[39:40], v[37:38], off
	global_load_b64 v[41:42], v[33:34], off
	v_add_co_u32 v33, vcc_lo, v33, 8
	v_add_co_ci_u32_e32 v34, vcc_lo, 0, v34, vcc_lo
	v_add_co_u32 v37, s0, v37, 8
	s_delay_alu instid0(VALU_DEP_1)
	v_add_co_ci_u32_e64 v38, s0, 0, v38, s0
	s_add_u32 s6, s6, 1
	s_addc_u32 s7, s7, 0
	s_and_not1_b32 s0, s27, exec_lo
	s_waitcnt vmcnt(0)
	v_cmp_ne_u64_e32 vcc_lo, v[39:40], v[41:42]
	s_and_b32 s27, vcc_lo, exec_lo
	s_delay_alu instid0(SALU_CYCLE_1)
	s_or_b32 s27, s0, s27
.LBB1723_285:                           ;   in Loop: Header=BB1723_286 Depth=1
	v_dual_mov_b32 v40, s7 :: v_dual_mov_b32 v39, s6
	s_and_b32 s0, exec_lo, s27
	s_delay_alu instid0(SALU_CYCLE_1) | instskip(NEXT) | instid1(SALU_CYCLE_1)
	s_or_b32 s26, s0, s26
	s_and_not1_b32 exec_lo, exec_lo, s26
	s_cbranch_execz .LBB1723_288
.LBB1723_286:                           ; =>This Inner Loop Header: Depth=1
	s_or_b32 s27, s27, exec_lo
	s_cmp_eq_u64 s[4:5], s[6:7]
	s_cbranch_scc0 .LBB1723_284
; %bb.287:                              ;   in Loop: Header=BB1723_286 Depth=1
	s_mov_b64 s[6:7], s[14:15]
                                        ; implicit-def: $vgpr33_vgpr34
                                        ; implicit-def: $vgpr37_vgpr38
	s_branch .LBB1723_285
.LBB1723_288:
	s_set_inst_prefetch_distance 0x2
	s_or_b32 exec_lo, exec_lo, s26
	v_cmp_gt_i64_e32 vcc_lo, s[14:15], v[39:40]
	s_or_not1_b32 s0, vcc_lo, exec_lo
.LBB1723_289:
	s_or_b32 exec_lo, exec_lo, s25
.LBB1723_290:
	s_delay_alu instid0(SALU_CYCLE_1)
	s_and_b32 s0, s0, exec_lo
	s_or_b32 s1, s1, exec_lo
.LBB1723_291:
	s_or_b32 exec_lo, exec_lo, s24
	s_branch .LBB1723_383
.LBB1723_292:
	s_waitcnt vmcnt(0) lgkmcnt(1)
	v_or_b32_e32 v33, 7, v55
	s_mov_b32 s24, 0
	s_mov_b32 s25, 0
	s_mov_b32 s26, exec_lo
	s_delay_alu instid0(VALU_DEP_1)
	v_cmpx_gt_u32_e64 s31, v33
	s_cbranch_execz .LBB1723_303
; %bb.293:
	s_and_not1_b32 vcc_lo, exec_lo, s13
	s_mov_b32 s0, 0
	s_cbranch_vccnz .LBB1723_302
; %bb.294:
	v_mul_lo_u32 v37, v18, s14
	v_mul_lo_u32 v38, v17, s15
	v_mad_u64_u32 v[33:34], null, v17, s14, 0
	v_mul_lo_u32 v39, v20, s14
	v_mul_lo_u32 v40, v19, s15
	v_mad_u64_u32 v[35:36], null, v19, s14, 0
	s_mov_b32 s0, -1
	s_mov_b32 s25, exec_lo
	s_delay_alu instid0(VALU_DEP_4) | instskip(NEXT) | instid1(VALU_DEP_2)
	v_add3_u32 v34, v34, v38, v37
	v_add3_u32 v36, v36, v40, v39
	s_delay_alu instid0(VALU_DEP_2) | instskip(NEXT) | instid1(VALU_DEP_2)
	v_lshlrev_b64 v[33:34], 3, v[33:34]
	v_lshlrev_b64 v[37:38], 3, v[35:36]
	s_delay_alu instid0(VALU_DEP_2) | instskip(NEXT) | instid1(VALU_DEP_3)
	v_add_co_u32 v35, vcc_lo, s20, v33
	v_add_co_ci_u32_e32 v36, vcc_lo, s21, v34, vcc_lo
	s_delay_alu instid0(VALU_DEP_3) | instskip(NEXT) | instid1(VALU_DEP_4)
	v_add_co_u32 v33, vcc_lo, s20, v37
	v_add_co_ci_u32_e32 v34, vcc_lo, s21, v38, vcc_lo
	s_clause 0x1
	global_load_b64 v[37:38], v[35:36], off
	global_load_b64 v[39:40], v[33:34], off
	s_waitcnt vmcnt(0)
	v_cmpx_eq_u64_e64 v[37:38], v[39:40]
	s_cbranch_execz .LBB1723_301
; %bb.295:
	v_add_co_u32 v33, vcc_lo, v33, 8
	v_add_co_ci_u32_e32 v34, vcc_lo, 0, v34, vcc_lo
	v_add_co_u32 v35, vcc_lo, v35, 8
	v_add_co_ci_u32_e32 v36, vcc_lo, 0, v36, vcc_lo
	s_add_u32 s4, s14, -1
	s_addc_u32 s5, s15, -1
	s_mov_b64 s[6:7], 0
	s_mov_b32 s27, 0
                                        ; implicit-def: $sgpr34
	s_set_inst_prefetch_distance 0x1
	s_branch .LBB1723_298
	.p2align	6
.LBB1723_296:                           ;   in Loop: Header=BB1723_298 Depth=1
	global_load_b64 v[37:38], v[35:36], off
	global_load_b64 v[39:40], v[33:34], off
	v_add_co_u32 v33, vcc_lo, v33, 8
	v_add_co_ci_u32_e32 v34, vcc_lo, 0, v34, vcc_lo
	v_add_co_u32 v35, s0, v35, 8
	s_delay_alu instid0(VALU_DEP_1)
	v_add_co_ci_u32_e64 v36, s0, 0, v36, s0
	s_add_u32 s6, s6, 1
	s_addc_u32 s7, s7, 0
	s_and_not1_b32 s0, s34, exec_lo
	s_waitcnt vmcnt(0)
	v_cmp_ne_u64_e32 vcc_lo, v[37:38], v[39:40]
	s_and_b32 s34, vcc_lo, exec_lo
	s_delay_alu instid0(SALU_CYCLE_1)
	s_or_b32 s34, s0, s34
.LBB1723_297:                           ;   in Loop: Header=BB1723_298 Depth=1
	v_dual_mov_b32 v38, s7 :: v_dual_mov_b32 v37, s6
	s_and_b32 s0, exec_lo, s34
	s_delay_alu instid0(SALU_CYCLE_1) | instskip(NEXT) | instid1(SALU_CYCLE_1)
	s_or_b32 s27, s0, s27
	s_and_not1_b32 exec_lo, exec_lo, s27
	s_cbranch_execz .LBB1723_300
.LBB1723_298:                           ; =>This Inner Loop Header: Depth=1
	s_or_b32 s34, s34, exec_lo
	s_cmp_eq_u64 s[4:5], s[6:7]
	s_cbranch_scc0 .LBB1723_296
; %bb.299:                              ;   in Loop: Header=BB1723_298 Depth=1
	s_mov_b64 s[6:7], s[14:15]
                                        ; implicit-def: $vgpr33_vgpr34
                                        ; implicit-def: $vgpr35_vgpr36
	s_branch .LBB1723_297
.LBB1723_300:
	s_set_inst_prefetch_distance 0x2
	s_or_b32 exec_lo, exec_lo, s27
	v_cmp_gt_i64_e32 vcc_lo, s[14:15], v[37:38]
	s_or_not1_b32 s0, vcc_lo, exec_lo
.LBB1723_301:
	s_or_b32 exec_lo, exec_lo, s25
.LBB1723_302:
	s_delay_alu instid0(SALU_CYCLE_1)
	s_and_b32 s25, s0, exec_lo
.LBB1723_303:
	s_or_b32 exec_lo, exec_lo, s26
	v_or_b32_e32 v33, 6, v55
	s_mov_b32 s26, exec_lo
	s_delay_alu instid0(VALU_DEP_1)
	v_cmpx_gt_u32_e64 s31, v33
	s_cbranch_execz .LBB1723_314
; %bb.304:
	s_and_not1_b32 vcc_lo, exec_lo, s13
	s_mov_b32 s0, 0
	s_cbranch_vccnz .LBB1723_313
; %bb.305:
	v_mul_lo_u32 v37, v24, s14
	v_mul_lo_u32 v38, v23, s15
	v_mad_u64_u32 v[33:34], null, v23, s14, 0
	v_mul_lo_u32 v39, v18, s14
	v_mul_lo_u32 v40, v17, s15
	v_mad_u64_u32 v[35:36], null, v17, s14, 0
	s_mov_b32 s0, -1
	s_mov_b32 s24, exec_lo
	s_delay_alu instid0(VALU_DEP_4) | instskip(NEXT) | instid1(VALU_DEP_2)
	v_add3_u32 v34, v34, v38, v37
	v_add3_u32 v36, v36, v40, v39
	s_delay_alu instid0(VALU_DEP_2) | instskip(NEXT) | instid1(VALU_DEP_2)
	v_lshlrev_b64 v[33:34], 3, v[33:34]
	v_lshlrev_b64 v[37:38], 3, v[35:36]
	s_delay_alu instid0(VALU_DEP_2) | instskip(NEXT) | instid1(VALU_DEP_3)
	v_add_co_u32 v35, vcc_lo, s20, v33
	v_add_co_ci_u32_e32 v36, vcc_lo, s21, v34, vcc_lo
	s_delay_alu instid0(VALU_DEP_3) | instskip(NEXT) | instid1(VALU_DEP_4)
	v_add_co_u32 v33, vcc_lo, s20, v37
	v_add_co_ci_u32_e32 v34, vcc_lo, s21, v38, vcc_lo
	s_clause 0x1
	global_load_b64 v[37:38], v[35:36], off
	global_load_b64 v[39:40], v[33:34], off
	s_waitcnt vmcnt(0)
	v_cmpx_eq_u64_e64 v[37:38], v[39:40]
	s_cbranch_execz .LBB1723_312
; %bb.306:
	v_add_co_u32 v33, vcc_lo, v33, 8
	v_add_co_ci_u32_e32 v34, vcc_lo, 0, v34, vcc_lo
	v_add_co_u32 v35, vcc_lo, v35, 8
	v_add_co_ci_u32_e32 v36, vcc_lo, 0, v36, vcc_lo
	s_add_u32 s4, s14, -1
	s_addc_u32 s5, s15, -1
	s_mov_b64 s[6:7], 0
	s_mov_b32 s27, 0
                                        ; implicit-def: $sgpr34
	s_set_inst_prefetch_distance 0x1
	s_branch .LBB1723_309
	.p2align	6
.LBB1723_307:                           ;   in Loop: Header=BB1723_309 Depth=1
	global_load_b64 v[37:38], v[35:36], off
	global_load_b64 v[39:40], v[33:34], off
	v_add_co_u32 v33, vcc_lo, v33, 8
	v_add_co_ci_u32_e32 v34, vcc_lo, 0, v34, vcc_lo
	v_add_co_u32 v35, s0, v35, 8
	s_delay_alu instid0(VALU_DEP_1)
	v_add_co_ci_u32_e64 v36, s0, 0, v36, s0
	s_add_u32 s6, s6, 1
	s_addc_u32 s7, s7, 0
	s_and_not1_b32 s0, s34, exec_lo
	s_waitcnt vmcnt(0)
	v_cmp_ne_u64_e32 vcc_lo, v[37:38], v[39:40]
	s_and_b32 s34, vcc_lo, exec_lo
	s_delay_alu instid0(SALU_CYCLE_1)
	s_or_b32 s34, s0, s34
.LBB1723_308:                           ;   in Loop: Header=BB1723_309 Depth=1
	v_dual_mov_b32 v38, s7 :: v_dual_mov_b32 v37, s6
	s_and_b32 s0, exec_lo, s34
	s_delay_alu instid0(SALU_CYCLE_1) | instskip(NEXT) | instid1(SALU_CYCLE_1)
	s_or_b32 s27, s0, s27
	s_and_not1_b32 exec_lo, exec_lo, s27
	s_cbranch_execz .LBB1723_311
.LBB1723_309:                           ; =>This Inner Loop Header: Depth=1
	s_or_b32 s34, s34, exec_lo
	s_cmp_eq_u64 s[4:5], s[6:7]
	s_cbranch_scc0 .LBB1723_307
; %bb.310:                              ;   in Loop: Header=BB1723_309 Depth=1
	s_mov_b64 s[6:7], s[14:15]
                                        ; implicit-def: $vgpr33_vgpr34
                                        ; implicit-def: $vgpr35_vgpr36
	s_branch .LBB1723_308
.LBB1723_311:
	s_set_inst_prefetch_distance 0x2
	s_or_b32 exec_lo, exec_lo, s27
	v_cmp_gt_i64_e32 vcc_lo, s[14:15], v[37:38]
	s_or_not1_b32 s0, vcc_lo, exec_lo
.LBB1723_312:
	s_or_b32 exec_lo, exec_lo, s24
.LBB1723_313:
	s_delay_alu instid0(SALU_CYCLE_1)
	s_and_b32 s24, s0, exec_lo
.LBB1723_314:
	s_or_b32 exec_lo, exec_lo, s26
	v_or_b32_e32 v33, 5, v55
	s_mov_b32 s26, 0
	s_mov_b32 s27, 0
	s_mov_b32 s34, exec_lo
	s_delay_alu instid0(VALU_DEP_1)
	v_cmpx_gt_u32_e64 s31, v33
	s_cbranch_execz .LBB1723_325
; %bb.315:
	s_and_not1_b32 vcc_lo, exec_lo, s13
	s_mov_b32 s0, 0
	s_cbranch_vccnz .LBB1723_324
; %bb.316:
	v_mul_lo_u32 v37, v22, s14
	v_mul_lo_u32 v38, v21, s15
	v_mad_u64_u32 v[33:34], null, v21, s14, 0
	v_mul_lo_u32 v39, v24, s14
	v_mul_lo_u32 v40, v23, s15
	v_mad_u64_u32 v[35:36], null, v23, s14, 0
	s_mov_b32 s0, -1
	s_mov_b32 s27, exec_lo
	s_delay_alu instid0(VALU_DEP_4) | instskip(NEXT) | instid1(VALU_DEP_2)
	v_add3_u32 v34, v34, v38, v37
	v_add3_u32 v36, v36, v40, v39
	s_delay_alu instid0(VALU_DEP_2) | instskip(NEXT) | instid1(VALU_DEP_2)
	v_lshlrev_b64 v[33:34], 3, v[33:34]
	v_lshlrev_b64 v[37:38], 3, v[35:36]
	s_delay_alu instid0(VALU_DEP_2) | instskip(NEXT) | instid1(VALU_DEP_3)
	v_add_co_u32 v35, vcc_lo, s20, v33
	v_add_co_ci_u32_e32 v36, vcc_lo, s21, v34, vcc_lo
	s_delay_alu instid0(VALU_DEP_3) | instskip(NEXT) | instid1(VALU_DEP_4)
	v_add_co_u32 v33, vcc_lo, s20, v37
	v_add_co_ci_u32_e32 v34, vcc_lo, s21, v38, vcc_lo
	s_clause 0x1
	global_load_b64 v[37:38], v[35:36], off
	global_load_b64 v[39:40], v[33:34], off
	s_waitcnt vmcnt(0)
	v_cmpx_eq_u64_e64 v[37:38], v[39:40]
	s_cbranch_execz .LBB1723_323
; %bb.317:
	v_add_co_u32 v33, vcc_lo, v33, 8
	v_add_co_ci_u32_e32 v34, vcc_lo, 0, v34, vcc_lo
	v_add_co_u32 v35, vcc_lo, v35, 8
	v_add_co_ci_u32_e32 v36, vcc_lo, 0, v36, vcc_lo
	s_add_u32 s4, s14, -1
	s_addc_u32 s5, s15, -1
	s_mov_b64 s[6:7], 0
	s_mov_b32 s35, 0
                                        ; implicit-def: $sgpr36
	s_set_inst_prefetch_distance 0x1
	s_branch .LBB1723_320
	.p2align	6
.LBB1723_318:                           ;   in Loop: Header=BB1723_320 Depth=1
	global_load_b64 v[37:38], v[35:36], off
	global_load_b64 v[39:40], v[33:34], off
	v_add_co_u32 v33, vcc_lo, v33, 8
	v_add_co_ci_u32_e32 v34, vcc_lo, 0, v34, vcc_lo
	v_add_co_u32 v35, s0, v35, 8
	s_delay_alu instid0(VALU_DEP_1)
	v_add_co_ci_u32_e64 v36, s0, 0, v36, s0
	s_add_u32 s6, s6, 1
	s_addc_u32 s7, s7, 0
	s_and_not1_b32 s0, s36, exec_lo
	s_waitcnt vmcnt(0)
	v_cmp_ne_u64_e32 vcc_lo, v[37:38], v[39:40]
	s_and_b32 s36, vcc_lo, exec_lo
	s_delay_alu instid0(SALU_CYCLE_1)
	s_or_b32 s36, s0, s36
.LBB1723_319:                           ;   in Loop: Header=BB1723_320 Depth=1
	v_dual_mov_b32 v38, s7 :: v_dual_mov_b32 v37, s6
	s_and_b32 s0, exec_lo, s36
	s_delay_alu instid0(SALU_CYCLE_1) | instskip(NEXT) | instid1(SALU_CYCLE_1)
	s_or_b32 s35, s0, s35
	s_and_not1_b32 exec_lo, exec_lo, s35
	s_cbranch_execz .LBB1723_322
.LBB1723_320:                           ; =>This Inner Loop Header: Depth=1
	s_or_b32 s36, s36, exec_lo
	s_cmp_eq_u64 s[4:5], s[6:7]
	s_cbranch_scc0 .LBB1723_318
; %bb.321:                              ;   in Loop: Header=BB1723_320 Depth=1
	s_mov_b64 s[6:7], s[14:15]
                                        ; implicit-def: $vgpr33_vgpr34
                                        ; implicit-def: $vgpr35_vgpr36
	s_branch .LBB1723_319
.LBB1723_322:
	s_set_inst_prefetch_distance 0x2
	s_or_b32 exec_lo, exec_lo, s35
	v_cmp_gt_i64_e32 vcc_lo, s[14:15], v[37:38]
	s_or_not1_b32 s0, vcc_lo, exec_lo
.LBB1723_323:
	s_or_b32 exec_lo, exec_lo, s27
.LBB1723_324:
	s_delay_alu instid0(SALU_CYCLE_1)
	s_and_b32 s27, s0, exec_lo
.LBB1723_325:
	s_or_b32 exec_lo, exec_lo, s34
	v_or_b32_e32 v33, 4, v55
	s_mov_b32 s34, exec_lo
	s_delay_alu instid0(VALU_DEP_1)
	v_cmpx_gt_u32_e64 s31, v33
	s_cbranch_execz .LBB1723_336
; %bb.326:
	s_and_not1_b32 vcc_lo, exec_lo, s13
	s_mov_b32 s0, 0
	s_cbranch_vccnz .LBB1723_335
; %bb.327:
	v_mul_lo_u32 v37, v28, s14
	v_mul_lo_u32 v38, v27, s15
	v_mad_u64_u32 v[33:34], null, v27, s14, 0
	v_mul_lo_u32 v39, v22, s14
	v_mul_lo_u32 v40, v21, s15
	v_mad_u64_u32 v[35:36], null, v21, s14, 0
	s_mov_b32 s0, -1
	s_mov_b32 s26, exec_lo
	s_delay_alu instid0(VALU_DEP_4) | instskip(NEXT) | instid1(VALU_DEP_2)
	v_add3_u32 v34, v34, v38, v37
	v_add3_u32 v36, v36, v40, v39
	s_delay_alu instid0(VALU_DEP_2) | instskip(NEXT) | instid1(VALU_DEP_2)
	v_lshlrev_b64 v[33:34], 3, v[33:34]
	v_lshlrev_b64 v[37:38], 3, v[35:36]
	s_delay_alu instid0(VALU_DEP_2) | instskip(NEXT) | instid1(VALU_DEP_3)
	v_add_co_u32 v35, vcc_lo, s20, v33
	v_add_co_ci_u32_e32 v36, vcc_lo, s21, v34, vcc_lo
	s_delay_alu instid0(VALU_DEP_3) | instskip(NEXT) | instid1(VALU_DEP_4)
	v_add_co_u32 v33, vcc_lo, s20, v37
	v_add_co_ci_u32_e32 v34, vcc_lo, s21, v38, vcc_lo
	s_clause 0x1
	global_load_b64 v[37:38], v[35:36], off
	global_load_b64 v[39:40], v[33:34], off
	s_waitcnt vmcnt(0)
	v_cmpx_eq_u64_e64 v[37:38], v[39:40]
	s_cbranch_execz .LBB1723_334
; %bb.328:
	v_add_co_u32 v33, vcc_lo, v33, 8
	v_add_co_ci_u32_e32 v34, vcc_lo, 0, v34, vcc_lo
	v_add_co_u32 v35, vcc_lo, v35, 8
	v_add_co_ci_u32_e32 v36, vcc_lo, 0, v36, vcc_lo
	s_add_u32 s4, s14, -1
	s_addc_u32 s5, s15, -1
	s_mov_b64 s[6:7], 0
	s_mov_b32 s35, 0
                                        ; implicit-def: $sgpr36
	s_set_inst_prefetch_distance 0x1
	s_branch .LBB1723_331
	.p2align	6
.LBB1723_329:                           ;   in Loop: Header=BB1723_331 Depth=1
	global_load_b64 v[37:38], v[35:36], off
	global_load_b64 v[39:40], v[33:34], off
	v_add_co_u32 v33, vcc_lo, v33, 8
	v_add_co_ci_u32_e32 v34, vcc_lo, 0, v34, vcc_lo
	v_add_co_u32 v35, s0, v35, 8
	s_delay_alu instid0(VALU_DEP_1)
	v_add_co_ci_u32_e64 v36, s0, 0, v36, s0
	s_add_u32 s6, s6, 1
	s_addc_u32 s7, s7, 0
	s_and_not1_b32 s0, s36, exec_lo
	s_waitcnt vmcnt(0)
	v_cmp_ne_u64_e32 vcc_lo, v[37:38], v[39:40]
	s_and_b32 s36, vcc_lo, exec_lo
	s_delay_alu instid0(SALU_CYCLE_1)
	s_or_b32 s36, s0, s36
.LBB1723_330:                           ;   in Loop: Header=BB1723_331 Depth=1
	v_dual_mov_b32 v38, s7 :: v_dual_mov_b32 v37, s6
	s_and_b32 s0, exec_lo, s36
	s_delay_alu instid0(SALU_CYCLE_1) | instskip(NEXT) | instid1(SALU_CYCLE_1)
	s_or_b32 s35, s0, s35
	s_and_not1_b32 exec_lo, exec_lo, s35
	s_cbranch_execz .LBB1723_333
.LBB1723_331:                           ; =>This Inner Loop Header: Depth=1
	s_or_b32 s36, s36, exec_lo
	s_cmp_eq_u64 s[4:5], s[6:7]
	s_cbranch_scc0 .LBB1723_329
; %bb.332:                              ;   in Loop: Header=BB1723_331 Depth=1
	s_mov_b64 s[6:7], s[14:15]
                                        ; implicit-def: $vgpr33_vgpr34
                                        ; implicit-def: $vgpr35_vgpr36
	s_branch .LBB1723_330
.LBB1723_333:
	s_set_inst_prefetch_distance 0x2
	s_or_b32 exec_lo, exec_lo, s35
	v_cmp_gt_i64_e32 vcc_lo, s[14:15], v[37:38]
	s_or_not1_b32 s0, vcc_lo, exec_lo
.LBB1723_334:
	s_or_b32 exec_lo, exec_lo, s26
.LBB1723_335:
	s_delay_alu instid0(SALU_CYCLE_1)
	s_and_b32 s26, s0, exec_lo
.LBB1723_336:
	s_or_b32 exec_lo, exec_lo, s34
	v_or_b32_e32 v33, 3, v55
	s_mov_b32 s35, 0
	s_mov_b32 s34, 0
	s_mov_b32 s36, exec_lo
	s_delay_alu instid0(VALU_DEP_1)
	v_cmpx_gt_u32_e64 s31, v33
	s_cbranch_execz .LBB1723_347
; %bb.337:
	s_and_not1_b32 vcc_lo, exec_lo, s13
	s_mov_b32 s0, 0
	s_cbranch_vccnz .LBB1723_346
; %bb.338:
	v_mul_lo_u32 v37, v26, s14
	v_mul_lo_u32 v38, v25, s15
	v_mad_u64_u32 v[33:34], null, v25, s14, 0
	v_mul_lo_u32 v39, v28, s14
	v_mul_lo_u32 v40, v27, s15
	v_mad_u64_u32 v[35:36], null, v27, s14, 0
	s_mov_b32 s0, -1
	s_mov_b32 s34, exec_lo
	s_delay_alu instid0(VALU_DEP_4) | instskip(NEXT) | instid1(VALU_DEP_2)
	v_add3_u32 v34, v34, v38, v37
	v_add3_u32 v36, v36, v40, v39
	s_delay_alu instid0(VALU_DEP_2) | instskip(NEXT) | instid1(VALU_DEP_2)
	v_lshlrev_b64 v[33:34], 3, v[33:34]
	v_lshlrev_b64 v[37:38], 3, v[35:36]
	s_delay_alu instid0(VALU_DEP_2) | instskip(NEXT) | instid1(VALU_DEP_3)
	v_add_co_u32 v35, vcc_lo, s20, v33
	v_add_co_ci_u32_e32 v36, vcc_lo, s21, v34, vcc_lo
	s_delay_alu instid0(VALU_DEP_3) | instskip(NEXT) | instid1(VALU_DEP_4)
	v_add_co_u32 v33, vcc_lo, s20, v37
	v_add_co_ci_u32_e32 v34, vcc_lo, s21, v38, vcc_lo
	s_clause 0x1
	global_load_b64 v[37:38], v[35:36], off
	global_load_b64 v[39:40], v[33:34], off
	s_waitcnt vmcnt(0)
	v_cmpx_eq_u64_e64 v[37:38], v[39:40]
	s_cbranch_execz .LBB1723_345
; %bb.339:
	v_add_co_u32 v33, vcc_lo, v33, 8
	v_add_co_ci_u32_e32 v34, vcc_lo, 0, v34, vcc_lo
	v_add_co_u32 v35, vcc_lo, v35, 8
	v_add_co_ci_u32_e32 v36, vcc_lo, 0, v36, vcc_lo
	s_add_u32 s4, s14, -1
	s_addc_u32 s5, s15, -1
	s_mov_b64 s[6:7], 0
	s_mov_b32 s37, 0
                                        ; implicit-def: $sgpr38
	s_set_inst_prefetch_distance 0x1
	s_branch .LBB1723_342
	.p2align	6
.LBB1723_340:                           ;   in Loop: Header=BB1723_342 Depth=1
	global_load_b64 v[37:38], v[35:36], off
	global_load_b64 v[39:40], v[33:34], off
	v_add_co_u32 v33, vcc_lo, v33, 8
	v_add_co_ci_u32_e32 v34, vcc_lo, 0, v34, vcc_lo
	v_add_co_u32 v35, s0, v35, 8
	s_delay_alu instid0(VALU_DEP_1)
	v_add_co_ci_u32_e64 v36, s0, 0, v36, s0
	s_add_u32 s6, s6, 1
	s_addc_u32 s7, s7, 0
	s_and_not1_b32 s0, s38, exec_lo
	s_waitcnt vmcnt(0)
	v_cmp_ne_u64_e32 vcc_lo, v[37:38], v[39:40]
	s_and_b32 s38, vcc_lo, exec_lo
	s_delay_alu instid0(SALU_CYCLE_1)
	s_or_b32 s38, s0, s38
.LBB1723_341:                           ;   in Loop: Header=BB1723_342 Depth=1
	v_dual_mov_b32 v38, s7 :: v_dual_mov_b32 v37, s6
	s_and_b32 s0, exec_lo, s38
	s_delay_alu instid0(SALU_CYCLE_1) | instskip(NEXT) | instid1(SALU_CYCLE_1)
	s_or_b32 s37, s0, s37
	s_and_not1_b32 exec_lo, exec_lo, s37
	s_cbranch_execz .LBB1723_344
.LBB1723_342:                           ; =>This Inner Loop Header: Depth=1
	s_or_b32 s38, s38, exec_lo
	s_cmp_eq_u64 s[4:5], s[6:7]
	s_cbranch_scc0 .LBB1723_340
; %bb.343:                              ;   in Loop: Header=BB1723_342 Depth=1
	s_mov_b64 s[6:7], s[14:15]
                                        ; implicit-def: $vgpr33_vgpr34
                                        ; implicit-def: $vgpr35_vgpr36
	s_branch .LBB1723_341
.LBB1723_344:
	s_set_inst_prefetch_distance 0x2
	s_or_b32 exec_lo, exec_lo, s37
	v_cmp_gt_i64_e32 vcc_lo, s[14:15], v[37:38]
	s_or_not1_b32 s0, vcc_lo, exec_lo
.LBB1723_345:
	s_or_b32 exec_lo, exec_lo, s34
.LBB1723_346:
	s_delay_alu instid0(SALU_CYCLE_1)
	s_and_b32 s34, s0, exec_lo
.LBB1723_347:
	s_or_b32 exec_lo, exec_lo, s36
	v_or_b32_e32 v33, 2, v55
	s_mov_b32 s36, exec_lo
	s_delay_alu instid0(VALU_DEP_1)
	v_cmpx_gt_u32_e64 s31, v33
	s_cbranch_execz .LBB1723_358
; %bb.348:
	s_and_not1_b32 vcc_lo, exec_lo, s13
	s_mov_b32 s0, 0
	s_cbranch_vccnz .LBB1723_357
; %bb.349:
	v_mul_lo_u32 v37, v32, s14
	v_mul_lo_u32 v38, v31, s15
	v_mad_u64_u32 v[33:34], null, v31, s14, 0
	v_mul_lo_u32 v39, v26, s14
	v_mul_lo_u32 v40, v25, s15
	v_mad_u64_u32 v[35:36], null, v25, s14, 0
	s_mov_b32 s0, -1
	s_mov_b32 s35, exec_lo
	s_delay_alu instid0(VALU_DEP_4) | instskip(NEXT) | instid1(VALU_DEP_2)
	v_add3_u32 v34, v34, v38, v37
	v_add3_u32 v36, v36, v40, v39
	s_delay_alu instid0(VALU_DEP_2) | instskip(NEXT) | instid1(VALU_DEP_2)
	v_lshlrev_b64 v[33:34], 3, v[33:34]
	v_lshlrev_b64 v[37:38], 3, v[35:36]
	s_delay_alu instid0(VALU_DEP_2) | instskip(NEXT) | instid1(VALU_DEP_3)
	v_add_co_u32 v35, vcc_lo, s20, v33
	v_add_co_ci_u32_e32 v36, vcc_lo, s21, v34, vcc_lo
	s_delay_alu instid0(VALU_DEP_3) | instskip(NEXT) | instid1(VALU_DEP_4)
	v_add_co_u32 v33, vcc_lo, s20, v37
	v_add_co_ci_u32_e32 v34, vcc_lo, s21, v38, vcc_lo
	s_clause 0x1
	global_load_b64 v[37:38], v[35:36], off
	global_load_b64 v[39:40], v[33:34], off
	s_waitcnt vmcnt(0)
	v_cmpx_eq_u64_e64 v[37:38], v[39:40]
	s_cbranch_execz .LBB1723_356
; %bb.350:
	v_add_co_u32 v33, vcc_lo, v33, 8
	v_add_co_ci_u32_e32 v34, vcc_lo, 0, v34, vcc_lo
	v_add_co_u32 v35, vcc_lo, v35, 8
	v_add_co_ci_u32_e32 v36, vcc_lo, 0, v36, vcc_lo
	s_add_u32 s4, s14, -1
	s_addc_u32 s5, s15, -1
	s_mov_b64 s[6:7], 0
	s_mov_b32 s37, 0
                                        ; implicit-def: $sgpr38
	s_set_inst_prefetch_distance 0x1
	s_branch .LBB1723_353
	.p2align	6
.LBB1723_351:                           ;   in Loop: Header=BB1723_353 Depth=1
	global_load_b64 v[37:38], v[35:36], off
	global_load_b64 v[39:40], v[33:34], off
	v_add_co_u32 v33, vcc_lo, v33, 8
	v_add_co_ci_u32_e32 v34, vcc_lo, 0, v34, vcc_lo
	v_add_co_u32 v35, s0, v35, 8
	s_delay_alu instid0(VALU_DEP_1)
	v_add_co_ci_u32_e64 v36, s0, 0, v36, s0
	s_add_u32 s6, s6, 1
	s_addc_u32 s7, s7, 0
	s_and_not1_b32 s0, s38, exec_lo
	s_waitcnt vmcnt(0)
	v_cmp_ne_u64_e32 vcc_lo, v[37:38], v[39:40]
	s_and_b32 s38, vcc_lo, exec_lo
	s_delay_alu instid0(SALU_CYCLE_1)
	s_or_b32 s38, s0, s38
.LBB1723_352:                           ;   in Loop: Header=BB1723_353 Depth=1
	v_dual_mov_b32 v38, s7 :: v_dual_mov_b32 v37, s6
	s_and_b32 s0, exec_lo, s38
	s_delay_alu instid0(SALU_CYCLE_1) | instskip(NEXT) | instid1(SALU_CYCLE_1)
	s_or_b32 s37, s0, s37
	s_and_not1_b32 exec_lo, exec_lo, s37
	s_cbranch_execz .LBB1723_355
.LBB1723_353:                           ; =>This Inner Loop Header: Depth=1
	s_or_b32 s38, s38, exec_lo
	s_cmp_eq_u64 s[4:5], s[6:7]
	s_cbranch_scc0 .LBB1723_351
; %bb.354:                              ;   in Loop: Header=BB1723_353 Depth=1
	s_mov_b64 s[6:7], s[14:15]
                                        ; implicit-def: $vgpr33_vgpr34
                                        ; implicit-def: $vgpr35_vgpr36
	s_branch .LBB1723_352
.LBB1723_355:
	s_set_inst_prefetch_distance 0x2
	s_or_b32 exec_lo, exec_lo, s37
	v_cmp_gt_i64_e32 vcc_lo, s[14:15], v[37:38]
	s_or_not1_b32 s0, vcc_lo, exec_lo
.LBB1723_356:
	s_or_b32 exec_lo, exec_lo, s35
.LBB1723_357:
	s_delay_alu instid0(SALU_CYCLE_1)
	s_and_b32 s35, s0, exec_lo
.LBB1723_358:
	s_or_b32 exec_lo, exec_lo, s36
	v_or_b32_e32 v33, 1, v55
	s_mov_b32 s0, 0
	s_mov_b32 s36, exec_lo
	s_delay_alu instid0(VALU_DEP_1)
	v_cmpx_gt_u32_e64 s31, v33
	s_cbranch_execz .LBB1723_369
; %bb.359:
	s_and_not1_b32 vcc_lo, exec_lo, s13
	s_cbranch_vccnz .LBB1723_368
; %bb.360:
	v_mul_lo_u32 v37, v30, s14
	v_mul_lo_u32 v38, v29, s15
	v_mad_u64_u32 v[33:34], null, v29, s14, 0
	v_mul_lo_u32 v39, v32, s14
	v_mul_lo_u32 v40, v31, s15
	v_mad_u64_u32 v[35:36], null, v31, s14, 0
	s_mov_b32 s0, -1
	s_mov_b32 s37, exec_lo
	s_delay_alu instid0(VALU_DEP_4) | instskip(NEXT) | instid1(VALU_DEP_2)
	v_add3_u32 v34, v34, v38, v37
	v_add3_u32 v36, v36, v40, v39
	s_delay_alu instid0(VALU_DEP_2) | instskip(NEXT) | instid1(VALU_DEP_2)
	v_lshlrev_b64 v[33:34], 3, v[33:34]
	v_lshlrev_b64 v[37:38], 3, v[35:36]
	s_delay_alu instid0(VALU_DEP_2) | instskip(NEXT) | instid1(VALU_DEP_3)
	v_add_co_u32 v35, vcc_lo, s20, v33
	v_add_co_ci_u32_e32 v36, vcc_lo, s21, v34, vcc_lo
	s_delay_alu instid0(VALU_DEP_3) | instskip(NEXT) | instid1(VALU_DEP_4)
	v_add_co_u32 v33, vcc_lo, s20, v37
	v_add_co_ci_u32_e32 v34, vcc_lo, s21, v38, vcc_lo
	s_clause 0x1
	global_load_b64 v[37:38], v[35:36], off
	global_load_b64 v[39:40], v[33:34], off
	s_waitcnt vmcnt(0)
	v_cmpx_eq_u64_e64 v[37:38], v[39:40]
	s_cbranch_execz .LBB1723_367
; %bb.361:
	v_add_co_u32 v33, vcc_lo, v33, 8
	v_add_co_ci_u32_e32 v34, vcc_lo, 0, v34, vcc_lo
	v_add_co_u32 v35, vcc_lo, v35, 8
	v_add_co_ci_u32_e32 v36, vcc_lo, 0, v36, vcc_lo
	s_add_u32 s4, s14, -1
	s_addc_u32 s5, s15, -1
	s_mov_b64 s[6:7], 0
	s_mov_b32 s38, 0
                                        ; implicit-def: $sgpr39
	s_set_inst_prefetch_distance 0x1
	s_branch .LBB1723_364
	.p2align	6
.LBB1723_362:                           ;   in Loop: Header=BB1723_364 Depth=1
	global_load_b64 v[37:38], v[35:36], off
	global_load_b64 v[39:40], v[33:34], off
	v_add_co_u32 v33, vcc_lo, v33, 8
	v_add_co_ci_u32_e32 v34, vcc_lo, 0, v34, vcc_lo
	v_add_co_u32 v35, s0, v35, 8
	s_delay_alu instid0(VALU_DEP_1)
	v_add_co_ci_u32_e64 v36, s0, 0, v36, s0
	s_add_u32 s6, s6, 1
	s_addc_u32 s7, s7, 0
	s_and_not1_b32 s0, s39, exec_lo
	s_waitcnt vmcnt(0)
	v_cmp_ne_u64_e32 vcc_lo, v[37:38], v[39:40]
	s_and_b32 s39, vcc_lo, exec_lo
	s_delay_alu instid0(SALU_CYCLE_1)
	s_or_b32 s39, s0, s39
.LBB1723_363:                           ;   in Loop: Header=BB1723_364 Depth=1
	v_dual_mov_b32 v38, s7 :: v_dual_mov_b32 v37, s6
	s_and_b32 s0, exec_lo, s39
	s_delay_alu instid0(SALU_CYCLE_1) | instskip(NEXT) | instid1(SALU_CYCLE_1)
	s_or_b32 s38, s0, s38
	s_and_not1_b32 exec_lo, exec_lo, s38
	s_cbranch_execz .LBB1723_366
.LBB1723_364:                           ; =>This Inner Loop Header: Depth=1
	s_or_b32 s39, s39, exec_lo
	s_cmp_eq_u64 s[4:5], s[6:7]
	s_cbranch_scc0 .LBB1723_362
; %bb.365:                              ;   in Loop: Header=BB1723_364 Depth=1
	s_mov_b64 s[6:7], s[14:15]
                                        ; implicit-def: $vgpr33_vgpr34
                                        ; implicit-def: $vgpr35_vgpr36
	s_branch .LBB1723_363
.LBB1723_366:
	s_set_inst_prefetch_distance 0x2
	s_or_b32 exec_lo, exec_lo, s38
	v_cmp_gt_i64_e32 vcc_lo, s[14:15], v[37:38]
	s_or_not1_b32 s0, vcc_lo, exec_lo
.LBB1723_367:
	s_or_b32 exec_lo, exec_lo, s37
.LBB1723_368:
	s_delay_alu instid0(SALU_CYCLE_1)
	s_and_b32 s0, s0, exec_lo
.LBB1723_369:
	s_or_b32 exec_lo, exec_lo, s36
	v_cndmask_b32_e64 v34, 0, 1, s34
	v_cndmask_b32_e64 v35, 0, 1, s27
	v_cndmask_b32_e64 v36, 0, 1, s25
	v_cndmask_b32_e64 v37, 0, 1, s0
	v_cndmask_b32_e64 v33, 0, 1, s35
	v_cndmask_b32_e64 v38, 0, 1, s26
	v_cndmask_b32_e64 v39, 0, 1, s24
	v_lshlrev_b16 v35, 8, v35
	v_lshlrev_b16 v36, 8, v36
	;; [unrolled: 1-line block ×4, first 2 shown]
	s_waitcnt lgkmcnt(0)
	v_or_b32_e32 v35, v38, v35
	v_or_b32_e32 v36, v39, v36
	;; [unrolled: 1-line block ×4, first 2 shown]
	s_barrier
	v_and_b32_e32 v34, 0xffff, v35
	v_lshlrev_b32_e32 v35, 16, v36
	v_and_b32_e32 v37, 0xffff, v37
	v_lshlrev_b32_e32 v33, 16, v33
	buffer_gl0_inv
                                        ; implicit-def: $sgpr0
	v_or_b32_e32 v36, v34, v35
	v_or_b32_e32 v35, v37, v33
	s_and_saveexec_b32 s24, s3
	s_cbranch_execz .LBB1723_382
; %bb.370:
	s_mov_b32 s0, 0
	s_mov_b32 s3, exec_lo
	v_cmpx_gt_u32_e64 s31, v55
	s_cbranch_execz .LBB1723_381
; %bb.371:
	s_and_not1_b32 vcc_lo, exec_lo, s13
	s_cbranch_vccnz .LBB1723_380
; %bb.372:
	v_add_nc_u32_e32 v33, -8, v55
	v_mul_lo_u32 v41, v30, s14
	v_mul_lo_u32 v42, v29, s15
	s_mov_b32 s0, -1
	s_mov_b32 s13, exec_lo
	ds_load_b64 v[33:34], v33
	s_waitcnt lgkmcnt(0)
	v_mul_lo_u32 v39, v34, s14
	v_mul_lo_u32 v40, v33, s15
	v_mad_u64_u32 v[37:38], null, v33, s14, 0
	v_mad_u64_u32 v[33:34], null, v29, s14, 0
	s_delay_alu instid0(VALU_DEP_2) | instskip(NEXT) | instid1(VALU_DEP_2)
	v_add3_u32 v38, v38, v40, v39
	v_add3_u32 v34, v34, v42, v41
	s_delay_alu instid0(VALU_DEP_2) | instskip(NEXT) | instid1(VALU_DEP_2)
	v_lshlrev_b64 v[37:38], 3, v[37:38]
	v_lshlrev_b64 v[33:34], 3, v[33:34]
	s_delay_alu instid0(VALU_DEP_2) | instskip(NEXT) | instid1(VALU_DEP_3)
	v_add_co_u32 v37, vcc_lo, s20, v37
	v_add_co_ci_u32_e32 v38, vcc_lo, s21, v38, vcc_lo
	s_delay_alu instid0(VALU_DEP_3) | instskip(NEXT) | instid1(VALU_DEP_4)
	v_add_co_u32 v33, vcc_lo, s20, v33
	v_add_co_ci_u32_e32 v34, vcc_lo, s21, v34, vcc_lo
	s_clause 0x1
	global_load_b64 v[39:40], v[37:38], off
	global_load_b64 v[41:42], v[33:34], off
	s_waitcnt vmcnt(0)
	v_cmpx_eq_u64_e64 v[39:40], v[41:42]
	s_cbranch_execz .LBB1723_379
; %bb.373:
	v_add_co_u32 v33, vcc_lo, v33, 8
	v_add_co_ci_u32_e32 v34, vcc_lo, 0, v34, vcc_lo
	v_add_co_u32 v37, vcc_lo, v37, 8
	v_add_co_ci_u32_e32 v38, vcc_lo, 0, v38, vcc_lo
	s_add_u32 s4, s14, -1
	s_addc_u32 s5, s15, -1
	s_mov_b64 s[6:7], 0
	s_mov_b32 s20, 0
                                        ; implicit-def: $sgpr21
	s_set_inst_prefetch_distance 0x1
	s_branch .LBB1723_376
	.p2align	6
.LBB1723_374:                           ;   in Loop: Header=BB1723_376 Depth=1
	global_load_b64 v[39:40], v[37:38], off
	global_load_b64 v[41:42], v[33:34], off
	v_add_co_u32 v33, vcc_lo, v33, 8
	v_add_co_ci_u32_e32 v34, vcc_lo, 0, v34, vcc_lo
	v_add_co_u32 v37, s0, v37, 8
	s_delay_alu instid0(VALU_DEP_1)
	v_add_co_ci_u32_e64 v38, s0, 0, v38, s0
	s_add_u32 s6, s6, 1
	s_addc_u32 s7, s7, 0
	s_and_not1_b32 s0, s21, exec_lo
	s_waitcnt vmcnt(0)
	v_cmp_ne_u64_e32 vcc_lo, v[39:40], v[41:42]
	s_and_b32 s21, vcc_lo, exec_lo
	s_delay_alu instid0(SALU_CYCLE_1)
	s_or_b32 s21, s0, s21
.LBB1723_375:                           ;   in Loop: Header=BB1723_376 Depth=1
	v_dual_mov_b32 v40, s7 :: v_dual_mov_b32 v39, s6
	s_and_b32 s0, exec_lo, s21
	s_delay_alu instid0(SALU_CYCLE_1) | instskip(NEXT) | instid1(SALU_CYCLE_1)
	s_or_b32 s20, s0, s20
	s_and_not1_b32 exec_lo, exec_lo, s20
	s_cbranch_execz .LBB1723_378
.LBB1723_376:                           ; =>This Inner Loop Header: Depth=1
	s_or_b32 s21, s21, exec_lo
	s_cmp_eq_u64 s[4:5], s[6:7]
	s_cbranch_scc0 .LBB1723_374
; %bb.377:                              ;   in Loop: Header=BB1723_376 Depth=1
	s_mov_b64 s[6:7], s[14:15]
                                        ; implicit-def: $vgpr33_vgpr34
                                        ; implicit-def: $vgpr37_vgpr38
	s_branch .LBB1723_375
.LBB1723_378:
	s_set_inst_prefetch_distance 0x2
	s_or_b32 exec_lo, exec_lo, s20
	v_cmp_gt_i64_e32 vcc_lo, s[14:15], v[39:40]
	s_or_not1_b32 s0, vcc_lo, exec_lo
.LBB1723_379:
	s_or_b32 exec_lo, exec_lo, s13
.LBB1723_380:
	s_delay_alu instid0(SALU_CYCLE_1)
	s_and_b32 s0, s0, exec_lo
.LBB1723_381:
	s_or_b32 exec_lo, exec_lo, s3
	s_delay_alu instid0(SALU_CYCLE_1)
	s_and_b32 s0, s0, exec_lo
	s_or_b32 s1, s1, exec_lo
.LBB1723_382:
	s_or_b32 exec_lo, exec_lo, s24
.LBB1723_383:
	s_and_saveexec_b32 s3, s1
	s_cbranch_execz .LBB1723_385
; %bb.384:
	s_waitcnt vmcnt(0) lgkmcnt(0)
	v_and_b32_e32 v33, 0xffffff00, v35
	v_cndmask_b32_e64 v34, 0, 1, s0
	s_delay_alu instid0(VALU_DEP_1) | instskip(NEXT) | instid1(VALU_DEP_1)
	v_or_b32_e32 v33, v34, v33
	v_and_b32_e32 v33, 0xffff, v33
	s_delay_alu instid0(VALU_DEP_1)
	v_and_or_b32 v35, 0xffff0000, v35, v33
.LBB1723_385:
	s_or_b32 exec_lo, exec_lo, s3
	s_delay_alu instid0(SALU_CYCLE_1)
	s_and_not1_b32 vcc_lo, exec_lo, s33
	s_cbranch_vccnz .LBB1723_387
; %bb.386:
	v_cmp_gt_u32_e32 vcc_lo, s31, v55
	s_waitcnt vmcnt(0) lgkmcnt(0)
	v_or_b32_e32 v34, 1, v55
	v_and_b32_e32 v37, 0xffffff00, v36
	v_or_b32_e32 v38, 2, v55
	v_cndmask_b32_e32 v33, 0, v35, vcc_lo
	s_delay_alu instid0(VALU_DEP_4) | instskip(SKIP_1) | instid1(VALU_DEP_4)
	v_cmp_gt_u32_e32 vcc_lo, s31, v34
	v_or_b32_e32 v34, 4, v55
	v_cmp_gt_u32_e64 s0, s31, v38
	v_or_b32_e32 v38, 3, v55
	v_and_b32_e32 v33, 0xff, v33
	s_delay_alu instid0(VALU_DEP_2) | instskip(NEXT) | instid1(VALU_DEP_2)
	v_cmp_gt_u32_e64 s1, s31, v38
	v_cndmask_b32_e32 v33, v33, v35, vcc_lo
	v_cmp_gt_u32_e32 vcc_lo, s31, v34
	v_cndmask_b32_e32 v34, v37, v36, vcc_lo
	v_or_b32_e32 v37, 5, v55
	s_delay_alu instid0(VALU_DEP_2) | instskip(SKIP_1) | instid1(VALU_DEP_1)
	v_and_b32_e32 v34, 0xffff00ff, v34
	v_and_b32_e32 v33, 0xffff, v33
	v_cndmask_b32_e64 v33, v33, v35, s0
	s_delay_alu instid0(VALU_DEP_4) | instskip(SKIP_1) | instid1(VALU_DEP_3)
	v_cmp_gt_u32_e64 s0, s31, v37
	v_or_b32_e32 v37, 6, v55
	v_and_b32_e32 v33, 0xffffff, v33
	s_delay_alu instid0(VALU_DEP_3) | instskip(NEXT) | instid1(VALU_DEP_2)
	v_cndmask_b32_e64 v34, v34, v36, s0
	v_cndmask_b32_e64 v33, v33, v35, s1
	s_delay_alu instid0(VALU_DEP_1) | instskip(SKIP_2) | instid1(VALU_DEP_3)
	v_dual_cndmask_b32 v33, v33, v35 :: v_dual_and_b32 v34, 0xff00ffff, v34
	v_cmp_gt_u32_e32 vcc_lo, s31, v37
	v_or_b32_e32 v37, 7, v55
	v_cndmask_b32_e64 v33, v33, v35, s0
	s_delay_alu instid0(VALU_DEP_1) | instskip(NEXT) | instid1(VALU_DEP_1)
	v_dual_cndmask_b32 v34, v34, v36 :: v_dual_cndmask_b32 v33, v33, v35
	v_and_b32_e32 v34, 0xffffff, v34
	s_delay_alu instid0(VALU_DEP_4) | instskip(NEXT) | instid1(VALU_DEP_2)
	v_cmp_gt_u32_e32 vcc_lo, s31, v37
	v_dual_cndmask_b32 v36, v34, v36 :: v_dual_cndmask_b32 v35, v33, v35
.LBB1723_387:
	s_delay_alu instid0(VALU_DEP_1) | instskip(SKIP_1) | instid1(VALU_DEP_2)
	v_and_b32_e32 v44, 0xff, v35
	s_waitcnt vmcnt(0) lgkmcnt(0)
	v_alignbit_b32 v33, v36, v35, 24
	v_bfe_u32 v46, v35, 8, 8
	v_bfe_u32 v48, v35, 16, 8
	v_and_b32_e32 v52, 0xff, v36
	v_bfe_u32 v54, v36, 8, 8
	v_and_b32_e32 v50, 0xff, v33
	v_add_nc_u32_e32 v33, v46, v44
	v_mbcnt_lo_u32_b32 v58, -1, 0
	v_bfe_u32 v57, v36, 16, 8
	v_lshrrev_b32_e32 v56, 24, v36
	v_lshrrev_b32_e32 v59, 5, v0
	v_add3_u32 v33, v33, v48, v50
	v_and_b32_e32 v34, 15, v58
	v_and_b32_e32 v37, 16, v58
	s_and_b32 vcc_lo, exec_lo, s12
	s_mov_b32 s7, -1
	v_add3_u32 v33, v33, v52, v54
	v_cmp_eq_u32_e64 s3, 0, v34
	v_cmp_lt_u32_e64 s0, 1, v34
	v_cmp_lt_u32_e64 s4, 3, v34
	;; [unrolled: 1-line block ×3, first 2 shown]
	v_add3_u32 v60, v33, v57, v56
	v_or_b32_e32 v33, 31, v0
	v_cmp_eq_u32_e64 s6, 0, v37
	s_barrier
	buffer_gl0_inv
	v_cmp_eq_u32_e64 s5, v33, v0
	s_cbranch_vccz .LBB1723_413
; %bb.388:
	v_mov_b32_dpp v33, v60 row_shr:1 row_mask:0xf bank_mask:0xf
	s_delay_alu instid0(VALU_DEP_1) | instskip(NEXT) | instid1(VALU_DEP_1)
	v_cndmask_b32_e64 v33, v33, 0, s3
	v_add_nc_u32_e32 v33, v33, v60
	s_delay_alu instid0(VALU_DEP_1) | instskip(NEXT) | instid1(VALU_DEP_1)
	v_mov_b32_dpp v34, v33 row_shr:2 row_mask:0xf bank_mask:0xf
	v_cndmask_b32_e64 v34, 0, v34, s0
	s_delay_alu instid0(VALU_DEP_1) | instskip(NEXT) | instid1(VALU_DEP_1)
	v_add_nc_u32_e32 v33, v33, v34
	v_mov_b32_dpp v34, v33 row_shr:4 row_mask:0xf bank_mask:0xf
	s_delay_alu instid0(VALU_DEP_1) | instskip(NEXT) | instid1(VALU_DEP_1)
	v_cndmask_b32_e64 v34, 0, v34, s4
	v_add_nc_u32_e32 v33, v33, v34
	s_delay_alu instid0(VALU_DEP_1) | instskip(NEXT) | instid1(VALU_DEP_1)
	v_mov_b32_dpp v34, v33 row_shr:8 row_mask:0xf bank_mask:0xf
	v_cndmask_b32_e64 v34, 0, v34, s1
	s_delay_alu instid0(VALU_DEP_1) | instskip(SKIP_3) | instid1(VALU_DEP_1)
	v_add_nc_u32_e32 v33, v33, v34
	ds_swizzle_b32 v34, v33 offset:swizzle(BROADCAST,32,15)
	s_waitcnt lgkmcnt(0)
	v_cndmask_b32_e64 v34, v34, 0, s6
	v_add_nc_u32_e32 v33, v33, v34
	s_and_saveexec_b32 s7, s5
	s_cbranch_execz .LBB1723_390
; %bb.389:
	v_lshlrev_b32_e32 v34, 2, v59
	ds_store_b32 v34, v33
.LBB1723_390:
	s_or_b32 exec_lo, exec_lo, s7
	s_delay_alu instid0(SALU_CYCLE_1)
	s_mov_b32 s7, exec_lo
	s_waitcnt lgkmcnt(0)
	s_barrier
	buffer_gl0_inv
	v_cmpx_gt_u32_e32 16, v0
	s_cbranch_execz .LBB1723_392
; %bb.391:
	v_lshlrev_b32_e32 v34, 2, v0
	ds_load_b32 v37, v34
	s_waitcnt lgkmcnt(0)
	v_mov_b32_dpp v38, v37 row_shr:1 row_mask:0xf bank_mask:0xf
	s_delay_alu instid0(VALU_DEP_1) | instskip(NEXT) | instid1(VALU_DEP_1)
	v_cndmask_b32_e64 v38, v38, 0, s3
	v_add_nc_u32_e32 v37, v38, v37
	s_delay_alu instid0(VALU_DEP_1) | instskip(NEXT) | instid1(VALU_DEP_1)
	v_mov_b32_dpp v38, v37 row_shr:2 row_mask:0xf bank_mask:0xf
	v_cndmask_b32_e64 v38, 0, v38, s0
	s_delay_alu instid0(VALU_DEP_1) | instskip(NEXT) | instid1(VALU_DEP_1)
	v_add_nc_u32_e32 v37, v37, v38
	v_mov_b32_dpp v38, v37 row_shr:4 row_mask:0xf bank_mask:0xf
	s_delay_alu instid0(VALU_DEP_1) | instskip(NEXT) | instid1(VALU_DEP_1)
	v_cndmask_b32_e64 v38, 0, v38, s4
	v_add_nc_u32_e32 v37, v37, v38
	s_delay_alu instid0(VALU_DEP_1) | instskip(NEXT) | instid1(VALU_DEP_1)
	v_mov_b32_dpp v38, v37 row_shr:8 row_mask:0xf bank_mask:0xf
	v_cndmask_b32_e64 v38, 0, v38, s1
	s_delay_alu instid0(VALU_DEP_1)
	v_add_nc_u32_e32 v37, v37, v38
	ds_store_b32 v34, v37
.LBB1723_392:
	s_or_b32 exec_lo, exec_lo, s7
	v_cmp_gt_u32_e32 vcc_lo, 32, v0
	s_mov_b32 s12, exec_lo
	s_waitcnt lgkmcnt(0)
	s_barrier
	buffer_gl0_inv
                                        ; implicit-def: $vgpr43
	v_cmpx_lt_u32_e32 31, v0
	s_cbranch_execz .LBB1723_394
; %bb.393:
	v_lshl_add_u32 v34, v59, 2, -4
	ds_load_b32 v43, v34
	s_waitcnt lgkmcnt(0)
	v_add_nc_u32_e32 v33, v43, v33
.LBB1723_394:
	s_or_b32 exec_lo, exec_lo, s12
	v_add_nc_u32_e32 v34, -1, v58
	s_delay_alu instid0(VALU_DEP_1) | instskip(NEXT) | instid1(VALU_DEP_1)
	v_cmp_gt_i32_e64 s7, 0, v34
	v_cndmask_b32_e64 v34, v34, v58, s7
	v_cmp_eq_u32_e64 s7, 0, v58
	s_delay_alu instid0(VALU_DEP_2)
	v_lshlrev_b32_e32 v34, 2, v34
	ds_bpermute_b32 v45, v34, v33
	s_and_saveexec_b32 s12, vcc_lo
	s_cbranch_execz .LBB1723_412
; %bb.395:
	v_mov_b32_e32 v39, 0
	ds_load_b32 v33, v39 offset:60
	s_and_saveexec_b32 s13, s7
	s_cbranch_execz .LBB1723_397
; %bb.396:
	s_add_i32 s14, s30, 32
	s_mov_b32 s15, 0
	v_mov_b32_e32 v34, 1
	s_lshl_b64 s[14:15], s[14:15], 3
	s_delay_alu instid0(SALU_CYCLE_1)
	s_add_u32 s14, s22, s14
	s_addc_u32 s15, s23, s15
	s_waitcnt lgkmcnt(0)
	global_store_b64 v39, v[33:34], s[14:15]
.LBB1723_397:
	s_or_b32 exec_lo, exec_lo, s13
	v_xad_u32 v37, v58, -1, s30
	s_mov_b32 s14, 0
	s_mov_b32 s13, exec_lo
	s_delay_alu instid0(VALU_DEP_1) | instskip(NEXT) | instid1(VALU_DEP_1)
	v_add_nc_u32_e32 v38, 32, v37
	v_lshlrev_b64 v[38:39], 3, v[38:39]
	s_delay_alu instid0(VALU_DEP_1) | instskip(NEXT) | instid1(VALU_DEP_2)
	v_add_co_u32 v41, vcc_lo, s22, v38
	v_add_co_ci_u32_e32 v42, vcc_lo, s23, v39, vcc_lo
	global_load_b64 v[39:40], v[41:42], off glc
	s_waitcnt vmcnt(0)
	v_and_b32_e32 v34, 0xff, v40
	s_delay_alu instid0(VALU_DEP_1)
	v_cmpx_eq_u16_e32 0, v34
	s_cbranch_execz .LBB1723_400
.LBB1723_398:                           ; =>This Inner Loop Header: Depth=1
	global_load_b64 v[39:40], v[41:42], off glc
	s_waitcnt vmcnt(0)
	v_and_b32_e32 v34, 0xff, v40
	s_delay_alu instid0(VALU_DEP_1) | instskip(SKIP_1) | instid1(SALU_CYCLE_1)
	v_cmp_ne_u16_e32 vcc_lo, 0, v34
	s_or_b32 s14, vcc_lo, s14
	s_and_not1_b32 exec_lo, exec_lo, s14
	s_cbranch_execnz .LBB1723_398
; %bb.399:
	s_or_b32 exec_lo, exec_lo, s14
.LBB1723_400:
	s_delay_alu instid0(SALU_CYCLE_1)
	s_or_b32 exec_lo, exec_lo, s13
	v_cmp_ne_u32_e32 vcc_lo, 31, v58
	v_and_b32_e32 v38, 0xff, v40
	v_lshlrev_b32_e64 v47, v58, -1
	v_add_nc_u32_e32 v51, 2, v58
	v_add_nc_u32_e32 v61, 4, v58
	v_add_co_ci_u32_e32 v34, vcc_lo, 0, v58, vcc_lo
	v_cmp_eq_u16_e32 vcc_lo, 2, v38
	v_add_nc_u32_e32 v64, 8, v58
	v_add_nc_u32_e32 v66, 16, v58
	v_and_or_b32 v38, vcc_lo, v47, 0x80000000
	v_cmp_gt_u32_e32 vcc_lo, 30, v58
	s_delay_alu instid0(VALU_DEP_2) | instskip(SKIP_1) | instid1(VALU_DEP_2)
	v_ctz_i32_b32_e32 v38, v38
	v_cndmask_b32_e64 v42, 0, 1, vcc_lo
	v_cmp_lt_u32_e32 vcc_lo, v58, v38
	v_lshlrev_b32_e32 v34, 2, v34
	s_delay_alu instid0(VALU_DEP_3)
	v_lshlrev_b32_e32 v42, 1, v42
	ds_bpermute_b32 v41, v34, v39
	v_add_lshl_u32 v49, v42, v58, 2
	s_waitcnt lgkmcnt(0)
	v_cndmask_b32_e32 v41, 0, v41, vcc_lo
	v_cmp_gt_u32_e32 vcc_lo, 28, v58
	s_delay_alu instid0(VALU_DEP_2) | instskip(SKIP_4) | instid1(VALU_DEP_1)
	v_add_nc_u32_e32 v39, v41, v39
	v_cndmask_b32_e64 v42, 0, 1, vcc_lo
	v_cmp_le_u32_e32 vcc_lo, v51, v38
	ds_bpermute_b32 v41, v49, v39
	v_lshlrev_b32_e32 v42, 2, v42
	v_add_lshl_u32 v53, v42, v58, 2
	s_waitcnt lgkmcnt(0)
	v_cndmask_b32_e32 v41, 0, v41, vcc_lo
	v_cmp_gt_u32_e32 vcc_lo, 24, v58
	s_delay_alu instid0(VALU_DEP_2) | instskip(SKIP_4) | instid1(VALU_DEP_1)
	v_add_nc_u32_e32 v39, v39, v41
	v_cndmask_b32_e64 v42, 0, 1, vcc_lo
	v_cmp_le_u32_e32 vcc_lo, v61, v38
	ds_bpermute_b32 v41, v53, v39
	v_lshlrev_b32_e32 v42, 3, v42
	;; [unrolled: 10-line block ×3, first 2 shown]
	v_add_lshl_u32 v65, v42, v58, 2
	s_waitcnt lgkmcnt(0)
	v_cndmask_b32_e32 v41, 0, v41, vcc_lo
	v_cmp_le_u32_e32 vcc_lo, v66, v38
	s_delay_alu instid0(VALU_DEP_2) | instskip(SKIP_3) | instid1(VALU_DEP_1)
	v_add_nc_u32_e32 v39, v39, v41
	ds_bpermute_b32 v41, v65, v39
	s_waitcnt lgkmcnt(0)
	v_cndmask_b32_e32 v38, 0, v41, vcc_lo
	v_dual_mov_b32 v38, 0 :: v_dual_add_nc_u32 v39, v39, v38
	s_branch .LBB1723_402
.LBB1723_401:                           ;   in Loop: Header=BB1723_402 Depth=1
	s_or_b32 exec_lo, exec_lo, s13
	ds_bpermute_b32 v42, v34, v39
	v_and_b32_e32 v41, 0xff, v40
	v_subrev_nc_u32_e32 v37, 32, v37
	s_delay_alu instid0(VALU_DEP_2) | instskip(SKIP_1) | instid1(VALU_DEP_1)
	v_cmp_eq_u16_e32 vcc_lo, 2, v41
	v_and_or_b32 v41, vcc_lo, v47, 0x80000000
	v_ctz_i32_b32_e32 v41, v41
	s_delay_alu instid0(VALU_DEP_1) | instskip(SKIP_3) | instid1(VALU_DEP_2)
	v_cmp_lt_u32_e32 vcc_lo, v58, v41
	s_waitcnt lgkmcnt(0)
	v_cndmask_b32_e32 v42, 0, v42, vcc_lo
	v_cmp_le_u32_e32 vcc_lo, v51, v41
	v_add_nc_u32_e32 v39, v42, v39
	ds_bpermute_b32 v42, v49, v39
	s_waitcnt lgkmcnt(0)
	v_cndmask_b32_e32 v42, 0, v42, vcc_lo
	v_cmp_le_u32_e32 vcc_lo, v61, v41
	s_delay_alu instid0(VALU_DEP_2) | instskip(SKIP_4) | instid1(VALU_DEP_2)
	v_add_nc_u32_e32 v39, v39, v42
	ds_bpermute_b32 v42, v53, v39
	s_waitcnt lgkmcnt(0)
	v_cndmask_b32_e32 v42, 0, v42, vcc_lo
	v_cmp_le_u32_e32 vcc_lo, v64, v41
	v_add_nc_u32_e32 v39, v39, v42
	ds_bpermute_b32 v42, v63, v39
	s_waitcnt lgkmcnt(0)
	v_cndmask_b32_e32 v42, 0, v42, vcc_lo
	v_cmp_le_u32_e32 vcc_lo, v66, v41
	s_delay_alu instid0(VALU_DEP_2) | instskip(SKIP_3) | instid1(VALU_DEP_1)
	v_add_nc_u32_e32 v39, v39, v42
	ds_bpermute_b32 v42, v65, v39
	s_waitcnt lgkmcnt(0)
	v_cndmask_b32_e32 v41, 0, v42, vcc_lo
	v_add3_u32 v39, v41, v62, v39
.LBB1723_402:                           ; =>This Loop Header: Depth=1
                                        ;     Child Loop BB1723_405 Depth 2
	v_and_b32_e32 v40, 0xff, v40
	s_delay_alu instid0(VALU_DEP_2) | instskip(NEXT) | instid1(VALU_DEP_2)
	v_mov_b32_e32 v62, v39
	v_cmp_ne_u16_e32 vcc_lo, 2, v40
	v_cndmask_b32_e64 v40, 0, 1, vcc_lo
	;;#ASMSTART
	;;#ASMEND
	s_delay_alu instid0(VALU_DEP_1)
	v_cmp_ne_u32_e32 vcc_lo, 0, v40
	s_cmp_lg_u32 vcc_lo, exec_lo
	s_cbranch_scc1 .LBB1723_407
; %bb.403:                              ;   in Loop: Header=BB1723_402 Depth=1
	v_lshlrev_b64 v[39:40], 3, v[37:38]
	s_mov_b32 s13, exec_lo
	s_delay_alu instid0(VALU_DEP_1) | instskip(NEXT) | instid1(VALU_DEP_2)
	v_add_co_u32 v41, vcc_lo, s22, v39
	v_add_co_ci_u32_e32 v42, vcc_lo, s23, v40, vcc_lo
	global_load_b64 v[39:40], v[41:42], off glc
	s_waitcnt vmcnt(0)
	v_and_b32_e32 v67, 0xff, v40
	s_delay_alu instid0(VALU_DEP_1)
	v_cmpx_eq_u16_e32 0, v67
	s_cbranch_execz .LBB1723_401
; %bb.404:                              ;   in Loop: Header=BB1723_402 Depth=1
	s_mov_b32 s14, 0
.LBB1723_405:                           ;   Parent Loop BB1723_402 Depth=1
                                        ; =>  This Inner Loop Header: Depth=2
	global_load_b64 v[39:40], v[41:42], off glc
	s_waitcnt vmcnt(0)
	v_and_b32_e32 v67, 0xff, v40
	s_delay_alu instid0(VALU_DEP_1) | instskip(SKIP_1) | instid1(SALU_CYCLE_1)
	v_cmp_ne_u16_e32 vcc_lo, 0, v67
	s_or_b32 s14, vcc_lo, s14
	s_and_not1_b32 exec_lo, exec_lo, s14
	s_cbranch_execnz .LBB1723_405
; %bb.406:                              ;   in Loop: Header=BB1723_402 Depth=1
	s_or_b32 exec_lo, exec_lo, s14
	s_branch .LBB1723_401
.LBB1723_407:                           ;   in Loop: Header=BB1723_402 Depth=1
                                        ; implicit-def: $vgpr39
                                        ; implicit-def: $vgpr40
	s_cbranch_execz .LBB1723_402
; %bb.408:
	s_and_saveexec_b32 s13, s7
	s_cbranch_execz .LBB1723_410
; %bb.409:
	s_add_i32 s14, s30, 32
	s_mov_b32 s15, 0
	v_dual_mov_b32 v38, 2 :: v_dual_add_nc_u32 v37, v62, v33
	s_lshl_b64 s[14:15], s[14:15], 3
	v_mov_b32_e32 v34, 0
	v_add_nc_u32_e64 v39, 0x8400, 0
	s_add_u32 s14, s22, s14
	s_addc_u32 s15, s23, s15
	global_store_b64 v34, v[37:38], s[14:15]
	ds_store_2addr_b32 v39, v33, v62 offset1:2
.LBB1723_410:
	s_or_b32 exec_lo, exec_lo, s13
	s_delay_alu instid0(SALU_CYCLE_1)
	s_and_b32 exec_lo, exec_lo, s2
	s_cbranch_execz .LBB1723_412
; %bb.411:
	v_mov_b32_e32 v33, 0
	ds_store_b32 v33, v62 offset:60
.LBB1723_412:
	s_or_b32 exec_lo, exec_lo, s12
	v_mov_b32_e32 v33, 0
	s_waitcnt lgkmcnt(0)
	s_waitcnt_vscnt null, 0x0
	s_barrier
	buffer_gl0_inv
	v_cndmask_b32_e64 v34, v45, v43, s7
	ds_load_b32 v33, v33 offset:60
	s_waitcnt lgkmcnt(0)
	s_barrier
	buffer_gl0_inv
	v_cndmask_b32_e64 v34, v34, 0, s2
	s_delay_alu instid0(VALU_DEP_1) | instskip(SKIP_1) | instid1(VALU_DEP_2)
	v_add_nc_u32_e32 v53, v33, v34
	v_add_nc_u32_e64 v33, 0x8400, 0
	v_add_nc_u32_e32 v51, v53, v44
	ds_load_2addr_b32 v[33:34], v33 offset1:2
	v_add_nc_u32_e32 v49, v51, v46
	s_delay_alu instid0(VALU_DEP_1) | instskip(NEXT) | instid1(VALU_DEP_1)
	v_add_nc_u32_e32 v47, v49, v48
	v_add_nc_u32_e32 v45, v47, v50
	s_delay_alu instid0(VALU_DEP_1) | instskip(SKIP_2) | instid1(VALU_DEP_2)
	v_add_nc_u32_e32 v43, v45, v52
	s_waitcnt lgkmcnt(0)
	v_readfirstlane_b32 s12, v34
	v_add_nc_u32_e32 v41, v43, v54
	s_delay_alu instid0(VALU_DEP_1)
	v_add_nc_u32_e32 v39, v41, v57
	v_lshrrev_b64 v[37:38], 24, v[35:36]
	s_branch .LBB1723_423
.LBB1723_413:
                                        ; implicit-def: $vgpr39
                                        ; implicit-def: $vgpr41
                                        ; implicit-def: $vgpr43
                                        ; implicit-def: $vgpr45
                                        ; implicit-def: $vgpr47
                                        ; implicit-def: $vgpr49
                                        ; implicit-def: $vgpr51
                                        ; implicit-def: $vgpr53
                                        ; implicit-def: $sgpr12
                                        ; implicit-def: $vgpr33
	v_lshrrev_b64 v[37:38], 24, v[35:36]
	s_and_b32 vcc_lo, exec_lo, s7
	s_cbranch_vccz .LBB1723_423
; %bb.414:
	v_mov_b32_dpp v33, v60 row_shr:1 row_mask:0xf bank_mask:0xf
	s_delay_alu instid0(VALU_DEP_1) | instskip(NEXT) | instid1(VALU_DEP_1)
	v_cndmask_b32_e64 v33, v33, 0, s3
	v_add_nc_u32_e32 v33, v33, v60
	s_delay_alu instid0(VALU_DEP_1) | instskip(NEXT) | instid1(VALU_DEP_1)
	v_mov_b32_dpp v34, v33 row_shr:2 row_mask:0xf bank_mask:0xf
	v_cndmask_b32_e64 v34, 0, v34, s0
	s_delay_alu instid0(VALU_DEP_1) | instskip(NEXT) | instid1(VALU_DEP_1)
	v_add_nc_u32_e32 v33, v33, v34
	v_mov_b32_dpp v34, v33 row_shr:4 row_mask:0xf bank_mask:0xf
	s_delay_alu instid0(VALU_DEP_1) | instskip(NEXT) | instid1(VALU_DEP_1)
	v_cndmask_b32_e64 v34, 0, v34, s4
	v_add_nc_u32_e32 v33, v33, v34
	s_delay_alu instid0(VALU_DEP_1) | instskip(NEXT) | instid1(VALU_DEP_1)
	v_mov_b32_dpp v34, v33 row_shr:8 row_mask:0xf bank_mask:0xf
	v_cndmask_b32_e64 v34, 0, v34, s1
	s_delay_alu instid0(VALU_DEP_1) | instskip(SKIP_3) | instid1(VALU_DEP_1)
	v_add_nc_u32_e32 v33, v33, v34
	ds_swizzle_b32 v34, v33 offset:swizzle(BROADCAST,32,15)
	s_waitcnt lgkmcnt(0)
	v_cndmask_b32_e64 v34, v34, 0, s6
	v_add_nc_u32_e32 v33, v33, v34
	s_and_saveexec_b32 s6, s5
	s_cbranch_execz .LBB1723_416
; %bb.415:
	v_lshlrev_b32_e32 v34, 2, v59
	ds_store_b32 v34, v33
.LBB1723_416:
	s_or_b32 exec_lo, exec_lo, s6
	s_delay_alu instid0(SALU_CYCLE_1)
	s_mov_b32 s5, exec_lo
	s_waitcnt lgkmcnt(0)
	s_barrier
	buffer_gl0_inv
	v_cmpx_gt_u32_e32 16, v0
	s_cbranch_execz .LBB1723_418
; %bb.417:
	v_lshlrev_b32_e32 v34, 2, v0
	ds_load_b32 v38, v34
	s_waitcnt lgkmcnt(0)
	v_mov_b32_dpp v39, v38 row_shr:1 row_mask:0xf bank_mask:0xf
	s_delay_alu instid0(VALU_DEP_1) | instskip(NEXT) | instid1(VALU_DEP_1)
	v_cndmask_b32_e64 v39, v39, 0, s3
	v_add_nc_u32_e32 v38, v39, v38
	s_delay_alu instid0(VALU_DEP_1) | instskip(NEXT) | instid1(VALU_DEP_1)
	v_mov_b32_dpp v39, v38 row_shr:2 row_mask:0xf bank_mask:0xf
	v_cndmask_b32_e64 v39, 0, v39, s0
	s_delay_alu instid0(VALU_DEP_1) | instskip(NEXT) | instid1(VALU_DEP_1)
	v_add_nc_u32_e32 v38, v38, v39
	v_mov_b32_dpp v39, v38 row_shr:4 row_mask:0xf bank_mask:0xf
	s_delay_alu instid0(VALU_DEP_1) | instskip(NEXT) | instid1(VALU_DEP_1)
	v_cndmask_b32_e64 v39, 0, v39, s4
	v_add_nc_u32_e32 v38, v38, v39
	s_delay_alu instid0(VALU_DEP_1) | instskip(NEXT) | instid1(VALU_DEP_1)
	v_mov_b32_dpp v39, v38 row_shr:8 row_mask:0xf bank_mask:0xf
	v_cndmask_b32_e64 v39, 0, v39, s1
	s_delay_alu instid0(VALU_DEP_1)
	v_add_nc_u32_e32 v38, v38, v39
	ds_store_b32 v34, v38
.LBB1723_418:
	s_or_b32 exec_lo, exec_lo, s5
	v_mov_b32_e32 v34, 0
	v_mov_b32_e32 v38, 0
	s_mov_b32 s0, exec_lo
	s_waitcnt lgkmcnt(0)
	s_barrier
	buffer_gl0_inv
	v_cmpx_lt_u32_e32 31, v0
	s_cbranch_execz .LBB1723_420
; %bb.419:
	v_lshl_add_u32 v38, v59, 2, -4
	ds_load_b32 v38, v38
.LBB1723_420:
	s_or_b32 exec_lo, exec_lo, s0
	v_add_nc_u32_e32 v39, -1, v58
	s_waitcnt lgkmcnt(0)
	v_add_nc_u32_e32 v33, v38, v33
	s_mov_b32 s12, 0
	s_delay_alu instid0(VALU_DEP_2) | instskip(SKIP_1) | instid1(VALU_DEP_1)
	v_cmp_gt_i32_e32 vcc_lo, 0, v39
	v_cndmask_b32_e32 v39, v39, v58, vcc_lo
	v_lshlrev_b32_e32 v39, 2, v39
	ds_bpermute_b32 v39, v39, v33
	ds_load_b32 v33, v34 offset:60
	s_and_saveexec_b32 s0, s2
	s_cbranch_execz .LBB1723_422
; %bb.421:
	v_mov_b32_e32 v40, 0
	v_mov_b32_e32 v34, 2
	s_waitcnt lgkmcnt(0)
	global_store_b64 v40, v[33:34], s[22:23] offset:256
.LBB1723_422:
	s_or_b32 exec_lo, exec_lo, s0
	v_cmp_eq_u32_e32 vcc_lo, 0, v58
	s_waitcnt lgkmcnt(0)
	s_waitcnt_vscnt null, 0x0
	s_barrier
	buffer_gl0_inv
	v_cndmask_b32_e32 v34, v39, v38, vcc_lo
	s_delay_alu instid0(VALU_DEP_1) | instskip(NEXT) | instid1(VALU_DEP_1)
	v_cndmask_b32_e64 v53, v34, 0, s2
	v_add_nc_u32_e32 v51, v53, v44
	s_delay_alu instid0(VALU_DEP_1) | instskip(NEXT) | instid1(VALU_DEP_1)
	v_add_nc_u32_e32 v49, v51, v46
	v_add_nc_u32_e32 v47, v49, v48
	s_delay_alu instid0(VALU_DEP_1) | instskip(NEXT) | instid1(VALU_DEP_1)
	v_add_nc_u32_e32 v45, v47, v50
	;; [unrolled: 3-line block ×3, first 2 shown]
	v_add_nc_u32_e32 v39, v41, v57
.LBB1723_423:
	v_add_nc_u32_e32 v59, s12, v33
	v_cmp_gt_u32_e64 s0, 0x201, v33
	v_lshrrev_b32_e32 v58, 8, v35
	v_lshrrev_b32_e32 v57, 16, v35
	;; [unrolled: 1-line block ×4, first 2 shown]
	v_cmp_lt_u32_e64 s1, v53, v59
	s_and_b32 vcc_lo, exec_lo, s0
	s_mov_b32 s3, -1
	s_cbranch_vccz .LBB1723_449
; %bb.424:
	s_delay_alu instid0(VALU_DEP_1) | instskip(NEXT) | instid1(SALU_CYCLE_1)
	s_or_b32 s3, s29, s1
	s_and_saveexec_b32 s1, s3
	s_cbranch_execz .LBB1723_427
; %bb.425:
	v_and_b32_e32 v40, 1, v35
	s_delay_alu instid0(VALU_DEP_1)
	v_cmp_eq_u32_e32 vcc_lo, 1, v40
	s_and_b32 exec_lo, exec_lo, vcc_lo
	s_cbranch_execz .LBB1723_427
; %bb.426:
	v_mov_b32_e32 v54, 0
	s_lshl_b64 s[4:5], s[10:11], 3
	s_delay_alu instid0(SALU_CYCLE_1) | instskip(SKIP_1) | instid1(VALU_DEP_1)
	s_add_u32 s3, s16, s4
	s_addc_u32 s4, s17, s5
	v_lshlrev_b64 v[60:61], 3, v[53:54]
	s_delay_alu instid0(VALU_DEP_1) | instskip(NEXT) | instid1(VALU_DEP_2)
	v_add_co_u32 v60, vcc_lo, s3, v60
	v_add_co_ci_u32_e32 v61, vcc_lo, s4, v61, vcc_lo
	global_store_b64 v[60:61], v[29:30], off
.LBB1723_427:
	s_or_b32 exec_lo, exec_lo, s1
	v_cmp_lt_u32_e32 vcc_lo, v51, v59
	s_or_b32 s3, s29, vcc_lo
	s_delay_alu instid0(SALU_CYCLE_1)
	s_and_saveexec_b32 s1, s3
	s_cbranch_execz .LBB1723_430
; %bb.428:
	v_and_b32_e32 v40, 1, v58
	s_delay_alu instid0(VALU_DEP_1)
	v_cmp_eq_u32_e32 vcc_lo, 1, v40
	s_and_b32 exec_lo, exec_lo, vcc_lo
	s_cbranch_execz .LBB1723_430
; %bb.429:
	v_mov_b32_e32 v52, 0
	s_lshl_b64 s[4:5], s[10:11], 3
	s_delay_alu instid0(SALU_CYCLE_1) | instskip(SKIP_1) | instid1(VALU_DEP_1)
	s_add_u32 s3, s16, s4
	s_addc_u32 s4, s17, s5
	v_lshlrev_b64 v[60:61], 3, v[51:52]
	s_delay_alu instid0(VALU_DEP_1) | instskip(NEXT) | instid1(VALU_DEP_2)
	v_add_co_u32 v60, vcc_lo, s3, v60
	v_add_co_ci_u32_e32 v61, vcc_lo, s4, v61, vcc_lo
	global_store_b64 v[60:61], v[31:32], off
.LBB1723_430:
	s_or_b32 exec_lo, exec_lo, s1
	v_cmp_lt_u32_e32 vcc_lo, v49, v59
	s_or_b32 s3, s29, vcc_lo
	s_delay_alu instid0(SALU_CYCLE_1)
	;; [unrolled: 24-line block ×7, first 2 shown]
	s_and_saveexec_b32 s1, s3
	s_cbranch_execz .LBB1723_448
; %bb.446:
	v_and_b32_e32 v40, 1, v56
	s_delay_alu instid0(VALU_DEP_1)
	v_cmp_eq_u32_e32 vcc_lo, 1, v40
	s_and_b32 exec_lo, exec_lo, vcc_lo
	s_cbranch_execz .LBB1723_448
; %bb.447:
	v_mov_b32_e32 v40, 0
	s_lshl_b64 s[4:5], s[10:11], 3
	s_delay_alu instid0(SALU_CYCLE_1) | instskip(SKIP_1) | instid1(VALU_DEP_1)
	s_add_u32 s3, s16, s4
	s_addc_u32 s4, s17, s5
	v_lshlrev_b64 v[60:61], 3, v[39:40]
	s_delay_alu instid0(VALU_DEP_1) | instskip(NEXT) | instid1(VALU_DEP_2)
	v_add_co_u32 v60, vcc_lo, s3, v60
	v_add_co_ci_u32_e32 v61, vcc_lo, s4, v61, vcc_lo
	global_store_b64 v[60:61], v[19:20], off
.LBB1723_448:
	s_or_b32 exec_lo, exec_lo, s1
	s_mov_b32 s3, 0
.LBB1723_449:
	v_and_b32_e32 v35, 1, v35
	s_and_b32 vcc_lo, exec_lo, s3
	s_delay_alu instid0(VALU_DEP_1)
	v_cmp_eq_u32_e64 s1, 1, v35
	s_cbranch_vccz .LBB1723_470
; %bb.450:
	s_delay_alu instid0(VALU_DEP_1)
	s_and_saveexec_b32 s3, s1
	s_cbranch_execz .LBB1723_452
; %bb.451:
	v_subrev_nc_u32_e32 v40, s12, v53
	s_delay_alu instid0(VALU_DEP_1)
	v_lshlrev_b32_e32 v40, 3, v40
	ds_store_b64 v40, v[29:30]
.LBB1723_452:
	s_or_b32 exec_lo, exec_lo, s3
	v_and_b32_e32 v29, 1, v58
	s_mov_b32 s1, exec_lo
	s_delay_alu instid0(VALU_DEP_1)
	v_cmpx_eq_u32_e32 1, v29
	s_cbranch_execz .LBB1723_454
; %bb.453:
	v_subrev_nc_u32_e32 v29, s12, v51
	s_delay_alu instid0(VALU_DEP_1)
	v_lshlrev_b32_e32 v29, 3, v29
	ds_store_b64 v29, v[31:32]
.LBB1723_454:
	s_or_b32 exec_lo, exec_lo, s1
	v_and_b32_e32 v29, 1, v57
	s_mov_b32 s1, exec_lo
	s_delay_alu instid0(VALU_DEP_1)
	v_cmpx_eq_u32_e32 1, v29
	;; [unrolled: 12-line block ×7, first 2 shown]
	s_cbranch_execz .LBB1723_466
; %bb.465:
	v_subrev_nc_u32_e32 v17, s12, v39
	s_delay_alu instid0(VALU_DEP_1)
	v_lshlrev_b32_e32 v17, 3, v17
	ds_store_b64 v17, v[19:20]
.LBB1723_466:
	s_or_b32 exec_lo, exec_lo, s1
	s_delay_alu instid0(SALU_CYCLE_1)
	s_mov_b32 s3, exec_lo
	s_waitcnt lgkmcnt(0)
	s_waitcnt_vscnt null, 0x0
	s_barrier
	buffer_gl0_inv
	v_cmpx_lt_u32_e64 v0, v33
	s_cbranch_execz .LBB1723_469
; %bb.467:
	s_mov_b32 s13, 0
	s_lshl_b64 s[4:5], s[10:11], 3
	s_lshl_b64 s[6:7], s[12:13], 3
	v_dual_mov_b32 v19, v55 :: v_dual_mov_b32 v20, v0
	s_add_u32 s1, s4, s6
	s_addc_u32 s4, s5, s7
	s_add_u32 s1, s16, s1
	s_addc_u32 s4, s17, s4
	v_add_co_u32 v17, s1, s1, v55
	s_delay_alu instid0(VALU_DEP_1)
	v_add_co_ci_u32_e64 v18, null, s4, 0, s1
	.p2align	6
.LBB1723_468:                           ; =>This Inner Loop Header: Depth=1
	ds_load_b64 v[21:22], v19
	v_add_nc_u32_e32 v20, 0x200, v20
	v_add_nc_u32_e32 v19, 0x1000, v19
	s_delay_alu instid0(VALU_DEP_2) | instskip(SKIP_4) | instid1(VALU_DEP_1)
	v_cmp_ge_u32_e32 vcc_lo, v20, v33
	s_or_b32 s13, vcc_lo, s13
	s_waitcnt lgkmcnt(0)
	global_store_b64 v[17:18], v[21:22], off
	v_add_co_u32 v17, s1, 0x1000, v17
	v_add_co_ci_u32_e64 v18, s1, 0, v18, s1
	s_and_not1_b32 exec_lo, exec_lo, s13
	s_cbranch_execnz .LBB1723_468
.LBB1723_469:
	s_or_b32 exec_lo, exec_lo, s3
.LBB1723_470:
	s_delay_alu instid0(SALU_CYCLE_1)
	s_and_b32 vcc_lo, exec_lo, s0
	s_mov_b32 s0, -1
	s_waitcnt_vscnt null, 0x0
	s_barrier
	buffer_gl0_inv
	s_cbranch_vccz .LBB1723_498
; %bb.471:
	v_cmp_lt_u32_e32 vcc_lo, v53, v59
	s_or_b32 s1, s29, vcc_lo
	s_delay_alu instid0(SALU_CYCLE_1)
	s_and_saveexec_b32 s0, s1
	s_cbranch_execz .LBB1723_474
; %bb.472:
	v_cmp_eq_u32_e32 vcc_lo, 1, v35
	s_and_b32 exec_lo, exec_lo, vcc_lo
	s_cbranch_execz .LBB1723_474
; %bb.473:
	v_mov_b32_e32 v54, 0
	s_lshl_b64 s[4:5], s[10:11], 3
	s_delay_alu instid0(SALU_CYCLE_1) | instskip(SKIP_1) | instid1(VALU_DEP_1)
	s_add_u32 s1, s18, s4
	s_addc_u32 s3, s19, s5
	v_lshlrev_b64 v[17:18], 3, v[53:54]
	s_delay_alu instid0(VALU_DEP_1) | instskip(NEXT) | instid1(VALU_DEP_2)
	v_add_co_u32 v17, vcc_lo, s1, v17
	v_add_co_ci_u32_e32 v18, vcc_lo, s3, v18, vcc_lo
	global_store_b64 v[17:18], v[13:14], off
.LBB1723_474:
	s_or_b32 exec_lo, exec_lo, s0
	v_cmp_lt_u32_e32 vcc_lo, v51, v59
	s_or_b32 s1, s29, vcc_lo
	s_delay_alu instid0(SALU_CYCLE_1)
	s_and_saveexec_b32 s0, s1
	s_cbranch_execz .LBB1723_477
; %bb.475:
	v_and_b32_e32 v17, 1, v58
	s_delay_alu instid0(VALU_DEP_1)
	v_cmp_eq_u32_e32 vcc_lo, 1, v17
	s_and_b32 exec_lo, exec_lo, vcc_lo
	s_cbranch_execz .LBB1723_477
; %bb.476:
	v_mov_b32_e32 v52, 0
	s_lshl_b64 s[4:5], s[10:11], 3
	s_delay_alu instid0(SALU_CYCLE_1) | instskip(SKIP_1) | instid1(VALU_DEP_1)
	s_add_u32 s1, s18, s4
	s_addc_u32 s3, s19, s5
	v_lshlrev_b64 v[17:18], 3, v[51:52]
	s_delay_alu instid0(VALU_DEP_1) | instskip(NEXT) | instid1(VALU_DEP_2)
	v_add_co_u32 v17, vcc_lo, s1, v17
	v_add_co_ci_u32_e32 v18, vcc_lo, s3, v18, vcc_lo
	global_store_b64 v[17:18], v[15:16], off
.LBB1723_477:
	s_or_b32 exec_lo, exec_lo, s0
	v_cmp_lt_u32_e32 vcc_lo, v49, v59
	s_or_b32 s1, s29, vcc_lo
	s_delay_alu instid0(SALU_CYCLE_1)
	s_and_saveexec_b32 s0, s1
	s_cbranch_execz .LBB1723_480
; %bb.478:
	v_and_b32_e32 v17, 1, v57
	s_delay_alu instid0(VALU_DEP_1)
	v_cmp_eq_u32_e32 vcc_lo, 1, v17
	s_and_b32 exec_lo, exec_lo, vcc_lo
	s_cbranch_execz .LBB1723_480
; %bb.479:
	v_mov_b32_e32 v50, 0
	s_lshl_b64 s[4:5], s[10:11], 3
	s_delay_alu instid0(SALU_CYCLE_1) | instskip(SKIP_1) | instid1(VALU_DEP_1)
	s_add_u32 s1, s18, s4
	s_addc_u32 s3, s19, s5
	v_lshlrev_b64 v[17:18], 3, v[49:50]
	s_delay_alu instid0(VALU_DEP_1) | instskip(NEXT) | instid1(VALU_DEP_2)
	v_add_co_u32 v17, vcc_lo, s1, v17
	v_add_co_ci_u32_e32 v18, vcc_lo, s3, v18, vcc_lo
	global_store_b64 v[17:18], v[9:10], off
.LBB1723_480:
	s_or_b32 exec_lo, exec_lo, s0
	v_cmp_lt_u32_e32 vcc_lo, v47, v59
	s_or_b32 s1, s29, vcc_lo
	s_delay_alu instid0(SALU_CYCLE_1)
	s_and_saveexec_b32 s0, s1
	s_cbranch_execz .LBB1723_483
; %bb.481:
	v_and_b32_e32 v17, 1, v37
	s_delay_alu instid0(VALU_DEP_1)
	v_cmp_eq_u32_e32 vcc_lo, 1, v17
	s_and_b32 exec_lo, exec_lo, vcc_lo
	s_cbranch_execz .LBB1723_483
; %bb.482:
	v_mov_b32_e32 v48, 0
	s_lshl_b64 s[4:5], s[10:11], 3
	s_delay_alu instid0(SALU_CYCLE_1) | instskip(SKIP_1) | instid1(VALU_DEP_1)
	s_add_u32 s1, s18, s4
	s_addc_u32 s3, s19, s5
	v_lshlrev_b64 v[17:18], 3, v[47:48]
	s_delay_alu instid0(VALU_DEP_1) | instskip(NEXT) | instid1(VALU_DEP_2)
	v_add_co_u32 v17, vcc_lo, s1, v17
	v_add_co_ci_u32_e32 v18, vcc_lo, s3, v18, vcc_lo
	global_store_b64 v[17:18], v[11:12], off
.LBB1723_483:
	s_or_b32 exec_lo, exec_lo, s0
	v_cmp_lt_u32_e32 vcc_lo, v45, v59
	s_or_b32 s1, s29, vcc_lo
	s_delay_alu instid0(SALU_CYCLE_1)
	s_and_saveexec_b32 s0, s1
	s_cbranch_execz .LBB1723_486
; %bb.484:
	v_and_b32_e32 v17, 1, v36
	s_delay_alu instid0(VALU_DEP_1)
	v_cmp_eq_u32_e32 vcc_lo, 1, v17
	s_and_b32 exec_lo, exec_lo, vcc_lo
	s_cbranch_execz .LBB1723_486
; %bb.485:
	v_mov_b32_e32 v46, 0
	s_lshl_b64 s[4:5], s[10:11], 3
	s_delay_alu instid0(SALU_CYCLE_1) | instskip(SKIP_1) | instid1(VALU_DEP_1)
	s_add_u32 s1, s18, s4
	s_addc_u32 s3, s19, s5
	v_lshlrev_b64 v[17:18], 3, v[45:46]
	s_delay_alu instid0(VALU_DEP_1) | instskip(NEXT) | instid1(VALU_DEP_2)
	v_add_co_u32 v17, vcc_lo, s1, v17
	v_add_co_ci_u32_e32 v18, vcc_lo, s3, v18, vcc_lo
	global_store_b64 v[17:18], v[5:6], off
.LBB1723_486:
	s_or_b32 exec_lo, exec_lo, s0
	v_cmp_lt_u32_e32 vcc_lo, v43, v59
	s_or_b32 s1, s29, vcc_lo
	s_delay_alu instid0(SALU_CYCLE_1)
	s_and_saveexec_b32 s0, s1
	s_cbranch_execz .LBB1723_489
; %bb.487:
	v_and_b32_e32 v17, 1, v38
	s_delay_alu instid0(VALU_DEP_1)
	v_cmp_eq_u32_e32 vcc_lo, 1, v17
	s_and_b32 exec_lo, exec_lo, vcc_lo
	s_cbranch_execz .LBB1723_489
; %bb.488:
	v_mov_b32_e32 v44, 0
	s_lshl_b64 s[4:5], s[10:11], 3
	s_delay_alu instid0(SALU_CYCLE_1) | instskip(SKIP_1) | instid1(VALU_DEP_1)
	s_add_u32 s1, s18, s4
	s_addc_u32 s3, s19, s5
	v_lshlrev_b64 v[17:18], 3, v[43:44]
	s_delay_alu instid0(VALU_DEP_1) | instskip(NEXT) | instid1(VALU_DEP_2)
	v_add_co_u32 v17, vcc_lo, s1, v17
	v_add_co_ci_u32_e32 v18, vcc_lo, s3, v18, vcc_lo
	global_store_b64 v[17:18], v[7:8], off
.LBB1723_489:
	s_or_b32 exec_lo, exec_lo, s0
	v_cmp_lt_u32_e32 vcc_lo, v41, v59
	s_or_b32 s1, s29, vcc_lo
	s_delay_alu instid0(SALU_CYCLE_1)
	s_and_saveexec_b32 s0, s1
	s_cbranch_execz .LBB1723_492
; %bb.490:
	v_and_b32_e32 v17, 1, v34
	s_delay_alu instid0(VALU_DEP_1)
	v_cmp_eq_u32_e32 vcc_lo, 1, v17
	s_and_b32 exec_lo, exec_lo, vcc_lo
	s_cbranch_execz .LBB1723_492
; %bb.491:
	v_mov_b32_e32 v42, 0
	s_lshl_b64 s[4:5], s[10:11], 3
	s_delay_alu instid0(SALU_CYCLE_1) | instskip(SKIP_1) | instid1(VALU_DEP_1)
	s_add_u32 s1, s18, s4
	s_addc_u32 s3, s19, s5
	v_lshlrev_b64 v[17:18], 3, v[41:42]
	s_delay_alu instid0(VALU_DEP_1) | instskip(NEXT) | instid1(VALU_DEP_2)
	v_add_co_u32 v17, vcc_lo, s1, v17
	v_add_co_ci_u32_e32 v18, vcc_lo, s3, v18, vcc_lo
	global_store_b64 v[17:18], v[1:2], off
.LBB1723_492:
	s_or_b32 exec_lo, exec_lo, s0
	v_cmp_lt_u32_e32 vcc_lo, v39, v59
	s_or_b32 s1, s29, vcc_lo
	s_delay_alu instid0(SALU_CYCLE_1)
	s_and_saveexec_b32 s0, s1
	s_cbranch_execz .LBB1723_495
; %bb.493:
	v_and_b32_e32 v17, 1, v56
	s_delay_alu instid0(VALU_DEP_1)
	v_cmp_eq_u32_e32 vcc_lo, 1, v17
	s_and_b32 exec_lo, exec_lo, vcc_lo
	s_cbranch_execz .LBB1723_495
; %bb.494:
	v_mov_b32_e32 v40, 0
	s_lshl_b64 s[4:5], s[10:11], 3
	s_delay_alu instid0(SALU_CYCLE_1) | instskip(SKIP_1) | instid1(VALU_DEP_1)
	s_add_u32 s1, s18, s4
	s_addc_u32 s3, s19, s5
	v_lshlrev_b64 v[17:18], 3, v[39:40]
	s_delay_alu instid0(VALU_DEP_1) | instskip(NEXT) | instid1(VALU_DEP_2)
	v_add_co_u32 v17, vcc_lo, s1, v17
	v_add_co_ci_u32_e32 v18, vcc_lo, s3, v18, vcc_lo
	global_store_b64 v[17:18], v[3:4], off
.LBB1723_495:
	s_or_b32 exec_lo, exec_lo, s0
.LBB1723_496:
	s_and_b32 s0, s2, s28
	s_delay_alu instid0(SALU_CYCLE_1)
	s_and_saveexec_b32 s1, s0
	s_cbranch_execz .LBB1723_519
.LBB1723_497:
	v_add_co_u32 v0, s0, s10, v33
	s_delay_alu instid0(VALU_DEP_1) | instskip(SKIP_1) | instid1(VALU_DEP_3)
	v_add_co_ci_u32_e64 v1, null, s11, 0, s0
	v_mov_b32_e32 v2, 0
	v_add_co_u32 v0, vcc_lo, v0, s12
	s_delay_alu instid0(VALU_DEP_3)
	v_add_co_ci_u32_e32 v1, vcc_lo, 0, v1, vcc_lo
	global_store_b64 v2, v[0:1], s[8:9]
	s_nop 0
	s_sendmsg sendmsg(MSG_DEALLOC_VGPRS)
	s_endpgm
.LBB1723_498:
	s_and_b32 vcc_lo, exec_lo, s0
	s_cbranch_vccz .LBB1723_496
; %bb.499:
	s_mov_b32 s0, exec_lo
	v_cmpx_eq_u32_e32 1, v35
	s_cbranch_execz .LBB1723_501
; %bb.500:
	v_subrev_nc_u32_e32 v17, s12, v53
	s_delay_alu instid0(VALU_DEP_1)
	v_lshlrev_b32_e32 v17, 3, v17
	ds_store_b64 v17, v[13:14]
.LBB1723_501:
	s_or_b32 exec_lo, exec_lo, s0
	v_and_b32_e32 v13, 1, v58
	s_mov_b32 s0, exec_lo
	s_delay_alu instid0(VALU_DEP_1)
	v_cmpx_eq_u32_e32 1, v13
	s_cbranch_execz .LBB1723_503
; %bb.502:
	v_subrev_nc_u32_e32 v13, s12, v51
	s_delay_alu instid0(VALU_DEP_1)
	v_lshlrev_b32_e32 v13, 3, v13
	ds_store_b64 v13, v[15:16]
.LBB1723_503:
	s_or_b32 exec_lo, exec_lo, s0
	v_and_b32_e32 v13, 1, v57
	s_mov_b32 s0, exec_lo
	s_delay_alu instid0(VALU_DEP_1)
	;; [unrolled: 12-line block ×7, first 2 shown]
	v_cmpx_eq_u32_e32 1, v1
	s_cbranch_execz .LBB1723_515
; %bb.514:
	v_subrev_nc_u32_e32 v1, s12, v39
	s_delay_alu instid0(VALU_DEP_1)
	v_lshlrev_b32_e32 v1, 3, v1
	ds_store_b64 v1, v[3:4]
.LBB1723_515:
	s_or_b32 exec_lo, exec_lo, s0
	s_delay_alu instid0(SALU_CYCLE_1)
	s_mov_b32 s1, exec_lo
	s_waitcnt lgkmcnt(0)
	s_waitcnt_vscnt null, 0x0
	s_barrier
	buffer_gl0_inv
	v_cmpx_lt_u32_e64 v0, v33
	s_cbranch_execz .LBB1723_518
; %bb.516:
	s_mov_b32 s13, 0
	s_lshl_b64 s[4:5], s[10:11], 3
	s_lshl_b64 s[6:7], s[12:13], 3
	s_delay_alu instid0(SALU_CYCLE_1) | instskip(SKIP_4) | instid1(VALU_DEP_1)
	s_add_u32 s0, s4, s6
	s_addc_u32 s3, s5, s7
	s_add_u32 s0, s18, s0
	s_addc_u32 s3, s19, s3
	v_add_co_u32 v1, s0, s0, v55
	v_add_co_ci_u32_e64 v2, null, s3, 0, s0
	.p2align	6
.LBB1723_517:                           ; =>This Inner Loop Header: Depth=1
	ds_load_b64 v[3:4], v55
	v_add_nc_u32_e32 v0, 0x200, v0
	v_add_nc_u32_e32 v55, 0x1000, v55
	s_delay_alu instid0(VALU_DEP_2) | instskip(SKIP_4) | instid1(VALU_DEP_1)
	v_cmp_ge_u32_e32 vcc_lo, v0, v33
	s_or_b32 s13, vcc_lo, s13
	s_waitcnt lgkmcnt(0)
	global_store_b64 v[1:2], v[3:4], off
	v_add_co_u32 v1, s0, 0x1000, v1
	v_add_co_ci_u32_e64 v2, s0, 0, v2, s0
	s_and_not1_b32 exec_lo, exec_lo, s13
	s_cbranch_execnz .LBB1723_517
.LBB1723_518:
	s_or_b32 exec_lo, exec_lo, s1
	s_and_b32 s0, s2, s28
	s_delay_alu instid0(SALU_CYCLE_1)
	s_and_saveexec_b32 s1, s0
	s_cbranch_execnz .LBB1723_497
.LBB1723_519:
	s_nop 0
	s_sendmsg sendmsg(MSG_DEALLOC_VGPRS)
	s_endpgm
	.section	.rodata,"a",@progbits
	.p2align	6, 0x0
	.amdhsa_kernel _ZN7rocprim17ROCPRIM_400000_NS6detail17trampoline_kernelINS0_14default_configENS1_25partition_config_selectorILNS1_17partition_subalgoE9EllbEEZZNS1_14partition_implILS5_9ELb0ES3_jPlS8_PNS0_10empty_typeENS0_5tupleIJS8_S9_EEENSB_IJS8_SA_EEENS0_18inequality_wrapperIZN2at6native12_GLOBAL__N_124unique_dim_cuda_templateImEESt5tupleIJNSF_6TensorESK_SK_EERKSK_lbbbEUlllE0_EEPmJS9_EEE10hipError_tPvRmT3_T4_T5_T6_T7_T9_mT8_P12ihipStream_tbDpT10_ENKUlT_T0_E_clISt17integral_constantIbLb0EES19_IbLb1EEEEDaS15_S16_EUlS15_E_NS1_11comp_targetILNS1_3genE9ELNS1_11target_archE1100ELNS1_3gpuE3ELNS1_3repE0EEENS1_30default_config_static_selectorELNS0_4arch9wavefront6targetE0EEEvT1_
		.amdhsa_group_segment_fixed_size 33804
		.amdhsa_private_segment_fixed_size 0
		.amdhsa_kernarg_size 136
		.amdhsa_user_sgpr_count 15
		.amdhsa_user_sgpr_dispatch_ptr 0
		.amdhsa_user_sgpr_queue_ptr 0
		.amdhsa_user_sgpr_kernarg_segment_ptr 1
		.amdhsa_user_sgpr_dispatch_id 0
		.amdhsa_user_sgpr_private_segment_size 0
		.amdhsa_wavefront_size32 1
		.amdhsa_uses_dynamic_stack 0
		.amdhsa_enable_private_segment 0
		.amdhsa_system_sgpr_workgroup_id_x 1
		.amdhsa_system_sgpr_workgroup_id_y 0
		.amdhsa_system_sgpr_workgroup_id_z 0
		.amdhsa_system_sgpr_workgroup_info 0
		.amdhsa_system_vgpr_workitem_id 0
		.amdhsa_next_free_vgpr 68
		.amdhsa_next_free_sgpr 40
		.amdhsa_reserve_vcc 1
		.amdhsa_float_round_mode_32 0
		.amdhsa_float_round_mode_16_64 0
		.amdhsa_float_denorm_mode_32 3
		.amdhsa_float_denorm_mode_16_64 3
		.amdhsa_dx10_clamp 1
		.amdhsa_ieee_mode 1
		.amdhsa_fp16_overflow 0
		.amdhsa_workgroup_processor_mode 1
		.amdhsa_memory_ordered 1
		.amdhsa_forward_progress 0
		.amdhsa_shared_vgpr_count 0
		.amdhsa_exception_fp_ieee_invalid_op 0
		.amdhsa_exception_fp_denorm_src 0
		.amdhsa_exception_fp_ieee_div_zero 0
		.amdhsa_exception_fp_ieee_overflow 0
		.amdhsa_exception_fp_ieee_underflow 0
		.amdhsa_exception_fp_ieee_inexact 0
		.amdhsa_exception_int_div_zero 0
	.end_amdhsa_kernel
	.section	.text._ZN7rocprim17ROCPRIM_400000_NS6detail17trampoline_kernelINS0_14default_configENS1_25partition_config_selectorILNS1_17partition_subalgoE9EllbEEZZNS1_14partition_implILS5_9ELb0ES3_jPlS8_PNS0_10empty_typeENS0_5tupleIJS8_S9_EEENSB_IJS8_SA_EEENS0_18inequality_wrapperIZN2at6native12_GLOBAL__N_124unique_dim_cuda_templateImEESt5tupleIJNSF_6TensorESK_SK_EERKSK_lbbbEUlllE0_EEPmJS9_EEE10hipError_tPvRmT3_T4_T5_T6_T7_T9_mT8_P12ihipStream_tbDpT10_ENKUlT_T0_E_clISt17integral_constantIbLb0EES19_IbLb1EEEEDaS15_S16_EUlS15_E_NS1_11comp_targetILNS1_3genE9ELNS1_11target_archE1100ELNS1_3gpuE3ELNS1_3repE0EEENS1_30default_config_static_selectorELNS0_4arch9wavefront6targetE0EEEvT1_,"axG",@progbits,_ZN7rocprim17ROCPRIM_400000_NS6detail17trampoline_kernelINS0_14default_configENS1_25partition_config_selectorILNS1_17partition_subalgoE9EllbEEZZNS1_14partition_implILS5_9ELb0ES3_jPlS8_PNS0_10empty_typeENS0_5tupleIJS8_S9_EEENSB_IJS8_SA_EEENS0_18inequality_wrapperIZN2at6native12_GLOBAL__N_124unique_dim_cuda_templateImEESt5tupleIJNSF_6TensorESK_SK_EERKSK_lbbbEUlllE0_EEPmJS9_EEE10hipError_tPvRmT3_T4_T5_T6_T7_T9_mT8_P12ihipStream_tbDpT10_ENKUlT_T0_E_clISt17integral_constantIbLb0EES19_IbLb1EEEEDaS15_S16_EUlS15_E_NS1_11comp_targetILNS1_3genE9ELNS1_11target_archE1100ELNS1_3gpuE3ELNS1_3repE0EEENS1_30default_config_static_selectorELNS0_4arch9wavefront6targetE0EEEvT1_,comdat
.Lfunc_end1723:
	.size	_ZN7rocprim17ROCPRIM_400000_NS6detail17trampoline_kernelINS0_14default_configENS1_25partition_config_selectorILNS1_17partition_subalgoE9EllbEEZZNS1_14partition_implILS5_9ELb0ES3_jPlS8_PNS0_10empty_typeENS0_5tupleIJS8_S9_EEENSB_IJS8_SA_EEENS0_18inequality_wrapperIZN2at6native12_GLOBAL__N_124unique_dim_cuda_templateImEESt5tupleIJNSF_6TensorESK_SK_EERKSK_lbbbEUlllE0_EEPmJS9_EEE10hipError_tPvRmT3_T4_T5_T6_T7_T9_mT8_P12ihipStream_tbDpT10_ENKUlT_T0_E_clISt17integral_constantIbLb0EES19_IbLb1EEEEDaS15_S16_EUlS15_E_NS1_11comp_targetILNS1_3genE9ELNS1_11target_archE1100ELNS1_3gpuE3ELNS1_3repE0EEENS1_30default_config_static_selectorELNS0_4arch9wavefront6targetE0EEEvT1_, .Lfunc_end1723-_ZN7rocprim17ROCPRIM_400000_NS6detail17trampoline_kernelINS0_14default_configENS1_25partition_config_selectorILNS1_17partition_subalgoE9EllbEEZZNS1_14partition_implILS5_9ELb0ES3_jPlS8_PNS0_10empty_typeENS0_5tupleIJS8_S9_EEENSB_IJS8_SA_EEENS0_18inequality_wrapperIZN2at6native12_GLOBAL__N_124unique_dim_cuda_templateImEESt5tupleIJNSF_6TensorESK_SK_EERKSK_lbbbEUlllE0_EEPmJS9_EEE10hipError_tPvRmT3_T4_T5_T6_T7_T9_mT8_P12ihipStream_tbDpT10_ENKUlT_T0_E_clISt17integral_constantIbLb0EES19_IbLb1EEEEDaS15_S16_EUlS15_E_NS1_11comp_targetILNS1_3genE9ELNS1_11target_archE1100ELNS1_3gpuE3ELNS1_3repE0EEENS1_30default_config_static_selectorELNS0_4arch9wavefront6targetE0EEEvT1_
                                        ; -- End function
	.section	.AMDGPU.csdata,"",@progbits
; Kernel info:
; codeLenInByte = 20632
; NumSgprs: 42
; NumVgprs: 68
; ScratchSize: 0
; MemoryBound: 1
; FloatMode: 240
; IeeeMode: 1
; LDSByteSize: 33804 bytes/workgroup (compile time only)
; SGPRBlocks: 5
; VGPRBlocks: 8
; NumSGPRsForWavesPerEU: 42
; NumVGPRsForWavesPerEU: 68
; Occupancy: 12
; WaveLimiterHint : 1
; COMPUTE_PGM_RSRC2:SCRATCH_EN: 0
; COMPUTE_PGM_RSRC2:USER_SGPR: 15
; COMPUTE_PGM_RSRC2:TRAP_HANDLER: 0
; COMPUTE_PGM_RSRC2:TGID_X_EN: 1
; COMPUTE_PGM_RSRC2:TGID_Y_EN: 0
; COMPUTE_PGM_RSRC2:TGID_Z_EN: 0
; COMPUTE_PGM_RSRC2:TIDIG_COMP_CNT: 0
	.section	.text._ZN7rocprim17ROCPRIM_400000_NS6detail17trampoline_kernelINS0_14default_configENS1_25partition_config_selectorILNS1_17partition_subalgoE9EllbEEZZNS1_14partition_implILS5_9ELb0ES3_jPlS8_PNS0_10empty_typeENS0_5tupleIJS8_S9_EEENSB_IJS8_SA_EEENS0_18inequality_wrapperIZN2at6native12_GLOBAL__N_124unique_dim_cuda_templateImEESt5tupleIJNSF_6TensorESK_SK_EERKSK_lbbbEUlllE0_EEPmJS9_EEE10hipError_tPvRmT3_T4_T5_T6_T7_T9_mT8_P12ihipStream_tbDpT10_ENKUlT_T0_E_clISt17integral_constantIbLb0EES19_IbLb1EEEEDaS15_S16_EUlS15_E_NS1_11comp_targetILNS1_3genE8ELNS1_11target_archE1030ELNS1_3gpuE2ELNS1_3repE0EEENS1_30default_config_static_selectorELNS0_4arch9wavefront6targetE0EEEvT1_,"axG",@progbits,_ZN7rocprim17ROCPRIM_400000_NS6detail17trampoline_kernelINS0_14default_configENS1_25partition_config_selectorILNS1_17partition_subalgoE9EllbEEZZNS1_14partition_implILS5_9ELb0ES3_jPlS8_PNS0_10empty_typeENS0_5tupleIJS8_S9_EEENSB_IJS8_SA_EEENS0_18inequality_wrapperIZN2at6native12_GLOBAL__N_124unique_dim_cuda_templateImEESt5tupleIJNSF_6TensorESK_SK_EERKSK_lbbbEUlllE0_EEPmJS9_EEE10hipError_tPvRmT3_T4_T5_T6_T7_T9_mT8_P12ihipStream_tbDpT10_ENKUlT_T0_E_clISt17integral_constantIbLb0EES19_IbLb1EEEEDaS15_S16_EUlS15_E_NS1_11comp_targetILNS1_3genE8ELNS1_11target_archE1030ELNS1_3gpuE2ELNS1_3repE0EEENS1_30default_config_static_selectorELNS0_4arch9wavefront6targetE0EEEvT1_,comdat
	.globl	_ZN7rocprim17ROCPRIM_400000_NS6detail17trampoline_kernelINS0_14default_configENS1_25partition_config_selectorILNS1_17partition_subalgoE9EllbEEZZNS1_14partition_implILS5_9ELb0ES3_jPlS8_PNS0_10empty_typeENS0_5tupleIJS8_S9_EEENSB_IJS8_SA_EEENS0_18inequality_wrapperIZN2at6native12_GLOBAL__N_124unique_dim_cuda_templateImEESt5tupleIJNSF_6TensorESK_SK_EERKSK_lbbbEUlllE0_EEPmJS9_EEE10hipError_tPvRmT3_T4_T5_T6_T7_T9_mT8_P12ihipStream_tbDpT10_ENKUlT_T0_E_clISt17integral_constantIbLb0EES19_IbLb1EEEEDaS15_S16_EUlS15_E_NS1_11comp_targetILNS1_3genE8ELNS1_11target_archE1030ELNS1_3gpuE2ELNS1_3repE0EEENS1_30default_config_static_selectorELNS0_4arch9wavefront6targetE0EEEvT1_ ; -- Begin function _ZN7rocprim17ROCPRIM_400000_NS6detail17trampoline_kernelINS0_14default_configENS1_25partition_config_selectorILNS1_17partition_subalgoE9EllbEEZZNS1_14partition_implILS5_9ELb0ES3_jPlS8_PNS0_10empty_typeENS0_5tupleIJS8_S9_EEENSB_IJS8_SA_EEENS0_18inequality_wrapperIZN2at6native12_GLOBAL__N_124unique_dim_cuda_templateImEESt5tupleIJNSF_6TensorESK_SK_EERKSK_lbbbEUlllE0_EEPmJS9_EEE10hipError_tPvRmT3_T4_T5_T6_T7_T9_mT8_P12ihipStream_tbDpT10_ENKUlT_T0_E_clISt17integral_constantIbLb0EES19_IbLb1EEEEDaS15_S16_EUlS15_E_NS1_11comp_targetILNS1_3genE8ELNS1_11target_archE1030ELNS1_3gpuE2ELNS1_3repE0EEENS1_30default_config_static_selectorELNS0_4arch9wavefront6targetE0EEEvT1_
	.p2align	8
	.type	_ZN7rocprim17ROCPRIM_400000_NS6detail17trampoline_kernelINS0_14default_configENS1_25partition_config_selectorILNS1_17partition_subalgoE9EllbEEZZNS1_14partition_implILS5_9ELb0ES3_jPlS8_PNS0_10empty_typeENS0_5tupleIJS8_S9_EEENSB_IJS8_SA_EEENS0_18inequality_wrapperIZN2at6native12_GLOBAL__N_124unique_dim_cuda_templateImEESt5tupleIJNSF_6TensorESK_SK_EERKSK_lbbbEUlllE0_EEPmJS9_EEE10hipError_tPvRmT3_T4_T5_T6_T7_T9_mT8_P12ihipStream_tbDpT10_ENKUlT_T0_E_clISt17integral_constantIbLb0EES19_IbLb1EEEEDaS15_S16_EUlS15_E_NS1_11comp_targetILNS1_3genE8ELNS1_11target_archE1030ELNS1_3gpuE2ELNS1_3repE0EEENS1_30default_config_static_selectorELNS0_4arch9wavefront6targetE0EEEvT1_,@function
_ZN7rocprim17ROCPRIM_400000_NS6detail17trampoline_kernelINS0_14default_configENS1_25partition_config_selectorILNS1_17partition_subalgoE9EllbEEZZNS1_14partition_implILS5_9ELb0ES3_jPlS8_PNS0_10empty_typeENS0_5tupleIJS8_S9_EEENSB_IJS8_SA_EEENS0_18inequality_wrapperIZN2at6native12_GLOBAL__N_124unique_dim_cuda_templateImEESt5tupleIJNSF_6TensorESK_SK_EERKSK_lbbbEUlllE0_EEPmJS9_EEE10hipError_tPvRmT3_T4_T5_T6_T7_T9_mT8_P12ihipStream_tbDpT10_ENKUlT_T0_E_clISt17integral_constantIbLb0EES19_IbLb1EEEEDaS15_S16_EUlS15_E_NS1_11comp_targetILNS1_3genE8ELNS1_11target_archE1030ELNS1_3gpuE2ELNS1_3repE0EEENS1_30default_config_static_selectorELNS0_4arch9wavefront6targetE0EEEvT1_: ; @_ZN7rocprim17ROCPRIM_400000_NS6detail17trampoline_kernelINS0_14default_configENS1_25partition_config_selectorILNS1_17partition_subalgoE9EllbEEZZNS1_14partition_implILS5_9ELb0ES3_jPlS8_PNS0_10empty_typeENS0_5tupleIJS8_S9_EEENSB_IJS8_SA_EEENS0_18inequality_wrapperIZN2at6native12_GLOBAL__N_124unique_dim_cuda_templateImEESt5tupleIJNSF_6TensorESK_SK_EERKSK_lbbbEUlllE0_EEPmJS9_EEE10hipError_tPvRmT3_T4_T5_T6_T7_T9_mT8_P12ihipStream_tbDpT10_ENKUlT_T0_E_clISt17integral_constantIbLb0EES19_IbLb1EEEEDaS15_S16_EUlS15_E_NS1_11comp_targetILNS1_3genE8ELNS1_11target_archE1030ELNS1_3gpuE2ELNS1_3repE0EEENS1_30default_config_static_selectorELNS0_4arch9wavefront6targetE0EEEvT1_
; %bb.0:
	.section	.rodata,"a",@progbits
	.p2align	6, 0x0
	.amdhsa_kernel _ZN7rocprim17ROCPRIM_400000_NS6detail17trampoline_kernelINS0_14default_configENS1_25partition_config_selectorILNS1_17partition_subalgoE9EllbEEZZNS1_14partition_implILS5_9ELb0ES3_jPlS8_PNS0_10empty_typeENS0_5tupleIJS8_S9_EEENSB_IJS8_SA_EEENS0_18inequality_wrapperIZN2at6native12_GLOBAL__N_124unique_dim_cuda_templateImEESt5tupleIJNSF_6TensorESK_SK_EERKSK_lbbbEUlllE0_EEPmJS9_EEE10hipError_tPvRmT3_T4_T5_T6_T7_T9_mT8_P12ihipStream_tbDpT10_ENKUlT_T0_E_clISt17integral_constantIbLb0EES19_IbLb1EEEEDaS15_S16_EUlS15_E_NS1_11comp_targetILNS1_3genE8ELNS1_11target_archE1030ELNS1_3gpuE2ELNS1_3repE0EEENS1_30default_config_static_selectorELNS0_4arch9wavefront6targetE0EEEvT1_
		.amdhsa_group_segment_fixed_size 0
		.amdhsa_private_segment_fixed_size 0
		.amdhsa_kernarg_size 136
		.amdhsa_user_sgpr_count 15
		.amdhsa_user_sgpr_dispatch_ptr 0
		.amdhsa_user_sgpr_queue_ptr 0
		.amdhsa_user_sgpr_kernarg_segment_ptr 1
		.amdhsa_user_sgpr_dispatch_id 0
		.amdhsa_user_sgpr_private_segment_size 0
		.amdhsa_wavefront_size32 1
		.amdhsa_uses_dynamic_stack 0
		.amdhsa_enable_private_segment 0
		.amdhsa_system_sgpr_workgroup_id_x 1
		.amdhsa_system_sgpr_workgroup_id_y 0
		.amdhsa_system_sgpr_workgroup_id_z 0
		.amdhsa_system_sgpr_workgroup_info 0
		.amdhsa_system_vgpr_workitem_id 0
		.amdhsa_next_free_vgpr 1
		.amdhsa_next_free_sgpr 1
		.amdhsa_reserve_vcc 0
		.amdhsa_float_round_mode_32 0
		.amdhsa_float_round_mode_16_64 0
		.amdhsa_float_denorm_mode_32 3
		.amdhsa_float_denorm_mode_16_64 3
		.amdhsa_dx10_clamp 1
		.amdhsa_ieee_mode 1
		.amdhsa_fp16_overflow 0
		.amdhsa_workgroup_processor_mode 1
		.amdhsa_memory_ordered 1
		.amdhsa_forward_progress 0
		.amdhsa_shared_vgpr_count 0
		.amdhsa_exception_fp_ieee_invalid_op 0
		.amdhsa_exception_fp_denorm_src 0
		.amdhsa_exception_fp_ieee_div_zero 0
		.amdhsa_exception_fp_ieee_overflow 0
		.amdhsa_exception_fp_ieee_underflow 0
		.amdhsa_exception_fp_ieee_inexact 0
		.amdhsa_exception_int_div_zero 0
	.end_amdhsa_kernel
	.section	.text._ZN7rocprim17ROCPRIM_400000_NS6detail17trampoline_kernelINS0_14default_configENS1_25partition_config_selectorILNS1_17partition_subalgoE9EllbEEZZNS1_14partition_implILS5_9ELb0ES3_jPlS8_PNS0_10empty_typeENS0_5tupleIJS8_S9_EEENSB_IJS8_SA_EEENS0_18inequality_wrapperIZN2at6native12_GLOBAL__N_124unique_dim_cuda_templateImEESt5tupleIJNSF_6TensorESK_SK_EERKSK_lbbbEUlllE0_EEPmJS9_EEE10hipError_tPvRmT3_T4_T5_T6_T7_T9_mT8_P12ihipStream_tbDpT10_ENKUlT_T0_E_clISt17integral_constantIbLb0EES19_IbLb1EEEEDaS15_S16_EUlS15_E_NS1_11comp_targetILNS1_3genE8ELNS1_11target_archE1030ELNS1_3gpuE2ELNS1_3repE0EEENS1_30default_config_static_selectorELNS0_4arch9wavefront6targetE0EEEvT1_,"axG",@progbits,_ZN7rocprim17ROCPRIM_400000_NS6detail17trampoline_kernelINS0_14default_configENS1_25partition_config_selectorILNS1_17partition_subalgoE9EllbEEZZNS1_14partition_implILS5_9ELb0ES3_jPlS8_PNS0_10empty_typeENS0_5tupleIJS8_S9_EEENSB_IJS8_SA_EEENS0_18inequality_wrapperIZN2at6native12_GLOBAL__N_124unique_dim_cuda_templateImEESt5tupleIJNSF_6TensorESK_SK_EERKSK_lbbbEUlllE0_EEPmJS9_EEE10hipError_tPvRmT3_T4_T5_T6_T7_T9_mT8_P12ihipStream_tbDpT10_ENKUlT_T0_E_clISt17integral_constantIbLb0EES19_IbLb1EEEEDaS15_S16_EUlS15_E_NS1_11comp_targetILNS1_3genE8ELNS1_11target_archE1030ELNS1_3gpuE2ELNS1_3repE0EEENS1_30default_config_static_selectorELNS0_4arch9wavefront6targetE0EEEvT1_,comdat
.Lfunc_end1724:
	.size	_ZN7rocprim17ROCPRIM_400000_NS6detail17trampoline_kernelINS0_14default_configENS1_25partition_config_selectorILNS1_17partition_subalgoE9EllbEEZZNS1_14partition_implILS5_9ELb0ES3_jPlS8_PNS0_10empty_typeENS0_5tupleIJS8_S9_EEENSB_IJS8_SA_EEENS0_18inequality_wrapperIZN2at6native12_GLOBAL__N_124unique_dim_cuda_templateImEESt5tupleIJNSF_6TensorESK_SK_EERKSK_lbbbEUlllE0_EEPmJS9_EEE10hipError_tPvRmT3_T4_T5_T6_T7_T9_mT8_P12ihipStream_tbDpT10_ENKUlT_T0_E_clISt17integral_constantIbLb0EES19_IbLb1EEEEDaS15_S16_EUlS15_E_NS1_11comp_targetILNS1_3genE8ELNS1_11target_archE1030ELNS1_3gpuE2ELNS1_3repE0EEENS1_30default_config_static_selectorELNS0_4arch9wavefront6targetE0EEEvT1_, .Lfunc_end1724-_ZN7rocprim17ROCPRIM_400000_NS6detail17trampoline_kernelINS0_14default_configENS1_25partition_config_selectorILNS1_17partition_subalgoE9EllbEEZZNS1_14partition_implILS5_9ELb0ES3_jPlS8_PNS0_10empty_typeENS0_5tupleIJS8_S9_EEENSB_IJS8_SA_EEENS0_18inequality_wrapperIZN2at6native12_GLOBAL__N_124unique_dim_cuda_templateImEESt5tupleIJNSF_6TensorESK_SK_EERKSK_lbbbEUlllE0_EEPmJS9_EEE10hipError_tPvRmT3_T4_T5_T6_T7_T9_mT8_P12ihipStream_tbDpT10_ENKUlT_T0_E_clISt17integral_constantIbLb0EES19_IbLb1EEEEDaS15_S16_EUlS15_E_NS1_11comp_targetILNS1_3genE8ELNS1_11target_archE1030ELNS1_3gpuE2ELNS1_3repE0EEENS1_30default_config_static_selectorELNS0_4arch9wavefront6targetE0EEEvT1_
                                        ; -- End function
	.section	.AMDGPU.csdata,"",@progbits
; Kernel info:
; codeLenInByte = 0
; NumSgprs: 0
; NumVgprs: 0
; ScratchSize: 0
; MemoryBound: 0
; FloatMode: 240
; IeeeMode: 1
; LDSByteSize: 0 bytes/workgroup (compile time only)
; SGPRBlocks: 0
; VGPRBlocks: 0
; NumSGPRsForWavesPerEU: 1
; NumVGPRsForWavesPerEU: 1
; Occupancy: 16
; WaveLimiterHint : 0
; COMPUTE_PGM_RSRC2:SCRATCH_EN: 0
; COMPUTE_PGM_RSRC2:USER_SGPR: 15
; COMPUTE_PGM_RSRC2:TRAP_HANDLER: 0
; COMPUTE_PGM_RSRC2:TGID_X_EN: 1
; COMPUTE_PGM_RSRC2:TGID_Y_EN: 0
; COMPUTE_PGM_RSRC2:TGID_Z_EN: 0
; COMPUTE_PGM_RSRC2:TIDIG_COMP_CNT: 0
	.text
	.p2alignl 7, 3214868480
	.fill 96, 4, 3214868480
	.type	__hip_cuid_3572ddcfc8ed8a7a,@object ; @__hip_cuid_3572ddcfc8ed8a7a
	.section	.bss,"aw",@nobits
	.globl	__hip_cuid_3572ddcfc8ed8a7a
__hip_cuid_3572ddcfc8ed8a7a:
	.byte	0                               ; 0x0
	.size	__hip_cuid_3572ddcfc8ed8a7a, 1

	.ident	"AMD clang version 19.0.0git (https://github.com/RadeonOpenCompute/llvm-project roc-6.4.0 25133 c7fe45cf4b819c5991fe208aaa96edf142730f1d)"
	.section	".note.GNU-stack","",@progbits
	.addrsig
	.addrsig_sym __hip_cuid_3572ddcfc8ed8a7a
	.amdgpu_metadata
---
amdhsa.kernels:
  - .args:           []
    .group_segment_fixed_size: 0
    .kernarg_segment_align: 4
    .kernarg_segment_size: 0
    .language:       OpenCL C
    .language_version:
      - 2
      - 0
    .max_flat_workgroup_size: 1024
    .name:           _ZN7rocprim17ROCPRIM_400000_NS6detail44device_merge_sort_compile_time_verifier_archINS1_11comp_targetILNS1_3genE0ELNS1_11target_archE4294967295ELNS1_3gpuE0ELNS1_3repE0EEES8_NS0_14default_configES9_NS1_37merge_sort_block_sort_config_selectorIlNS0_10empty_typeEEENS1_38merge_sort_block_merge_config_selectorIlSB_EEEEvv
    .private_segment_fixed_size: 0
    .sgpr_count:     0
    .sgpr_spill_count: 0
    .symbol:         _ZN7rocprim17ROCPRIM_400000_NS6detail44device_merge_sort_compile_time_verifier_archINS1_11comp_targetILNS1_3genE0ELNS1_11target_archE4294967295ELNS1_3gpuE0ELNS1_3repE0EEES8_NS0_14default_configES9_NS1_37merge_sort_block_sort_config_selectorIlNS0_10empty_typeEEENS1_38merge_sort_block_merge_config_selectorIlSB_EEEEvv.kd
    .uniform_work_group_size: 1
    .uses_dynamic_stack: false
    .vgpr_count:     0
    .vgpr_spill_count: 0
    .wavefront_size: 32
    .workgroup_processor_mode: 1
  - .args:           []
    .group_segment_fixed_size: 0
    .kernarg_segment_align: 4
    .kernarg_segment_size: 0
    .language:       OpenCL C
    .language_version:
      - 2
      - 0
    .max_flat_workgroup_size: 1024
    .name:           _ZN7rocprim17ROCPRIM_400000_NS6detail44device_merge_sort_compile_time_verifier_archINS1_11comp_targetILNS1_3genE5ELNS1_11target_archE942ELNS1_3gpuE9ELNS1_3repE0EEES8_NS0_14default_configES9_NS1_37merge_sort_block_sort_config_selectorIlNS0_10empty_typeEEENS1_38merge_sort_block_merge_config_selectorIlSB_EEEEvv
    .private_segment_fixed_size: 0
    .sgpr_count:     0
    .sgpr_spill_count: 0
    .symbol:         _ZN7rocprim17ROCPRIM_400000_NS6detail44device_merge_sort_compile_time_verifier_archINS1_11comp_targetILNS1_3genE5ELNS1_11target_archE942ELNS1_3gpuE9ELNS1_3repE0EEES8_NS0_14default_configES9_NS1_37merge_sort_block_sort_config_selectorIlNS0_10empty_typeEEENS1_38merge_sort_block_merge_config_selectorIlSB_EEEEvv.kd
    .uniform_work_group_size: 1
    .uses_dynamic_stack: false
    .vgpr_count:     0
    .vgpr_spill_count: 0
    .wavefront_size: 32
    .workgroup_processor_mode: 1
  - .args:           []
    .group_segment_fixed_size: 0
    .kernarg_segment_align: 4
    .kernarg_segment_size: 0
    .language:       OpenCL C
    .language_version:
      - 2
      - 0
    .max_flat_workgroup_size: 1024
    .name:           _ZN7rocprim17ROCPRIM_400000_NS6detail44device_merge_sort_compile_time_verifier_archINS1_11comp_targetILNS1_3genE4ELNS1_11target_archE910ELNS1_3gpuE8ELNS1_3repE0EEES8_NS0_14default_configES9_NS1_37merge_sort_block_sort_config_selectorIlNS0_10empty_typeEEENS1_38merge_sort_block_merge_config_selectorIlSB_EEEEvv
    .private_segment_fixed_size: 0
    .sgpr_count:     0
    .sgpr_spill_count: 0
    .symbol:         _ZN7rocprim17ROCPRIM_400000_NS6detail44device_merge_sort_compile_time_verifier_archINS1_11comp_targetILNS1_3genE4ELNS1_11target_archE910ELNS1_3gpuE8ELNS1_3repE0EEES8_NS0_14default_configES9_NS1_37merge_sort_block_sort_config_selectorIlNS0_10empty_typeEEENS1_38merge_sort_block_merge_config_selectorIlSB_EEEEvv.kd
    .uniform_work_group_size: 1
    .uses_dynamic_stack: false
    .vgpr_count:     0
    .vgpr_spill_count: 0
    .wavefront_size: 32
    .workgroup_processor_mode: 1
  - .args:           []
    .group_segment_fixed_size: 0
    .kernarg_segment_align: 4
    .kernarg_segment_size: 0
    .language:       OpenCL C
    .language_version:
      - 2
      - 0
    .max_flat_workgroup_size: 1024
    .name:           _ZN7rocprim17ROCPRIM_400000_NS6detail44device_merge_sort_compile_time_verifier_archINS1_11comp_targetILNS1_3genE3ELNS1_11target_archE908ELNS1_3gpuE7ELNS1_3repE0EEES8_NS0_14default_configES9_NS1_37merge_sort_block_sort_config_selectorIlNS0_10empty_typeEEENS1_38merge_sort_block_merge_config_selectorIlSB_EEEEvv
    .private_segment_fixed_size: 0
    .sgpr_count:     0
    .sgpr_spill_count: 0
    .symbol:         _ZN7rocprim17ROCPRIM_400000_NS6detail44device_merge_sort_compile_time_verifier_archINS1_11comp_targetILNS1_3genE3ELNS1_11target_archE908ELNS1_3gpuE7ELNS1_3repE0EEES8_NS0_14default_configES9_NS1_37merge_sort_block_sort_config_selectorIlNS0_10empty_typeEEENS1_38merge_sort_block_merge_config_selectorIlSB_EEEEvv.kd
    .uniform_work_group_size: 1
    .uses_dynamic_stack: false
    .vgpr_count:     0
    .vgpr_spill_count: 0
    .wavefront_size: 32
    .workgroup_processor_mode: 1
  - .args:           []
    .group_segment_fixed_size: 0
    .kernarg_segment_align: 4
    .kernarg_segment_size: 0
    .language:       OpenCL C
    .language_version:
      - 2
      - 0
    .max_flat_workgroup_size: 1024
    .name:           _ZN7rocprim17ROCPRIM_400000_NS6detail44device_merge_sort_compile_time_verifier_archINS1_11comp_targetILNS1_3genE2ELNS1_11target_archE906ELNS1_3gpuE6ELNS1_3repE0EEES8_NS0_14default_configES9_NS1_37merge_sort_block_sort_config_selectorIlNS0_10empty_typeEEENS1_38merge_sort_block_merge_config_selectorIlSB_EEEEvv
    .private_segment_fixed_size: 0
    .sgpr_count:     0
    .sgpr_spill_count: 0
    .symbol:         _ZN7rocprim17ROCPRIM_400000_NS6detail44device_merge_sort_compile_time_verifier_archINS1_11comp_targetILNS1_3genE2ELNS1_11target_archE906ELNS1_3gpuE6ELNS1_3repE0EEES8_NS0_14default_configES9_NS1_37merge_sort_block_sort_config_selectorIlNS0_10empty_typeEEENS1_38merge_sort_block_merge_config_selectorIlSB_EEEEvv.kd
    .uniform_work_group_size: 1
    .uses_dynamic_stack: false
    .vgpr_count:     0
    .vgpr_spill_count: 0
    .wavefront_size: 32
    .workgroup_processor_mode: 1
  - .args:           []
    .group_segment_fixed_size: 0
    .kernarg_segment_align: 4
    .kernarg_segment_size: 0
    .language:       OpenCL C
    .language_version:
      - 2
      - 0
    .max_flat_workgroup_size: 1024
    .name:           _ZN7rocprim17ROCPRIM_400000_NS6detail44device_merge_sort_compile_time_verifier_archINS1_11comp_targetILNS1_3genE10ELNS1_11target_archE1201ELNS1_3gpuE5ELNS1_3repE0EEES8_NS0_14default_configES9_NS1_37merge_sort_block_sort_config_selectorIlNS0_10empty_typeEEENS1_38merge_sort_block_merge_config_selectorIlSB_EEEEvv
    .private_segment_fixed_size: 0
    .sgpr_count:     0
    .sgpr_spill_count: 0
    .symbol:         _ZN7rocprim17ROCPRIM_400000_NS6detail44device_merge_sort_compile_time_verifier_archINS1_11comp_targetILNS1_3genE10ELNS1_11target_archE1201ELNS1_3gpuE5ELNS1_3repE0EEES8_NS0_14default_configES9_NS1_37merge_sort_block_sort_config_selectorIlNS0_10empty_typeEEENS1_38merge_sort_block_merge_config_selectorIlSB_EEEEvv.kd
    .uniform_work_group_size: 1
    .uses_dynamic_stack: false
    .vgpr_count:     0
    .vgpr_spill_count: 0
    .wavefront_size: 32
    .workgroup_processor_mode: 1
  - .args:           []
    .group_segment_fixed_size: 0
    .kernarg_segment_align: 4
    .kernarg_segment_size: 0
    .language:       OpenCL C
    .language_version:
      - 2
      - 0
    .max_flat_workgroup_size: 1024
    .name:           _ZN7rocprim17ROCPRIM_400000_NS6detail44device_merge_sort_compile_time_verifier_archINS1_11comp_targetILNS1_3genE10ELNS1_11target_archE1200ELNS1_3gpuE4ELNS1_3repE0EEENS3_ILS4_10ELS5_1201ELS6_5ELS7_0EEENS0_14default_configESA_NS1_37merge_sort_block_sort_config_selectorIlNS0_10empty_typeEEENS1_38merge_sort_block_merge_config_selectorIlSC_EEEEvv
    .private_segment_fixed_size: 0
    .sgpr_count:     0
    .sgpr_spill_count: 0
    .symbol:         _ZN7rocprim17ROCPRIM_400000_NS6detail44device_merge_sort_compile_time_verifier_archINS1_11comp_targetILNS1_3genE10ELNS1_11target_archE1200ELNS1_3gpuE4ELNS1_3repE0EEENS3_ILS4_10ELS5_1201ELS6_5ELS7_0EEENS0_14default_configESA_NS1_37merge_sort_block_sort_config_selectorIlNS0_10empty_typeEEENS1_38merge_sort_block_merge_config_selectorIlSC_EEEEvv.kd
    .uniform_work_group_size: 1
    .uses_dynamic_stack: false
    .vgpr_count:     0
    .vgpr_spill_count: 0
    .wavefront_size: 32
    .workgroup_processor_mode: 1
  - .args:           []
    .group_segment_fixed_size: 0
    .kernarg_segment_align: 4
    .kernarg_segment_size: 0
    .language:       OpenCL C
    .language_version:
      - 2
      - 0
    .max_flat_workgroup_size: 1024
    .name:           _ZN7rocprim17ROCPRIM_400000_NS6detail44device_merge_sort_compile_time_verifier_archINS1_11comp_targetILNS1_3genE9ELNS1_11target_archE1100ELNS1_3gpuE3ELNS1_3repE0EEES8_NS0_14default_configES9_NS1_37merge_sort_block_sort_config_selectorIlNS0_10empty_typeEEENS1_38merge_sort_block_merge_config_selectorIlSB_EEEEvv
    .private_segment_fixed_size: 0
    .sgpr_count:     0
    .sgpr_spill_count: 0
    .symbol:         _ZN7rocprim17ROCPRIM_400000_NS6detail44device_merge_sort_compile_time_verifier_archINS1_11comp_targetILNS1_3genE9ELNS1_11target_archE1100ELNS1_3gpuE3ELNS1_3repE0EEES8_NS0_14default_configES9_NS1_37merge_sort_block_sort_config_selectorIlNS0_10empty_typeEEENS1_38merge_sort_block_merge_config_selectorIlSB_EEEEvv.kd
    .uniform_work_group_size: 1
    .uses_dynamic_stack: false
    .vgpr_count:     0
    .vgpr_spill_count: 0
    .wavefront_size: 32
    .workgroup_processor_mode: 1
  - .args:           []
    .group_segment_fixed_size: 0
    .kernarg_segment_align: 4
    .kernarg_segment_size: 0
    .language:       OpenCL C
    .language_version:
      - 2
      - 0
    .max_flat_workgroup_size: 1024
    .name:           _ZN7rocprim17ROCPRIM_400000_NS6detail44device_merge_sort_compile_time_verifier_archINS1_11comp_targetILNS1_3genE8ELNS1_11target_archE1030ELNS1_3gpuE2ELNS1_3repE0EEES8_NS0_14default_configES9_NS1_37merge_sort_block_sort_config_selectorIlNS0_10empty_typeEEENS1_38merge_sort_block_merge_config_selectorIlSB_EEEEvv
    .private_segment_fixed_size: 0
    .sgpr_count:     0
    .sgpr_spill_count: 0
    .symbol:         _ZN7rocprim17ROCPRIM_400000_NS6detail44device_merge_sort_compile_time_verifier_archINS1_11comp_targetILNS1_3genE8ELNS1_11target_archE1030ELNS1_3gpuE2ELNS1_3repE0EEES8_NS0_14default_configES9_NS1_37merge_sort_block_sort_config_selectorIlNS0_10empty_typeEEENS1_38merge_sort_block_merge_config_selectorIlSB_EEEEvv.kd
    .uniform_work_group_size: 1
    .uses_dynamic_stack: false
    .vgpr_count:     0
    .vgpr_spill_count: 0
    .wavefront_size: 32
    .workgroup_processor_mode: 1
  - .args:
      - .offset:         0
        .size:           72
        .value_kind:     by_value
    .group_segment_fixed_size: 0
    .kernarg_segment_align: 8
    .kernarg_segment_size: 72
    .language:       OpenCL C
    .language_version:
      - 2
      - 0
    .max_flat_workgroup_size: 256
    .name:           _ZN7rocprim17ROCPRIM_400000_NS6detail17trampoline_kernelINS0_14default_configENS1_37merge_sort_block_sort_config_selectorIlNS0_10empty_typeEEEZNS1_21merge_sort_block_sortIS3_PlS8_PS5_S9_ZN2at6native12_GLOBAL__N_124unique_dim_cuda_templateIhEESt5tupleIJNSA_6TensorESF_SF_EERKSF_lbbbEUlllE_EE10hipError_tT0_T1_T2_T3_mRjT4_P12ihipStream_tbNS1_7vsmem_tEEUlT_E_NS1_11comp_targetILNS1_3genE0ELNS1_11target_archE4294967295ELNS1_3gpuE0ELNS1_3repE0EEENS1_30default_config_static_selectorELNS0_4arch9wavefront6targetE0EEEvSM_
    .private_segment_fixed_size: 0
    .sgpr_count:     0
    .sgpr_spill_count: 0
    .symbol:         _ZN7rocprim17ROCPRIM_400000_NS6detail17trampoline_kernelINS0_14default_configENS1_37merge_sort_block_sort_config_selectorIlNS0_10empty_typeEEEZNS1_21merge_sort_block_sortIS3_PlS8_PS5_S9_ZN2at6native12_GLOBAL__N_124unique_dim_cuda_templateIhEESt5tupleIJNSA_6TensorESF_SF_EERKSF_lbbbEUlllE_EE10hipError_tT0_T1_T2_T3_mRjT4_P12ihipStream_tbNS1_7vsmem_tEEUlT_E_NS1_11comp_targetILNS1_3genE0ELNS1_11target_archE4294967295ELNS1_3gpuE0ELNS1_3repE0EEENS1_30default_config_static_selectorELNS0_4arch9wavefront6targetE0EEEvSM_.kd
    .uniform_work_group_size: 1
    .uses_dynamic_stack: false
    .vgpr_count:     0
    .vgpr_spill_count: 0
    .wavefront_size: 32
    .workgroup_processor_mode: 1
  - .args:
      - .offset:         0
        .size:           72
        .value_kind:     by_value
    .group_segment_fixed_size: 0
    .kernarg_segment_align: 8
    .kernarg_segment_size: 72
    .language:       OpenCL C
    .language_version:
      - 2
      - 0
    .max_flat_workgroup_size: 256
    .name:           _ZN7rocprim17ROCPRIM_400000_NS6detail17trampoline_kernelINS0_14default_configENS1_37merge_sort_block_sort_config_selectorIlNS0_10empty_typeEEEZNS1_21merge_sort_block_sortIS3_PlS8_PS5_S9_ZN2at6native12_GLOBAL__N_124unique_dim_cuda_templateIhEESt5tupleIJNSA_6TensorESF_SF_EERKSF_lbbbEUlllE_EE10hipError_tT0_T1_T2_T3_mRjT4_P12ihipStream_tbNS1_7vsmem_tEEUlT_E_NS1_11comp_targetILNS1_3genE5ELNS1_11target_archE942ELNS1_3gpuE9ELNS1_3repE0EEENS1_30default_config_static_selectorELNS0_4arch9wavefront6targetE0EEEvSM_
    .private_segment_fixed_size: 0
    .sgpr_count:     0
    .sgpr_spill_count: 0
    .symbol:         _ZN7rocprim17ROCPRIM_400000_NS6detail17trampoline_kernelINS0_14default_configENS1_37merge_sort_block_sort_config_selectorIlNS0_10empty_typeEEEZNS1_21merge_sort_block_sortIS3_PlS8_PS5_S9_ZN2at6native12_GLOBAL__N_124unique_dim_cuda_templateIhEESt5tupleIJNSA_6TensorESF_SF_EERKSF_lbbbEUlllE_EE10hipError_tT0_T1_T2_T3_mRjT4_P12ihipStream_tbNS1_7vsmem_tEEUlT_E_NS1_11comp_targetILNS1_3genE5ELNS1_11target_archE942ELNS1_3gpuE9ELNS1_3repE0EEENS1_30default_config_static_selectorELNS0_4arch9wavefront6targetE0EEEvSM_.kd
    .uniform_work_group_size: 1
    .uses_dynamic_stack: false
    .vgpr_count:     0
    .vgpr_spill_count: 0
    .wavefront_size: 32
    .workgroup_processor_mode: 1
  - .args:
      - .offset:         0
        .size:           72
        .value_kind:     by_value
    .group_segment_fixed_size: 0
    .kernarg_segment_align: 8
    .kernarg_segment_size: 72
    .language:       OpenCL C
    .language_version:
      - 2
      - 0
    .max_flat_workgroup_size: 256
    .name:           _ZN7rocprim17ROCPRIM_400000_NS6detail17trampoline_kernelINS0_14default_configENS1_37merge_sort_block_sort_config_selectorIlNS0_10empty_typeEEEZNS1_21merge_sort_block_sortIS3_PlS8_PS5_S9_ZN2at6native12_GLOBAL__N_124unique_dim_cuda_templateIhEESt5tupleIJNSA_6TensorESF_SF_EERKSF_lbbbEUlllE_EE10hipError_tT0_T1_T2_T3_mRjT4_P12ihipStream_tbNS1_7vsmem_tEEUlT_E_NS1_11comp_targetILNS1_3genE4ELNS1_11target_archE910ELNS1_3gpuE8ELNS1_3repE0EEENS1_30default_config_static_selectorELNS0_4arch9wavefront6targetE0EEEvSM_
    .private_segment_fixed_size: 0
    .sgpr_count:     0
    .sgpr_spill_count: 0
    .symbol:         _ZN7rocprim17ROCPRIM_400000_NS6detail17trampoline_kernelINS0_14default_configENS1_37merge_sort_block_sort_config_selectorIlNS0_10empty_typeEEEZNS1_21merge_sort_block_sortIS3_PlS8_PS5_S9_ZN2at6native12_GLOBAL__N_124unique_dim_cuda_templateIhEESt5tupleIJNSA_6TensorESF_SF_EERKSF_lbbbEUlllE_EE10hipError_tT0_T1_T2_T3_mRjT4_P12ihipStream_tbNS1_7vsmem_tEEUlT_E_NS1_11comp_targetILNS1_3genE4ELNS1_11target_archE910ELNS1_3gpuE8ELNS1_3repE0EEENS1_30default_config_static_selectorELNS0_4arch9wavefront6targetE0EEEvSM_.kd
    .uniform_work_group_size: 1
    .uses_dynamic_stack: false
    .vgpr_count:     0
    .vgpr_spill_count: 0
    .wavefront_size: 32
    .workgroup_processor_mode: 1
  - .args:
      - .offset:         0
        .size:           72
        .value_kind:     by_value
    .group_segment_fixed_size: 0
    .kernarg_segment_align: 8
    .kernarg_segment_size: 72
    .language:       OpenCL C
    .language_version:
      - 2
      - 0
    .max_flat_workgroup_size: 256
    .name:           _ZN7rocprim17ROCPRIM_400000_NS6detail17trampoline_kernelINS0_14default_configENS1_37merge_sort_block_sort_config_selectorIlNS0_10empty_typeEEEZNS1_21merge_sort_block_sortIS3_PlS8_PS5_S9_ZN2at6native12_GLOBAL__N_124unique_dim_cuda_templateIhEESt5tupleIJNSA_6TensorESF_SF_EERKSF_lbbbEUlllE_EE10hipError_tT0_T1_T2_T3_mRjT4_P12ihipStream_tbNS1_7vsmem_tEEUlT_E_NS1_11comp_targetILNS1_3genE3ELNS1_11target_archE908ELNS1_3gpuE7ELNS1_3repE0EEENS1_30default_config_static_selectorELNS0_4arch9wavefront6targetE0EEEvSM_
    .private_segment_fixed_size: 0
    .sgpr_count:     0
    .sgpr_spill_count: 0
    .symbol:         _ZN7rocprim17ROCPRIM_400000_NS6detail17trampoline_kernelINS0_14default_configENS1_37merge_sort_block_sort_config_selectorIlNS0_10empty_typeEEEZNS1_21merge_sort_block_sortIS3_PlS8_PS5_S9_ZN2at6native12_GLOBAL__N_124unique_dim_cuda_templateIhEESt5tupleIJNSA_6TensorESF_SF_EERKSF_lbbbEUlllE_EE10hipError_tT0_T1_T2_T3_mRjT4_P12ihipStream_tbNS1_7vsmem_tEEUlT_E_NS1_11comp_targetILNS1_3genE3ELNS1_11target_archE908ELNS1_3gpuE7ELNS1_3repE0EEENS1_30default_config_static_selectorELNS0_4arch9wavefront6targetE0EEEvSM_.kd
    .uniform_work_group_size: 1
    .uses_dynamic_stack: false
    .vgpr_count:     0
    .vgpr_spill_count: 0
    .wavefront_size: 32
    .workgroup_processor_mode: 1
  - .args:
      - .offset:         0
        .size:           72
        .value_kind:     by_value
    .group_segment_fixed_size: 0
    .kernarg_segment_align: 8
    .kernarg_segment_size: 72
    .language:       OpenCL C
    .language_version:
      - 2
      - 0
    .max_flat_workgroup_size: 256
    .name:           _ZN7rocprim17ROCPRIM_400000_NS6detail17trampoline_kernelINS0_14default_configENS1_37merge_sort_block_sort_config_selectorIlNS0_10empty_typeEEEZNS1_21merge_sort_block_sortIS3_PlS8_PS5_S9_ZN2at6native12_GLOBAL__N_124unique_dim_cuda_templateIhEESt5tupleIJNSA_6TensorESF_SF_EERKSF_lbbbEUlllE_EE10hipError_tT0_T1_T2_T3_mRjT4_P12ihipStream_tbNS1_7vsmem_tEEUlT_E_NS1_11comp_targetILNS1_3genE2ELNS1_11target_archE906ELNS1_3gpuE6ELNS1_3repE0EEENS1_30default_config_static_selectorELNS0_4arch9wavefront6targetE0EEEvSM_
    .private_segment_fixed_size: 0
    .sgpr_count:     0
    .sgpr_spill_count: 0
    .symbol:         _ZN7rocprim17ROCPRIM_400000_NS6detail17trampoline_kernelINS0_14default_configENS1_37merge_sort_block_sort_config_selectorIlNS0_10empty_typeEEEZNS1_21merge_sort_block_sortIS3_PlS8_PS5_S9_ZN2at6native12_GLOBAL__N_124unique_dim_cuda_templateIhEESt5tupleIJNSA_6TensorESF_SF_EERKSF_lbbbEUlllE_EE10hipError_tT0_T1_T2_T3_mRjT4_P12ihipStream_tbNS1_7vsmem_tEEUlT_E_NS1_11comp_targetILNS1_3genE2ELNS1_11target_archE906ELNS1_3gpuE6ELNS1_3repE0EEENS1_30default_config_static_selectorELNS0_4arch9wavefront6targetE0EEEvSM_.kd
    .uniform_work_group_size: 1
    .uses_dynamic_stack: false
    .vgpr_count:     0
    .vgpr_spill_count: 0
    .wavefront_size: 32
    .workgroup_processor_mode: 1
  - .args:
      - .offset:         0
        .size:           72
        .value_kind:     by_value
    .group_segment_fixed_size: 0
    .kernarg_segment_align: 8
    .kernarg_segment_size: 72
    .language:       OpenCL C
    .language_version:
      - 2
      - 0
    .max_flat_workgroup_size: 256
    .name:           _ZN7rocprim17ROCPRIM_400000_NS6detail17trampoline_kernelINS0_14default_configENS1_37merge_sort_block_sort_config_selectorIlNS0_10empty_typeEEEZNS1_21merge_sort_block_sortIS3_PlS8_PS5_S9_ZN2at6native12_GLOBAL__N_124unique_dim_cuda_templateIhEESt5tupleIJNSA_6TensorESF_SF_EERKSF_lbbbEUlllE_EE10hipError_tT0_T1_T2_T3_mRjT4_P12ihipStream_tbNS1_7vsmem_tEEUlT_E_NS1_11comp_targetILNS1_3genE10ELNS1_11target_archE1201ELNS1_3gpuE5ELNS1_3repE0EEENS1_30default_config_static_selectorELNS0_4arch9wavefront6targetE0EEEvSM_
    .private_segment_fixed_size: 0
    .sgpr_count:     0
    .sgpr_spill_count: 0
    .symbol:         _ZN7rocprim17ROCPRIM_400000_NS6detail17trampoline_kernelINS0_14default_configENS1_37merge_sort_block_sort_config_selectorIlNS0_10empty_typeEEEZNS1_21merge_sort_block_sortIS3_PlS8_PS5_S9_ZN2at6native12_GLOBAL__N_124unique_dim_cuda_templateIhEESt5tupleIJNSA_6TensorESF_SF_EERKSF_lbbbEUlllE_EE10hipError_tT0_T1_T2_T3_mRjT4_P12ihipStream_tbNS1_7vsmem_tEEUlT_E_NS1_11comp_targetILNS1_3genE10ELNS1_11target_archE1201ELNS1_3gpuE5ELNS1_3repE0EEENS1_30default_config_static_selectorELNS0_4arch9wavefront6targetE0EEEvSM_.kd
    .uniform_work_group_size: 1
    .uses_dynamic_stack: false
    .vgpr_count:     0
    .vgpr_spill_count: 0
    .wavefront_size: 32
    .workgroup_processor_mode: 1
  - .args:
      - .offset:         0
        .size:           72
        .value_kind:     by_value
    .group_segment_fixed_size: 0
    .kernarg_segment_align: 8
    .kernarg_segment_size: 72
    .language:       OpenCL C
    .language_version:
      - 2
      - 0
    .max_flat_workgroup_size: 512
    .name:           _ZN7rocprim17ROCPRIM_400000_NS6detail17trampoline_kernelINS0_14default_configENS1_37merge_sort_block_sort_config_selectorIlNS0_10empty_typeEEEZNS1_21merge_sort_block_sortIS3_PlS8_PS5_S9_ZN2at6native12_GLOBAL__N_124unique_dim_cuda_templateIhEESt5tupleIJNSA_6TensorESF_SF_EERKSF_lbbbEUlllE_EE10hipError_tT0_T1_T2_T3_mRjT4_P12ihipStream_tbNS1_7vsmem_tEEUlT_E_NS1_11comp_targetILNS1_3genE10ELNS1_11target_archE1200ELNS1_3gpuE4ELNS1_3repE0EEENS1_30default_config_static_selectorELNS0_4arch9wavefront6targetE0EEEvSM_
    .private_segment_fixed_size: 0
    .sgpr_count:     0
    .sgpr_spill_count: 0
    .symbol:         _ZN7rocprim17ROCPRIM_400000_NS6detail17trampoline_kernelINS0_14default_configENS1_37merge_sort_block_sort_config_selectorIlNS0_10empty_typeEEEZNS1_21merge_sort_block_sortIS3_PlS8_PS5_S9_ZN2at6native12_GLOBAL__N_124unique_dim_cuda_templateIhEESt5tupleIJNSA_6TensorESF_SF_EERKSF_lbbbEUlllE_EE10hipError_tT0_T1_T2_T3_mRjT4_P12ihipStream_tbNS1_7vsmem_tEEUlT_E_NS1_11comp_targetILNS1_3genE10ELNS1_11target_archE1200ELNS1_3gpuE4ELNS1_3repE0EEENS1_30default_config_static_selectorELNS0_4arch9wavefront6targetE0EEEvSM_.kd
    .uniform_work_group_size: 1
    .uses_dynamic_stack: false
    .vgpr_count:     0
    .vgpr_spill_count: 0
    .wavefront_size: 32
    .workgroup_processor_mode: 1
  - .args:
      - .offset:         0
        .size:           72
        .value_kind:     by_value
      - .offset:         72
        .size:           4
        .value_kind:     hidden_block_count_x
      - .offset:         76
        .size:           4
        .value_kind:     hidden_block_count_y
      - .offset:         80
        .size:           4
        .value_kind:     hidden_block_count_z
      - .offset:         84
        .size:           2
        .value_kind:     hidden_group_size_x
      - .offset:         86
        .size:           2
        .value_kind:     hidden_group_size_y
      - .offset:         88
        .size:           2
        .value_kind:     hidden_group_size_z
      - .offset:         90
        .size:           2
        .value_kind:     hidden_remainder_x
      - .offset:         92
        .size:           2
        .value_kind:     hidden_remainder_y
      - .offset:         94
        .size:           2
        .value_kind:     hidden_remainder_z
      - .offset:         112
        .size:           8
        .value_kind:     hidden_global_offset_x
      - .offset:         120
        .size:           8
        .value_kind:     hidden_global_offset_y
      - .offset:         128
        .size:           8
        .value_kind:     hidden_global_offset_z
      - .offset:         136
        .size:           2
        .value_kind:     hidden_grid_dims
    .group_segment_fixed_size: 8448
    .kernarg_segment_align: 8
    .kernarg_segment_size: 328
    .language:       OpenCL C
    .language_version:
      - 2
      - 0
    .max_flat_workgroup_size: 256
    .name:           _ZN7rocprim17ROCPRIM_400000_NS6detail17trampoline_kernelINS0_14default_configENS1_37merge_sort_block_sort_config_selectorIlNS0_10empty_typeEEEZNS1_21merge_sort_block_sortIS3_PlS8_PS5_S9_ZN2at6native12_GLOBAL__N_124unique_dim_cuda_templateIhEESt5tupleIJNSA_6TensorESF_SF_EERKSF_lbbbEUlllE_EE10hipError_tT0_T1_T2_T3_mRjT4_P12ihipStream_tbNS1_7vsmem_tEEUlT_E_NS1_11comp_targetILNS1_3genE9ELNS1_11target_archE1100ELNS1_3gpuE3ELNS1_3repE0EEENS1_30default_config_static_selectorELNS0_4arch9wavefront6targetE0EEEvSM_
    .private_segment_fixed_size: 0
    .sgpr_count:     34
    .sgpr_spill_count: 0
    .symbol:         _ZN7rocprim17ROCPRIM_400000_NS6detail17trampoline_kernelINS0_14default_configENS1_37merge_sort_block_sort_config_selectorIlNS0_10empty_typeEEEZNS1_21merge_sort_block_sortIS3_PlS8_PS5_S9_ZN2at6native12_GLOBAL__N_124unique_dim_cuda_templateIhEESt5tupleIJNSA_6TensorESF_SF_EERKSF_lbbbEUlllE_EE10hipError_tT0_T1_T2_T3_mRjT4_P12ihipStream_tbNS1_7vsmem_tEEUlT_E_NS1_11comp_targetILNS1_3genE9ELNS1_11target_archE1100ELNS1_3gpuE3ELNS1_3repE0EEENS1_30default_config_static_selectorELNS0_4arch9wavefront6targetE0EEEvSM_.kd
    .uniform_work_group_size: 1
    .uses_dynamic_stack: false
    .vgpr_count:     49
    .vgpr_spill_count: 0
    .wavefront_size: 32
    .workgroup_processor_mode: 1
  - .args:
      - .offset:         0
        .size:           72
        .value_kind:     by_value
    .group_segment_fixed_size: 0
    .kernarg_segment_align: 8
    .kernarg_segment_size: 72
    .language:       OpenCL C
    .language_version:
      - 2
      - 0
    .max_flat_workgroup_size: 256
    .name:           _ZN7rocprim17ROCPRIM_400000_NS6detail17trampoline_kernelINS0_14default_configENS1_37merge_sort_block_sort_config_selectorIlNS0_10empty_typeEEEZNS1_21merge_sort_block_sortIS3_PlS8_PS5_S9_ZN2at6native12_GLOBAL__N_124unique_dim_cuda_templateIhEESt5tupleIJNSA_6TensorESF_SF_EERKSF_lbbbEUlllE_EE10hipError_tT0_T1_T2_T3_mRjT4_P12ihipStream_tbNS1_7vsmem_tEEUlT_E_NS1_11comp_targetILNS1_3genE8ELNS1_11target_archE1030ELNS1_3gpuE2ELNS1_3repE0EEENS1_30default_config_static_selectorELNS0_4arch9wavefront6targetE0EEEvSM_
    .private_segment_fixed_size: 0
    .sgpr_count:     0
    .sgpr_spill_count: 0
    .symbol:         _ZN7rocprim17ROCPRIM_400000_NS6detail17trampoline_kernelINS0_14default_configENS1_37merge_sort_block_sort_config_selectorIlNS0_10empty_typeEEEZNS1_21merge_sort_block_sortIS3_PlS8_PS5_S9_ZN2at6native12_GLOBAL__N_124unique_dim_cuda_templateIhEESt5tupleIJNSA_6TensorESF_SF_EERKSF_lbbbEUlllE_EE10hipError_tT0_T1_T2_T3_mRjT4_P12ihipStream_tbNS1_7vsmem_tEEUlT_E_NS1_11comp_targetILNS1_3genE8ELNS1_11target_archE1030ELNS1_3gpuE2ELNS1_3repE0EEENS1_30default_config_static_selectorELNS0_4arch9wavefront6targetE0EEEvSM_.kd
    .uniform_work_group_size: 1
    .uses_dynamic_stack: false
    .vgpr_count:     0
    .vgpr_spill_count: 0
    .wavefront_size: 32
    .workgroup_processor_mode: 1
  - .args:
      - .offset:         0
        .size:           56
        .value_kind:     by_value
    .group_segment_fixed_size: 0
    .kernarg_segment_align: 8
    .kernarg_segment_size: 56
    .language:       OpenCL C
    .language_version:
      - 2
      - 0
    .max_flat_workgroup_size: 128
    .name:           _ZN7rocprim17ROCPRIM_400000_NS6detail17trampoline_kernelINS0_14default_configENS1_38merge_sort_block_merge_config_selectorIlNS0_10empty_typeEEEZZNS1_27merge_sort_block_merge_implIS3_PlPS5_mZN2at6native12_GLOBAL__N_124unique_dim_cuda_templateIhEESt5tupleIJNSA_6TensorESF_SF_EERKSF_lbbbEUlllE_EE10hipError_tT0_T1_T2_jT3_P12ihipStream_tbPNSt15iterator_traitsISL_E10value_typeEPNSR_ISM_E10value_typeEPSN_NS1_7vsmem_tEENKUlT_SL_SM_SN_E_clIS8_S8_S9_S9_EESK_S10_SL_SM_SN_EUlS10_E_NS1_11comp_targetILNS1_3genE0ELNS1_11target_archE4294967295ELNS1_3gpuE0ELNS1_3repE0EEENS1_48merge_mergepath_partition_config_static_selectorELNS0_4arch9wavefront6targetE0EEEvSM_
    .private_segment_fixed_size: 0
    .sgpr_count:     0
    .sgpr_spill_count: 0
    .symbol:         _ZN7rocprim17ROCPRIM_400000_NS6detail17trampoline_kernelINS0_14default_configENS1_38merge_sort_block_merge_config_selectorIlNS0_10empty_typeEEEZZNS1_27merge_sort_block_merge_implIS3_PlPS5_mZN2at6native12_GLOBAL__N_124unique_dim_cuda_templateIhEESt5tupleIJNSA_6TensorESF_SF_EERKSF_lbbbEUlllE_EE10hipError_tT0_T1_T2_jT3_P12ihipStream_tbPNSt15iterator_traitsISL_E10value_typeEPNSR_ISM_E10value_typeEPSN_NS1_7vsmem_tEENKUlT_SL_SM_SN_E_clIS8_S8_S9_S9_EESK_S10_SL_SM_SN_EUlS10_E_NS1_11comp_targetILNS1_3genE0ELNS1_11target_archE4294967295ELNS1_3gpuE0ELNS1_3repE0EEENS1_48merge_mergepath_partition_config_static_selectorELNS0_4arch9wavefront6targetE0EEEvSM_.kd
    .uniform_work_group_size: 1
    .uses_dynamic_stack: false
    .vgpr_count:     0
    .vgpr_spill_count: 0
    .wavefront_size: 32
    .workgroup_processor_mode: 1
  - .args:
      - .offset:         0
        .size:           56
        .value_kind:     by_value
    .group_segment_fixed_size: 0
    .kernarg_segment_align: 8
    .kernarg_segment_size: 56
    .language:       OpenCL C
    .language_version:
      - 2
      - 0
    .max_flat_workgroup_size: 128
    .name:           _ZN7rocprim17ROCPRIM_400000_NS6detail17trampoline_kernelINS0_14default_configENS1_38merge_sort_block_merge_config_selectorIlNS0_10empty_typeEEEZZNS1_27merge_sort_block_merge_implIS3_PlPS5_mZN2at6native12_GLOBAL__N_124unique_dim_cuda_templateIhEESt5tupleIJNSA_6TensorESF_SF_EERKSF_lbbbEUlllE_EE10hipError_tT0_T1_T2_jT3_P12ihipStream_tbPNSt15iterator_traitsISL_E10value_typeEPNSR_ISM_E10value_typeEPSN_NS1_7vsmem_tEENKUlT_SL_SM_SN_E_clIS8_S8_S9_S9_EESK_S10_SL_SM_SN_EUlS10_E_NS1_11comp_targetILNS1_3genE10ELNS1_11target_archE1201ELNS1_3gpuE5ELNS1_3repE0EEENS1_48merge_mergepath_partition_config_static_selectorELNS0_4arch9wavefront6targetE0EEEvSM_
    .private_segment_fixed_size: 0
    .sgpr_count:     0
    .sgpr_spill_count: 0
    .symbol:         _ZN7rocprim17ROCPRIM_400000_NS6detail17trampoline_kernelINS0_14default_configENS1_38merge_sort_block_merge_config_selectorIlNS0_10empty_typeEEEZZNS1_27merge_sort_block_merge_implIS3_PlPS5_mZN2at6native12_GLOBAL__N_124unique_dim_cuda_templateIhEESt5tupleIJNSA_6TensorESF_SF_EERKSF_lbbbEUlllE_EE10hipError_tT0_T1_T2_jT3_P12ihipStream_tbPNSt15iterator_traitsISL_E10value_typeEPNSR_ISM_E10value_typeEPSN_NS1_7vsmem_tEENKUlT_SL_SM_SN_E_clIS8_S8_S9_S9_EESK_S10_SL_SM_SN_EUlS10_E_NS1_11comp_targetILNS1_3genE10ELNS1_11target_archE1201ELNS1_3gpuE5ELNS1_3repE0EEENS1_48merge_mergepath_partition_config_static_selectorELNS0_4arch9wavefront6targetE0EEEvSM_.kd
    .uniform_work_group_size: 1
    .uses_dynamic_stack: false
    .vgpr_count:     0
    .vgpr_spill_count: 0
    .wavefront_size: 32
    .workgroup_processor_mode: 1
  - .args:
      - .offset:         0
        .size:           56
        .value_kind:     by_value
    .group_segment_fixed_size: 0
    .kernarg_segment_align: 8
    .kernarg_segment_size: 56
    .language:       OpenCL C
    .language_version:
      - 2
      - 0
    .max_flat_workgroup_size: 128
    .name:           _ZN7rocprim17ROCPRIM_400000_NS6detail17trampoline_kernelINS0_14default_configENS1_38merge_sort_block_merge_config_selectorIlNS0_10empty_typeEEEZZNS1_27merge_sort_block_merge_implIS3_PlPS5_mZN2at6native12_GLOBAL__N_124unique_dim_cuda_templateIhEESt5tupleIJNSA_6TensorESF_SF_EERKSF_lbbbEUlllE_EE10hipError_tT0_T1_T2_jT3_P12ihipStream_tbPNSt15iterator_traitsISL_E10value_typeEPNSR_ISM_E10value_typeEPSN_NS1_7vsmem_tEENKUlT_SL_SM_SN_E_clIS8_S8_S9_S9_EESK_S10_SL_SM_SN_EUlS10_E_NS1_11comp_targetILNS1_3genE5ELNS1_11target_archE942ELNS1_3gpuE9ELNS1_3repE0EEENS1_48merge_mergepath_partition_config_static_selectorELNS0_4arch9wavefront6targetE0EEEvSM_
    .private_segment_fixed_size: 0
    .sgpr_count:     0
    .sgpr_spill_count: 0
    .symbol:         _ZN7rocprim17ROCPRIM_400000_NS6detail17trampoline_kernelINS0_14default_configENS1_38merge_sort_block_merge_config_selectorIlNS0_10empty_typeEEEZZNS1_27merge_sort_block_merge_implIS3_PlPS5_mZN2at6native12_GLOBAL__N_124unique_dim_cuda_templateIhEESt5tupleIJNSA_6TensorESF_SF_EERKSF_lbbbEUlllE_EE10hipError_tT0_T1_T2_jT3_P12ihipStream_tbPNSt15iterator_traitsISL_E10value_typeEPNSR_ISM_E10value_typeEPSN_NS1_7vsmem_tEENKUlT_SL_SM_SN_E_clIS8_S8_S9_S9_EESK_S10_SL_SM_SN_EUlS10_E_NS1_11comp_targetILNS1_3genE5ELNS1_11target_archE942ELNS1_3gpuE9ELNS1_3repE0EEENS1_48merge_mergepath_partition_config_static_selectorELNS0_4arch9wavefront6targetE0EEEvSM_.kd
    .uniform_work_group_size: 1
    .uses_dynamic_stack: false
    .vgpr_count:     0
    .vgpr_spill_count: 0
    .wavefront_size: 32
    .workgroup_processor_mode: 1
  - .args:
      - .offset:         0
        .size:           56
        .value_kind:     by_value
    .group_segment_fixed_size: 0
    .kernarg_segment_align: 8
    .kernarg_segment_size: 56
    .language:       OpenCL C
    .language_version:
      - 2
      - 0
    .max_flat_workgroup_size: 128
    .name:           _ZN7rocprim17ROCPRIM_400000_NS6detail17trampoline_kernelINS0_14default_configENS1_38merge_sort_block_merge_config_selectorIlNS0_10empty_typeEEEZZNS1_27merge_sort_block_merge_implIS3_PlPS5_mZN2at6native12_GLOBAL__N_124unique_dim_cuda_templateIhEESt5tupleIJNSA_6TensorESF_SF_EERKSF_lbbbEUlllE_EE10hipError_tT0_T1_T2_jT3_P12ihipStream_tbPNSt15iterator_traitsISL_E10value_typeEPNSR_ISM_E10value_typeEPSN_NS1_7vsmem_tEENKUlT_SL_SM_SN_E_clIS8_S8_S9_S9_EESK_S10_SL_SM_SN_EUlS10_E_NS1_11comp_targetILNS1_3genE4ELNS1_11target_archE910ELNS1_3gpuE8ELNS1_3repE0EEENS1_48merge_mergepath_partition_config_static_selectorELNS0_4arch9wavefront6targetE0EEEvSM_
    .private_segment_fixed_size: 0
    .sgpr_count:     0
    .sgpr_spill_count: 0
    .symbol:         _ZN7rocprim17ROCPRIM_400000_NS6detail17trampoline_kernelINS0_14default_configENS1_38merge_sort_block_merge_config_selectorIlNS0_10empty_typeEEEZZNS1_27merge_sort_block_merge_implIS3_PlPS5_mZN2at6native12_GLOBAL__N_124unique_dim_cuda_templateIhEESt5tupleIJNSA_6TensorESF_SF_EERKSF_lbbbEUlllE_EE10hipError_tT0_T1_T2_jT3_P12ihipStream_tbPNSt15iterator_traitsISL_E10value_typeEPNSR_ISM_E10value_typeEPSN_NS1_7vsmem_tEENKUlT_SL_SM_SN_E_clIS8_S8_S9_S9_EESK_S10_SL_SM_SN_EUlS10_E_NS1_11comp_targetILNS1_3genE4ELNS1_11target_archE910ELNS1_3gpuE8ELNS1_3repE0EEENS1_48merge_mergepath_partition_config_static_selectorELNS0_4arch9wavefront6targetE0EEEvSM_.kd
    .uniform_work_group_size: 1
    .uses_dynamic_stack: false
    .vgpr_count:     0
    .vgpr_spill_count: 0
    .wavefront_size: 32
    .workgroup_processor_mode: 1
  - .args:
      - .offset:         0
        .size:           56
        .value_kind:     by_value
    .group_segment_fixed_size: 0
    .kernarg_segment_align: 8
    .kernarg_segment_size: 56
    .language:       OpenCL C
    .language_version:
      - 2
      - 0
    .max_flat_workgroup_size: 128
    .name:           _ZN7rocprim17ROCPRIM_400000_NS6detail17trampoline_kernelINS0_14default_configENS1_38merge_sort_block_merge_config_selectorIlNS0_10empty_typeEEEZZNS1_27merge_sort_block_merge_implIS3_PlPS5_mZN2at6native12_GLOBAL__N_124unique_dim_cuda_templateIhEESt5tupleIJNSA_6TensorESF_SF_EERKSF_lbbbEUlllE_EE10hipError_tT0_T1_T2_jT3_P12ihipStream_tbPNSt15iterator_traitsISL_E10value_typeEPNSR_ISM_E10value_typeEPSN_NS1_7vsmem_tEENKUlT_SL_SM_SN_E_clIS8_S8_S9_S9_EESK_S10_SL_SM_SN_EUlS10_E_NS1_11comp_targetILNS1_3genE3ELNS1_11target_archE908ELNS1_3gpuE7ELNS1_3repE0EEENS1_48merge_mergepath_partition_config_static_selectorELNS0_4arch9wavefront6targetE0EEEvSM_
    .private_segment_fixed_size: 0
    .sgpr_count:     0
    .sgpr_spill_count: 0
    .symbol:         _ZN7rocprim17ROCPRIM_400000_NS6detail17trampoline_kernelINS0_14default_configENS1_38merge_sort_block_merge_config_selectorIlNS0_10empty_typeEEEZZNS1_27merge_sort_block_merge_implIS3_PlPS5_mZN2at6native12_GLOBAL__N_124unique_dim_cuda_templateIhEESt5tupleIJNSA_6TensorESF_SF_EERKSF_lbbbEUlllE_EE10hipError_tT0_T1_T2_jT3_P12ihipStream_tbPNSt15iterator_traitsISL_E10value_typeEPNSR_ISM_E10value_typeEPSN_NS1_7vsmem_tEENKUlT_SL_SM_SN_E_clIS8_S8_S9_S9_EESK_S10_SL_SM_SN_EUlS10_E_NS1_11comp_targetILNS1_3genE3ELNS1_11target_archE908ELNS1_3gpuE7ELNS1_3repE0EEENS1_48merge_mergepath_partition_config_static_selectorELNS0_4arch9wavefront6targetE0EEEvSM_.kd
    .uniform_work_group_size: 1
    .uses_dynamic_stack: false
    .vgpr_count:     0
    .vgpr_spill_count: 0
    .wavefront_size: 32
    .workgroup_processor_mode: 1
  - .args:
      - .offset:         0
        .size:           56
        .value_kind:     by_value
    .group_segment_fixed_size: 0
    .kernarg_segment_align: 8
    .kernarg_segment_size: 56
    .language:       OpenCL C
    .language_version:
      - 2
      - 0
    .max_flat_workgroup_size: 128
    .name:           _ZN7rocprim17ROCPRIM_400000_NS6detail17trampoline_kernelINS0_14default_configENS1_38merge_sort_block_merge_config_selectorIlNS0_10empty_typeEEEZZNS1_27merge_sort_block_merge_implIS3_PlPS5_mZN2at6native12_GLOBAL__N_124unique_dim_cuda_templateIhEESt5tupleIJNSA_6TensorESF_SF_EERKSF_lbbbEUlllE_EE10hipError_tT0_T1_T2_jT3_P12ihipStream_tbPNSt15iterator_traitsISL_E10value_typeEPNSR_ISM_E10value_typeEPSN_NS1_7vsmem_tEENKUlT_SL_SM_SN_E_clIS8_S8_S9_S9_EESK_S10_SL_SM_SN_EUlS10_E_NS1_11comp_targetILNS1_3genE2ELNS1_11target_archE906ELNS1_3gpuE6ELNS1_3repE0EEENS1_48merge_mergepath_partition_config_static_selectorELNS0_4arch9wavefront6targetE0EEEvSM_
    .private_segment_fixed_size: 0
    .sgpr_count:     0
    .sgpr_spill_count: 0
    .symbol:         _ZN7rocprim17ROCPRIM_400000_NS6detail17trampoline_kernelINS0_14default_configENS1_38merge_sort_block_merge_config_selectorIlNS0_10empty_typeEEEZZNS1_27merge_sort_block_merge_implIS3_PlPS5_mZN2at6native12_GLOBAL__N_124unique_dim_cuda_templateIhEESt5tupleIJNSA_6TensorESF_SF_EERKSF_lbbbEUlllE_EE10hipError_tT0_T1_T2_jT3_P12ihipStream_tbPNSt15iterator_traitsISL_E10value_typeEPNSR_ISM_E10value_typeEPSN_NS1_7vsmem_tEENKUlT_SL_SM_SN_E_clIS8_S8_S9_S9_EESK_S10_SL_SM_SN_EUlS10_E_NS1_11comp_targetILNS1_3genE2ELNS1_11target_archE906ELNS1_3gpuE6ELNS1_3repE0EEENS1_48merge_mergepath_partition_config_static_selectorELNS0_4arch9wavefront6targetE0EEEvSM_.kd
    .uniform_work_group_size: 1
    .uses_dynamic_stack: false
    .vgpr_count:     0
    .vgpr_spill_count: 0
    .wavefront_size: 32
    .workgroup_processor_mode: 1
  - .args:
      - .offset:         0
        .size:           56
        .value_kind:     by_value
    .group_segment_fixed_size: 0
    .kernarg_segment_align: 8
    .kernarg_segment_size: 56
    .language:       OpenCL C
    .language_version:
      - 2
      - 0
    .max_flat_workgroup_size: 128
    .name:           _ZN7rocprim17ROCPRIM_400000_NS6detail17trampoline_kernelINS0_14default_configENS1_38merge_sort_block_merge_config_selectorIlNS0_10empty_typeEEEZZNS1_27merge_sort_block_merge_implIS3_PlPS5_mZN2at6native12_GLOBAL__N_124unique_dim_cuda_templateIhEESt5tupleIJNSA_6TensorESF_SF_EERKSF_lbbbEUlllE_EE10hipError_tT0_T1_T2_jT3_P12ihipStream_tbPNSt15iterator_traitsISL_E10value_typeEPNSR_ISM_E10value_typeEPSN_NS1_7vsmem_tEENKUlT_SL_SM_SN_E_clIS8_S8_S9_S9_EESK_S10_SL_SM_SN_EUlS10_E_NS1_11comp_targetILNS1_3genE9ELNS1_11target_archE1100ELNS1_3gpuE3ELNS1_3repE0EEENS1_48merge_mergepath_partition_config_static_selectorELNS0_4arch9wavefront6targetE0EEEvSM_
    .private_segment_fixed_size: 0
    .sgpr_count:     21
    .sgpr_spill_count: 0
    .symbol:         _ZN7rocprim17ROCPRIM_400000_NS6detail17trampoline_kernelINS0_14default_configENS1_38merge_sort_block_merge_config_selectorIlNS0_10empty_typeEEEZZNS1_27merge_sort_block_merge_implIS3_PlPS5_mZN2at6native12_GLOBAL__N_124unique_dim_cuda_templateIhEESt5tupleIJNSA_6TensorESF_SF_EERKSF_lbbbEUlllE_EE10hipError_tT0_T1_T2_jT3_P12ihipStream_tbPNSt15iterator_traitsISL_E10value_typeEPNSR_ISM_E10value_typeEPSN_NS1_7vsmem_tEENKUlT_SL_SM_SN_E_clIS8_S8_S9_S9_EESK_S10_SL_SM_SN_EUlS10_E_NS1_11comp_targetILNS1_3genE9ELNS1_11target_archE1100ELNS1_3gpuE3ELNS1_3repE0EEENS1_48merge_mergepath_partition_config_static_selectorELNS0_4arch9wavefront6targetE0EEEvSM_.kd
    .uniform_work_group_size: 1
    .uses_dynamic_stack: false
    .vgpr_count:     22
    .vgpr_spill_count: 0
    .wavefront_size: 32
    .workgroup_processor_mode: 1
  - .args:
      - .offset:         0
        .size:           56
        .value_kind:     by_value
    .group_segment_fixed_size: 0
    .kernarg_segment_align: 8
    .kernarg_segment_size: 56
    .language:       OpenCL C
    .language_version:
      - 2
      - 0
    .max_flat_workgroup_size: 128
    .name:           _ZN7rocprim17ROCPRIM_400000_NS6detail17trampoline_kernelINS0_14default_configENS1_38merge_sort_block_merge_config_selectorIlNS0_10empty_typeEEEZZNS1_27merge_sort_block_merge_implIS3_PlPS5_mZN2at6native12_GLOBAL__N_124unique_dim_cuda_templateIhEESt5tupleIJNSA_6TensorESF_SF_EERKSF_lbbbEUlllE_EE10hipError_tT0_T1_T2_jT3_P12ihipStream_tbPNSt15iterator_traitsISL_E10value_typeEPNSR_ISM_E10value_typeEPSN_NS1_7vsmem_tEENKUlT_SL_SM_SN_E_clIS8_S8_S9_S9_EESK_S10_SL_SM_SN_EUlS10_E_NS1_11comp_targetILNS1_3genE8ELNS1_11target_archE1030ELNS1_3gpuE2ELNS1_3repE0EEENS1_48merge_mergepath_partition_config_static_selectorELNS0_4arch9wavefront6targetE0EEEvSM_
    .private_segment_fixed_size: 0
    .sgpr_count:     0
    .sgpr_spill_count: 0
    .symbol:         _ZN7rocprim17ROCPRIM_400000_NS6detail17trampoline_kernelINS0_14default_configENS1_38merge_sort_block_merge_config_selectorIlNS0_10empty_typeEEEZZNS1_27merge_sort_block_merge_implIS3_PlPS5_mZN2at6native12_GLOBAL__N_124unique_dim_cuda_templateIhEESt5tupleIJNSA_6TensorESF_SF_EERKSF_lbbbEUlllE_EE10hipError_tT0_T1_T2_jT3_P12ihipStream_tbPNSt15iterator_traitsISL_E10value_typeEPNSR_ISM_E10value_typeEPSN_NS1_7vsmem_tEENKUlT_SL_SM_SN_E_clIS8_S8_S9_S9_EESK_S10_SL_SM_SN_EUlS10_E_NS1_11comp_targetILNS1_3genE8ELNS1_11target_archE1030ELNS1_3gpuE2ELNS1_3repE0EEENS1_48merge_mergepath_partition_config_static_selectorELNS0_4arch9wavefront6targetE0EEEvSM_.kd
    .uniform_work_group_size: 1
    .uses_dynamic_stack: false
    .vgpr_count:     0
    .vgpr_spill_count: 0
    .wavefront_size: 32
    .workgroup_processor_mode: 1
  - .args:
      - .offset:         0
        .size:           88
        .value_kind:     by_value
    .group_segment_fixed_size: 0
    .kernarg_segment_align: 8
    .kernarg_segment_size: 88
    .language:       OpenCL C
    .language_version:
      - 2
      - 0
    .max_flat_workgroup_size: 128
    .name:           _ZN7rocprim17ROCPRIM_400000_NS6detail17trampoline_kernelINS0_14default_configENS1_38merge_sort_block_merge_config_selectorIlNS0_10empty_typeEEEZZNS1_27merge_sort_block_merge_implIS3_PlPS5_mZN2at6native12_GLOBAL__N_124unique_dim_cuda_templateIhEESt5tupleIJNSA_6TensorESF_SF_EERKSF_lbbbEUlllE_EE10hipError_tT0_T1_T2_jT3_P12ihipStream_tbPNSt15iterator_traitsISL_E10value_typeEPNSR_ISM_E10value_typeEPSN_NS1_7vsmem_tEENKUlT_SL_SM_SN_E_clIS8_S8_S9_S9_EESK_S10_SL_SM_SN_EUlS10_E0_NS1_11comp_targetILNS1_3genE0ELNS1_11target_archE4294967295ELNS1_3gpuE0ELNS1_3repE0EEENS1_38merge_mergepath_config_static_selectorELNS0_4arch9wavefront6targetE0EEEvSM_
    .private_segment_fixed_size: 0
    .sgpr_count:     0
    .sgpr_spill_count: 0
    .symbol:         _ZN7rocprim17ROCPRIM_400000_NS6detail17trampoline_kernelINS0_14default_configENS1_38merge_sort_block_merge_config_selectorIlNS0_10empty_typeEEEZZNS1_27merge_sort_block_merge_implIS3_PlPS5_mZN2at6native12_GLOBAL__N_124unique_dim_cuda_templateIhEESt5tupleIJNSA_6TensorESF_SF_EERKSF_lbbbEUlllE_EE10hipError_tT0_T1_T2_jT3_P12ihipStream_tbPNSt15iterator_traitsISL_E10value_typeEPNSR_ISM_E10value_typeEPSN_NS1_7vsmem_tEENKUlT_SL_SM_SN_E_clIS8_S8_S9_S9_EESK_S10_SL_SM_SN_EUlS10_E0_NS1_11comp_targetILNS1_3genE0ELNS1_11target_archE4294967295ELNS1_3gpuE0ELNS1_3repE0EEENS1_38merge_mergepath_config_static_selectorELNS0_4arch9wavefront6targetE0EEEvSM_.kd
    .uniform_work_group_size: 1
    .uses_dynamic_stack: false
    .vgpr_count:     0
    .vgpr_spill_count: 0
    .wavefront_size: 32
    .workgroup_processor_mode: 1
  - .args:
      - .offset:         0
        .size:           88
        .value_kind:     by_value
    .group_segment_fixed_size: 0
    .kernarg_segment_align: 8
    .kernarg_segment_size: 88
    .language:       OpenCL C
    .language_version:
      - 2
      - 0
    .max_flat_workgroup_size: 512
    .name:           _ZN7rocprim17ROCPRIM_400000_NS6detail17trampoline_kernelINS0_14default_configENS1_38merge_sort_block_merge_config_selectorIlNS0_10empty_typeEEEZZNS1_27merge_sort_block_merge_implIS3_PlPS5_mZN2at6native12_GLOBAL__N_124unique_dim_cuda_templateIhEESt5tupleIJNSA_6TensorESF_SF_EERKSF_lbbbEUlllE_EE10hipError_tT0_T1_T2_jT3_P12ihipStream_tbPNSt15iterator_traitsISL_E10value_typeEPNSR_ISM_E10value_typeEPSN_NS1_7vsmem_tEENKUlT_SL_SM_SN_E_clIS8_S8_S9_S9_EESK_S10_SL_SM_SN_EUlS10_E0_NS1_11comp_targetILNS1_3genE10ELNS1_11target_archE1201ELNS1_3gpuE5ELNS1_3repE0EEENS1_38merge_mergepath_config_static_selectorELNS0_4arch9wavefront6targetE0EEEvSM_
    .private_segment_fixed_size: 0
    .sgpr_count:     0
    .sgpr_spill_count: 0
    .symbol:         _ZN7rocprim17ROCPRIM_400000_NS6detail17trampoline_kernelINS0_14default_configENS1_38merge_sort_block_merge_config_selectorIlNS0_10empty_typeEEEZZNS1_27merge_sort_block_merge_implIS3_PlPS5_mZN2at6native12_GLOBAL__N_124unique_dim_cuda_templateIhEESt5tupleIJNSA_6TensorESF_SF_EERKSF_lbbbEUlllE_EE10hipError_tT0_T1_T2_jT3_P12ihipStream_tbPNSt15iterator_traitsISL_E10value_typeEPNSR_ISM_E10value_typeEPSN_NS1_7vsmem_tEENKUlT_SL_SM_SN_E_clIS8_S8_S9_S9_EESK_S10_SL_SM_SN_EUlS10_E0_NS1_11comp_targetILNS1_3genE10ELNS1_11target_archE1201ELNS1_3gpuE5ELNS1_3repE0EEENS1_38merge_mergepath_config_static_selectorELNS0_4arch9wavefront6targetE0EEEvSM_.kd
    .uniform_work_group_size: 1
    .uses_dynamic_stack: false
    .vgpr_count:     0
    .vgpr_spill_count: 0
    .wavefront_size: 32
    .workgroup_processor_mode: 1
  - .args:
      - .offset:         0
        .size:           88
        .value_kind:     by_value
    .group_segment_fixed_size: 0
    .kernarg_segment_align: 8
    .kernarg_segment_size: 88
    .language:       OpenCL C
    .language_version:
      - 2
      - 0
    .max_flat_workgroup_size: 128
    .name:           _ZN7rocprim17ROCPRIM_400000_NS6detail17trampoline_kernelINS0_14default_configENS1_38merge_sort_block_merge_config_selectorIlNS0_10empty_typeEEEZZNS1_27merge_sort_block_merge_implIS3_PlPS5_mZN2at6native12_GLOBAL__N_124unique_dim_cuda_templateIhEESt5tupleIJNSA_6TensorESF_SF_EERKSF_lbbbEUlllE_EE10hipError_tT0_T1_T2_jT3_P12ihipStream_tbPNSt15iterator_traitsISL_E10value_typeEPNSR_ISM_E10value_typeEPSN_NS1_7vsmem_tEENKUlT_SL_SM_SN_E_clIS8_S8_S9_S9_EESK_S10_SL_SM_SN_EUlS10_E0_NS1_11comp_targetILNS1_3genE5ELNS1_11target_archE942ELNS1_3gpuE9ELNS1_3repE0EEENS1_38merge_mergepath_config_static_selectorELNS0_4arch9wavefront6targetE0EEEvSM_
    .private_segment_fixed_size: 0
    .sgpr_count:     0
    .sgpr_spill_count: 0
    .symbol:         _ZN7rocprim17ROCPRIM_400000_NS6detail17trampoline_kernelINS0_14default_configENS1_38merge_sort_block_merge_config_selectorIlNS0_10empty_typeEEEZZNS1_27merge_sort_block_merge_implIS3_PlPS5_mZN2at6native12_GLOBAL__N_124unique_dim_cuda_templateIhEESt5tupleIJNSA_6TensorESF_SF_EERKSF_lbbbEUlllE_EE10hipError_tT0_T1_T2_jT3_P12ihipStream_tbPNSt15iterator_traitsISL_E10value_typeEPNSR_ISM_E10value_typeEPSN_NS1_7vsmem_tEENKUlT_SL_SM_SN_E_clIS8_S8_S9_S9_EESK_S10_SL_SM_SN_EUlS10_E0_NS1_11comp_targetILNS1_3genE5ELNS1_11target_archE942ELNS1_3gpuE9ELNS1_3repE0EEENS1_38merge_mergepath_config_static_selectorELNS0_4arch9wavefront6targetE0EEEvSM_.kd
    .uniform_work_group_size: 1
    .uses_dynamic_stack: false
    .vgpr_count:     0
    .vgpr_spill_count: 0
    .wavefront_size: 32
    .workgroup_processor_mode: 1
  - .args:
      - .offset:         0
        .size:           88
        .value_kind:     by_value
    .group_segment_fixed_size: 0
    .kernarg_segment_align: 8
    .kernarg_segment_size: 88
    .language:       OpenCL C
    .language_version:
      - 2
      - 0
    .max_flat_workgroup_size: 256
    .name:           _ZN7rocprim17ROCPRIM_400000_NS6detail17trampoline_kernelINS0_14default_configENS1_38merge_sort_block_merge_config_selectorIlNS0_10empty_typeEEEZZNS1_27merge_sort_block_merge_implIS3_PlPS5_mZN2at6native12_GLOBAL__N_124unique_dim_cuda_templateIhEESt5tupleIJNSA_6TensorESF_SF_EERKSF_lbbbEUlllE_EE10hipError_tT0_T1_T2_jT3_P12ihipStream_tbPNSt15iterator_traitsISL_E10value_typeEPNSR_ISM_E10value_typeEPSN_NS1_7vsmem_tEENKUlT_SL_SM_SN_E_clIS8_S8_S9_S9_EESK_S10_SL_SM_SN_EUlS10_E0_NS1_11comp_targetILNS1_3genE4ELNS1_11target_archE910ELNS1_3gpuE8ELNS1_3repE0EEENS1_38merge_mergepath_config_static_selectorELNS0_4arch9wavefront6targetE0EEEvSM_
    .private_segment_fixed_size: 0
    .sgpr_count:     0
    .sgpr_spill_count: 0
    .symbol:         _ZN7rocprim17ROCPRIM_400000_NS6detail17trampoline_kernelINS0_14default_configENS1_38merge_sort_block_merge_config_selectorIlNS0_10empty_typeEEEZZNS1_27merge_sort_block_merge_implIS3_PlPS5_mZN2at6native12_GLOBAL__N_124unique_dim_cuda_templateIhEESt5tupleIJNSA_6TensorESF_SF_EERKSF_lbbbEUlllE_EE10hipError_tT0_T1_T2_jT3_P12ihipStream_tbPNSt15iterator_traitsISL_E10value_typeEPNSR_ISM_E10value_typeEPSN_NS1_7vsmem_tEENKUlT_SL_SM_SN_E_clIS8_S8_S9_S9_EESK_S10_SL_SM_SN_EUlS10_E0_NS1_11comp_targetILNS1_3genE4ELNS1_11target_archE910ELNS1_3gpuE8ELNS1_3repE0EEENS1_38merge_mergepath_config_static_selectorELNS0_4arch9wavefront6targetE0EEEvSM_.kd
    .uniform_work_group_size: 1
    .uses_dynamic_stack: false
    .vgpr_count:     0
    .vgpr_spill_count: 0
    .wavefront_size: 32
    .workgroup_processor_mode: 1
  - .args:
      - .offset:         0
        .size:           88
        .value_kind:     by_value
    .group_segment_fixed_size: 0
    .kernarg_segment_align: 8
    .kernarg_segment_size: 88
    .language:       OpenCL C
    .language_version:
      - 2
      - 0
    .max_flat_workgroup_size: 128
    .name:           _ZN7rocprim17ROCPRIM_400000_NS6detail17trampoline_kernelINS0_14default_configENS1_38merge_sort_block_merge_config_selectorIlNS0_10empty_typeEEEZZNS1_27merge_sort_block_merge_implIS3_PlPS5_mZN2at6native12_GLOBAL__N_124unique_dim_cuda_templateIhEESt5tupleIJNSA_6TensorESF_SF_EERKSF_lbbbEUlllE_EE10hipError_tT0_T1_T2_jT3_P12ihipStream_tbPNSt15iterator_traitsISL_E10value_typeEPNSR_ISM_E10value_typeEPSN_NS1_7vsmem_tEENKUlT_SL_SM_SN_E_clIS8_S8_S9_S9_EESK_S10_SL_SM_SN_EUlS10_E0_NS1_11comp_targetILNS1_3genE3ELNS1_11target_archE908ELNS1_3gpuE7ELNS1_3repE0EEENS1_38merge_mergepath_config_static_selectorELNS0_4arch9wavefront6targetE0EEEvSM_
    .private_segment_fixed_size: 0
    .sgpr_count:     0
    .sgpr_spill_count: 0
    .symbol:         _ZN7rocprim17ROCPRIM_400000_NS6detail17trampoline_kernelINS0_14default_configENS1_38merge_sort_block_merge_config_selectorIlNS0_10empty_typeEEEZZNS1_27merge_sort_block_merge_implIS3_PlPS5_mZN2at6native12_GLOBAL__N_124unique_dim_cuda_templateIhEESt5tupleIJNSA_6TensorESF_SF_EERKSF_lbbbEUlllE_EE10hipError_tT0_T1_T2_jT3_P12ihipStream_tbPNSt15iterator_traitsISL_E10value_typeEPNSR_ISM_E10value_typeEPSN_NS1_7vsmem_tEENKUlT_SL_SM_SN_E_clIS8_S8_S9_S9_EESK_S10_SL_SM_SN_EUlS10_E0_NS1_11comp_targetILNS1_3genE3ELNS1_11target_archE908ELNS1_3gpuE7ELNS1_3repE0EEENS1_38merge_mergepath_config_static_selectorELNS0_4arch9wavefront6targetE0EEEvSM_.kd
    .uniform_work_group_size: 1
    .uses_dynamic_stack: false
    .vgpr_count:     0
    .vgpr_spill_count: 0
    .wavefront_size: 32
    .workgroup_processor_mode: 1
  - .args:
      - .offset:         0
        .size:           88
        .value_kind:     by_value
    .group_segment_fixed_size: 0
    .kernarg_segment_align: 8
    .kernarg_segment_size: 88
    .language:       OpenCL C
    .language_version:
      - 2
      - 0
    .max_flat_workgroup_size: 256
    .name:           _ZN7rocprim17ROCPRIM_400000_NS6detail17trampoline_kernelINS0_14default_configENS1_38merge_sort_block_merge_config_selectorIlNS0_10empty_typeEEEZZNS1_27merge_sort_block_merge_implIS3_PlPS5_mZN2at6native12_GLOBAL__N_124unique_dim_cuda_templateIhEESt5tupleIJNSA_6TensorESF_SF_EERKSF_lbbbEUlllE_EE10hipError_tT0_T1_T2_jT3_P12ihipStream_tbPNSt15iterator_traitsISL_E10value_typeEPNSR_ISM_E10value_typeEPSN_NS1_7vsmem_tEENKUlT_SL_SM_SN_E_clIS8_S8_S9_S9_EESK_S10_SL_SM_SN_EUlS10_E0_NS1_11comp_targetILNS1_3genE2ELNS1_11target_archE906ELNS1_3gpuE6ELNS1_3repE0EEENS1_38merge_mergepath_config_static_selectorELNS0_4arch9wavefront6targetE0EEEvSM_
    .private_segment_fixed_size: 0
    .sgpr_count:     0
    .sgpr_spill_count: 0
    .symbol:         _ZN7rocprim17ROCPRIM_400000_NS6detail17trampoline_kernelINS0_14default_configENS1_38merge_sort_block_merge_config_selectorIlNS0_10empty_typeEEEZZNS1_27merge_sort_block_merge_implIS3_PlPS5_mZN2at6native12_GLOBAL__N_124unique_dim_cuda_templateIhEESt5tupleIJNSA_6TensorESF_SF_EERKSF_lbbbEUlllE_EE10hipError_tT0_T1_T2_jT3_P12ihipStream_tbPNSt15iterator_traitsISL_E10value_typeEPNSR_ISM_E10value_typeEPSN_NS1_7vsmem_tEENKUlT_SL_SM_SN_E_clIS8_S8_S9_S9_EESK_S10_SL_SM_SN_EUlS10_E0_NS1_11comp_targetILNS1_3genE2ELNS1_11target_archE906ELNS1_3gpuE6ELNS1_3repE0EEENS1_38merge_mergepath_config_static_selectorELNS0_4arch9wavefront6targetE0EEEvSM_.kd
    .uniform_work_group_size: 1
    .uses_dynamic_stack: false
    .vgpr_count:     0
    .vgpr_spill_count: 0
    .wavefront_size: 32
    .workgroup_processor_mode: 1
  - .args:
      - .offset:         0
        .size:           88
        .value_kind:     by_value
      - .offset:         88
        .size:           4
        .value_kind:     hidden_block_count_x
      - .offset:         92
        .size:           4
        .value_kind:     hidden_block_count_y
      - .offset:         96
        .size:           4
        .value_kind:     hidden_block_count_z
      - .offset:         100
        .size:           2
        .value_kind:     hidden_group_size_x
      - .offset:         102
        .size:           2
        .value_kind:     hidden_group_size_y
      - .offset:         104
        .size:           2
        .value_kind:     hidden_group_size_z
      - .offset:         106
        .size:           2
        .value_kind:     hidden_remainder_x
      - .offset:         108
        .size:           2
        .value_kind:     hidden_remainder_y
      - .offset:         110
        .size:           2
        .value_kind:     hidden_remainder_z
      - .offset:         128
        .size:           8
        .value_kind:     hidden_global_offset_x
      - .offset:         136
        .size:           8
        .value_kind:     hidden_global_offset_y
      - .offset:         144
        .size:           8
        .value_kind:     hidden_global_offset_z
      - .offset:         152
        .size:           2
        .value_kind:     hidden_grid_dims
    .group_segment_fixed_size: 8448
    .kernarg_segment_align: 8
    .kernarg_segment_size: 344
    .language:       OpenCL C
    .language_version:
      - 2
      - 0
    .max_flat_workgroup_size: 512
    .name:           _ZN7rocprim17ROCPRIM_400000_NS6detail17trampoline_kernelINS0_14default_configENS1_38merge_sort_block_merge_config_selectorIlNS0_10empty_typeEEEZZNS1_27merge_sort_block_merge_implIS3_PlPS5_mZN2at6native12_GLOBAL__N_124unique_dim_cuda_templateIhEESt5tupleIJNSA_6TensorESF_SF_EERKSF_lbbbEUlllE_EE10hipError_tT0_T1_T2_jT3_P12ihipStream_tbPNSt15iterator_traitsISL_E10value_typeEPNSR_ISM_E10value_typeEPSN_NS1_7vsmem_tEENKUlT_SL_SM_SN_E_clIS8_S8_S9_S9_EESK_S10_SL_SM_SN_EUlS10_E0_NS1_11comp_targetILNS1_3genE9ELNS1_11target_archE1100ELNS1_3gpuE3ELNS1_3repE0EEENS1_38merge_mergepath_config_static_selectorELNS0_4arch9wavefront6targetE0EEEvSM_
    .private_segment_fixed_size: 0
    .sgpr_count:     36
    .sgpr_spill_count: 0
    .symbol:         _ZN7rocprim17ROCPRIM_400000_NS6detail17trampoline_kernelINS0_14default_configENS1_38merge_sort_block_merge_config_selectorIlNS0_10empty_typeEEEZZNS1_27merge_sort_block_merge_implIS3_PlPS5_mZN2at6native12_GLOBAL__N_124unique_dim_cuda_templateIhEESt5tupleIJNSA_6TensorESF_SF_EERKSF_lbbbEUlllE_EE10hipError_tT0_T1_T2_jT3_P12ihipStream_tbPNSt15iterator_traitsISL_E10value_typeEPNSR_ISM_E10value_typeEPSN_NS1_7vsmem_tEENKUlT_SL_SM_SN_E_clIS8_S8_S9_S9_EESK_S10_SL_SM_SN_EUlS10_E0_NS1_11comp_targetILNS1_3genE9ELNS1_11target_archE1100ELNS1_3gpuE3ELNS1_3repE0EEENS1_38merge_mergepath_config_static_selectorELNS0_4arch9wavefront6targetE0EEEvSM_.kd
    .uniform_work_group_size: 1
    .uses_dynamic_stack: false
    .vgpr_count:     21
    .vgpr_spill_count: 0
    .wavefront_size: 32
    .workgroup_processor_mode: 1
  - .args:
      - .offset:         0
        .size:           88
        .value_kind:     by_value
    .group_segment_fixed_size: 0
    .kernarg_segment_align: 8
    .kernarg_segment_size: 88
    .language:       OpenCL C
    .language_version:
      - 2
      - 0
    .max_flat_workgroup_size: 1024
    .name:           _ZN7rocprim17ROCPRIM_400000_NS6detail17trampoline_kernelINS0_14default_configENS1_38merge_sort_block_merge_config_selectorIlNS0_10empty_typeEEEZZNS1_27merge_sort_block_merge_implIS3_PlPS5_mZN2at6native12_GLOBAL__N_124unique_dim_cuda_templateIhEESt5tupleIJNSA_6TensorESF_SF_EERKSF_lbbbEUlllE_EE10hipError_tT0_T1_T2_jT3_P12ihipStream_tbPNSt15iterator_traitsISL_E10value_typeEPNSR_ISM_E10value_typeEPSN_NS1_7vsmem_tEENKUlT_SL_SM_SN_E_clIS8_S8_S9_S9_EESK_S10_SL_SM_SN_EUlS10_E0_NS1_11comp_targetILNS1_3genE8ELNS1_11target_archE1030ELNS1_3gpuE2ELNS1_3repE0EEENS1_38merge_mergepath_config_static_selectorELNS0_4arch9wavefront6targetE0EEEvSM_
    .private_segment_fixed_size: 0
    .sgpr_count:     0
    .sgpr_spill_count: 0
    .symbol:         _ZN7rocprim17ROCPRIM_400000_NS6detail17trampoline_kernelINS0_14default_configENS1_38merge_sort_block_merge_config_selectorIlNS0_10empty_typeEEEZZNS1_27merge_sort_block_merge_implIS3_PlPS5_mZN2at6native12_GLOBAL__N_124unique_dim_cuda_templateIhEESt5tupleIJNSA_6TensorESF_SF_EERKSF_lbbbEUlllE_EE10hipError_tT0_T1_T2_jT3_P12ihipStream_tbPNSt15iterator_traitsISL_E10value_typeEPNSR_ISM_E10value_typeEPSN_NS1_7vsmem_tEENKUlT_SL_SM_SN_E_clIS8_S8_S9_S9_EESK_S10_SL_SM_SN_EUlS10_E0_NS1_11comp_targetILNS1_3genE8ELNS1_11target_archE1030ELNS1_3gpuE2ELNS1_3repE0EEENS1_38merge_mergepath_config_static_selectorELNS0_4arch9wavefront6targetE0EEEvSM_.kd
    .uniform_work_group_size: 1
    .uses_dynamic_stack: false
    .vgpr_count:     0
    .vgpr_spill_count: 0
    .wavefront_size: 32
    .workgroup_processor_mode: 1
  - .args:
      - .offset:         0
        .size:           64
        .value_kind:     by_value
    .group_segment_fixed_size: 0
    .kernarg_segment_align: 8
    .kernarg_segment_size: 64
    .language:       OpenCL C
    .language_version:
      - 2
      - 0
    .max_flat_workgroup_size: 256
    .name:           _ZN7rocprim17ROCPRIM_400000_NS6detail17trampoline_kernelINS0_14default_configENS1_38merge_sort_block_merge_config_selectorIlNS0_10empty_typeEEEZZNS1_27merge_sort_block_merge_implIS3_PlPS5_mZN2at6native12_GLOBAL__N_124unique_dim_cuda_templateIhEESt5tupleIJNSA_6TensorESF_SF_EERKSF_lbbbEUlllE_EE10hipError_tT0_T1_T2_jT3_P12ihipStream_tbPNSt15iterator_traitsISL_E10value_typeEPNSR_ISM_E10value_typeEPSN_NS1_7vsmem_tEENKUlT_SL_SM_SN_E_clIS8_S8_S9_S9_EESK_S10_SL_SM_SN_EUlS10_E1_NS1_11comp_targetILNS1_3genE0ELNS1_11target_archE4294967295ELNS1_3gpuE0ELNS1_3repE0EEENS1_36merge_oddeven_config_static_selectorELNS0_4arch9wavefront6targetE0EEEvSM_
    .private_segment_fixed_size: 0
    .sgpr_count:     0
    .sgpr_spill_count: 0
    .symbol:         _ZN7rocprim17ROCPRIM_400000_NS6detail17trampoline_kernelINS0_14default_configENS1_38merge_sort_block_merge_config_selectorIlNS0_10empty_typeEEEZZNS1_27merge_sort_block_merge_implIS3_PlPS5_mZN2at6native12_GLOBAL__N_124unique_dim_cuda_templateIhEESt5tupleIJNSA_6TensorESF_SF_EERKSF_lbbbEUlllE_EE10hipError_tT0_T1_T2_jT3_P12ihipStream_tbPNSt15iterator_traitsISL_E10value_typeEPNSR_ISM_E10value_typeEPSN_NS1_7vsmem_tEENKUlT_SL_SM_SN_E_clIS8_S8_S9_S9_EESK_S10_SL_SM_SN_EUlS10_E1_NS1_11comp_targetILNS1_3genE0ELNS1_11target_archE4294967295ELNS1_3gpuE0ELNS1_3repE0EEENS1_36merge_oddeven_config_static_selectorELNS0_4arch9wavefront6targetE0EEEvSM_.kd
    .uniform_work_group_size: 1
    .uses_dynamic_stack: false
    .vgpr_count:     0
    .vgpr_spill_count: 0
    .wavefront_size: 32
    .workgroup_processor_mode: 1
  - .args:
      - .offset:         0
        .size:           64
        .value_kind:     by_value
    .group_segment_fixed_size: 0
    .kernarg_segment_align: 8
    .kernarg_segment_size: 64
    .language:       OpenCL C
    .language_version:
      - 2
      - 0
    .max_flat_workgroup_size: 256
    .name:           _ZN7rocprim17ROCPRIM_400000_NS6detail17trampoline_kernelINS0_14default_configENS1_38merge_sort_block_merge_config_selectorIlNS0_10empty_typeEEEZZNS1_27merge_sort_block_merge_implIS3_PlPS5_mZN2at6native12_GLOBAL__N_124unique_dim_cuda_templateIhEESt5tupleIJNSA_6TensorESF_SF_EERKSF_lbbbEUlllE_EE10hipError_tT0_T1_T2_jT3_P12ihipStream_tbPNSt15iterator_traitsISL_E10value_typeEPNSR_ISM_E10value_typeEPSN_NS1_7vsmem_tEENKUlT_SL_SM_SN_E_clIS8_S8_S9_S9_EESK_S10_SL_SM_SN_EUlS10_E1_NS1_11comp_targetILNS1_3genE10ELNS1_11target_archE1201ELNS1_3gpuE5ELNS1_3repE0EEENS1_36merge_oddeven_config_static_selectorELNS0_4arch9wavefront6targetE0EEEvSM_
    .private_segment_fixed_size: 0
    .sgpr_count:     0
    .sgpr_spill_count: 0
    .symbol:         _ZN7rocprim17ROCPRIM_400000_NS6detail17trampoline_kernelINS0_14default_configENS1_38merge_sort_block_merge_config_selectorIlNS0_10empty_typeEEEZZNS1_27merge_sort_block_merge_implIS3_PlPS5_mZN2at6native12_GLOBAL__N_124unique_dim_cuda_templateIhEESt5tupleIJNSA_6TensorESF_SF_EERKSF_lbbbEUlllE_EE10hipError_tT0_T1_T2_jT3_P12ihipStream_tbPNSt15iterator_traitsISL_E10value_typeEPNSR_ISM_E10value_typeEPSN_NS1_7vsmem_tEENKUlT_SL_SM_SN_E_clIS8_S8_S9_S9_EESK_S10_SL_SM_SN_EUlS10_E1_NS1_11comp_targetILNS1_3genE10ELNS1_11target_archE1201ELNS1_3gpuE5ELNS1_3repE0EEENS1_36merge_oddeven_config_static_selectorELNS0_4arch9wavefront6targetE0EEEvSM_.kd
    .uniform_work_group_size: 1
    .uses_dynamic_stack: false
    .vgpr_count:     0
    .vgpr_spill_count: 0
    .wavefront_size: 32
    .workgroup_processor_mode: 1
  - .args:
      - .offset:         0
        .size:           64
        .value_kind:     by_value
    .group_segment_fixed_size: 0
    .kernarg_segment_align: 8
    .kernarg_segment_size: 64
    .language:       OpenCL C
    .language_version:
      - 2
      - 0
    .max_flat_workgroup_size: 256
    .name:           _ZN7rocprim17ROCPRIM_400000_NS6detail17trampoline_kernelINS0_14default_configENS1_38merge_sort_block_merge_config_selectorIlNS0_10empty_typeEEEZZNS1_27merge_sort_block_merge_implIS3_PlPS5_mZN2at6native12_GLOBAL__N_124unique_dim_cuda_templateIhEESt5tupleIJNSA_6TensorESF_SF_EERKSF_lbbbEUlllE_EE10hipError_tT0_T1_T2_jT3_P12ihipStream_tbPNSt15iterator_traitsISL_E10value_typeEPNSR_ISM_E10value_typeEPSN_NS1_7vsmem_tEENKUlT_SL_SM_SN_E_clIS8_S8_S9_S9_EESK_S10_SL_SM_SN_EUlS10_E1_NS1_11comp_targetILNS1_3genE5ELNS1_11target_archE942ELNS1_3gpuE9ELNS1_3repE0EEENS1_36merge_oddeven_config_static_selectorELNS0_4arch9wavefront6targetE0EEEvSM_
    .private_segment_fixed_size: 0
    .sgpr_count:     0
    .sgpr_spill_count: 0
    .symbol:         _ZN7rocprim17ROCPRIM_400000_NS6detail17trampoline_kernelINS0_14default_configENS1_38merge_sort_block_merge_config_selectorIlNS0_10empty_typeEEEZZNS1_27merge_sort_block_merge_implIS3_PlPS5_mZN2at6native12_GLOBAL__N_124unique_dim_cuda_templateIhEESt5tupleIJNSA_6TensorESF_SF_EERKSF_lbbbEUlllE_EE10hipError_tT0_T1_T2_jT3_P12ihipStream_tbPNSt15iterator_traitsISL_E10value_typeEPNSR_ISM_E10value_typeEPSN_NS1_7vsmem_tEENKUlT_SL_SM_SN_E_clIS8_S8_S9_S9_EESK_S10_SL_SM_SN_EUlS10_E1_NS1_11comp_targetILNS1_3genE5ELNS1_11target_archE942ELNS1_3gpuE9ELNS1_3repE0EEENS1_36merge_oddeven_config_static_selectorELNS0_4arch9wavefront6targetE0EEEvSM_.kd
    .uniform_work_group_size: 1
    .uses_dynamic_stack: false
    .vgpr_count:     0
    .vgpr_spill_count: 0
    .wavefront_size: 32
    .workgroup_processor_mode: 1
  - .args:
      - .offset:         0
        .size:           64
        .value_kind:     by_value
    .group_segment_fixed_size: 0
    .kernarg_segment_align: 8
    .kernarg_segment_size: 64
    .language:       OpenCL C
    .language_version:
      - 2
      - 0
    .max_flat_workgroup_size: 256
    .name:           _ZN7rocprim17ROCPRIM_400000_NS6detail17trampoline_kernelINS0_14default_configENS1_38merge_sort_block_merge_config_selectorIlNS0_10empty_typeEEEZZNS1_27merge_sort_block_merge_implIS3_PlPS5_mZN2at6native12_GLOBAL__N_124unique_dim_cuda_templateIhEESt5tupleIJNSA_6TensorESF_SF_EERKSF_lbbbEUlllE_EE10hipError_tT0_T1_T2_jT3_P12ihipStream_tbPNSt15iterator_traitsISL_E10value_typeEPNSR_ISM_E10value_typeEPSN_NS1_7vsmem_tEENKUlT_SL_SM_SN_E_clIS8_S8_S9_S9_EESK_S10_SL_SM_SN_EUlS10_E1_NS1_11comp_targetILNS1_3genE4ELNS1_11target_archE910ELNS1_3gpuE8ELNS1_3repE0EEENS1_36merge_oddeven_config_static_selectorELNS0_4arch9wavefront6targetE0EEEvSM_
    .private_segment_fixed_size: 0
    .sgpr_count:     0
    .sgpr_spill_count: 0
    .symbol:         _ZN7rocprim17ROCPRIM_400000_NS6detail17trampoline_kernelINS0_14default_configENS1_38merge_sort_block_merge_config_selectorIlNS0_10empty_typeEEEZZNS1_27merge_sort_block_merge_implIS3_PlPS5_mZN2at6native12_GLOBAL__N_124unique_dim_cuda_templateIhEESt5tupleIJNSA_6TensorESF_SF_EERKSF_lbbbEUlllE_EE10hipError_tT0_T1_T2_jT3_P12ihipStream_tbPNSt15iterator_traitsISL_E10value_typeEPNSR_ISM_E10value_typeEPSN_NS1_7vsmem_tEENKUlT_SL_SM_SN_E_clIS8_S8_S9_S9_EESK_S10_SL_SM_SN_EUlS10_E1_NS1_11comp_targetILNS1_3genE4ELNS1_11target_archE910ELNS1_3gpuE8ELNS1_3repE0EEENS1_36merge_oddeven_config_static_selectorELNS0_4arch9wavefront6targetE0EEEvSM_.kd
    .uniform_work_group_size: 1
    .uses_dynamic_stack: false
    .vgpr_count:     0
    .vgpr_spill_count: 0
    .wavefront_size: 32
    .workgroup_processor_mode: 1
  - .args:
      - .offset:         0
        .size:           64
        .value_kind:     by_value
    .group_segment_fixed_size: 0
    .kernarg_segment_align: 8
    .kernarg_segment_size: 64
    .language:       OpenCL C
    .language_version:
      - 2
      - 0
    .max_flat_workgroup_size: 256
    .name:           _ZN7rocprim17ROCPRIM_400000_NS6detail17trampoline_kernelINS0_14default_configENS1_38merge_sort_block_merge_config_selectorIlNS0_10empty_typeEEEZZNS1_27merge_sort_block_merge_implIS3_PlPS5_mZN2at6native12_GLOBAL__N_124unique_dim_cuda_templateIhEESt5tupleIJNSA_6TensorESF_SF_EERKSF_lbbbEUlllE_EE10hipError_tT0_T1_T2_jT3_P12ihipStream_tbPNSt15iterator_traitsISL_E10value_typeEPNSR_ISM_E10value_typeEPSN_NS1_7vsmem_tEENKUlT_SL_SM_SN_E_clIS8_S8_S9_S9_EESK_S10_SL_SM_SN_EUlS10_E1_NS1_11comp_targetILNS1_3genE3ELNS1_11target_archE908ELNS1_3gpuE7ELNS1_3repE0EEENS1_36merge_oddeven_config_static_selectorELNS0_4arch9wavefront6targetE0EEEvSM_
    .private_segment_fixed_size: 0
    .sgpr_count:     0
    .sgpr_spill_count: 0
    .symbol:         _ZN7rocprim17ROCPRIM_400000_NS6detail17trampoline_kernelINS0_14default_configENS1_38merge_sort_block_merge_config_selectorIlNS0_10empty_typeEEEZZNS1_27merge_sort_block_merge_implIS3_PlPS5_mZN2at6native12_GLOBAL__N_124unique_dim_cuda_templateIhEESt5tupleIJNSA_6TensorESF_SF_EERKSF_lbbbEUlllE_EE10hipError_tT0_T1_T2_jT3_P12ihipStream_tbPNSt15iterator_traitsISL_E10value_typeEPNSR_ISM_E10value_typeEPSN_NS1_7vsmem_tEENKUlT_SL_SM_SN_E_clIS8_S8_S9_S9_EESK_S10_SL_SM_SN_EUlS10_E1_NS1_11comp_targetILNS1_3genE3ELNS1_11target_archE908ELNS1_3gpuE7ELNS1_3repE0EEENS1_36merge_oddeven_config_static_selectorELNS0_4arch9wavefront6targetE0EEEvSM_.kd
    .uniform_work_group_size: 1
    .uses_dynamic_stack: false
    .vgpr_count:     0
    .vgpr_spill_count: 0
    .wavefront_size: 32
    .workgroup_processor_mode: 1
  - .args:
      - .offset:         0
        .size:           64
        .value_kind:     by_value
    .group_segment_fixed_size: 0
    .kernarg_segment_align: 8
    .kernarg_segment_size: 64
    .language:       OpenCL C
    .language_version:
      - 2
      - 0
    .max_flat_workgroup_size: 256
    .name:           _ZN7rocprim17ROCPRIM_400000_NS6detail17trampoline_kernelINS0_14default_configENS1_38merge_sort_block_merge_config_selectorIlNS0_10empty_typeEEEZZNS1_27merge_sort_block_merge_implIS3_PlPS5_mZN2at6native12_GLOBAL__N_124unique_dim_cuda_templateIhEESt5tupleIJNSA_6TensorESF_SF_EERKSF_lbbbEUlllE_EE10hipError_tT0_T1_T2_jT3_P12ihipStream_tbPNSt15iterator_traitsISL_E10value_typeEPNSR_ISM_E10value_typeEPSN_NS1_7vsmem_tEENKUlT_SL_SM_SN_E_clIS8_S8_S9_S9_EESK_S10_SL_SM_SN_EUlS10_E1_NS1_11comp_targetILNS1_3genE2ELNS1_11target_archE906ELNS1_3gpuE6ELNS1_3repE0EEENS1_36merge_oddeven_config_static_selectorELNS0_4arch9wavefront6targetE0EEEvSM_
    .private_segment_fixed_size: 0
    .sgpr_count:     0
    .sgpr_spill_count: 0
    .symbol:         _ZN7rocprim17ROCPRIM_400000_NS6detail17trampoline_kernelINS0_14default_configENS1_38merge_sort_block_merge_config_selectorIlNS0_10empty_typeEEEZZNS1_27merge_sort_block_merge_implIS3_PlPS5_mZN2at6native12_GLOBAL__N_124unique_dim_cuda_templateIhEESt5tupleIJNSA_6TensorESF_SF_EERKSF_lbbbEUlllE_EE10hipError_tT0_T1_T2_jT3_P12ihipStream_tbPNSt15iterator_traitsISL_E10value_typeEPNSR_ISM_E10value_typeEPSN_NS1_7vsmem_tEENKUlT_SL_SM_SN_E_clIS8_S8_S9_S9_EESK_S10_SL_SM_SN_EUlS10_E1_NS1_11comp_targetILNS1_3genE2ELNS1_11target_archE906ELNS1_3gpuE6ELNS1_3repE0EEENS1_36merge_oddeven_config_static_selectorELNS0_4arch9wavefront6targetE0EEEvSM_.kd
    .uniform_work_group_size: 1
    .uses_dynamic_stack: false
    .vgpr_count:     0
    .vgpr_spill_count: 0
    .wavefront_size: 32
    .workgroup_processor_mode: 1
  - .args:
      - .offset:         0
        .size:           64
        .value_kind:     by_value
    .group_segment_fixed_size: 0
    .kernarg_segment_align: 8
    .kernarg_segment_size: 64
    .language:       OpenCL C
    .language_version:
      - 2
      - 0
    .max_flat_workgroup_size: 256
    .name:           _ZN7rocprim17ROCPRIM_400000_NS6detail17trampoline_kernelINS0_14default_configENS1_38merge_sort_block_merge_config_selectorIlNS0_10empty_typeEEEZZNS1_27merge_sort_block_merge_implIS3_PlPS5_mZN2at6native12_GLOBAL__N_124unique_dim_cuda_templateIhEESt5tupleIJNSA_6TensorESF_SF_EERKSF_lbbbEUlllE_EE10hipError_tT0_T1_T2_jT3_P12ihipStream_tbPNSt15iterator_traitsISL_E10value_typeEPNSR_ISM_E10value_typeEPSN_NS1_7vsmem_tEENKUlT_SL_SM_SN_E_clIS8_S8_S9_S9_EESK_S10_SL_SM_SN_EUlS10_E1_NS1_11comp_targetILNS1_3genE9ELNS1_11target_archE1100ELNS1_3gpuE3ELNS1_3repE0EEENS1_36merge_oddeven_config_static_selectorELNS0_4arch9wavefront6targetE0EEEvSM_
    .private_segment_fixed_size: 0
    .sgpr_count:     28
    .sgpr_spill_count: 0
    .symbol:         _ZN7rocprim17ROCPRIM_400000_NS6detail17trampoline_kernelINS0_14default_configENS1_38merge_sort_block_merge_config_selectorIlNS0_10empty_typeEEEZZNS1_27merge_sort_block_merge_implIS3_PlPS5_mZN2at6native12_GLOBAL__N_124unique_dim_cuda_templateIhEESt5tupleIJNSA_6TensorESF_SF_EERKSF_lbbbEUlllE_EE10hipError_tT0_T1_T2_jT3_P12ihipStream_tbPNSt15iterator_traitsISL_E10value_typeEPNSR_ISM_E10value_typeEPSN_NS1_7vsmem_tEENKUlT_SL_SM_SN_E_clIS8_S8_S9_S9_EESK_S10_SL_SM_SN_EUlS10_E1_NS1_11comp_targetILNS1_3genE9ELNS1_11target_archE1100ELNS1_3gpuE3ELNS1_3repE0EEENS1_36merge_oddeven_config_static_selectorELNS0_4arch9wavefront6targetE0EEEvSM_.kd
    .uniform_work_group_size: 1
    .uses_dynamic_stack: false
    .vgpr_count:     18
    .vgpr_spill_count: 0
    .wavefront_size: 32
    .workgroup_processor_mode: 1
  - .args:
      - .offset:         0
        .size:           64
        .value_kind:     by_value
    .group_segment_fixed_size: 0
    .kernarg_segment_align: 8
    .kernarg_segment_size: 64
    .language:       OpenCL C
    .language_version:
      - 2
      - 0
    .max_flat_workgroup_size: 256
    .name:           _ZN7rocprim17ROCPRIM_400000_NS6detail17trampoline_kernelINS0_14default_configENS1_38merge_sort_block_merge_config_selectorIlNS0_10empty_typeEEEZZNS1_27merge_sort_block_merge_implIS3_PlPS5_mZN2at6native12_GLOBAL__N_124unique_dim_cuda_templateIhEESt5tupleIJNSA_6TensorESF_SF_EERKSF_lbbbEUlllE_EE10hipError_tT0_T1_T2_jT3_P12ihipStream_tbPNSt15iterator_traitsISL_E10value_typeEPNSR_ISM_E10value_typeEPSN_NS1_7vsmem_tEENKUlT_SL_SM_SN_E_clIS8_S8_S9_S9_EESK_S10_SL_SM_SN_EUlS10_E1_NS1_11comp_targetILNS1_3genE8ELNS1_11target_archE1030ELNS1_3gpuE2ELNS1_3repE0EEENS1_36merge_oddeven_config_static_selectorELNS0_4arch9wavefront6targetE0EEEvSM_
    .private_segment_fixed_size: 0
    .sgpr_count:     0
    .sgpr_spill_count: 0
    .symbol:         _ZN7rocprim17ROCPRIM_400000_NS6detail17trampoline_kernelINS0_14default_configENS1_38merge_sort_block_merge_config_selectorIlNS0_10empty_typeEEEZZNS1_27merge_sort_block_merge_implIS3_PlPS5_mZN2at6native12_GLOBAL__N_124unique_dim_cuda_templateIhEESt5tupleIJNSA_6TensorESF_SF_EERKSF_lbbbEUlllE_EE10hipError_tT0_T1_T2_jT3_P12ihipStream_tbPNSt15iterator_traitsISL_E10value_typeEPNSR_ISM_E10value_typeEPSN_NS1_7vsmem_tEENKUlT_SL_SM_SN_E_clIS8_S8_S9_S9_EESK_S10_SL_SM_SN_EUlS10_E1_NS1_11comp_targetILNS1_3genE8ELNS1_11target_archE1030ELNS1_3gpuE2ELNS1_3repE0EEENS1_36merge_oddeven_config_static_selectorELNS0_4arch9wavefront6targetE0EEEvSM_.kd
    .uniform_work_group_size: 1
    .uses_dynamic_stack: false
    .vgpr_count:     0
    .vgpr_spill_count: 0
    .wavefront_size: 32
    .workgroup_processor_mode: 1
  - .args:
      - .offset:         0
        .size:           40
        .value_kind:     by_value
    .group_segment_fixed_size: 0
    .kernarg_segment_align: 8
    .kernarg_segment_size: 40
    .language:       OpenCL C
    .language_version:
      - 2
      - 0
    .max_flat_workgroup_size: 128
    .name:           _ZN7rocprim17ROCPRIM_400000_NS6detail17trampoline_kernelINS0_14default_configENS1_25transform_config_selectorIlLb1EEEZNS1_14transform_implILb1ES3_S5_PlS7_NS0_8identityIlEEEE10hipError_tT2_T3_mT4_P12ihipStream_tbEUlT_E_NS1_11comp_targetILNS1_3genE0ELNS1_11target_archE4294967295ELNS1_3gpuE0ELNS1_3repE0EEENS1_30default_config_static_selectorELNS0_4arch9wavefront6targetE0EEEvT1_
    .private_segment_fixed_size: 0
    .sgpr_count:     0
    .sgpr_spill_count: 0
    .symbol:         _ZN7rocprim17ROCPRIM_400000_NS6detail17trampoline_kernelINS0_14default_configENS1_25transform_config_selectorIlLb1EEEZNS1_14transform_implILb1ES3_S5_PlS7_NS0_8identityIlEEEE10hipError_tT2_T3_mT4_P12ihipStream_tbEUlT_E_NS1_11comp_targetILNS1_3genE0ELNS1_11target_archE4294967295ELNS1_3gpuE0ELNS1_3repE0EEENS1_30default_config_static_selectorELNS0_4arch9wavefront6targetE0EEEvT1_.kd
    .uniform_work_group_size: 1
    .uses_dynamic_stack: false
    .vgpr_count:     0
    .vgpr_spill_count: 0
    .wavefront_size: 32
    .workgroup_processor_mode: 1
  - .args:
      - .offset:         0
        .size:           40
        .value_kind:     by_value
    .group_segment_fixed_size: 0
    .kernarg_segment_align: 8
    .kernarg_segment_size: 40
    .language:       OpenCL C
    .language_version:
      - 2
      - 0
    .max_flat_workgroup_size: 1024
    .name:           _ZN7rocprim17ROCPRIM_400000_NS6detail17trampoline_kernelINS0_14default_configENS1_25transform_config_selectorIlLb1EEEZNS1_14transform_implILb1ES3_S5_PlS7_NS0_8identityIlEEEE10hipError_tT2_T3_mT4_P12ihipStream_tbEUlT_E_NS1_11comp_targetILNS1_3genE10ELNS1_11target_archE1201ELNS1_3gpuE5ELNS1_3repE0EEENS1_30default_config_static_selectorELNS0_4arch9wavefront6targetE0EEEvT1_
    .private_segment_fixed_size: 0
    .sgpr_count:     0
    .sgpr_spill_count: 0
    .symbol:         _ZN7rocprim17ROCPRIM_400000_NS6detail17trampoline_kernelINS0_14default_configENS1_25transform_config_selectorIlLb1EEEZNS1_14transform_implILb1ES3_S5_PlS7_NS0_8identityIlEEEE10hipError_tT2_T3_mT4_P12ihipStream_tbEUlT_E_NS1_11comp_targetILNS1_3genE10ELNS1_11target_archE1201ELNS1_3gpuE5ELNS1_3repE0EEENS1_30default_config_static_selectorELNS0_4arch9wavefront6targetE0EEEvT1_.kd
    .uniform_work_group_size: 1
    .uses_dynamic_stack: false
    .vgpr_count:     0
    .vgpr_spill_count: 0
    .wavefront_size: 32
    .workgroup_processor_mode: 1
  - .args:
      - .offset:         0
        .size:           40
        .value_kind:     by_value
    .group_segment_fixed_size: 0
    .kernarg_segment_align: 8
    .kernarg_segment_size: 40
    .language:       OpenCL C
    .language_version:
      - 2
      - 0
    .max_flat_workgroup_size: 512
    .name:           _ZN7rocprim17ROCPRIM_400000_NS6detail17trampoline_kernelINS0_14default_configENS1_25transform_config_selectorIlLb1EEEZNS1_14transform_implILb1ES3_S5_PlS7_NS0_8identityIlEEEE10hipError_tT2_T3_mT4_P12ihipStream_tbEUlT_E_NS1_11comp_targetILNS1_3genE5ELNS1_11target_archE942ELNS1_3gpuE9ELNS1_3repE0EEENS1_30default_config_static_selectorELNS0_4arch9wavefront6targetE0EEEvT1_
    .private_segment_fixed_size: 0
    .sgpr_count:     0
    .sgpr_spill_count: 0
    .symbol:         _ZN7rocprim17ROCPRIM_400000_NS6detail17trampoline_kernelINS0_14default_configENS1_25transform_config_selectorIlLb1EEEZNS1_14transform_implILb1ES3_S5_PlS7_NS0_8identityIlEEEE10hipError_tT2_T3_mT4_P12ihipStream_tbEUlT_E_NS1_11comp_targetILNS1_3genE5ELNS1_11target_archE942ELNS1_3gpuE9ELNS1_3repE0EEENS1_30default_config_static_selectorELNS0_4arch9wavefront6targetE0EEEvT1_.kd
    .uniform_work_group_size: 1
    .uses_dynamic_stack: false
    .vgpr_count:     0
    .vgpr_spill_count: 0
    .wavefront_size: 32
    .workgroup_processor_mode: 1
  - .args:
      - .offset:         0
        .size:           40
        .value_kind:     by_value
    .group_segment_fixed_size: 0
    .kernarg_segment_align: 8
    .kernarg_segment_size: 40
    .language:       OpenCL C
    .language_version:
      - 2
      - 0
    .max_flat_workgroup_size: 1024
    .name:           _ZN7rocprim17ROCPRIM_400000_NS6detail17trampoline_kernelINS0_14default_configENS1_25transform_config_selectorIlLb1EEEZNS1_14transform_implILb1ES3_S5_PlS7_NS0_8identityIlEEEE10hipError_tT2_T3_mT4_P12ihipStream_tbEUlT_E_NS1_11comp_targetILNS1_3genE4ELNS1_11target_archE910ELNS1_3gpuE8ELNS1_3repE0EEENS1_30default_config_static_selectorELNS0_4arch9wavefront6targetE0EEEvT1_
    .private_segment_fixed_size: 0
    .sgpr_count:     0
    .sgpr_spill_count: 0
    .symbol:         _ZN7rocprim17ROCPRIM_400000_NS6detail17trampoline_kernelINS0_14default_configENS1_25transform_config_selectorIlLb1EEEZNS1_14transform_implILb1ES3_S5_PlS7_NS0_8identityIlEEEE10hipError_tT2_T3_mT4_P12ihipStream_tbEUlT_E_NS1_11comp_targetILNS1_3genE4ELNS1_11target_archE910ELNS1_3gpuE8ELNS1_3repE0EEENS1_30default_config_static_selectorELNS0_4arch9wavefront6targetE0EEEvT1_.kd
    .uniform_work_group_size: 1
    .uses_dynamic_stack: false
    .vgpr_count:     0
    .vgpr_spill_count: 0
    .wavefront_size: 32
    .workgroup_processor_mode: 1
  - .args:
      - .offset:         0
        .size:           40
        .value_kind:     by_value
    .group_segment_fixed_size: 0
    .kernarg_segment_align: 8
    .kernarg_segment_size: 40
    .language:       OpenCL C
    .language_version:
      - 2
      - 0
    .max_flat_workgroup_size: 128
    .name:           _ZN7rocprim17ROCPRIM_400000_NS6detail17trampoline_kernelINS0_14default_configENS1_25transform_config_selectorIlLb1EEEZNS1_14transform_implILb1ES3_S5_PlS7_NS0_8identityIlEEEE10hipError_tT2_T3_mT4_P12ihipStream_tbEUlT_E_NS1_11comp_targetILNS1_3genE3ELNS1_11target_archE908ELNS1_3gpuE7ELNS1_3repE0EEENS1_30default_config_static_selectorELNS0_4arch9wavefront6targetE0EEEvT1_
    .private_segment_fixed_size: 0
    .sgpr_count:     0
    .sgpr_spill_count: 0
    .symbol:         _ZN7rocprim17ROCPRIM_400000_NS6detail17trampoline_kernelINS0_14default_configENS1_25transform_config_selectorIlLb1EEEZNS1_14transform_implILb1ES3_S5_PlS7_NS0_8identityIlEEEE10hipError_tT2_T3_mT4_P12ihipStream_tbEUlT_E_NS1_11comp_targetILNS1_3genE3ELNS1_11target_archE908ELNS1_3gpuE7ELNS1_3repE0EEENS1_30default_config_static_selectorELNS0_4arch9wavefront6targetE0EEEvT1_.kd
    .uniform_work_group_size: 1
    .uses_dynamic_stack: false
    .vgpr_count:     0
    .vgpr_spill_count: 0
    .wavefront_size: 32
    .workgroup_processor_mode: 1
  - .args:
      - .offset:         0
        .size:           40
        .value_kind:     by_value
    .group_segment_fixed_size: 0
    .kernarg_segment_align: 8
    .kernarg_segment_size: 40
    .language:       OpenCL C
    .language_version:
      - 2
      - 0
    .max_flat_workgroup_size: 512
    .name:           _ZN7rocprim17ROCPRIM_400000_NS6detail17trampoline_kernelINS0_14default_configENS1_25transform_config_selectorIlLb1EEEZNS1_14transform_implILb1ES3_S5_PlS7_NS0_8identityIlEEEE10hipError_tT2_T3_mT4_P12ihipStream_tbEUlT_E_NS1_11comp_targetILNS1_3genE2ELNS1_11target_archE906ELNS1_3gpuE6ELNS1_3repE0EEENS1_30default_config_static_selectorELNS0_4arch9wavefront6targetE0EEEvT1_
    .private_segment_fixed_size: 0
    .sgpr_count:     0
    .sgpr_spill_count: 0
    .symbol:         _ZN7rocprim17ROCPRIM_400000_NS6detail17trampoline_kernelINS0_14default_configENS1_25transform_config_selectorIlLb1EEEZNS1_14transform_implILb1ES3_S5_PlS7_NS0_8identityIlEEEE10hipError_tT2_T3_mT4_P12ihipStream_tbEUlT_E_NS1_11comp_targetILNS1_3genE2ELNS1_11target_archE906ELNS1_3gpuE6ELNS1_3repE0EEENS1_30default_config_static_selectorELNS0_4arch9wavefront6targetE0EEEvT1_.kd
    .uniform_work_group_size: 1
    .uses_dynamic_stack: false
    .vgpr_count:     0
    .vgpr_spill_count: 0
    .wavefront_size: 32
    .workgroup_processor_mode: 1
  - .args:
      - .offset:         0
        .size:           40
        .value_kind:     by_value
      - .offset:         40
        .size:           4
        .value_kind:     hidden_block_count_x
      - .offset:         44
        .size:           4
        .value_kind:     hidden_block_count_y
      - .offset:         48
        .size:           4
        .value_kind:     hidden_block_count_z
      - .offset:         52
        .size:           2
        .value_kind:     hidden_group_size_x
      - .offset:         54
        .size:           2
        .value_kind:     hidden_group_size_y
      - .offset:         56
        .size:           2
        .value_kind:     hidden_group_size_z
      - .offset:         58
        .size:           2
        .value_kind:     hidden_remainder_x
      - .offset:         60
        .size:           2
        .value_kind:     hidden_remainder_y
      - .offset:         62
        .size:           2
        .value_kind:     hidden_remainder_z
      - .offset:         80
        .size:           8
        .value_kind:     hidden_global_offset_x
      - .offset:         88
        .size:           8
        .value_kind:     hidden_global_offset_y
      - .offset:         96
        .size:           8
        .value_kind:     hidden_global_offset_z
      - .offset:         104
        .size:           2
        .value_kind:     hidden_grid_dims
    .group_segment_fixed_size: 0
    .kernarg_segment_align: 8
    .kernarg_segment_size: 296
    .language:       OpenCL C
    .language_version:
      - 2
      - 0
    .max_flat_workgroup_size: 1024
    .name:           _ZN7rocprim17ROCPRIM_400000_NS6detail17trampoline_kernelINS0_14default_configENS1_25transform_config_selectorIlLb1EEEZNS1_14transform_implILb1ES3_S5_PlS7_NS0_8identityIlEEEE10hipError_tT2_T3_mT4_P12ihipStream_tbEUlT_E_NS1_11comp_targetILNS1_3genE9ELNS1_11target_archE1100ELNS1_3gpuE3ELNS1_3repE0EEENS1_30default_config_static_selectorELNS0_4arch9wavefront6targetE0EEEvT1_
    .private_segment_fixed_size: 0
    .sgpr_count:     18
    .sgpr_spill_count: 0
    .symbol:         _ZN7rocprim17ROCPRIM_400000_NS6detail17trampoline_kernelINS0_14default_configENS1_25transform_config_selectorIlLb1EEEZNS1_14transform_implILb1ES3_S5_PlS7_NS0_8identityIlEEEE10hipError_tT2_T3_mT4_P12ihipStream_tbEUlT_E_NS1_11comp_targetILNS1_3genE9ELNS1_11target_archE1100ELNS1_3gpuE3ELNS1_3repE0EEENS1_30default_config_static_selectorELNS0_4arch9wavefront6targetE0EEEvT1_.kd
    .uniform_work_group_size: 1
    .uses_dynamic_stack: false
    .vgpr_count:     7
    .vgpr_spill_count: 0
    .wavefront_size: 32
    .workgroup_processor_mode: 1
  - .args:
      - .offset:         0
        .size:           40
        .value_kind:     by_value
    .group_segment_fixed_size: 0
    .kernarg_segment_align: 8
    .kernarg_segment_size: 40
    .language:       OpenCL C
    .language_version:
      - 2
      - 0
    .max_flat_workgroup_size: 1024
    .name:           _ZN7rocprim17ROCPRIM_400000_NS6detail17trampoline_kernelINS0_14default_configENS1_25transform_config_selectorIlLb1EEEZNS1_14transform_implILb1ES3_S5_PlS7_NS0_8identityIlEEEE10hipError_tT2_T3_mT4_P12ihipStream_tbEUlT_E_NS1_11comp_targetILNS1_3genE8ELNS1_11target_archE1030ELNS1_3gpuE2ELNS1_3repE0EEENS1_30default_config_static_selectorELNS0_4arch9wavefront6targetE0EEEvT1_
    .private_segment_fixed_size: 0
    .sgpr_count:     0
    .sgpr_spill_count: 0
    .symbol:         _ZN7rocprim17ROCPRIM_400000_NS6detail17trampoline_kernelINS0_14default_configENS1_25transform_config_selectorIlLb1EEEZNS1_14transform_implILb1ES3_S5_PlS7_NS0_8identityIlEEEE10hipError_tT2_T3_mT4_P12ihipStream_tbEUlT_E_NS1_11comp_targetILNS1_3genE8ELNS1_11target_archE1030ELNS1_3gpuE2ELNS1_3repE0EEENS1_30default_config_static_selectorELNS0_4arch9wavefront6targetE0EEEvT1_.kd
    .uniform_work_group_size: 1
    .uses_dynamic_stack: false
    .vgpr_count:     0
    .vgpr_spill_count: 0
    .wavefront_size: 32
    .workgroup_processor_mode: 1
  - .args:
      - .offset:         0
        .size:           40
        .value_kind:     by_value
    .group_segment_fixed_size: 0
    .kernarg_segment_align: 8
    .kernarg_segment_size: 40
    .language:       OpenCL C
    .language_version:
      - 2
      - 0
    .max_flat_workgroup_size: 128
    .name:           _ZN7rocprim17ROCPRIM_400000_NS6detail17trampoline_kernelINS0_14default_configENS1_25transform_config_selectorINS0_10empty_typeELb1EEEZNS1_14transform_implILb1ES3_S6_PS5_S8_NS0_8identityIS5_EEEE10hipError_tT2_T3_mT4_P12ihipStream_tbEUlT_E_NS1_11comp_targetILNS1_3genE0ELNS1_11target_archE4294967295ELNS1_3gpuE0ELNS1_3repE0EEENS1_30default_config_static_selectorELNS0_4arch9wavefront6targetE0EEEvT1_
    .private_segment_fixed_size: 0
    .sgpr_count:     0
    .sgpr_spill_count: 0
    .symbol:         _ZN7rocprim17ROCPRIM_400000_NS6detail17trampoline_kernelINS0_14default_configENS1_25transform_config_selectorINS0_10empty_typeELb1EEEZNS1_14transform_implILb1ES3_S6_PS5_S8_NS0_8identityIS5_EEEE10hipError_tT2_T3_mT4_P12ihipStream_tbEUlT_E_NS1_11comp_targetILNS1_3genE0ELNS1_11target_archE4294967295ELNS1_3gpuE0ELNS1_3repE0EEENS1_30default_config_static_selectorELNS0_4arch9wavefront6targetE0EEEvT1_.kd
    .uniform_work_group_size: 1
    .uses_dynamic_stack: false
    .vgpr_count:     0
    .vgpr_spill_count: 0
    .wavefront_size: 32
    .workgroup_processor_mode: 1
  - .args:
      - .offset:         0
        .size:           40
        .value_kind:     by_value
    .group_segment_fixed_size: 0
    .kernarg_segment_align: 8
    .kernarg_segment_size: 40
    .language:       OpenCL C
    .language_version:
      - 2
      - 0
    .max_flat_workgroup_size: 1024
    .name:           _ZN7rocprim17ROCPRIM_400000_NS6detail17trampoline_kernelINS0_14default_configENS1_25transform_config_selectorINS0_10empty_typeELb1EEEZNS1_14transform_implILb1ES3_S6_PS5_S8_NS0_8identityIS5_EEEE10hipError_tT2_T3_mT4_P12ihipStream_tbEUlT_E_NS1_11comp_targetILNS1_3genE10ELNS1_11target_archE1201ELNS1_3gpuE5ELNS1_3repE0EEENS1_30default_config_static_selectorELNS0_4arch9wavefront6targetE0EEEvT1_
    .private_segment_fixed_size: 0
    .sgpr_count:     0
    .sgpr_spill_count: 0
    .symbol:         _ZN7rocprim17ROCPRIM_400000_NS6detail17trampoline_kernelINS0_14default_configENS1_25transform_config_selectorINS0_10empty_typeELb1EEEZNS1_14transform_implILb1ES3_S6_PS5_S8_NS0_8identityIS5_EEEE10hipError_tT2_T3_mT4_P12ihipStream_tbEUlT_E_NS1_11comp_targetILNS1_3genE10ELNS1_11target_archE1201ELNS1_3gpuE5ELNS1_3repE0EEENS1_30default_config_static_selectorELNS0_4arch9wavefront6targetE0EEEvT1_.kd
    .uniform_work_group_size: 1
    .uses_dynamic_stack: false
    .vgpr_count:     0
    .vgpr_spill_count: 0
    .wavefront_size: 32
    .workgroup_processor_mode: 1
  - .args:
      - .offset:         0
        .size:           40
        .value_kind:     by_value
    .group_segment_fixed_size: 0
    .kernarg_segment_align: 8
    .kernarg_segment_size: 40
    .language:       OpenCL C
    .language_version:
      - 2
      - 0
    .max_flat_workgroup_size: 256
    .name:           _ZN7rocprim17ROCPRIM_400000_NS6detail17trampoline_kernelINS0_14default_configENS1_25transform_config_selectorINS0_10empty_typeELb1EEEZNS1_14transform_implILb1ES3_S6_PS5_S8_NS0_8identityIS5_EEEE10hipError_tT2_T3_mT4_P12ihipStream_tbEUlT_E_NS1_11comp_targetILNS1_3genE5ELNS1_11target_archE942ELNS1_3gpuE9ELNS1_3repE0EEENS1_30default_config_static_selectorELNS0_4arch9wavefront6targetE0EEEvT1_
    .private_segment_fixed_size: 0
    .sgpr_count:     0
    .sgpr_spill_count: 0
    .symbol:         _ZN7rocprim17ROCPRIM_400000_NS6detail17trampoline_kernelINS0_14default_configENS1_25transform_config_selectorINS0_10empty_typeELb1EEEZNS1_14transform_implILb1ES3_S6_PS5_S8_NS0_8identityIS5_EEEE10hipError_tT2_T3_mT4_P12ihipStream_tbEUlT_E_NS1_11comp_targetILNS1_3genE5ELNS1_11target_archE942ELNS1_3gpuE9ELNS1_3repE0EEENS1_30default_config_static_selectorELNS0_4arch9wavefront6targetE0EEEvT1_.kd
    .uniform_work_group_size: 1
    .uses_dynamic_stack: false
    .vgpr_count:     0
    .vgpr_spill_count: 0
    .wavefront_size: 32
    .workgroup_processor_mode: 1
  - .args:
      - .offset:         0
        .size:           40
        .value_kind:     by_value
    .group_segment_fixed_size: 0
    .kernarg_segment_align: 8
    .kernarg_segment_size: 40
    .language:       OpenCL C
    .language_version:
      - 2
      - 0
    .max_flat_workgroup_size: 1024
    .name:           _ZN7rocprim17ROCPRIM_400000_NS6detail17trampoline_kernelINS0_14default_configENS1_25transform_config_selectorINS0_10empty_typeELb1EEEZNS1_14transform_implILb1ES3_S6_PS5_S8_NS0_8identityIS5_EEEE10hipError_tT2_T3_mT4_P12ihipStream_tbEUlT_E_NS1_11comp_targetILNS1_3genE4ELNS1_11target_archE910ELNS1_3gpuE8ELNS1_3repE0EEENS1_30default_config_static_selectorELNS0_4arch9wavefront6targetE0EEEvT1_
    .private_segment_fixed_size: 0
    .sgpr_count:     0
    .sgpr_spill_count: 0
    .symbol:         _ZN7rocprim17ROCPRIM_400000_NS6detail17trampoline_kernelINS0_14default_configENS1_25transform_config_selectorINS0_10empty_typeELb1EEEZNS1_14transform_implILb1ES3_S6_PS5_S8_NS0_8identityIS5_EEEE10hipError_tT2_T3_mT4_P12ihipStream_tbEUlT_E_NS1_11comp_targetILNS1_3genE4ELNS1_11target_archE910ELNS1_3gpuE8ELNS1_3repE0EEENS1_30default_config_static_selectorELNS0_4arch9wavefront6targetE0EEEvT1_.kd
    .uniform_work_group_size: 1
    .uses_dynamic_stack: false
    .vgpr_count:     0
    .vgpr_spill_count: 0
    .wavefront_size: 32
    .workgroup_processor_mode: 1
  - .args:
      - .offset:         0
        .size:           40
        .value_kind:     by_value
    .group_segment_fixed_size: 0
    .kernarg_segment_align: 8
    .kernarg_segment_size: 40
    .language:       OpenCL C
    .language_version:
      - 2
      - 0
    .max_flat_workgroup_size: 128
    .name:           _ZN7rocprim17ROCPRIM_400000_NS6detail17trampoline_kernelINS0_14default_configENS1_25transform_config_selectorINS0_10empty_typeELb1EEEZNS1_14transform_implILb1ES3_S6_PS5_S8_NS0_8identityIS5_EEEE10hipError_tT2_T3_mT4_P12ihipStream_tbEUlT_E_NS1_11comp_targetILNS1_3genE3ELNS1_11target_archE908ELNS1_3gpuE7ELNS1_3repE0EEENS1_30default_config_static_selectorELNS0_4arch9wavefront6targetE0EEEvT1_
    .private_segment_fixed_size: 0
    .sgpr_count:     0
    .sgpr_spill_count: 0
    .symbol:         _ZN7rocprim17ROCPRIM_400000_NS6detail17trampoline_kernelINS0_14default_configENS1_25transform_config_selectorINS0_10empty_typeELb1EEEZNS1_14transform_implILb1ES3_S6_PS5_S8_NS0_8identityIS5_EEEE10hipError_tT2_T3_mT4_P12ihipStream_tbEUlT_E_NS1_11comp_targetILNS1_3genE3ELNS1_11target_archE908ELNS1_3gpuE7ELNS1_3repE0EEENS1_30default_config_static_selectorELNS0_4arch9wavefront6targetE0EEEvT1_.kd
    .uniform_work_group_size: 1
    .uses_dynamic_stack: false
    .vgpr_count:     0
    .vgpr_spill_count: 0
    .wavefront_size: 32
    .workgroup_processor_mode: 1
  - .args:
      - .offset:         0
        .size:           40
        .value_kind:     by_value
    .group_segment_fixed_size: 0
    .kernarg_segment_align: 8
    .kernarg_segment_size: 40
    .language:       OpenCL C
    .language_version:
      - 2
      - 0
    .max_flat_workgroup_size: 512
    .name:           _ZN7rocprim17ROCPRIM_400000_NS6detail17trampoline_kernelINS0_14default_configENS1_25transform_config_selectorINS0_10empty_typeELb1EEEZNS1_14transform_implILb1ES3_S6_PS5_S8_NS0_8identityIS5_EEEE10hipError_tT2_T3_mT4_P12ihipStream_tbEUlT_E_NS1_11comp_targetILNS1_3genE2ELNS1_11target_archE906ELNS1_3gpuE6ELNS1_3repE0EEENS1_30default_config_static_selectorELNS0_4arch9wavefront6targetE0EEEvT1_
    .private_segment_fixed_size: 0
    .sgpr_count:     0
    .sgpr_spill_count: 0
    .symbol:         _ZN7rocprim17ROCPRIM_400000_NS6detail17trampoline_kernelINS0_14default_configENS1_25transform_config_selectorINS0_10empty_typeELb1EEEZNS1_14transform_implILb1ES3_S6_PS5_S8_NS0_8identityIS5_EEEE10hipError_tT2_T3_mT4_P12ihipStream_tbEUlT_E_NS1_11comp_targetILNS1_3genE2ELNS1_11target_archE906ELNS1_3gpuE6ELNS1_3repE0EEENS1_30default_config_static_selectorELNS0_4arch9wavefront6targetE0EEEvT1_.kd
    .uniform_work_group_size: 1
    .uses_dynamic_stack: false
    .vgpr_count:     0
    .vgpr_spill_count: 0
    .wavefront_size: 32
    .workgroup_processor_mode: 1
  - .args:
      - .offset:         0
        .size:           40
        .value_kind:     by_value
    .group_segment_fixed_size: 0
    .kernarg_segment_align: 8
    .kernarg_segment_size: 40
    .language:       OpenCL C
    .language_version:
      - 2
      - 0
    .max_flat_workgroup_size: 1024
    .name:           _ZN7rocprim17ROCPRIM_400000_NS6detail17trampoline_kernelINS0_14default_configENS1_25transform_config_selectorINS0_10empty_typeELb1EEEZNS1_14transform_implILb1ES3_S6_PS5_S8_NS0_8identityIS5_EEEE10hipError_tT2_T3_mT4_P12ihipStream_tbEUlT_E_NS1_11comp_targetILNS1_3genE9ELNS1_11target_archE1100ELNS1_3gpuE3ELNS1_3repE0EEENS1_30default_config_static_selectorELNS0_4arch9wavefront6targetE0EEEvT1_
    .private_segment_fixed_size: 0
    .sgpr_count:     0
    .sgpr_spill_count: 0
    .symbol:         _ZN7rocprim17ROCPRIM_400000_NS6detail17trampoline_kernelINS0_14default_configENS1_25transform_config_selectorINS0_10empty_typeELb1EEEZNS1_14transform_implILb1ES3_S6_PS5_S8_NS0_8identityIS5_EEEE10hipError_tT2_T3_mT4_P12ihipStream_tbEUlT_E_NS1_11comp_targetILNS1_3genE9ELNS1_11target_archE1100ELNS1_3gpuE3ELNS1_3repE0EEENS1_30default_config_static_selectorELNS0_4arch9wavefront6targetE0EEEvT1_.kd
    .uniform_work_group_size: 1
    .uses_dynamic_stack: false
    .vgpr_count:     0
    .vgpr_spill_count: 0
    .wavefront_size: 32
    .workgroup_processor_mode: 1
  - .args:
      - .offset:         0
        .size:           40
        .value_kind:     by_value
    .group_segment_fixed_size: 0
    .kernarg_segment_align: 8
    .kernarg_segment_size: 40
    .language:       OpenCL C
    .language_version:
      - 2
      - 0
    .max_flat_workgroup_size: 1024
    .name:           _ZN7rocprim17ROCPRIM_400000_NS6detail17trampoline_kernelINS0_14default_configENS1_25transform_config_selectorINS0_10empty_typeELb1EEEZNS1_14transform_implILb1ES3_S6_PS5_S8_NS0_8identityIS5_EEEE10hipError_tT2_T3_mT4_P12ihipStream_tbEUlT_E_NS1_11comp_targetILNS1_3genE8ELNS1_11target_archE1030ELNS1_3gpuE2ELNS1_3repE0EEENS1_30default_config_static_selectorELNS0_4arch9wavefront6targetE0EEEvT1_
    .private_segment_fixed_size: 0
    .sgpr_count:     0
    .sgpr_spill_count: 0
    .symbol:         _ZN7rocprim17ROCPRIM_400000_NS6detail17trampoline_kernelINS0_14default_configENS1_25transform_config_selectorINS0_10empty_typeELb1EEEZNS1_14transform_implILb1ES3_S6_PS5_S8_NS0_8identityIS5_EEEE10hipError_tT2_T3_mT4_P12ihipStream_tbEUlT_E_NS1_11comp_targetILNS1_3genE8ELNS1_11target_archE1030ELNS1_3gpuE2ELNS1_3repE0EEENS1_30default_config_static_selectorELNS0_4arch9wavefront6targetE0EEEvT1_.kd
    .uniform_work_group_size: 1
    .uses_dynamic_stack: false
    .vgpr_count:     0
    .vgpr_spill_count: 0
    .wavefront_size: 32
    .workgroup_processor_mode: 1
  - .args:
      - .offset:         0
        .size:           64
        .value_kind:     by_value
    .group_segment_fixed_size: 0
    .kernarg_segment_align: 8
    .kernarg_segment_size: 64
    .language:       OpenCL C
    .language_version:
      - 2
      - 0
    .max_flat_workgroup_size: 128
    .name:           _ZN7rocprim17ROCPRIM_400000_NS6detail17trampoline_kernelINS0_14default_configENS1_35adjacent_difference_config_selectorILb0ElEEZNS1_24adjacent_difference_implIS3_Lb0ELb0EPlS7_ZN2at6native12_GLOBAL__N_124unique_dim_cuda_templateIhEESt5tupleIJNS8_6TensorESD_SD_EERKSD_lbbbEUlllE1_EE10hipError_tPvRmT2_T3_mT4_P12ihipStream_tbEUlT_E_NS1_11comp_targetILNS1_3genE0ELNS1_11target_archE4294967295ELNS1_3gpuE0ELNS1_3repE0EEENS1_30default_config_static_selectorELNS0_4arch9wavefront6targetE0EEEvT1_
    .private_segment_fixed_size: 0
    .sgpr_count:     0
    .sgpr_spill_count: 0
    .symbol:         _ZN7rocprim17ROCPRIM_400000_NS6detail17trampoline_kernelINS0_14default_configENS1_35adjacent_difference_config_selectorILb0ElEEZNS1_24adjacent_difference_implIS3_Lb0ELb0EPlS7_ZN2at6native12_GLOBAL__N_124unique_dim_cuda_templateIhEESt5tupleIJNS8_6TensorESD_SD_EERKSD_lbbbEUlllE1_EE10hipError_tPvRmT2_T3_mT4_P12ihipStream_tbEUlT_E_NS1_11comp_targetILNS1_3genE0ELNS1_11target_archE4294967295ELNS1_3gpuE0ELNS1_3repE0EEENS1_30default_config_static_selectorELNS0_4arch9wavefront6targetE0EEEvT1_.kd
    .uniform_work_group_size: 1
    .uses_dynamic_stack: false
    .vgpr_count:     0
    .vgpr_spill_count: 0
    .wavefront_size: 32
    .workgroup_processor_mode: 1
  - .args:
      - .offset:         0
        .size:           64
        .value_kind:     by_value
    .group_segment_fixed_size: 0
    .kernarg_segment_align: 8
    .kernarg_segment_size: 64
    .language:       OpenCL C
    .language_version:
      - 2
      - 0
    .max_flat_workgroup_size: 128
    .name:           _ZN7rocprim17ROCPRIM_400000_NS6detail17trampoline_kernelINS0_14default_configENS1_35adjacent_difference_config_selectorILb0ElEEZNS1_24adjacent_difference_implIS3_Lb0ELb0EPlS7_ZN2at6native12_GLOBAL__N_124unique_dim_cuda_templateIhEESt5tupleIJNS8_6TensorESD_SD_EERKSD_lbbbEUlllE1_EE10hipError_tPvRmT2_T3_mT4_P12ihipStream_tbEUlT_E_NS1_11comp_targetILNS1_3genE10ELNS1_11target_archE1201ELNS1_3gpuE5ELNS1_3repE0EEENS1_30default_config_static_selectorELNS0_4arch9wavefront6targetE0EEEvT1_
    .private_segment_fixed_size: 0
    .sgpr_count:     0
    .sgpr_spill_count: 0
    .symbol:         _ZN7rocprim17ROCPRIM_400000_NS6detail17trampoline_kernelINS0_14default_configENS1_35adjacent_difference_config_selectorILb0ElEEZNS1_24adjacent_difference_implIS3_Lb0ELb0EPlS7_ZN2at6native12_GLOBAL__N_124unique_dim_cuda_templateIhEESt5tupleIJNS8_6TensorESD_SD_EERKSD_lbbbEUlllE1_EE10hipError_tPvRmT2_T3_mT4_P12ihipStream_tbEUlT_E_NS1_11comp_targetILNS1_3genE10ELNS1_11target_archE1201ELNS1_3gpuE5ELNS1_3repE0EEENS1_30default_config_static_selectorELNS0_4arch9wavefront6targetE0EEEvT1_.kd
    .uniform_work_group_size: 1
    .uses_dynamic_stack: false
    .vgpr_count:     0
    .vgpr_spill_count: 0
    .wavefront_size: 32
    .workgroup_processor_mode: 1
  - .args:
      - .offset:         0
        .size:           64
        .value_kind:     by_value
    .group_segment_fixed_size: 0
    .kernarg_segment_align: 8
    .kernarg_segment_size: 64
    .language:       OpenCL C
    .language_version:
      - 2
      - 0
    .max_flat_workgroup_size: 64
    .name:           _ZN7rocprim17ROCPRIM_400000_NS6detail17trampoline_kernelINS0_14default_configENS1_35adjacent_difference_config_selectorILb0ElEEZNS1_24adjacent_difference_implIS3_Lb0ELb0EPlS7_ZN2at6native12_GLOBAL__N_124unique_dim_cuda_templateIhEESt5tupleIJNS8_6TensorESD_SD_EERKSD_lbbbEUlllE1_EE10hipError_tPvRmT2_T3_mT4_P12ihipStream_tbEUlT_E_NS1_11comp_targetILNS1_3genE5ELNS1_11target_archE942ELNS1_3gpuE9ELNS1_3repE0EEENS1_30default_config_static_selectorELNS0_4arch9wavefront6targetE0EEEvT1_
    .private_segment_fixed_size: 0
    .sgpr_count:     0
    .sgpr_spill_count: 0
    .symbol:         _ZN7rocprim17ROCPRIM_400000_NS6detail17trampoline_kernelINS0_14default_configENS1_35adjacent_difference_config_selectorILb0ElEEZNS1_24adjacent_difference_implIS3_Lb0ELb0EPlS7_ZN2at6native12_GLOBAL__N_124unique_dim_cuda_templateIhEESt5tupleIJNS8_6TensorESD_SD_EERKSD_lbbbEUlllE1_EE10hipError_tPvRmT2_T3_mT4_P12ihipStream_tbEUlT_E_NS1_11comp_targetILNS1_3genE5ELNS1_11target_archE942ELNS1_3gpuE9ELNS1_3repE0EEENS1_30default_config_static_selectorELNS0_4arch9wavefront6targetE0EEEvT1_.kd
    .uniform_work_group_size: 1
    .uses_dynamic_stack: false
    .vgpr_count:     0
    .vgpr_spill_count: 0
    .wavefront_size: 32
    .workgroup_processor_mode: 1
  - .args:
      - .offset:         0
        .size:           64
        .value_kind:     by_value
    .group_segment_fixed_size: 0
    .kernarg_segment_align: 8
    .kernarg_segment_size: 64
    .language:       OpenCL C
    .language_version:
      - 2
      - 0
    .max_flat_workgroup_size: 256
    .name:           _ZN7rocprim17ROCPRIM_400000_NS6detail17trampoline_kernelINS0_14default_configENS1_35adjacent_difference_config_selectorILb0ElEEZNS1_24adjacent_difference_implIS3_Lb0ELb0EPlS7_ZN2at6native12_GLOBAL__N_124unique_dim_cuda_templateIhEESt5tupleIJNS8_6TensorESD_SD_EERKSD_lbbbEUlllE1_EE10hipError_tPvRmT2_T3_mT4_P12ihipStream_tbEUlT_E_NS1_11comp_targetILNS1_3genE4ELNS1_11target_archE910ELNS1_3gpuE8ELNS1_3repE0EEENS1_30default_config_static_selectorELNS0_4arch9wavefront6targetE0EEEvT1_
    .private_segment_fixed_size: 0
    .sgpr_count:     0
    .sgpr_spill_count: 0
    .symbol:         _ZN7rocprim17ROCPRIM_400000_NS6detail17trampoline_kernelINS0_14default_configENS1_35adjacent_difference_config_selectorILb0ElEEZNS1_24adjacent_difference_implIS3_Lb0ELb0EPlS7_ZN2at6native12_GLOBAL__N_124unique_dim_cuda_templateIhEESt5tupleIJNS8_6TensorESD_SD_EERKSD_lbbbEUlllE1_EE10hipError_tPvRmT2_T3_mT4_P12ihipStream_tbEUlT_E_NS1_11comp_targetILNS1_3genE4ELNS1_11target_archE910ELNS1_3gpuE8ELNS1_3repE0EEENS1_30default_config_static_selectorELNS0_4arch9wavefront6targetE0EEEvT1_.kd
    .uniform_work_group_size: 1
    .uses_dynamic_stack: false
    .vgpr_count:     0
    .vgpr_spill_count: 0
    .wavefront_size: 32
    .workgroup_processor_mode: 1
  - .args:
      - .offset:         0
        .size:           64
        .value_kind:     by_value
    .group_segment_fixed_size: 0
    .kernarg_segment_align: 8
    .kernarg_segment_size: 64
    .language:       OpenCL C
    .language_version:
      - 2
      - 0
    .max_flat_workgroup_size: 128
    .name:           _ZN7rocprim17ROCPRIM_400000_NS6detail17trampoline_kernelINS0_14default_configENS1_35adjacent_difference_config_selectorILb0ElEEZNS1_24adjacent_difference_implIS3_Lb0ELb0EPlS7_ZN2at6native12_GLOBAL__N_124unique_dim_cuda_templateIhEESt5tupleIJNS8_6TensorESD_SD_EERKSD_lbbbEUlllE1_EE10hipError_tPvRmT2_T3_mT4_P12ihipStream_tbEUlT_E_NS1_11comp_targetILNS1_3genE3ELNS1_11target_archE908ELNS1_3gpuE7ELNS1_3repE0EEENS1_30default_config_static_selectorELNS0_4arch9wavefront6targetE0EEEvT1_
    .private_segment_fixed_size: 0
    .sgpr_count:     0
    .sgpr_spill_count: 0
    .symbol:         _ZN7rocprim17ROCPRIM_400000_NS6detail17trampoline_kernelINS0_14default_configENS1_35adjacent_difference_config_selectorILb0ElEEZNS1_24adjacent_difference_implIS3_Lb0ELb0EPlS7_ZN2at6native12_GLOBAL__N_124unique_dim_cuda_templateIhEESt5tupleIJNS8_6TensorESD_SD_EERKSD_lbbbEUlllE1_EE10hipError_tPvRmT2_T3_mT4_P12ihipStream_tbEUlT_E_NS1_11comp_targetILNS1_3genE3ELNS1_11target_archE908ELNS1_3gpuE7ELNS1_3repE0EEENS1_30default_config_static_selectorELNS0_4arch9wavefront6targetE0EEEvT1_.kd
    .uniform_work_group_size: 1
    .uses_dynamic_stack: false
    .vgpr_count:     0
    .vgpr_spill_count: 0
    .wavefront_size: 32
    .workgroup_processor_mode: 1
  - .args:
      - .offset:         0
        .size:           64
        .value_kind:     by_value
    .group_segment_fixed_size: 0
    .kernarg_segment_align: 8
    .kernarg_segment_size: 64
    .language:       OpenCL C
    .language_version:
      - 2
      - 0
    .max_flat_workgroup_size: 128
    .name:           _ZN7rocprim17ROCPRIM_400000_NS6detail17trampoline_kernelINS0_14default_configENS1_35adjacent_difference_config_selectorILb0ElEEZNS1_24adjacent_difference_implIS3_Lb0ELb0EPlS7_ZN2at6native12_GLOBAL__N_124unique_dim_cuda_templateIhEESt5tupleIJNS8_6TensorESD_SD_EERKSD_lbbbEUlllE1_EE10hipError_tPvRmT2_T3_mT4_P12ihipStream_tbEUlT_E_NS1_11comp_targetILNS1_3genE2ELNS1_11target_archE906ELNS1_3gpuE6ELNS1_3repE0EEENS1_30default_config_static_selectorELNS0_4arch9wavefront6targetE0EEEvT1_
    .private_segment_fixed_size: 0
    .sgpr_count:     0
    .sgpr_spill_count: 0
    .symbol:         _ZN7rocprim17ROCPRIM_400000_NS6detail17trampoline_kernelINS0_14default_configENS1_35adjacent_difference_config_selectorILb0ElEEZNS1_24adjacent_difference_implIS3_Lb0ELb0EPlS7_ZN2at6native12_GLOBAL__N_124unique_dim_cuda_templateIhEESt5tupleIJNS8_6TensorESD_SD_EERKSD_lbbbEUlllE1_EE10hipError_tPvRmT2_T3_mT4_P12ihipStream_tbEUlT_E_NS1_11comp_targetILNS1_3genE2ELNS1_11target_archE906ELNS1_3gpuE6ELNS1_3repE0EEENS1_30default_config_static_selectorELNS0_4arch9wavefront6targetE0EEEvT1_.kd
    .uniform_work_group_size: 1
    .uses_dynamic_stack: false
    .vgpr_count:     0
    .vgpr_spill_count: 0
    .wavefront_size: 32
    .workgroup_processor_mode: 1
  - .args:
      - .offset:         0
        .size:           64
        .value_kind:     by_value
    .group_segment_fixed_size: 8192
    .kernarg_segment_align: 8
    .kernarg_segment_size: 64
    .language:       OpenCL C
    .language_version:
      - 2
      - 0
    .max_flat_workgroup_size: 512
    .name:           _ZN7rocprim17ROCPRIM_400000_NS6detail17trampoline_kernelINS0_14default_configENS1_35adjacent_difference_config_selectorILb0ElEEZNS1_24adjacent_difference_implIS3_Lb0ELb0EPlS7_ZN2at6native12_GLOBAL__N_124unique_dim_cuda_templateIhEESt5tupleIJNS8_6TensorESD_SD_EERKSD_lbbbEUlllE1_EE10hipError_tPvRmT2_T3_mT4_P12ihipStream_tbEUlT_E_NS1_11comp_targetILNS1_3genE9ELNS1_11target_archE1100ELNS1_3gpuE3ELNS1_3repE0EEENS1_30default_config_static_selectorELNS0_4arch9wavefront6targetE0EEEvT1_
    .private_segment_fixed_size: 0
    .sgpr_count:     27
    .sgpr_spill_count: 0
    .symbol:         _ZN7rocprim17ROCPRIM_400000_NS6detail17trampoline_kernelINS0_14default_configENS1_35adjacent_difference_config_selectorILb0ElEEZNS1_24adjacent_difference_implIS3_Lb0ELb0EPlS7_ZN2at6native12_GLOBAL__N_124unique_dim_cuda_templateIhEESt5tupleIJNS8_6TensorESD_SD_EERKSD_lbbbEUlllE1_EE10hipError_tPvRmT2_T3_mT4_P12ihipStream_tbEUlT_E_NS1_11comp_targetILNS1_3genE9ELNS1_11target_archE1100ELNS1_3gpuE3ELNS1_3repE0EEENS1_30default_config_static_selectorELNS0_4arch9wavefront6targetE0EEEvT1_.kd
    .uniform_work_group_size: 1
    .uses_dynamic_stack: false
    .vgpr_count:     13
    .vgpr_spill_count: 0
    .wavefront_size: 32
    .workgroup_processor_mode: 1
  - .args:
      - .offset:         0
        .size:           64
        .value_kind:     by_value
    .group_segment_fixed_size: 0
    .kernarg_segment_align: 8
    .kernarg_segment_size: 64
    .language:       OpenCL C
    .language_version:
      - 2
      - 0
    .max_flat_workgroup_size: 1024
    .name:           _ZN7rocprim17ROCPRIM_400000_NS6detail17trampoline_kernelINS0_14default_configENS1_35adjacent_difference_config_selectorILb0ElEEZNS1_24adjacent_difference_implIS3_Lb0ELb0EPlS7_ZN2at6native12_GLOBAL__N_124unique_dim_cuda_templateIhEESt5tupleIJNS8_6TensorESD_SD_EERKSD_lbbbEUlllE1_EE10hipError_tPvRmT2_T3_mT4_P12ihipStream_tbEUlT_E_NS1_11comp_targetILNS1_3genE8ELNS1_11target_archE1030ELNS1_3gpuE2ELNS1_3repE0EEENS1_30default_config_static_selectorELNS0_4arch9wavefront6targetE0EEEvT1_
    .private_segment_fixed_size: 0
    .sgpr_count:     0
    .sgpr_spill_count: 0
    .symbol:         _ZN7rocprim17ROCPRIM_400000_NS6detail17trampoline_kernelINS0_14default_configENS1_35adjacent_difference_config_selectorILb0ElEEZNS1_24adjacent_difference_implIS3_Lb0ELb0EPlS7_ZN2at6native12_GLOBAL__N_124unique_dim_cuda_templateIhEESt5tupleIJNS8_6TensorESD_SD_EERKSD_lbbbEUlllE1_EE10hipError_tPvRmT2_T3_mT4_P12ihipStream_tbEUlT_E_NS1_11comp_targetILNS1_3genE8ELNS1_11target_archE1030ELNS1_3gpuE2ELNS1_3repE0EEENS1_30default_config_static_selectorELNS0_4arch9wavefront6targetE0EEEvT1_.kd
    .uniform_work_group_size: 1
    .uses_dynamic_stack: false
    .vgpr_count:     0
    .vgpr_spill_count: 0
    .wavefront_size: 32
    .workgroup_processor_mode: 1
  - .args:
      - .offset:         0
        .size:           56
        .value_kind:     by_value
    .group_segment_fixed_size: 0
    .kernarg_segment_align: 8
    .kernarg_segment_size: 56
    .language:       OpenCL C
    .language_version:
      - 2
      - 0
    .max_flat_workgroup_size: 128
    .name:           _ZN7rocprim17ROCPRIM_400000_NS6detail17trampoline_kernelINS0_14default_configENS1_25transform_config_selectorIlLb0EEEZNS1_14transform_implILb0ES3_S5_NS0_18transform_iteratorINS0_17counting_iteratorImlEEZNS1_24adjacent_difference_implIS3_Lb1ELb0EPlSB_ZN2at6native12_GLOBAL__N_124unique_dim_cuda_templateIhEESt5tupleIJNSC_6TensorESH_SH_EERKSH_lbbbEUlllE1_EE10hipError_tPvRmT2_T3_mT4_P12ihipStream_tbEUlmE_lEESB_NS0_8identityIvEEEESM_SP_SQ_mSR_ST_bEUlT_E_NS1_11comp_targetILNS1_3genE0ELNS1_11target_archE4294967295ELNS1_3gpuE0ELNS1_3repE0EEENS1_30default_config_static_selectorELNS0_4arch9wavefront6targetE0EEEvT1_
    .private_segment_fixed_size: 0
    .sgpr_count:     0
    .sgpr_spill_count: 0
    .symbol:         _ZN7rocprim17ROCPRIM_400000_NS6detail17trampoline_kernelINS0_14default_configENS1_25transform_config_selectorIlLb0EEEZNS1_14transform_implILb0ES3_S5_NS0_18transform_iteratorINS0_17counting_iteratorImlEEZNS1_24adjacent_difference_implIS3_Lb1ELb0EPlSB_ZN2at6native12_GLOBAL__N_124unique_dim_cuda_templateIhEESt5tupleIJNSC_6TensorESH_SH_EERKSH_lbbbEUlllE1_EE10hipError_tPvRmT2_T3_mT4_P12ihipStream_tbEUlmE_lEESB_NS0_8identityIvEEEESM_SP_SQ_mSR_ST_bEUlT_E_NS1_11comp_targetILNS1_3genE0ELNS1_11target_archE4294967295ELNS1_3gpuE0ELNS1_3repE0EEENS1_30default_config_static_selectorELNS0_4arch9wavefront6targetE0EEEvT1_.kd
    .uniform_work_group_size: 1
    .uses_dynamic_stack: false
    .vgpr_count:     0
    .vgpr_spill_count: 0
    .wavefront_size: 32
    .workgroup_processor_mode: 1
  - .args:
      - .offset:         0
        .size:           56
        .value_kind:     by_value
    .group_segment_fixed_size: 0
    .kernarg_segment_align: 8
    .kernarg_segment_size: 56
    .language:       OpenCL C
    .language_version:
      - 2
      - 0
    .max_flat_workgroup_size: 512
    .name:           _ZN7rocprim17ROCPRIM_400000_NS6detail17trampoline_kernelINS0_14default_configENS1_25transform_config_selectorIlLb0EEEZNS1_14transform_implILb0ES3_S5_NS0_18transform_iteratorINS0_17counting_iteratorImlEEZNS1_24adjacent_difference_implIS3_Lb1ELb0EPlSB_ZN2at6native12_GLOBAL__N_124unique_dim_cuda_templateIhEESt5tupleIJNSC_6TensorESH_SH_EERKSH_lbbbEUlllE1_EE10hipError_tPvRmT2_T3_mT4_P12ihipStream_tbEUlmE_lEESB_NS0_8identityIvEEEESM_SP_SQ_mSR_ST_bEUlT_E_NS1_11comp_targetILNS1_3genE5ELNS1_11target_archE942ELNS1_3gpuE9ELNS1_3repE0EEENS1_30default_config_static_selectorELNS0_4arch9wavefront6targetE0EEEvT1_
    .private_segment_fixed_size: 0
    .sgpr_count:     0
    .sgpr_spill_count: 0
    .symbol:         _ZN7rocprim17ROCPRIM_400000_NS6detail17trampoline_kernelINS0_14default_configENS1_25transform_config_selectorIlLb0EEEZNS1_14transform_implILb0ES3_S5_NS0_18transform_iteratorINS0_17counting_iteratorImlEEZNS1_24adjacent_difference_implIS3_Lb1ELb0EPlSB_ZN2at6native12_GLOBAL__N_124unique_dim_cuda_templateIhEESt5tupleIJNSC_6TensorESH_SH_EERKSH_lbbbEUlllE1_EE10hipError_tPvRmT2_T3_mT4_P12ihipStream_tbEUlmE_lEESB_NS0_8identityIvEEEESM_SP_SQ_mSR_ST_bEUlT_E_NS1_11comp_targetILNS1_3genE5ELNS1_11target_archE942ELNS1_3gpuE9ELNS1_3repE0EEENS1_30default_config_static_selectorELNS0_4arch9wavefront6targetE0EEEvT1_.kd
    .uniform_work_group_size: 1
    .uses_dynamic_stack: false
    .vgpr_count:     0
    .vgpr_spill_count: 0
    .wavefront_size: 32
    .workgroup_processor_mode: 1
  - .args:
      - .offset:         0
        .size:           56
        .value_kind:     by_value
    .group_segment_fixed_size: 0
    .kernarg_segment_align: 8
    .kernarg_segment_size: 56
    .language:       OpenCL C
    .language_version:
      - 2
      - 0
    .max_flat_workgroup_size: 256
    .name:           _ZN7rocprim17ROCPRIM_400000_NS6detail17trampoline_kernelINS0_14default_configENS1_25transform_config_selectorIlLb0EEEZNS1_14transform_implILb0ES3_S5_NS0_18transform_iteratorINS0_17counting_iteratorImlEEZNS1_24adjacent_difference_implIS3_Lb1ELb0EPlSB_ZN2at6native12_GLOBAL__N_124unique_dim_cuda_templateIhEESt5tupleIJNSC_6TensorESH_SH_EERKSH_lbbbEUlllE1_EE10hipError_tPvRmT2_T3_mT4_P12ihipStream_tbEUlmE_lEESB_NS0_8identityIvEEEESM_SP_SQ_mSR_ST_bEUlT_E_NS1_11comp_targetILNS1_3genE4ELNS1_11target_archE910ELNS1_3gpuE8ELNS1_3repE0EEENS1_30default_config_static_selectorELNS0_4arch9wavefront6targetE0EEEvT1_
    .private_segment_fixed_size: 0
    .sgpr_count:     0
    .sgpr_spill_count: 0
    .symbol:         _ZN7rocprim17ROCPRIM_400000_NS6detail17trampoline_kernelINS0_14default_configENS1_25transform_config_selectorIlLb0EEEZNS1_14transform_implILb0ES3_S5_NS0_18transform_iteratorINS0_17counting_iteratorImlEEZNS1_24adjacent_difference_implIS3_Lb1ELb0EPlSB_ZN2at6native12_GLOBAL__N_124unique_dim_cuda_templateIhEESt5tupleIJNSC_6TensorESH_SH_EERKSH_lbbbEUlllE1_EE10hipError_tPvRmT2_T3_mT4_P12ihipStream_tbEUlmE_lEESB_NS0_8identityIvEEEESM_SP_SQ_mSR_ST_bEUlT_E_NS1_11comp_targetILNS1_3genE4ELNS1_11target_archE910ELNS1_3gpuE8ELNS1_3repE0EEENS1_30default_config_static_selectorELNS0_4arch9wavefront6targetE0EEEvT1_.kd
    .uniform_work_group_size: 1
    .uses_dynamic_stack: false
    .vgpr_count:     0
    .vgpr_spill_count: 0
    .wavefront_size: 32
    .workgroup_processor_mode: 1
  - .args:
      - .offset:         0
        .size:           56
        .value_kind:     by_value
    .group_segment_fixed_size: 0
    .kernarg_segment_align: 8
    .kernarg_segment_size: 56
    .language:       OpenCL C
    .language_version:
      - 2
      - 0
    .max_flat_workgroup_size: 128
    .name:           _ZN7rocprim17ROCPRIM_400000_NS6detail17trampoline_kernelINS0_14default_configENS1_25transform_config_selectorIlLb0EEEZNS1_14transform_implILb0ES3_S5_NS0_18transform_iteratorINS0_17counting_iteratorImlEEZNS1_24adjacent_difference_implIS3_Lb1ELb0EPlSB_ZN2at6native12_GLOBAL__N_124unique_dim_cuda_templateIhEESt5tupleIJNSC_6TensorESH_SH_EERKSH_lbbbEUlllE1_EE10hipError_tPvRmT2_T3_mT4_P12ihipStream_tbEUlmE_lEESB_NS0_8identityIvEEEESM_SP_SQ_mSR_ST_bEUlT_E_NS1_11comp_targetILNS1_3genE3ELNS1_11target_archE908ELNS1_3gpuE7ELNS1_3repE0EEENS1_30default_config_static_selectorELNS0_4arch9wavefront6targetE0EEEvT1_
    .private_segment_fixed_size: 0
    .sgpr_count:     0
    .sgpr_spill_count: 0
    .symbol:         _ZN7rocprim17ROCPRIM_400000_NS6detail17trampoline_kernelINS0_14default_configENS1_25transform_config_selectorIlLb0EEEZNS1_14transform_implILb0ES3_S5_NS0_18transform_iteratorINS0_17counting_iteratorImlEEZNS1_24adjacent_difference_implIS3_Lb1ELb0EPlSB_ZN2at6native12_GLOBAL__N_124unique_dim_cuda_templateIhEESt5tupleIJNSC_6TensorESH_SH_EERKSH_lbbbEUlllE1_EE10hipError_tPvRmT2_T3_mT4_P12ihipStream_tbEUlmE_lEESB_NS0_8identityIvEEEESM_SP_SQ_mSR_ST_bEUlT_E_NS1_11comp_targetILNS1_3genE3ELNS1_11target_archE908ELNS1_3gpuE7ELNS1_3repE0EEENS1_30default_config_static_selectorELNS0_4arch9wavefront6targetE0EEEvT1_.kd
    .uniform_work_group_size: 1
    .uses_dynamic_stack: false
    .vgpr_count:     0
    .vgpr_spill_count: 0
    .wavefront_size: 32
    .workgroup_processor_mode: 1
  - .args:
      - .offset:         0
        .size:           56
        .value_kind:     by_value
    .group_segment_fixed_size: 0
    .kernarg_segment_align: 8
    .kernarg_segment_size: 56
    .language:       OpenCL C
    .language_version:
      - 2
      - 0
    .max_flat_workgroup_size: 512
    .name:           _ZN7rocprim17ROCPRIM_400000_NS6detail17trampoline_kernelINS0_14default_configENS1_25transform_config_selectorIlLb0EEEZNS1_14transform_implILb0ES3_S5_NS0_18transform_iteratorINS0_17counting_iteratorImlEEZNS1_24adjacent_difference_implIS3_Lb1ELb0EPlSB_ZN2at6native12_GLOBAL__N_124unique_dim_cuda_templateIhEESt5tupleIJNSC_6TensorESH_SH_EERKSH_lbbbEUlllE1_EE10hipError_tPvRmT2_T3_mT4_P12ihipStream_tbEUlmE_lEESB_NS0_8identityIvEEEESM_SP_SQ_mSR_ST_bEUlT_E_NS1_11comp_targetILNS1_3genE2ELNS1_11target_archE906ELNS1_3gpuE6ELNS1_3repE0EEENS1_30default_config_static_selectorELNS0_4arch9wavefront6targetE0EEEvT1_
    .private_segment_fixed_size: 0
    .sgpr_count:     0
    .sgpr_spill_count: 0
    .symbol:         _ZN7rocprim17ROCPRIM_400000_NS6detail17trampoline_kernelINS0_14default_configENS1_25transform_config_selectorIlLb0EEEZNS1_14transform_implILb0ES3_S5_NS0_18transform_iteratorINS0_17counting_iteratorImlEEZNS1_24adjacent_difference_implIS3_Lb1ELb0EPlSB_ZN2at6native12_GLOBAL__N_124unique_dim_cuda_templateIhEESt5tupleIJNSC_6TensorESH_SH_EERKSH_lbbbEUlllE1_EE10hipError_tPvRmT2_T3_mT4_P12ihipStream_tbEUlmE_lEESB_NS0_8identityIvEEEESM_SP_SQ_mSR_ST_bEUlT_E_NS1_11comp_targetILNS1_3genE2ELNS1_11target_archE906ELNS1_3gpuE6ELNS1_3repE0EEENS1_30default_config_static_selectorELNS0_4arch9wavefront6targetE0EEEvT1_.kd
    .uniform_work_group_size: 1
    .uses_dynamic_stack: false
    .vgpr_count:     0
    .vgpr_spill_count: 0
    .wavefront_size: 32
    .workgroup_processor_mode: 1
  - .args:
      - .offset:         0
        .size:           56
        .value_kind:     by_value
    .group_segment_fixed_size: 0
    .kernarg_segment_align: 8
    .kernarg_segment_size: 56
    .language:       OpenCL C
    .language_version:
      - 2
      - 0
    .max_flat_workgroup_size: 1024
    .name:           _ZN7rocprim17ROCPRIM_400000_NS6detail17trampoline_kernelINS0_14default_configENS1_25transform_config_selectorIlLb0EEEZNS1_14transform_implILb0ES3_S5_NS0_18transform_iteratorINS0_17counting_iteratorImlEEZNS1_24adjacent_difference_implIS3_Lb1ELb0EPlSB_ZN2at6native12_GLOBAL__N_124unique_dim_cuda_templateIhEESt5tupleIJNSC_6TensorESH_SH_EERKSH_lbbbEUlllE1_EE10hipError_tPvRmT2_T3_mT4_P12ihipStream_tbEUlmE_lEESB_NS0_8identityIvEEEESM_SP_SQ_mSR_ST_bEUlT_E_NS1_11comp_targetILNS1_3genE10ELNS1_11target_archE1201ELNS1_3gpuE5ELNS1_3repE0EEENS1_30default_config_static_selectorELNS0_4arch9wavefront6targetE0EEEvT1_
    .private_segment_fixed_size: 0
    .sgpr_count:     0
    .sgpr_spill_count: 0
    .symbol:         _ZN7rocprim17ROCPRIM_400000_NS6detail17trampoline_kernelINS0_14default_configENS1_25transform_config_selectorIlLb0EEEZNS1_14transform_implILb0ES3_S5_NS0_18transform_iteratorINS0_17counting_iteratorImlEEZNS1_24adjacent_difference_implIS3_Lb1ELb0EPlSB_ZN2at6native12_GLOBAL__N_124unique_dim_cuda_templateIhEESt5tupleIJNSC_6TensorESH_SH_EERKSH_lbbbEUlllE1_EE10hipError_tPvRmT2_T3_mT4_P12ihipStream_tbEUlmE_lEESB_NS0_8identityIvEEEESM_SP_SQ_mSR_ST_bEUlT_E_NS1_11comp_targetILNS1_3genE10ELNS1_11target_archE1201ELNS1_3gpuE5ELNS1_3repE0EEENS1_30default_config_static_selectorELNS0_4arch9wavefront6targetE0EEEvT1_.kd
    .uniform_work_group_size: 1
    .uses_dynamic_stack: false
    .vgpr_count:     0
    .vgpr_spill_count: 0
    .wavefront_size: 32
    .workgroup_processor_mode: 1
  - .args:
      - .offset:         0
        .size:           56
        .value_kind:     by_value
    .group_segment_fixed_size: 0
    .kernarg_segment_align: 8
    .kernarg_segment_size: 56
    .language:       OpenCL C
    .language_version:
      - 2
      - 0
    .max_flat_workgroup_size: 512
    .name:           _ZN7rocprim17ROCPRIM_400000_NS6detail17trampoline_kernelINS0_14default_configENS1_25transform_config_selectorIlLb0EEEZNS1_14transform_implILb0ES3_S5_NS0_18transform_iteratorINS0_17counting_iteratorImlEEZNS1_24adjacent_difference_implIS3_Lb1ELb0EPlSB_ZN2at6native12_GLOBAL__N_124unique_dim_cuda_templateIhEESt5tupleIJNSC_6TensorESH_SH_EERKSH_lbbbEUlllE1_EE10hipError_tPvRmT2_T3_mT4_P12ihipStream_tbEUlmE_lEESB_NS0_8identityIvEEEESM_SP_SQ_mSR_ST_bEUlT_E_NS1_11comp_targetILNS1_3genE10ELNS1_11target_archE1200ELNS1_3gpuE4ELNS1_3repE0EEENS1_30default_config_static_selectorELNS0_4arch9wavefront6targetE0EEEvT1_
    .private_segment_fixed_size: 0
    .sgpr_count:     0
    .sgpr_spill_count: 0
    .symbol:         _ZN7rocprim17ROCPRIM_400000_NS6detail17trampoline_kernelINS0_14default_configENS1_25transform_config_selectorIlLb0EEEZNS1_14transform_implILb0ES3_S5_NS0_18transform_iteratorINS0_17counting_iteratorImlEEZNS1_24adjacent_difference_implIS3_Lb1ELb0EPlSB_ZN2at6native12_GLOBAL__N_124unique_dim_cuda_templateIhEESt5tupleIJNSC_6TensorESH_SH_EERKSH_lbbbEUlllE1_EE10hipError_tPvRmT2_T3_mT4_P12ihipStream_tbEUlmE_lEESB_NS0_8identityIvEEEESM_SP_SQ_mSR_ST_bEUlT_E_NS1_11comp_targetILNS1_3genE10ELNS1_11target_archE1200ELNS1_3gpuE4ELNS1_3repE0EEENS1_30default_config_static_selectorELNS0_4arch9wavefront6targetE0EEEvT1_.kd
    .uniform_work_group_size: 1
    .uses_dynamic_stack: false
    .vgpr_count:     0
    .vgpr_spill_count: 0
    .wavefront_size: 32
    .workgroup_processor_mode: 1
  - .args:
      - .offset:         0
        .size:           56
        .value_kind:     by_value
      - .offset:         56
        .size:           4
        .value_kind:     hidden_block_count_x
      - .offset:         60
        .size:           4
        .value_kind:     hidden_block_count_y
      - .offset:         64
        .size:           4
        .value_kind:     hidden_block_count_z
      - .offset:         68
        .size:           2
        .value_kind:     hidden_group_size_x
      - .offset:         70
        .size:           2
        .value_kind:     hidden_group_size_y
      - .offset:         72
        .size:           2
        .value_kind:     hidden_group_size_z
      - .offset:         74
        .size:           2
        .value_kind:     hidden_remainder_x
      - .offset:         76
        .size:           2
        .value_kind:     hidden_remainder_y
      - .offset:         78
        .size:           2
        .value_kind:     hidden_remainder_z
      - .offset:         96
        .size:           8
        .value_kind:     hidden_global_offset_x
      - .offset:         104
        .size:           8
        .value_kind:     hidden_global_offset_y
      - .offset:         112
        .size:           8
        .value_kind:     hidden_global_offset_z
      - .offset:         120
        .size:           2
        .value_kind:     hidden_grid_dims
    .group_segment_fixed_size: 0
    .kernarg_segment_align: 8
    .kernarg_segment_size: 312
    .language:       OpenCL C
    .language_version:
      - 2
      - 0
    .max_flat_workgroup_size: 512
    .name:           _ZN7rocprim17ROCPRIM_400000_NS6detail17trampoline_kernelINS0_14default_configENS1_25transform_config_selectorIlLb0EEEZNS1_14transform_implILb0ES3_S5_NS0_18transform_iteratorINS0_17counting_iteratorImlEEZNS1_24adjacent_difference_implIS3_Lb1ELb0EPlSB_ZN2at6native12_GLOBAL__N_124unique_dim_cuda_templateIhEESt5tupleIJNSC_6TensorESH_SH_EERKSH_lbbbEUlllE1_EE10hipError_tPvRmT2_T3_mT4_P12ihipStream_tbEUlmE_lEESB_NS0_8identityIvEEEESM_SP_SQ_mSR_ST_bEUlT_E_NS1_11comp_targetILNS1_3genE9ELNS1_11target_archE1100ELNS1_3gpuE3ELNS1_3repE0EEENS1_30default_config_static_selectorELNS0_4arch9wavefront6targetE0EEEvT1_
    .private_segment_fixed_size: 0
    .sgpr_count:     18
    .sgpr_spill_count: 0
    .symbol:         _ZN7rocprim17ROCPRIM_400000_NS6detail17trampoline_kernelINS0_14default_configENS1_25transform_config_selectorIlLb0EEEZNS1_14transform_implILb0ES3_S5_NS0_18transform_iteratorINS0_17counting_iteratorImlEEZNS1_24adjacent_difference_implIS3_Lb1ELb0EPlSB_ZN2at6native12_GLOBAL__N_124unique_dim_cuda_templateIhEESt5tupleIJNSC_6TensorESH_SH_EERKSH_lbbbEUlllE1_EE10hipError_tPvRmT2_T3_mT4_P12ihipStream_tbEUlmE_lEESB_NS0_8identityIvEEEESM_SP_SQ_mSR_ST_bEUlT_E_NS1_11comp_targetILNS1_3genE9ELNS1_11target_archE1100ELNS1_3gpuE3ELNS1_3repE0EEENS1_30default_config_static_selectorELNS0_4arch9wavefront6targetE0EEEvT1_.kd
    .uniform_work_group_size: 1
    .uses_dynamic_stack: false
    .vgpr_count:     6
    .vgpr_spill_count: 0
    .wavefront_size: 32
    .workgroup_processor_mode: 1
  - .args:
      - .offset:         0
        .size:           56
        .value_kind:     by_value
    .group_segment_fixed_size: 0
    .kernarg_segment_align: 8
    .kernarg_segment_size: 56
    .language:       OpenCL C
    .language_version:
      - 2
      - 0
    .max_flat_workgroup_size: 512
    .name:           _ZN7rocprim17ROCPRIM_400000_NS6detail17trampoline_kernelINS0_14default_configENS1_25transform_config_selectorIlLb0EEEZNS1_14transform_implILb0ES3_S5_NS0_18transform_iteratorINS0_17counting_iteratorImlEEZNS1_24adjacent_difference_implIS3_Lb1ELb0EPlSB_ZN2at6native12_GLOBAL__N_124unique_dim_cuda_templateIhEESt5tupleIJNSC_6TensorESH_SH_EERKSH_lbbbEUlllE1_EE10hipError_tPvRmT2_T3_mT4_P12ihipStream_tbEUlmE_lEESB_NS0_8identityIvEEEESM_SP_SQ_mSR_ST_bEUlT_E_NS1_11comp_targetILNS1_3genE8ELNS1_11target_archE1030ELNS1_3gpuE2ELNS1_3repE0EEENS1_30default_config_static_selectorELNS0_4arch9wavefront6targetE0EEEvT1_
    .private_segment_fixed_size: 0
    .sgpr_count:     0
    .sgpr_spill_count: 0
    .symbol:         _ZN7rocprim17ROCPRIM_400000_NS6detail17trampoline_kernelINS0_14default_configENS1_25transform_config_selectorIlLb0EEEZNS1_14transform_implILb0ES3_S5_NS0_18transform_iteratorINS0_17counting_iteratorImlEEZNS1_24adjacent_difference_implIS3_Lb1ELb0EPlSB_ZN2at6native12_GLOBAL__N_124unique_dim_cuda_templateIhEESt5tupleIJNSC_6TensorESH_SH_EERKSH_lbbbEUlllE1_EE10hipError_tPvRmT2_T3_mT4_P12ihipStream_tbEUlmE_lEESB_NS0_8identityIvEEEESM_SP_SQ_mSR_ST_bEUlT_E_NS1_11comp_targetILNS1_3genE8ELNS1_11target_archE1030ELNS1_3gpuE2ELNS1_3repE0EEENS1_30default_config_static_selectorELNS0_4arch9wavefront6targetE0EEEvT1_.kd
    .uniform_work_group_size: 1
    .uses_dynamic_stack: false
    .vgpr_count:     0
    .vgpr_spill_count: 0
    .wavefront_size: 32
    .workgroup_processor_mode: 1
  - .args:
      - .offset:         0
        .size:           64
        .value_kind:     by_value
    .group_segment_fixed_size: 0
    .kernarg_segment_align: 8
    .kernarg_segment_size: 64
    .language:       OpenCL C
    .language_version:
      - 2
      - 0
    .max_flat_workgroup_size: 512
    .name:           _ZN7rocprim17ROCPRIM_400000_NS6detail17trampoline_kernelINS0_14default_configENS1_35adjacent_difference_config_selectorILb1ElEEZNS1_24adjacent_difference_implIS3_Lb1ELb0EPlS7_ZN2at6native12_GLOBAL__N_124unique_dim_cuda_templateIhEESt5tupleIJNS8_6TensorESD_SD_EERKSD_lbbbEUlllE1_EE10hipError_tPvRmT2_T3_mT4_P12ihipStream_tbEUlT_E_NS1_11comp_targetILNS1_3genE0ELNS1_11target_archE4294967295ELNS1_3gpuE0ELNS1_3repE0EEENS1_30default_config_static_selectorELNS0_4arch9wavefront6targetE0EEEvT1_
    .private_segment_fixed_size: 0
    .sgpr_count:     0
    .sgpr_spill_count: 0
    .symbol:         _ZN7rocprim17ROCPRIM_400000_NS6detail17trampoline_kernelINS0_14default_configENS1_35adjacent_difference_config_selectorILb1ElEEZNS1_24adjacent_difference_implIS3_Lb1ELb0EPlS7_ZN2at6native12_GLOBAL__N_124unique_dim_cuda_templateIhEESt5tupleIJNS8_6TensorESD_SD_EERKSD_lbbbEUlllE1_EE10hipError_tPvRmT2_T3_mT4_P12ihipStream_tbEUlT_E_NS1_11comp_targetILNS1_3genE0ELNS1_11target_archE4294967295ELNS1_3gpuE0ELNS1_3repE0EEENS1_30default_config_static_selectorELNS0_4arch9wavefront6targetE0EEEvT1_.kd
    .uniform_work_group_size: 1
    .uses_dynamic_stack: false
    .vgpr_count:     0
    .vgpr_spill_count: 0
    .wavefront_size: 32
    .workgroup_processor_mode: 1
  - .args:
      - .offset:         0
        .size:           64
        .value_kind:     by_value
    .group_segment_fixed_size: 0
    .kernarg_segment_align: 8
    .kernarg_segment_size: 64
    .language:       OpenCL C
    .language_version:
      - 2
      - 0
    .max_flat_workgroup_size: 32
    .name:           _ZN7rocprim17ROCPRIM_400000_NS6detail17trampoline_kernelINS0_14default_configENS1_35adjacent_difference_config_selectorILb1ElEEZNS1_24adjacent_difference_implIS3_Lb1ELb0EPlS7_ZN2at6native12_GLOBAL__N_124unique_dim_cuda_templateIhEESt5tupleIJNS8_6TensorESD_SD_EERKSD_lbbbEUlllE1_EE10hipError_tPvRmT2_T3_mT4_P12ihipStream_tbEUlT_E_NS1_11comp_targetILNS1_3genE10ELNS1_11target_archE1201ELNS1_3gpuE5ELNS1_3repE0EEENS1_30default_config_static_selectorELNS0_4arch9wavefront6targetE0EEEvT1_
    .private_segment_fixed_size: 0
    .sgpr_count:     0
    .sgpr_spill_count: 0
    .symbol:         _ZN7rocprim17ROCPRIM_400000_NS6detail17trampoline_kernelINS0_14default_configENS1_35adjacent_difference_config_selectorILb1ElEEZNS1_24adjacent_difference_implIS3_Lb1ELb0EPlS7_ZN2at6native12_GLOBAL__N_124unique_dim_cuda_templateIhEESt5tupleIJNS8_6TensorESD_SD_EERKSD_lbbbEUlllE1_EE10hipError_tPvRmT2_T3_mT4_P12ihipStream_tbEUlT_E_NS1_11comp_targetILNS1_3genE10ELNS1_11target_archE1201ELNS1_3gpuE5ELNS1_3repE0EEENS1_30default_config_static_selectorELNS0_4arch9wavefront6targetE0EEEvT1_.kd
    .uniform_work_group_size: 1
    .uses_dynamic_stack: false
    .vgpr_count:     0
    .vgpr_spill_count: 0
    .wavefront_size: 32
    .workgroup_processor_mode: 1
  - .args:
      - .offset:         0
        .size:           64
        .value_kind:     by_value
    .group_segment_fixed_size: 0
    .kernarg_segment_align: 8
    .kernarg_segment_size: 64
    .language:       OpenCL C
    .language_version:
      - 2
      - 0
    .max_flat_workgroup_size: 256
    .name:           _ZN7rocprim17ROCPRIM_400000_NS6detail17trampoline_kernelINS0_14default_configENS1_35adjacent_difference_config_selectorILb1ElEEZNS1_24adjacent_difference_implIS3_Lb1ELb0EPlS7_ZN2at6native12_GLOBAL__N_124unique_dim_cuda_templateIhEESt5tupleIJNS8_6TensorESD_SD_EERKSD_lbbbEUlllE1_EE10hipError_tPvRmT2_T3_mT4_P12ihipStream_tbEUlT_E_NS1_11comp_targetILNS1_3genE5ELNS1_11target_archE942ELNS1_3gpuE9ELNS1_3repE0EEENS1_30default_config_static_selectorELNS0_4arch9wavefront6targetE0EEEvT1_
    .private_segment_fixed_size: 0
    .sgpr_count:     0
    .sgpr_spill_count: 0
    .symbol:         _ZN7rocprim17ROCPRIM_400000_NS6detail17trampoline_kernelINS0_14default_configENS1_35adjacent_difference_config_selectorILb1ElEEZNS1_24adjacent_difference_implIS3_Lb1ELb0EPlS7_ZN2at6native12_GLOBAL__N_124unique_dim_cuda_templateIhEESt5tupleIJNS8_6TensorESD_SD_EERKSD_lbbbEUlllE1_EE10hipError_tPvRmT2_T3_mT4_P12ihipStream_tbEUlT_E_NS1_11comp_targetILNS1_3genE5ELNS1_11target_archE942ELNS1_3gpuE9ELNS1_3repE0EEENS1_30default_config_static_selectorELNS0_4arch9wavefront6targetE0EEEvT1_.kd
    .uniform_work_group_size: 1
    .uses_dynamic_stack: false
    .vgpr_count:     0
    .vgpr_spill_count: 0
    .wavefront_size: 32
    .workgroup_processor_mode: 1
  - .args:
      - .offset:         0
        .size:           64
        .value_kind:     by_value
    .group_segment_fixed_size: 0
    .kernarg_segment_align: 8
    .kernarg_segment_size: 64
    .language:       OpenCL C
    .language_version:
      - 2
      - 0
    .max_flat_workgroup_size: 512
    .name:           _ZN7rocprim17ROCPRIM_400000_NS6detail17trampoline_kernelINS0_14default_configENS1_35adjacent_difference_config_selectorILb1ElEEZNS1_24adjacent_difference_implIS3_Lb1ELb0EPlS7_ZN2at6native12_GLOBAL__N_124unique_dim_cuda_templateIhEESt5tupleIJNS8_6TensorESD_SD_EERKSD_lbbbEUlllE1_EE10hipError_tPvRmT2_T3_mT4_P12ihipStream_tbEUlT_E_NS1_11comp_targetILNS1_3genE4ELNS1_11target_archE910ELNS1_3gpuE8ELNS1_3repE0EEENS1_30default_config_static_selectorELNS0_4arch9wavefront6targetE0EEEvT1_
    .private_segment_fixed_size: 0
    .sgpr_count:     0
    .sgpr_spill_count: 0
    .symbol:         _ZN7rocprim17ROCPRIM_400000_NS6detail17trampoline_kernelINS0_14default_configENS1_35adjacent_difference_config_selectorILb1ElEEZNS1_24adjacent_difference_implIS3_Lb1ELb0EPlS7_ZN2at6native12_GLOBAL__N_124unique_dim_cuda_templateIhEESt5tupleIJNS8_6TensorESD_SD_EERKSD_lbbbEUlllE1_EE10hipError_tPvRmT2_T3_mT4_P12ihipStream_tbEUlT_E_NS1_11comp_targetILNS1_3genE4ELNS1_11target_archE910ELNS1_3gpuE8ELNS1_3repE0EEENS1_30default_config_static_selectorELNS0_4arch9wavefront6targetE0EEEvT1_.kd
    .uniform_work_group_size: 1
    .uses_dynamic_stack: false
    .vgpr_count:     0
    .vgpr_spill_count: 0
    .wavefront_size: 32
    .workgroup_processor_mode: 1
  - .args:
      - .offset:         0
        .size:           64
        .value_kind:     by_value
    .group_segment_fixed_size: 0
    .kernarg_segment_align: 8
    .kernarg_segment_size: 64
    .language:       OpenCL C
    .language_version:
      - 2
      - 0
    .max_flat_workgroup_size: 512
    .name:           _ZN7rocprim17ROCPRIM_400000_NS6detail17trampoline_kernelINS0_14default_configENS1_35adjacent_difference_config_selectorILb1ElEEZNS1_24adjacent_difference_implIS3_Lb1ELb0EPlS7_ZN2at6native12_GLOBAL__N_124unique_dim_cuda_templateIhEESt5tupleIJNS8_6TensorESD_SD_EERKSD_lbbbEUlllE1_EE10hipError_tPvRmT2_T3_mT4_P12ihipStream_tbEUlT_E_NS1_11comp_targetILNS1_3genE3ELNS1_11target_archE908ELNS1_3gpuE7ELNS1_3repE0EEENS1_30default_config_static_selectorELNS0_4arch9wavefront6targetE0EEEvT1_
    .private_segment_fixed_size: 0
    .sgpr_count:     0
    .sgpr_spill_count: 0
    .symbol:         _ZN7rocprim17ROCPRIM_400000_NS6detail17trampoline_kernelINS0_14default_configENS1_35adjacent_difference_config_selectorILb1ElEEZNS1_24adjacent_difference_implIS3_Lb1ELb0EPlS7_ZN2at6native12_GLOBAL__N_124unique_dim_cuda_templateIhEESt5tupleIJNS8_6TensorESD_SD_EERKSD_lbbbEUlllE1_EE10hipError_tPvRmT2_T3_mT4_P12ihipStream_tbEUlT_E_NS1_11comp_targetILNS1_3genE3ELNS1_11target_archE908ELNS1_3gpuE7ELNS1_3repE0EEENS1_30default_config_static_selectorELNS0_4arch9wavefront6targetE0EEEvT1_.kd
    .uniform_work_group_size: 1
    .uses_dynamic_stack: false
    .vgpr_count:     0
    .vgpr_spill_count: 0
    .wavefront_size: 32
    .workgroup_processor_mode: 1
  - .args:
      - .offset:         0
        .size:           64
        .value_kind:     by_value
    .group_segment_fixed_size: 0
    .kernarg_segment_align: 8
    .kernarg_segment_size: 64
    .language:       OpenCL C
    .language_version:
      - 2
      - 0
    .max_flat_workgroup_size: 128
    .name:           _ZN7rocprim17ROCPRIM_400000_NS6detail17trampoline_kernelINS0_14default_configENS1_35adjacent_difference_config_selectorILb1ElEEZNS1_24adjacent_difference_implIS3_Lb1ELb0EPlS7_ZN2at6native12_GLOBAL__N_124unique_dim_cuda_templateIhEESt5tupleIJNS8_6TensorESD_SD_EERKSD_lbbbEUlllE1_EE10hipError_tPvRmT2_T3_mT4_P12ihipStream_tbEUlT_E_NS1_11comp_targetILNS1_3genE2ELNS1_11target_archE906ELNS1_3gpuE6ELNS1_3repE0EEENS1_30default_config_static_selectorELNS0_4arch9wavefront6targetE0EEEvT1_
    .private_segment_fixed_size: 0
    .sgpr_count:     0
    .sgpr_spill_count: 0
    .symbol:         _ZN7rocprim17ROCPRIM_400000_NS6detail17trampoline_kernelINS0_14default_configENS1_35adjacent_difference_config_selectorILb1ElEEZNS1_24adjacent_difference_implIS3_Lb1ELb0EPlS7_ZN2at6native12_GLOBAL__N_124unique_dim_cuda_templateIhEESt5tupleIJNS8_6TensorESD_SD_EERKSD_lbbbEUlllE1_EE10hipError_tPvRmT2_T3_mT4_P12ihipStream_tbEUlT_E_NS1_11comp_targetILNS1_3genE2ELNS1_11target_archE906ELNS1_3gpuE6ELNS1_3repE0EEENS1_30default_config_static_selectorELNS0_4arch9wavefront6targetE0EEEvT1_.kd
    .uniform_work_group_size: 1
    .uses_dynamic_stack: false
    .vgpr_count:     0
    .vgpr_spill_count: 0
    .wavefront_size: 32
    .workgroup_processor_mode: 1
  - .args:
      - .offset:         0
        .size:           64
        .value_kind:     by_value
    .group_segment_fixed_size: 29696
    .kernarg_segment_align: 8
    .kernarg_segment_size: 64
    .language:       OpenCL C
    .language_version:
      - 2
      - 0
    .max_flat_workgroup_size: 128
    .name:           _ZN7rocprim17ROCPRIM_400000_NS6detail17trampoline_kernelINS0_14default_configENS1_35adjacent_difference_config_selectorILb1ElEEZNS1_24adjacent_difference_implIS3_Lb1ELb0EPlS7_ZN2at6native12_GLOBAL__N_124unique_dim_cuda_templateIhEESt5tupleIJNS8_6TensorESD_SD_EERKSD_lbbbEUlllE1_EE10hipError_tPvRmT2_T3_mT4_P12ihipStream_tbEUlT_E_NS1_11comp_targetILNS1_3genE9ELNS1_11target_archE1100ELNS1_3gpuE3ELNS1_3repE0EEENS1_30default_config_static_selectorELNS0_4arch9wavefront6targetE0EEEvT1_
    .private_segment_fixed_size: 0
    .sgpr_count:     32
    .sgpr_spill_count: 0
    .symbol:         _ZN7rocprim17ROCPRIM_400000_NS6detail17trampoline_kernelINS0_14default_configENS1_35adjacent_difference_config_selectorILb1ElEEZNS1_24adjacent_difference_implIS3_Lb1ELb0EPlS7_ZN2at6native12_GLOBAL__N_124unique_dim_cuda_templateIhEESt5tupleIJNS8_6TensorESD_SD_EERKSD_lbbbEUlllE1_EE10hipError_tPvRmT2_T3_mT4_P12ihipStream_tbEUlT_E_NS1_11comp_targetILNS1_3genE9ELNS1_11target_archE1100ELNS1_3gpuE3ELNS1_3repE0EEENS1_30default_config_static_selectorELNS0_4arch9wavefront6targetE0EEEvT1_.kd
    .uniform_work_group_size: 1
    .uses_dynamic_stack: false
    .vgpr_count:     196
    .vgpr_spill_count: 0
    .wavefront_size: 32
    .workgroup_processor_mode: 1
  - .args:
      - .offset:         0
        .size:           64
        .value_kind:     by_value
    .group_segment_fixed_size: 0
    .kernarg_segment_align: 8
    .kernarg_segment_size: 64
    .language:       OpenCL C
    .language_version:
      - 2
      - 0
    .max_flat_workgroup_size: 32
    .name:           _ZN7rocprim17ROCPRIM_400000_NS6detail17trampoline_kernelINS0_14default_configENS1_35adjacent_difference_config_selectorILb1ElEEZNS1_24adjacent_difference_implIS3_Lb1ELb0EPlS7_ZN2at6native12_GLOBAL__N_124unique_dim_cuda_templateIhEESt5tupleIJNS8_6TensorESD_SD_EERKSD_lbbbEUlllE1_EE10hipError_tPvRmT2_T3_mT4_P12ihipStream_tbEUlT_E_NS1_11comp_targetILNS1_3genE8ELNS1_11target_archE1030ELNS1_3gpuE2ELNS1_3repE0EEENS1_30default_config_static_selectorELNS0_4arch9wavefront6targetE0EEEvT1_
    .private_segment_fixed_size: 0
    .sgpr_count:     0
    .sgpr_spill_count: 0
    .symbol:         _ZN7rocprim17ROCPRIM_400000_NS6detail17trampoline_kernelINS0_14default_configENS1_35adjacent_difference_config_selectorILb1ElEEZNS1_24adjacent_difference_implIS3_Lb1ELb0EPlS7_ZN2at6native12_GLOBAL__N_124unique_dim_cuda_templateIhEESt5tupleIJNS8_6TensorESD_SD_EERKSD_lbbbEUlllE1_EE10hipError_tPvRmT2_T3_mT4_P12ihipStream_tbEUlT_E_NS1_11comp_targetILNS1_3genE8ELNS1_11target_archE1030ELNS1_3gpuE2ELNS1_3repE0EEENS1_30default_config_static_selectorELNS0_4arch9wavefront6targetE0EEEvT1_.kd
    .uniform_work_group_size: 1
    .uses_dynamic_stack: false
    .vgpr_count:     0
    .vgpr_spill_count: 0
    .wavefront_size: 32
    .workgroup_processor_mode: 1
  - .args:
      - .address_space:  global
        .offset:         0
        .size:           8
        .value_kind:     global_buffer
      - .offset:         8
        .size:           4
        .value_kind:     by_value
      - .offset:         12
        .size:           1
        .value_kind:     by_value
      - .offset:         16
        .size:           4
        .value_kind:     by_value
      - .address_space:  global
        .offset:         24
        .size:           8
        .value_kind:     global_buffer
      - .offset:         32
        .size:           4
        .value_kind:     hidden_block_count_x
      - .offset:         36
        .size:           4
        .value_kind:     hidden_block_count_y
      - .offset:         40
        .size:           4
        .value_kind:     hidden_block_count_z
      - .offset:         44
        .size:           2
        .value_kind:     hidden_group_size_x
      - .offset:         46
        .size:           2
        .value_kind:     hidden_group_size_y
      - .offset:         48
        .size:           2
        .value_kind:     hidden_group_size_z
      - .offset:         50
        .size:           2
        .value_kind:     hidden_remainder_x
      - .offset:         52
        .size:           2
        .value_kind:     hidden_remainder_y
      - .offset:         54
        .size:           2
        .value_kind:     hidden_remainder_z
      - .offset:         72
        .size:           8
        .value_kind:     hidden_global_offset_x
      - .offset:         80
        .size:           8
        .value_kind:     hidden_global_offset_y
      - .offset:         88
        .size:           8
        .value_kind:     hidden_global_offset_z
      - .offset:         96
        .size:           2
        .value_kind:     hidden_grid_dims
    .group_segment_fixed_size: 0
    .kernarg_segment_align: 8
    .kernarg_segment_size: 288
    .language:       OpenCL C
    .language_version:
      - 2
      - 0
    .max_flat_workgroup_size: 256
    .name:           _ZN7rocprim17ROCPRIM_400000_NS6detail31init_lookback_scan_state_kernelINS1_19lookback_scan_stateIlLb0ELb1EEENS1_16block_id_wrapperIjLb0EEEEEvT_jT0_jPNS7_10value_typeE
    .private_segment_fixed_size: 0
    .sgpr_count:     18
    .sgpr_spill_count: 0
    .symbol:         _ZN7rocprim17ROCPRIM_400000_NS6detail31init_lookback_scan_state_kernelINS1_19lookback_scan_stateIlLb0ELb1EEENS1_16block_id_wrapperIjLb0EEEEEvT_jT0_jPNS7_10value_typeE.kd
    .uniform_work_group_size: 1
    .uses_dynamic_stack: false
    .vgpr_count:     9
    .vgpr_spill_count: 0
    .wavefront_size: 32
    .workgroup_processor_mode: 1
  - .args:
      - .offset:         0
        .size:           104
        .value_kind:     by_value
    .group_segment_fixed_size: 0
    .kernarg_segment_align: 8
    .kernarg_segment_size: 104
    .language:       OpenCL C
    .language_version:
      - 2
      - 0
    .max_flat_workgroup_size: 256
    .name:           _ZN7rocprim17ROCPRIM_400000_NS6detail17trampoline_kernelINS0_14default_configENS1_20scan_config_selectorIlEEZZNS1_9scan_implILNS1_25lookback_scan_determinismE0ELb0ELb0ES3_PlS8_lN6thrust23THRUST_200600_302600_NS4plusIvEElEEDaPvRmT3_T4_T5_mT6_P12ihipStream_tbENKUlT_T0_E_clISt17integral_constantIbLb0EESQ_EEDaSL_SM_EUlSL_E_NS1_11comp_targetILNS1_3genE0ELNS1_11target_archE4294967295ELNS1_3gpuE0ELNS1_3repE0EEENS1_30default_config_static_selectorELNS0_4arch9wavefront6targetE0EEEvT1_
    .private_segment_fixed_size: 0
    .sgpr_count:     0
    .sgpr_spill_count: 0
    .symbol:         _ZN7rocprim17ROCPRIM_400000_NS6detail17trampoline_kernelINS0_14default_configENS1_20scan_config_selectorIlEEZZNS1_9scan_implILNS1_25lookback_scan_determinismE0ELb0ELb0ES3_PlS8_lN6thrust23THRUST_200600_302600_NS4plusIvEElEEDaPvRmT3_T4_T5_mT6_P12ihipStream_tbENKUlT_T0_E_clISt17integral_constantIbLb0EESQ_EEDaSL_SM_EUlSL_E_NS1_11comp_targetILNS1_3genE0ELNS1_11target_archE4294967295ELNS1_3gpuE0ELNS1_3repE0EEENS1_30default_config_static_selectorELNS0_4arch9wavefront6targetE0EEEvT1_.kd
    .uniform_work_group_size: 1
    .uses_dynamic_stack: false
    .vgpr_count:     0
    .vgpr_spill_count: 0
    .wavefront_size: 32
    .workgroup_processor_mode: 1
  - .args:
      - .offset:         0
        .size:           104
        .value_kind:     by_value
    .group_segment_fixed_size: 0
    .kernarg_segment_align: 8
    .kernarg_segment_size: 104
    .language:       OpenCL C
    .language_version:
      - 2
      - 0
    .max_flat_workgroup_size: 256
    .name:           _ZN7rocprim17ROCPRIM_400000_NS6detail17trampoline_kernelINS0_14default_configENS1_20scan_config_selectorIlEEZZNS1_9scan_implILNS1_25lookback_scan_determinismE0ELb0ELb0ES3_PlS8_lN6thrust23THRUST_200600_302600_NS4plusIvEElEEDaPvRmT3_T4_T5_mT6_P12ihipStream_tbENKUlT_T0_E_clISt17integral_constantIbLb0EESQ_EEDaSL_SM_EUlSL_E_NS1_11comp_targetILNS1_3genE5ELNS1_11target_archE942ELNS1_3gpuE9ELNS1_3repE0EEENS1_30default_config_static_selectorELNS0_4arch9wavefront6targetE0EEEvT1_
    .private_segment_fixed_size: 0
    .sgpr_count:     0
    .sgpr_spill_count: 0
    .symbol:         _ZN7rocprim17ROCPRIM_400000_NS6detail17trampoline_kernelINS0_14default_configENS1_20scan_config_selectorIlEEZZNS1_9scan_implILNS1_25lookback_scan_determinismE0ELb0ELb0ES3_PlS8_lN6thrust23THRUST_200600_302600_NS4plusIvEElEEDaPvRmT3_T4_T5_mT6_P12ihipStream_tbENKUlT_T0_E_clISt17integral_constantIbLb0EESQ_EEDaSL_SM_EUlSL_E_NS1_11comp_targetILNS1_3genE5ELNS1_11target_archE942ELNS1_3gpuE9ELNS1_3repE0EEENS1_30default_config_static_selectorELNS0_4arch9wavefront6targetE0EEEvT1_.kd
    .uniform_work_group_size: 1
    .uses_dynamic_stack: false
    .vgpr_count:     0
    .vgpr_spill_count: 0
    .wavefront_size: 32
    .workgroup_processor_mode: 1
  - .args:
      - .offset:         0
        .size:           104
        .value_kind:     by_value
    .group_segment_fixed_size: 0
    .kernarg_segment_align: 8
    .kernarg_segment_size: 104
    .language:       OpenCL C
    .language_version:
      - 2
      - 0
    .max_flat_workgroup_size: 128
    .name:           _ZN7rocprim17ROCPRIM_400000_NS6detail17trampoline_kernelINS0_14default_configENS1_20scan_config_selectorIlEEZZNS1_9scan_implILNS1_25lookback_scan_determinismE0ELb0ELb0ES3_PlS8_lN6thrust23THRUST_200600_302600_NS4plusIvEElEEDaPvRmT3_T4_T5_mT6_P12ihipStream_tbENKUlT_T0_E_clISt17integral_constantIbLb0EESQ_EEDaSL_SM_EUlSL_E_NS1_11comp_targetILNS1_3genE4ELNS1_11target_archE910ELNS1_3gpuE8ELNS1_3repE0EEENS1_30default_config_static_selectorELNS0_4arch9wavefront6targetE0EEEvT1_
    .private_segment_fixed_size: 0
    .sgpr_count:     0
    .sgpr_spill_count: 0
    .symbol:         _ZN7rocprim17ROCPRIM_400000_NS6detail17trampoline_kernelINS0_14default_configENS1_20scan_config_selectorIlEEZZNS1_9scan_implILNS1_25lookback_scan_determinismE0ELb0ELb0ES3_PlS8_lN6thrust23THRUST_200600_302600_NS4plusIvEElEEDaPvRmT3_T4_T5_mT6_P12ihipStream_tbENKUlT_T0_E_clISt17integral_constantIbLb0EESQ_EEDaSL_SM_EUlSL_E_NS1_11comp_targetILNS1_3genE4ELNS1_11target_archE910ELNS1_3gpuE8ELNS1_3repE0EEENS1_30default_config_static_selectorELNS0_4arch9wavefront6targetE0EEEvT1_.kd
    .uniform_work_group_size: 1
    .uses_dynamic_stack: false
    .vgpr_count:     0
    .vgpr_spill_count: 0
    .wavefront_size: 32
    .workgroup_processor_mode: 1
  - .args:
      - .offset:         0
        .size:           104
        .value_kind:     by_value
    .group_segment_fixed_size: 0
    .kernarg_segment_align: 8
    .kernarg_segment_size: 104
    .language:       OpenCL C
    .language_version:
      - 2
      - 0
    .max_flat_workgroup_size: 256
    .name:           _ZN7rocprim17ROCPRIM_400000_NS6detail17trampoline_kernelINS0_14default_configENS1_20scan_config_selectorIlEEZZNS1_9scan_implILNS1_25lookback_scan_determinismE0ELb0ELb0ES3_PlS8_lN6thrust23THRUST_200600_302600_NS4plusIvEElEEDaPvRmT3_T4_T5_mT6_P12ihipStream_tbENKUlT_T0_E_clISt17integral_constantIbLb0EESQ_EEDaSL_SM_EUlSL_E_NS1_11comp_targetILNS1_3genE3ELNS1_11target_archE908ELNS1_3gpuE7ELNS1_3repE0EEENS1_30default_config_static_selectorELNS0_4arch9wavefront6targetE0EEEvT1_
    .private_segment_fixed_size: 0
    .sgpr_count:     0
    .sgpr_spill_count: 0
    .symbol:         _ZN7rocprim17ROCPRIM_400000_NS6detail17trampoline_kernelINS0_14default_configENS1_20scan_config_selectorIlEEZZNS1_9scan_implILNS1_25lookback_scan_determinismE0ELb0ELb0ES3_PlS8_lN6thrust23THRUST_200600_302600_NS4plusIvEElEEDaPvRmT3_T4_T5_mT6_P12ihipStream_tbENKUlT_T0_E_clISt17integral_constantIbLb0EESQ_EEDaSL_SM_EUlSL_E_NS1_11comp_targetILNS1_3genE3ELNS1_11target_archE908ELNS1_3gpuE7ELNS1_3repE0EEENS1_30default_config_static_selectorELNS0_4arch9wavefront6targetE0EEEvT1_.kd
    .uniform_work_group_size: 1
    .uses_dynamic_stack: false
    .vgpr_count:     0
    .vgpr_spill_count: 0
    .wavefront_size: 32
    .workgroup_processor_mode: 1
  - .args:
      - .offset:         0
        .size:           104
        .value_kind:     by_value
    .group_segment_fixed_size: 0
    .kernarg_segment_align: 8
    .kernarg_segment_size: 104
    .language:       OpenCL C
    .language_version:
      - 2
      - 0
    .max_flat_workgroup_size: 64
    .name:           _ZN7rocprim17ROCPRIM_400000_NS6detail17trampoline_kernelINS0_14default_configENS1_20scan_config_selectorIlEEZZNS1_9scan_implILNS1_25lookback_scan_determinismE0ELb0ELb0ES3_PlS8_lN6thrust23THRUST_200600_302600_NS4plusIvEElEEDaPvRmT3_T4_T5_mT6_P12ihipStream_tbENKUlT_T0_E_clISt17integral_constantIbLb0EESQ_EEDaSL_SM_EUlSL_E_NS1_11comp_targetILNS1_3genE2ELNS1_11target_archE906ELNS1_3gpuE6ELNS1_3repE0EEENS1_30default_config_static_selectorELNS0_4arch9wavefront6targetE0EEEvT1_
    .private_segment_fixed_size: 0
    .sgpr_count:     0
    .sgpr_spill_count: 0
    .symbol:         _ZN7rocprim17ROCPRIM_400000_NS6detail17trampoline_kernelINS0_14default_configENS1_20scan_config_selectorIlEEZZNS1_9scan_implILNS1_25lookback_scan_determinismE0ELb0ELb0ES3_PlS8_lN6thrust23THRUST_200600_302600_NS4plusIvEElEEDaPvRmT3_T4_T5_mT6_P12ihipStream_tbENKUlT_T0_E_clISt17integral_constantIbLb0EESQ_EEDaSL_SM_EUlSL_E_NS1_11comp_targetILNS1_3genE2ELNS1_11target_archE906ELNS1_3gpuE6ELNS1_3repE0EEENS1_30default_config_static_selectorELNS0_4arch9wavefront6targetE0EEEvT1_.kd
    .uniform_work_group_size: 1
    .uses_dynamic_stack: false
    .vgpr_count:     0
    .vgpr_spill_count: 0
    .wavefront_size: 32
    .workgroup_processor_mode: 1
  - .args:
      - .offset:         0
        .size:           104
        .value_kind:     by_value
    .group_segment_fixed_size: 0
    .kernarg_segment_align: 8
    .kernarg_segment_size: 104
    .language:       OpenCL C
    .language_version:
      - 2
      - 0
    .max_flat_workgroup_size: 256
    .name:           _ZN7rocprim17ROCPRIM_400000_NS6detail17trampoline_kernelINS0_14default_configENS1_20scan_config_selectorIlEEZZNS1_9scan_implILNS1_25lookback_scan_determinismE0ELb0ELb0ES3_PlS8_lN6thrust23THRUST_200600_302600_NS4plusIvEElEEDaPvRmT3_T4_T5_mT6_P12ihipStream_tbENKUlT_T0_E_clISt17integral_constantIbLb0EESQ_EEDaSL_SM_EUlSL_E_NS1_11comp_targetILNS1_3genE10ELNS1_11target_archE1201ELNS1_3gpuE5ELNS1_3repE0EEENS1_30default_config_static_selectorELNS0_4arch9wavefront6targetE0EEEvT1_
    .private_segment_fixed_size: 0
    .sgpr_count:     0
    .sgpr_spill_count: 0
    .symbol:         _ZN7rocprim17ROCPRIM_400000_NS6detail17trampoline_kernelINS0_14default_configENS1_20scan_config_selectorIlEEZZNS1_9scan_implILNS1_25lookback_scan_determinismE0ELb0ELb0ES3_PlS8_lN6thrust23THRUST_200600_302600_NS4plusIvEElEEDaPvRmT3_T4_T5_mT6_P12ihipStream_tbENKUlT_T0_E_clISt17integral_constantIbLb0EESQ_EEDaSL_SM_EUlSL_E_NS1_11comp_targetILNS1_3genE10ELNS1_11target_archE1201ELNS1_3gpuE5ELNS1_3repE0EEENS1_30default_config_static_selectorELNS0_4arch9wavefront6targetE0EEEvT1_.kd
    .uniform_work_group_size: 1
    .uses_dynamic_stack: false
    .vgpr_count:     0
    .vgpr_spill_count: 0
    .wavefront_size: 32
    .workgroup_processor_mode: 1
  - .args:
      - .offset:         0
        .size:           104
        .value_kind:     by_value
    .group_segment_fixed_size: 0
    .kernarg_segment_align: 8
    .kernarg_segment_size: 104
    .language:       OpenCL C
    .language_version:
      - 2
      - 0
    .max_flat_workgroup_size: 256
    .name:           _ZN7rocprim17ROCPRIM_400000_NS6detail17trampoline_kernelINS0_14default_configENS1_20scan_config_selectorIlEEZZNS1_9scan_implILNS1_25lookback_scan_determinismE0ELb0ELb0ES3_PlS8_lN6thrust23THRUST_200600_302600_NS4plusIvEElEEDaPvRmT3_T4_T5_mT6_P12ihipStream_tbENKUlT_T0_E_clISt17integral_constantIbLb0EESQ_EEDaSL_SM_EUlSL_E_NS1_11comp_targetILNS1_3genE10ELNS1_11target_archE1200ELNS1_3gpuE4ELNS1_3repE0EEENS1_30default_config_static_selectorELNS0_4arch9wavefront6targetE0EEEvT1_
    .private_segment_fixed_size: 0
    .sgpr_count:     0
    .sgpr_spill_count: 0
    .symbol:         _ZN7rocprim17ROCPRIM_400000_NS6detail17trampoline_kernelINS0_14default_configENS1_20scan_config_selectorIlEEZZNS1_9scan_implILNS1_25lookback_scan_determinismE0ELb0ELb0ES3_PlS8_lN6thrust23THRUST_200600_302600_NS4plusIvEElEEDaPvRmT3_T4_T5_mT6_P12ihipStream_tbENKUlT_T0_E_clISt17integral_constantIbLb0EESQ_EEDaSL_SM_EUlSL_E_NS1_11comp_targetILNS1_3genE10ELNS1_11target_archE1200ELNS1_3gpuE4ELNS1_3repE0EEENS1_30default_config_static_selectorELNS0_4arch9wavefront6targetE0EEEvT1_.kd
    .uniform_work_group_size: 1
    .uses_dynamic_stack: false
    .vgpr_count:     0
    .vgpr_spill_count: 0
    .wavefront_size: 32
    .workgroup_processor_mode: 1
  - .args:
      - .offset:         0
        .size:           104
        .value_kind:     by_value
    .group_segment_fixed_size: 33792
    .kernarg_segment_align: 8
    .kernarg_segment_size: 104
    .language:       OpenCL C
    .language_version:
      - 2
      - 0
    .max_flat_workgroup_size: 256
    .name:           _ZN7rocprim17ROCPRIM_400000_NS6detail17trampoline_kernelINS0_14default_configENS1_20scan_config_selectorIlEEZZNS1_9scan_implILNS1_25lookback_scan_determinismE0ELb0ELb0ES3_PlS8_lN6thrust23THRUST_200600_302600_NS4plusIvEElEEDaPvRmT3_T4_T5_mT6_P12ihipStream_tbENKUlT_T0_E_clISt17integral_constantIbLb0EESQ_EEDaSL_SM_EUlSL_E_NS1_11comp_targetILNS1_3genE9ELNS1_11target_archE1100ELNS1_3gpuE3ELNS1_3repE0EEENS1_30default_config_static_selectorELNS0_4arch9wavefront6targetE0EEEvT1_
    .private_segment_fixed_size: 0
    .sgpr_count:     70
    .sgpr_spill_count: 0
    .symbol:         _ZN7rocprim17ROCPRIM_400000_NS6detail17trampoline_kernelINS0_14default_configENS1_20scan_config_selectorIlEEZZNS1_9scan_implILNS1_25lookback_scan_determinismE0ELb0ELb0ES3_PlS8_lN6thrust23THRUST_200600_302600_NS4plusIvEElEEDaPvRmT3_T4_T5_mT6_P12ihipStream_tbENKUlT_T0_E_clISt17integral_constantIbLb0EESQ_EEDaSL_SM_EUlSL_E_NS1_11comp_targetILNS1_3genE9ELNS1_11target_archE1100ELNS1_3gpuE3ELNS1_3repE0EEENS1_30default_config_static_selectorELNS0_4arch9wavefront6targetE0EEEvT1_.kd
    .uniform_work_group_size: 1
    .uses_dynamic_stack: false
    .vgpr_count:     109
    .vgpr_spill_count: 0
    .wavefront_size: 32
    .workgroup_processor_mode: 1
  - .args:
      - .offset:         0
        .size:           104
        .value_kind:     by_value
    .group_segment_fixed_size: 0
    .kernarg_segment_align: 8
    .kernarg_segment_size: 104
    .language:       OpenCL C
    .language_version:
      - 2
      - 0
    .max_flat_workgroup_size: 256
    .name:           _ZN7rocprim17ROCPRIM_400000_NS6detail17trampoline_kernelINS0_14default_configENS1_20scan_config_selectorIlEEZZNS1_9scan_implILNS1_25lookback_scan_determinismE0ELb0ELb0ES3_PlS8_lN6thrust23THRUST_200600_302600_NS4plusIvEElEEDaPvRmT3_T4_T5_mT6_P12ihipStream_tbENKUlT_T0_E_clISt17integral_constantIbLb0EESQ_EEDaSL_SM_EUlSL_E_NS1_11comp_targetILNS1_3genE8ELNS1_11target_archE1030ELNS1_3gpuE2ELNS1_3repE0EEENS1_30default_config_static_selectorELNS0_4arch9wavefront6targetE0EEEvT1_
    .private_segment_fixed_size: 0
    .sgpr_count:     0
    .sgpr_spill_count: 0
    .symbol:         _ZN7rocprim17ROCPRIM_400000_NS6detail17trampoline_kernelINS0_14default_configENS1_20scan_config_selectorIlEEZZNS1_9scan_implILNS1_25lookback_scan_determinismE0ELb0ELb0ES3_PlS8_lN6thrust23THRUST_200600_302600_NS4plusIvEElEEDaPvRmT3_T4_T5_mT6_P12ihipStream_tbENKUlT_T0_E_clISt17integral_constantIbLb0EESQ_EEDaSL_SM_EUlSL_E_NS1_11comp_targetILNS1_3genE8ELNS1_11target_archE1030ELNS1_3gpuE2ELNS1_3repE0EEENS1_30default_config_static_selectorELNS0_4arch9wavefront6targetE0EEEvT1_.kd
    .uniform_work_group_size: 1
    .uses_dynamic_stack: false
    .vgpr_count:     0
    .vgpr_spill_count: 0
    .wavefront_size: 32
    .workgroup_processor_mode: 1
  - .args:
      - .offset:         0
        .size:           40
        .value_kind:     by_value
    .group_segment_fixed_size: 0
    .kernarg_segment_align: 8
    .kernarg_segment_size: 40
    .language:       OpenCL C
    .language_version:
      - 2
      - 0
    .max_flat_workgroup_size: 256
    .name:           _ZN7rocprim17ROCPRIM_400000_NS6detail17trampoline_kernelINS0_14default_configENS1_20scan_config_selectorIlEEZZNS1_9scan_implILNS1_25lookback_scan_determinismE0ELb0ELb0ES3_PlS8_lN6thrust23THRUST_200600_302600_NS4plusIvEElEEDaPvRmT3_T4_T5_mT6_P12ihipStream_tbENKUlT_T0_E_clISt17integral_constantIbLb0EESQ_EEDaSL_SM_EUlSL_E0_NS1_11comp_targetILNS1_3genE0ELNS1_11target_archE4294967295ELNS1_3gpuE0ELNS1_3repE0EEENS1_30default_config_static_selectorELNS0_4arch9wavefront6targetE0EEEvT1_
    .private_segment_fixed_size: 0
    .sgpr_count:     0
    .sgpr_spill_count: 0
    .symbol:         _ZN7rocprim17ROCPRIM_400000_NS6detail17trampoline_kernelINS0_14default_configENS1_20scan_config_selectorIlEEZZNS1_9scan_implILNS1_25lookback_scan_determinismE0ELb0ELb0ES3_PlS8_lN6thrust23THRUST_200600_302600_NS4plusIvEElEEDaPvRmT3_T4_T5_mT6_P12ihipStream_tbENKUlT_T0_E_clISt17integral_constantIbLb0EESQ_EEDaSL_SM_EUlSL_E0_NS1_11comp_targetILNS1_3genE0ELNS1_11target_archE4294967295ELNS1_3gpuE0ELNS1_3repE0EEENS1_30default_config_static_selectorELNS0_4arch9wavefront6targetE0EEEvT1_.kd
    .uniform_work_group_size: 1
    .uses_dynamic_stack: false
    .vgpr_count:     0
    .vgpr_spill_count: 0
    .wavefront_size: 32
    .workgroup_processor_mode: 1
  - .args:
      - .offset:         0
        .size:           40
        .value_kind:     by_value
    .group_segment_fixed_size: 0
    .kernarg_segment_align: 8
    .kernarg_segment_size: 40
    .language:       OpenCL C
    .language_version:
      - 2
      - 0
    .max_flat_workgroup_size: 256
    .name:           _ZN7rocprim17ROCPRIM_400000_NS6detail17trampoline_kernelINS0_14default_configENS1_20scan_config_selectorIlEEZZNS1_9scan_implILNS1_25lookback_scan_determinismE0ELb0ELb0ES3_PlS8_lN6thrust23THRUST_200600_302600_NS4plusIvEElEEDaPvRmT3_T4_T5_mT6_P12ihipStream_tbENKUlT_T0_E_clISt17integral_constantIbLb0EESQ_EEDaSL_SM_EUlSL_E0_NS1_11comp_targetILNS1_3genE5ELNS1_11target_archE942ELNS1_3gpuE9ELNS1_3repE0EEENS1_30default_config_static_selectorELNS0_4arch9wavefront6targetE0EEEvT1_
    .private_segment_fixed_size: 0
    .sgpr_count:     0
    .sgpr_spill_count: 0
    .symbol:         _ZN7rocprim17ROCPRIM_400000_NS6detail17trampoline_kernelINS0_14default_configENS1_20scan_config_selectorIlEEZZNS1_9scan_implILNS1_25lookback_scan_determinismE0ELb0ELb0ES3_PlS8_lN6thrust23THRUST_200600_302600_NS4plusIvEElEEDaPvRmT3_T4_T5_mT6_P12ihipStream_tbENKUlT_T0_E_clISt17integral_constantIbLb0EESQ_EEDaSL_SM_EUlSL_E0_NS1_11comp_targetILNS1_3genE5ELNS1_11target_archE942ELNS1_3gpuE9ELNS1_3repE0EEENS1_30default_config_static_selectorELNS0_4arch9wavefront6targetE0EEEvT1_.kd
    .uniform_work_group_size: 1
    .uses_dynamic_stack: false
    .vgpr_count:     0
    .vgpr_spill_count: 0
    .wavefront_size: 32
    .workgroup_processor_mode: 1
  - .args:
      - .offset:         0
        .size:           40
        .value_kind:     by_value
    .group_segment_fixed_size: 0
    .kernarg_segment_align: 8
    .kernarg_segment_size: 40
    .language:       OpenCL C
    .language_version:
      - 2
      - 0
    .max_flat_workgroup_size: 128
    .name:           _ZN7rocprim17ROCPRIM_400000_NS6detail17trampoline_kernelINS0_14default_configENS1_20scan_config_selectorIlEEZZNS1_9scan_implILNS1_25lookback_scan_determinismE0ELb0ELb0ES3_PlS8_lN6thrust23THRUST_200600_302600_NS4plusIvEElEEDaPvRmT3_T4_T5_mT6_P12ihipStream_tbENKUlT_T0_E_clISt17integral_constantIbLb0EESQ_EEDaSL_SM_EUlSL_E0_NS1_11comp_targetILNS1_3genE4ELNS1_11target_archE910ELNS1_3gpuE8ELNS1_3repE0EEENS1_30default_config_static_selectorELNS0_4arch9wavefront6targetE0EEEvT1_
    .private_segment_fixed_size: 0
    .sgpr_count:     0
    .sgpr_spill_count: 0
    .symbol:         _ZN7rocprim17ROCPRIM_400000_NS6detail17trampoline_kernelINS0_14default_configENS1_20scan_config_selectorIlEEZZNS1_9scan_implILNS1_25lookback_scan_determinismE0ELb0ELb0ES3_PlS8_lN6thrust23THRUST_200600_302600_NS4plusIvEElEEDaPvRmT3_T4_T5_mT6_P12ihipStream_tbENKUlT_T0_E_clISt17integral_constantIbLb0EESQ_EEDaSL_SM_EUlSL_E0_NS1_11comp_targetILNS1_3genE4ELNS1_11target_archE910ELNS1_3gpuE8ELNS1_3repE0EEENS1_30default_config_static_selectorELNS0_4arch9wavefront6targetE0EEEvT1_.kd
    .uniform_work_group_size: 1
    .uses_dynamic_stack: false
    .vgpr_count:     0
    .vgpr_spill_count: 0
    .wavefront_size: 32
    .workgroup_processor_mode: 1
  - .args:
      - .offset:         0
        .size:           40
        .value_kind:     by_value
    .group_segment_fixed_size: 0
    .kernarg_segment_align: 8
    .kernarg_segment_size: 40
    .language:       OpenCL C
    .language_version:
      - 2
      - 0
    .max_flat_workgroup_size: 256
    .name:           _ZN7rocprim17ROCPRIM_400000_NS6detail17trampoline_kernelINS0_14default_configENS1_20scan_config_selectorIlEEZZNS1_9scan_implILNS1_25lookback_scan_determinismE0ELb0ELb0ES3_PlS8_lN6thrust23THRUST_200600_302600_NS4plusIvEElEEDaPvRmT3_T4_T5_mT6_P12ihipStream_tbENKUlT_T0_E_clISt17integral_constantIbLb0EESQ_EEDaSL_SM_EUlSL_E0_NS1_11comp_targetILNS1_3genE3ELNS1_11target_archE908ELNS1_3gpuE7ELNS1_3repE0EEENS1_30default_config_static_selectorELNS0_4arch9wavefront6targetE0EEEvT1_
    .private_segment_fixed_size: 0
    .sgpr_count:     0
    .sgpr_spill_count: 0
    .symbol:         _ZN7rocprim17ROCPRIM_400000_NS6detail17trampoline_kernelINS0_14default_configENS1_20scan_config_selectorIlEEZZNS1_9scan_implILNS1_25lookback_scan_determinismE0ELb0ELb0ES3_PlS8_lN6thrust23THRUST_200600_302600_NS4plusIvEElEEDaPvRmT3_T4_T5_mT6_P12ihipStream_tbENKUlT_T0_E_clISt17integral_constantIbLb0EESQ_EEDaSL_SM_EUlSL_E0_NS1_11comp_targetILNS1_3genE3ELNS1_11target_archE908ELNS1_3gpuE7ELNS1_3repE0EEENS1_30default_config_static_selectorELNS0_4arch9wavefront6targetE0EEEvT1_.kd
    .uniform_work_group_size: 1
    .uses_dynamic_stack: false
    .vgpr_count:     0
    .vgpr_spill_count: 0
    .wavefront_size: 32
    .workgroup_processor_mode: 1
  - .args:
      - .offset:         0
        .size:           40
        .value_kind:     by_value
    .group_segment_fixed_size: 0
    .kernarg_segment_align: 8
    .kernarg_segment_size: 40
    .language:       OpenCL C
    .language_version:
      - 2
      - 0
    .max_flat_workgroup_size: 64
    .name:           _ZN7rocprim17ROCPRIM_400000_NS6detail17trampoline_kernelINS0_14default_configENS1_20scan_config_selectorIlEEZZNS1_9scan_implILNS1_25lookback_scan_determinismE0ELb0ELb0ES3_PlS8_lN6thrust23THRUST_200600_302600_NS4plusIvEElEEDaPvRmT3_T4_T5_mT6_P12ihipStream_tbENKUlT_T0_E_clISt17integral_constantIbLb0EESQ_EEDaSL_SM_EUlSL_E0_NS1_11comp_targetILNS1_3genE2ELNS1_11target_archE906ELNS1_3gpuE6ELNS1_3repE0EEENS1_30default_config_static_selectorELNS0_4arch9wavefront6targetE0EEEvT1_
    .private_segment_fixed_size: 0
    .sgpr_count:     0
    .sgpr_spill_count: 0
    .symbol:         _ZN7rocprim17ROCPRIM_400000_NS6detail17trampoline_kernelINS0_14default_configENS1_20scan_config_selectorIlEEZZNS1_9scan_implILNS1_25lookback_scan_determinismE0ELb0ELb0ES3_PlS8_lN6thrust23THRUST_200600_302600_NS4plusIvEElEEDaPvRmT3_T4_T5_mT6_P12ihipStream_tbENKUlT_T0_E_clISt17integral_constantIbLb0EESQ_EEDaSL_SM_EUlSL_E0_NS1_11comp_targetILNS1_3genE2ELNS1_11target_archE906ELNS1_3gpuE6ELNS1_3repE0EEENS1_30default_config_static_selectorELNS0_4arch9wavefront6targetE0EEEvT1_.kd
    .uniform_work_group_size: 1
    .uses_dynamic_stack: false
    .vgpr_count:     0
    .vgpr_spill_count: 0
    .wavefront_size: 32
    .workgroup_processor_mode: 1
  - .args:
      - .offset:         0
        .size:           40
        .value_kind:     by_value
    .group_segment_fixed_size: 0
    .kernarg_segment_align: 8
    .kernarg_segment_size: 40
    .language:       OpenCL C
    .language_version:
      - 2
      - 0
    .max_flat_workgroup_size: 256
    .name:           _ZN7rocprim17ROCPRIM_400000_NS6detail17trampoline_kernelINS0_14default_configENS1_20scan_config_selectorIlEEZZNS1_9scan_implILNS1_25lookback_scan_determinismE0ELb0ELb0ES3_PlS8_lN6thrust23THRUST_200600_302600_NS4plusIvEElEEDaPvRmT3_T4_T5_mT6_P12ihipStream_tbENKUlT_T0_E_clISt17integral_constantIbLb0EESQ_EEDaSL_SM_EUlSL_E0_NS1_11comp_targetILNS1_3genE10ELNS1_11target_archE1201ELNS1_3gpuE5ELNS1_3repE0EEENS1_30default_config_static_selectorELNS0_4arch9wavefront6targetE0EEEvT1_
    .private_segment_fixed_size: 0
    .sgpr_count:     0
    .sgpr_spill_count: 0
    .symbol:         _ZN7rocprim17ROCPRIM_400000_NS6detail17trampoline_kernelINS0_14default_configENS1_20scan_config_selectorIlEEZZNS1_9scan_implILNS1_25lookback_scan_determinismE0ELb0ELb0ES3_PlS8_lN6thrust23THRUST_200600_302600_NS4plusIvEElEEDaPvRmT3_T4_T5_mT6_P12ihipStream_tbENKUlT_T0_E_clISt17integral_constantIbLb0EESQ_EEDaSL_SM_EUlSL_E0_NS1_11comp_targetILNS1_3genE10ELNS1_11target_archE1201ELNS1_3gpuE5ELNS1_3repE0EEENS1_30default_config_static_selectorELNS0_4arch9wavefront6targetE0EEEvT1_.kd
    .uniform_work_group_size: 1
    .uses_dynamic_stack: false
    .vgpr_count:     0
    .vgpr_spill_count: 0
    .wavefront_size: 32
    .workgroup_processor_mode: 1
  - .args:
      - .offset:         0
        .size:           40
        .value_kind:     by_value
    .group_segment_fixed_size: 0
    .kernarg_segment_align: 8
    .kernarg_segment_size: 40
    .language:       OpenCL C
    .language_version:
      - 2
      - 0
    .max_flat_workgroup_size: 256
    .name:           _ZN7rocprim17ROCPRIM_400000_NS6detail17trampoline_kernelINS0_14default_configENS1_20scan_config_selectorIlEEZZNS1_9scan_implILNS1_25lookback_scan_determinismE0ELb0ELb0ES3_PlS8_lN6thrust23THRUST_200600_302600_NS4plusIvEElEEDaPvRmT3_T4_T5_mT6_P12ihipStream_tbENKUlT_T0_E_clISt17integral_constantIbLb0EESQ_EEDaSL_SM_EUlSL_E0_NS1_11comp_targetILNS1_3genE10ELNS1_11target_archE1200ELNS1_3gpuE4ELNS1_3repE0EEENS1_30default_config_static_selectorELNS0_4arch9wavefront6targetE0EEEvT1_
    .private_segment_fixed_size: 0
    .sgpr_count:     0
    .sgpr_spill_count: 0
    .symbol:         _ZN7rocprim17ROCPRIM_400000_NS6detail17trampoline_kernelINS0_14default_configENS1_20scan_config_selectorIlEEZZNS1_9scan_implILNS1_25lookback_scan_determinismE0ELb0ELb0ES3_PlS8_lN6thrust23THRUST_200600_302600_NS4plusIvEElEEDaPvRmT3_T4_T5_mT6_P12ihipStream_tbENKUlT_T0_E_clISt17integral_constantIbLb0EESQ_EEDaSL_SM_EUlSL_E0_NS1_11comp_targetILNS1_3genE10ELNS1_11target_archE1200ELNS1_3gpuE4ELNS1_3repE0EEENS1_30default_config_static_selectorELNS0_4arch9wavefront6targetE0EEEvT1_.kd
    .uniform_work_group_size: 1
    .uses_dynamic_stack: false
    .vgpr_count:     0
    .vgpr_spill_count: 0
    .wavefront_size: 32
    .workgroup_processor_mode: 1
  - .args:
      - .offset:         0
        .size:           40
        .value_kind:     by_value
    .group_segment_fixed_size: 33792
    .kernarg_segment_align: 8
    .kernarg_segment_size: 40
    .language:       OpenCL C
    .language_version:
      - 2
      - 0
    .max_flat_workgroup_size: 256
    .name:           _ZN7rocprim17ROCPRIM_400000_NS6detail17trampoline_kernelINS0_14default_configENS1_20scan_config_selectorIlEEZZNS1_9scan_implILNS1_25lookback_scan_determinismE0ELb0ELb0ES3_PlS8_lN6thrust23THRUST_200600_302600_NS4plusIvEElEEDaPvRmT3_T4_T5_mT6_P12ihipStream_tbENKUlT_T0_E_clISt17integral_constantIbLb0EESQ_EEDaSL_SM_EUlSL_E0_NS1_11comp_targetILNS1_3genE9ELNS1_11target_archE1100ELNS1_3gpuE3ELNS1_3repE0EEENS1_30default_config_static_selectorELNS0_4arch9wavefront6targetE0EEEvT1_
    .private_segment_fixed_size: 0
    .sgpr_count:     26
    .sgpr_spill_count: 0
    .symbol:         _ZN7rocprim17ROCPRIM_400000_NS6detail17trampoline_kernelINS0_14default_configENS1_20scan_config_selectorIlEEZZNS1_9scan_implILNS1_25lookback_scan_determinismE0ELb0ELb0ES3_PlS8_lN6thrust23THRUST_200600_302600_NS4plusIvEElEEDaPvRmT3_T4_T5_mT6_P12ihipStream_tbENKUlT_T0_E_clISt17integral_constantIbLb0EESQ_EEDaSL_SM_EUlSL_E0_NS1_11comp_targetILNS1_3genE9ELNS1_11target_archE1100ELNS1_3gpuE3ELNS1_3repE0EEENS1_30default_config_static_selectorELNS0_4arch9wavefront6targetE0EEEvT1_.kd
    .uniform_work_group_size: 1
    .uses_dynamic_stack: false
    .vgpr_count:     100
    .vgpr_spill_count: 0
    .wavefront_size: 32
    .workgroup_processor_mode: 1
  - .args:
      - .offset:         0
        .size:           40
        .value_kind:     by_value
    .group_segment_fixed_size: 0
    .kernarg_segment_align: 8
    .kernarg_segment_size: 40
    .language:       OpenCL C
    .language_version:
      - 2
      - 0
    .max_flat_workgroup_size: 256
    .name:           _ZN7rocprim17ROCPRIM_400000_NS6detail17trampoline_kernelINS0_14default_configENS1_20scan_config_selectorIlEEZZNS1_9scan_implILNS1_25lookback_scan_determinismE0ELb0ELb0ES3_PlS8_lN6thrust23THRUST_200600_302600_NS4plusIvEElEEDaPvRmT3_T4_T5_mT6_P12ihipStream_tbENKUlT_T0_E_clISt17integral_constantIbLb0EESQ_EEDaSL_SM_EUlSL_E0_NS1_11comp_targetILNS1_3genE8ELNS1_11target_archE1030ELNS1_3gpuE2ELNS1_3repE0EEENS1_30default_config_static_selectorELNS0_4arch9wavefront6targetE0EEEvT1_
    .private_segment_fixed_size: 0
    .sgpr_count:     0
    .sgpr_spill_count: 0
    .symbol:         _ZN7rocprim17ROCPRIM_400000_NS6detail17trampoline_kernelINS0_14default_configENS1_20scan_config_selectorIlEEZZNS1_9scan_implILNS1_25lookback_scan_determinismE0ELb0ELb0ES3_PlS8_lN6thrust23THRUST_200600_302600_NS4plusIvEElEEDaPvRmT3_T4_T5_mT6_P12ihipStream_tbENKUlT_T0_E_clISt17integral_constantIbLb0EESQ_EEDaSL_SM_EUlSL_E0_NS1_11comp_targetILNS1_3genE8ELNS1_11target_archE1030ELNS1_3gpuE2ELNS1_3repE0EEENS1_30default_config_static_selectorELNS0_4arch9wavefront6targetE0EEEvT1_.kd
    .uniform_work_group_size: 1
    .uses_dynamic_stack: false
    .vgpr_count:     0
    .vgpr_spill_count: 0
    .wavefront_size: 32
    .workgroup_processor_mode: 1
  - .args:
      - .address_space:  global
        .offset:         0
        .size:           8
        .value_kind:     global_buffer
      - .offset:         8
        .size:           4
        .value_kind:     by_value
      - .address_space:  global
        .offset:         16
        .size:           8
        .value_kind:     global_buffer
      - .offset:         24
        .size:           4
        .value_kind:     by_value
      - .address_space:  global
        .offset:         32
        .size:           8
        .value_kind:     global_buffer
      - .offset:         40
        .size:           4
        .value_kind:     hidden_block_count_x
      - .offset:         44
        .size:           4
        .value_kind:     hidden_block_count_y
      - .offset:         48
        .size:           4
        .value_kind:     hidden_block_count_z
      - .offset:         52
        .size:           2
        .value_kind:     hidden_group_size_x
      - .offset:         54
        .size:           2
        .value_kind:     hidden_group_size_y
      - .offset:         56
        .size:           2
        .value_kind:     hidden_group_size_z
      - .offset:         58
        .size:           2
        .value_kind:     hidden_remainder_x
      - .offset:         60
        .size:           2
        .value_kind:     hidden_remainder_y
      - .offset:         62
        .size:           2
        .value_kind:     hidden_remainder_z
      - .offset:         80
        .size:           8
        .value_kind:     hidden_global_offset_x
      - .offset:         88
        .size:           8
        .value_kind:     hidden_global_offset_y
      - .offset:         96
        .size:           8
        .value_kind:     hidden_global_offset_z
      - .offset:         104
        .size:           2
        .value_kind:     hidden_grid_dims
    .group_segment_fixed_size: 0
    .kernarg_segment_align: 8
    .kernarg_segment_size: 296
    .language:       OpenCL C
    .language_version:
      - 2
      - 0
    .max_flat_workgroup_size: 256
    .name:           _ZN7rocprim17ROCPRIM_400000_NS6detail31init_lookback_scan_state_kernelINS1_19lookback_scan_stateIlLb1ELb1EEENS1_16block_id_wrapperIjLb1EEEEEvT_jT0_jPNS7_10value_typeE
    .private_segment_fixed_size: 0
    .sgpr_count:     18
    .sgpr_spill_count: 0
    .symbol:         _ZN7rocprim17ROCPRIM_400000_NS6detail31init_lookback_scan_state_kernelINS1_19lookback_scan_stateIlLb1ELb1EEENS1_16block_id_wrapperIjLb1EEEEEvT_jT0_jPNS7_10value_typeE.kd
    .uniform_work_group_size: 1
    .uses_dynamic_stack: false
    .vgpr_count:     9
    .vgpr_spill_count: 0
    .wavefront_size: 32
    .workgroup_processor_mode: 1
  - .args:
      - .offset:         0
        .size:           104
        .value_kind:     by_value
    .group_segment_fixed_size: 0
    .kernarg_segment_align: 8
    .kernarg_segment_size: 104
    .language:       OpenCL C
    .language_version:
      - 2
      - 0
    .max_flat_workgroup_size: 256
    .name:           _ZN7rocprim17ROCPRIM_400000_NS6detail17trampoline_kernelINS0_14default_configENS1_20scan_config_selectorIlEEZZNS1_9scan_implILNS1_25lookback_scan_determinismE0ELb0ELb0ES3_PlS8_lN6thrust23THRUST_200600_302600_NS4plusIvEElEEDaPvRmT3_T4_T5_mT6_P12ihipStream_tbENKUlT_T0_E_clISt17integral_constantIbLb1EESQ_EEDaSL_SM_EUlSL_E_NS1_11comp_targetILNS1_3genE0ELNS1_11target_archE4294967295ELNS1_3gpuE0ELNS1_3repE0EEENS1_30default_config_static_selectorELNS0_4arch9wavefront6targetE0EEEvT1_
    .private_segment_fixed_size: 0
    .sgpr_count:     0
    .sgpr_spill_count: 0
    .symbol:         _ZN7rocprim17ROCPRIM_400000_NS6detail17trampoline_kernelINS0_14default_configENS1_20scan_config_selectorIlEEZZNS1_9scan_implILNS1_25lookback_scan_determinismE0ELb0ELb0ES3_PlS8_lN6thrust23THRUST_200600_302600_NS4plusIvEElEEDaPvRmT3_T4_T5_mT6_P12ihipStream_tbENKUlT_T0_E_clISt17integral_constantIbLb1EESQ_EEDaSL_SM_EUlSL_E_NS1_11comp_targetILNS1_3genE0ELNS1_11target_archE4294967295ELNS1_3gpuE0ELNS1_3repE0EEENS1_30default_config_static_selectorELNS0_4arch9wavefront6targetE0EEEvT1_.kd
    .uniform_work_group_size: 1
    .uses_dynamic_stack: false
    .vgpr_count:     0
    .vgpr_spill_count: 0
    .wavefront_size: 32
    .workgroup_processor_mode: 1
  - .args:
      - .offset:         0
        .size:           104
        .value_kind:     by_value
    .group_segment_fixed_size: 0
    .kernarg_segment_align: 8
    .kernarg_segment_size: 104
    .language:       OpenCL C
    .language_version:
      - 2
      - 0
    .max_flat_workgroup_size: 256
    .name:           _ZN7rocprim17ROCPRIM_400000_NS6detail17trampoline_kernelINS0_14default_configENS1_20scan_config_selectorIlEEZZNS1_9scan_implILNS1_25lookback_scan_determinismE0ELb0ELb0ES3_PlS8_lN6thrust23THRUST_200600_302600_NS4plusIvEElEEDaPvRmT3_T4_T5_mT6_P12ihipStream_tbENKUlT_T0_E_clISt17integral_constantIbLb1EESQ_EEDaSL_SM_EUlSL_E_NS1_11comp_targetILNS1_3genE5ELNS1_11target_archE942ELNS1_3gpuE9ELNS1_3repE0EEENS1_30default_config_static_selectorELNS0_4arch9wavefront6targetE0EEEvT1_
    .private_segment_fixed_size: 0
    .sgpr_count:     0
    .sgpr_spill_count: 0
    .symbol:         _ZN7rocprim17ROCPRIM_400000_NS6detail17trampoline_kernelINS0_14default_configENS1_20scan_config_selectorIlEEZZNS1_9scan_implILNS1_25lookback_scan_determinismE0ELb0ELb0ES3_PlS8_lN6thrust23THRUST_200600_302600_NS4plusIvEElEEDaPvRmT3_T4_T5_mT6_P12ihipStream_tbENKUlT_T0_E_clISt17integral_constantIbLb1EESQ_EEDaSL_SM_EUlSL_E_NS1_11comp_targetILNS1_3genE5ELNS1_11target_archE942ELNS1_3gpuE9ELNS1_3repE0EEENS1_30default_config_static_selectorELNS0_4arch9wavefront6targetE0EEEvT1_.kd
    .uniform_work_group_size: 1
    .uses_dynamic_stack: false
    .vgpr_count:     0
    .vgpr_spill_count: 0
    .wavefront_size: 32
    .workgroup_processor_mode: 1
  - .args:
      - .offset:         0
        .size:           104
        .value_kind:     by_value
    .group_segment_fixed_size: 0
    .kernarg_segment_align: 8
    .kernarg_segment_size: 104
    .language:       OpenCL C
    .language_version:
      - 2
      - 0
    .max_flat_workgroup_size: 128
    .name:           _ZN7rocprim17ROCPRIM_400000_NS6detail17trampoline_kernelINS0_14default_configENS1_20scan_config_selectorIlEEZZNS1_9scan_implILNS1_25lookback_scan_determinismE0ELb0ELb0ES3_PlS8_lN6thrust23THRUST_200600_302600_NS4plusIvEElEEDaPvRmT3_T4_T5_mT6_P12ihipStream_tbENKUlT_T0_E_clISt17integral_constantIbLb1EESQ_EEDaSL_SM_EUlSL_E_NS1_11comp_targetILNS1_3genE4ELNS1_11target_archE910ELNS1_3gpuE8ELNS1_3repE0EEENS1_30default_config_static_selectorELNS0_4arch9wavefront6targetE0EEEvT1_
    .private_segment_fixed_size: 0
    .sgpr_count:     0
    .sgpr_spill_count: 0
    .symbol:         _ZN7rocprim17ROCPRIM_400000_NS6detail17trampoline_kernelINS0_14default_configENS1_20scan_config_selectorIlEEZZNS1_9scan_implILNS1_25lookback_scan_determinismE0ELb0ELb0ES3_PlS8_lN6thrust23THRUST_200600_302600_NS4plusIvEElEEDaPvRmT3_T4_T5_mT6_P12ihipStream_tbENKUlT_T0_E_clISt17integral_constantIbLb1EESQ_EEDaSL_SM_EUlSL_E_NS1_11comp_targetILNS1_3genE4ELNS1_11target_archE910ELNS1_3gpuE8ELNS1_3repE0EEENS1_30default_config_static_selectorELNS0_4arch9wavefront6targetE0EEEvT1_.kd
    .uniform_work_group_size: 1
    .uses_dynamic_stack: false
    .vgpr_count:     0
    .vgpr_spill_count: 0
    .wavefront_size: 32
    .workgroup_processor_mode: 1
  - .args:
      - .offset:         0
        .size:           104
        .value_kind:     by_value
    .group_segment_fixed_size: 0
    .kernarg_segment_align: 8
    .kernarg_segment_size: 104
    .language:       OpenCL C
    .language_version:
      - 2
      - 0
    .max_flat_workgroup_size: 256
    .name:           _ZN7rocprim17ROCPRIM_400000_NS6detail17trampoline_kernelINS0_14default_configENS1_20scan_config_selectorIlEEZZNS1_9scan_implILNS1_25lookback_scan_determinismE0ELb0ELb0ES3_PlS8_lN6thrust23THRUST_200600_302600_NS4plusIvEElEEDaPvRmT3_T4_T5_mT6_P12ihipStream_tbENKUlT_T0_E_clISt17integral_constantIbLb1EESQ_EEDaSL_SM_EUlSL_E_NS1_11comp_targetILNS1_3genE3ELNS1_11target_archE908ELNS1_3gpuE7ELNS1_3repE0EEENS1_30default_config_static_selectorELNS0_4arch9wavefront6targetE0EEEvT1_
    .private_segment_fixed_size: 0
    .sgpr_count:     0
    .sgpr_spill_count: 0
    .symbol:         _ZN7rocprim17ROCPRIM_400000_NS6detail17trampoline_kernelINS0_14default_configENS1_20scan_config_selectorIlEEZZNS1_9scan_implILNS1_25lookback_scan_determinismE0ELb0ELb0ES3_PlS8_lN6thrust23THRUST_200600_302600_NS4plusIvEElEEDaPvRmT3_T4_T5_mT6_P12ihipStream_tbENKUlT_T0_E_clISt17integral_constantIbLb1EESQ_EEDaSL_SM_EUlSL_E_NS1_11comp_targetILNS1_3genE3ELNS1_11target_archE908ELNS1_3gpuE7ELNS1_3repE0EEENS1_30default_config_static_selectorELNS0_4arch9wavefront6targetE0EEEvT1_.kd
    .uniform_work_group_size: 1
    .uses_dynamic_stack: false
    .vgpr_count:     0
    .vgpr_spill_count: 0
    .wavefront_size: 32
    .workgroup_processor_mode: 1
  - .args:
      - .offset:         0
        .size:           104
        .value_kind:     by_value
    .group_segment_fixed_size: 0
    .kernarg_segment_align: 8
    .kernarg_segment_size: 104
    .language:       OpenCL C
    .language_version:
      - 2
      - 0
    .max_flat_workgroup_size: 64
    .name:           _ZN7rocprim17ROCPRIM_400000_NS6detail17trampoline_kernelINS0_14default_configENS1_20scan_config_selectorIlEEZZNS1_9scan_implILNS1_25lookback_scan_determinismE0ELb0ELb0ES3_PlS8_lN6thrust23THRUST_200600_302600_NS4plusIvEElEEDaPvRmT3_T4_T5_mT6_P12ihipStream_tbENKUlT_T0_E_clISt17integral_constantIbLb1EESQ_EEDaSL_SM_EUlSL_E_NS1_11comp_targetILNS1_3genE2ELNS1_11target_archE906ELNS1_3gpuE6ELNS1_3repE0EEENS1_30default_config_static_selectorELNS0_4arch9wavefront6targetE0EEEvT1_
    .private_segment_fixed_size: 0
    .sgpr_count:     0
    .sgpr_spill_count: 0
    .symbol:         _ZN7rocprim17ROCPRIM_400000_NS6detail17trampoline_kernelINS0_14default_configENS1_20scan_config_selectorIlEEZZNS1_9scan_implILNS1_25lookback_scan_determinismE0ELb0ELb0ES3_PlS8_lN6thrust23THRUST_200600_302600_NS4plusIvEElEEDaPvRmT3_T4_T5_mT6_P12ihipStream_tbENKUlT_T0_E_clISt17integral_constantIbLb1EESQ_EEDaSL_SM_EUlSL_E_NS1_11comp_targetILNS1_3genE2ELNS1_11target_archE906ELNS1_3gpuE6ELNS1_3repE0EEENS1_30default_config_static_selectorELNS0_4arch9wavefront6targetE0EEEvT1_.kd
    .uniform_work_group_size: 1
    .uses_dynamic_stack: false
    .vgpr_count:     0
    .vgpr_spill_count: 0
    .wavefront_size: 32
    .workgroup_processor_mode: 1
  - .args:
      - .offset:         0
        .size:           104
        .value_kind:     by_value
    .group_segment_fixed_size: 0
    .kernarg_segment_align: 8
    .kernarg_segment_size: 104
    .language:       OpenCL C
    .language_version:
      - 2
      - 0
    .max_flat_workgroup_size: 256
    .name:           _ZN7rocprim17ROCPRIM_400000_NS6detail17trampoline_kernelINS0_14default_configENS1_20scan_config_selectorIlEEZZNS1_9scan_implILNS1_25lookback_scan_determinismE0ELb0ELb0ES3_PlS8_lN6thrust23THRUST_200600_302600_NS4plusIvEElEEDaPvRmT3_T4_T5_mT6_P12ihipStream_tbENKUlT_T0_E_clISt17integral_constantIbLb1EESQ_EEDaSL_SM_EUlSL_E_NS1_11comp_targetILNS1_3genE10ELNS1_11target_archE1201ELNS1_3gpuE5ELNS1_3repE0EEENS1_30default_config_static_selectorELNS0_4arch9wavefront6targetE0EEEvT1_
    .private_segment_fixed_size: 0
    .sgpr_count:     0
    .sgpr_spill_count: 0
    .symbol:         _ZN7rocprim17ROCPRIM_400000_NS6detail17trampoline_kernelINS0_14default_configENS1_20scan_config_selectorIlEEZZNS1_9scan_implILNS1_25lookback_scan_determinismE0ELb0ELb0ES3_PlS8_lN6thrust23THRUST_200600_302600_NS4plusIvEElEEDaPvRmT3_T4_T5_mT6_P12ihipStream_tbENKUlT_T0_E_clISt17integral_constantIbLb1EESQ_EEDaSL_SM_EUlSL_E_NS1_11comp_targetILNS1_3genE10ELNS1_11target_archE1201ELNS1_3gpuE5ELNS1_3repE0EEENS1_30default_config_static_selectorELNS0_4arch9wavefront6targetE0EEEvT1_.kd
    .uniform_work_group_size: 1
    .uses_dynamic_stack: false
    .vgpr_count:     0
    .vgpr_spill_count: 0
    .wavefront_size: 32
    .workgroup_processor_mode: 1
  - .args:
      - .offset:         0
        .size:           104
        .value_kind:     by_value
    .group_segment_fixed_size: 0
    .kernarg_segment_align: 8
    .kernarg_segment_size: 104
    .language:       OpenCL C
    .language_version:
      - 2
      - 0
    .max_flat_workgroup_size: 256
    .name:           _ZN7rocprim17ROCPRIM_400000_NS6detail17trampoline_kernelINS0_14default_configENS1_20scan_config_selectorIlEEZZNS1_9scan_implILNS1_25lookback_scan_determinismE0ELb0ELb0ES3_PlS8_lN6thrust23THRUST_200600_302600_NS4plusIvEElEEDaPvRmT3_T4_T5_mT6_P12ihipStream_tbENKUlT_T0_E_clISt17integral_constantIbLb1EESQ_EEDaSL_SM_EUlSL_E_NS1_11comp_targetILNS1_3genE10ELNS1_11target_archE1200ELNS1_3gpuE4ELNS1_3repE0EEENS1_30default_config_static_selectorELNS0_4arch9wavefront6targetE0EEEvT1_
    .private_segment_fixed_size: 0
    .sgpr_count:     0
    .sgpr_spill_count: 0
    .symbol:         _ZN7rocprim17ROCPRIM_400000_NS6detail17trampoline_kernelINS0_14default_configENS1_20scan_config_selectorIlEEZZNS1_9scan_implILNS1_25lookback_scan_determinismE0ELb0ELb0ES3_PlS8_lN6thrust23THRUST_200600_302600_NS4plusIvEElEEDaPvRmT3_T4_T5_mT6_P12ihipStream_tbENKUlT_T0_E_clISt17integral_constantIbLb1EESQ_EEDaSL_SM_EUlSL_E_NS1_11comp_targetILNS1_3genE10ELNS1_11target_archE1200ELNS1_3gpuE4ELNS1_3repE0EEENS1_30default_config_static_selectorELNS0_4arch9wavefront6targetE0EEEvT1_.kd
    .uniform_work_group_size: 1
    .uses_dynamic_stack: false
    .vgpr_count:     0
    .vgpr_spill_count: 0
    .wavefront_size: 32
    .workgroup_processor_mode: 1
  - .args:
      - .offset:         0
        .size:           104
        .value_kind:     by_value
    .group_segment_fixed_size: 33792
    .kernarg_segment_align: 8
    .kernarg_segment_size: 104
    .language:       OpenCL C
    .language_version:
      - 2
      - 0
    .max_flat_workgroup_size: 256
    .name:           _ZN7rocprim17ROCPRIM_400000_NS6detail17trampoline_kernelINS0_14default_configENS1_20scan_config_selectorIlEEZZNS1_9scan_implILNS1_25lookback_scan_determinismE0ELb0ELb0ES3_PlS8_lN6thrust23THRUST_200600_302600_NS4plusIvEElEEDaPvRmT3_T4_T5_mT6_P12ihipStream_tbENKUlT_T0_E_clISt17integral_constantIbLb1EESQ_EEDaSL_SM_EUlSL_E_NS1_11comp_targetILNS1_3genE9ELNS1_11target_archE1100ELNS1_3gpuE3ELNS1_3repE0EEENS1_30default_config_static_selectorELNS0_4arch9wavefront6targetE0EEEvT1_
    .private_segment_fixed_size: 0
    .sgpr_count:     32
    .sgpr_spill_count: 0
    .symbol:         _ZN7rocprim17ROCPRIM_400000_NS6detail17trampoline_kernelINS0_14default_configENS1_20scan_config_selectorIlEEZZNS1_9scan_implILNS1_25lookback_scan_determinismE0ELb0ELb0ES3_PlS8_lN6thrust23THRUST_200600_302600_NS4plusIvEElEEDaPvRmT3_T4_T5_mT6_P12ihipStream_tbENKUlT_T0_E_clISt17integral_constantIbLb1EESQ_EEDaSL_SM_EUlSL_E_NS1_11comp_targetILNS1_3genE9ELNS1_11target_archE1100ELNS1_3gpuE3ELNS1_3repE0EEENS1_30default_config_static_selectorELNS0_4arch9wavefront6targetE0EEEvT1_.kd
    .uniform_work_group_size: 1
    .uses_dynamic_stack: false
    .vgpr_count:     109
    .vgpr_spill_count: 0
    .wavefront_size: 32
    .workgroup_processor_mode: 1
  - .args:
      - .offset:         0
        .size:           104
        .value_kind:     by_value
    .group_segment_fixed_size: 0
    .kernarg_segment_align: 8
    .kernarg_segment_size: 104
    .language:       OpenCL C
    .language_version:
      - 2
      - 0
    .max_flat_workgroup_size: 256
    .name:           _ZN7rocprim17ROCPRIM_400000_NS6detail17trampoline_kernelINS0_14default_configENS1_20scan_config_selectorIlEEZZNS1_9scan_implILNS1_25lookback_scan_determinismE0ELb0ELb0ES3_PlS8_lN6thrust23THRUST_200600_302600_NS4plusIvEElEEDaPvRmT3_T4_T5_mT6_P12ihipStream_tbENKUlT_T0_E_clISt17integral_constantIbLb1EESQ_EEDaSL_SM_EUlSL_E_NS1_11comp_targetILNS1_3genE8ELNS1_11target_archE1030ELNS1_3gpuE2ELNS1_3repE0EEENS1_30default_config_static_selectorELNS0_4arch9wavefront6targetE0EEEvT1_
    .private_segment_fixed_size: 0
    .sgpr_count:     0
    .sgpr_spill_count: 0
    .symbol:         _ZN7rocprim17ROCPRIM_400000_NS6detail17trampoline_kernelINS0_14default_configENS1_20scan_config_selectorIlEEZZNS1_9scan_implILNS1_25lookback_scan_determinismE0ELb0ELb0ES3_PlS8_lN6thrust23THRUST_200600_302600_NS4plusIvEElEEDaPvRmT3_T4_T5_mT6_P12ihipStream_tbENKUlT_T0_E_clISt17integral_constantIbLb1EESQ_EEDaSL_SM_EUlSL_E_NS1_11comp_targetILNS1_3genE8ELNS1_11target_archE1030ELNS1_3gpuE2ELNS1_3repE0EEENS1_30default_config_static_selectorELNS0_4arch9wavefront6targetE0EEEvT1_.kd
    .uniform_work_group_size: 1
    .uses_dynamic_stack: false
    .vgpr_count:     0
    .vgpr_spill_count: 0
    .wavefront_size: 32
    .workgroup_processor_mode: 1
  - .args:
      - .offset:         0
        .size:           40
        .value_kind:     by_value
    .group_segment_fixed_size: 0
    .kernarg_segment_align: 8
    .kernarg_segment_size: 40
    .language:       OpenCL C
    .language_version:
      - 2
      - 0
    .max_flat_workgroup_size: 256
    .name:           _ZN7rocprim17ROCPRIM_400000_NS6detail17trampoline_kernelINS0_14default_configENS1_20scan_config_selectorIlEEZZNS1_9scan_implILNS1_25lookback_scan_determinismE0ELb0ELb0ES3_PlS8_lN6thrust23THRUST_200600_302600_NS4plusIvEElEEDaPvRmT3_T4_T5_mT6_P12ihipStream_tbENKUlT_T0_E_clISt17integral_constantIbLb1EESQ_EEDaSL_SM_EUlSL_E0_NS1_11comp_targetILNS1_3genE0ELNS1_11target_archE4294967295ELNS1_3gpuE0ELNS1_3repE0EEENS1_30default_config_static_selectorELNS0_4arch9wavefront6targetE0EEEvT1_
    .private_segment_fixed_size: 0
    .sgpr_count:     0
    .sgpr_spill_count: 0
    .symbol:         _ZN7rocprim17ROCPRIM_400000_NS6detail17trampoline_kernelINS0_14default_configENS1_20scan_config_selectorIlEEZZNS1_9scan_implILNS1_25lookback_scan_determinismE0ELb0ELb0ES3_PlS8_lN6thrust23THRUST_200600_302600_NS4plusIvEElEEDaPvRmT3_T4_T5_mT6_P12ihipStream_tbENKUlT_T0_E_clISt17integral_constantIbLb1EESQ_EEDaSL_SM_EUlSL_E0_NS1_11comp_targetILNS1_3genE0ELNS1_11target_archE4294967295ELNS1_3gpuE0ELNS1_3repE0EEENS1_30default_config_static_selectorELNS0_4arch9wavefront6targetE0EEEvT1_.kd
    .uniform_work_group_size: 1
    .uses_dynamic_stack: false
    .vgpr_count:     0
    .vgpr_spill_count: 0
    .wavefront_size: 32
    .workgroup_processor_mode: 1
  - .args:
      - .offset:         0
        .size:           40
        .value_kind:     by_value
    .group_segment_fixed_size: 0
    .kernarg_segment_align: 8
    .kernarg_segment_size: 40
    .language:       OpenCL C
    .language_version:
      - 2
      - 0
    .max_flat_workgroup_size: 256
    .name:           _ZN7rocprim17ROCPRIM_400000_NS6detail17trampoline_kernelINS0_14default_configENS1_20scan_config_selectorIlEEZZNS1_9scan_implILNS1_25lookback_scan_determinismE0ELb0ELb0ES3_PlS8_lN6thrust23THRUST_200600_302600_NS4plusIvEElEEDaPvRmT3_T4_T5_mT6_P12ihipStream_tbENKUlT_T0_E_clISt17integral_constantIbLb1EESQ_EEDaSL_SM_EUlSL_E0_NS1_11comp_targetILNS1_3genE5ELNS1_11target_archE942ELNS1_3gpuE9ELNS1_3repE0EEENS1_30default_config_static_selectorELNS0_4arch9wavefront6targetE0EEEvT1_
    .private_segment_fixed_size: 0
    .sgpr_count:     0
    .sgpr_spill_count: 0
    .symbol:         _ZN7rocprim17ROCPRIM_400000_NS6detail17trampoline_kernelINS0_14default_configENS1_20scan_config_selectorIlEEZZNS1_9scan_implILNS1_25lookback_scan_determinismE0ELb0ELb0ES3_PlS8_lN6thrust23THRUST_200600_302600_NS4plusIvEElEEDaPvRmT3_T4_T5_mT6_P12ihipStream_tbENKUlT_T0_E_clISt17integral_constantIbLb1EESQ_EEDaSL_SM_EUlSL_E0_NS1_11comp_targetILNS1_3genE5ELNS1_11target_archE942ELNS1_3gpuE9ELNS1_3repE0EEENS1_30default_config_static_selectorELNS0_4arch9wavefront6targetE0EEEvT1_.kd
    .uniform_work_group_size: 1
    .uses_dynamic_stack: false
    .vgpr_count:     0
    .vgpr_spill_count: 0
    .wavefront_size: 32
    .workgroup_processor_mode: 1
  - .args:
      - .offset:         0
        .size:           40
        .value_kind:     by_value
    .group_segment_fixed_size: 0
    .kernarg_segment_align: 8
    .kernarg_segment_size: 40
    .language:       OpenCL C
    .language_version:
      - 2
      - 0
    .max_flat_workgroup_size: 128
    .name:           _ZN7rocprim17ROCPRIM_400000_NS6detail17trampoline_kernelINS0_14default_configENS1_20scan_config_selectorIlEEZZNS1_9scan_implILNS1_25lookback_scan_determinismE0ELb0ELb0ES3_PlS8_lN6thrust23THRUST_200600_302600_NS4plusIvEElEEDaPvRmT3_T4_T5_mT6_P12ihipStream_tbENKUlT_T0_E_clISt17integral_constantIbLb1EESQ_EEDaSL_SM_EUlSL_E0_NS1_11comp_targetILNS1_3genE4ELNS1_11target_archE910ELNS1_3gpuE8ELNS1_3repE0EEENS1_30default_config_static_selectorELNS0_4arch9wavefront6targetE0EEEvT1_
    .private_segment_fixed_size: 0
    .sgpr_count:     0
    .sgpr_spill_count: 0
    .symbol:         _ZN7rocprim17ROCPRIM_400000_NS6detail17trampoline_kernelINS0_14default_configENS1_20scan_config_selectorIlEEZZNS1_9scan_implILNS1_25lookback_scan_determinismE0ELb0ELb0ES3_PlS8_lN6thrust23THRUST_200600_302600_NS4plusIvEElEEDaPvRmT3_T4_T5_mT6_P12ihipStream_tbENKUlT_T0_E_clISt17integral_constantIbLb1EESQ_EEDaSL_SM_EUlSL_E0_NS1_11comp_targetILNS1_3genE4ELNS1_11target_archE910ELNS1_3gpuE8ELNS1_3repE0EEENS1_30default_config_static_selectorELNS0_4arch9wavefront6targetE0EEEvT1_.kd
    .uniform_work_group_size: 1
    .uses_dynamic_stack: false
    .vgpr_count:     0
    .vgpr_spill_count: 0
    .wavefront_size: 32
    .workgroup_processor_mode: 1
  - .args:
      - .offset:         0
        .size:           40
        .value_kind:     by_value
    .group_segment_fixed_size: 0
    .kernarg_segment_align: 8
    .kernarg_segment_size: 40
    .language:       OpenCL C
    .language_version:
      - 2
      - 0
    .max_flat_workgroup_size: 256
    .name:           _ZN7rocprim17ROCPRIM_400000_NS6detail17trampoline_kernelINS0_14default_configENS1_20scan_config_selectorIlEEZZNS1_9scan_implILNS1_25lookback_scan_determinismE0ELb0ELb0ES3_PlS8_lN6thrust23THRUST_200600_302600_NS4plusIvEElEEDaPvRmT3_T4_T5_mT6_P12ihipStream_tbENKUlT_T0_E_clISt17integral_constantIbLb1EESQ_EEDaSL_SM_EUlSL_E0_NS1_11comp_targetILNS1_3genE3ELNS1_11target_archE908ELNS1_3gpuE7ELNS1_3repE0EEENS1_30default_config_static_selectorELNS0_4arch9wavefront6targetE0EEEvT1_
    .private_segment_fixed_size: 0
    .sgpr_count:     0
    .sgpr_spill_count: 0
    .symbol:         _ZN7rocprim17ROCPRIM_400000_NS6detail17trampoline_kernelINS0_14default_configENS1_20scan_config_selectorIlEEZZNS1_9scan_implILNS1_25lookback_scan_determinismE0ELb0ELb0ES3_PlS8_lN6thrust23THRUST_200600_302600_NS4plusIvEElEEDaPvRmT3_T4_T5_mT6_P12ihipStream_tbENKUlT_T0_E_clISt17integral_constantIbLb1EESQ_EEDaSL_SM_EUlSL_E0_NS1_11comp_targetILNS1_3genE3ELNS1_11target_archE908ELNS1_3gpuE7ELNS1_3repE0EEENS1_30default_config_static_selectorELNS0_4arch9wavefront6targetE0EEEvT1_.kd
    .uniform_work_group_size: 1
    .uses_dynamic_stack: false
    .vgpr_count:     0
    .vgpr_spill_count: 0
    .wavefront_size: 32
    .workgroup_processor_mode: 1
  - .args:
      - .offset:         0
        .size:           40
        .value_kind:     by_value
    .group_segment_fixed_size: 0
    .kernarg_segment_align: 8
    .kernarg_segment_size: 40
    .language:       OpenCL C
    .language_version:
      - 2
      - 0
    .max_flat_workgroup_size: 64
    .name:           _ZN7rocprim17ROCPRIM_400000_NS6detail17trampoline_kernelINS0_14default_configENS1_20scan_config_selectorIlEEZZNS1_9scan_implILNS1_25lookback_scan_determinismE0ELb0ELb0ES3_PlS8_lN6thrust23THRUST_200600_302600_NS4plusIvEElEEDaPvRmT3_T4_T5_mT6_P12ihipStream_tbENKUlT_T0_E_clISt17integral_constantIbLb1EESQ_EEDaSL_SM_EUlSL_E0_NS1_11comp_targetILNS1_3genE2ELNS1_11target_archE906ELNS1_3gpuE6ELNS1_3repE0EEENS1_30default_config_static_selectorELNS0_4arch9wavefront6targetE0EEEvT1_
    .private_segment_fixed_size: 0
    .sgpr_count:     0
    .sgpr_spill_count: 0
    .symbol:         _ZN7rocprim17ROCPRIM_400000_NS6detail17trampoline_kernelINS0_14default_configENS1_20scan_config_selectorIlEEZZNS1_9scan_implILNS1_25lookback_scan_determinismE0ELb0ELb0ES3_PlS8_lN6thrust23THRUST_200600_302600_NS4plusIvEElEEDaPvRmT3_T4_T5_mT6_P12ihipStream_tbENKUlT_T0_E_clISt17integral_constantIbLb1EESQ_EEDaSL_SM_EUlSL_E0_NS1_11comp_targetILNS1_3genE2ELNS1_11target_archE906ELNS1_3gpuE6ELNS1_3repE0EEENS1_30default_config_static_selectorELNS0_4arch9wavefront6targetE0EEEvT1_.kd
    .uniform_work_group_size: 1
    .uses_dynamic_stack: false
    .vgpr_count:     0
    .vgpr_spill_count: 0
    .wavefront_size: 32
    .workgroup_processor_mode: 1
  - .args:
      - .offset:         0
        .size:           40
        .value_kind:     by_value
    .group_segment_fixed_size: 0
    .kernarg_segment_align: 8
    .kernarg_segment_size: 40
    .language:       OpenCL C
    .language_version:
      - 2
      - 0
    .max_flat_workgroup_size: 256
    .name:           _ZN7rocprim17ROCPRIM_400000_NS6detail17trampoline_kernelINS0_14default_configENS1_20scan_config_selectorIlEEZZNS1_9scan_implILNS1_25lookback_scan_determinismE0ELb0ELb0ES3_PlS8_lN6thrust23THRUST_200600_302600_NS4plusIvEElEEDaPvRmT3_T4_T5_mT6_P12ihipStream_tbENKUlT_T0_E_clISt17integral_constantIbLb1EESQ_EEDaSL_SM_EUlSL_E0_NS1_11comp_targetILNS1_3genE10ELNS1_11target_archE1201ELNS1_3gpuE5ELNS1_3repE0EEENS1_30default_config_static_selectorELNS0_4arch9wavefront6targetE0EEEvT1_
    .private_segment_fixed_size: 0
    .sgpr_count:     0
    .sgpr_spill_count: 0
    .symbol:         _ZN7rocprim17ROCPRIM_400000_NS6detail17trampoline_kernelINS0_14default_configENS1_20scan_config_selectorIlEEZZNS1_9scan_implILNS1_25lookback_scan_determinismE0ELb0ELb0ES3_PlS8_lN6thrust23THRUST_200600_302600_NS4plusIvEElEEDaPvRmT3_T4_T5_mT6_P12ihipStream_tbENKUlT_T0_E_clISt17integral_constantIbLb1EESQ_EEDaSL_SM_EUlSL_E0_NS1_11comp_targetILNS1_3genE10ELNS1_11target_archE1201ELNS1_3gpuE5ELNS1_3repE0EEENS1_30default_config_static_selectorELNS0_4arch9wavefront6targetE0EEEvT1_.kd
    .uniform_work_group_size: 1
    .uses_dynamic_stack: false
    .vgpr_count:     0
    .vgpr_spill_count: 0
    .wavefront_size: 32
    .workgroup_processor_mode: 1
  - .args:
      - .offset:         0
        .size:           40
        .value_kind:     by_value
    .group_segment_fixed_size: 0
    .kernarg_segment_align: 8
    .kernarg_segment_size: 40
    .language:       OpenCL C
    .language_version:
      - 2
      - 0
    .max_flat_workgroup_size: 256
    .name:           _ZN7rocprim17ROCPRIM_400000_NS6detail17trampoline_kernelINS0_14default_configENS1_20scan_config_selectorIlEEZZNS1_9scan_implILNS1_25lookback_scan_determinismE0ELb0ELb0ES3_PlS8_lN6thrust23THRUST_200600_302600_NS4plusIvEElEEDaPvRmT3_T4_T5_mT6_P12ihipStream_tbENKUlT_T0_E_clISt17integral_constantIbLb1EESQ_EEDaSL_SM_EUlSL_E0_NS1_11comp_targetILNS1_3genE10ELNS1_11target_archE1200ELNS1_3gpuE4ELNS1_3repE0EEENS1_30default_config_static_selectorELNS0_4arch9wavefront6targetE0EEEvT1_
    .private_segment_fixed_size: 0
    .sgpr_count:     0
    .sgpr_spill_count: 0
    .symbol:         _ZN7rocprim17ROCPRIM_400000_NS6detail17trampoline_kernelINS0_14default_configENS1_20scan_config_selectorIlEEZZNS1_9scan_implILNS1_25lookback_scan_determinismE0ELb0ELb0ES3_PlS8_lN6thrust23THRUST_200600_302600_NS4plusIvEElEEDaPvRmT3_T4_T5_mT6_P12ihipStream_tbENKUlT_T0_E_clISt17integral_constantIbLb1EESQ_EEDaSL_SM_EUlSL_E0_NS1_11comp_targetILNS1_3genE10ELNS1_11target_archE1200ELNS1_3gpuE4ELNS1_3repE0EEENS1_30default_config_static_selectorELNS0_4arch9wavefront6targetE0EEEvT1_.kd
    .uniform_work_group_size: 1
    .uses_dynamic_stack: false
    .vgpr_count:     0
    .vgpr_spill_count: 0
    .wavefront_size: 32
    .workgroup_processor_mode: 1
  - .args:
      - .offset:         0
        .size:           40
        .value_kind:     by_value
    .group_segment_fixed_size: 33792
    .kernarg_segment_align: 8
    .kernarg_segment_size: 40
    .language:       OpenCL C
    .language_version:
      - 2
      - 0
    .max_flat_workgroup_size: 256
    .name:           _ZN7rocprim17ROCPRIM_400000_NS6detail17trampoline_kernelINS0_14default_configENS1_20scan_config_selectorIlEEZZNS1_9scan_implILNS1_25lookback_scan_determinismE0ELb0ELb0ES3_PlS8_lN6thrust23THRUST_200600_302600_NS4plusIvEElEEDaPvRmT3_T4_T5_mT6_P12ihipStream_tbENKUlT_T0_E_clISt17integral_constantIbLb1EESQ_EEDaSL_SM_EUlSL_E0_NS1_11comp_targetILNS1_3genE9ELNS1_11target_archE1100ELNS1_3gpuE3ELNS1_3repE0EEENS1_30default_config_static_selectorELNS0_4arch9wavefront6targetE0EEEvT1_
    .private_segment_fixed_size: 0
    .sgpr_count:     26
    .sgpr_spill_count: 0
    .symbol:         _ZN7rocprim17ROCPRIM_400000_NS6detail17trampoline_kernelINS0_14default_configENS1_20scan_config_selectorIlEEZZNS1_9scan_implILNS1_25lookback_scan_determinismE0ELb0ELb0ES3_PlS8_lN6thrust23THRUST_200600_302600_NS4plusIvEElEEDaPvRmT3_T4_T5_mT6_P12ihipStream_tbENKUlT_T0_E_clISt17integral_constantIbLb1EESQ_EEDaSL_SM_EUlSL_E0_NS1_11comp_targetILNS1_3genE9ELNS1_11target_archE1100ELNS1_3gpuE3ELNS1_3repE0EEENS1_30default_config_static_selectorELNS0_4arch9wavefront6targetE0EEEvT1_.kd
    .uniform_work_group_size: 1
    .uses_dynamic_stack: false
    .vgpr_count:     100
    .vgpr_spill_count: 0
    .wavefront_size: 32
    .workgroup_processor_mode: 1
  - .args:
      - .offset:         0
        .size:           40
        .value_kind:     by_value
    .group_segment_fixed_size: 0
    .kernarg_segment_align: 8
    .kernarg_segment_size: 40
    .language:       OpenCL C
    .language_version:
      - 2
      - 0
    .max_flat_workgroup_size: 256
    .name:           _ZN7rocprim17ROCPRIM_400000_NS6detail17trampoline_kernelINS0_14default_configENS1_20scan_config_selectorIlEEZZNS1_9scan_implILNS1_25lookback_scan_determinismE0ELb0ELb0ES3_PlS8_lN6thrust23THRUST_200600_302600_NS4plusIvEElEEDaPvRmT3_T4_T5_mT6_P12ihipStream_tbENKUlT_T0_E_clISt17integral_constantIbLb1EESQ_EEDaSL_SM_EUlSL_E0_NS1_11comp_targetILNS1_3genE8ELNS1_11target_archE1030ELNS1_3gpuE2ELNS1_3repE0EEENS1_30default_config_static_selectorELNS0_4arch9wavefront6targetE0EEEvT1_
    .private_segment_fixed_size: 0
    .sgpr_count:     0
    .sgpr_spill_count: 0
    .symbol:         _ZN7rocprim17ROCPRIM_400000_NS6detail17trampoline_kernelINS0_14default_configENS1_20scan_config_selectorIlEEZZNS1_9scan_implILNS1_25lookback_scan_determinismE0ELb0ELb0ES3_PlS8_lN6thrust23THRUST_200600_302600_NS4plusIvEElEEDaPvRmT3_T4_T5_mT6_P12ihipStream_tbENKUlT_T0_E_clISt17integral_constantIbLb1EESQ_EEDaSL_SM_EUlSL_E0_NS1_11comp_targetILNS1_3genE8ELNS1_11target_archE1030ELNS1_3gpuE2ELNS1_3repE0EEENS1_30default_config_static_selectorELNS0_4arch9wavefront6targetE0EEEvT1_.kd
    .uniform_work_group_size: 1
    .uses_dynamic_stack: false
    .vgpr_count:     0
    .vgpr_spill_count: 0
    .wavefront_size: 32
    .workgroup_processor_mode: 1
  - .args:
      - .address_space:  global
        .offset:         0
        .size:           8
        .value_kind:     global_buffer
      - .offset:         8
        .size:           4
        .value_kind:     by_value
      - .offset:         12
        .size:           1
        .value_kind:     by_value
      - .offset:         16
        .size:           4
        .value_kind:     by_value
      - .address_space:  global
        .offset:         24
        .size:           8
        .value_kind:     global_buffer
      - .offset:         32
        .size:           4
        .value_kind:     hidden_block_count_x
      - .offset:         36
        .size:           4
        .value_kind:     hidden_block_count_y
      - .offset:         40
        .size:           4
        .value_kind:     hidden_block_count_z
      - .offset:         44
        .size:           2
        .value_kind:     hidden_group_size_x
      - .offset:         46
        .size:           2
        .value_kind:     hidden_group_size_y
      - .offset:         48
        .size:           2
        .value_kind:     hidden_group_size_z
      - .offset:         50
        .size:           2
        .value_kind:     hidden_remainder_x
      - .offset:         52
        .size:           2
        .value_kind:     hidden_remainder_y
      - .offset:         54
        .size:           2
        .value_kind:     hidden_remainder_z
      - .offset:         72
        .size:           8
        .value_kind:     hidden_global_offset_x
      - .offset:         80
        .size:           8
        .value_kind:     hidden_global_offset_y
      - .offset:         88
        .size:           8
        .value_kind:     hidden_global_offset_z
      - .offset:         96
        .size:           2
        .value_kind:     hidden_grid_dims
    .group_segment_fixed_size: 0
    .kernarg_segment_align: 8
    .kernarg_segment_size: 288
    .language:       OpenCL C
    .language_version:
      - 2
      - 0
    .max_flat_workgroup_size: 256
    .name:           _ZN7rocprim17ROCPRIM_400000_NS6detail31init_lookback_scan_state_kernelINS1_19lookback_scan_stateIlLb1ELb1EEENS1_16block_id_wrapperIjLb0EEEEEvT_jT0_jPNS7_10value_typeE
    .private_segment_fixed_size: 0
    .sgpr_count:     18
    .sgpr_spill_count: 0
    .symbol:         _ZN7rocprim17ROCPRIM_400000_NS6detail31init_lookback_scan_state_kernelINS1_19lookback_scan_stateIlLb1ELb1EEENS1_16block_id_wrapperIjLb0EEEEEvT_jT0_jPNS7_10value_typeE.kd
    .uniform_work_group_size: 1
    .uses_dynamic_stack: false
    .vgpr_count:     9
    .vgpr_spill_count: 0
    .wavefront_size: 32
    .workgroup_processor_mode: 1
  - .args:
      - .offset:         0
        .size:           104
        .value_kind:     by_value
    .group_segment_fixed_size: 0
    .kernarg_segment_align: 8
    .kernarg_segment_size: 104
    .language:       OpenCL C
    .language_version:
      - 2
      - 0
    .max_flat_workgroup_size: 256
    .name:           _ZN7rocprim17ROCPRIM_400000_NS6detail17trampoline_kernelINS0_14default_configENS1_20scan_config_selectorIlEEZZNS1_9scan_implILNS1_25lookback_scan_determinismE0ELb0ELb0ES3_PlS8_lN6thrust23THRUST_200600_302600_NS4plusIvEElEEDaPvRmT3_T4_T5_mT6_P12ihipStream_tbENKUlT_T0_E_clISt17integral_constantIbLb1EESP_IbLb0EEEEDaSL_SM_EUlSL_E_NS1_11comp_targetILNS1_3genE0ELNS1_11target_archE4294967295ELNS1_3gpuE0ELNS1_3repE0EEENS1_30default_config_static_selectorELNS0_4arch9wavefront6targetE0EEEvT1_
    .private_segment_fixed_size: 0
    .sgpr_count:     0
    .sgpr_spill_count: 0
    .symbol:         _ZN7rocprim17ROCPRIM_400000_NS6detail17trampoline_kernelINS0_14default_configENS1_20scan_config_selectorIlEEZZNS1_9scan_implILNS1_25lookback_scan_determinismE0ELb0ELb0ES3_PlS8_lN6thrust23THRUST_200600_302600_NS4plusIvEElEEDaPvRmT3_T4_T5_mT6_P12ihipStream_tbENKUlT_T0_E_clISt17integral_constantIbLb1EESP_IbLb0EEEEDaSL_SM_EUlSL_E_NS1_11comp_targetILNS1_3genE0ELNS1_11target_archE4294967295ELNS1_3gpuE0ELNS1_3repE0EEENS1_30default_config_static_selectorELNS0_4arch9wavefront6targetE0EEEvT1_.kd
    .uniform_work_group_size: 1
    .uses_dynamic_stack: false
    .vgpr_count:     0
    .vgpr_spill_count: 0
    .wavefront_size: 32
    .workgroup_processor_mode: 1
  - .args:
      - .offset:         0
        .size:           104
        .value_kind:     by_value
    .group_segment_fixed_size: 0
    .kernarg_segment_align: 8
    .kernarg_segment_size: 104
    .language:       OpenCL C
    .language_version:
      - 2
      - 0
    .max_flat_workgroup_size: 256
    .name:           _ZN7rocprim17ROCPRIM_400000_NS6detail17trampoline_kernelINS0_14default_configENS1_20scan_config_selectorIlEEZZNS1_9scan_implILNS1_25lookback_scan_determinismE0ELb0ELb0ES3_PlS8_lN6thrust23THRUST_200600_302600_NS4plusIvEElEEDaPvRmT3_T4_T5_mT6_P12ihipStream_tbENKUlT_T0_E_clISt17integral_constantIbLb1EESP_IbLb0EEEEDaSL_SM_EUlSL_E_NS1_11comp_targetILNS1_3genE5ELNS1_11target_archE942ELNS1_3gpuE9ELNS1_3repE0EEENS1_30default_config_static_selectorELNS0_4arch9wavefront6targetE0EEEvT1_
    .private_segment_fixed_size: 0
    .sgpr_count:     0
    .sgpr_spill_count: 0
    .symbol:         _ZN7rocprim17ROCPRIM_400000_NS6detail17trampoline_kernelINS0_14default_configENS1_20scan_config_selectorIlEEZZNS1_9scan_implILNS1_25lookback_scan_determinismE0ELb0ELb0ES3_PlS8_lN6thrust23THRUST_200600_302600_NS4plusIvEElEEDaPvRmT3_T4_T5_mT6_P12ihipStream_tbENKUlT_T0_E_clISt17integral_constantIbLb1EESP_IbLb0EEEEDaSL_SM_EUlSL_E_NS1_11comp_targetILNS1_3genE5ELNS1_11target_archE942ELNS1_3gpuE9ELNS1_3repE0EEENS1_30default_config_static_selectorELNS0_4arch9wavefront6targetE0EEEvT1_.kd
    .uniform_work_group_size: 1
    .uses_dynamic_stack: false
    .vgpr_count:     0
    .vgpr_spill_count: 0
    .wavefront_size: 32
    .workgroup_processor_mode: 1
  - .args:
      - .offset:         0
        .size:           104
        .value_kind:     by_value
    .group_segment_fixed_size: 0
    .kernarg_segment_align: 8
    .kernarg_segment_size: 104
    .language:       OpenCL C
    .language_version:
      - 2
      - 0
    .max_flat_workgroup_size: 128
    .name:           _ZN7rocprim17ROCPRIM_400000_NS6detail17trampoline_kernelINS0_14default_configENS1_20scan_config_selectorIlEEZZNS1_9scan_implILNS1_25lookback_scan_determinismE0ELb0ELb0ES3_PlS8_lN6thrust23THRUST_200600_302600_NS4plusIvEElEEDaPvRmT3_T4_T5_mT6_P12ihipStream_tbENKUlT_T0_E_clISt17integral_constantIbLb1EESP_IbLb0EEEEDaSL_SM_EUlSL_E_NS1_11comp_targetILNS1_3genE4ELNS1_11target_archE910ELNS1_3gpuE8ELNS1_3repE0EEENS1_30default_config_static_selectorELNS0_4arch9wavefront6targetE0EEEvT1_
    .private_segment_fixed_size: 0
    .sgpr_count:     0
    .sgpr_spill_count: 0
    .symbol:         _ZN7rocprim17ROCPRIM_400000_NS6detail17trampoline_kernelINS0_14default_configENS1_20scan_config_selectorIlEEZZNS1_9scan_implILNS1_25lookback_scan_determinismE0ELb0ELb0ES3_PlS8_lN6thrust23THRUST_200600_302600_NS4plusIvEElEEDaPvRmT3_T4_T5_mT6_P12ihipStream_tbENKUlT_T0_E_clISt17integral_constantIbLb1EESP_IbLb0EEEEDaSL_SM_EUlSL_E_NS1_11comp_targetILNS1_3genE4ELNS1_11target_archE910ELNS1_3gpuE8ELNS1_3repE0EEENS1_30default_config_static_selectorELNS0_4arch9wavefront6targetE0EEEvT1_.kd
    .uniform_work_group_size: 1
    .uses_dynamic_stack: false
    .vgpr_count:     0
    .vgpr_spill_count: 0
    .wavefront_size: 32
    .workgroup_processor_mode: 1
  - .args:
      - .offset:         0
        .size:           104
        .value_kind:     by_value
    .group_segment_fixed_size: 0
    .kernarg_segment_align: 8
    .kernarg_segment_size: 104
    .language:       OpenCL C
    .language_version:
      - 2
      - 0
    .max_flat_workgroup_size: 256
    .name:           _ZN7rocprim17ROCPRIM_400000_NS6detail17trampoline_kernelINS0_14default_configENS1_20scan_config_selectorIlEEZZNS1_9scan_implILNS1_25lookback_scan_determinismE0ELb0ELb0ES3_PlS8_lN6thrust23THRUST_200600_302600_NS4plusIvEElEEDaPvRmT3_T4_T5_mT6_P12ihipStream_tbENKUlT_T0_E_clISt17integral_constantIbLb1EESP_IbLb0EEEEDaSL_SM_EUlSL_E_NS1_11comp_targetILNS1_3genE3ELNS1_11target_archE908ELNS1_3gpuE7ELNS1_3repE0EEENS1_30default_config_static_selectorELNS0_4arch9wavefront6targetE0EEEvT1_
    .private_segment_fixed_size: 0
    .sgpr_count:     0
    .sgpr_spill_count: 0
    .symbol:         _ZN7rocprim17ROCPRIM_400000_NS6detail17trampoline_kernelINS0_14default_configENS1_20scan_config_selectorIlEEZZNS1_9scan_implILNS1_25lookback_scan_determinismE0ELb0ELb0ES3_PlS8_lN6thrust23THRUST_200600_302600_NS4plusIvEElEEDaPvRmT3_T4_T5_mT6_P12ihipStream_tbENKUlT_T0_E_clISt17integral_constantIbLb1EESP_IbLb0EEEEDaSL_SM_EUlSL_E_NS1_11comp_targetILNS1_3genE3ELNS1_11target_archE908ELNS1_3gpuE7ELNS1_3repE0EEENS1_30default_config_static_selectorELNS0_4arch9wavefront6targetE0EEEvT1_.kd
    .uniform_work_group_size: 1
    .uses_dynamic_stack: false
    .vgpr_count:     0
    .vgpr_spill_count: 0
    .wavefront_size: 32
    .workgroup_processor_mode: 1
  - .args:
      - .offset:         0
        .size:           104
        .value_kind:     by_value
    .group_segment_fixed_size: 0
    .kernarg_segment_align: 8
    .kernarg_segment_size: 104
    .language:       OpenCL C
    .language_version:
      - 2
      - 0
    .max_flat_workgroup_size: 64
    .name:           _ZN7rocprim17ROCPRIM_400000_NS6detail17trampoline_kernelINS0_14default_configENS1_20scan_config_selectorIlEEZZNS1_9scan_implILNS1_25lookback_scan_determinismE0ELb0ELb0ES3_PlS8_lN6thrust23THRUST_200600_302600_NS4plusIvEElEEDaPvRmT3_T4_T5_mT6_P12ihipStream_tbENKUlT_T0_E_clISt17integral_constantIbLb1EESP_IbLb0EEEEDaSL_SM_EUlSL_E_NS1_11comp_targetILNS1_3genE2ELNS1_11target_archE906ELNS1_3gpuE6ELNS1_3repE0EEENS1_30default_config_static_selectorELNS0_4arch9wavefront6targetE0EEEvT1_
    .private_segment_fixed_size: 0
    .sgpr_count:     0
    .sgpr_spill_count: 0
    .symbol:         _ZN7rocprim17ROCPRIM_400000_NS6detail17trampoline_kernelINS0_14default_configENS1_20scan_config_selectorIlEEZZNS1_9scan_implILNS1_25lookback_scan_determinismE0ELb0ELb0ES3_PlS8_lN6thrust23THRUST_200600_302600_NS4plusIvEElEEDaPvRmT3_T4_T5_mT6_P12ihipStream_tbENKUlT_T0_E_clISt17integral_constantIbLb1EESP_IbLb0EEEEDaSL_SM_EUlSL_E_NS1_11comp_targetILNS1_3genE2ELNS1_11target_archE906ELNS1_3gpuE6ELNS1_3repE0EEENS1_30default_config_static_selectorELNS0_4arch9wavefront6targetE0EEEvT1_.kd
    .uniform_work_group_size: 1
    .uses_dynamic_stack: false
    .vgpr_count:     0
    .vgpr_spill_count: 0
    .wavefront_size: 32
    .workgroup_processor_mode: 1
  - .args:
      - .offset:         0
        .size:           104
        .value_kind:     by_value
    .group_segment_fixed_size: 0
    .kernarg_segment_align: 8
    .kernarg_segment_size: 104
    .language:       OpenCL C
    .language_version:
      - 2
      - 0
    .max_flat_workgroup_size: 256
    .name:           _ZN7rocprim17ROCPRIM_400000_NS6detail17trampoline_kernelINS0_14default_configENS1_20scan_config_selectorIlEEZZNS1_9scan_implILNS1_25lookback_scan_determinismE0ELb0ELb0ES3_PlS8_lN6thrust23THRUST_200600_302600_NS4plusIvEElEEDaPvRmT3_T4_T5_mT6_P12ihipStream_tbENKUlT_T0_E_clISt17integral_constantIbLb1EESP_IbLb0EEEEDaSL_SM_EUlSL_E_NS1_11comp_targetILNS1_3genE10ELNS1_11target_archE1201ELNS1_3gpuE5ELNS1_3repE0EEENS1_30default_config_static_selectorELNS0_4arch9wavefront6targetE0EEEvT1_
    .private_segment_fixed_size: 0
    .sgpr_count:     0
    .sgpr_spill_count: 0
    .symbol:         _ZN7rocprim17ROCPRIM_400000_NS6detail17trampoline_kernelINS0_14default_configENS1_20scan_config_selectorIlEEZZNS1_9scan_implILNS1_25lookback_scan_determinismE0ELb0ELb0ES3_PlS8_lN6thrust23THRUST_200600_302600_NS4plusIvEElEEDaPvRmT3_T4_T5_mT6_P12ihipStream_tbENKUlT_T0_E_clISt17integral_constantIbLb1EESP_IbLb0EEEEDaSL_SM_EUlSL_E_NS1_11comp_targetILNS1_3genE10ELNS1_11target_archE1201ELNS1_3gpuE5ELNS1_3repE0EEENS1_30default_config_static_selectorELNS0_4arch9wavefront6targetE0EEEvT1_.kd
    .uniform_work_group_size: 1
    .uses_dynamic_stack: false
    .vgpr_count:     0
    .vgpr_spill_count: 0
    .wavefront_size: 32
    .workgroup_processor_mode: 1
  - .args:
      - .offset:         0
        .size:           104
        .value_kind:     by_value
    .group_segment_fixed_size: 0
    .kernarg_segment_align: 8
    .kernarg_segment_size: 104
    .language:       OpenCL C
    .language_version:
      - 2
      - 0
    .max_flat_workgroup_size: 256
    .name:           _ZN7rocprim17ROCPRIM_400000_NS6detail17trampoline_kernelINS0_14default_configENS1_20scan_config_selectorIlEEZZNS1_9scan_implILNS1_25lookback_scan_determinismE0ELb0ELb0ES3_PlS8_lN6thrust23THRUST_200600_302600_NS4plusIvEElEEDaPvRmT3_T4_T5_mT6_P12ihipStream_tbENKUlT_T0_E_clISt17integral_constantIbLb1EESP_IbLb0EEEEDaSL_SM_EUlSL_E_NS1_11comp_targetILNS1_3genE10ELNS1_11target_archE1200ELNS1_3gpuE4ELNS1_3repE0EEENS1_30default_config_static_selectorELNS0_4arch9wavefront6targetE0EEEvT1_
    .private_segment_fixed_size: 0
    .sgpr_count:     0
    .sgpr_spill_count: 0
    .symbol:         _ZN7rocprim17ROCPRIM_400000_NS6detail17trampoline_kernelINS0_14default_configENS1_20scan_config_selectorIlEEZZNS1_9scan_implILNS1_25lookback_scan_determinismE0ELb0ELb0ES3_PlS8_lN6thrust23THRUST_200600_302600_NS4plusIvEElEEDaPvRmT3_T4_T5_mT6_P12ihipStream_tbENKUlT_T0_E_clISt17integral_constantIbLb1EESP_IbLb0EEEEDaSL_SM_EUlSL_E_NS1_11comp_targetILNS1_3genE10ELNS1_11target_archE1200ELNS1_3gpuE4ELNS1_3repE0EEENS1_30default_config_static_selectorELNS0_4arch9wavefront6targetE0EEEvT1_.kd
    .uniform_work_group_size: 1
    .uses_dynamic_stack: false
    .vgpr_count:     0
    .vgpr_spill_count: 0
    .wavefront_size: 32
    .workgroup_processor_mode: 1
  - .args:
      - .offset:         0
        .size:           104
        .value_kind:     by_value
    .group_segment_fixed_size: 33792
    .kernarg_segment_align: 8
    .kernarg_segment_size: 104
    .language:       OpenCL C
    .language_version:
      - 2
      - 0
    .max_flat_workgroup_size: 256
    .name:           _ZN7rocprim17ROCPRIM_400000_NS6detail17trampoline_kernelINS0_14default_configENS1_20scan_config_selectorIlEEZZNS1_9scan_implILNS1_25lookback_scan_determinismE0ELb0ELb0ES3_PlS8_lN6thrust23THRUST_200600_302600_NS4plusIvEElEEDaPvRmT3_T4_T5_mT6_P12ihipStream_tbENKUlT_T0_E_clISt17integral_constantIbLb1EESP_IbLb0EEEEDaSL_SM_EUlSL_E_NS1_11comp_targetILNS1_3genE9ELNS1_11target_archE1100ELNS1_3gpuE3ELNS1_3repE0EEENS1_30default_config_static_selectorELNS0_4arch9wavefront6targetE0EEEvT1_
    .private_segment_fixed_size: 0
    .sgpr_count:     70
    .sgpr_spill_count: 0
    .symbol:         _ZN7rocprim17ROCPRIM_400000_NS6detail17trampoline_kernelINS0_14default_configENS1_20scan_config_selectorIlEEZZNS1_9scan_implILNS1_25lookback_scan_determinismE0ELb0ELb0ES3_PlS8_lN6thrust23THRUST_200600_302600_NS4plusIvEElEEDaPvRmT3_T4_T5_mT6_P12ihipStream_tbENKUlT_T0_E_clISt17integral_constantIbLb1EESP_IbLb0EEEEDaSL_SM_EUlSL_E_NS1_11comp_targetILNS1_3genE9ELNS1_11target_archE1100ELNS1_3gpuE3ELNS1_3repE0EEENS1_30default_config_static_selectorELNS0_4arch9wavefront6targetE0EEEvT1_.kd
    .uniform_work_group_size: 1
    .uses_dynamic_stack: false
    .vgpr_count:     109
    .vgpr_spill_count: 0
    .wavefront_size: 32
    .workgroup_processor_mode: 1
  - .args:
      - .offset:         0
        .size:           104
        .value_kind:     by_value
    .group_segment_fixed_size: 0
    .kernarg_segment_align: 8
    .kernarg_segment_size: 104
    .language:       OpenCL C
    .language_version:
      - 2
      - 0
    .max_flat_workgroup_size: 256
    .name:           _ZN7rocprim17ROCPRIM_400000_NS6detail17trampoline_kernelINS0_14default_configENS1_20scan_config_selectorIlEEZZNS1_9scan_implILNS1_25lookback_scan_determinismE0ELb0ELb0ES3_PlS8_lN6thrust23THRUST_200600_302600_NS4plusIvEElEEDaPvRmT3_T4_T5_mT6_P12ihipStream_tbENKUlT_T0_E_clISt17integral_constantIbLb1EESP_IbLb0EEEEDaSL_SM_EUlSL_E_NS1_11comp_targetILNS1_3genE8ELNS1_11target_archE1030ELNS1_3gpuE2ELNS1_3repE0EEENS1_30default_config_static_selectorELNS0_4arch9wavefront6targetE0EEEvT1_
    .private_segment_fixed_size: 0
    .sgpr_count:     0
    .sgpr_spill_count: 0
    .symbol:         _ZN7rocprim17ROCPRIM_400000_NS6detail17trampoline_kernelINS0_14default_configENS1_20scan_config_selectorIlEEZZNS1_9scan_implILNS1_25lookback_scan_determinismE0ELb0ELb0ES3_PlS8_lN6thrust23THRUST_200600_302600_NS4plusIvEElEEDaPvRmT3_T4_T5_mT6_P12ihipStream_tbENKUlT_T0_E_clISt17integral_constantIbLb1EESP_IbLb0EEEEDaSL_SM_EUlSL_E_NS1_11comp_targetILNS1_3genE8ELNS1_11target_archE1030ELNS1_3gpuE2ELNS1_3repE0EEENS1_30default_config_static_selectorELNS0_4arch9wavefront6targetE0EEEvT1_.kd
    .uniform_work_group_size: 1
    .uses_dynamic_stack: false
    .vgpr_count:     0
    .vgpr_spill_count: 0
    .wavefront_size: 32
    .workgroup_processor_mode: 1
  - .args:
      - .offset:         0
        .size:           40
        .value_kind:     by_value
    .group_segment_fixed_size: 0
    .kernarg_segment_align: 8
    .kernarg_segment_size: 40
    .language:       OpenCL C
    .language_version:
      - 2
      - 0
    .max_flat_workgroup_size: 256
    .name:           _ZN7rocprim17ROCPRIM_400000_NS6detail17trampoline_kernelINS0_14default_configENS1_20scan_config_selectorIlEEZZNS1_9scan_implILNS1_25lookback_scan_determinismE0ELb0ELb0ES3_PlS8_lN6thrust23THRUST_200600_302600_NS4plusIvEElEEDaPvRmT3_T4_T5_mT6_P12ihipStream_tbENKUlT_T0_E_clISt17integral_constantIbLb1EESP_IbLb0EEEEDaSL_SM_EUlSL_E0_NS1_11comp_targetILNS1_3genE0ELNS1_11target_archE4294967295ELNS1_3gpuE0ELNS1_3repE0EEENS1_30default_config_static_selectorELNS0_4arch9wavefront6targetE0EEEvT1_
    .private_segment_fixed_size: 0
    .sgpr_count:     0
    .sgpr_spill_count: 0
    .symbol:         _ZN7rocprim17ROCPRIM_400000_NS6detail17trampoline_kernelINS0_14default_configENS1_20scan_config_selectorIlEEZZNS1_9scan_implILNS1_25lookback_scan_determinismE0ELb0ELb0ES3_PlS8_lN6thrust23THRUST_200600_302600_NS4plusIvEElEEDaPvRmT3_T4_T5_mT6_P12ihipStream_tbENKUlT_T0_E_clISt17integral_constantIbLb1EESP_IbLb0EEEEDaSL_SM_EUlSL_E0_NS1_11comp_targetILNS1_3genE0ELNS1_11target_archE4294967295ELNS1_3gpuE0ELNS1_3repE0EEENS1_30default_config_static_selectorELNS0_4arch9wavefront6targetE0EEEvT1_.kd
    .uniform_work_group_size: 1
    .uses_dynamic_stack: false
    .vgpr_count:     0
    .vgpr_spill_count: 0
    .wavefront_size: 32
    .workgroup_processor_mode: 1
  - .args:
      - .offset:         0
        .size:           40
        .value_kind:     by_value
    .group_segment_fixed_size: 0
    .kernarg_segment_align: 8
    .kernarg_segment_size: 40
    .language:       OpenCL C
    .language_version:
      - 2
      - 0
    .max_flat_workgroup_size: 256
    .name:           _ZN7rocprim17ROCPRIM_400000_NS6detail17trampoline_kernelINS0_14default_configENS1_20scan_config_selectorIlEEZZNS1_9scan_implILNS1_25lookback_scan_determinismE0ELb0ELb0ES3_PlS8_lN6thrust23THRUST_200600_302600_NS4plusIvEElEEDaPvRmT3_T4_T5_mT6_P12ihipStream_tbENKUlT_T0_E_clISt17integral_constantIbLb1EESP_IbLb0EEEEDaSL_SM_EUlSL_E0_NS1_11comp_targetILNS1_3genE5ELNS1_11target_archE942ELNS1_3gpuE9ELNS1_3repE0EEENS1_30default_config_static_selectorELNS0_4arch9wavefront6targetE0EEEvT1_
    .private_segment_fixed_size: 0
    .sgpr_count:     0
    .sgpr_spill_count: 0
    .symbol:         _ZN7rocprim17ROCPRIM_400000_NS6detail17trampoline_kernelINS0_14default_configENS1_20scan_config_selectorIlEEZZNS1_9scan_implILNS1_25lookback_scan_determinismE0ELb0ELb0ES3_PlS8_lN6thrust23THRUST_200600_302600_NS4plusIvEElEEDaPvRmT3_T4_T5_mT6_P12ihipStream_tbENKUlT_T0_E_clISt17integral_constantIbLb1EESP_IbLb0EEEEDaSL_SM_EUlSL_E0_NS1_11comp_targetILNS1_3genE5ELNS1_11target_archE942ELNS1_3gpuE9ELNS1_3repE0EEENS1_30default_config_static_selectorELNS0_4arch9wavefront6targetE0EEEvT1_.kd
    .uniform_work_group_size: 1
    .uses_dynamic_stack: false
    .vgpr_count:     0
    .vgpr_spill_count: 0
    .wavefront_size: 32
    .workgroup_processor_mode: 1
  - .args:
      - .offset:         0
        .size:           40
        .value_kind:     by_value
    .group_segment_fixed_size: 0
    .kernarg_segment_align: 8
    .kernarg_segment_size: 40
    .language:       OpenCL C
    .language_version:
      - 2
      - 0
    .max_flat_workgroup_size: 128
    .name:           _ZN7rocprim17ROCPRIM_400000_NS6detail17trampoline_kernelINS0_14default_configENS1_20scan_config_selectorIlEEZZNS1_9scan_implILNS1_25lookback_scan_determinismE0ELb0ELb0ES3_PlS8_lN6thrust23THRUST_200600_302600_NS4plusIvEElEEDaPvRmT3_T4_T5_mT6_P12ihipStream_tbENKUlT_T0_E_clISt17integral_constantIbLb1EESP_IbLb0EEEEDaSL_SM_EUlSL_E0_NS1_11comp_targetILNS1_3genE4ELNS1_11target_archE910ELNS1_3gpuE8ELNS1_3repE0EEENS1_30default_config_static_selectorELNS0_4arch9wavefront6targetE0EEEvT1_
    .private_segment_fixed_size: 0
    .sgpr_count:     0
    .sgpr_spill_count: 0
    .symbol:         _ZN7rocprim17ROCPRIM_400000_NS6detail17trampoline_kernelINS0_14default_configENS1_20scan_config_selectorIlEEZZNS1_9scan_implILNS1_25lookback_scan_determinismE0ELb0ELb0ES3_PlS8_lN6thrust23THRUST_200600_302600_NS4plusIvEElEEDaPvRmT3_T4_T5_mT6_P12ihipStream_tbENKUlT_T0_E_clISt17integral_constantIbLb1EESP_IbLb0EEEEDaSL_SM_EUlSL_E0_NS1_11comp_targetILNS1_3genE4ELNS1_11target_archE910ELNS1_3gpuE8ELNS1_3repE0EEENS1_30default_config_static_selectorELNS0_4arch9wavefront6targetE0EEEvT1_.kd
    .uniform_work_group_size: 1
    .uses_dynamic_stack: false
    .vgpr_count:     0
    .vgpr_spill_count: 0
    .wavefront_size: 32
    .workgroup_processor_mode: 1
  - .args:
      - .offset:         0
        .size:           40
        .value_kind:     by_value
    .group_segment_fixed_size: 0
    .kernarg_segment_align: 8
    .kernarg_segment_size: 40
    .language:       OpenCL C
    .language_version:
      - 2
      - 0
    .max_flat_workgroup_size: 256
    .name:           _ZN7rocprim17ROCPRIM_400000_NS6detail17trampoline_kernelINS0_14default_configENS1_20scan_config_selectorIlEEZZNS1_9scan_implILNS1_25lookback_scan_determinismE0ELb0ELb0ES3_PlS8_lN6thrust23THRUST_200600_302600_NS4plusIvEElEEDaPvRmT3_T4_T5_mT6_P12ihipStream_tbENKUlT_T0_E_clISt17integral_constantIbLb1EESP_IbLb0EEEEDaSL_SM_EUlSL_E0_NS1_11comp_targetILNS1_3genE3ELNS1_11target_archE908ELNS1_3gpuE7ELNS1_3repE0EEENS1_30default_config_static_selectorELNS0_4arch9wavefront6targetE0EEEvT1_
    .private_segment_fixed_size: 0
    .sgpr_count:     0
    .sgpr_spill_count: 0
    .symbol:         _ZN7rocprim17ROCPRIM_400000_NS6detail17trampoline_kernelINS0_14default_configENS1_20scan_config_selectorIlEEZZNS1_9scan_implILNS1_25lookback_scan_determinismE0ELb0ELb0ES3_PlS8_lN6thrust23THRUST_200600_302600_NS4plusIvEElEEDaPvRmT3_T4_T5_mT6_P12ihipStream_tbENKUlT_T0_E_clISt17integral_constantIbLb1EESP_IbLb0EEEEDaSL_SM_EUlSL_E0_NS1_11comp_targetILNS1_3genE3ELNS1_11target_archE908ELNS1_3gpuE7ELNS1_3repE0EEENS1_30default_config_static_selectorELNS0_4arch9wavefront6targetE0EEEvT1_.kd
    .uniform_work_group_size: 1
    .uses_dynamic_stack: false
    .vgpr_count:     0
    .vgpr_spill_count: 0
    .wavefront_size: 32
    .workgroup_processor_mode: 1
  - .args:
      - .offset:         0
        .size:           40
        .value_kind:     by_value
    .group_segment_fixed_size: 0
    .kernarg_segment_align: 8
    .kernarg_segment_size: 40
    .language:       OpenCL C
    .language_version:
      - 2
      - 0
    .max_flat_workgroup_size: 64
    .name:           _ZN7rocprim17ROCPRIM_400000_NS6detail17trampoline_kernelINS0_14default_configENS1_20scan_config_selectorIlEEZZNS1_9scan_implILNS1_25lookback_scan_determinismE0ELb0ELb0ES3_PlS8_lN6thrust23THRUST_200600_302600_NS4plusIvEElEEDaPvRmT3_T4_T5_mT6_P12ihipStream_tbENKUlT_T0_E_clISt17integral_constantIbLb1EESP_IbLb0EEEEDaSL_SM_EUlSL_E0_NS1_11comp_targetILNS1_3genE2ELNS1_11target_archE906ELNS1_3gpuE6ELNS1_3repE0EEENS1_30default_config_static_selectorELNS0_4arch9wavefront6targetE0EEEvT1_
    .private_segment_fixed_size: 0
    .sgpr_count:     0
    .sgpr_spill_count: 0
    .symbol:         _ZN7rocprim17ROCPRIM_400000_NS6detail17trampoline_kernelINS0_14default_configENS1_20scan_config_selectorIlEEZZNS1_9scan_implILNS1_25lookback_scan_determinismE0ELb0ELb0ES3_PlS8_lN6thrust23THRUST_200600_302600_NS4plusIvEElEEDaPvRmT3_T4_T5_mT6_P12ihipStream_tbENKUlT_T0_E_clISt17integral_constantIbLb1EESP_IbLb0EEEEDaSL_SM_EUlSL_E0_NS1_11comp_targetILNS1_3genE2ELNS1_11target_archE906ELNS1_3gpuE6ELNS1_3repE0EEENS1_30default_config_static_selectorELNS0_4arch9wavefront6targetE0EEEvT1_.kd
    .uniform_work_group_size: 1
    .uses_dynamic_stack: false
    .vgpr_count:     0
    .vgpr_spill_count: 0
    .wavefront_size: 32
    .workgroup_processor_mode: 1
  - .args:
      - .offset:         0
        .size:           40
        .value_kind:     by_value
    .group_segment_fixed_size: 0
    .kernarg_segment_align: 8
    .kernarg_segment_size: 40
    .language:       OpenCL C
    .language_version:
      - 2
      - 0
    .max_flat_workgroup_size: 256
    .name:           _ZN7rocprim17ROCPRIM_400000_NS6detail17trampoline_kernelINS0_14default_configENS1_20scan_config_selectorIlEEZZNS1_9scan_implILNS1_25lookback_scan_determinismE0ELb0ELb0ES3_PlS8_lN6thrust23THRUST_200600_302600_NS4plusIvEElEEDaPvRmT3_T4_T5_mT6_P12ihipStream_tbENKUlT_T0_E_clISt17integral_constantIbLb1EESP_IbLb0EEEEDaSL_SM_EUlSL_E0_NS1_11comp_targetILNS1_3genE10ELNS1_11target_archE1201ELNS1_3gpuE5ELNS1_3repE0EEENS1_30default_config_static_selectorELNS0_4arch9wavefront6targetE0EEEvT1_
    .private_segment_fixed_size: 0
    .sgpr_count:     0
    .sgpr_spill_count: 0
    .symbol:         _ZN7rocprim17ROCPRIM_400000_NS6detail17trampoline_kernelINS0_14default_configENS1_20scan_config_selectorIlEEZZNS1_9scan_implILNS1_25lookback_scan_determinismE0ELb0ELb0ES3_PlS8_lN6thrust23THRUST_200600_302600_NS4plusIvEElEEDaPvRmT3_T4_T5_mT6_P12ihipStream_tbENKUlT_T0_E_clISt17integral_constantIbLb1EESP_IbLb0EEEEDaSL_SM_EUlSL_E0_NS1_11comp_targetILNS1_3genE10ELNS1_11target_archE1201ELNS1_3gpuE5ELNS1_3repE0EEENS1_30default_config_static_selectorELNS0_4arch9wavefront6targetE0EEEvT1_.kd
    .uniform_work_group_size: 1
    .uses_dynamic_stack: false
    .vgpr_count:     0
    .vgpr_spill_count: 0
    .wavefront_size: 32
    .workgroup_processor_mode: 1
  - .args:
      - .offset:         0
        .size:           40
        .value_kind:     by_value
    .group_segment_fixed_size: 0
    .kernarg_segment_align: 8
    .kernarg_segment_size: 40
    .language:       OpenCL C
    .language_version:
      - 2
      - 0
    .max_flat_workgroup_size: 256
    .name:           _ZN7rocprim17ROCPRIM_400000_NS6detail17trampoline_kernelINS0_14default_configENS1_20scan_config_selectorIlEEZZNS1_9scan_implILNS1_25lookback_scan_determinismE0ELb0ELb0ES3_PlS8_lN6thrust23THRUST_200600_302600_NS4plusIvEElEEDaPvRmT3_T4_T5_mT6_P12ihipStream_tbENKUlT_T0_E_clISt17integral_constantIbLb1EESP_IbLb0EEEEDaSL_SM_EUlSL_E0_NS1_11comp_targetILNS1_3genE10ELNS1_11target_archE1200ELNS1_3gpuE4ELNS1_3repE0EEENS1_30default_config_static_selectorELNS0_4arch9wavefront6targetE0EEEvT1_
    .private_segment_fixed_size: 0
    .sgpr_count:     0
    .sgpr_spill_count: 0
    .symbol:         _ZN7rocprim17ROCPRIM_400000_NS6detail17trampoline_kernelINS0_14default_configENS1_20scan_config_selectorIlEEZZNS1_9scan_implILNS1_25lookback_scan_determinismE0ELb0ELb0ES3_PlS8_lN6thrust23THRUST_200600_302600_NS4plusIvEElEEDaPvRmT3_T4_T5_mT6_P12ihipStream_tbENKUlT_T0_E_clISt17integral_constantIbLb1EESP_IbLb0EEEEDaSL_SM_EUlSL_E0_NS1_11comp_targetILNS1_3genE10ELNS1_11target_archE1200ELNS1_3gpuE4ELNS1_3repE0EEENS1_30default_config_static_selectorELNS0_4arch9wavefront6targetE0EEEvT1_.kd
    .uniform_work_group_size: 1
    .uses_dynamic_stack: false
    .vgpr_count:     0
    .vgpr_spill_count: 0
    .wavefront_size: 32
    .workgroup_processor_mode: 1
  - .args:
      - .offset:         0
        .size:           40
        .value_kind:     by_value
    .group_segment_fixed_size: 33792
    .kernarg_segment_align: 8
    .kernarg_segment_size: 40
    .language:       OpenCL C
    .language_version:
      - 2
      - 0
    .max_flat_workgroup_size: 256
    .name:           _ZN7rocprim17ROCPRIM_400000_NS6detail17trampoline_kernelINS0_14default_configENS1_20scan_config_selectorIlEEZZNS1_9scan_implILNS1_25lookback_scan_determinismE0ELb0ELb0ES3_PlS8_lN6thrust23THRUST_200600_302600_NS4plusIvEElEEDaPvRmT3_T4_T5_mT6_P12ihipStream_tbENKUlT_T0_E_clISt17integral_constantIbLb1EESP_IbLb0EEEEDaSL_SM_EUlSL_E0_NS1_11comp_targetILNS1_3genE9ELNS1_11target_archE1100ELNS1_3gpuE3ELNS1_3repE0EEENS1_30default_config_static_selectorELNS0_4arch9wavefront6targetE0EEEvT1_
    .private_segment_fixed_size: 0
    .sgpr_count:     26
    .sgpr_spill_count: 0
    .symbol:         _ZN7rocprim17ROCPRIM_400000_NS6detail17trampoline_kernelINS0_14default_configENS1_20scan_config_selectorIlEEZZNS1_9scan_implILNS1_25lookback_scan_determinismE0ELb0ELb0ES3_PlS8_lN6thrust23THRUST_200600_302600_NS4plusIvEElEEDaPvRmT3_T4_T5_mT6_P12ihipStream_tbENKUlT_T0_E_clISt17integral_constantIbLb1EESP_IbLb0EEEEDaSL_SM_EUlSL_E0_NS1_11comp_targetILNS1_3genE9ELNS1_11target_archE1100ELNS1_3gpuE3ELNS1_3repE0EEENS1_30default_config_static_selectorELNS0_4arch9wavefront6targetE0EEEvT1_.kd
    .uniform_work_group_size: 1
    .uses_dynamic_stack: false
    .vgpr_count:     100
    .vgpr_spill_count: 0
    .wavefront_size: 32
    .workgroup_processor_mode: 1
  - .args:
      - .offset:         0
        .size:           40
        .value_kind:     by_value
    .group_segment_fixed_size: 0
    .kernarg_segment_align: 8
    .kernarg_segment_size: 40
    .language:       OpenCL C
    .language_version:
      - 2
      - 0
    .max_flat_workgroup_size: 256
    .name:           _ZN7rocprim17ROCPRIM_400000_NS6detail17trampoline_kernelINS0_14default_configENS1_20scan_config_selectorIlEEZZNS1_9scan_implILNS1_25lookback_scan_determinismE0ELb0ELb0ES3_PlS8_lN6thrust23THRUST_200600_302600_NS4plusIvEElEEDaPvRmT3_T4_T5_mT6_P12ihipStream_tbENKUlT_T0_E_clISt17integral_constantIbLb1EESP_IbLb0EEEEDaSL_SM_EUlSL_E0_NS1_11comp_targetILNS1_3genE8ELNS1_11target_archE1030ELNS1_3gpuE2ELNS1_3repE0EEENS1_30default_config_static_selectorELNS0_4arch9wavefront6targetE0EEEvT1_
    .private_segment_fixed_size: 0
    .sgpr_count:     0
    .sgpr_spill_count: 0
    .symbol:         _ZN7rocprim17ROCPRIM_400000_NS6detail17trampoline_kernelINS0_14default_configENS1_20scan_config_selectorIlEEZZNS1_9scan_implILNS1_25lookback_scan_determinismE0ELb0ELb0ES3_PlS8_lN6thrust23THRUST_200600_302600_NS4plusIvEElEEDaPvRmT3_T4_T5_mT6_P12ihipStream_tbENKUlT_T0_E_clISt17integral_constantIbLb1EESP_IbLb0EEEEDaSL_SM_EUlSL_E0_NS1_11comp_targetILNS1_3genE8ELNS1_11target_archE1030ELNS1_3gpuE2ELNS1_3repE0EEENS1_30default_config_static_selectorELNS0_4arch9wavefront6targetE0EEEvT1_.kd
    .uniform_work_group_size: 1
    .uses_dynamic_stack: false
    .vgpr_count:     0
    .vgpr_spill_count: 0
    .wavefront_size: 32
    .workgroup_processor_mode: 1
  - .args:
      - .address_space:  global
        .offset:         0
        .size:           8
        .value_kind:     global_buffer
      - .offset:         8
        .size:           4
        .value_kind:     by_value
      - .address_space:  global
        .offset:         16
        .size:           8
        .value_kind:     global_buffer
      - .offset:         24
        .size:           4
        .value_kind:     by_value
      - .address_space:  global
        .offset:         32
        .size:           8
        .value_kind:     global_buffer
      - .offset:         40
        .size:           4
        .value_kind:     hidden_block_count_x
      - .offset:         44
        .size:           4
        .value_kind:     hidden_block_count_y
      - .offset:         48
        .size:           4
        .value_kind:     hidden_block_count_z
      - .offset:         52
        .size:           2
        .value_kind:     hidden_group_size_x
      - .offset:         54
        .size:           2
        .value_kind:     hidden_group_size_y
      - .offset:         56
        .size:           2
        .value_kind:     hidden_group_size_z
      - .offset:         58
        .size:           2
        .value_kind:     hidden_remainder_x
      - .offset:         60
        .size:           2
        .value_kind:     hidden_remainder_y
      - .offset:         62
        .size:           2
        .value_kind:     hidden_remainder_z
      - .offset:         80
        .size:           8
        .value_kind:     hidden_global_offset_x
      - .offset:         88
        .size:           8
        .value_kind:     hidden_global_offset_y
      - .offset:         96
        .size:           8
        .value_kind:     hidden_global_offset_z
      - .offset:         104
        .size:           2
        .value_kind:     hidden_grid_dims
    .group_segment_fixed_size: 0
    .kernarg_segment_align: 8
    .kernarg_segment_size: 296
    .language:       OpenCL C
    .language_version:
      - 2
      - 0
    .max_flat_workgroup_size: 256
    .name:           _ZN7rocprim17ROCPRIM_400000_NS6detail31init_lookback_scan_state_kernelINS1_19lookback_scan_stateIlLb0ELb1EEENS1_16block_id_wrapperIjLb1EEEEEvT_jT0_jPNS7_10value_typeE
    .private_segment_fixed_size: 0
    .sgpr_count:     18
    .sgpr_spill_count: 0
    .symbol:         _ZN7rocprim17ROCPRIM_400000_NS6detail31init_lookback_scan_state_kernelINS1_19lookback_scan_stateIlLb0ELb1EEENS1_16block_id_wrapperIjLb1EEEEEvT_jT0_jPNS7_10value_typeE.kd
    .uniform_work_group_size: 1
    .uses_dynamic_stack: false
    .vgpr_count:     9
    .vgpr_spill_count: 0
    .wavefront_size: 32
    .workgroup_processor_mode: 1
  - .args:
      - .offset:         0
        .size:           104
        .value_kind:     by_value
    .group_segment_fixed_size: 0
    .kernarg_segment_align: 8
    .kernarg_segment_size: 104
    .language:       OpenCL C
    .language_version:
      - 2
      - 0
    .max_flat_workgroup_size: 256
    .name:           _ZN7rocprim17ROCPRIM_400000_NS6detail17trampoline_kernelINS0_14default_configENS1_20scan_config_selectorIlEEZZNS1_9scan_implILNS1_25lookback_scan_determinismE0ELb0ELb0ES3_PlS8_lN6thrust23THRUST_200600_302600_NS4plusIvEElEEDaPvRmT3_T4_T5_mT6_P12ihipStream_tbENKUlT_T0_E_clISt17integral_constantIbLb0EESP_IbLb1EEEEDaSL_SM_EUlSL_E_NS1_11comp_targetILNS1_3genE0ELNS1_11target_archE4294967295ELNS1_3gpuE0ELNS1_3repE0EEENS1_30default_config_static_selectorELNS0_4arch9wavefront6targetE0EEEvT1_
    .private_segment_fixed_size: 0
    .sgpr_count:     0
    .sgpr_spill_count: 0
    .symbol:         _ZN7rocprim17ROCPRIM_400000_NS6detail17trampoline_kernelINS0_14default_configENS1_20scan_config_selectorIlEEZZNS1_9scan_implILNS1_25lookback_scan_determinismE0ELb0ELb0ES3_PlS8_lN6thrust23THRUST_200600_302600_NS4plusIvEElEEDaPvRmT3_T4_T5_mT6_P12ihipStream_tbENKUlT_T0_E_clISt17integral_constantIbLb0EESP_IbLb1EEEEDaSL_SM_EUlSL_E_NS1_11comp_targetILNS1_3genE0ELNS1_11target_archE4294967295ELNS1_3gpuE0ELNS1_3repE0EEENS1_30default_config_static_selectorELNS0_4arch9wavefront6targetE0EEEvT1_.kd
    .uniform_work_group_size: 1
    .uses_dynamic_stack: false
    .vgpr_count:     0
    .vgpr_spill_count: 0
    .wavefront_size: 32
    .workgroup_processor_mode: 1
  - .args:
      - .offset:         0
        .size:           104
        .value_kind:     by_value
    .group_segment_fixed_size: 0
    .kernarg_segment_align: 8
    .kernarg_segment_size: 104
    .language:       OpenCL C
    .language_version:
      - 2
      - 0
    .max_flat_workgroup_size: 256
    .name:           _ZN7rocprim17ROCPRIM_400000_NS6detail17trampoline_kernelINS0_14default_configENS1_20scan_config_selectorIlEEZZNS1_9scan_implILNS1_25lookback_scan_determinismE0ELb0ELb0ES3_PlS8_lN6thrust23THRUST_200600_302600_NS4plusIvEElEEDaPvRmT3_T4_T5_mT6_P12ihipStream_tbENKUlT_T0_E_clISt17integral_constantIbLb0EESP_IbLb1EEEEDaSL_SM_EUlSL_E_NS1_11comp_targetILNS1_3genE5ELNS1_11target_archE942ELNS1_3gpuE9ELNS1_3repE0EEENS1_30default_config_static_selectorELNS0_4arch9wavefront6targetE0EEEvT1_
    .private_segment_fixed_size: 0
    .sgpr_count:     0
    .sgpr_spill_count: 0
    .symbol:         _ZN7rocprim17ROCPRIM_400000_NS6detail17trampoline_kernelINS0_14default_configENS1_20scan_config_selectorIlEEZZNS1_9scan_implILNS1_25lookback_scan_determinismE0ELb0ELb0ES3_PlS8_lN6thrust23THRUST_200600_302600_NS4plusIvEElEEDaPvRmT3_T4_T5_mT6_P12ihipStream_tbENKUlT_T0_E_clISt17integral_constantIbLb0EESP_IbLb1EEEEDaSL_SM_EUlSL_E_NS1_11comp_targetILNS1_3genE5ELNS1_11target_archE942ELNS1_3gpuE9ELNS1_3repE0EEENS1_30default_config_static_selectorELNS0_4arch9wavefront6targetE0EEEvT1_.kd
    .uniform_work_group_size: 1
    .uses_dynamic_stack: false
    .vgpr_count:     0
    .vgpr_spill_count: 0
    .wavefront_size: 32
    .workgroup_processor_mode: 1
  - .args:
      - .offset:         0
        .size:           104
        .value_kind:     by_value
    .group_segment_fixed_size: 0
    .kernarg_segment_align: 8
    .kernarg_segment_size: 104
    .language:       OpenCL C
    .language_version:
      - 2
      - 0
    .max_flat_workgroup_size: 128
    .name:           _ZN7rocprim17ROCPRIM_400000_NS6detail17trampoline_kernelINS0_14default_configENS1_20scan_config_selectorIlEEZZNS1_9scan_implILNS1_25lookback_scan_determinismE0ELb0ELb0ES3_PlS8_lN6thrust23THRUST_200600_302600_NS4plusIvEElEEDaPvRmT3_T4_T5_mT6_P12ihipStream_tbENKUlT_T0_E_clISt17integral_constantIbLb0EESP_IbLb1EEEEDaSL_SM_EUlSL_E_NS1_11comp_targetILNS1_3genE4ELNS1_11target_archE910ELNS1_3gpuE8ELNS1_3repE0EEENS1_30default_config_static_selectorELNS0_4arch9wavefront6targetE0EEEvT1_
    .private_segment_fixed_size: 0
    .sgpr_count:     0
    .sgpr_spill_count: 0
    .symbol:         _ZN7rocprim17ROCPRIM_400000_NS6detail17trampoline_kernelINS0_14default_configENS1_20scan_config_selectorIlEEZZNS1_9scan_implILNS1_25lookback_scan_determinismE0ELb0ELb0ES3_PlS8_lN6thrust23THRUST_200600_302600_NS4plusIvEElEEDaPvRmT3_T4_T5_mT6_P12ihipStream_tbENKUlT_T0_E_clISt17integral_constantIbLb0EESP_IbLb1EEEEDaSL_SM_EUlSL_E_NS1_11comp_targetILNS1_3genE4ELNS1_11target_archE910ELNS1_3gpuE8ELNS1_3repE0EEENS1_30default_config_static_selectorELNS0_4arch9wavefront6targetE0EEEvT1_.kd
    .uniform_work_group_size: 1
    .uses_dynamic_stack: false
    .vgpr_count:     0
    .vgpr_spill_count: 0
    .wavefront_size: 32
    .workgroup_processor_mode: 1
  - .args:
      - .offset:         0
        .size:           104
        .value_kind:     by_value
    .group_segment_fixed_size: 0
    .kernarg_segment_align: 8
    .kernarg_segment_size: 104
    .language:       OpenCL C
    .language_version:
      - 2
      - 0
    .max_flat_workgroup_size: 256
    .name:           _ZN7rocprim17ROCPRIM_400000_NS6detail17trampoline_kernelINS0_14default_configENS1_20scan_config_selectorIlEEZZNS1_9scan_implILNS1_25lookback_scan_determinismE0ELb0ELb0ES3_PlS8_lN6thrust23THRUST_200600_302600_NS4plusIvEElEEDaPvRmT3_T4_T5_mT6_P12ihipStream_tbENKUlT_T0_E_clISt17integral_constantIbLb0EESP_IbLb1EEEEDaSL_SM_EUlSL_E_NS1_11comp_targetILNS1_3genE3ELNS1_11target_archE908ELNS1_3gpuE7ELNS1_3repE0EEENS1_30default_config_static_selectorELNS0_4arch9wavefront6targetE0EEEvT1_
    .private_segment_fixed_size: 0
    .sgpr_count:     0
    .sgpr_spill_count: 0
    .symbol:         _ZN7rocprim17ROCPRIM_400000_NS6detail17trampoline_kernelINS0_14default_configENS1_20scan_config_selectorIlEEZZNS1_9scan_implILNS1_25lookback_scan_determinismE0ELb0ELb0ES3_PlS8_lN6thrust23THRUST_200600_302600_NS4plusIvEElEEDaPvRmT3_T4_T5_mT6_P12ihipStream_tbENKUlT_T0_E_clISt17integral_constantIbLb0EESP_IbLb1EEEEDaSL_SM_EUlSL_E_NS1_11comp_targetILNS1_3genE3ELNS1_11target_archE908ELNS1_3gpuE7ELNS1_3repE0EEENS1_30default_config_static_selectorELNS0_4arch9wavefront6targetE0EEEvT1_.kd
    .uniform_work_group_size: 1
    .uses_dynamic_stack: false
    .vgpr_count:     0
    .vgpr_spill_count: 0
    .wavefront_size: 32
    .workgroup_processor_mode: 1
  - .args:
      - .offset:         0
        .size:           104
        .value_kind:     by_value
    .group_segment_fixed_size: 0
    .kernarg_segment_align: 8
    .kernarg_segment_size: 104
    .language:       OpenCL C
    .language_version:
      - 2
      - 0
    .max_flat_workgroup_size: 64
    .name:           _ZN7rocprim17ROCPRIM_400000_NS6detail17trampoline_kernelINS0_14default_configENS1_20scan_config_selectorIlEEZZNS1_9scan_implILNS1_25lookback_scan_determinismE0ELb0ELb0ES3_PlS8_lN6thrust23THRUST_200600_302600_NS4plusIvEElEEDaPvRmT3_T4_T5_mT6_P12ihipStream_tbENKUlT_T0_E_clISt17integral_constantIbLb0EESP_IbLb1EEEEDaSL_SM_EUlSL_E_NS1_11comp_targetILNS1_3genE2ELNS1_11target_archE906ELNS1_3gpuE6ELNS1_3repE0EEENS1_30default_config_static_selectorELNS0_4arch9wavefront6targetE0EEEvT1_
    .private_segment_fixed_size: 0
    .sgpr_count:     0
    .sgpr_spill_count: 0
    .symbol:         _ZN7rocprim17ROCPRIM_400000_NS6detail17trampoline_kernelINS0_14default_configENS1_20scan_config_selectorIlEEZZNS1_9scan_implILNS1_25lookback_scan_determinismE0ELb0ELb0ES3_PlS8_lN6thrust23THRUST_200600_302600_NS4plusIvEElEEDaPvRmT3_T4_T5_mT6_P12ihipStream_tbENKUlT_T0_E_clISt17integral_constantIbLb0EESP_IbLb1EEEEDaSL_SM_EUlSL_E_NS1_11comp_targetILNS1_3genE2ELNS1_11target_archE906ELNS1_3gpuE6ELNS1_3repE0EEENS1_30default_config_static_selectorELNS0_4arch9wavefront6targetE0EEEvT1_.kd
    .uniform_work_group_size: 1
    .uses_dynamic_stack: false
    .vgpr_count:     0
    .vgpr_spill_count: 0
    .wavefront_size: 32
    .workgroup_processor_mode: 1
  - .args:
      - .offset:         0
        .size:           104
        .value_kind:     by_value
    .group_segment_fixed_size: 0
    .kernarg_segment_align: 8
    .kernarg_segment_size: 104
    .language:       OpenCL C
    .language_version:
      - 2
      - 0
    .max_flat_workgroup_size: 256
    .name:           _ZN7rocprim17ROCPRIM_400000_NS6detail17trampoline_kernelINS0_14default_configENS1_20scan_config_selectorIlEEZZNS1_9scan_implILNS1_25lookback_scan_determinismE0ELb0ELb0ES3_PlS8_lN6thrust23THRUST_200600_302600_NS4plusIvEElEEDaPvRmT3_T4_T5_mT6_P12ihipStream_tbENKUlT_T0_E_clISt17integral_constantIbLb0EESP_IbLb1EEEEDaSL_SM_EUlSL_E_NS1_11comp_targetILNS1_3genE10ELNS1_11target_archE1201ELNS1_3gpuE5ELNS1_3repE0EEENS1_30default_config_static_selectorELNS0_4arch9wavefront6targetE0EEEvT1_
    .private_segment_fixed_size: 0
    .sgpr_count:     0
    .sgpr_spill_count: 0
    .symbol:         _ZN7rocprim17ROCPRIM_400000_NS6detail17trampoline_kernelINS0_14default_configENS1_20scan_config_selectorIlEEZZNS1_9scan_implILNS1_25lookback_scan_determinismE0ELb0ELb0ES3_PlS8_lN6thrust23THRUST_200600_302600_NS4plusIvEElEEDaPvRmT3_T4_T5_mT6_P12ihipStream_tbENKUlT_T0_E_clISt17integral_constantIbLb0EESP_IbLb1EEEEDaSL_SM_EUlSL_E_NS1_11comp_targetILNS1_3genE10ELNS1_11target_archE1201ELNS1_3gpuE5ELNS1_3repE0EEENS1_30default_config_static_selectorELNS0_4arch9wavefront6targetE0EEEvT1_.kd
    .uniform_work_group_size: 1
    .uses_dynamic_stack: false
    .vgpr_count:     0
    .vgpr_spill_count: 0
    .wavefront_size: 32
    .workgroup_processor_mode: 1
  - .args:
      - .offset:         0
        .size:           104
        .value_kind:     by_value
    .group_segment_fixed_size: 0
    .kernarg_segment_align: 8
    .kernarg_segment_size: 104
    .language:       OpenCL C
    .language_version:
      - 2
      - 0
    .max_flat_workgroup_size: 256
    .name:           _ZN7rocprim17ROCPRIM_400000_NS6detail17trampoline_kernelINS0_14default_configENS1_20scan_config_selectorIlEEZZNS1_9scan_implILNS1_25lookback_scan_determinismE0ELb0ELb0ES3_PlS8_lN6thrust23THRUST_200600_302600_NS4plusIvEElEEDaPvRmT3_T4_T5_mT6_P12ihipStream_tbENKUlT_T0_E_clISt17integral_constantIbLb0EESP_IbLb1EEEEDaSL_SM_EUlSL_E_NS1_11comp_targetILNS1_3genE10ELNS1_11target_archE1200ELNS1_3gpuE4ELNS1_3repE0EEENS1_30default_config_static_selectorELNS0_4arch9wavefront6targetE0EEEvT1_
    .private_segment_fixed_size: 0
    .sgpr_count:     0
    .sgpr_spill_count: 0
    .symbol:         _ZN7rocprim17ROCPRIM_400000_NS6detail17trampoline_kernelINS0_14default_configENS1_20scan_config_selectorIlEEZZNS1_9scan_implILNS1_25lookback_scan_determinismE0ELb0ELb0ES3_PlS8_lN6thrust23THRUST_200600_302600_NS4plusIvEElEEDaPvRmT3_T4_T5_mT6_P12ihipStream_tbENKUlT_T0_E_clISt17integral_constantIbLb0EESP_IbLb1EEEEDaSL_SM_EUlSL_E_NS1_11comp_targetILNS1_3genE10ELNS1_11target_archE1200ELNS1_3gpuE4ELNS1_3repE0EEENS1_30default_config_static_selectorELNS0_4arch9wavefront6targetE0EEEvT1_.kd
    .uniform_work_group_size: 1
    .uses_dynamic_stack: false
    .vgpr_count:     0
    .vgpr_spill_count: 0
    .wavefront_size: 32
    .workgroup_processor_mode: 1
  - .args:
      - .offset:         0
        .size:           104
        .value_kind:     by_value
    .group_segment_fixed_size: 33792
    .kernarg_segment_align: 8
    .kernarg_segment_size: 104
    .language:       OpenCL C
    .language_version:
      - 2
      - 0
    .max_flat_workgroup_size: 256
    .name:           _ZN7rocprim17ROCPRIM_400000_NS6detail17trampoline_kernelINS0_14default_configENS1_20scan_config_selectorIlEEZZNS1_9scan_implILNS1_25lookback_scan_determinismE0ELb0ELb0ES3_PlS8_lN6thrust23THRUST_200600_302600_NS4plusIvEElEEDaPvRmT3_T4_T5_mT6_P12ihipStream_tbENKUlT_T0_E_clISt17integral_constantIbLb0EESP_IbLb1EEEEDaSL_SM_EUlSL_E_NS1_11comp_targetILNS1_3genE9ELNS1_11target_archE1100ELNS1_3gpuE3ELNS1_3repE0EEENS1_30default_config_static_selectorELNS0_4arch9wavefront6targetE0EEEvT1_
    .private_segment_fixed_size: 0
    .sgpr_count:     32
    .sgpr_spill_count: 0
    .symbol:         _ZN7rocprim17ROCPRIM_400000_NS6detail17trampoline_kernelINS0_14default_configENS1_20scan_config_selectorIlEEZZNS1_9scan_implILNS1_25lookback_scan_determinismE0ELb0ELb0ES3_PlS8_lN6thrust23THRUST_200600_302600_NS4plusIvEElEEDaPvRmT3_T4_T5_mT6_P12ihipStream_tbENKUlT_T0_E_clISt17integral_constantIbLb0EESP_IbLb1EEEEDaSL_SM_EUlSL_E_NS1_11comp_targetILNS1_3genE9ELNS1_11target_archE1100ELNS1_3gpuE3ELNS1_3repE0EEENS1_30default_config_static_selectorELNS0_4arch9wavefront6targetE0EEEvT1_.kd
    .uniform_work_group_size: 1
    .uses_dynamic_stack: false
    .vgpr_count:     109
    .vgpr_spill_count: 0
    .wavefront_size: 32
    .workgroup_processor_mode: 1
  - .args:
      - .offset:         0
        .size:           104
        .value_kind:     by_value
    .group_segment_fixed_size: 0
    .kernarg_segment_align: 8
    .kernarg_segment_size: 104
    .language:       OpenCL C
    .language_version:
      - 2
      - 0
    .max_flat_workgroup_size: 256
    .name:           _ZN7rocprim17ROCPRIM_400000_NS6detail17trampoline_kernelINS0_14default_configENS1_20scan_config_selectorIlEEZZNS1_9scan_implILNS1_25lookback_scan_determinismE0ELb0ELb0ES3_PlS8_lN6thrust23THRUST_200600_302600_NS4plusIvEElEEDaPvRmT3_T4_T5_mT6_P12ihipStream_tbENKUlT_T0_E_clISt17integral_constantIbLb0EESP_IbLb1EEEEDaSL_SM_EUlSL_E_NS1_11comp_targetILNS1_3genE8ELNS1_11target_archE1030ELNS1_3gpuE2ELNS1_3repE0EEENS1_30default_config_static_selectorELNS0_4arch9wavefront6targetE0EEEvT1_
    .private_segment_fixed_size: 0
    .sgpr_count:     0
    .sgpr_spill_count: 0
    .symbol:         _ZN7rocprim17ROCPRIM_400000_NS6detail17trampoline_kernelINS0_14default_configENS1_20scan_config_selectorIlEEZZNS1_9scan_implILNS1_25lookback_scan_determinismE0ELb0ELb0ES3_PlS8_lN6thrust23THRUST_200600_302600_NS4plusIvEElEEDaPvRmT3_T4_T5_mT6_P12ihipStream_tbENKUlT_T0_E_clISt17integral_constantIbLb0EESP_IbLb1EEEEDaSL_SM_EUlSL_E_NS1_11comp_targetILNS1_3genE8ELNS1_11target_archE1030ELNS1_3gpuE2ELNS1_3repE0EEENS1_30default_config_static_selectorELNS0_4arch9wavefront6targetE0EEEvT1_.kd
    .uniform_work_group_size: 1
    .uses_dynamic_stack: false
    .vgpr_count:     0
    .vgpr_spill_count: 0
    .wavefront_size: 32
    .workgroup_processor_mode: 1
  - .args:
      - .offset:         0
        .size:           40
        .value_kind:     by_value
    .group_segment_fixed_size: 0
    .kernarg_segment_align: 8
    .kernarg_segment_size: 40
    .language:       OpenCL C
    .language_version:
      - 2
      - 0
    .max_flat_workgroup_size: 256
    .name:           _ZN7rocprim17ROCPRIM_400000_NS6detail17trampoline_kernelINS0_14default_configENS1_20scan_config_selectorIlEEZZNS1_9scan_implILNS1_25lookback_scan_determinismE0ELb0ELb0ES3_PlS8_lN6thrust23THRUST_200600_302600_NS4plusIvEElEEDaPvRmT3_T4_T5_mT6_P12ihipStream_tbENKUlT_T0_E_clISt17integral_constantIbLb0EESP_IbLb1EEEEDaSL_SM_EUlSL_E0_NS1_11comp_targetILNS1_3genE0ELNS1_11target_archE4294967295ELNS1_3gpuE0ELNS1_3repE0EEENS1_30default_config_static_selectorELNS0_4arch9wavefront6targetE0EEEvT1_
    .private_segment_fixed_size: 0
    .sgpr_count:     0
    .sgpr_spill_count: 0
    .symbol:         _ZN7rocprim17ROCPRIM_400000_NS6detail17trampoline_kernelINS0_14default_configENS1_20scan_config_selectorIlEEZZNS1_9scan_implILNS1_25lookback_scan_determinismE0ELb0ELb0ES3_PlS8_lN6thrust23THRUST_200600_302600_NS4plusIvEElEEDaPvRmT3_T4_T5_mT6_P12ihipStream_tbENKUlT_T0_E_clISt17integral_constantIbLb0EESP_IbLb1EEEEDaSL_SM_EUlSL_E0_NS1_11comp_targetILNS1_3genE0ELNS1_11target_archE4294967295ELNS1_3gpuE0ELNS1_3repE0EEENS1_30default_config_static_selectorELNS0_4arch9wavefront6targetE0EEEvT1_.kd
    .uniform_work_group_size: 1
    .uses_dynamic_stack: false
    .vgpr_count:     0
    .vgpr_spill_count: 0
    .wavefront_size: 32
    .workgroup_processor_mode: 1
  - .args:
      - .offset:         0
        .size:           40
        .value_kind:     by_value
    .group_segment_fixed_size: 0
    .kernarg_segment_align: 8
    .kernarg_segment_size: 40
    .language:       OpenCL C
    .language_version:
      - 2
      - 0
    .max_flat_workgroup_size: 256
    .name:           _ZN7rocprim17ROCPRIM_400000_NS6detail17trampoline_kernelINS0_14default_configENS1_20scan_config_selectorIlEEZZNS1_9scan_implILNS1_25lookback_scan_determinismE0ELb0ELb0ES3_PlS8_lN6thrust23THRUST_200600_302600_NS4plusIvEElEEDaPvRmT3_T4_T5_mT6_P12ihipStream_tbENKUlT_T0_E_clISt17integral_constantIbLb0EESP_IbLb1EEEEDaSL_SM_EUlSL_E0_NS1_11comp_targetILNS1_3genE5ELNS1_11target_archE942ELNS1_3gpuE9ELNS1_3repE0EEENS1_30default_config_static_selectorELNS0_4arch9wavefront6targetE0EEEvT1_
    .private_segment_fixed_size: 0
    .sgpr_count:     0
    .sgpr_spill_count: 0
    .symbol:         _ZN7rocprim17ROCPRIM_400000_NS6detail17trampoline_kernelINS0_14default_configENS1_20scan_config_selectorIlEEZZNS1_9scan_implILNS1_25lookback_scan_determinismE0ELb0ELb0ES3_PlS8_lN6thrust23THRUST_200600_302600_NS4plusIvEElEEDaPvRmT3_T4_T5_mT6_P12ihipStream_tbENKUlT_T0_E_clISt17integral_constantIbLb0EESP_IbLb1EEEEDaSL_SM_EUlSL_E0_NS1_11comp_targetILNS1_3genE5ELNS1_11target_archE942ELNS1_3gpuE9ELNS1_3repE0EEENS1_30default_config_static_selectorELNS0_4arch9wavefront6targetE0EEEvT1_.kd
    .uniform_work_group_size: 1
    .uses_dynamic_stack: false
    .vgpr_count:     0
    .vgpr_spill_count: 0
    .wavefront_size: 32
    .workgroup_processor_mode: 1
  - .args:
      - .offset:         0
        .size:           40
        .value_kind:     by_value
    .group_segment_fixed_size: 0
    .kernarg_segment_align: 8
    .kernarg_segment_size: 40
    .language:       OpenCL C
    .language_version:
      - 2
      - 0
    .max_flat_workgroup_size: 128
    .name:           _ZN7rocprim17ROCPRIM_400000_NS6detail17trampoline_kernelINS0_14default_configENS1_20scan_config_selectorIlEEZZNS1_9scan_implILNS1_25lookback_scan_determinismE0ELb0ELb0ES3_PlS8_lN6thrust23THRUST_200600_302600_NS4plusIvEElEEDaPvRmT3_T4_T5_mT6_P12ihipStream_tbENKUlT_T0_E_clISt17integral_constantIbLb0EESP_IbLb1EEEEDaSL_SM_EUlSL_E0_NS1_11comp_targetILNS1_3genE4ELNS1_11target_archE910ELNS1_3gpuE8ELNS1_3repE0EEENS1_30default_config_static_selectorELNS0_4arch9wavefront6targetE0EEEvT1_
    .private_segment_fixed_size: 0
    .sgpr_count:     0
    .sgpr_spill_count: 0
    .symbol:         _ZN7rocprim17ROCPRIM_400000_NS6detail17trampoline_kernelINS0_14default_configENS1_20scan_config_selectorIlEEZZNS1_9scan_implILNS1_25lookback_scan_determinismE0ELb0ELb0ES3_PlS8_lN6thrust23THRUST_200600_302600_NS4plusIvEElEEDaPvRmT3_T4_T5_mT6_P12ihipStream_tbENKUlT_T0_E_clISt17integral_constantIbLb0EESP_IbLb1EEEEDaSL_SM_EUlSL_E0_NS1_11comp_targetILNS1_3genE4ELNS1_11target_archE910ELNS1_3gpuE8ELNS1_3repE0EEENS1_30default_config_static_selectorELNS0_4arch9wavefront6targetE0EEEvT1_.kd
    .uniform_work_group_size: 1
    .uses_dynamic_stack: false
    .vgpr_count:     0
    .vgpr_spill_count: 0
    .wavefront_size: 32
    .workgroup_processor_mode: 1
  - .args:
      - .offset:         0
        .size:           40
        .value_kind:     by_value
    .group_segment_fixed_size: 0
    .kernarg_segment_align: 8
    .kernarg_segment_size: 40
    .language:       OpenCL C
    .language_version:
      - 2
      - 0
    .max_flat_workgroup_size: 256
    .name:           _ZN7rocprim17ROCPRIM_400000_NS6detail17trampoline_kernelINS0_14default_configENS1_20scan_config_selectorIlEEZZNS1_9scan_implILNS1_25lookback_scan_determinismE0ELb0ELb0ES3_PlS8_lN6thrust23THRUST_200600_302600_NS4plusIvEElEEDaPvRmT3_T4_T5_mT6_P12ihipStream_tbENKUlT_T0_E_clISt17integral_constantIbLb0EESP_IbLb1EEEEDaSL_SM_EUlSL_E0_NS1_11comp_targetILNS1_3genE3ELNS1_11target_archE908ELNS1_3gpuE7ELNS1_3repE0EEENS1_30default_config_static_selectorELNS0_4arch9wavefront6targetE0EEEvT1_
    .private_segment_fixed_size: 0
    .sgpr_count:     0
    .sgpr_spill_count: 0
    .symbol:         _ZN7rocprim17ROCPRIM_400000_NS6detail17trampoline_kernelINS0_14default_configENS1_20scan_config_selectorIlEEZZNS1_9scan_implILNS1_25lookback_scan_determinismE0ELb0ELb0ES3_PlS8_lN6thrust23THRUST_200600_302600_NS4plusIvEElEEDaPvRmT3_T4_T5_mT6_P12ihipStream_tbENKUlT_T0_E_clISt17integral_constantIbLb0EESP_IbLb1EEEEDaSL_SM_EUlSL_E0_NS1_11comp_targetILNS1_3genE3ELNS1_11target_archE908ELNS1_3gpuE7ELNS1_3repE0EEENS1_30default_config_static_selectorELNS0_4arch9wavefront6targetE0EEEvT1_.kd
    .uniform_work_group_size: 1
    .uses_dynamic_stack: false
    .vgpr_count:     0
    .vgpr_spill_count: 0
    .wavefront_size: 32
    .workgroup_processor_mode: 1
  - .args:
      - .offset:         0
        .size:           40
        .value_kind:     by_value
    .group_segment_fixed_size: 0
    .kernarg_segment_align: 8
    .kernarg_segment_size: 40
    .language:       OpenCL C
    .language_version:
      - 2
      - 0
    .max_flat_workgroup_size: 64
    .name:           _ZN7rocprim17ROCPRIM_400000_NS6detail17trampoline_kernelINS0_14default_configENS1_20scan_config_selectorIlEEZZNS1_9scan_implILNS1_25lookback_scan_determinismE0ELb0ELb0ES3_PlS8_lN6thrust23THRUST_200600_302600_NS4plusIvEElEEDaPvRmT3_T4_T5_mT6_P12ihipStream_tbENKUlT_T0_E_clISt17integral_constantIbLb0EESP_IbLb1EEEEDaSL_SM_EUlSL_E0_NS1_11comp_targetILNS1_3genE2ELNS1_11target_archE906ELNS1_3gpuE6ELNS1_3repE0EEENS1_30default_config_static_selectorELNS0_4arch9wavefront6targetE0EEEvT1_
    .private_segment_fixed_size: 0
    .sgpr_count:     0
    .sgpr_spill_count: 0
    .symbol:         _ZN7rocprim17ROCPRIM_400000_NS6detail17trampoline_kernelINS0_14default_configENS1_20scan_config_selectorIlEEZZNS1_9scan_implILNS1_25lookback_scan_determinismE0ELb0ELb0ES3_PlS8_lN6thrust23THRUST_200600_302600_NS4plusIvEElEEDaPvRmT3_T4_T5_mT6_P12ihipStream_tbENKUlT_T0_E_clISt17integral_constantIbLb0EESP_IbLb1EEEEDaSL_SM_EUlSL_E0_NS1_11comp_targetILNS1_3genE2ELNS1_11target_archE906ELNS1_3gpuE6ELNS1_3repE0EEENS1_30default_config_static_selectorELNS0_4arch9wavefront6targetE0EEEvT1_.kd
    .uniform_work_group_size: 1
    .uses_dynamic_stack: false
    .vgpr_count:     0
    .vgpr_spill_count: 0
    .wavefront_size: 32
    .workgroup_processor_mode: 1
  - .args:
      - .offset:         0
        .size:           40
        .value_kind:     by_value
    .group_segment_fixed_size: 0
    .kernarg_segment_align: 8
    .kernarg_segment_size: 40
    .language:       OpenCL C
    .language_version:
      - 2
      - 0
    .max_flat_workgroup_size: 256
    .name:           _ZN7rocprim17ROCPRIM_400000_NS6detail17trampoline_kernelINS0_14default_configENS1_20scan_config_selectorIlEEZZNS1_9scan_implILNS1_25lookback_scan_determinismE0ELb0ELb0ES3_PlS8_lN6thrust23THRUST_200600_302600_NS4plusIvEElEEDaPvRmT3_T4_T5_mT6_P12ihipStream_tbENKUlT_T0_E_clISt17integral_constantIbLb0EESP_IbLb1EEEEDaSL_SM_EUlSL_E0_NS1_11comp_targetILNS1_3genE10ELNS1_11target_archE1201ELNS1_3gpuE5ELNS1_3repE0EEENS1_30default_config_static_selectorELNS0_4arch9wavefront6targetE0EEEvT1_
    .private_segment_fixed_size: 0
    .sgpr_count:     0
    .sgpr_spill_count: 0
    .symbol:         _ZN7rocprim17ROCPRIM_400000_NS6detail17trampoline_kernelINS0_14default_configENS1_20scan_config_selectorIlEEZZNS1_9scan_implILNS1_25lookback_scan_determinismE0ELb0ELb0ES3_PlS8_lN6thrust23THRUST_200600_302600_NS4plusIvEElEEDaPvRmT3_T4_T5_mT6_P12ihipStream_tbENKUlT_T0_E_clISt17integral_constantIbLb0EESP_IbLb1EEEEDaSL_SM_EUlSL_E0_NS1_11comp_targetILNS1_3genE10ELNS1_11target_archE1201ELNS1_3gpuE5ELNS1_3repE0EEENS1_30default_config_static_selectorELNS0_4arch9wavefront6targetE0EEEvT1_.kd
    .uniform_work_group_size: 1
    .uses_dynamic_stack: false
    .vgpr_count:     0
    .vgpr_spill_count: 0
    .wavefront_size: 32
    .workgroup_processor_mode: 1
  - .args:
      - .offset:         0
        .size:           40
        .value_kind:     by_value
    .group_segment_fixed_size: 0
    .kernarg_segment_align: 8
    .kernarg_segment_size: 40
    .language:       OpenCL C
    .language_version:
      - 2
      - 0
    .max_flat_workgroup_size: 256
    .name:           _ZN7rocprim17ROCPRIM_400000_NS6detail17trampoline_kernelINS0_14default_configENS1_20scan_config_selectorIlEEZZNS1_9scan_implILNS1_25lookback_scan_determinismE0ELb0ELb0ES3_PlS8_lN6thrust23THRUST_200600_302600_NS4plusIvEElEEDaPvRmT3_T4_T5_mT6_P12ihipStream_tbENKUlT_T0_E_clISt17integral_constantIbLb0EESP_IbLb1EEEEDaSL_SM_EUlSL_E0_NS1_11comp_targetILNS1_3genE10ELNS1_11target_archE1200ELNS1_3gpuE4ELNS1_3repE0EEENS1_30default_config_static_selectorELNS0_4arch9wavefront6targetE0EEEvT1_
    .private_segment_fixed_size: 0
    .sgpr_count:     0
    .sgpr_spill_count: 0
    .symbol:         _ZN7rocprim17ROCPRIM_400000_NS6detail17trampoline_kernelINS0_14default_configENS1_20scan_config_selectorIlEEZZNS1_9scan_implILNS1_25lookback_scan_determinismE0ELb0ELb0ES3_PlS8_lN6thrust23THRUST_200600_302600_NS4plusIvEElEEDaPvRmT3_T4_T5_mT6_P12ihipStream_tbENKUlT_T0_E_clISt17integral_constantIbLb0EESP_IbLb1EEEEDaSL_SM_EUlSL_E0_NS1_11comp_targetILNS1_3genE10ELNS1_11target_archE1200ELNS1_3gpuE4ELNS1_3repE0EEENS1_30default_config_static_selectorELNS0_4arch9wavefront6targetE0EEEvT1_.kd
    .uniform_work_group_size: 1
    .uses_dynamic_stack: false
    .vgpr_count:     0
    .vgpr_spill_count: 0
    .wavefront_size: 32
    .workgroup_processor_mode: 1
  - .args:
      - .offset:         0
        .size:           40
        .value_kind:     by_value
    .group_segment_fixed_size: 33792
    .kernarg_segment_align: 8
    .kernarg_segment_size: 40
    .language:       OpenCL C
    .language_version:
      - 2
      - 0
    .max_flat_workgroup_size: 256
    .name:           _ZN7rocprim17ROCPRIM_400000_NS6detail17trampoline_kernelINS0_14default_configENS1_20scan_config_selectorIlEEZZNS1_9scan_implILNS1_25lookback_scan_determinismE0ELb0ELb0ES3_PlS8_lN6thrust23THRUST_200600_302600_NS4plusIvEElEEDaPvRmT3_T4_T5_mT6_P12ihipStream_tbENKUlT_T0_E_clISt17integral_constantIbLb0EESP_IbLb1EEEEDaSL_SM_EUlSL_E0_NS1_11comp_targetILNS1_3genE9ELNS1_11target_archE1100ELNS1_3gpuE3ELNS1_3repE0EEENS1_30default_config_static_selectorELNS0_4arch9wavefront6targetE0EEEvT1_
    .private_segment_fixed_size: 0
    .sgpr_count:     26
    .sgpr_spill_count: 0
    .symbol:         _ZN7rocprim17ROCPRIM_400000_NS6detail17trampoline_kernelINS0_14default_configENS1_20scan_config_selectorIlEEZZNS1_9scan_implILNS1_25lookback_scan_determinismE0ELb0ELb0ES3_PlS8_lN6thrust23THRUST_200600_302600_NS4plusIvEElEEDaPvRmT3_T4_T5_mT6_P12ihipStream_tbENKUlT_T0_E_clISt17integral_constantIbLb0EESP_IbLb1EEEEDaSL_SM_EUlSL_E0_NS1_11comp_targetILNS1_3genE9ELNS1_11target_archE1100ELNS1_3gpuE3ELNS1_3repE0EEENS1_30default_config_static_selectorELNS0_4arch9wavefront6targetE0EEEvT1_.kd
    .uniform_work_group_size: 1
    .uses_dynamic_stack: false
    .vgpr_count:     100
    .vgpr_spill_count: 0
    .wavefront_size: 32
    .workgroup_processor_mode: 1
  - .args:
      - .offset:         0
        .size:           40
        .value_kind:     by_value
    .group_segment_fixed_size: 0
    .kernarg_segment_align: 8
    .kernarg_segment_size: 40
    .language:       OpenCL C
    .language_version:
      - 2
      - 0
    .max_flat_workgroup_size: 256
    .name:           _ZN7rocprim17ROCPRIM_400000_NS6detail17trampoline_kernelINS0_14default_configENS1_20scan_config_selectorIlEEZZNS1_9scan_implILNS1_25lookback_scan_determinismE0ELb0ELb0ES3_PlS8_lN6thrust23THRUST_200600_302600_NS4plusIvEElEEDaPvRmT3_T4_T5_mT6_P12ihipStream_tbENKUlT_T0_E_clISt17integral_constantIbLb0EESP_IbLb1EEEEDaSL_SM_EUlSL_E0_NS1_11comp_targetILNS1_3genE8ELNS1_11target_archE1030ELNS1_3gpuE2ELNS1_3repE0EEENS1_30default_config_static_selectorELNS0_4arch9wavefront6targetE0EEEvT1_
    .private_segment_fixed_size: 0
    .sgpr_count:     0
    .sgpr_spill_count: 0
    .symbol:         _ZN7rocprim17ROCPRIM_400000_NS6detail17trampoline_kernelINS0_14default_configENS1_20scan_config_selectorIlEEZZNS1_9scan_implILNS1_25lookback_scan_determinismE0ELb0ELb0ES3_PlS8_lN6thrust23THRUST_200600_302600_NS4plusIvEElEEDaPvRmT3_T4_T5_mT6_P12ihipStream_tbENKUlT_T0_E_clISt17integral_constantIbLb0EESP_IbLb1EEEEDaSL_SM_EUlSL_E0_NS1_11comp_targetILNS1_3genE8ELNS1_11target_archE1030ELNS1_3gpuE2ELNS1_3repE0EEENS1_30default_config_static_selectorELNS0_4arch9wavefront6targetE0EEEvT1_.kd
    .uniform_work_group_size: 1
    .uses_dynamic_stack: false
    .vgpr_count:     0
    .vgpr_spill_count: 0
    .wavefront_size: 32
    .workgroup_processor_mode: 1
  - .args:
      - .offset:         0
        .size:           32
        .value_kind:     by_value
      - .offset:         32
        .size:           8
        .value_kind:     by_value
      - .offset:         40
        .size:           8
        .value_kind:     by_value
    .group_segment_fixed_size: 0
    .kernarg_segment_align: 8
    .kernarg_segment_size: 48
    .language:       OpenCL C
    .language_version:
      - 2
      - 0
    .max_flat_workgroup_size: 256
    .name:           _ZN6thrust23THRUST_200600_302600_NS11hip_rocprim14__parallel_for6kernelILj256ENS1_11__transform17unary_transform_fIPlNS0_20permutation_iteratorIS6_PKlEENS4_14no_stencil_tagENS1_8identityENS4_21always_true_predicateEEElLj1EEEvT0_T1_SG_
    .private_segment_fixed_size: 0
    .sgpr_count:     18
    .sgpr_spill_count: 0
    .symbol:         _ZN6thrust23THRUST_200600_302600_NS11hip_rocprim14__parallel_for6kernelILj256ENS1_11__transform17unary_transform_fIPlNS0_20permutation_iteratorIS6_PKlEENS4_14no_stencil_tagENS1_8identityENS4_21always_true_predicateEEElLj1EEEvT0_T1_SG_.kd
    .uniform_work_group_size: 1
    .uses_dynamic_stack: false
    .vgpr_count:     4
    .vgpr_spill_count: 0
    .wavefront_size: 32
    .workgroup_processor_mode: 1
  - .args:
      - .address_space:  global
        .offset:         0
        .size:           8
        .value_kind:     global_buffer
      - .offset:         8
        .size:           4
        .value_kind:     by_value
      - .offset:         12
        .size:           1
        .value_kind:     by_value
      - .offset:         16
        .size:           4
        .value_kind:     by_value
      - .address_space:  global
        .offset:         24
        .size:           8
        .value_kind:     global_buffer
      - .offset:         32
        .size:           4
        .value_kind:     hidden_block_count_x
      - .offset:         36
        .size:           4
        .value_kind:     hidden_block_count_y
      - .offset:         40
        .size:           4
        .value_kind:     hidden_block_count_z
      - .offset:         44
        .size:           2
        .value_kind:     hidden_group_size_x
      - .offset:         46
        .size:           2
        .value_kind:     hidden_group_size_y
      - .offset:         48
        .size:           2
        .value_kind:     hidden_group_size_z
      - .offset:         50
        .size:           2
        .value_kind:     hidden_remainder_x
      - .offset:         52
        .size:           2
        .value_kind:     hidden_remainder_y
      - .offset:         54
        .size:           2
        .value_kind:     hidden_remainder_z
      - .offset:         72
        .size:           8
        .value_kind:     hidden_global_offset_x
      - .offset:         80
        .size:           8
        .value_kind:     hidden_global_offset_y
      - .offset:         88
        .size:           8
        .value_kind:     hidden_global_offset_z
      - .offset:         96
        .size:           2
        .value_kind:     hidden_grid_dims
    .group_segment_fixed_size: 0
    .kernarg_segment_align: 8
    .kernarg_segment_size: 288
    .language:       OpenCL C
    .language_version:
      - 2
      - 0
    .max_flat_workgroup_size: 256
    .name:           _ZN7rocprim17ROCPRIM_400000_NS6detail31init_lookback_scan_state_kernelINS1_19lookback_scan_stateIjLb0ELb1EEENS1_16block_id_wrapperIjLb0EEEEEvT_jT0_jPNS7_10value_typeE
    .private_segment_fixed_size: 0
    .sgpr_count:     18
    .sgpr_spill_count: 0
    .symbol:         _ZN7rocprim17ROCPRIM_400000_NS6detail31init_lookback_scan_state_kernelINS1_19lookback_scan_stateIjLb0ELb1EEENS1_16block_id_wrapperIjLb0EEEEEvT_jT0_jPNS7_10value_typeE.kd
    .uniform_work_group_size: 1
    .uses_dynamic_stack: false
    .vgpr_count:     6
    .vgpr_spill_count: 0
    .wavefront_size: 32
    .workgroup_processor_mode: 1
  - .args:
      - .offset:         0
        .size:           120
        .value_kind:     by_value
    .group_segment_fixed_size: 0
    .kernarg_segment_align: 8
    .kernarg_segment_size: 120
    .language:       OpenCL C
    .language_version:
      - 2
      - 0
    .max_flat_workgroup_size: 512
    .name:           _ZN7rocprim17ROCPRIM_400000_NS6detail17trampoline_kernelINS0_14default_configENS1_25partition_config_selectorILNS1_17partition_subalgoE8ElNS0_10empty_typeEbEEZZNS1_14partition_implILS5_8ELb0ES3_jPlPS6_PKS6_NS0_5tupleIJS9_S6_EEENSD_IJSA_SA_EEENS0_18inequality_wrapperIZN2at6native12_GLOBAL__N_124unique_dim_cuda_templateIhEESt5tupleIJNSH_6TensorESM_SM_EERKSM_lbbbEUlllE0_EEPmJS6_EEE10hipError_tPvRmT3_T4_T5_T6_T7_T9_mT8_P12ihipStream_tbDpT10_ENKUlT_T0_E_clISt17integral_constantIbLb0EES1C_EEDaS17_S18_EUlS17_E_NS1_11comp_targetILNS1_3genE0ELNS1_11target_archE4294967295ELNS1_3gpuE0ELNS1_3repE0EEENS1_30default_config_static_selectorELNS0_4arch9wavefront6targetE0EEEvT1_
    .private_segment_fixed_size: 0
    .sgpr_count:     0
    .sgpr_spill_count: 0
    .symbol:         _ZN7rocprim17ROCPRIM_400000_NS6detail17trampoline_kernelINS0_14default_configENS1_25partition_config_selectorILNS1_17partition_subalgoE8ElNS0_10empty_typeEbEEZZNS1_14partition_implILS5_8ELb0ES3_jPlPS6_PKS6_NS0_5tupleIJS9_S6_EEENSD_IJSA_SA_EEENS0_18inequality_wrapperIZN2at6native12_GLOBAL__N_124unique_dim_cuda_templateIhEESt5tupleIJNSH_6TensorESM_SM_EERKSM_lbbbEUlllE0_EEPmJS6_EEE10hipError_tPvRmT3_T4_T5_T6_T7_T9_mT8_P12ihipStream_tbDpT10_ENKUlT_T0_E_clISt17integral_constantIbLb0EES1C_EEDaS17_S18_EUlS17_E_NS1_11comp_targetILNS1_3genE0ELNS1_11target_archE4294967295ELNS1_3gpuE0ELNS1_3repE0EEENS1_30default_config_static_selectorELNS0_4arch9wavefront6targetE0EEEvT1_.kd
    .uniform_work_group_size: 1
    .uses_dynamic_stack: false
    .vgpr_count:     0
    .vgpr_spill_count: 0
    .wavefront_size: 32
    .workgroup_processor_mode: 1
  - .args:
      - .offset:         0
        .size:           120
        .value_kind:     by_value
    .group_segment_fixed_size: 0
    .kernarg_segment_align: 8
    .kernarg_segment_size: 120
    .language:       OpenCL C
    .language_version:
      - 2
      - 0
    .max_flat_workgroup_size: 512
    .name:           _ZN7rocprim17ROCPRIM_400000_NS6detail17trampoline_kernelINS0_14default_configENS1_25partition_config_selectorILNS1_17partition_subalgoE8ElNS0_10empty_typeEbEEZZNS1_14partition_implILS5_8ELb0ES3_jPlPS6_PKS6_NS0_5tupleIJS9_S6_EEENSD_IJSA_SA_EEENS0_18inequality_wrapperIZN2at6native12_GLOBAL__N_124unique_dim_cuda_templateIhEESt5tupleIJNSH_6TensorESM_SM_EERKSM_lbbbEUlllE0_EEPmJS6_EEE10hipError_tPvRmT3_T4_T5_T6_T7_T9_mT8_P12ihipStream_tbDpT10_ENKUlT_T0_E_clISt17integral_constantIbLb0EES1C_EEDaS17_S18_EUlS17_E_NS1_11comp_targetILNS1_3genE5ELNS1_11target_archE942ELNS1_3gpuE9ELNS1_3repE0EEENS1_30default_config_static_selectorELNS0_4arch9wavefront6targetE0EEEvT1_
    .private_segment_fixed_size: 0
    .sgpr_count:     0
    .sgpr_spill_count: 0
    .symbol:         _ZN7rocprim17ROCPRIM_400000_NS6detail17trampoline_kernelINS0_14default_configENS1_25partition_config_selectorILNS1_17partition_subalgoE8ElNS0_10empty_typeEbEEZZNS1_14partition_implILS5_8ELb0ES3_jPlPS6_PKS6_NS0_5tupleIJS9_S6_EEENSD_IJSA_SA_EEENS0_18inequality_wrapperIZN2at6native12_GLOBAL__N_124unique_dim_cuda_templateIhEESt5tupleIJNSH_6TensorESM_SM_EERKSM_lbbbEUlllE0_EEPmJS6_EEE10hipError_tPvRmT3_T4_T5_T6_T7_T9_mT8_P12ihipStream_tbDpT10_ENKUlT_T0_E_clISt17integral_constantIbLb0EES1C_EEDaS17_S18_EUlS17_E_NS1_11comp_targetILNS1_3genE5ELNS1_11target_archE942ELNS1_3gpuE9ELNS1_3repE0EEENS1_30default_config_static_selectorELNS0_4arch9wavefront6targetE0EEEvT1_.kd
    .uniform_work_group_size: 1
    .uses_dynamic_stack: false
    .vgpr_count:     0
    .vgpr_spill_count: 0
    .wavefront_size: 32
    .workgroup_processor_mode: 1
  - .args:
      - .offset:         0
        .size:           120
        .value_kind:     by_value
    .group_segment_fixed_size: 0
    .kernarg_segment_align: 8
    .kernarg_segment_size: 120
    .language:       OpenCL C
    .language_version:
      - 2
      - 0
    .max_flat_workgroup_size: 256
    .name:           _ZN7rocprim17ROCPRIM_400000_NS6detail17trampoline_kernelINS0_14default_configENS1_25partition_config_selectorILNS1_17partition_subalgoE8ElNS0_10empty_typeEbEEZZNS1_14partition_implILS5_8ELb0ES3_jPlPS6_PKS6_NS0_5tupleIJS9_S6_EEENSD_IJSA_SA_EEENS0_18inequality_wrapperIZN2at6native12_GLOBAL__N_124unique_dim_cuda_templateIhEESt5tupleIJNSH_6TensorESM_SM_EERKSM_lbbbEUlllE0_EEPmJS6_EEE10hipError_tPvRmT3_T4_T5_T6_T7_T9_mT8_P12ihipStream_tbDpT10_ENKUlT_T0_E_clISt17integral_constantIbLb0EES1C_EEDaS17_S18_EUlS17_E_NS1_11comp_targetILNS1_3genE4ELNS1_11target_archE910ELNS1_3gpuE8ELNS1_3repE0EEENS1_30default_config_static_selectorELNS0_4arch9wavefront6targetE0EEEvT1_
    .private_segment_fixed_size: 0
    .sgpr_count:     0
    .sgpr_spill_count: 0
    .symbol:         _ZN7rocprim17ROCPRIM_400000_NS6detail17trampoline_kernelINS0_14default_configENS1_25partition_config_selectorILNS1_17partition_subalgoE8ElNS0_10empty_typeEbEEZZNS1_14partition_implILS5_8ELb0ES3_jPlPS6_PKS6_NS0_5tupleIJS9_S6_EEENSD_IJSA_SA_EEENS0_18inequality_wrapperIZN2at6native12_GLOBAL__N_124unique_dim_cuda_templateIhEESt5tupleIJNSH_6TensorESM_SM_EERKSM_lbbbEUlllE0_EEPmJS6_EEE10hipError_tPvRmT3_T4_T5_T6_T7_T9_mT8_P12ihipStream_tbDpT10_ENKUlT_T0_E_clISt17integral_constantIbLb0EES1C_EEDaS17_S18_EUlS17_E_NS1_11comp_targetILNS1_3genE4ELNS1_11target_archE910ELNS1_3gpuE8ELNS1_3repE0EEENS1_30default_config_static_selectorELNS0_4arch9wavefront6targetE0EEEvT1_.kd
    .uniform_work_group_size: 1
    .uses_dynamic_stack: false
    .vgpr_count:     0
    .vgpr_spill_count: 0
    .wavefront_size: 32
    .workgroup_processor_mode: 1
  - .args:
      - .offset:         0
        .size:           120
        .value_kind:     by_value
    .group_segment_fixed_size: 0
    .kernarg_segment_align: 8
    .kernarg_segment_size: 120
    .language:       OpenCL C
    .language_version:
      - 2
      - 0
    .max_flat_workgroup_size: 512
    .name:           _ZN7rocprim17ROCPRIM_400000_NS6detail17trampoline_kernelINS0_14default_configENS1_25partition_config_selectorILNS1_17partition_subalgoE8ElNS0_10empty_typeEbEEZZNS1_14partition_implILS5_8ELb0ES3_jPlPS6_PKS6_NS0_5tupleIJS9_S6_EEENSD_IJSA_SA_EEENS0_18inequality_wrapperIZN2at6native12_GLOBAL__N_124unique_dim_cuda_templateIhEESt5tupleIJNSH_6TensorESM_SM_EERKSM_lbbbEUlllE0_EEPmJS6_EEE10hipError_tPvRmT3_T4_T5_T6_T7_T9_mT8_P12ihipStream_tbDpT10_ENKUlT_T0_E_clISt17integral_constantIbLb0EES1C_EEDaS17_S18_EUlS17_E_NS1_11comp_targetILNS1_3genE3ELNS1_11target_archE908ELNS1_3gpuE7ELNS1_3repE0EEENS1_30default_config_static_selectorELNS0_4arch9wavefront6targetE0EEEvT1_
    .private_segment_fixed_size: 0
    .sgpr_count:     0
    .sgpr_spill_count: 0
    .symbol:         _ZN7rocprim17ROCPRIM_400000_NS6detail17trampoline_kernelINS0_14default_configENS1_25partition_config_selectorILNS1_17partition_subalgoE8ElNS0_10empty_typeEbEEZZNS1_14partition_implILS5_8ELb0ES3_jPlPS6_PKS6_NS0_5tupleIJS9_S6_EEENSD_IJSA_SA_EEENS0_18inequality_wrapperIZN2at6native12_GLOBAL__N_124unique_dim_cuda_templateIhEESt5tupleIJNSH_6TensorESM_SM_EERKSM_lbbbEUlllE0_EEPmJS6_EEE10hipError_tPvRmT3_T4_T5_T6_T7_T9_mT8_P12ihipStream_tbDpT10_ENKUlT_T0_E_clISt17integral_constantIbLb0EES1C_EEDaS17_S18_EUlS17_E_NS1_11comp_targetILNS1_3genE3ELNS1_11target_archE908ELNS1_3gpuE7ELNS1_3repE0EEENS1_30default_config_static_selectorELNS0_4arch9wavefront6targetE0EEEvT1_.kd
    .uniform_work_group_size: 1
    .uses_dynamic_stack: false
    .vgpr_count:     0
    .vgpr_spill_count: 0
    .wavefront_size: 32
    .workgroup_processor_mode: 1
  - .args:
      - .offset:         0
        .size:           120
        .value_kind:     by_value
    .group_segment_fixed_size: 0
    .kernarg_segment_align: 8
    .kernarg_segment_size: 120
    .language:       OpenCL C
    .language_version:
      - 2
      - 0
    .max_flat_workgroup_size: 256
    .name:           _ZN7rocprim17ROCPRIM_400000_NS6detail17trampoline_kernelINS0_14default_configENS1_25partition_config_selectorILNS1_17partition_subalgoE8ElNS0_10empty_typeEbEEZZNS1_14partition_implILS5_8ELb0ES3_jPlPS6_PKS6_NS0_5tupleIJS9_S6_EEENSD_IJSA_SA_EEENS0_18inequality_wrapperIZN2at6native12_GLOBAL__N_124unique_dim_cuda_templateIhEESt5tupleIJNSH_6TensorESM_SM_EERKSM_lbbbEUlllE0_EEPmJS6_EEE10hipError_tPvRmT3_T4_T5_T6_T7_T9_mT8_P12ihipStream_tbDpT10_ENKUlT_T0_E_clISt17integral_constantIbLb0EES1C_EEDaS17_S18_EUlS17_E_NS1_11comp_targetILNS1_3genE2ELNS1_11target_archE906ELNS1_3gpuE6ELNS1_3repE0EEENS1_30default_config_static_selectorELNS0_4arch9wavefront6targetE0EEEvT1_
    .private_segment_fixed_size: 0
    .sgpr_count:     0
    .sgpr_spill_count: 0
    .symbol:         _ZN7rocprim17ROCPRIM_400000_NS6detail17trampoline_kernelINS0_14default_configENS1_25partition_config_selectorILNS1_17partition_subalgoE8ElNS0_10empty_typeEbEEZZNS1_14partition_implILS5_8ELb0ES3_jPlPS6_PKS6_NS0_5tupleIJS9_S6_EEENSD_IJSA_SA_EEENS0_18inequality_wrapperIZN2at6native12_GLOBAL__N_124unique_dim_cuda_templateIhEESt5tupleIJNSH_6TensorESM_SM_EERKSM_lbbbEUlllE0_EEPmJS6_EEE10hipError_tPvRmT3_T4_T5_T6_T7_T9_mT8_P12ihipStream_tbDpT10_ENKUlT_T0_E_clISt17integral_constantIbLb0EES1C_EEDaS17_S18_EUlS17_E_NS1_11comp_targetILNS1_3genE2ELNS1_11target_archE906ELNS1_3gpuE6ELNS1_3repE0EEENS1_30default_config_static_selectorELNS0_4arch9wavefront6targetE0EEEvT1_.kd
    .uniform_work_group_size: 1
    .uses_dynamic_stack: false
    .vgpr_count:     0
    .vgpr_spill_count: 0
    .wavefront_size: 32
    .workgroup_processor_mode: 1
  - .args:
      - .offset:         0
        .size:           120
        .value_kind:     by_value
    .group_segment_fixed_size: 0
    .kernarg_segment_align: 8
    .kernarg_segment_size: 120
    .language:       OpenCL C
    .language_version:
      - 2
      - 0
    .max_flat_workgroup_size: 384
    .name:           _ZN7rocprim17ROCPRIM_400000_NS6detail17trampoline_kernelINS0_14default_configENS1_25partition_config_selectorILNS1_17partition_subalgoE8ElNS0_10empty_typeEbEEZZNS1_14partition_implILS5_8ELb0ES3_jPlPS6_PKS6_NS0_5tupleIJS9_S6_EEENSD_IJSA_SA_EEENS0_18inequality_wrapperIZN2at6native12_GLOBAL__N_124unique_dim_cuda_templateIhEESt5tupleIJNSH_6TensorESM_SM_EERKSM_lbbbEUlllE0_EEPmJS6_EEE10hipError_tPvRmT3_T4_T5_T6_T7_T9_mT8_P12ihipStream_tbDpT10_ENKUlT_T0_E_clISt17integral_constantIbLb0EES1C_EEDaS17_S18_EUlS17_E_NS1_11comp_targetILNS1_3genE10ELNS1_11target_archE1200ELNS1_3gpuE4ELNS1_3repE0EEENS1_30default_config_static_selectorELNS0_4arch9wavefront6targetE0EEEvT1_
    .private_segment_fixed_size: 0
    .sgpr_count:     0
    .sgpr_spill_count: 0
    .symbol:         _ZN7rocprim17ROCPRIM_400000_NS6detail17trampoline_kernelINS0_14default_configENS1_25partition_config_selectorILNS1_17partition_subalgoE8ElNS0_10empty_typeEbEEZZNS1_14partition_implILS5_8ELb0ES3_jPlPS6_PKS6_NS0_5tupleIJS9_S6_EEENSD_IJSA_SA_EEENS0_18inequality_wrapperIZN2at6native12_GLOBAL__N_124unique_dim_cuda_templateIhEESt5tupleIJNSH_6TensorESM_SM_EERKSM_lbbbEUlllE0_EEPmJS6_EEE10hipError_tPvRmT3_T4_T5_T6_T7_T9_mT8_P12ihipStream_tbDpT10_ENKUlT_T0_E_clISt17integral_constantIbLb0EES1C_EEDaS17_S18_EUlS17_E_NS1_11comp_targetILNS1_3genE10ELNS1_11target_archE1200ELNS1_3gpuE4ELNS1_3repE0EEENS1_30default_config_static_selectorELNS0_4arch9wavefront6targetE0EEEvT1_.kd
    .uniform_work_group_size: 1
    .uses_dynamic_stack: false
    .vgpr_count:     0
    .vgpr_spill_count: 0
    .wavefront_size: 32
    .workgroup_processor_mode: 1
  - .args:
      - .offset:         0
        .size:           120
        .value_kind:     by_value
    .group_segment_fixed_size: 33804
    .kernarg_segment_align: 8
    .kernarg_segment_size: 120
    .language:       OpenCL C
    .language_version:
      - 2
      - 0
    .max_flat_workgroup_size: 512
    .name:           _ZN7rocprim17ROCPRIM_400000_NS6detail17trampoline_kernelINS0_14default_configENS1_25partition_config_selectorILNS1_17partition_subalgoE8ElNS0_10empty_typeEbEEZZNS1_14partition_implILS5_8ELb0ES3_jPlPS6_PKS6_NS0_5tupleIJS9_S6_EEENSD_IJSA_SA_EEENS0_18inequality_wrapperIZN2at6native12_GLOBAL__N_124unique_dim_cuda_templateIhEESt5tupleIJNSH_6TensorESM_SM_EERKSM_lbbbEUlllE0_EEPmJS6_EEE10hipError_tPvRmT3_T4_T5_T6_T7_T9_mT8_P12ihipStream_tbDpT10_ENKUlT_T0_E_clISt17integral_constantIbLb0EES1C_EEDaS17_S18_EUlS17_E_NS1_11comp_targetILNS1_3genE9ELNS1_11target_archE1100ELNS1_3gpuE3ELNS1_3repE0EEENS1_30default_config_static_selectorELNS0_4arch9wavefront6targetE0EEEvT1_
    .private_segment_fixed_size: 0
    .sgpr_count:     38
    .sgpr_spill_count: 0
    .symbol:         _ZN7rocprim17ROCPRIM_400000_NS6detail17trampoline_kernelINS0_14default_configENS1_25partition_config_selectorILNS1_17partition_subalgoE8ElNS0_10empty_typeEbEEZZNS1_14partition_implILS5_8ELb0ES3_jPlPS6_PKS6_NS0_5tupleIJS9_S6_EEENSD_IJSA_SA_EEENS0_18inequality_wrapperIZN2at6native12_GLOBAL__N_124unique_dim_cuda_templateIhEESt5tupleIJNSH_6TensorESM_SM_EERKSM_lbbbEUlllE0_EEPmJS6_EEE10hipError_tPvRmT3_T4_T5_T6_T7_T9_mT8_P12ihipStream_tbDpT10_ENKUlT_T0_E_clISt17integral_constantIbLb0EES1C_EEDaS17_S18_EUlS17_E_NS1_11comp_targetILNS1_3genE9ELNS1_11target_archE1100ELNS1_3gpuE3ELNS1_3repE0EEENS1_30default_config_static_selectorELNS0_4arch9wavefront6targetE0EEEvT1_.kd
    .uniform_work_group_size: 1
    .uses_dynamic_stack: false
    .vgpr_count:     52
    .vgpr_spill_count: 0
    .wavefront_size: 32
    .workgroup_processor_mode: 1
  - .args:
      - .offset:         0
        .size:           120
        .value_kind:     by_value
    .group_segment_fixed_size: 0
    .kernarg_segment_align: 8
    .kernarg_segment_size: 120
    .language:       OpenCL C
    .language_version:
      - 2
      - 0
    .max_flat_workgroup_size: 512
    .name:           _ZN7rocprim17ROCPRIM_400000_NS6detail17trampoline_kernelINS0_14default_configENS1_25partition_config_selectorILNS1_17partition_subalgoE8ElNS0_10empty_typeEbEEZZNS1_14partition_implILS5_8ELb0ES3_jPlPS6_PKS6_NS0_5tupleIJS9_S6_EEENSD_IJSA_SA_EEENS0_18inequality_wrapperIZN2at6native12_GLOBAL__N_124unique_dim_cuda_templateIhEESt5tupleIJNSH_6TensorESM_SM_EERKSM_lbbbEUlllE0_EEPmJS6_EEE10hipError_tPvRmT3_T4_T5_T6_T7_T9_mT8_P12ihipStream_tbDpT10_ENKUlT_T0_E_clISt17integral_constantIbLb0EES1C_EEDaS17_S18_EUlS17_E_NS1_11comp_targetILNS1_3genE8ELNS1_11target_archE1030ELNS1_3gpuE2ELNS1_3repE0EEENS1_30default_config_static_selectorELNS0_4arch9wavefront6targetE0EEEvT1_
    .private_segment_fixed_size: 0
    .sgpr_count:     0
    .sgpr_spill_count: 0
    .symbol:         _ZN7rocprim17ROCPRIM_400000_NS6detail17trampoline_kernelINS0_14default_configENS1_25partition_config_selectorILNS1_17partition_subalgoE8ElNS0_10empty_typeEbEEZZNS1_14partition_implILS5_8ELb0ES3_jPlPS6_PKS6_NS0_5tupleIJS9_S6_EEENSD_IJSA_SA_EEENS0_18inequality_wrapperIZN2at6native12_GLOBAL__N_124unique_dim_cuda_templateIhEESt5tupleIJNSH_6TensorESM_SM_EERKSM_lbbbEUlllE0_EEPmJS6_EEE10hipError_tPvRmT3_T4_T5_T6_T7_T9_mT8_P12ihipStream_tbDpT10_ENKUlT_T0_E_clISt17integral_constantIbLb0EES1C_EEDaS17_S18_EUlS17_E_NS1_11comp_targetILNS1_3genE8ELNS1_11target_archE1030ELNS1_3gpuE2ELNS1_3repE0EEENS1_30default_config_static_selectorELNS0_4arch9wavefront6targetE0EEEvT1_.kd
    .uniform_work_group_size: 1
    .uses_dynamic_stack: false
    .vgpr_count:     0
    .vgpr_spill_count: 0
    .wavefront_size: 32
    .workgroup_processor_mode: 1
  - .args:
      - .offset:         0
        .size:           40
        .value_kind:     by_value
    .group_segment_fixed_size: 0
    .kernarg_segment_align: 8
    .kernarg_segment_size: 40
    .language:       OpenCL C
    .language_version:
      - 2
      - 0
    .max_flat_workgroup_size: 128
    .name:           _ZN7rocprim17ROCPRIM_400000_NS6detail17trampoline_kernelINS0_14default_configENS1_25transform_config_selectorImLb1EEEZNS1_14transform_implILb1ES3_S5_PmS7_NS0_8identityIvEEEE10hipError_tT2_T3_mT4_P12ihipStream_tbEUlT_E_NS1_11comp_targetILNS1_3genE0ELNS1_11target_archE4294967295ELNS1_3gpuE0ELNS1_3repE0EEENS1_30default_config_static_selectorELNS0_4arch9wavefront6targetE0EEEvT1_
    .private_segment_fixed_size: 0
    .sgpr_count:     0
    .sgpr_spill_count: 0
    .symbol:         _ZN7rocprim17ROCPRIM_400000_NS6detail17trampoline_kernelINS0_14default_configENS1_25transform_config_selectorImLb1EEEZNS1_14transform_implILb1ES3_S5_PmS7_NS0_8identityIvEEEE10hipError_tT2_T3_mT4_P12ihipStream_tbEUlT_E_NS1_11comp_targetILNS1_3genE0ELNS1_11target_archE4294967295ELNS1_3gpuE0ELNS1_3repE0EEENS1_30default_config_static_selectorELNS0_4arch9wavefront6targetE0EEEvT1_.kd
    .uniform_work_group_size: 1
    .uses_dynamic_stack: false
    .vgpr_count:     0
    .vgpr_spill_count: 0
    .wavefront_size: 32
    .workgroup_processor_mode: 1
  - .args:
      - .offset:         0
        .size:           40
        .value_kind:     by_value
    .group_segment_fixed_size: 0
    .kernarg_segment_align: 8
    .kernarg_segment_size: 40
    .language:       OpenCL C
    .language_version:
      - 2
      - 0
    .max_flat_workgroup_size: 1024
    .name:           _ZN7rocprim17ROCPRIM_400000_NS6detail17trampoline_kernelINS0_14default_configENS1_25transform_config_selectorImLb1EEEZNS1_14transform_implILb1ES3_S5_PmS7_NS0_8identityIvEEEE10hipError_tT2_T3_mT4_P12ihipStream_tbEUlT_E_NS1_11comp_targetILNS1_3genE10ELNS1_11target_archE1201ELNS1_3gpuE5ELNS1_3repE0EEENS1_30default_config_static_selectorELNS0_4arch9wavefront6targetE0EEEvT1_
    .private_segment_fixed_size: 0
    .sgpr_count:     0
    .sgpr_spill_count: 0
    .symbol:         _ZN7rocprim17ROCPRIM_400000_NS6detail17trampoline_kernelINS0_14default_configENS1_25transform_config_selectorImLb1EEEZNS1_14transform_implILb1ES3_S5_PmS7_NS0_8identityIvEEEE10hipError_tT2_T3_mT4_P12ihipStream_tbEUlT_E_NS1_11comp_targetILNS1_3genE10ELNS1_11target_archE1201ELNS1_3gpuE5ELNS1_3repE0EEENS1_30default_config_static_selectorELNS0_4arch9wavefront6targetE0EEEvT1_.kd
    .uniform_work_group_size: 1
    .uses_dynamic_stack: false
    .vgpr_count:     0
    .vgpr_spill_count: 0
    .wavefront_size: 32
    .workgroup_processor_mode: 1
  - .args:
      - .offset:         0
        .size:           40
        .value_kind:     by_value
    .group_segment_fixed_size: 0
    .kernarg_segment_align: 8
    .kernarg_segment_size: 40
    .language:       OpenCL C
    .language_version:
      - 2
      - 0
    .max_flat_workgroup_size: 512
    .name:           _ZN7rocprim17ROCPRIM_400000_NS6detail17trampoline_kernelINS0_14default_configENS1_25transform_config_selectorImLb1EEEZNS1_14transform_implILb1ES3_S5_PmS7_NS0_8identityIvEEEE10hipError_tT2_T3_mT4_P12ihipStream_tbEUlT_E_NS1_11comp_targetILNS1_3genE5ELNS1_11target_archE942ELNS1_3gpuE9ELNS1_3repE0EEENS1_30default_config_static_selectorELNS0_4arch9wavefront6targetE0EEEvT1_
    .private_segment_fixed_size: 0
    .sgpr_count:     0
    .sgpr_spill_count: 0
    .symbol:         _ZN7rocprim17ROCPRIM_400000_NS6detail17trampoline_kernelINS0_14default_configENS1_25transform_config_selectorImLb1EEEZNS1_14transform_implILb1ES3_S5_PmS7_NS0_8identityIvEEEE10hipError_tT2_T3_mT4_P12ihipStream_tbEUlT_E_NS1_11comp_targetILNS1_3genE5ELNS1_11target_archE942ELNS1_3gpuE9ELNS1_3repE0EEENS1_30default_config_static_selectorELNS0_4arch9wavefront6targetE0EEEvT1_.kd
    .uniform_work_group_size: 1
    .uses_dynamic_stack: false
    .vgpr_count:     0
    .vgpr_spill_count: 0
    .wavefront_size: 32
    .workgroup_processor_mode: 1
  - .args:
      - .offset:         0
        .size:           40
        .value_kind:     by_value
    .group_segment_fixed_size: 0
    .kernarg_segment_align: 8
    .kernarg_segment_size: 40
    .language:       OpenCL C
    .language_version:
      - 2
      - 0
    .max_flat_workgroup_size: 1024
    .name:           _ZN7rocprim17ROCPRIM_400000_NS6detail17trampoline_kernelINS0_14default_configENS1_25transform_config_selectorImLb1EEEZNS1_14transform_implILb1ES3_S5_PmS7_NS0_8identityIvEEEE10hipError_tT2_T3_mT4_P12ihipStream_tbEUlT_E_NS1_11comp_targetILNS1_3genE4ELNS1_11target_archE910ELNS1_3gpuE8ELNS1_3repE0EEENS1_30default_config_static_selectorELNS0_4arch9wavefront6targetE0EEEvT1_
    .private_segment_fixed_size: 0
    .sgpr_count:     0
    .sgpr_spill_count: 0
    .symbol:         _ZN7rocprim17ROCPRIM_400000_NS6detail17trampoline_kernelINS0_14default_configENS1_25transform_config_selectorImLb1EEEZNS1_14transform_implILb1ES3_S5_PmS7_NS0_8identityIvEEEE10hipError_tT2_T3_mT4_P12ihipStream_tbEUlT_E_NS1_11comp_targetILNS1_3genE4ELNS1_11target_archE910ELNS1_3gpuE8ELNS1_3repE0EEENS1_30default_config_static_selectorELNS0_4arch9wavefront6targetE0EEEvT1_.kd
    .uniform_work_group_size: 1
    .uses_dynamic_stack: false
    .vgpr_count:     0
    .vgpr_spill_count: 0
    .wavefront_size: 32
    .workgroup_processor_mode: 1
  - .args:
      - .offset:         0
        .size:           40
        .value_kind:     by_value
    .group_segment_fixed_size: 0
    .kernarg_segment_align: 8
    .kernarg_segment_size: 40
    .language:       OpenCL C
    .language_version:
      - 2
      - 0
    .max_flat_workgroup_size: 128
    .name:           _ZN7rocprim17ROCPRIM_400000_NS6detail17trampoline_kernelINS0_14default_configENS1_25transform_config_selectorImLb1EEEZNS1_14transform_implILb1ES3_S5_PmS7_NS0_8identityIvEEEE10hipError_tT2_T3_mT4_P12ihipStream_tbEUlT_E_NS1_11comp_targetILNS1_3genE3ELNS1_11target_archE908ELNS1_3gpuE7ELNS1_3repE0EEENS1_30default_config_static_selectorELNS0_4arch9wavefront6targetE0EEEvT1_
    .private_segment_fixed_size: 0
    .sgpr_count:     0
    .sgpr_spill_count: 0
    .symbol:         _ZN7rocprim17ROCPRIM_400000_NS6detail17trampoline_kernelINS0_14default_configENS1_25transform_config_selectorImLb1EEEZNS1_14transform_implILb1ES3_S5_PmS7_NS0_8identityIvEEEE10hipError_tT2_T3_mT4_P12ihipStream_tbEUlT_E_NS1_11comp_targetILNS1_3genE3ELNS1_11target_archE908ELNS1_3gpuE7ELNS1_3repE0EEENS1_30default_config_static_selectorELNS0_4arch9wavefront6targetE0EEEvT1_.kd
    .uniform_work_group_size: 1
    .uses_dynamic_stack: false
    .vgpr_count:     0
    .vgpr_spill_count: 0
    .wavefront_size: 32
    .workgroup_processor_mode: 1
  - .args:
      - .offset:         0
        .size:           40
        .value_kind:     by_value
    .group_segment_fixed_size: 0
    .kernarg_segment_align: 8
    .kernarg_segment_size: 40
    .language:       OpenCL C
    .language_version:
      - 2
      - 0
    .max_flat_workgroup_size: 512
    .name:           _ZN7rocprim17ROCPRIM_400000_NS6detail17trampoline_kernelINS0_14default_configENS1_25transform_config_selectorImLb1EEEZNS1_14transform_implILb1ES3_S5_PmS7_NS0_8identityIvEEEE10hipError_tT2_T3_mT4_P12ihipStream_tbEUlT_E_NS1_11comp_targetILNS1_3genE2ELNS1_11target_archE906ELNS1_3gpuE6ELNS1_3repE0EEENS1_30default_config_static_selectorELNS0_4arch9wavefront6targetE0EEEvT1_
    .private_segment_fixed_size: 0
    .sgpr_count:     0
    .sgpr_spill_count: 0
    .symbol:         _ZN7rocprim17ROCPRIM_400000_NS6detail17trampoline_kernelINS0_14default_configENS1_25transform_config_selectorImLb1EEEZNS1_14transform_implILb1ES3_S5_PmS7_NS0_8identityIvEEEE10hipError_tT2_T3_mT4_P12ihipStream_tbEUlT_E_NS1_11comp_targetILNS1_3genE2ELNS1_11target_archE906ELNS1_3gpuE6ELNS1_3repE0EEENS1_30default_config_static_selectorELNS0_4arch9wavefront6targetE0EEEvT1_.kd
    .uniform_work_group_size: 1
    .uses_dynamic_stack: false
    .vgpr_count:     0
    .vgpr_spill_count: 0
    .wavefront_size: 32
    .workgroup_processor_mode: 1
  - .args:
      - .offset:         0
        .size:           40
        .value_kind:     by_value
      - .offset:         40
        .size:           4
        .value_kind:     hidden_block_count_x
      - .offset:         44
        .size:           4
        .value_kind:     hidden_block_count_y
      - .offset:         48
        .size:           4
        .value_kind:     hidden_block_count_z
      - .offset:         52
        .size:           2
        .value_kind:     hidden_group_size_x
      - .offset:         54
        .size:           2
        .value_kind:     hidden_group_size_y
      - .offset:         56
        .size:           2
        .value_kind:     hidden_group_size_z
      - .offset:         58
        .size:           2
        .value_kind:     hidden_remainder_x
      - .offset:         60
        .size:           2
        .value_kind:     hidden_remainder_y
      - .offset:         62
        .size:           2
        .value_kind:     hidden_remainder_z
      - .offset:         80
        .size:           8
        .value_kind:     hidden_global_offset_x
      - .offset:         88
        .size:           8
        .value_kind:     hidden_global_offset_y
      - .offset:         96
        .size:           8
        .value_kind:     hidden_global_offset_z
      - .offset:         104
        .size:           2
        .value_kind:     hidden_grid_dims
    .group_segment_fixed_size: 0
    .kernarg_segment_align: 8
    .kernarg_segment_size: 296
    .language:       OpenCL C
    .language_version:
      - 2
      - 0
    .max_flat_workgroup_size: 1024
    .name:           _ZN7rocprim17ROCPRIM_400000_NS6detail17trampoline_kernelINS0_14default_configENS1_25transform_config_selectorImLb1EEEZNS1_14transform_implILb1ES3_S5_PmS7_NS0_8identityIvEEEE10hipError_tT2_T3_mT4_P12ihipStream_tbEUlT_E_NS1_11comp_targetILNS1_3genE9ELNS1_11target_archE1100ELNS1_3gpuE3ELNS1_3repE0EEENS1_30default_config_static_selectorELNS0_4arch9wavefront6targetE0EEEvT1_
    .private_segment_fixed_size: 0
    .sgpr_count:     18
    .sgpr_spill_count: 0
    .symbol:         _ZN7rocprim17ROCPRIM_400000_NS6detail17trampoline_kernelINS0_14default_configENS1_25transform_config_selectorImLb1EEEZNS1_14transform_implILb1ES3_S5_PmS7_NS0_8identityIvEEEE10hipError_tT2_T3_mT4_P12ihipStream_tbEUlT_E_NS1_11comp_targetILNS1_3genE9ELNS1_11target_archE1100ELNS1_3gpuE3ELNS1_3repE0EEENS1_30default_config_static_selectorELNS0_4arch9wavefront6targetE0EEEvT1_.kd
    .uniform_work_group_size: 1
    .uses_dynamic_stack: false
    .vgpr_count:     7
    .vgpr_spill_count: 0
    .wavefront_size: 32
    .workgroup_processor_mode: 1
  - .args:
      - .offset:         0
        .size:           40
        .value_kind:     by_value
    .group_segment_fixed_size: 0
    .kernarg_segment_align: 8
    .kernarg_segment_size: 40
    .language:       OpenCL C
    .language_version:
      - 2
      - 0
    .max_flat_workgroup_size: 1024
    .name:           _ZN7rocprim17ROCPRIM_400000_NS6detail17trampoline_kernelINS0_14default_configENS1_25transform_config_selectorImLb1EEEZNS1_14transform_implILb1ES3_S5_PmS7_NS0_8identityIvEEEE10hipError_tT2_T3_mT4_P12ihipStream_tbEUlT_E_NS1_11comp_targetILNS1_3genE8ELNS1_11target_archE1030ELNS1_3gpuE2ELNS1_3repE0EEENS1_30default_config_static_selectorELNS0_4arch9wavefront6targetE0EEEvT1_
    .private_segment_fixed_size: 0
    .sgpr_count:     0
    .sgpr_spill_count: 0
    .symbol:         _ZN7rocprim17ROCPRIM_400000_NS6detail17trampoline_kernelINS0_14default_configENS1_25transform_config_selectorImLb1EEEZNS1_14transform_implILb1ES3_S5_PmS7_NS0_8identityIvEEEE10hipError_tT2_T3_mT4_P12ihipStream_tbEUlT_E_NS1_11comp_targetILNS1_3genE8ELNS1_11target_archE1030ELNS1_3gpuE2ELNS1_3repE0EEENS1_30default_config_static_selectorELNS0_4arch9wavefront6targetE0EEEvT1_.kd
    .uniform_work_group_size: 1
    .uses_dynamic_stack: false
    .vgpr_count:     0
    .vgpr_spill_count: 0
    .wavefront_size: 32
    .workgroup_processor_mode: 1
  - .args:
      - .address_space:  global
        .offset:         0
        .size:           8
        .value_kind:     global_buffer
      - .offset:         8
        .size:           4
        .value_kind:     by_value
      - .address_space:  global
        .offset:         16
        .size:           8
        .value_kind:     global_buffer
      - .offset:         24
        .size:           4
        .value_kind:     by_value
      - .address_space:  global
        .offset:         32
        .size:           8
        .value_kind:     global_buffer
      - .offset:         40
        .size:           4
        .value_kind:     hidden_block_count_x
      - .offset:         44
        .size:           4
        .value_kind:     hidden_block_count_y
      - .offset:         48
        .size:           4
        .value_kind:     hidden_block_count_z
      - .offset:         52
        .size:           2
        .value_kind:     hidden_group_size_x
      - .offset:         54
        .size:           2
        .value_kind:     hidden_group_size_y
      - .offset:         56
        .size:           2
        .value_kind:     hidden_group_size_z
      - .offset:         58
        .size:           2
        .value_kind:     hidden_remainder_x
      - .offset:         60
        .size:           2
        .value_kind:     hidden_remainder_y
      - .offset:         62
        .size:           2
        .value_kind:     hidden_remainder_z
      - .offset:         80
        .size:           8
        .value_kind:     hidden_global_offset_x
      - .offset:         88
        .size:           8
        .value_kind:     hidden_global_offset_y
      - .offset:         96
        .size:           8
        .value_kind:     hidden_global_offset_z
      - .offset:         104
        .size:           2
        .value_kind:     hidden_grid_dims
    .group_segment_fixed_size: 0
    .kernarg_segment_align: 8
    .kernarg_segment_size: 296
    .language:       OpenCL C
    .language_version:
      - 2
      - 0
    .max_flat_workgroup_size: 256
    .name:           _ZN7rocprim17ROCPRIM_400000_NS6detail31init_lookback_scan_state_kernelINS1_19lookback_scan_stateIjLb1ELb1EEENS1_16block_id_wrapperIjLb1EEEEEvT_jT0_jPNS7_10value_typeE
    .private_segment_fixed_size: 0
    .sgpr_count:     18
    .sgpr_spill_count: 0
    .symbol:         _ZN7rocprim17ROCPRIM_400000_NS6detail31init_lookback_scan_state_kernelINS1_19lookback_scan_stateIjLb1ELb1EEENS1_16block_id_wrapperIjLb1EEEEEvT_jT0_jPNS7_10value_typeE.kd
    .uniform_work_group_size: 1
    .uses_dynamic_stack: false
    .vgpr_count:     6
    .vgpr_spill_count: 0
    .wavefront_size: 32
    .workgroup_processor_mode: 1
  - .args:
      - .offset:         0
        .size:           136
        .value_kind:     by_value
    .group_segment_fixed_size: 0
    .kernarg_segment_align: 8
    .kernarg_segment_size: 136
    .language:       OpenCL C
    .language_version:
      - 2
      - 0
    .max_flat_workgroup_size: 512
    .name:           _ZN7rocprim17ROCPRIM_400000_NS6detail17trampoline_kernelINS0_14default_configENS1_25partition_config_selectorILNS1_17partition_subalgoE8ElNS0_10empty_typeEbEEZZNS1_14partition_implILS5_8ELb0ES3_jPlPS6_PKS6_NS0_5tupleIJS9_S6_EEENSD_IJSA_SA_EEENS0_18inequality_wrapperIZN2at6native12_GLOBAL__N_124unique_dim_cuda_templateIhEESt5tupleIJNSH_6TensorESM_SM_EERKSM_lbbbEUlllE0_EEPmJS6_EEE10hipError_tPvRmT3_T4_T5_T6_T7_T9_mT8_P12ihipStream_tbDpT10_ENKUlT_T0_E_clISt17integral_constantIbLb1EES1C_EEDaS17_S18_EUlS17_E_NS1_11comp_targetILNS1_3genE0ELNS1_11target_archE4294967295ELNS1_3gpuE0ELNS1_3repE0EEENS1_30default_config_static_selectorELNS0_4arch9wavefront6targetE0EEEvT1_
    .private_segment_fixed_size: 0
    .sgpr_count:     0
    .sgpr_spill_count: 0
    .symbol:         _ZN7rocprim17ROCPRIM_400000_NS6detail17trampoline_kernelINS0_14default_configENS1_25partition_config_selectorILNS1_17partition_subalgoE8ElNS0_10empty_typeEbEEZZNS1_14partition_implILS5_8ELb0ES3_jPlPS6_PKS6_NS0_5tupleIJS9_S6_EEENSD_IJSA_SA_EEENS0_18inequality_wrapperIZN2at6native12_GLOBAL__N_124unique_dim_cuda_templateIhEESt5tupleIJNSH_6TensorESM_SM_EERKSM_lbbbEUlllE0_EEPmJS6_EEE10hipError_tPvRmT3_T4_T5_T6_T7_T9_mT8_P12ihipStream_tbDpT10_ENKUlT_T0_E_clISt17integral_constantIbLb1EES1C_EEDaS17_S18_EUlS17_E_NS1_11comp_targetILNS1_3genE0ELNS1_11target_archE4294967295ELNS1_3gpuE0ELNS1_3repE0EEENS1_30default_config_static_selectorELNS0_4arch9wavefront6targetE0EEEvT1_.kd
    .uniform_work_group_size: 1
    .uses_dynamic_stack: false
    .vgpr_count:     0
    .vgpr_spill_count: 0
    .wavefront_size: 32
    .workgroup_processor_mode: 1
  - .args:
      - .offset:         0
        .size:           136
        .value_kind:     by_value
    .group_segment_fixed_size: 0
    .kernarg_segment_align: 8
    .kernarg_segment_size: 136
    .language:       OpenCL C
    .language_version:
      - 2
      - 0
    .max_flat_workgroup_size: 512
    .name:           _ZN7rocprim17ROCPRIM_400000_NS6detail17trampoline_kernelINS0_14default_configENS1_25partition_config_selectorILNS1_17partition_subalgoE8ElNS0_10empty_typeEbEEZZNS1_14partition_implILS5_8ELb0ES3_jPlPS6_PKS6_NS0_5tupleIJS9_S6_EEENSD_IJSA_SA_EEENS0_18inequality_wrapperIZN2at6native12_GLOBAL__N_124unique_dim_cuda_templateIhEESt5tupleIJNSH_6TensorESM_SM_EERKSM_lbbbEUlllE0_EEPmJS6_EEE10hipError_tPvRmT3_T4_T5_T6_T7_T9_mT8_P12ihipStream_tbDpT10_ENKUlT_T0_E_clISt17integral_constantIbLb1EES1C_EEDaS17_S18_EUlS17_E_NS1_11comp_targetILNS1_3genE5ELNS1_11target_archE942ELNS1_3gpuE9ELNS1_3repE0EEENS1_30default_config_static_selectorELNS0_4arch9wavefront6targetE0EEEvT1_
    .private_segment_fixed_size: 0
    .sgpr_count:     0
    .sgpr_spill_count: 0
    .symbol:         _ZN7rocprim17ROCPRIM_400000_NS6detail17trampoline_kernelINS0_14default_configENS1_25partition_config_selectorILNS1_17partition_subalgoE8ElNS0_10empty_typeEbEEZZNS1_14partition_implILS5_8ELb0ES3_jPlPS6_PKS6_NS0_5tupleIJS9_S6_EEENSD_IJSA_SA_EEENS0_18inequality_wrapperIZN2at6native12_GLOBAL__N_124unique_dim_cuda_templateIhEESt5tupleIJNSH_6TensorESM_SM_EERKSM_lbbbEUlllE0_EEPmJS6_EEE10hipError_tPvRmT3_T4_T5_T6_T7_T9_mT8_P12ihipStream_tbDpT10_ENKUlT_T0_E_clISt17integral_constantIbLb1EES1C_EEDaS17_S18_EUlS17_E_NS1_11comp_targetILNS1_3genE5ELNS1_11target_archE942ELNS1_3gpuE9ELNS1_3repE0EEENS1_30default_config_static_selectorELNS0_4arch9wavefront6targetE0EEEvT1_.kd
    .uniform_work_group_size: 1
    .uses_dynamic_stack: false
    .vgpr_count:     0
    .vgpr_spill_count: 0
    .wavefront_size: 32
    .workgroup_processor_mode: 1
  - .args:
      - .offset:         0
        .size:           136
        .value_kind:     by_value
    .group_segment_fixed_size: 0
    .kernarg_segment_align: 8
    .kernarg_segment_size: 136
    .language:       OpenCL C
    .language_version:
      - 2
      - 0
    .max_flat_workgroup_size: 256
    .name:           _ZN7rocprim17ROCPRIM_400000_NS6detail17trampoline_kernelINS0_14default_configENS1_25partition_config_selectorILNS1_17partition_subalgoE8ElNS0_10empty_typeEbEEZZNS1_14partition_implILS5_8ELb0ES3_jPlPS6_PKS6_NS0_5tupleIJS9_S6_EEENSD_IJSA_SA_EEENS0_18inequality_wrapperIZN2at6native12_GLOBAL__N_124unique_dim_cuda_templateIhEESt5tupleIJNSH_6TensorESM_SM_EERKSM_lbbbEUlllE0_EEPmJS6_EEE10hipError_tPvRmT3_T4_T5_T6_T7_T9_mT8_P12ihipStream_tbDpT10_ENKUlT_T0_E_clISt17integral_constantIbLb1EES1C_EEDaS17_S18_EUlS17_E_NS1_11comp_targetILNS1_3genE4ELNS1_11target_archE910ELNS1_3gpuE8ELNS1_3repE0EEENS1_30default_config_static_selectorELNS0_4arch9wavefront6targetE0EEEvT1_
    .private_segment_fixed_size: 0
    .sgpr_count:     0
    .sgpr_spill_count: 0
    .symbol:         _ZN7rocprim17ROCPRIM_400000_NS6detail17trampoline_kernelINS0_14default_configENS1_25partition_config_selectorILNS1_17partition_subalgoE8ElNS0_10empty_typeEbEEZZNS1_14partition_implILS5_8ELb0ES3_jPlPS6_PKS6_NS0_5tupleIJS9_S6_EEENSD_IJSA_SA_EEENS0_18inequality_wrapperIZN2at6native12_GLOBAL__N_124unique_dim_cuda_templateIhEESt5tupleIJNSH_6TensorESM_SM_EERKSM_lbbbEUlllE0_EEPmJS6_EEE10hipError_tPvRmT3_T4_T5_T6_T7_T9_mT8_P12ihipStream_tbDpT10_ENKUlT_T0_E_clISt17integral_constantIbLb1EES1C_EEDaS17_S18_EUlS17_E_NS1_11comp_targetILNS1_3genE4ELNS1_11target_archE910ELNS1_3gpuE8ELNS1_3repE0EEENS1_30default_config_static_selectorELNS0_4arch9wavefront6targetE0EEEvT1_.kd
    .uniform_work_group_size: 1
    .uses_dynamic_stack: false
    .vgpr_count:     0
    .vgpr_spill_count: 0
    .wavefront_size: 32
    .workgroup_processor_mode: 1
  - .args:
      - .offset:         0
        .size:           136
        .value_kind:     by_value
    .group_segment_fixed_size: 0
    .kernarg_segment_align: 8
    .kernarg_segment_size: 136
    .language:       OpenCL C
    .language_version:
      - 2
      - 0
    .max_flat_workgroup_size: 512
    .name:           _ZN7rocprim17ROCPRIM_400000_NS6detail17trampoline_kernelINS0_14default_configENS1_25partition_config_selectorILNS1_17partition_subalgoE8ElNS0_10empty_typeEbEEZZNS1_14partition_implILS5_8ELb0ES3_jPlPS6_PKS6_NS0_5tupleIJS9_S6_EEENSD_IJSA_SA_EEENS0_18inequality_wrapperIZN2at6native12_GLOBAL__N_124unique_dim_cuda_templateIhEESt5tupleIJNSH_6TensorESM_SM_EERKSM_lbbbEUlllE0_EEPmJS6_EEE10hipError_tPvRmT3_T4_T5_T6_T7_T9_mT8_P12ihipStream_tbDpT10_ENKUlT_T0_E_clISt17integral_constantIbLb1EES1C_EEDaS17_S18_EUlS17_E_NS1_11comp_targetILNS1_3genE3ELNS1_11target_archE908ELNS1_3gpuE7ELNS1_3repE0EEENS1_30default_config_static_selectorELNS0_4arch9wavefront6targetE0EEEvT1_
    .private_segment_fixed_size: 0
    .sgpr_count:     0
    .sgpr_spill_count: 0
    .symbol:         _ZN7rocprim17ROCPRIM_400000_NS6detail17trampoline_kernelINS0_14default_configENS1_25partition_config_selectorILNS1_17partition_subalgoE8ElNS0_10empty_typeEbEEZZNS1_14partition_implILS5_8ELb0ES3_jPlPS6_PKS6_NS0_5tupleIJS9_S6_EEENSD_IJSA_SA_EEENS0_18inequality_wrapperIZN2at6native12_GLOBAL__N_124unique_dim_cuda_templateIhEESt5tupleIJNSH_6TensorESM_SM_EERKSM_lbbbEUlllE0_EEPmJS6_EEE10hipError_tPvRmT3_T4_T5_T6_T7_T9_mT8_P12ihipStream_tbDpT10_ENKUlT_T0_E_clISt17integral_constantIbLb1EES1C_EEDaS17_S18_EUlS17_E_NS1_11comp_targetILNS1_3genE3ELNS1_11target_archE908ELNS1_3gpuE7ELNS1_3repE0EEENS1_30default_config_static_selectorELNS0_4arch9wavefront6targetE0EEEvT1_.kd
    .uniform_work_group_size: 1
    .uses_dynamic_stack: false
    .vgpr_count:     0
    .vgpr_spill_count: 0
    .wavefront_size: 32
    .workgroup_processor_mode: 1
  - .args:
      - .offset:         0
        .size:           136
        .value_kind:     by_value
    .group_segment_fixed_size: 0
    .kernarg_segment_align: 8
    .kernarg_segment_size: 136
    .language:       OpenCL C
    .language_version:
      - 2
      - 0
    .max_flat_workgroup_size: 256
    .name:           _ZN7rocprim17ROCPRIM_400000_NS6detail17trampoline_kernelINS0_14default_configENS1_25partition_config_selectorILNS1_17partition_subalgoE8ElNS0_10empty_typeEbEEZZNS1_14partition_implILS5_8ELb0ES3_jPlPS6_PKS6_NS0_5tupleIJS9_S6_EEENSD_IJSA_SA_EEENS0_18inequality_wrapperIZN2at6native12_GLOBAL__N_124unique_dim_cuda_templateIhEESt5tupleIJNSH_6TensorESM_SM_EERKSM_lbbbEUlllE0_EEPmJS6_EEE10hipError_tPvRmT3_T4_T5_T6_T7_T9_mT8_P12ihipStream_tbDpT10_ENKUlT_T0_E_clISt17integral_constantIbLb1EES1C_EEDaS17_S18_EUlS17_E_NS1_11comp_targetILNS1_3genE2ELNS1_11target_archE906ELNS1_3gpuE6ELNS1_3repE0EEENS1_30default_config_static_selectorELNS0_4arch9wavefront6targetE0EEEvT1_
    .private_segment_fixed_size: 0
    .sgpr_count:     0
    .sgpr_spill_count: 0
    .symbol:         _ZN7rocprim17ROCPRIM_400000_NS6detail17trampoline_kernelINS0_14default_configENS1_25partition_config_selectorILNS1_17partition_subalgoE8ElNS0_10empty_typeEbEEZZNS1_14partition_implILS5_8ELb0ES3_jPlPS6_PKS6_NS0_5tupleIJS9_S6_EEENSD_IJSA_SA_EEENS0_18inequality_wrapperIZN2at6native12_GLOBAL__N_124unique_dim_cuda_templateIhEESt5tupleIJNSH_6TensorESM_SM_EERKSM_lbbbEUlllE0_EEPmJS6_EEE10hipError_tPvRmT3_T4_T5_T6_T7_T9_mT8_P12ihipStream_tbDpT10_ENKUlT_T0_E_clISt17integral_constantIbLb1EES1C_EEDaS17_S18_EUlS17_E_NS1_11comp_targetILNS1_3genE2ELNS1_11target_archE906ELNS1_3gpuE6ELNS1_3repE0EEENS1_30default_config_static_selectorELNS0_4arch9wavefront6targetE0EEEvT1_.kd
    .uniform_work_group_size: 1
    .uses_dynamic_stack: false
    .vgpr_count:     0
    .vgpr_spill_count: 0
    .wavefront_size: 32
    .workgroup_processor_mode: 1
  - .args:
      - .offset:         0
        .size:           136
        .value_kind:     by_value
    .group_segment_fixed_size: 0
    .kernarg_segment_align: 8
    .kernarg_segment_size: 136
    .language:       OpenCL C
    .language_version:
      - 2
      - 0
    .max_flat_workgroup_size: 384
    .name:           _ZN7rocprim17ROCPRIM_400000_NS6detail17trampoline_kernelINS0_14default_configENS1_25partition_config_selectorILNS1_17partition_subalgoE8ElNS0_10empty_typeEbEEZZNS1_14partition_implILS5_8ELb0ES3_jPlPS6_PKS6_NS0_5tupleIJS9_S6_EEENSD_IJSA_SA_EEENS0_18inequality_wrapperIZN2at6native12_GLOBAL__N_124unique_dim_cuda_templateIhEESt5tupleIJNSH_6TensorESM_SM_EERKSM_lbbbEUlllE0_EEPmJS6_EEE10hipError_tPvRmT3_T4_T5_T6_T7_T9_mT8_P12ihipStream_tbDpT10_ENKUlT_T0_E_clISt17integral_constantIbLb1EES1C_EEDaS17_S18_EUlS17_E_NS1_11comp_targetILNS1_3genE10ELNS1_11target_archE1200ELNS1_3gpuE4ELNS1_3repE0EEENS1_30default_config_static_selectorELNS0_4arch9wavefront6targetE0EEEvT1_
    .private_segment_fixed_size: 0
    .sgpr_count:     0
    .sgpr_spill_count: 0
    .symbol:         _ZN7rocprim17ROCPRIM_400000_NS6detail17trampoline_kernelINS0_14default_configENS1_25partition_config_selectorILNS1_17partition_subalgoE8ElNS0_10empty_typeEbEEZZNS1_14partition_implILS5_8ELb0ES3_jPlPS6_PKS6_NS0_5tupleIJS9_S6_EEENSD_IJSA_SA_EEENS0_18inequality_wrapperIZN2at6native12_GLOBAL__N_124unique_dim_cuda_templateIhEESt5tupleIJNSH_6TensorESM_SM_EERKSM_lbbbEUlllE0_EEPmJS6_EEE10hipError_tPvRmT3_T4_T5_T6_T7_T9_mT8_P12ihipStream_tbDpT10_ENKUlT_T0_E_clISt17integral_constantIbLb1EES1C_EEDaS17_S18_EUlS17_E_NS1_11comp_targetILNS1_3genE10ELNS1_11target_archE1200ELNS1_3gpuE4ELNS1_3repE0EEENS1_30default_config_static_selectorELNS0_4arch9wavefront6targetE0EEEvT1_.kd
    .uniform_work_group_size: 1
    .uses_dynamic_stack: false
    .vgpr_count:     0
    .vgpr_spill_count: 0
    .wavefront_size: 32
    .workgroup_processor_mode: 1
  - .args:
      - .offset:         0
        .size:           136
        .value_kind:     by_value
    .group_segment_fixed_size: 33804
    .kernarg_segment_align: 8
    .kernarg_segment_size: 136
    .language:       OpenCL C
    .language_version:
      - 2
      - 0
    .max_flat_workgroup_size: 512
    .name:           _ZN7rocprim17ROCPRIM_400000_NS6detail17trampoline_kernelINS0_14default_configENS1_25partition_config_selectorILNS1_17partition_subalgoE8ElNS0_10empty_typeEbEEZZNS1_14partition_implILS5_8ELb0ES3_jPlPS6_PKS6_NS0_5tupleIJS9_S6_EEENSD_IJSA_SA_EEENS0_18inequality_wrapperIZN2at6native12_GLOBAL__N_124unique_dim_cuda_templateIhEESt5tupleIJNSH_6TensorESM_SM_EERKSM_lbbbEUlllE0_EEPmJS6_EEE10hipError_tPvRmT3_T4_T5_T6_T7_T9_mT8_P12ihipStream_tbDpT10_ENKUlT_T0_E_clISt17integral_constantIbLb1EES1C_EEDaS17_S18_EUlS17_E_NS1_11comp_targetILNS1_3genE9ELNS1_11target_archE1100ELNS1_3gpuE3ELNS1_3repE0EEENS1_30default_config_static_selectorELNS0_4arch9wavefront6targetE0EEEvT1_
    .private_segment_fixed_size: 0
    .sgpr_count:     40
    .sgpr_spill_count: 0
    .symbol:         _ZN7rocprim17ROCPRIM_400000_NS6detail17trampoline_kernelINS0_14default_configENS1_25partition_config_selectorILNS1_17partition_subalgoE8ElNS0_10empty_typeEbEEZZNS1_14partition_implILS5_8ELb0ES3_jPlPS6_PKS6_NS0_5tupleIJS9_S6_EEENSD_IJSA_SA_EEENS0_18inequality_wrapperIZN2at6native12_GLOBAL__N_124unique_dim_cuda_templateIhEESt5tupleIJNSH_6TensorESM_SM_EERKSM_lbbbEUlllE0_EEPmJS6_EEE10hipError_tPvRmT3_T4_T5_T6_T7_T9_mT8_P12ihipStream_tbDpT10_ENKUlT_T0_E_clISt17integral_constantIbLb1EES1C_EEDaS17_S18_EUlS17_E_NS1_11comp_targetILNS1_3genE9ELNS1_11target_archE1100ELNS1_3gpuE3ELNS1_3repE0EEENS1_30default_config_static_selectorELNS0_4arch9wavefront6targetE0EEEvT1_.kd
    .uniform_work_group_size: 1
    .uses_dynamic_stack: false
    .vgpr_count:     52
    .vgpr_spill_count: 0
    .wavefront_size: 32
    .workgroup_processor_mode: 1
  - .args:
      - .offset:         0
        .size:           136
        .value_kind:     by_value
    .group_segment_fixed_size: 0
    .kernarg_segment_align: 8
    .kernarg_segment_size: 136
    .language:       OpenCL C
    .language_version:
      - 2
      - 0
    .max_flat_workgroup_size: 512
    .name:           _ZN7rocprim17ROCPRIM_400000_NS6detail17trampoline_kernelINS0_14default_configENS1_25partition_config_selectorILNS1_17partition_subalgoE8ElNS0_10empty_typeEbEEZZNS1_14partition_implILS5_8ELb0ES3_jPlPS6_PKS6_NS0_5tupleIJS9_S6_EEENSD_IJSA_SA_EEENS0_18inequality_wrapperIZN2at6native12_GLOBAL__N_124unique_dim_cuda_templateIhEESt5tupleIJNSH_6TensorESM_SM_EERKSM_lbbbEUlllE0_EEPmJS6_EEE10hipError_tPvRmT3_T4_T5_T6_T7_T9_mT8_P12ihipStream_tbDpT10_ENKUlT_T0_E_clISt17integral_constantIbLb1EES1C_EEDaS17_S18_EUlS17_E_NS1_11comp_targetILNS1_3genE8ELNS1_11target_archE1030ELNS1_3gpuE2ELNS1_3repE0EEENS1_30default_config_static_selectorELNS0_4arch9wavefront6targetE0EEEvT1_
    .private_segment_fixed_size: 0
    .sgpr_count:     0
    .sgpr_spill_count: 0
    .symbol:         _ZN7rocprim17ROCPRIM_400000_NS6detail17trampoline_kernelINS0_14default_configENS1_25partition_config_selectorILNS1_17partition_subalgoE8ElNS0_10empty_typeEbEEZZNS1_14partition_implILS5_8ELb0ES3_jPlPS6_PKS6_NS0_5tupleIJS9_S6_EEENSD_IJSA_SA_EEENS0_18inequality_wrapperIZN2at6native12_GLOBAL__N_124unique_dim_cuda_templateIhEESt5tupleIJNSH_6TensorESM_SM_EERKSM_lbbbEUlllE0_EEPmJS6_EEE10hipError_tPvRmT3_T4_T5_T6_T7_T9_mT8_P12ihipStream_tbDpT10_ENKUlT_T0_E_clISt17integral_constantIbLb1EES1C_EEDaS17_S18_EUlS17_E_NS1_11comp_targetILNS1_3genE8ELNS1_11target_archE1030ELNS1_3gpuE2ELNS1_3repE0EEENS1_30default_config_static_selectorELNS0_4arch9wavefront6targetE0EEEvT1_.kd
    .uniform_work_group_size: 1
    .uses_dynamic_stack: false
    .vgpr_count:     0
    .vgpr_spill_count: 0
    .wavefront_size: 32
    .workgroup_processor_mode: 1
  - .args:
      - .address_space:  global
        .offset:         0
        .size:           8
        .value_kind:     global_buffer
      - .offset:         8
        .size:           4
        .value_kind:     by_value
      - .offset:         12
        .size:           1
        .value_kind:     by_value
      - .offset:         16
        .size:           4
        .value_kind:     by_value
      - .address_space:  global
        .offset:         24
        .size:           8
        .value_kind:     global_buffer
      - .offset:         32
        .size:           4
        .value_kind:     hidden_block_count_x
      - .offset:         36
        .size:           4
        .value_kind:     hidden_block_count_y
      - .offset:         40
        .size:           4
        .value_kind:     hidden_block_count_z
      - .offset:         44
        .size:           2
        .value_kind:     hidden_group_size_x
      - .offset:         46
        .size:           2
        .value_kind:     hidden_group_size_y
      - .offset:         48
        .size:           2
        .value_kind:     hidden_group_size_z
      - .offset:         50
        .size:           2
        .value_kind:     hidden_remainder_x
      - .offset:         52
        .size:           2
        .value_kind:     hidden_remainder_y
      - .offset:         54
        .size:           2
        .value_kind:     hidden_remainder_z
      - .offset:         72
        .size:           8
        .value_kind:     hidden_global_offset_x
      - .offset:         80
        .size:           8
        .value_kind:     hidden_global_offset_y
      - .offset:         88
        .size:           8
        .value_kind:     hidden_global_offset_z
      - .offset:         96
        .size:           2
        .value_kind:     hidden_grid_dims
    .group_segment_fixed_size: 0
    .kernarg_segment_align: 8
    .kernarg_segment_size: 288
    .language:       OpenCL C
    .language_version:
      - 2
      - 0
    .max_flat_workgroup_size: 256
    .name:           _ZN7rocprim17ROCPRIM_400000_NS6detail31init_lookback_scan_state_kernelINS1_19lookback_scan_stateIjLb1ELb1EEENS1_16block_id_wrapperIjLb0EEEEEvT_jT0_jPNS7_10value_typeE
    .private_segment_fixed_size: 0
    .sgpr_count:     18
    .sgpr_spill_count: 0
    .symbol:         _ZN7rocprim17ROCPRIM_400000_NS6detail31init_lookback_scan_state_kernelINS1_19lookback_scan_stateIjLb1ELb1EEENS1_16block_id_wrapperIjLb0EEEEEvT_jT0_jPNS7_10value_typeE.kd
    .uniform_work_group_size: 1
    .uses_dynamic_stack: false
    .vgpr_count:     6
    .vgpr_spill_count: 0
    .wavefront_size: 32
    .workgroup_processor_mode: 1
  - .args:
      - .offset:         0
        .size:           120
        .value_kind:     by_value
    .group_segment_fixed_size: 0
    .kernarg_segment_align: 8
    .kernarg_segment_size: 120
    .language:       OpenCL C
    .language_version:
      - 2
      - 0
    .max_flat_workgroup_size: 512
    .name:           _ZN7rocprim17ROCPRIM_400000_NS6detail17trampoline_kernelINS0_14default_configENS1_25partition_config_selectorILNS1_17partition_subalgoE8ElNS0_10empty_typeEbEEZZNS1_14partition_implILS5_8ELb0ES3_jPlPS6_PKS6_NS0_5tupleIJS9_S6_EEENSD_IJSA_SA_EEENS0_18inequality_wrapperIZN2at6native12_GLOBAL__N_124unique_dim_cuda_templateIhEESt5tupleIJNSH_6TensorESM_SM_EERKSM_lbbbEUlllE0_EEPmJS6_EEE10hipError_tPvRmT3_T4_T5_T6_T7_T9_mT8_P12ihipStream_tbDpT10_ENKUlT_T0_E_clISt17integral_constantIbLb1EES1B_IbLb0EEEEDaS17_S18_EUlS17_E_NS1_11comp_targetILNS1_3genE0ELNS1_11target_archE4294967295ELNS1_3gpuE0ELNS1_3repE0EEENS1_30default_config_static_selectorELNS0_4arch9wavefront6targetE0EEEvT1_
    .private_segment_fixed_size: 0
    .sgpr_count:     0
    .sgpr_spill_count: 0
    .symbol:         _ZN7rocprim17ROCPRIM_400000_NS6detail17trampoline_kernelINS0_14default_configENS1_25partition_config_selectorILNS1_17partition_subalgoE8ElNS0_10empty_typeEbEEZZNS1_14partition_implILS5_8ELb0ES3_jPlPS6_PKS6_NS0_5tupleIJS9_S6_EEENSD_IJSA_SA_EEENS0_18inequality_wrapperIZN2at6native12_GLOBAL__N_124unique_dim_cuda_templateIhEESt5tupleIJNSH_6TensorESM_SM_EERKSM_lbbbEUlllE0_EEPmJS6_EEE10hipError_tPvRmT3_T4_T5_T6_T7_T9_mT8_P12ihipStream_tbDpT10_ENKUlT_T0_E_clISt17integral_constantIbLb1EES1B_IbLb0EEEEDaS17_S18_EUlS17_E_NS1_11comp_targetILNS1_3genE0ELNS1_11target_archE4294967295ELNS1_3gpuE0ELNS1_3repE0EEENS1_30default_config_static_selectorELNS0_4arch9wavefront6targetE0EEEvT1_.kd
    .uniform_work_group_size: 1
    .uses_dynamic_stack: false
    .vgpr_count:     0
    .vgpr_spill_count: 0
    .wavefront_size: 32
    .workgroup_processor_mode: 1
  - .args:
      - .offset:         0
        .size:           120
        .value_kind:     by_value
    .group_segment_fixed_size: 0
    .kernarg_segment_align: 8
    .kernarg_segment_size: 120
    .language:       OpenCL C
    .language_version:
      - 2
      - 0
    .max_flat_workgroup_size: 512
    .name:           _ZN7rocprim17ROCPRIM_400000_NS6detail17trampoline_kernelINS0_14default_configENS1_25partition_config_selectorILNS1_17partition_subalgoE8ElNS0_10empty_typeEbEEZZNS1_14partition_implILS5_8ELb0ES3_jPlPS6_PKS6_NS0_5tupleIJS9_S6_EEENSD_IJSA_SA_EEENS0_18inequality_wrapperIZN2at6native12_GLOBAL__N_124unique_dim_cuda_templateIhEESt5tupleIJNSH_6TensorESM_SM_EERKSM_lbbbEUlllE0_EEPmJS6_EEE10hipError_tPvRmT3_T4_T5_T6_T7_T9_mT8_P12ihipStream_tbDpT10_ENKUlT_T0_E_clISt17integral_constantIbLb1EES1B_IbLb0EEEEDaS17_S18_EUlS17_E_NS1_11comp_targetILNS1_3genE5ELNS1_11target_archE942ELNS1_3gpuE9ELNS1_3repE0EEENS1_30default_config_static_selectorELNS0_4arch9wavefront6targetE0EEEvT1_
    .private_segment_fixed_size: 0
    .sgpr_count:     0
    .sgpr_spill_count: 0
    .symbol:         _ZN7rocprim17ROCPRIM_400000_NS6detail17trampoline_kernelINS0_14default_configENS1_25partition_config_selectorILNS1_17partition_subalgoE8ElNS0_10empty_typeEbEEZZNS1_14partition_implILS5_8ELb0ES3_jPlPS6_PKS6_NS0_5tupleIJS9_S6_EEENSD_IJSA_SA_EEENS0_18inequality_wrapperIZN2at6native12_GLOBAL__N_124unique_dim_cuda_templateIhEESt5tupleIJNSH_6TensorESM_SM_EERKSM_lbbbEUlllE0_EEPmJS6_EEE10hipError_tPvRmT3_T4_T5_T6_T7_T9_mT8_P12ihipStream_tbDpT10_ENKUlT_T0_E_clISt17integral_constantIbLb1EES1B_IbLb0EEEEDaS17_S18_EUlS17_E_NS1_11comp_targetILNS1_3genE5ELNS1_11target_archE942ELNS1_3gpuE9ELNS1_3repE0EEENS1_30default_config_static_selectorELNS0_4arch9wavefront6targetE0EEEvT1_.kd
    .uniform_work_group_size: 1
    .uses_dynamic_stack: false
    .vgpr_count:     0
    .vgpr_spill_count: 0
    .wavefront_size: 32
    .workgroup_processor_mode: 1
  - .args:
      - .offset:         0
        .size:           120
        .value_kind:     by_value
    .group_segment_fixed_size: 0
    .kernarg_segment_align: 8
    .kernarg_segment_size: 120
    .language:       OpenCL C
    .language_version:
      - 2
      - 0
    .max_flat_workgroup_size: 256
    .name:           _ZN7rocprim17ROCPRIM_400000_NS6detail17trampoline_kernelINS0_14default_configENS1_25partition_config_selectorILNS1_17partition_subalgoE8ElNS0_10empty_typeEbEEZZNS1_14partition_implILS5_8ELb0ES3_jPlPS6_PKS6_NS0_5tupleIJS9_S6_EEENSD_IJSA_SA_EEENS0_18inequality_wrapperIZN2at6native12_GLOBAL__N_124unique_dim_cuda_templateIhEESt5tupleIJNSH_6TensorESM_SM_EERKSM_lbbbEUlllE0_EEPmJS6_EEE10hipError_tPvRmT3_T4_T5_T6_T7_T9_mT8_P12ihipStream_tbDpT10_ENKUlT_T0_E_clISt17integral_constantIbLb1EES1B_IbLb0EEEEDaS17_S18_EUlS17_E_NS1_11comp_targetILNS1_3genE4ELNS1_11target_archE910ELNS1_3gpuE8ELNS1_3repE0EEENS1_30default_config_static_selectorELNS0_4arch9wavefront6targetE0EEEvT1_
    .private_segment_fixed_size: 0
    .sgpr_count:     0
    .sgpr_spill_count: 0
    .symbol:         _ZN7rocprim17ROCPRIM_400000_NS6detail17trampoline_kernelINS0_14default_configENS1_25partition_config_selectorILNS1_17partition_subalgoE8ElNS0_10empty_typeEbEEZZNS1_14partition_implILS5_8ELb0ES3_jPlPS6_PKS6_NS0_5tupleIJS9_S6_EEENSD_IJSA_SA_EEENS0_18inequality_wrapperIZN2at6native12_GLOBAL__N_124unique_dim_cuda_templateIhEESt5tupleIJNSH_6TensorESM_SM_EERKSM_lbbbEUlllE0_EEPmJS6_EEE10hipError_tPvRmT3_T4_T5_T6_T7_T9_mT8_P12ihipStream_tbDpT10_ENKUlT_T0_E_clISt17integral_constantIbLb1EES1B_IbLb0EEEEDaS17_S18_EUlS17_E_NS1_11comp_targetILNS1_3genE4ELNS1_11target_archE910ELNS1_3gpuE8ELNS1_3repE0EEENS1_30default_config_static_selectorELNS0_4arch9wavefront6targetE0EEEvT1_.kd
    .uniform_work_group_size: 1
    .uses_dynamic_stack: false
    .vgpr_count:     0
    .vgpr_spill_count: 0
    .wavefront_size: 32
    .workgroup_processor_mode: 1
  - .args:
      - .offset:         0
        .size:           120
        .value_kind:     by_value
    .group_segment_fixed_size: 0
    .kernarg_segment_align: 8
    .kernarg_segment_size: 120
    .language:       OpenCL C
    .language_version:
      - 2
      - 0
    .max_flat_workgroup_size: 512
    .name:           _ZN7rocprim17ROCPRIM_400000_NS6detail17trampoline_kernelINS0_14default_configENS1_25partition_config_selectorILNS1_17partition_subalgoE8ElNS0_10empty_typeEbEEZZNS1_14partition_implILS5_8ELb0ES3_jPlPS6_PKS6_NS0_5tupleIJS9_S6_EEENSD_IJSA_SA_EEENS0_18inequality_wrapperIZN2at6native12_GLOBAL__N_124unique_dim_cuda_templateIhEESt5tupleIJNSH_6TensorESM_SM_EERKSM_lbbbEUlllE0_EEPmJS6_EEE10hipError_tPvRmT3_T4_T5_T6_T7_T9_mT8_P12ihipStream_tbDpT10_ENKUlT_T0_E_clISt17integral_constantIbLb1EES1B_IbLb0EEEEDaS17_S18_EUlS17_E_NS1_11comp_targetILNS1_3genE3ELNS1_11target_archE908ELNS1_3gpuE7ELNS1_3repE0EEENS1_30default_config_static_selectorELNS0_4arch9wavefront6targetE0EEEvT1_
    .private_segment_fixed_size: 0
    .sgpr_count:     0
    .sgpr_spill_count: 0
    .symbol:         _ZN7rocprim17ROCPRIM_400000_NS6detail17trampoline_kernelINS0_14default_configENS1_25partition_config_selectorILNS1_17partition_subalgoE8ElNS0_10empty_typeEbEEZZNS1_14partition_implILS5_8ELb0ES3_jPlPS6_PKS6_NS0_5tupleIJS9_S6_EEENSD_IJSA_SA_EEENS0_18inequality_wrapperIZN2at6native12_GLOBAL__N_124unique_dim_cuda_templateIhEESt5tupleIJNSH_6TensorESM_SM_EERKSM_lbbbEUlllE0_EEPmJS6_EEE10hipError_tPvRmT3_T4_T5_T6_T7_T9_mT8_P12ihipStream_tbDpT10_ENKUlT_T0_E_clISt17integral_constantIbLb1EES1B_IbLb0EEEEDaS17_S18_EUlS17_E_NS1_11comp_targetILNS1_3genE3ELNS1_11target_archE908ELNS1_3gpuE7ELNS1_3repE0EEENS1_30default_config_static_selectorELNS0_4arch9wavefront6targetE0EEEvT1_.kd
    .uniform_work_group_size: 1
    .uses_dynamic_stack: false
    .vgpr_count:     0
    .vgpr_spill_count: 0
    .wavefront_size: 32
    .workgroup_processor_mode: 1
  - .args:
      - .offset:         0
        .size:           120
        .value_kind:     by_value
    .group_segment_fixed_size: 0
    .kernarg_segment_align: 8
    .kernarg_segment_size: 120
    .language:       OpenCL C
    .language_version:
      - 2
      - 0
    .max_flat_workgroup_size: 256
    .name:           _ZN7rocprim17ROCPRIM_400000_NS6detail17trampoline_kernelINS0_14default_configENS1_25partition_config_selectorILNS1_17partition_subalgoE8ElNS0_10empty_typeEbEEZZNS1_14partition_implILS5_8ELb0ES3_jPlPS6_PKS6_NS0_5tupleIJS9_S6_EEENSD_IJSA_SA_EEENS0_18inequality_wrapperIZN2at6native12_GLOBAL__N_124unique_dim_cuda_templateIhEESt5tupleIJNSH_6TensorESM_SM_EERKSM_lbbbEUlllE0_EEPmJS6_EEE10hipError_tPvRmT3_T4_T5_T6_T7_T9_mT8_P12ihipStream_tbDpT10_ENKUlT_T0_E_clISt17integral_constantIbLb1EES1B_IbLb0EEEEDaS17_S18_EUlS17_E_NS1_11comp_targetILNS1_3genE2ELNS1_11target_archE906ELNS1_3gpuE6ELNS1_3repE0EEENS1_30default_config_static_selectorELNS0_4arch9wavefront6targetE0EEEvT1_
    .private_segment_fixed_size: 0
    .sgpr_count:     0
    .sgpr_spill_count: 0
    .symbol:         _ZN7rocprim17ROCPRIM_400000_NS6detail17trampoline_kernelINS0_14default_configENS1_25partition_config_selectorILNS1_17partition_subalgoE8ElNS0_10empty_typeEbEEZZNS1_14partition_implILS5_8ELb0ES3_jPlPS6_PKS6_NS0_5tupleIJS9_S6_EEENSD_IJSA_SA_EEENS0_18inequality_wrapperIZN2at6native12_GLOBAL__N_124unique_dim_cuda_templateIhEESt5tupleIJNSH_6TensorESM_SM_EERKSM_lbbbEUlllE0_EEPmJS6_EEE10hipError_tPvRmT3_T4_T5_T6_T7_T9_mT8_P12ihipStream_tbDpT10_ENKUlT_T0_E_clISt17integral_constantIbLb1EES1B_IbLb0EEEEDaS17_S18_EUlS17_E_NS1_11comp_targetILNS1_3genE2ELNS1_11target_archE906ELNS1_3gpuE6ELNS1_3repE0EEENS1_30default_config_static_selectorELNS0_4arch9wavefront6targetE0EEEvT1_.kd
    .uniform_work_group_size: 1
    .uses_dynamic_stack: false
    .vgpr_count:     0
    .vgpr_spill_count: 0
    .wavefront_size: 32
    .workgroup_processor_mode: 1
  - .args:
      - .offset:         0
        .size:           120
        .value_kind:     by_value
    .group_segment_fixed_size: 0
    .kernarg_segment_align: 8
    .kernarg_segment_size: 120
    .language:       OpenCL C
    .language_version:
      - 2
      - 0
    .max_flat_workgroup_size: 384
    .name:           _ZN7rocprim17ROCPRIM_400000_NS6detail17trampoline_kernelINS0_14default_configENS1_25partition_config_selectorILNS1_17partition_subalgoE8ElNS0_10empty_typeEbEEZZNS1_14partition_implILS5_8ELb0ES3_jPlPS6_PKS6_NS0_5tupleIJS9_S6_EEENSD_IJSA_SA_EEENS0_18inequality_wrapperIZN2at6native12_GLOBAL__N_124unique_dim_cuda_templateIhEESt5tupleIJNSH_6TensorESM_SM_EERKSM_lbbbEUlllE0_EEPmJS6_EEE10hipError_tPvRmT3_T4_T5_T6_T7_T9_mT8_P12ihipStream_tbDpT10_ENKUlT_T0_E_clISt17integral_constantIbLb1EES1B_IbLb0EEEEDaS17_S18_EUlS17_E_NS1_11comp_targetILNS1_3genE10ELNS1_11target_archE1200ELNS1_3gpuE4ELNS1_3repE0EEENS1_30default_config_static_selectorELNS0_4arch9wavefront6targetE0EEEvT1_
    .private_segment_fixed_size: 0
    .sgpr_count:     0
    .sgpr_spill_count: 0
    .symbol:         _ZN7rocprim17ROCPRIM_400000_NS6detail17trampoline_kernelINS0_14default_configENS1_25partition_config_selectorILNS1_17partition_subalgoE8ElNS0_10empty_typeEbEEZZNS1_14partition_implILS5_8ELb0ES3_jPlPS6_PKS6_NS0_5tupleIJS9_S6_EEENSD_IJSA_SA_EEENS0_18inequality_wrapperIZN2at6native12_GLOBAL__N_124unique_dim_cuda_templateIhEESt5tupleIJNSH_6TensorESM_SM_EERKSM_lbbbEUlllE0_EEPmJS6_EEE10hipError_tPvRmT3_T4_T5_T6_T7_T9_mT8_P12ihipStream_tbDpT10_ENKUlT_T0_E_clISt17integral_constantIbLb1EES1B_IbLb0EEEEDaS17_S18_EUlS17_E_NS1_11comp_targetILNS1_3genE10ELNS1_11target_archE1200ELNS1_3gpuE4ELNS1_3repE0EEENS1_30default_config_static_selectorELNS0_4arch9wavefront6targetE0EEEvT1_.kd
    .uniform_work_group_size: 1
    .uses_dynamic_stack: false
    .vgpr_count:     0
    .vgpr_spill_count: 0
    .wavefront_size: 32
    .workgroup_processor_mode: 1
  - .args:
      - .offset:         0
        .size:           120
        .value_kind:     by_value
    .group_segment_fixed_size: 33804
    .kernarg_segment_align: 8
    .kernarg_segment_size: 120
    .language:       OpenCL C
    .language_version:
      - 2
      - 0
    .max_flat_workgroup_size: 512
    .name:           _ZN7rocprim17ROCPRIM_400000_NS6detail17trampoline_kernelINS0_14default_configENS1_25partition_config_selectorILNS1_17partition_subalgoE8ElNS0_10empty_typeEbEEZZNS1_14partition_implILS5_8ELb0ES3_jPlPS6_PKS6_NS0_5tupleIJS9_S6_EEENSD_IJSA_SA_EEENS0_18inequality_wrapperIZN2at6native12_GLOBAL__N_124unique_dim_cuda_templateIhEESt5tupleIJNSH_6TensorESM_SM_EERKSM_lbbbEUlllE0_EEPmJS6_EEE10hipError_tPvRmT3_T4_T5_T6_T7_T9_mT8_P12ihipStream_tbDpT10_ENKUlT_T0_E_clISt17integral_constantIbLb1EES1B_IbLb0EEEEDaS17_S18_EUlS17_E_NS1_11comp_targetILNS1_3genE9ELNS1_11target_archE1100ELNS1_3gpuE3ELNS1_3repE0EEENS1_30default_config_static_selectorELNS0_4arch9wavefront6targetE0EEEvT1_
    .private_segment_fixed_size: 0
    .sgpr_count:     38
    .sgpr_spill_count: 0
    .symbol:         _ZN7rocprim17ROCPRIM_400000_NS6detail17trampoline_kernelINS0_14default_configENS1_25partition_config_selectorILNS1_17partition_subalgoE8ElNS0_10empty_typeEbEEZZNS1_14partition_implILS5_8ELb0ES3_jPlPS6_PKS6_NS0_5tupleIJS9_S6_EEENSD_IJSA_SA_EEENS0_18inequality_wrapperIZN2at6native12_GLOBAL__N_124unique_dim_cuda_templateIhEESt5tupleIJNSH_6TensorESM_SM_EERKSM_lbbbEUlllE0_EEPmJS6_EEE10hipError_tPvRmT3_T4_T5_T6_T7_T9_mT8_P12ihipStream_tbDpT10_ENKUlT_T0_E_clISt17integral_constantIbLb1EES1B_IbLb0EEEEDaS17_S18_EUlS17_E_NS1_11comp_targetILNS1_3genE9ELNS1_11target_archE1100ELNS1_3gpuE3ELNS1_3repE0EEENS1_30default_config_static_selectorELNS0_4arch9wavefront6targetE0EEEvT1_.kd
    .uniform_work_group_size: 1
    .uses_dynamic_stack: false
    .vgpr_count:     52
    .vgpr_spill_count: 0
    .wavefront_size: 32
    .workgroup_processor_mode: 1
  - .args:
      - .offset:         0
        .size:           120
        .value_kind:     by_value
    .group_segment_fixed_size: 0
    .kernarg_segment_align: 8
    .kernarg_segment_size: 120
    .language:       OpenCL C
    .language_version:
      - 2
      - 0
    .max_flat_workgroup_size: 512
    .name:           _ZN7rocprim17ROCPRIM_400000_NS6detail17trampoline_kernelINS0_14default_configENS1_25partition_config_selectorILNS1_17partition_subalgoE8ElNS0_10empty_typeEbEEZZNS1_14partition_implILS5_8ELb0ES3_jPlPS6_PKS6_NS0_5tupleIJS9_S6_EEENSD_IJSA_SA_EEENS0_18inequality_wrapperIZN2at6native12_GLOBAL__N_124unique_dim_cuda_templateIhEESt5tupleIJNSH_6TensorESM_SM_EERKSM_lbbbEUlllE0_EEPmJS6_EEE10hipError_tPvRmT3_T4_T5_T6_T7_T9_mT8_P12ihipStream_tbDpT10_ENKUlT_T0_E_clISt17integral_constantIbLb1EES1B_IbLb0EEEEDaS17_S18_EUlS17_E_NS1_11comp_targetILNS1_3genE8ELNS1_11target_archE1030ELNS1_3gpuE2ELNS1_3repE0EEENS1_30default_config_static_selectorELNS0_4arch9wavefront6targetE0EEEvT1_
    .private_segment_fixed_size: 0
    .sgpr_count:     0
    .sgpr_spill_count: 0
    .symbol:         _ZN7rocprim17ROCPRIM_400000_NS6detail17trampoline_kernelINS0_14default_configENS1_25partition_config_selectorILNS1_17partition_subalgoE8ElNS0_10empty_typeEbEEZZNS1_14partition_implILS5_8ELb0ES3_jPlPS6_PKS6_NS0_5tupleIJS9_S6_EEENSD_IJSA_SA_EEENS0_18inequality_wrapperIZN2at6native12_GLOBAL__N_124unique_dim_cuda_templateIhEESt5tupleIJNSH_6TensorESM_SM_EERKSM_lbbbEUlllE0_EEPmJS6_EEE10hipError_tPvRmT3_T4_T5_T6_T7_T9_mT8_P12ihipStream_tbDpT10_ENKUlT_T0_E_clISt17integral_constantIbLb1EES1B_IbLb0EEEEDaS17_S18_EUlS17_E_NS1_11comp_targetILNS1_3genE8ELNS1_11target_archE1030ELNS1_3gpuE2ELNS1_3repE0EEENS1_30default_config_static_selectorELNS0_4arch9wavefront6targetE0EEEvT1_.kd
    .uniform_work_group_size: 1
    .uses_dynamic_stack: false
    .vgpr_count:     0
    .vgpr_spill_count: 0
    .wavefront_size: 32
    .workgroup_processor_mode: 1
  - .args:
      - .address_space:  global
        .offset:         0
        .size:           8
        .value_kind:     global_buffer
      - .offset:         8
        .size:           4
        .value_kind:     by_value
      - .address_space:  global
        .offset:         16
        .size:           8
        .value_kind:     global_buffer
      - .offset:         24
        .size:           4
        .value_kind:     by_value
      - .address_space:  global
        .offset:         32
        .size:           8
        .value_kind:     global_buffer
      - .offset:         40
        .size:           4
        .value_kind:     hidden_block_count_x
      - .offset:         44
        .size:           4
        .value_kind:     hidden_block_count_y
      - .offset:         48
        .size:           4
        .value_kind:     hidden_block_count_z
      - .offset:         52
        .size:           2
        .value_kind:     hidden_group_size_x
      - .offset:         54
        .size:           2
        .value_kind:     hidden_group_size_y
      - .offset:         56
        .size:           2
        .value_kind:     hidden_group_size_z
      - .offset:         58
        .size:           2
        .value_kind:     hidden_remainder_x
      - .offset:         60
        .size:           2
        .value_kind:     hidden_remainder_y
      - .offset:         62
        .size:           2
        .value_kind:     hidden_remainder_z
      - .offset:         80
        .size:           8
        .value_kind:     hidden_global_offset_x
      - .offset:         88
        .size:           8
        .value_kind:     hidden_global_offset_y
      - .offset:         96
        .size:           8
        .value_kind:     hidden_global_offset_z
      - .offset:         104
        .size:           2
        .value_kind:     hidden_grid_dims
    .group_segment_fixed_size: 0
    .kernarg_segment_align: 8
    .kernarg_segment_size: 296
    .language:       OpenCL C
    .language_version:
      - 2
      - 0
    .max_flat_workgroup_size: 256
    .name:           _ZN7rocprim17ROCPRIM_400000_NS6detail31init_lookback_scan_state_kernelINS1_19lookback_scan_stateIjLb0ELb1EEENS1_16block_id_wrapperIjLb1EEEEEvT_jT0_jPNS7_10value_typeE
    .private_segment_fixed_size: 0
    .sgpr_count:     18
    .sgpr_spill_count: 0
    .symbol:         _ZN7rocprim17ROCPRIM_400000_NS6detail31init_lookback_scan_state_kernelINS1_19lookback_scan_stateIjLb0ELb1EEENS1_16block_id_wrapperIjLb1EEEEEvT_jT0_jPNS7_10value_typeE.kd
    .uniform_work_group_size: 1
    .uses_dynamic_stack: false
    .vgpr_count:     6
    .vgpr_spill_count: 0
    .wavefront_size: 32
    .workgroup_processor_mode: 1
  - .args:
      - .offset:         0
        .size:           136
        .value_kind:     by_value
    .group_segment_fixed_size: 0
    .kernarg_segment_align: 8
    .kernarg_segment_size: 136
    .language:       OpenCL C
    .language_version:
      - 2
      - 0
    .max_flat_workgroup_size: 512
    .name:           _ZN7rocprim17ROCPRIM_400000_NS6detail17trampoline_kernelINS0_14default_configENS1_25partition_config_selectorILNS1_17partition_subalgoE8ElNS0_10empty_typeEbEEZZNS1_14partition_implILS5_8ELb0ES3_jPlPS6_PKS6_NS0_5tupleIJS9_S6_EEENSD_IJSA_SA_EEENS0_18inequality_wrapperIZN2at6native12_GLOBAL__N_124unique_dim_cuda_templateIhEESt5tupleIJNSH_6TensorESM_SM_EERKSM_lbbbEUlllE0_EEPmJS6_EEE10hipError_tPvRmT3_T4_T5_T6_T7_T9_mT8_P12ihipStream_tbDpT10_ENKUlT_T0_E_clISt17integral_constantIbLb0EES1B_IbLb1EEEEDaS17_S18_EUlS17_E_NS1_11comp_targetILNS1_3genE0ELNS1_11target_archE4294967295ELNS1_3gpuE0ELNS1_3repE0EEENS1_30default_config_static_selectorELNS0_4arch9wavefront6targetE0EEEvT1_
    .private_segment_fixed_size: 0
    .sgpr_count:     0
    .sgpr_spill_count: 0
    .symbol:         _ZN7rocprim17ROCPRIM_400000_NS6detail17trampoline_kernelINS0_14default_configENS1_25partition_config_selectorILNS1_17partition_subalgoE8ElNS0_10empty_typeEbEEZZNS1_14partition_implILS5_8ELb0ES3_jPlPS6_PKS6_NS0_5tupleIJS9_S6_EEENSD_IJSA_SA_EEENS0_18inequality_wrapperIZN2at6native12_GLOBAL__N_124unique_dim_cuda_templateIhEESt5tupleIJNSH_6TensorESM_SM_EERKSM_lbbbEUlllE0_EEPmJS6_EEE10hipError_tPvRmT3_T4_T5_T6_T7_T9_mT8_P12ihipStream_tbDpT10_ENKUlT_T0_E_clISt17integral_constantIbLb0EES1B_IbLb1EEEEDaS17_S18_EUlS17_E_NS1_11comp_targetILNS1_3genE0ELNS1_11target_archE4294967295ELNS1_3gpuE0ELNS1_3repE0EEENS1_30default_config_static_selectorELNS0_4arch9wavefront6targetE0EEEvT1_.kd
    .uniform_work_group_size: 1
    .uses_dynamic_stack: false
    .vgpr_count:     0
    .vgpr_spill_count: 0
    .wavefront_size: 32
    .workgroup_processor_mode: 1
  - .args:
      - .offset:         0
        .size:           136
        .value_kind:     by_value
    .group_segment_fixed_size: 0
    .kernarg_segment_align: 8
    .kernarg_segment_size: 136
    .language:       OpenCL C
    .language_version:
      - 2
      - 0
    .max_flat_workgroup_size: 512
    .name:           _ZN7rocprim17ROCPRIM_400000_NS6detail17trampoline_kernelINS0_14default_configENS1_25partition_config_selectorILNS1_17partition_subalgoE8ElNS0_10empty_typeEbEEZZNS1_14partition_implILS5_8ELb0ES3_jPlPS6_PKS6_NS0_5tupleIJS9_S6_EEENSD_IJSA_SA_EEENS0_18inequality_wrapperIZN2at6native12_GLOBAL__N_124unique_dim_cuda_templateIhEESt5tupleIJNSH_6TensorESM_SM_EERKSM_lbbbEUlllE0_EEPmJS6_EEE10hipError_tPvRmT3_T4_T5_T6_T7_T9_mT8_P12ihipStream_tbDpT10_ENKUlT_T0_E_clISt17integral_constantIbLb0EES1B_IbLb1EEEEDaS17_S18_EUlS17_E_NS1_11comp_targetILNS1_3genE5ELNS1_11target_archE942ELNS1_3gpuE9ELNS1_3repE0EEENS1_30default_config_static_selectorELNS0_4arch9wavefront6targetE0EEEvT1_
    .private_segment_fixed_size: 0
    .sgpr_count:     0
    .sgpr_spill_count: 0
    .symbol:         _ZN7rocprim17ROCPRIM_400000_NS6detail17trampoline_kernelINS0_14default_configENS1_25partition_config_selectorILNS1_17partition_subalgoE8ElNS0_10empty_typeEbEEZZNS1_14partition_implILS5_8ELb0ES3_jPlPS6_PKS6_NS0_5tupleIJS9_S6_EEENSD_IJSA_SA_EEENS0_18inequality_wrapperIZN2at6native12_GLOBAL__N_124unique_dim_cuda_templateIhEESt5tupleIJNSH_6TensorESM_SM_EERKSM_lbbbEUlllE0_EEPmJS6_EEE10hipError_tPvRmT3_T4_T5_T6_T7_T9_mT8_P12ihipStream_tbDpT10_ENKUlT_T0_E_clISt17integral_constantIbLb0EES1B_IbLb1EEEEDaS17_S18_EUlS17_E_NS1_11comp_targetILNS1_3genE5ELNS1_11target_archE942ELNS1_3gpuE9ELNS1_3repE0EEENS1_30default_config_static_selectorELNS0_4arch9wavefront6targetE0EEEvT1_.kd
    .uniform_work_group_size: 1
    .uses_dynamic_stack: false
    .vgpr_count:     0
    .vgpr_spill_count: 0
    .wavefront_size: 32
    .workgroup_processor_mode: 1
  - .args:
      - .offset:         0
        .size:           136
        .value_kind:     by_value
    .group_segment_fixed_size: 0
    .kernarg_segment_align: 8
    .kernarg_segment_size: 136
    .language:       OpenCL C
    .language_version:
      - 2
      - 0
    .max_flat_workgroup_size: 256
    .name:           _ZN7rocprim17ROCPRIM_400000_NS6detail17trampoline_kernelINS0_14default_configENS1_25partition_config_selectorILNS1_17partition_subalgoE8ElNS0_10empty_typeEbEEZZNS1_14partition_implILS5_8ELb0ES3_jPlPS6_PKS6_NS0_5tupleIJS9_S6_EEENSD_IJSA_SA_EEENS0_18inequality_wrapperIZN2at6native12_GLOBAL__N_124unique_dim_cuda_templateIhEESt5tupleIJNSH_6TensorESM_SM_EERKSM_lbbbEUlllE0_EEPmJS6_EEE10hipError_tPvRmT3_T4_T5_T6_T7_T9_mT8_P12ihipStream_tbDpT10_ENKUlT_T0_E_clISt17integral_constantIbLb0EES1B_IbLb1EEEEDaS17_S18_EUlS17_E_NS1_11comp_targetILNS1_3genE4ELNS1_11target_archE910ELNS1_3gpuE8ELNS1_3repE0EEENS1_30default_config_static_selectorELNS0_4arch9wavefront6targetE0EEEvT1_
    .private_segment_fixed_size: 0
    .sgpr_count:     0
    .sgpr_spill_count: 0
    .symbol:         _ZN7rocprim17ROCPRIM_400000_NS6detail17trampoline_kernelINS0_14default_configENS1_25partition_config_selectorILNS1_17partition_subalgoE8ElNS0_10empty_typeEbEEZZNS1_14partition_implILS5_8ELb0ES3_jPlPS6_PKS6_NS0_5tupleIJS9_S6_EEENSD_IJSA_SA_EEENS0_18inequality_wrapperIZN2at6native12_GLOBAL__N_124unique_dim_cuda_templateIhEESt5tupleIJNSH_6TensorESM_SM_EERKSM_lbbbEUlllE0_EEPmJS6_EEE10hipError_tPvRmT3_T4_T5_T6_T7_T9_mT8_P12ihipStream_tbDpT10_ENKUlT_T0_E_clISt17integral_constantIbLb0EES1B_IbLb1EEEEDaS17_S18_EUlS17_E_NS1_11comp_targetILNS1_3genE4ELNS1_11target_archE910ELNS1_3gpuE8ELNS1_3repE0EEENS1_30default_config_static_selectorELNS0_4arch9wavefront6targetE0EEEvT1_.kd
    .uniform_work_group_size: 1
    .uses_dynamic_stack: false
    .vgpr_count:     0
    .vgpr_spill_count: 0
    .wavefront_size: 32
    .workgroup_processor_mode: 1
  - .args:
      - .offset:         0
        .size:           136
        .value_kind:     by_value
    .group_segment_fixed_size: 0
    .kernarg_segment_align: 8
    .kernarg_segment_size: 136
    .language:       OpenCL C
    .language_version:
      - 2
      - 0
    .max_flat_workgroup_size: 512
    .name:           _ZN7rocprim17ROCPRIM_400000_NS6detail17trampoline_kernelINS0_14default_configENS1_25partition_config_selectorILNS1_17partition_subalgoE8ElNS0_10empty_typeEbEEZZNS1_14partition_implILS5_8ELb0ES3_jPlPS6_PKS6_NS0_5tupleIJS9_S6_EEENSD_IJSA_SA_EEENS0_18inequality_wrapperIZN2at6native12_GLOBAL__N_124unique_dim_cuda_templateIhEESt5tupleIJNSH_6TensorESM_SM_EERKSM_lbbbEUlllE0_EEPmJS6_EEE10hipError_tPvRmT3_T4_T5_T6_T7_T9_mT8_P12ihipStream_tbDpT10_ENKUlT_T0_E_clISt17integral_constantIbLb0EES1B_IbLb1EEEEDaS17_S18_EUlS17_E_NS1_11comp_targetILNS1_3genE3ELNS1_11target_archE908ELNS1_3gpuE7ELNS1_3repE0EEENS1_30default_config_static_selectorELNS0_4arch9wavefront6targetE0EEEvT1_
    .private_segment_fixed_size: 0
    .sgpr_count:     0
    .sgpr_spill_count: 0
    .symbol:         _ZN7rocprim17ROCPRIM_400000_NS6detail17trampoline_kernelINS0_14default_configENS1_25partition_config_selectorILNS1_17partition_subalgoE8ElNS0_10empty_typeEbEEZZNS1_14partition_implILS5_8ELb0ES3_jPlPS6_PKS6_NS0_5tupleIJS9_S6_EEENSD_IJSA_SA_EEENS0_18inequality_wrapperIZN2at6native12_GLOBAL__N_124unique_dim_cuda_templateIhEESt5tupleIJNSH_6TensorESM_SM_EERKSM_lbbbEUlllE0_EEPmJS6_EEE10hipError_tPvRmT3_T4_T5_T6_T7_T9_mT8_P12ihipStream_tbDpT10_ENKUlT_T0_E_clISt17integral_constantIbLb0EES1B_IbLb1EEEEDaS17_S18_EUlS17_E_NS1_11comp_targetILNS1_3genE3ELNS1_11target_archE908ELNS1_3gpuE7ELNS1_3repE0EEENS1_30default_config_static_selectorELNS0_4arch9wavefront6targetE0EEEvT1_.kd
    .uniform_work_group_size: 1
    .uses_dynamic_stack: false
    .vgpr_count:     0
    .vgpr_spill_count: 0
    .wavefront_size: 32
    .workgroup_processor_mode: 1
  - .args:
      - .offset:         0
        .size:           136
        .value_kind:     by_value
    .group_segment_fixed_size: 0
    .kernarg_segment_align: 8
    .kernarg_segment_size: 136
    .language:       OpenCL C
    .language_version:
      - 2
      - 0
    .max_flat_workgroup_size: 256
    .name:           _ZN7rocprim17ROCPRIM_400000_NS6detail17trampoline_kernelINS0_14default_configENS1_25partition_config_selectorILNS1_17partition_subalgoE8ElNS0_10empty_typeEbEEZZNS1_14partition_implILS5_8ELb0ES3_jPlPS6_PKS6_NS0_5tupleIJS9_S6_EEENSD_IJSA_SA_EEENS0_18inequality_wrapperIZN2at6native12_GLOBAL__N_124unique_dim_cuda_templateIhEESt5tupleIJNSH_6TensorESM_SM_EERKSM_lbbbEUlllE0_EEPmJS6_EEE10hipError_tPvRmT3_T4_T5_T6_T7_T9_mT8_P12ihipStream_tbDpT10_ENKUlT_T0_E_clISt17integral_constantIbLb0EES1B_IbLb1EEEEDaS17_S18_EUlS17_E_NS1_11comp_targetILNS1_3genE2ELNS1_11target_archE906ELNS1_3gpuE6ELNS1_3repE0EEENS1_30default_config_static_selectorELNS0_4arch9wavefront6targetE0EEEvT1_
    .private_segment_fixed_size: 0
    .sgpr_count:     0
    .sgpr_spill_count: 0
    .symbol:         _ZN7rocprim17ROCPRIM_400000_NS6detail17trampoline_kernelINS0_14default_configENS1_25partition_config_selectorILNS1_17partition_subalgoE8ElNS0_10empty_typeEbEEZZNS1_14partition_implILS5_8ELb0ES3_jPlPS6_PKS6_NS0_5tupleIJS9_S6_EEENSD_IJSA_SA_EEENS0_18inequality_wrapperIZN2at6native12_GLOBAL__N_124unique_dim_cuda_templateIhEESt5tupleIJNSH_6TensorESM_SM_EERKSM_lbbbEUlllE0_EEPmJS6_EEE10hipError_tPvRmT3_T4_T5_T6_T7_T9_mT8_P12ihipStream_tbDpT10_ENKUlT_T0_E_clISt17integral_constantIbLb0EES1B_IbLb1EEEEDaS17_S18_EUlS17_E_NS1_11comp_targetILNS1_3genE2ELNS1_11target_archE906ELNS1_3gpuE6ELNS1_3repE0EEENS1_30default_config_static_selectorELNS0_4arch9wavefront6targetE0EEEvT1_.kd
    .uniform_work_group_size: 1
    .uses_dynamic_stack: false
    .vgpr_count:     0
    .vgpr_spill_count: 0
    .wavefront_size: 32
    .workgroup_processor_mode: 1
  - .args:
      - .offset:         0
        .size:           136
        .value_kind:     by_value
    .group_segment_fixed_size: 0
    .kernarg_segment_align: 8
    .kernarg_segment_size: 136
    .language:       OpenCL C
    .language_version:
      - 2
      - 0
    .max_flat_workgroup_size: 384
    .name:           _ZN7rocprim17ROCPRIM_400000_NS6detail17trampoline_kernelINS0_14default_configENS1_25partition_config_selectorILNS1_17partition_subalgoE8ElNS0_10empty_typeEbEEZZNS1_14partition_implILS5_8ELb0ES3_jPlPS6_PKS6_NS0_5tupleIJS9_S6_EEENSD_IJSA_SA_EEENS0_18inequality_wrapperIZN2at6native12_GLOBAL__N_124unique_dim_cuda_templateIhEESt5tupleIJNSH_6TensorESM_SM_EERKSM_lbbbEUlllE0_EEPmJS6_EEE10hipError_tPvRmT3_T4_T5_T6_T7_T9_mT8_P12ihipStream_tbDpT10_ENKUlT_T0_E_clISt17integral_constantIbLb0EES1B_IbLb1EEEEDaS17_S18_EUlS17_E_NS1_11comp_targetILNS1_3genE10ELNS1_11target_archE1200ELNS1_3gpuE4ELNS1_3repE0EEENS1_30default_config_static_selectorELNS0_4arch9wavefront6targetE0EEEvT1_
    .private_segment_fixed_size: 0
    .sgpr_count:     0
    .sgpr_spill_count: 0
    .symbol:         _ZN7rocprim17ROCPRIM_400000_NS6detail17trampoline_kernelINS0_14default_configENS1_25partition_config_selectorILNS1_17partition_subalgoE8ElNS0_10empty_typeEbEEZZNS1_14partition_implILS5_8ELb0ES3_jPlPS6_PKS6_NS0_5tupleIJS9_S6_EEENSD_IJSA_SA_EEENS0_18inequality_wrapperIZN2at6native12_GLOBAL__N_124unique_dim_cuda_templateIhEESt5tupleIJNSH_6TensorESM_SM_EERKSM_lbbbEUlllE0_EEPmJS6_EEE10hipError_tPvRmT3_T4_T5_T6_T7_T9_mT8_P12ihipStream_tbDpT10_ENKUlT_T0_E_clISt17integral_constantIbLb0EES1B_IbLb1EEEEDaS17_S18_EUlS17_E_NS1_11comp_targetILNS1_3genE10ELNS1_11target_archE1200ELNS1_3gpuE4ELNS1_3repE0EEENS1_30default_config_static_selectorELNS0_4arch9wavefront6targetE0EEEvT1_.kd
    .uniform_work_group_size: 1
    .uses_dynamic_stack: false
    .vgpr_count:     0
    .vgpr_spill_count: 0
    .wavefront_size: 32
    .workgroup_processor_mode: 1
  - .args:
      - .offset:         0
        .size:           136
        .value_kind:     by_value
    .group_segment_fixed_size: 33804
    .kernarg_segment_align: 8
    .kernarg_segment_size: 136
    .language:       OpenCL C
    .language_version:
      - 2
      - 0
    .max_flat_workgroup_size: 512
    .name:           _ZN7rocprim17ROCPRIM_400000_NS6detail17trampoline_kernelINS0_14default_configENS1_25partition_config_selectorILNS1_17partition_subalgoE8ElNS0_10empty_typeEbEEZZNS1_14partition_implILS5_8ELb0ES3_jPlPS6_PKS6_NS0_5tupleIJS9_S6_EEENSD_IJSA_SA_EEENS0_18inequality_wrapperIZN2at6native12_GLOBAL__N_124unique_dim_cuda_templateIhEESt5tupleIJNSH_6TensorESM_SM_EERKSM_lbbbEUlllE0_EEPmJS6_EEE10hipError_tPvRmT3_T4_T5_T6_T7_T9_mT8_P12ihipStream_tbDpT10_ENKUlT_T0_E_clISt17integral_constantIbLb0EES1B_IbLb1EEEEDaS17_S18_EUlS17_E_NS1_11comp_targetILNS1_3genE9ELNS1_11target_archE1100ELNS1_3gpuE3ELNS1_3repE0EEENS1_30default_config_static_selectorELNS0_4arch9wavefront6targetE0EEEvT1_
    .private_segment_fixed_size: 0
    .sgpr_count:     40
    .sgpr_spill_count: 0
    .symbol:         _ZN7rocprim17ROCPRIM_400000_NS6detail17trampoline_kernelINS0_14default_configENS1_25partition_config_selectorILNS1_17partition_subalgoE8ElNS0_10empty_typeEbEEZZNS1_14partition_implILS5_8ELb0ES3_jPlPS6_PKS6_NS0_5tupleIJS9_S6_EEENSD_IJSA_SA_EEENS0_18inequality_wrapperIZN2at6native12_GLOBAL__N_124unique_dim_cuda_templateIhEESt5tupleIJNSH_6TensorESM_SM_EERKSM_lbbbEUlllE0_EEPmJS6_EEE10hipError_tPvRmT3_T4_T5_T6_T7_T9_mT8_P12ihipStream_tbDpT10_ENKUlT_T0_E_clISt17integral_constantIbLb0EES1B_IbLb1EEEEDaS17_S18_EUlS17_E_NS1_11comp_targetILNS1_3genE9ELNS1_11target_archE1100ELNS1_3gpuE3ELNS1_3repE0EEENS1_30default_config_static_selectorELNS0_4arch9wavefront6targetE0EEEvT1_.kd
    .uniform_work_group_size: 1
    .uses_dynamic_stack: false
    .vgpr_count:     52
    .vgpr_spill_count: 0
    .wavefront_size: 32
    .workgroup_processor_mode: 1
  - .args:
      - .offset:         0
        .size:           136
        .value_kind:     by_value
    .group_segment_fixed_size: 0
    .kernarg_segment_align: 8
    .kernarg_segment_size: 136
    .language:       OpenCL C
    .language_version:
      - 2
      - 0
    .max_flat_workgroup_size: 512
    .name:           _ZN7rocprim17ROCPRIM_400000_NS6detail17trampoline_kernelINS0_14default_configENS1_25partition_config_selectorILNS1_17partition_subalgoE8ElNS0_10empty_typeEbEEZZNS1_14partition_implILS5_8ELb0ES3_jPlPS6_PKS6_NS0_5tupleIJS9_S6_EEENSD_IJSA_SA_EEENS0_18inequality_wrapperIZN2at6native12_GLOBAL__N_124unique_dim_cuda_templateIhEESt5tupleIJNSH_6TensorESM_SM_EERKSM_lbbbEUlllE0_EEPmJS6_EEE10hipError_tPvRmT3_T4_T5_T6_T7_T9_mT8_P12ihipStream_tbDpT10_ENKUlT_T0_E_clISt17integral_constantIbLb0EES1B_IbLb1EEEEDaS17_S18_EUlS17_E_NS1_11comp_targetILNS1_3genE8ELNS1_11target_archE1030ELNS1_3gpuE2ELNS1_3repE0EEENS1_30default_config_static_selectorELNS0_4arch9wavefront6targetE0EEEvT1_
    .private_segment_fixed_size: 0
    .sgpr_count:     0
    .sgpr_spill_count: 0
    .symbol:         _ZN7rocprim17ROCPRIM_400000_NS6detail17trampoline_kernelINS0_14default_configENS1_25partition_config_selectorILNS1_17partition_subalgoE8ElNS0_10empty_typeEbEEZZNS1_14partition_implILS5_8ELb0ES3_jPlPS6_PKS6_NS0_5tupleIJS9_S6_EEENSD_IJSA_SA_EEENS0_18inequality_wrapperIZN2at6native12_GLOBAL__N_124unique_dim_cuda_templateIhEESt5tupleIJNSH_6TensorESM_SM_EERKSM_lbbbEUlllE0_EEPmJS6_EEE10hipError_tPvRmT3_T4_T5_T6_T7_T9_mT8_P12ihipStream_tbDpT10_ENKUlT_T0_E_clISt17integral_constantIbLb0EES1B_IbLb1EEEEDaS17_S18_EUlS17_E_NS1_11comp_targetILNS1_3genE8ELNS1_11target_archE1030ELNS1_3gpuE2ELNS1_3repE0EEENS1_30default_config_static_selectorELNS0_4arch9wavefront6targetE0EEEvT1_.kd
    .uniform_work_group_size: 1
    .uses_dynamic_stack: false
    .vgpr_count:     0
    .vgpr_spill_count: 0
    .wavefront_size: 32
    .workgroup_processor_mode: 1
  - .args:
      - .offset:         0
        .size:           120
        .value_kind:     by_value
    .group_segment_fixed_size: 0
    .kernarg_segment_align: 8
    .kernarg_segment_size: 120
    .language:       OpenCL C
    .language_version:
      - 2
      - 0
    .max_flat_workgroup_size: 128
    .name:           _ZN7rocprim17ROCPRIM_400000_NS6detail17trampoline_kernelINS0_14default_configENS1_25partition_config_selectorILNS1_17partition_subalgoE9EllbEEZZNS1_14partition_implILS5_9ELb0ES3_jPlS8_PNS0_10empty_typeENS0_5tupleIJS8_S9_EEENSB_IJS8_SA_EEENS0_18inequality_wrapperIZN2at6native12_GLOBAL__N_124unique_dim_cuda_templateIhEESt5tupleIJNSF_6TensorESK_SK_EERKSK_lbbbEUlllE0_EEPmJS9_EEE10hipError_tPvRmT3_T4_T5_T6_T7_T9_mT8_P12ihipStream_tbDpT10_ENKUlT_T0_E_clISt17integral_constantIbLb0EES1A_EEDaS15_S16_EUlS15_E_NS1_11comp_targetILNS1_3genE0ELNS1_11target_archE4294967295ELNS1_3gpuE0ELNS1_3repE0EEENS1_30default_config_static_selectorELNS0_4arch9wavefront6targetE0EEEvT1_
    .private_segment_fixed_size: 0
    .sgpr_count:     0
    .sgpr_spill_count: 0
    .symbol:         _ZN7rocprim17ROCPRIM_400000_NS6detail17trampoline_kernelINS0_14default_configENS1_25partition_config_selectorILNS1_17partition_subalgoE9EllbEEZZNS1_14partition_implILS5_9ELb0ES3_jPlS8_PNS0_10empty_typeENS0_5tupleIJS8_S9_EEENSB_IJS8_SA_EEENS0_18inequality_wrapperIZN2at6native12_GLOBAL__N_124unique_dim_cuda_templateIhEESt5tupleIJNSF_6TensorESK_SK_EERKSK_lbbbEUlllE0_EEPmJS9_EEE10hipError_tPvRmT3_T4_T5_T6_T7_T9_mT8_P12ihipStream_tbDpT10_ENKUlT_T0_E_clISt17integral_constantIbLb0EES1A_EEDaS15_S16_EUlS15_E_NS1_11comp_targetILNS1_3genE0ELNS1_11target_archE4294967295ELNS1_3gpuE0ELNS1_3repE0EEENS1_30default_config_static_selectorELNS0_4arch9wavefront6targetE0EEEvT1_.kd
    .uniform_work_group_size: 1
    .uses_dynamic_stack: false
    .vgpr_count:     0
    .vgpr_spill_count: 0
    .wavefront_size: 32
    .workgroup_processor_mode: 1
  - .args:
      - .offset:         0
        .size:           120
        .value_kind:     by_value
    .group_segment_fixed_size: 0
    .kernarg_segment_align: 8
    .kernarg_segment_size: 120
    .language:       OpenCL C
    .language_version:
      - 2
      - 0
    .max_flat_workgroup_size: 512
    .name:           _ZN7rocprim17ROCPRIM_400000_NS6detail17trampoline_kernelINS0_14default_configENS1_25partition_config_selectorILNS1_17partition_subalgoE9EllbEEZZNS1_14partition_implILS5_9ELb0ES3_jPlS8_PNS0_10empty_typeENS0_5tupleIJS8_S9_EEENSB_IJS8_SA_EEENS0_18inequality_wrapperIZN2at6native12_GLOBAL__N_124unique_dim_cuda_templateIhEESt5tupleIJNSF_6TensorESK_SK_EERKSK_lbbbEUlllE0_EEPmJS9_EEE10hipError_tPvRmT3_T4_T5_T6_T7_T9_mT8_P12ihipStream_tbDpT10_ENKUlT_T0_E_clISt17integral_constantIbLb0EES1A_EEDaS15_S16_EUlS15_E_NS1_11comp_targetILNS1_3genE5ELNS1_11target_archE942ELNS1_3gpuE9ELNS1_3repE0EEENS1_30default_config_static_selectorELNS0_4arch9wavefront6targetE0EEEvT1_
    .private_segment_fixed_size: 0
    .sgpr_count:     0
    .sgpr_spill_count: 0
    .symbol:         _ZN7rocprim17ROCPRIM_400000_NS6detail17trampoline_kernelINS0_14default_configENS1_25partition_config_selectorILNS1_17partition_subalgoE9EllbEEZZNS1_14partition_implILS5_9ELb0ES3_jPlS8_PNS0_10empty_typeENS0_5tupleIJS8_S9_EEENSB_IJS8_SA_EEENS0_18inequality_wrapperIZN2at6native12_GLOBAL__N_124unique_dim_cuda_templateIhEESt5tupleIJNSF_6TensorESK_SK_EERKSK_lbbbEUlllE0_EEPmJS9_EEE10hipError_tPvRmT3_T4_T5_T6_T7_T9_mT8_P12ihipStream_tbDpT10_ENKUlT_T0_E_clISt17integral_constantIbLb0EES1A_EEDaS15_S16_EUlS15_E_NS1_11comp_targetILNS1_3genE5ELNS1_11target_archE942ELNS1_3gpuE9ELNS1_3repE0EEENS1_30default_config_static_selectorELNS0_4arch9wavefront6targetE0EEEvT1_.kd
    .uniform_work_group_size: 1
    .uses_dynamic_stack: false
    .vgpr_count:     0
    .vgpr_spill_count: 0
    .wavefront_size: 32
    .workgroup_processor_mode: 1
  - .args:
      - .offset:         0
        .size:           120
        .value_kind:     by_value
    .group_segment_fixed_size: 0
    .kernarg_segment_align: 8
    .kernarg_segment_size: 120
    .language:       OpenCL C
    .language_version:
      - 2
      - 0
    .max_flat_workgroup_size: 128
    .name:           _ZN7rocprim17ROCPRIM_400000_NS6detail17trampoline_kernelINS0_14default_configENS1_25partition_config_selectorILNS1_17partition_subalgoE9EllbEEZZNS1_14partition_implILS5_9ELb0ES3_jPlS8_PNS0_10empty_typeENS0_5tupleIJS8_S9_EEENSB_IJS8_SA_EEENS0_18inequality_wrapperIZN2at6native12_GLOBAL__N_124unique_dim_cuda_templateIhEESt5tupleIJNSF_6TensorESK_SK_EERKSK_lbbbEUlllE0_EEPmJS9_EEE10hipError_tPvRmT3_T4_T5_T6_T7_T9_mT8_P12ihipStream_tbDpT10_ENKUlT_T0_E_clISt17integral_constantIbLb0EES1A_EEDaS15_S16_EUlS15_E_NS1_11comp_targetILNS1_3genE4ELNS1_11target_archE910ELNS1_3gpuE8ELNS1_3repE0EEENS1_30default_config_static_selectorELNS0_4arch9wavefront6targetE0EEEvT1_
    .private_segment_fixed_size: 0
    .sgpr_count:     0
    .sgpr_spill_count: 0
    .symbol:         _ZN7rocprim17ROCPRIM_400000_NS6detail17trampoline_kernelINS0_14default_configENS1_25partition_config_selectorILNS1_17partition_subalgoE9EllbEEZZNS1_14partition_implILS5_9ELb0ES3_jPlS8_PNS0_10empty_typeENS0_5tupleIJS8_S9_EEENSB_IJS8_SA_EEENS0_18inequality_wrapperIZN2at6native12_GLOBAL__N_124unique_dim_cuda_templateIhEESt5tupleIJNSF_6TensorESK_SK_EERKSK_lbbbEUlllE0_EEPmJS9_EEE10hipError_tPvRmT3_T4_T5_T6_T7_T9_mT8_P12ihipStream_tbDpT10_ENKUlT_T0_E_clISt17integral_constantIbLb0EES1A_EEDaS15_S16_EUlS15_E_NS1_11comp_targetILNS1_3genE4ELNS1_11target_archE910ELNS1_3gpuE8ELNS1_3repE0EEENS1_30default_config_static_selectorELNS0_4arch9wavefront6targetE0EEEvT1_.kd
    .uniform_work_group_size: 1
    .uses_dynamic_stack: false
    .vgpr_count:     0
    .vgpr_spill_count: 0
    .wavefront_size: 32
    .workgroup_processor_mode: 1
  - .args:
      - .offset:         0
        .size:           120
        .value_kind:     by_value
    .group_segment_fixed_size: 0
    .kernarg_segment_align: 8
    .kernarg_segment_size: 120
    .language:       OpenCL C
    .language_version:
      - 2
      - 0
    .max_flat_workgroup_size: 128
    .name:           _ZN7rocprim17ROCPRIM_400000_NS6detail17trampoline_kernelINS0_14default_configENS1_25partition_config_selectorILNS1_17partition_subalgoE9EllbEEZZNS1_14partition_implILS5_9ELb0ES3_jPlS8_PNS0_10empty_typeENS0_5tupleIJS8_S9_EEENSB_IJS8_SA_EEENS0_18inequality_wrapperIZN2at6native12_GLOBAL__N_124unique_dim_cuda_templateIhEESt5tupleIJNSF_6TensorESK_SK_EERKSK_lbbbEUlllE0_EEPmJS9_EEE10hipError_tPvRmT3_T4_T5_T6_T7_T9_mT8_P12ihipStream_tbDpT10_ENKUlT_T0_E_clISt17integral_constantIbLb0EES1A_EEDaS15_S16_EUlS15_E_NS1_11comp_targetILNS1_3genE3ELNS1_11target_archE908ELNS1_3gpuE7ELNS1_3repE0EEENS1_30default_config_static_selectorELNS0_4arch9wavefront6targetE0EEEvT1_
    .private_segment_fixed_size: 0
    .sgpr_count:     0
    .sgpr_spill_count: 0
    .symbol:         _ZN7rocprim17ROCPRIM_400000_NS6detail17trampoline_kernelINS0_14default_configENS1_25partition_config_selectorILNS1_17partition_subalgoE9EllbEEZZNS1_14partition_implILS5_9ELb0ES3_jPlS8_PNS0_10empty_typeENS0_5tupleIJS8_S9_EEENSB_IJS8_SA_EEENS0_18inequality_wrapperIZN2at6native12_GLOBAL__N_124unique_dim_cuda_templateIhEESt5tupleIJNSF_6TensorESK_SK_EERKSK_lbbbEUlllE0_EEPmJS9_EEE10hipError_tPvRmT3_T4_T5_T6_T7_T9_mT8_P12ihipStream_tbDpT10_ENKUlT_T0_E_clISt17integral_constantIbLb0EES1A_EEDaS15_S16_EUlS15_E_NS1_11comp_targetILNS1_3genE3ELNS1_11target_archE908ELNS1_3gpuE7ELNS1_3repE0EEENS1_30default_config_static_selectorELNS0_4arch9wavefront6targetE0EEEvT1_.kd
    .uniform_work_group_size: 1
    .uses_dynamic_stack: false
    .vgpr_count:     0
    .vgpr_spill_count: 0
    .wavefront_size: 32
    .workgroup_processor_mode: 1
  - .args:
      - .offset:         0
        .size:           120
        .value_kind:     by_value
    .group_segment_fixed_size: 0
    .kernarg_segment_align: 8
    .kernarg_segment_size: 120
    .language:       OpenCL C
    .language_version:
      - 2
      - 0
    .max_flat_workgroup_size: 192
    .name:           _ZN7rocprim17ROCPRIM_400000_NS6detail17trampoline_kernelINS0_14default_configENS1_25partition_config_selectorILNS1_17partition_subalgoE9EllbEEZZNS1_14partition_implILS5_9ELb0ES3_jPlS8_PNS0_10empty_typeENS0_5tupleIJS8_S9_EEENSB_IJS8_SA_EEENS0_18inequality_wrapperIZN2at6native12_GLOBAL__N_124unique_dim_cuda_templateIhEESt5tupleIJNSF_6TensorESK_SK_EERKSK_lbbbEUlllE0_EEPmJS9_EEE10hipError_tPvRmT3_T4_T5_T6_T7_T9_mT8_P12ihipStream_tbDpT10_ENKUlT_T0_E_clISt17integral_constantIbLb0EES1A_EEDaS15_S16_EUlS15_E_NS1_11comp_targetILNS1_3genE2ELNS1_11target_archE906ELNS1_3gpuE6ELNS1_3repE0EEENS1_30default_config_static_selectorELNS0_4arch9wavefront6targetE0EEEvT1_
    .private_segment_fixed_size: 0
    .sgpr_count:     0
    .sgpr_spill_count: 0
    .symbol:         _ZN7rocprim17ROCPRIM_400000_NS6detail17trampoline_kernelINS0_14default_configENS1_25partition_config_selectorILNS1_17partition_subalgoE9EllbEEZZNS1_14partition_implILS5_9ELb0ES3_jPlS8_PNS0_10empty_typeENS0_5tupleIJS8_S9_EEENSB_IJS8_SA_EEENS0_18inequality_wrapperIZN2at6native12_GLOBAL__N_124unique_dim_cuda_templateIhEESt5tupleIJNSF_6TensorESK_SK_EERKSK_lbbbEUlllE0_EEPmJS9_EEE10hipError_tPvRmT3_T4_T5_T6_T7_T9_mT8_P12ihipStream_tbDpT10_ENKUlT_T0_E_clISt17integral_constantIbLb0EES1A_EEDaS15_S16_EUlS15_E_NS1_11comp_targetILNS1_3genE2ELNS1_11target_archE906ELNS1_3gpuE6ELNS1_3repE0EEENS1_30default_config_static_selectorELNS0_4arch9wavefront6targetE0EEEvT1_.kd
    .uniform_work_group_size: 1
    .uses_dynamic_stack: false
    .vgpr_count:     0
    .vgpr_spill_count: 0
    .wavefront_size: 32
    .workgroup_processor_mode: 1
  - .args:
      - .offset:         0
        .size:           120
        .value_kind:     by_value
    .group_segment_fixed_size: 0
    .kernarg_segment_align: 8
    .kernarg_segment_size: 120
    .language:       OpenCL C
    .language_version:
      - 2
      - 0
    .max_flat_workgroup_size: 384
    .name:           _ZN7rocprim17ROCPRIM_400000_NS6detail17trampoline_kernelINS0_14default_configENS1_25partition_config_selectorILNS1_17partition_subalgoE9EllbEEZZNS1_14partition_implILS5_9ELb0ES3_jPlS8_PNS0_10empty_typeENS0_5tupleIJS8_S9_EEENSB_IJS8_SA_EEENS0_18inequality_wrapperIZN2at6native12_GLOBAL__N_124unique_dim_cuda_templateIhEESt5tupleIJNSF_6TensorESK_SK_EERKSK_lbbbEUlllE0_EEPmJS9_EEE10hipError_tPvRmT3_T4_T5_T6_T7_T9_mT8_P12ihipStream_tbDpT10_ENKUlT_T0_E_clISt17integral_constantIbLb0EES1A_EEDaS15_S16_EUlS15_E_NS1_11comp_targetILNS1_3genE10ELNS1_11target_archE1200ELNS1_3gpuE4ELNS1_3repE0EEENS1_30default_config_static_selectorELNS0_4arch9wavefront6targetE0EEEvT1_
    .private_segment_fixed_size: 0
    .sgpr_count:     0
    .sgpr_spill_count: 0
    .symbol:         _ZN7rocprim17ROCPRIM_400000_NS6detail17trampoline_kernelINS0_14default_configENS1_25partition_config_selectorILNS1_17partition_subalgoE9EllbEEZZNS1_14partition_implILS5_9ELb0ES3_jPlS8_PNS0_10empty_typeENS0_5tupleIJS8_S9_EEENSB_IJS8_SA_EEENS0_18inequality_wrapperIZN2at6native12_GLOBAL__N_124unique_dim_cuda_templateIhEESt5tupleIJNSF_6TensorESK_SK_EERKSK_lbbbEUlllE0_EEPmJS9_EEE10hipError_tPvRmT3_T4_T5_T6_T7_T9_mT8_P12ihipStream_tbDpT10_ENKUlT_T0_E_clISt17integral_constantIbLb0EES1A_EEDaS15_S16_EUlS15_E_NS1_11comp_targetILNS1_3genE10ELNS1_11target_archE1200ELNS1_3gpuE4ELNS1_3repE0EEENS1_30default_config_static_selectorELNS0_4arch9wavefront6targetE0EEEvT1_.kd
    .uniform_work_group_size: 1
    .uses_dynamic_stack: false
    .vgpr_count:     0
    .vgpr_spill_count: 0
    .wavefront_size: 32
    .workgroup_processor_mode: 1
  - .args:
      - .offset:         0
        .size:           120
        .value_kind:     by_value
    .group_segment_fixed_size: 33804
    .kernarg_segment_align: 8
    .kernarg_segment_size: 120
    .language:       OpenCL C
    .language_version:
      - 2
      - 0
    .max_flat_workgroup_size: 512
    .name:           _ZN7rocprim17ROCPRIM_400000_NS6detail17trampoline_kernelINS0_14default_configENS1_25partition_config_selectorILNS1_17partition_subalgoE9EllbEEZZNS1_14partition_implILS5_9ELb0ES3_jPlS8_PNS0_10empty_typeENS0_5tupleIJS8_S9_EEENSB_IJS8_SA_EEENS0_18inequality_wrapperIZN2at6native12_GLOBAL__N_124unique_dim_cuda_templateIhEESt5tupleIJNSF_6TensorESK_SK_EERKSK_lbbbEUlllE0_EEPmJS9_EEE10hipError_tPvRmT3_T4_T5_T6_T7_T9_mT8_P12ihipStream_tbDpT10_ENKUlT_T0_E_clISt17integral_constantIbLb0EES1A_EEDaS15_S16_EUlS15_E_NS1_11comp_targetILNS1_3genE9ELNS1_11target_archE1100ELNS1_3gpuE3ELNS1_3repE0EEENS1_30default_config_static_selectorELNS0_4arch9wavefront6targetE0EEEvT1_
    .private_segment_fixed_size: 0
    .sgpr_count:     38
    .sgpr_spill_count: 0
    .symbol:         _ZN7rocprim17ROCPRIM_400000_NS6detail17trampoline_kernelINS0_14default_configENS1_25partition_config_selectorILNS1_17partition_subalgoE9EllbEEZZNS1_14partition_implILS5_9ELb0ES3_jPlS8_PNS0_10empty_typeENS0_5tupleIJS8_S9_EEENSB_IJS8_SA_EEENS0_18inequality_wrapperIZN2at6native12_GLOBAL__N_124unique_dim_cuda_templateIhEESt5tupleIJNSF_6TensorESK_SK_EERKSK_lbbbEUlllE0_EEPmJS9_EEE10hipError_tPvRmT3_T4_T5_T6_T7_T9_mT8_P12ihipStream_tbDpT10_ENKUlT_T0_E_clISt17integral_constantIbLb0EES1A_EEDaS15_S16_EUlS15_E_NS1_11comp_targetILNS1_3genE9ELNS1_11target_archE1100ELNS1_3gpuE3ELNS1_3repE0EEENS1_30default_config_static_selectorELNS0_4arch9wavefront6targetE0EEEvT1_.kd
    .uniform_work_group_size: 1
    .uses_dynamic_stack: false
    .vgpr_count:     68
    .vgpr_spill_count: 0
    .wavefront_size: 32
    .workgroup_processor_mode: 1
  - .args:
      - .offset:         0
        .size:           120
        .value_kind:     by_value
    .group_segment_fixed_size: 0
    .kernarg_segment_align: 8
    .kernarg_segment_size: 120
    .language:       OpenCL C
    .language_version:
      - 2
      - 0
    .max_flat_workgroup_size: 512
    .name:           _ZN7rocprim17ROCPRIM_400000_NS6detail17trampoline_kernelINS0_14default_configENS1_25partition_config_selectorILNS1_17partition_subalgoE9EllbEEZZNS1_14partition_implILS5_9ELb0ES3_jPlS8_PNS0_10empty_typeENS0_5tupleIJS8_S9_EEENSB_IJS8_SA_EEENS0_18inequality_wrapperIZN2at6native12_GLOBAL__N_124unique_dim_cuda_templateIhEESt5tupleIJNSF_6TensorESK_SK_EERKSK_lbbbEUlllE0_EEPmJS9_EEE10hipError_tPvRmT3_T4_T5_T6_T7_T9_mT8_P12ihipStream_tbDpT10_ENKUlT_T0_E_clISt17integral_constantIbLb0EES1A_EEDaS15_S16_EUlS15_E_NS1_11comp_targetILNS1_3genE8ELNS1_11target_archE1030ELNS1_3gpuE2ELNS1_3repE0EEENS1_30default_config_static_selectorELNS0_4arch9wavefront6targetE0EEEvT1_
    .private_segment_fixed_size: 0
    .sgpr_count:     0
    .sgpr_spill_count: 0
    .symbol:         _ZN7rocprim17ROCPRIM_400000_NS6detail17trampoline_kernelINS0_14default_configENS1_25partition_config_selectorILNS1_17partition_subalgoE9EllbEEZZNS1_14partition_implILS5_9ELb0ES3_jPlS8_PNS0_10empty_typeENS0_5tupleIJS8_S9_EEENSB_IJS8_SA_EEENS0_18inequality_wrapperIZN2at6native12_GLOBAL__N_124unique_dim_cuda_templateIhEESt5tupleIJNSF_6TensorESK_SK_EERKSK_lbbbEUlllE0_EEPmJS9_EEE10hipError_tPvRmT3_T4_T5_T6_T7_T9_mT8_P12ihipStream_tbDpT10_ENKUlT_T0_E_clISt17integral_constantIbLb0EES1A_EEDaS15_S16_EUlS15_E_NS1_11comp_targetILNS1_3genE8ELNS1_11target_archE1030ELNS1_3gpuE2ELNS1_3repE0EEENS1_30default_config_static_selectorELNS0_4arch9wavefront6targetE0EEEvT1_.kd
    .uniform_work_group_size: 1
    .uses_dynamic_stack: false
    .vgpr_count:     0
    .vgpr_spill_count: 0
    .wavefront_size: 32
    .workgroup_processor_mode: 1
  - .args:
      - .offset:         0
        .size:           136
        .value_kind:     by_value
    .group_segment_fixed_size: 0
    .kernarg_segment_align: 8
    .kernarg_segment_size: 136
    .language:       OpenCL C
    .language_version:
      - 2
      - 0
    .max_flat_workgroup_size: 128
    .name:           _ZN7rocprim17ROCPRIM_400000_NS6detail17trampoline_kernelINS0_14default_configENS1_25partition_config_selectorILNS1_17partition_subalgoE9EllbEEZZNS1_14partition_implILS5_9ELb0ES3_jPlS8_PNS0_10empty_typeENS0_5tupleIJS8_S9_EEENSB_IJS8_SA_EEENS0_18inequality_wrapperIZN2at6native12_GLOBAL__N_124unique_dim_cuda_templateIhEESt5tupleIJNSF_6TensorESK_SK_EERKSK_lbbbEUlllE0_EEPmJS9_EEE10hipError_tPvRmT3_T4_T5_T6_T7_T9_mT8_P12ihipStream_tbDpT10_ENKUlT_T0_E_clISt17integral_constantIbLb1EES1A_EEDaS15_S16_EUlS15_E_NS1_11comp_targetILNS1_3genE0ELNS1_11target_archE4294967295ELNS1_3gpuE0ELNS1_3repE0EEENS1_30default_config_static_selectorELNS0_4arch9wavefront6targetE0EEEvT1_
    .private_segment_fixed_size: 0
    .sgpr_count:     0
    .sgpr_spill_count: 0
    .symbol:         _ZN7rocprim17ROCPRIM_400000_NS6detail17trampoline_kernelINS0_14default_configENS1_25partition_config_selectorILNS1_17partition_subalgoE9EllbEEZZNS1_14partition_implILS5_9ELb0ES3_jPlS8_PNS0_10empty_typeENS0_5tupleIJS8_S9_EEENSB_IJS8_SA_EEENS0_18inequality_wrapperIZN2at6native12_GLOBAL__N_124unique_dim_cuda_templateIhEESt5tupleIJNSF_6TensorESK_SK_EERKSK_lbbbEUlllE0_EEPmJS9_EEE10hipError_tPvRmT3_T4_T5_T6_T7_T9_mT8_P12ihipStream_tbDpT10_ENKUlT_T0_E_clISt17integral_constantIbLb1EES1A_EEDaS15_S16_EUlS15_E_NS1_11comp_targetILNS1_3genE0ELNS1_11target_archE4294967295ELNS1_3gpuE0ELNS1_3repE0EEENS1_30default_config_static_selectorELNS0_4arch9wavefront6targetE0EEEvT1_.kd
    .uniform_work_group_size: 1
    .uses_dynamic_stack: false
    .vgpr_count:     0
    .vgpr_spill_count: 0
    .wavefront_size: 32
    .workgroup_processor_mode: 1
  - .args:
      - .offset:         0
        .size:           136
        .value_kind:     by_value
    .group_segment_fixed_size: 0
    .kernarg_segment_align: 8
    .kernarg_segment_size: 136
    .language:       OpenCL C
    .language_version:
      - 2
      - 0
    .max_flat_workgroup_size: 512
    .name:           _ZN7rocprim17ROCPRIM_400000_NS6detail17trampoline_kernelINS0_14default_configENS1_25partition_config_selectorILNS1_17partition_subalgoE9EllbEEZZNS1_14partition_implILS5_9ELb0ES3_jPlS8_PNS0_10empty_typeENS0_5tupleIJS8_S9_EEENSB_IJS8_SA_EEENS0_18inequality_wrapperIZN2at6native12_GLOBAL__N_124unique_dim_cuda_templateIhEESt5tupleIJNSF_6TensorESK_SK_EERKSK_lbbbEUlllE0_EEPmJS9_EEE10hipError_tPvRmT3_T4_T5_T6_T7_T9_mT8_P12ihipStream_tbDpT10_ENKUlT_T0_E_clISt17integral_constantIbLb1EES1A_EEDaS15_S16_EUlS15_E_NS1_11comp_targetILNS1_3genE5ELNS1_11target_archE942ELNS1_3gpuE9ELNS1_3repE0EEENS1_30default_config_static_selectorELNS0_4arch9wavefront6targetE0EEEvT1_
    .private_segment_fixed_size: 0
    .sgpr_count:     0
    .sgpr_spill_count: 0
    .symbol:         _ZN7rocprim17ROCPRIM_400000_NS6detail17trampoline_kernelINS0_14default_configENS1_25partition_config_selectorILNS1_17partition_subalgoE9EllbEEZZNS1_14partition_implILS5_9ELb0ES3_jPlS8_PNS0_10empty_typeENS0_5tupleIJS8_S9_EEENSB_IJS8_SA_EEENS0_18inequality_wrapperIZN2at6native12_GLOBAL__N_124unique_dim_cuda_templateIhEESt5tupleIJNSF_6TensorESK_SK_EERKSK_lbbbEUlllE0_EEPmJS9_EEE10hipError_tPvRmT3_T4_T5_T6_T7_T9_mT8_P12ihipStream_tbDpT10_ENKUlT_T0_E_clISt17integral_constantIbLb1EES1A_EEDaS15_S16_EUlS15_E_NS1_11comp_targetILNS1_3genE5ELNS1_11target_archE942ELNS1_3gpuE9ELNS1_3repE0EEENS1_30default_config_static_selectorELNS0_4arch9wavefront6targetE0EEEvT1_.kd
    .uniform_work_group_size: 1
    .uses_dynamic_stack: false
    .vgpr_count:     0
    .vgpr_spill_count: 0
    .wavefront_size: 32
    .workgroup_processor_mode: 1
  - .args:
      - .offset:         0
        .size:           136
        .value_kind:     by_value
    .group_segment_fixed_size: 0
    .kernarg_segment_align: 8
    .kernarg_segment_size: 136
    .language:       OpenCL C
    .language_version:
      - 2
      - 0
    .max_flat_workgroup_size: 128
    .name:           _ZN7rocprim17ROCPRIM_400000_NS6detail17trampoline_kernelINS0_14default_configENS1_25partition_config_selectorILNS1_17partition_subalgoE9EllbEEZZNS1_14partition_implILS5_9ELb0ES3_jPlS8_PNS0_10empty_typeENS0_5tupleIJS8_S9_EEENSB_IJS8_SA_EEENS0_18inequality_wrapperIZN2at6native12_GLOBAL__N_124unique_dim_cuda_templateIhEESt5tupleIJNSF_6TensorESK_SK_EERKSK_lbbbEUlllE0_EEPmJS9_EEE10hipError_tPvRmT3_T4_T5_T6_T7_T9_mT8_P12ihipStream_tbDpT10_ENKUlT_T0_E_clISt17integral_constantIbLb1EES1A_EEDaS15_S16_EUlS15_E_NS1_11comp_targetILNS1_3genE4ELNS1_11target_archE910ELNS1_3gpuE8ELNS1_3repE0EEENS1_30default_config_static_selectorELNS0_4arch9wavefront6targetE0EEEvT1_
    .private_segment_fixed_size: 0
    .sgpr_count:     0
    .sgpr_spill_count: 0
    .symbol:         _ZN7rocprim17ROCPRIM_400000_NS6detail17trampoline_kernelINS0_14default_configENS1_25partition_config_selectorILNS1_17partition_subalgoE9EllbEEZZNS1_14partition_implILS5_9ELb0ES3_jPlS8_PNS0_10empty_typeENS0_5tupleIJS8_S9_EEENSB_IJS8_SA_EEENS0_18inequality_wrapperIZN2at6native12_GLOBAL__N_124unique_dim_cuda_templateIhEESt5tupleIJNSF_6TensorESK_SK_EERKSK_lbbbEUlllE0_EEPmJS9_EEE10hipError_tPvRmT3_T4_T5_T6_T7_T9_mT8_P12ihipStream_tbDpT10_ENKUlT_T0_E_clISt17integral_constantIbLb1EES1A_EEDaS15_S16_EUlS15_E_NS1_11comp_targetILNS1_3genE4ELNS1_11target_archE910ELNS1_3gpuE8ELNS1_3repE0EEENS1_30default_config_static_selectorELNS0_4arch9wavefront6targetE0EEEvT1_.kd
    .uniform_work_group_size: 1
    .uses_dynamic_stack: false
    .vgpr_count:     0
    .vgpr_spill_count: 0
    .wavefront_size: 32
    .workgroup_processor_mode: 1
  - .args:
      - .offset:         0
        .size:           136
        .value_kind:     by_value
    .group_segment_fixed_size: 0
    .kernarg_segment_align: 8
    .kernarg_segment_size: 136
    .language:       OpenCL C
    .language_version:
      - 2
      - 0
    .max_flat_workgroup_size: 128
    .name:           _ZN7rocprim17ROCPRIM_400000_NS6detail17trampoline_kernelINS0_14default_configENS1_25partition_config_selectorILNS1_17partition_subalgoE9EllbEEZZNS1_14partition_implILS5_9ELb0ES3_jPlS8_PNS0_10empty_typeENS0_5tupleIJS8_S9_EEENSB_IJS8_SA_EEENS0_18inequality_wrapperIZN2at6native12_GLOBAL__N_124unique_dim_cuda_templateIhEESt5tupleIJNSF_6TensorESK_SK_EERKSK_lbbbEUlllE0_EEPmJS9_EEE10hipError_tPvRmT3_T4_T5_T6_T7_T9_mT8_P12ihipStream_tbDpT10_ENKUlT_T0_E_clISt17integral_constantIbLb1EES1A_EEDaS15_S16_EUlS15_E_NS1_11comp_targetILNS1_3genE3ELNS1_11target_archE908ELNS1_3gpuE7ELNS1_3repE0EEENS1_30default_config_static_selectorELNS0_4arch9wavefront6targetE0EEEvT1_
    .private_segment_fixed_size: 0
    .sgpr_count:     0
    .sgpr_spill_count: 0
    .symbol:         _ZN7rocprim17ROCPRIM_400000_NS6detail17trampoline_kernelINS0_14default_configENS1_25partition_config_selectorILNS1_17partition_subalgoE9EllbEEZZNS1_14partition_implILS5_9ELb0ES3_jPlS8_PNS0_10empty_typeENS0_5tupleIJS8_S9_EEENSB_IJS8_SA_EEENS0_18inequality_wrapperIZN2at6native12_GLOBAL__N_124unique_dim_cuda_templateIhEESt5tupleIJNSF_6TensorESK_SK_EERKSK_lbbbEUlllE0_EEPmJS9_EEE10hipError_tPvRmT3_T4_T5_T6_T7_T9_mT8_P12ihipStream_tbDpT10_ENKUlT_T0_E_clISt17integral_constantIbLb1EES1A_EEDaS15_S16_EUlS15_E_NS1_11comp_targetILNS1_3genE3ELNS1_11target_archE908ELNS1_3gpuE7ELNS1_3repE0EEENS1_30default_config_static_selectorELNS0_4arch9wavefront6targetE0EEEvT1_.kd
    .uniform_work_group_size: 1
    .uses_dynamic_stack: false
    .vgpr_count:     0
    .vgpr_spill_count: 0
    .wavefront_size: 32
    .workgroup_processor_mode: 1
  - .args:
      - .offset:         0
        .size:           136
        .value_kind:     by_value
    .group_segment_fixed_size: 0
    .kernarg_segment_align: 8
    .kernarg_segment_size: 136
    .language:       OpenCL C
    .language_version:
      - 2
      - 0
    .max_flat_workgroup_size: 192
    .name:           _ZN7rocprim17ROCPRIM_400000_NS6detail17trampoline_kernelINS0_14default_configENS1_25partition_config_selectorILNS1_17partition_subalgoE9EllbEEZZNS1_14partition_implILS5_9ELb0ES3_jPlS8_PNS0_10empty_typeENS0_5tupleIJS8_S9_EEENSB_IJS8_SA_EEENS0_18inequality_wrapperIZN2at6native12_GLOBAL__N_124unique_dim_cuda_templateIhEESt5tupleIJNSF_6TensorESK_SK_EERKSK_lbbbEUlllE0_EEPmJS9_EEE10hipError_tPvRmT3_T4_T5_T6_T7_T9_mT8_P12ihipStream_tbDpT10_ENKUlT_T0_E_clISt17integral_constantIbLb1EES1A_EEDaS15_S16_EUlS15_E_NS1_11comp_targetILNS1_3genE2ELNS1_11target_archE906ELNS1_3gpuE6ELNS1_3repE0EEENS1_30default_config_static_selectorELNS0_4arch9wavefront6targetE0EEEvT1_
    .private_segment_fixed_size: 0
    .sgpr_count:     0
    .sgpr_spill_count: 0
    .symbol:         _ZN7rocprim17ROCPRIM_400000_NS6detail17trampoline_kernelINS0_14default_configENS1_25partition_config_selectorILNS1_17partition_subalgoE9EllbEEZZNS1_14partition_implILS5_9ELb0ES3_jPlS8_PNS0_10empty_typeENS0_5tupleIJS8_S9_EEENSB_IJS8_SA_EEENS0_18inequality_wrapperIZN2at6native12_GLOBAL__N_124unique_dim_cuda_templateIhEESt5tupleIJNSF_6TensorESK_SK_EERKSK_lbbbEUlllE0_EEPmJS9_EEE10hipError_tPvRmT3_T4_T5_T6_T7_T9_mT8_P12ihipStream_tbDpT10_ENKUlT_T0_E_clISt17integral_constantIbLb1EES1A_EEDaS15_S16_EUlS15_E_NS1_11comp_targetILNS1_3genE2ELNS1_11target_archE906ELNS1_3gpuE6ELNS1_3repE0EEENS1_30default_config_static_selectorELNS0_4arch9wavefront6targetE0EEEvT1_.kd
    .uniform_work_group_size: 1
    .uses_dynamic_stack: false
    .vgpr_count:     0
    .vgpr_spill_count: 0
    .wavefront_size: 32
    .workgroup_processor_mode: 1
  - .args:
      - .offset:         0
        .size:           136
        .value_kind:     by_value
    .group_segment_fixed_size: 0
    .kernarg_segment_align: 8
    .kernarg_segment_size: 136
    .language:       OpenCL C
    .language_version:
      - 2
      - 0
    .max_flat_workgroup_size: 384
    .name:           _ZN7rocprim17ROCPRIM_400000_NS6detail17trampoline_kernelINS0_14default_configENS1_25partition_config_selectorILNS1_17partition_subalgoE9EllbEEZZNS1_14partition_implILS5_9ELb0ES3_jPlS8_PNS0_10empty_typeENS0_5tupleIJS8_S9_EEENSB_IJS8_SA_EEENS0_18inequality_wrapperIZN2at6native12_GLOBAL__N_124unique_dim_cuda_templateIhEESt5tupleIJNSF_6TensorESK_SK_EERKSK_lbbbEUlllE0_EEPmJS9_EEE10hipError_tPvRmT3_T4_T5_T6_T7_T9_mT8_P12ihipStream_tbDpT10_ENKUlT_T0_E_clISt17integral_constantIbLb1EES1A_EEDaS15_S16_EUlS15_E_NS1_11comp_targetILNS1_3genE10ELNS1_11target_archE1200ELNS1_3gpuE4ELNS1_3repE0EEENS1_30default_config_static_selectorELNS0_4arch9wavefront6targetE0EEEvT1_
    .private_segment_fixed_size: 0
    .sgpr_count:     0
    .sgpr_spill_count: 0
    .symbol:         _ZN7rocprim17ROCPRIM_400000_NS6detail17trampoline_kernelINS0_14default_configENS1_25partition_config_selectorILNS1_17partition_subalgoE9EllbEEZZNS1_14partition_implILS5_9ELb0ES3_jPlS8_PNS0_10empty_typeENS0_5tupleIJS8_S9_EEENSB_IJS8_SA_EEENS0_18inequality_wrapperIZN2at6native12_GLOBAL__N_124unique_dim_cuda_templateIhEESt5tupleIJNSF_6TensorESK_SK_EERKSK_lbbbEUlllE0_EEPmJS9_EEE10hipError_tPvRmT3_T4_T5_T6_T7_T9_mT8_P12ihipStream_tbDpT10_ENKUlT_T0_E_clISt17integral_constantIbLb1EES1A_EEDaS15_S16_EUlS15_E_NS1_11comp_targetILNS1_3genE10ELNS1_11target_archE1200ELNS1_3gpuE4ELNS1_3repE0EEENS1_30default_config_static_selectorELNS0_4arch9wavefront6targetE0EEEvT1_.kd
    .uniform_work_group_size: 1
    .uses_dynamic_stack: false
    .vgpr_count:     0
    .vgpr_spill_count: 0
    .wavefront_size: 32
    .workgroup_processor_mode: 1
  - .args:
      - .offset:         0
        .size:           136
        .value_kind:     by_value
    .group_segment_fixed_size: 33804
    .kernarg_segment_align: 8
    .kernarg_segment_size: 136
    .language:       OpenCL C
    .language_version:
      - 2
      - 0
    .max_flat_workgroup_size: 512
    .name:           _ZN7rocprim17ROCPRIM_400000_NS6detail17trampoline_kernelINS0_14default_configENS1_25partition_config_selectorILNS1_17partition_subalgoE9EllbEEZZNS1_14partition_implILS5_9ELb0ES3_jPlS8_PNS0_10empty_typeENS0_5tupleIJS8_S9_EEENSB_IJS8_SA_EEENS0_18inequality_wrapperIZN2at6native12_GLOBAL__N_124unique_dim_cuda_templateIhEESt5tupleIJNSF_6TensorESK_SK_EERKSK_lbbbEUlllE0_EEPmJS9_EEE10hipError_tPvRmT3_T4_T5_T6_T7_T9_mT8_P12ihipStream_tbDpT10_ENKUlT_T0_E_clISt17integral_constantIbLb1EES1A_EEDaS15_S16_EUlS15_E_NS1_11comp_targetILNS1_3genE9ELNS1_11target_archE1100ELNS1_3gpuE3ELNS1_3repE0EEENS1_30default_config_static_selectorELNS0_4arch9wavefront6targetE0EEEvT1_
    .private_segment_fixed_size: 0
    .sgpr_count:     42
    .sgpr_spill_count: 0
    .symbol:         _ZN7rocprim17ROCPRIM_400000_NS6detail17trampoline_kernelINS0_14default_configENS1_25partition_config_selectorILNS1_17partition_subalgoE9EllbEEZZNS1_14partition_implILS5_9ELb0ES3_jPlS8_PNS0_10empty_typeENS0_5tupleIJS8_S9_EEENSB_IJS8_SA_EEENS0_18inequality_wrapperIZN2at6native12_GLOBAL__N_124unique_dim_cuda_templateIhEESt5tupleIJNSF_6TensorESK_SK_EERKSK_lbbbEUlllE0_EEPmJS9_EEE10hipError_tPvRmT3_T4_T5_T6_T7_T9_mT8_P12ihipStream_tbDpT10_ENKUlT_T0_E_clISt17integral_constantIbLb1EES1A_EEDaS15_S16_EUlS15_E_NS1_11comp_targetILNS1_3genE9ELNS1_11target_archE1100ELNS1_3gpuE3ELNS1_3repE0EEENS1_30default_config_static_selectorELNS0_4arch9wavefront6targetE0EEEvT1_.kd
    .uniform_work_group_size: 1
    .uses_dynamic_stack: false
    .vgpr_count:     68
    .vgpr_spill_count: 0
    .wavefront_size: 32
    .workgroup_processor_mode: 1
  - .args:
      - .offset:         0
        .size:           136
        .value_kind:     by_value
    .group_segment_fixed_size: 0
    .kernarg_segment_align: 8
    .kernarg_segment_size: 136
    .language:       OpenCL C
    .language_version:
      - 2
      - 0
    .max_flat_workgroup_size: 512
    .name:           _ZN7rocprim17ROCPRIM_400000_NS6detail17trampoline_kernelINS0_14default_configENS1_25partition_config_selectorILNS1_17partition_subalgoE9EllbEEZZNS1_14partition_implILS5_9ELb0ES3_jPlS8_PNS0_10empty_typeENS0_5tupleIJS8_S9_EEENSB_IJS8_SA_EEENS0_18inequality_wrapperIZN2at6native12_GLOBAL__N_124unique_dim_cuda_templateIhEESt5tupleIJNSF_6TensorESK_SK_EERKSK_lbbbEUlllE0_EEPmJS9_EEE10hipError_tPvRmT3_T4_T5_T6_T7_T9_mT8_P12ihipStream_tbDpT10_ENKUlT_T0_E_clISt17integral_constantIbLb1EES1A_EEDaS15_S16_EUlS15_E_NS1_11comp_targetILNS1_3genE8ELNS1_11target_archE1030ELNS1_3gpuE2ELNS1_3repE0EEENS1_30default_config_static_selectorELNS0_4arch9wavefront6targetE0EEEvT1_
    .private_segment_fixed_size: 0
    .sgpr_count:     0
    .sgpr_spill_count: 0
    .symbol:         _ZN7rocprim17ROCPRIM_400000_NS6detail17trampoline_kernelINS0_14default_configENS1_25partition_config_selectorILNS1_17partition_subalgoE9EllbEEZZNS1_14partition_implILS5_9ELb0ES3_jPlS8_PNS0_10empty_typeENS0_5tupleIJS8_S9_EEENSB_IJS8_SA_EEENS0_18inequality_wrapperIZN2at6native12_GLOBAL__N_124unique_dim_cuda_templateIhEESt5tupleIJNSF_6TensorESK_SK_EERKSK_lbbbEUlllE0_EEPmJS9_EEE10hipError_tPvRmT3_T4_T5_T6_T7_T9_mT8_P12ihipStream_tbDpT10_ENKUlT_T0_E_clISt17integral_constantIbLb1EES1A_EEDaS15_S16_EUlS15_E_NS1_11comp_targetILNS1_3genE8ELNS1_11target_archE1030ELNS1_3gpuE2ELNS1_3repE0EEENS1_30default_config_static_selectorELNS0_4arch9wavefront6targetE0EEEvT1_.kd
    .uniform_work_group_size: 1
    .uses_dynamic_stack: false
    .vgpr_count:     0
    .vgpr_spill_count: 0
    .wavefront_size: 32
    .workgroup_processor_mode: 1
  - .args:
      - .offset:         0
        .size:           120
        .value_kind:     by_value
    .group_segment_fixed_size: 0
    .kernarg_segment_align: 8
    .kernarg_segment_size: 120
    .language:       OpenCL C
    .language_version:
      - 2
      - 0
    .max_flat_workgroup_size: 128
    .name:           _ZN7rocprim17ROCPRIM_400000_NS6detail17trampoline_kernelINS0_14default_configENS1_25partition_config_selectorILNS1_17partition_subalgoE9EllbEEZZNS1_14partition_implILS5_9ELb0ES3_jPlS8_PNS0_10empty_typeENS0_5tupleIJS8_S9_EEENSB_IJS8_SA_EEENS0_18inequality_wrapperIZN2at6native12_GLOBAL__N_124unique_dim_cuda_templateIhEESt5tupleIJNSF_6TensorESK_SK_EERKSK_lbbbEUlllE0_EEPmJS9_EEE10hipError_tPvRmT3_T4_T5_T6_T7_T9_mT8_P12ihipStream_tbDpT10_ENKUlT_T0_E_clISt17integral_constantIbLb1EES19_IbLb0EEEEDaS15_S16_EUlS15_E_NS1_11comp_targetILNS1_3genE0ELNS1_11target_archE4294967295ELNS1_3gpuE0ELNS1_3repE0EEENS1_30default_config_static_selectorELNS0_4arch9wavefront6targetE0EEEvT1_
    .private_segment_fixed_size: 0
    .sgpr_count:     0
    .sgpr_spill_count: 0
    .symbol:         _ZN7rocprim17ROCPRIM_400000_NS6detail17trampoline_kernelINS0_14default_configENS1_25partition_config_selectorILNS1_17partition_subalgoE9EllbEEZZNS1_14partition_implILS5_9ELb0ES3_jPlS8_PNS0_10empty_typeENS0_5tupleIJS8_S9_EEENSB_IJS8_SA_EEENS0_18inequality_wrapperIZN2at6native12_GLOBAL__N_124unique_dim_cuda_templateIhEESt5tupleIJNSF_6TensorESK_SK_EERKSK_lbbbEUlllE0_EEPmJS9_EEE10hipError_tPvRmT3_T4_T5_T6_T7_T9_mT8_P12ihipStream_tbDpT10_ENKUlT_T0_E_clISt17integral_constantIbLb1EES19_IbLb0EEEEDaS15_S16_EUlS15_E_NS1_11comp_targetILNS1_3genE0ELNS1_11target_archE4294967295ELNS1_3gpuE0ELNS1_3repE0EEENS1_30default_config_static_selectorELNS0_4arch9wavefront6targetE0EEEvT1_.kd
    .uniform_work_group_size: 1
    .uses_dynamic_stack: false
    .vgpr_count:     0
    .vgpr_spill_count: 0
    .wavefront_size: 32
    .workgroup_processor_mode: 1
  - .args:
      - .offset:         0
        .size:           120
        .value_kind:     by_value
    .group_segment_fixed_size: 0
    .kernarg_segment_align: 8
    .kernarg_segment_size: 120
    .language:       OpenCL C
    .language_version:
      - 2
      - 0
    .max_flat_workgroup_size: 512
    .name:           _ZN7rocprim17ROCPRIM_400000_NS6detail17trampoline_kernelINS0_14default_configENS1_25partition_config_selectorILNS1_17partition_subalgoE9EllbEEZZNS1_14partition_implILS5_9ELb0ES3_jPlS8_PNS0_10empty_typeENS0_5tupleIJS8_S9_EEENSB_IJS8_SA_EEENS0_18inequality_wrapperIZN2at6native12_GLOBAL__N_124unique_dim_cuda_templateIhEESt5tupleIJNSF_6TensorESK_SK_EERKSK_lbbbEUlllE0_EEPmJS9_EEE10hipError_tPvRmT3_T4_T5_T6_T7_T9_mT8_P12ihipStream_tbDpT10_ENKUlT_T0_E_clISt17integral_constantIbLb1EES19_IbLb0EEEEDaS15_S16_EUlS15_E_NS1_11comp_targetILNS1_3genE5ELNS1_11target_archE942ELNS1_3gpuE9ELNS1_3repE0EEENS1_30default_config_static_selectorELNS0_4arch9wavefront6targetE0EEEvT1_
    .private_segment_fixed_size: 0
    .sgpr_count:     0
    .sgpr_spill_count: 0
    .symbol:         _ZN7rocprim17ROCPRIM_400000_NS6detail17trampoline_kernelINS0_14default_configENS1_25partition_config_selectorILNS1_17partition_subalgoE9EllbEEZZNS1_14partition_implILS5_9ELb0ES3_jPlS8_PNS0_10empty_typeENS0_5tupleIJS8_S9_EEENSB_IJS8_SA_EEENS0_18inequality_wrapperIZN2at6native12_GLOBAL__N_124unique_dim_cuda_templateIhEESt5tupleIJNSF_6TensorESK_SK_EERKSK_lbbbEUlllE0_EEPmJS9_EEE10hipError_tPvRmT3_T4_T5_T6_T7_T9_mT8_P12ihipStream_tbDpT10_ENKUlT_T0_E_clISt17integral_constantIbLb1EES19_IbLb0EEEEDaS15_S16_EUlS15_E_NS1_11comp_targetILNS1_3genE5ELNS1_11target_archE942ELNS1_3gpuE9ELNS1_3repE0EEENS1_30default_config_static_selectorELNS0_4arch9wavefront6targetE0EEEvT1_.kd
    .uniform_work_group_size: 1
    .uses_dynamic_stack: false
    .vgpr_count:     0
    .vgpr_spill_count: 0
    .wavefront_size: 32
    .workgroup_processor_mode: 1
  - .args:
      - .offset:         0
        .size:           120
        .value_kind:     by_value
    .group_segment_fixed_size: 0
    .kernarg_segment_align: 8
    .kernarg_segment_size: 120
    .language:       OpenCL C
    .language_version:
      - 2
      - 0
    .max_flat_workgroup_size: 128
    .name:           _ZN7rocprim17ROCPRIM_400000_NS6detail17trampoline_kernelINS0_14default_configENS1_25partition_config_selectorILNS1_17partition_subalgoE9EllbEEZZNS1_14partition_implILS5_9ELb0ES3_jPlS8_PNS0_10empty_typeENS0_5tupleIJS8_S9_EEENSB_IJS8_SA_EEENS0_18inequality_wrapperIZN2at6native12_GLOBAL__N_124unique_dim_cuda_templateIhEESt5tupleIJNSF_6TensorESK_SK_EERKSK_lbbbEUlllE0_EEPmJS9_EEE10hipError_tPvRmT3_T4_T5_T6_T7_T9_mT8_P12ihipStream_tbDpT10_ENKUlT_T0_E_clISt17integral_constantIbLb1EES19_IbLb0EEEEDaS15_S16_EUlS15_E_NS1_11comp_targetILNS1_3genE4ELNS1_11target_archE910ELNS1_3gpuE8ELNS1_3repE0EEENS1_30default_config_static_selectorELNS0_4arch9wavefront6targetE0EEEvT1_
    .private_segment_fixed_size: 0
    .sgpr_count:     0
    .sgpr_spill_count: 0
    .symbol:         _ZN7rocprim17ROCPRIM_400000_NS6detail17trampoline_kernelINS0_14default_configENS1_25partition_config_selectorILNS1_17partition_subalgoE9EllbEEZZNS1_14partition_implILS5_9ELb0ES3_jPlS8_PNS0_10empty_typeENS0_5tupleIJS8_S9_EEENSB_IJS8_SA_EEENS0_18inequality_wrapperIZN2at6native12_GLOBAL__N_124unique_dim_cuda_templateIhEESt5tupleIJNSF_6TensorESK_SK_EERKSK_lbbbEUlllE0_EEPmJS9_EEE10hipError_tPvRmT3_T4_T5_T6_T7_T9_mT8_P12ihipStream_tbDpT10_ENKUlT_T0_E_clISt17integral_constantIbLb1EES19_IbLb0EEEEDaS15_S16_EUlS15_E_NS1_11comp_targetILNS1_3genE4ELNS1_11target_archE910ELNS1_3gpuE8ELNS1_3repE0EEENS1_30default_config_static_selectorELNS0_4arch9wavefront6targetE0EEEvT1_.kd
    .uniform_work_group_size: 1
    .uses_dynamic_stack: false
    .vgpr_count:     0
    .vgpr_spill_count: 0
    .wavefront_size: 32
    .workgroup_processor_mode: 1
  - .args:
      - .offset:         0
        .size:           120
        .value_kind:     by_value
    .group_segment_fixed_size: 0
    .kernarg_segment_align: 8
    .kernarg_segment_size: 120
    .language:       OpenCL C
    .language_version:
      - 2
      - 0
    .max_flat_workgroup_size: 128
    .name:           _ZN7rocprim17ROCPRIM_400000_NS6detail17trampoline_kernelINS0_14default_configENS1_25partition_config_selectorILNS1_17partition_subalgoE9EllbEEZZNS1_14partition_implILS5_9ELb0ES3_jPlS8_PNS0_10empty_typeENS0_5tupleIJS8_S9_EEENSB_IJS8_SA_EEENS0_18inequality_wrapperIZN2at6native12_GLOBAL__N_124unique_dim_cuda_templateIhEESt5tupleIJNSF_6TensorESK_SK_EERKSK_lbbbEUlllE0_EEPmJS9_EEE10hipError_tPvRmT3_T4_T5_T6_T7_T9_mT8_P12ihipStream_tbDpT10_ENKUlT_T0_E_clISt17integral_constantIbLb1EES19_IbLb0EEEEDaS15_S16_EUlS15_E_NS1_11comp_targetILNS1_3genE3ELNS1_11target_archE908ELNS1_3gpuE7ELNS1_3repE0EEENS1_30default_config_static_selectorELNS0_4arch9wavefront6targetE0EEEvT1_
    .private_segment_fixed_size: 0
    .sgpr_count:     0
    .sgpr_spill_count: 0
    .symbol:         _ZN7rocprim17ROCPRIM_400000_NS6detail17trampoline_kernelINS0_14default_configENS1_25partition_config_selectorILNS1_17partition_subalgoE9EllbEEZZNS1_14partition_implILS5_9ELb0ES3_jPlS8_PNS0_10empty_typeENS0_5tupleIJS8_S9_EEENSB_IJS8_SA_EEENS0_18inequality_wrapperIZN2at6native12_GLOBAL__N_124unique_dim_cuda_templateIhEESt5tupleIJNSF_6TensorESK_SK_EERKSK_lbbbEUlllE0_EEPmJS9_EEE10hipError_tPvRmT3_T4_T5_T6_T7_T9_mT8_P12ihipStream_tbDpT10_ENKUlT_T0_E_clISt17integral_constantIbLb1EES19_IbLb0EEEEDaS15_S16_EUlS15_E_NS1_11comp_targetILNS1_3genE3ELNS1_11target_archE908ELNS1_3gpuE7ELNS1_3repE0EEENS1_30default_config_static_selectorELNS0_4arch9wavefront6targetE0EEEvT1_.kd
    .uniform_work_group_size: 1
    .uses_dynamic_stack: false
    .vgpr_count:     0
    .vgpr_spill_count: 0
    .wavefront_size: 32
    .workgroup_processor_mode: 1
  - .args:
      - .offset:         0
        .size:           120
        .value_kind:     by_value
    .group_segment_fixed_size: 0
    .kernarg_segment_align: 8
    .kernarg_segment_size: 120
    .language:       OpenCL C
    .language_version:
      - 2
      - 0
    .max_flat_workgroup_size: 192
    .name:           _ZN7rocprim17ROCPRIM_400000_NS6detail17trampoline_kernelINS0_14default_configENS1_25partition_config_selectorILNS1_17partition_subalgoE9EllbEEZZNS1_14partition_implILS5_9ELb0ES3_jPlS8_PNS0_10empty_typeENS0_5tupleIJS8_S9_EEENSB_IJS8_SA_EEENS0_18inequality_wrapperIZN2at6native12_GLOBAL__N_124unique_dim_cuda_templateIhEESt5tupleIJNSF_6TensorESK_SK_EERKSK_lbbbEUlllE0_EEPmJS9_EEE10hipError_tPvRmT3_T4_T5_T6_T7_T9_mT8_P12ihipStream_tbDpT10_ENKUlT_T0_E_clISt17integral_constantIbLb1EES19_IbLb0EEEEDaS15_S16_EUlS15_E_NS1_11comp_targetILNS1_3genE2ELNS1_11target_archE906ELNS1_3gpuE6ELNS1_3repE0EEENS1_30default_config_static_selectorELNS0_4arch9wavefront6targetE0EEEvT1_
    .private_segment_fixed_size: 0
    .sgpr_count:     0
    .sgpr_spill_count: 0
    .symbol:         _ZN7rocprim17ROCPRIM_400000_NS6detail17trampoline_kernelINS0_14default_configENS1_25partition_config_selectorILNS1_17partition_subalgoE9EllbEEZZNS1_14partition_implILS5_9ELb0ES3_jPlS8_PNS0_10empty_typeENS0_5tupleIJS8_S9_EEENSB_IJS8_SA_EEENS0_18inequality_wrapperIZN2at6native12_GLOBAL__N_124unique_dim_cuda_templateIhEESt5tupleIJNSF_6TensorESK_SK_EERKSK_lbbbEUlllE0_EEPmJS9_EEE10hipError_tPvRmT3_T4_T5_T6_T7_T9_mT8_P12ihipStream_tbDpT10_ENKUlT_T0_E_clISt17integral_constantIbLb1EES19_IbLb0EEEEDaS15_S16_EUlS15_E_NS1_11comp_targetILNS1_3genE2ELNS1_11target_archE906ELNS1_3gpuE6ELNS1_3repE0EEENS1_30default_config_static_selectorELNS0_4arch9wavefront6targetE0EEEvT1_.kd
    .uniform_work_group_size: 1
    .uses_dynamic_stack: false
    .vgpr_count:     0
    .vgpr_spill_count: 0
    .wavefront_size: 32
    .workgroup_processor_mode: 1
  - .args:
      - .offset:         0
        .size:           120
        .value_kind:     by_value
    .group_segment_fixed_size: 0
    .kernarg_segment_align: 8
    .kernarg_segment_size: 120
    .language:       OpenCL C
    .language_version:
      - 2
      - 0
    .max_flat_workgroup_size: 384
    .name:           _ZN7rocprim17ROCPRIM_400000_NS6detail17trampoline_kernelINS0_14default_configENS1_25partition_config_selectorILNS1_17partition_subalgoE9EllbEEZZNS1_14partition_implILS5_9ELb0ES3_jPlS8_PNS0_10empty_typeENS0_5tupleIJS8_S9_EEENSB_IJS8_SA_EEENS0_18inequality_wrapperIZN2at6native12_GLOBAL__N_124unique_dim_cuda_templateIhEESt5tupleIJNSF_6TensorESK_SK_EERKSK_lbbbEUlllE0_EEPmJS9_EEE10hipError_tPvRmT3_T4_T5_T6_T7_T9_mT8_P12ihipStream_tbDpT10_ENKUlT_T0_E_clISt17integral_constantIbLb1EES19_IbLb0EEEEDaS15_S16_EUlS15_E_NS1_11comp_targetILNS1_3genE10ELNS1_11target_archE1200ELNS1_3gpuE4ELNS1_3repE0EEENS1_30default_config_static_selectorELNS0_4arch9wavefront6targetE0EEEvT1_
    .private_segment_fixed_size: 0
    .sgpr_count:     0
    .sgpr_spill_count: 0
    .symbol:         _ZN7rocprim17ROCPRIM_400000_NS6detail17trampoline_kernelINS0_14default_configENS1_25partition_config_selectorILNS1_17partition_subalgoE9EllbEEZZNS1_14partition_implILS5_9ELb0ES3_jPlS8_PNS0_10empty_typeENS0_5tupleIJS8_S9_EEENSB_IJS8_SA_EEENS0_18inequality_wrapperIZN2at6native12_GLOBAL__N_124unique_dim_cuda_templateIhEESt5tupleIJNSF_6TensorESK_SK_EERKSK_lbbbEUlllE0_EEPmJS9_EEE10hipError_tPvRmT3_T4_T5_T6_T7_T9_mT8_P12ihipStream_tbDpT10_ENKUlT_T0_E_clISt17integral_constantIbLb1EES19_IbLb0EEEEDaS15_S16_EUlS15_E_NS1_11comp_targetILNS1_3genE10ELNS1_11target_archE1200ELNS1_3gpuE4ELNS1_3repE0EEENS1_30default_config_static_selectorELNS0_4arch9wavefront6targetE0EEEvT1_.kd
    .uniform_work_group_size: 1
    .uses_dynamic_stack: false
    .vgpr_count:     0
    .vgpr_spill_count: 0
    .wavefront_size: 32
    .workgroup_processor_mode: 1
  - .args:
      - .offset:         0
        .size:           120
        .value_kind:     by_value
    .group_segment_fixed_size: 33804
    .kernarg_segment_align: 8
    .kernarg_segment_size: 120
    .language:       OpenCL C
    .language_version:
      - 2
      - 0
    .max_flat_workgroup_size: 512
    .name:           _ZN7rocprim17ROCPRIM_400000_NS6detail17trampoline_kernelINS0_14default_configENS1_25partition_config_selectorILNS1_17partition_subalgoE9EllbEEZZNS1_14partition_implILS5_9ELb0ES3_jPlS8_PNS0_10empty_typeENS0_5tupleIJS8_S9_EEENSB_IJS8_SA_EEENS0_18inequality_wrapperIZN2at6native12_GLOBAL__N_124unique_dim_cuda_templateIhEESt5tupleIJNSF_6TensorESK_SK_EERKSK_lbbbEUlllE0_EEPmJS9_EEE10hipError_tPvRmT3_T4_T5_T6_T7_T9_mT8_P12ihipStream_tbDpT10_ENKUlT_T0_E_clISt17integral_constantIbLb1EES19_IbLb0EEEEDaS15_S16_EUlS15_E_NS1_11comp_targetILNS1_3genE9ELNS1_11target_archE1100ELNS1_3gpuE3ELNS1_3repE0EEENS1_30default_config_static_selectorELNS0_4arch9wavefront6targetE0EEEvT1_
    .private_segment_fixed_size: 0
    .sgpr_count:     38
    .sgpr_spill_count: 0
    .symbol:         _ZN7rocprim17ROCPRIM_400000_NS6detail17trampoline_kernelINS0_14default_configENS1_25partition_config_selectorILNS1_17partition_subalgoE9EllbEEZZNS1_14partition_implILS5_9ELb0ES3_jPlS8_PNS0_10empty_typeENS0_5tupleIJS8_S9_EEENSB_IJS8_SA_EEENS0_18inequality_wrapperIZN2at6native12_GLOBAL__N_124unique_dim_cuda_templateIhEESt5tupleIJNSF_6TensorESK_SK_EERKSK_lbbbEUlllE0_EEPmJS9_EEE10hipError_tPvRmT3_T4_T5_T6_T7_T9_mT8_P12ihipStream_tbDpT10_ENKUlT_T0_E_clISt17integral_constantIbLb1EES19_IbLb0EEEEDaS15_S16_EUlS15_E_NS1_11comp_targetILNS1_3genE9ELNS1_11target_archE1100ELNS1_3gpuE3ELNS1_3repE0EEENS1_30default_config_static_selectorELNS0_4arch9wavefront6targetE0EEEvT1_.kd
    .uniform_work_group_size: 1
    .uses_dynamic_stack: false
    .vgpr_count:     68
    .vgpr_spill_count: 0
    .wavefront_size: 32
    .workgroup_processor_mode: 1
  - .args:
      - .offset:         0
        .size:           120
        .value_kind:     by_value
    .group_segment_fixed_size: 0
    .kernarg_segment_align: 8
    .kernarg_segment_size: 120
    .language:       OpenCL C
    .language_version:
      - 2
      - 0
    .max_flat_workgroup_size: 512
    .name:           _ZN7rocprim17ROCPRIM_400000_NS6detail17trampoline_kernelINS0_14default_configENS1_25partition_config_selectorILNS1_17partition_subalgoE9EllbEEZZNS1_14partition_implILS5_9ELb0ES3_jPlS8_PNS0_10empty_typeENS0_5tupleIJS8_S9_EEENSB_IJS8_SA_EEENS0_18inequality_wrapperIZN2at6native12_GLOBAL__N_124unique_dim_cuda_templateIhEESt5tupleIJNSF_6TensorESK_SK_EERKSK_lbbbEUlllE0_EEPmJS9_EEE10hipError_tPvRmT3_T4_T5_T6_T7_T9_mT8_P12ihipStream_tbDpT10_ENKUlT_T0_E_clISt17integral_constantIbLb1EES19_IbLb0EEEEDaS15_S16_EUlS15_E_NS1_11comp_targetILNS1_3genE8ELNS1_11target_archE1030ELNS1_3gpuE2ELNS1_3repE0EEENS1_30default_config_static_selectorELNS0_4arch9wavefront6targetE0EEEvT1_
    .private_segment_fixed_size: 0
    .sgpr_count:     0
    .sgpr_spill_count: 0
    .symbol:         _ZN7rocprim17ROCPRIM_400000_NS6detail17trampoline_kernelINS0_14default_configENS1_25partition_config_selectorILNS1_17partition_subalgoE9EllbEEZZNS1_14partition_implILS5_9ELb0ES3_jPlS8_PNS0_10empty_typeENS0_5tupleIJS8_S9_EEENSB_IJS8_SA_EEENS0_18inequality_wrapperIZN2at6native12_GLOBAL__N_124unique_dim_cuda_templateIhEESt5tupleIJNSF_6TensorESK_SK_EERKSK_lbbbEUlllE0_EEPmJS9_EEE10hipError_tPvRmT3_T4_T5_T6_T7_T9_mT8_P12ihipStream_tbDpT10_ENKUlT_T0_E_clISt17integral_constantIbLb1EES19_IbLb0EEEEDaS15_S16_EUlS15_E_NS1_11comp_targetILNS1_3genE8ELNS1_11target_archE1030ELNS1_3gpuE2ELNS1_3repE0EEENS1_30default_config_static_selectorELNS0_4arch9wavefront6targetE0EEEvT1_.kd
    .uniform_work_group_size: 1
    .uses_dynamic_stack: false
    .vgpr_count:     0
    .vgpr_spill_count: 0
    .wavefront_size: 32
    .workgroup_processor_mode: 1
  - .args:
      - .offset:         0
        .size:           136
        .value_kind:     by_value
    .group_segment_fixed_size: 0
    .kernarg_segment_align: 8
    .kernarg_segment_size: 136
    .language:       OpenCL C
    .language_version:
      - 2
      - 0
    .max_flat_workgroup_size: 128
    .name:           _ZN7rocprim17ROCPRIM_400000_NS6detail17trampoline_kernelINS0_14default_configENS1_25partition_config_selectorILNS1_17partition_subalgoE9EllbEEZZNS1_14partition_implILS5_9ELb0ES3_jPlS8_PNS0_10empty_typeENS0_5tupleIJS8_S9_EEENSB_IJS8_SA_EEENS0_18inequality_wrapperIZN2at6native12_GLOBAL__N_124unique_dim_cuda_templateIhEESt5tupleIJNSF_6TensorESK_SK_EERKSK_lbbbEUlllE0_EEPmJS9_EEE10hipError_tPvRmT3_T4_T5_T6_T7_T9_mT8_P12ihipStream_tbDpT10_ENKUlT_T0_E_clISt17integral_constantIbLb0EES19_IbLb1EEEEDaS15_S16_EUlS15_E_NS1_11comp_targetILNS1_3genE0ELNS1_11target_archE4294967295ELNS1_3gpuE0ELNS1_3repE0EEENS1_30default_config_static_selectorELNS0_4arch9wavefront6targetE0EEEvT1_
    .private_segment_fixed_size: 0
    .sgpr_count:     0
    .sgpr_spill_count: 0
    .symbol:         _ZN7rocprim17ROCPRIM_400000_NS6detail17trampoline_kernelINS0_14default_configENS1_25partition_config_selectorILNS1_17partition_subalgoE9EllbEEZZNS1_14partition_implILS5_9ELb0ES3_jPlS8_PNS0_10empty_typeENS0_5tupleIJS8_S9_EEENSB_IJS8_SA_EEENS0_18inequality_wrapperIZN2at6native12_GLOBAL__N_124unique_dim_cuda_templateIhEESt5tupleIJNSF_6TensorESK_SK_EERKSK_lbbbEUlllE0_EEPmJS9_EEE10hipError_tPvRmT3_T4_T5_T6_T7_T9_mT8_P12ihipStream_tbDpT10_ENKUlT_T0_E_clISt17integral_constantIbLb0EES19_IbLb1EEEEDaS15_S16_EUlS15_E_NS1_11comp_targetILNS1_3genE0ELNS1_11target_archE4294967295ELNS1_3gpuE0ELNS1_3repE0EEENS1_30default_config_static_selectorELNS0_4arch9wavefront6targetE0EEEvT1_.kd
    .uniform_work_group_size: 1
    .uses_dynamic_stack: false
    .vgpr_count:     0
    .vgpr_spill_count: 0
    .wavefront_size: 32
    .workgroup_processor_mode: 1
  - .args:
      - .offset:         0
        .size:           136
        .value_kind:     by_value
    .group_segment_fixed_size: 0
    .kernarg_segment_align: 8
    .kernarg_segment_size: 136
    .language:       OpenCL C
    .language_version:
      - 2
      - 0
    .max_flat_workgroup_size: 512
    .name:           _ZN7rocprim17ROCPRIM_400000_NS6detail17trampoline_kernelINS0_14default_configENS1_25partition_config_selectorILNS1_17partition_subalgoE9EllbEEZZNS1_14partition_implILS5_9ELb0ES3_jPlS8_PNS0_10empty_typeENS0_5tupleIJS8_S9_EEENSB_IJS8_SA_EEENS0_18inequality_wrapperIZN2at6native12_GLOBAL__N_124unique_dim_cuda_templateIhEESt5tupleIJNSF_6TensorESK_SK_EERKSK_lbbbEUlllE0_EEPmJS9_EEE10hipError_tPvRmT3_T4_T5_T6_T7_T9_mT8_P12ihipStream_tbDpT10_ENKUlT_T0_E_clISt17integral_constantIbLb0EES19_IbLb1EEEEDaS15_S16_EUlS15_E_NS1_11comp_targetILNS1_3genE5ELNS1_11target_archE942ELNS1_3gpuE9ELNS1_3repE0EEENS1_30default_config_static_selectorELNS0_4arch9wavefront6targetE0EEEvT1_
    .private_segment_fixed_size: 0
    .sgpr_count:     0
    .sgpr_spill_count: 0
    .symbol:         _ZN7rocprim17ROCPRIM_400000_NS6detail17trampoline_kernelINS0_14default_configENS1_25partition_config_selectorILNS1_17partition_subalgoE9EllbEEZZNS1_14partition_implILS5_9ELb0ES3_jPlS8_PNS0_10empty_typeENS0_5tupleIJS8_S9_EEENSB_IJS8_SA_EEENS0_18inequality_wrapperIZN2at6native12_GLOBAL__N_124unique_dim_cuda_templateIhEESt5tupleIJNSF_6TensorESK_SK_EERKSK_lbbbEUlllE0_EEPmJS9_EEE10hipError_tPvRmT3_T4_T5_T6_T7_T9_mT8_P12ihipStream_tbDpT10_ENKUlT_T0_E_clISt17integral_constantIbLb0EES19_IbLb1EEEEDaS15_S16_EUlS15_E_NS1_11comp_targetILNS1_3genE5ELNS1_11target_archE942ELNS1_3gpuE9ELNS1_3repE0EEENS1_30default_config_static_selectorELNS0_4arch9wavefront6targetE0EEEvT1_.kd
    .uniform_work_group_size: 1
    .uses_dynamic_stack: false
    .vgpr_count:     0
    .vgpr_spill_count: 0
    .wavefront_size: 32
    .workgroup_processor_mode: 1
  - .args:
      - .offset:         0
        .size:           136
        .value_kind:     by_value
    .group_segment_fixed_size: 0
    .kernarg_segment_align: 8
    .kernarg_segment_size: 136
    .language:       OpenCL C
    .language_version:
      - 2
      - 0
    .max_flat_workgroup_size: 128
    .name:           _ZN7rocprim17ROCPRIM_400000_NS6detail17trampoline_kernelINS0_14default_configENS1_25partition_config_selectorILNS1_17partition_subalgoE9EllbEEZZNS1_14partition_implILS5_9ELb0ES3_jPlS8_PNS0_10empty_typeENS0_5tupleIJS8_S9_EEENSB_IJS8_SA_EEENS0_18inequality_wrapperIZN2at6native12_GLOBAL__N_124unique_dim_cuda_templateIhEESt5tupleIJNSF_6TensorESK_SK_EERKSK_lbbbEUlllE0_EEPmJS9_EEE10hipError_tPvRmT3_T4_T5_T6_T7_T9_mT8_P12ihipStream_tbDpT10_ENKUlT_T0_E_clISt17integral_constantIbLb0EES19_IbLb1EEEEDaS15_S16_EUlS15_E_NS1_11comp_targetILNS1_3genE4ELNS1_11target_archE910ELNS1_3gpuE8ELNS1_3repE0EEENS1_30default_config_static_selectorELNS0_4arch9wavefront6targetE0EEEvT1_
    .private_segment_fixed_size: 0
    .sgpr_count:     0
    .sgpr_spill_count: 0
    .symbol:         _ZN7rocprim17ROCPRIM_400000_NS6detail17trampoline_kernelINS0_14default_configENS1_25partition_config_selectorILNS1_17partition_subalgoE9EllbEEZZNS1_14partition_implILS5_9ELb0ES3_jPlS8_PNS0_10empty_typeENS0_5tupleIJS8_S9_EEENSB_IJS8_SA_EEENS0_18inequality_wrapperIZN2at6native12_GLOBAL__N_124unique_dim_cuda_templateIhEESt5tupleIJNSF_6TensorESK_SK_EERKSK_lbbbEUlllE0_EEPmJS9_EEE10hipError_tPvRmT3_T4_T5_T6_T7_T9_mT8_P12ihipStream_tbDpT10_ENKUlT_T0_E_clISt17integral_constantIbLb0EES19_IbLb1EEEEDaS15_S16_EUlS15_E_NS1_11comp_targetILNS1_3genE4ELNS1_11target_archE910ELNS1_3gpuE8ELNS1_3repE0EEENS1_30default_config_static_selectorELNS0_4arch9wavefront6targetE0EEEvT1_.kd
    .uniform_work_group_size: 1
    .uses_dynamic_stack: false
    .vgpr_count:     0
    .vgpr_spill_count: 0
    .wavefront_size: 32
    .workgroup_processor_mode: 1
  - .args:
      - .offset:         0
        .size:           136
        .value_kind:     by_value
    .group_segment_fixed_size: 0
    .kernarg_segment_align: 8
    .kernarg_segment_size: 136
    .language:       OpenCL C
    .language_version:
      - 2
      - 0
    .max_flat_workgroup_size: 128
    .name:           _ZN7rocprim17ROCPRIM_400000_NS6detail17trampoline_kernelINS0_14default_configENS1_25partition_config_selectorILNS1_17partition_subalgoE9EllbEEZZNS1_14partition_implILS5_9ELb0ES3_jPlS8_PNS0_10empty_typeENS0_5tupleIJS8_S9_EEENSB_IJS8_SA_EEENS0_18inequality_wrapperIZN2at6native12_GLOBAL__N_124unique_dim_cuda_templateIhEESt5tupleIJNSF_6TensorESK_SK_EERKSK_lbbbEUlllE0_EEPmJS9_EEE10hipError_tPvRmT3_T4_T5_T6_T7_T9_mT8_P12ihipStream_tbDpT10_ENKUlT_T0_E_clISt17integral_constantIbLb0EES19_IbLb1EEEEDaS15_S16_EUlS15_E_NS1_11comp_targetILNS1_3genE3ELNS1_11target_archE908ELNS1_3gpuE7ELNS1_3repE0EEENS1_30default_config_static_selectorELNS0_4arch9wavefront6targetE0EEEvT1_
    .private_segment_fixed_size: 0
    .sgpr_count:     0
    .sgpr_spill_count: 0
    .symbol:         _ZN7rocprim17ROCPRIM_400000_NS6detail17trampoline_kernelINS0_14default_configENS1_25partition_config_selectorILNS1_17partition_subalgoE9EllbEEZZNS1_14partition_implILS5_9ELb0ES3_jPlS8_PNS0_10empty_typeENS0_5tupleIJS8_S9_EEENSB_IJS8_SA_EEENS0_18inequality_wrapperIZN2at6native12_GLOBAL__N_124unique_dim_cuda_templateIhEESt5tupleIJNSF_6TensorESK_SK_EERKSK_lbbbEUlllE0_EEPmJS9_EEE10hipError_tPvRmT3_T4_T5_T6_T7_T9_mT8_P12ihipStream_tbDpT10_ENKUlT_T0_E_clISt17integral_constantIbLb0EES19_IbLb1EEEEDaS15_S16_EUlS15_E_NS1_11comp_targetILNS1_3genE3ELNS1_11target_archE908ELNS1_3gpuE7ELNS1_3repE0EEENS1_30default_config_static_selectorELNS0_4arch9wavefront6targetE0EEEvT1_.kd
    .uniform_work_group_size: 1
    .uses_dynamic_stack: false
    .vgpr_count:     0
    .vgpr_spill_count: 0
    .wavefront_size: 32
    .workgroup_processor_mode: 1
  - .args:
      - .offset:         0
        .size:           136
        .value_kind:     by_value
    .group_segment_fixed_size: 0
    .kernarg_segment_align: 8
    .kernarg_segment_size: 136
    .language:       OpenCL C
    .language_version:
      - 2
      - 0
    .max_flat_workgroup_size: 192
    .name:           _ZN7rocprim17ROCPRIM_400000_NS6detail17trampoline_kernelINS0_14default_configENS1_25partition_config_selectorILNS1_17partition_subalgoE9EllbEEZZNS1_14partition_implILS5_9ELb0ES3_jPlS8_PNS0_10empty_typeENS0_5tupleIJS8_S9_EEENSB_IJS8_SA_EEENS0_18inequality_wrapperIZN2at6native12_GLOBAL__N_124unique_dim_cuda_templateIhEESt5tupleIJNSF_6TensorESK_SK_EERKSK_lbbbEUlllE0_EEPmJS9_EEE10hipError_tPvRmT3_T4_T5_T6_T7_T9_mT8_P12ihipStream_tbDpT10_ENKUlT_T0_E_clISt17integral_constantIbLb0EES19_IbLb1EEEEDaS15_S16_EUlS15_E_NS1_11comp_targetILNS1_3genE2ELNS1_11target_archE906ELNS1_3gpuE6ELNS1_3repE0EEENS1_30default_config_static_selectorELNS0_4arch9wavefront6targetE0EEEvT1_
    .private_segment_fixed_size: 0
    .sgpr_count:     0
    .sgpr_spill_count: 0
    .symbol:         _ZN7rocprim17ROCPRIM_400000_NS6detail17trampoline_kernelINS0_14default_configENS1_25partition_config_selectorILNS1_17partition_subalgoE9EllbEEZZNS1_14partition_implILS5_9ELb0ES3_jPlS8_PNS0_10empty_typeENS0_5tupleIJS8_S9_EEENSB_IJS8_SA_EEENS0_18inequality_wrapperIZN2at6native12_GLOBAL__N_124unique_dim_cuda_templateIhEESt5tupleIJNSF_6TensorESK_SK_EERKSK_lbbbEUlllE0_EEPmJS9_EEE10hipError_tPvRmT3_T4_T5_T6_T7_T9_mT8_P12ihipStream_tbDpT10_ENKUlT_T0_E_clISt17integral_constantIbLb0EES19_IbLb1EEEEDaS15_S16_EUlS15_E_NS1_11comp_targetILNS1_3genE2ELNS1_11target_archE906ELNS1_3gpuE6ELNS1_3repE0EEENS1_30default_config_static_selectorELNS0_4arch9wavefront6targetE0EEEvT1_.kd
    .uniform_work_group_size: 1
    .uses_dynamic_stack: false
    .vgpr_count:     0
    .vgpr_spill_count: 0
    .wavefront_size: 32
    .workgroup_processor_mode: 1
  - .args:
      - .offset:         0
        .size:           136
        .value_kind:     by_value
    .group_segment_fixed_size: 0
    .kernarg_segment_align: 8
    .kernarg_segment_size: 136
    .language:       OpenCL C
    .language_version:
      - 2
      - 0
    .max_flat_workgroup_size: 384
    .name:           _ZN7rocprim17ROCPRIM_400000_NS6detail17trampoline_kernelINS0_14default_configENS1_25partition_config_selectorILNS1_17partition_subalgoE9EllbEEZZNS1_14partition_implILS5_9ELb0ES3_jPlS8_PNS0_10empty_typeENS0_5tupleIJS8_S9_EEENSB_IJS8_SA_EEENS0_18inequality_wrapperIZN2at6native12_GLOBAL__N_124unique_dim_cuda_templateIhEESt5tupleIJNSF_6TensorESK_SK_EERKSK_lbbbEUlllE0_EEPmJS9_EEE10hipError_tPvRmT3_T4_T5_T6_T7_T9_mT8_P12ihipStream_tbDpT10_ENKUlT_T0_E_clISt17integral_constantIbLb0EES19_IbLb1EEEEDaS15_S16_EUlS15_E_NS1_11comp_targetILNS1_3genE10ELNS1_11target_archE1200ELNS1_3gpuE4ELNS1_3repE0EEENS1_30default_config_static_selectorELNS0_4arch9wavefront6targetE0EEEvT1_
    .private_segment_fixed_size: 0
    .sgpr_count:     0
    .sgpr_spill_count: 0
    .symbol:         _ZN7rocprim17ROCPRIM_400000_NS6detail17trampoline_kernelINS0_14default_configENS1_25partition_config_selectorILNS1_17partition_subalgoE9EllbEEZZNS1_14partition_implILS5_9ELb0ES3_jPlS8_PNS0_10empty_typeENS0_5tupleIJS8_S9_EEENSB_IJS8_SA_EEENS0_18inequality_wrapperIZN2at6native12_GLOBAL__N_124unique_dim_cuda_templateIhEESt5tupleIJNSF_6TensorESK_SK_EERKSK_lbbbEUlllE0_EEPmJS9_EEE10hipError_tPvRmT3_T4_T5_T6_T7_T9_mT8_P12ihipStream_tbDpT10_ENKUlT_T0_E_clISt17integral_constantIbLb0EES19_IbLb1EEEEDaS15_S16_EUlS15_E_NS1_11comp_targetILNS1_3genE10ELNS1_11target_archE1200ELNS1_3gpuE4ELNS1_3repE0EEENS1_30default_config_static_selectorELNS0_4arch9wavefront6targetE0EEEvT1_.kd
    .uniform_work_group_size: 1
    .uses_dynamic_stack: false
    .vgpr_count:     0
    .vgpr_spill_count: 0
    .wavefront_size: 32
    .workgroup_processor_mode: 1
  - .args:
      - .offset:         0
        .size:           136
        .value_kind:     by_value
    .group_segment_fixed_size: 33804
    .kernarg_segment_align: 8
    .kernarg_segment_size: 136
    .language:       OpenCL C
    .language_version:
      - 2
      - 0
    .max_flat_workgroup_size: 512
    .name:           _ZN7rocprim17ROCPRIM_400000_NS6detail17trampoline_kernelINS0_14default_configENS1_25partition_config_selectorILNS1_17partition_subalgoE9EllbEEZZNS1_14partition_implILS5_9ELb0ES3_jPlS8_PNS0_10empty_typeENS0_5tupleIJS8_S9_EEENSB_IJS8_SA_EEENS0_18inequality_wrapperIZN2at6native12_GLOBAL__N_124unique_dim_cuda_templateIhEESt5tupleIJNSF_6TensorESK_SK_EERKSK_lbbbEUlllE0_EEPmJS9_EEE10hipError_tPvRmT3_T4_T5_T6_T7_T9_mT8_P12ihipStream_tbDpT10_ENKUlT_T0_E_clISt17integral_constantIbLb0EES19_IbLb1EEEEDaS15_S16_EUlS15_E_NS1_11comp_targetILNS1_3genE9ELNS1_11target_archE1100ELNS1_3gpuE3ELNS1_3repE0EEENS1_30default_config_static_selectorELNS0_4arch9wavefront6targetE0EEEvT1_
    .private_segment_fixed_size: 0
    .sgpr_count:     42
    .sgpr_spill_count: 0
    .symbol:         _ZN7rocprim17ROCPRIM_400000_NS6detail17trampoline_kernelINS0_14default_configENS1_25partition_config_selectorILNS1_17partition_subalgoE9EllbEEZZNS1_14partition_implILS5_9ELb0ES3_jPlS8_PNS0_10empty_typeENS0_5tupleIJS8_S9_EEENSB_IJS8_SA_EEENS0_18inequality_wrapperIZN2at6native12_GLOBAL__N_124unique_dim_cuda_templateIhEESt5tupleIJNSF_6TensorESK_SK_EERKSK_lbbbEUlllE0_EEPmJS9_EEE10hipError_tPvRmT3_T4_T5_T6_T7_T9_mT8_P12ihipStream_tbDpT10_ENKUlT_T0_E_clISt17integral_constantIbLb0EES19_IbLb1EEEEDaS15_S16_EUlS15_E_NS1_11comp_targetILNS1_3genE9ELNS1_11target_archE1100ELNS1_3gpuE3ELNS1_3repE0EEENS1_30default_config_static_selectorELNS0_4arch9wavefront6targetE0EEEvT1_.kd
    .uniform_work_group_size: 1
    .uses_dynamic_stack: false
    .vgpr_count:     68
    .vgpr_spill_count: 0
    .wavefront_size: 32
    .workgroup_processor_mode: 1
  - .args:
      - .offset:         0
        .size:           136
        .value_kind:     by_value
    .group_segment_fixed_size: 0
    .kernarg_segment_align: 8
    .kernarg_segment_size: 136
    .language:       OpenCL C
    .language_version:
      - 2
      - 0
    .max_flat_workgroup_size: 512
    .name:           _ZN7rocprim17ROCPRIM_400000_NS6detail17trampoline_kernelINS0_14default_configENS1_25partition_config_selectorILNS1_17partition_subalgoE9EllbEEZZNS1_14partition_implILS5_9ELb0ES3_jPlS8_PNS0_10empty_typeENS0_5tupleIJS8_S9_EEENSB_IJS8_SA_EEENS0_18inequality_wrapperIZN2at6native12_GLOBAL__N_124unique_dim_cuda_templateIhEESt5tupleIJNSF_6TensorESK_SK_EERKSK_lbbbEUlllE0_EEPmJS9_EEE10hipError_tPvRmT3_T4_T5_T6_T7_T9_mT8_P12ihipStream_tbDpT10_ENKUlT_T0_E_clISt17integral_constantIbLb0EES19_IbLb1EEEEDaS15_S16_EUlS15_E_NS1_11comp_targetILNS1_3genE8ELNS1_11target_archE1030ELNS1_3gpuE2ELNS1_3repE0EEENS1_30default_config_static_selectorELNS0_4arch9wavefront6targetE0EEEvT1_
    .private_segment_fixed_size: 0
    .sgpr_count:     0
    .sgpr_spill_count: 0
    .symbol:         _ZN7rocprim17ROCPRIM_400000_NS6detail17trampoline_kernelINS0_14default_configENS1_25partition_config_selectorILNS1_17partition_subalgoE9EllbEEZZNS1_14partition_implILS5_9ELb0ES3_jPlS8_PNS0_10empty_typeENS0_5tupleIJS8_S9_EEENSB_IJS8_SA_EEENS0_18inequality_wrapperIZN2at6native12_GLOBAL__N_124unique_dim_cuda_templateIhEESt5tupleIJNSF_6TensorESK_SK_EERKSK_lbbbEUlllE0_EEPmJS9_EEE10hipError_tPvRmT3_T4_T5_T6_T7_T9_mT8_P12ihipStream_tbDpT10_ENKUlT_T0_E_clISt17integral_constantIbLb0EES19_IbLb1EEEEDaS15_S16_EUlS15_E_NS1_11comp_targetILNS1_3genE8ELNS1_11target_archE1030ELNS1_3gpuE2ELNS1_3repE0EEENS1_30default_config_static_selectorELNS0_4arch9wavefront6targetE0EEEvT1_.kd
    .uniform_work_group_size: 1
    .uses_dynamic_stack: false
    .vgpr_count:     0
    .vgpr_spill_count: 0
    .wavefront_size: 32
    .workgroup_processor_mode: 1
  - .args:
      - .offset:         0
        .size:           56
        .value_kind:     by_value
    .group_segment_fixed_size: 0
    .kernarg_segment_align: 8
    .kernarg_segment_size: 56
    .language:       OpenCL C
    .language_version:
      - 2
      - 0
    .max_flat_workgroup_size: 128
    .name:           _ZN7rocprim17ROCPRIM_400000_NS6detail17trampoline_kernelINS0_14default_configENS1_35adjacent_difference_config_selectorILb0ElEEZNS1_24adjacent_difference_implIS3_Lb0ELb0EPlS7_N6thrust23THRUST_200600_302600_NS5minusIlEEEE10hipError_tPvRmT2_T3_mT4_P12ihipStream_tbEUlT_E_NS1_11comp_targetILNS1_3genE0ELNS1_11target_archE4294967295ELNS1_3gpuE0ELNS1_3repE0EEENS1_30default_config_static_selectorELNS0_4arch9wavefront6targetE0EEEvT1_
    .private_segment_fixed_size: 0
    .sgpr_count:     0
    .sgpr_spill_count: 0
    .symbol:         _ZN7rocprim17ROCPRIM_400000_NS6detail17trampoline_kernelINS0_14default_configENS1_35adjacent_difference_config_selectorILb0ElEEZNS1_24adjacent_difference_implIS3_Lb0ELb0EPlS7_N6thrust23THRUST_200600_302600_NS5minusIlEEEE10hipError_tPvRmT2_T3_mT4_P12ihipStream_tbEUlT_E_NS1_11comp_targetILNS1_3genE0ELNS1_11target_archE4294967295ELNS1_3gpuE0ELNS1_3repE0EEENS1_30default_config_static_selectorELNS0_4arch9wavefront6targetE0EEEvT1_.kd
    .uniform_work_group_size: 1
    .uses_dynamic_stack: false
    .vgpr_count:     0
    .vgpr_spill_count: 0
    .wavefront_size: 32
    .workgroup_processor_mode: 1
  - .args:
      - .offset:         0
        .size:           56
        .value_kind:     by_value
    .group_segment_fixed_size: 0
    .kernarg_segment_align: 8
    .kernarg_segment_size: 56
    .language:       OpenCL C
    .language_version:
      - 2
      - 0
    .max_flat_workgroup_size: 128
    .name:           _ZN7rocprim17ROCPRIM_400000_NS6detail17trampoline_kernelINS0_14default_configENS1_35adjacent_difference_config_selectorILb0ElEEZNS1_24adjacent_difference_implIS3_Lb0ELb0EPlS7_N6thrust23THRUST_200600_302600_NS5minusIlEEEE10hipError_tPvRmT2_T3_mT4_P12ihipStream_tbEUlT_E_NS1_11comp_targetILNS1_3genE10ELNS1_11target_archE1201ELNS1_3gpuE5ELNS1_3repE0EEENS1_30default_config_static_selectorELNS0_4arch9wavefront6targetE0EEEvT1_
    .private_segment_fixed_size: 0
    .sgpr_count:     0
    .sgpr_spill_count: 0
    .symbol:         _ZN7rocprim17ROCPRIM_400000_NS6detail17trampoline_kernelINS0_14default_configENS1_35adjacent_difference_config_selectorILb0ElEEZNS1_24adjacent_difference_implIS3_Lb0ELb0EPlS7_N6thrust23THRUST_200600_302600_NS5minusIlEEEE10hipError_tPvRmT2_T3_mT4_P12ihipStream_tbEUlT_E_NS1_11comp_targetILNS1_3genE10ELNS1_11target_archE1201ELNS1_3gpuE5ELNS1_3repE0EEENS1_30default_config_static_selectorELNS0_4arch9wavefront6targetE0EEEvT1_.kd
    .uniform_work_group_size: 1
    .uses_dynamic_stack: false
    .vgpr_count:     0
    .vgpr_spill_count: 0
    .wavefront_size: 32
    .workgroup_processor_mode: 1
  - .args:
      - .offset:         0
        .size:           56
        .value_kind:     by_value
    .group_segment_fixed_size: 0
    .kernarg_segment_align: 8
    .kernarg_segment_size: 56
    .language:       OpenCL C
    .language_version:
      - 2
      - 0
    .max_flat_workgroup_size: 64
    .name:           _ZN7rocprim17ROCPRIM_400000_NS6detail17trampoline_kernelINS0_14default_configENS1_35adjacent_difference_config_selectorILb0ElEEZNS1_24adjacent_difference_implIS3_Lb0ELb0EPlS7_N6thrust23THRUST_200600_302600_NS5minusIlEEEE10hipError_tPvRmT2_T3_mT4_P12ihipStream_tbEUlT_E_NS1_11comp_targetILNS1_3genE5ELNS1_11target_archE942ELNS1_3gpuE9ELNS1_3repE0EEENS1_30default_config_static_selectorELNS0_4arch9wavefront6targetE0EEEvT1_
    .private_segment_fixed_size: 0
    .sgpr_count:     0
    .sgpr_spill_count: 0
    .symbol:         _ZN7rocprim17ROCPRIM_400000_NS6detail17trampoline_kernelINS0_14default_configENS1_35adjacent_difference_config_selectorILb0ElEEZNS1_24adjacent_difference_implIS3_Lb0ELb0EPlS7_N6thrust23THRUST_200600_302600_NS5minusIlEEEE10hipError_tPvRmT2_T3_mT4_P12ihipStream_tbEUlT_E_NS1_11comp_targetILNS1_3genE5ELNS1_11target_archE942ELNS1_3gpuE9ELNS1_3repE0EEENS1_30default_config_static_selectorELNS0_4arch9wavefront6targetE0EEEvT1_.kd
    .uniform_work_group_size: 1
    .uses_dynamic_stack: false
    .vgpr_count:     0
    .vgpr_spill_count: 0
    .wavefront_size: 32
    .workgroup_processor_mode: 1
  - .args:
      - .offset:         0
        .size:           56
        .value_kind:     by_value
    .group_segment_fixed_size: 0
    .kernarg_segment_align: 8
    .kernarg_segment_size: 56
    .language:       OpenCL C
    .language_version:
      - 2
      - 0
    .max_flat_workgroup_size: 256
    .name:           _ZN7rocprim17ROCPRIM_400000_NS6detail17trampoline_kernelINS0_14default_configENS1_35adjacent_difference_config_selectorILb0ElEEZNS1_24adjacent_difference_implIS3_Lb0ELb0EPlS7_N6thrust23THRUST_200600_302600_NS5minusIlEEEE10hipError_tPvRmT2_T3_mT4_P12ihipStream_tbEUlT_E_NS1_11comp_targetILNS1_3genE4ELNS1_11target_archE910ELNS1_3gpuE8ELNS1_3repE0EEENS1_30default_config_static_selectorELNS0_4arch9wavefront6targetE0EEEvT1_
    .private_segment_fixed_size: 0
    .sgpr_count:     0
    .sgpr_spill_count: 0
    .symbol:         _ZN7rocprim17ROCPRIM_400000_NS6detail17trampoline_kernelINS0_14default_configENS1_35adjacent_difference_config_selectorILb0ElEEZNS1_24adjacent_difference_implIS3_Lb0ELb0EPlS7_N6thrust23THRUST_200600_302600_NS5minusIlEEEE10hipError_tPvRmT2_T3_mT4_P12ihipStream_tbEUlT_E_NS1_11comp_targetILNS1_3genE4ELNS1_11target_archE910ELNS1_3gpuE8ELNS1_3repE0EEENS1_30default_config_static_selectorELNS0_4arch9wavefront6targetE0EEEvT1_.kd
    .uniform_work_group_size: 1
    .uses_dynamic_stack: false
    .vgpr_count:     0
    .vgpr_spill_count: 0
    .wavefront_size: 32
    .workgroup_processor_mode: 1
  - .args:
      - .offset:         0
        .size:           56
        .value_kind:     by_value
    .group_segment_fixed_size: 0
    .kernarg_segment_align: 8
    .kernarg_segment_size: 56
    .language:       OpenCL C
    .language_version:
      - 2
      - 0
    .max_flat_workgroup_size: 128
    .name:           _ZN7rocprim17ROCPRIM_400000_NS6detail17trampoline_kernelINS0_14default_configENS1_35adjacent_difference_config_selectorILb0ElEEZNS1_24adjacent_difference_implIS3_Lb0ELb0EPlS7_N6thrust23THRUST_200600_302600_NS5minusIlEEEE10hipError_tPvRmT2_T3_mT4_P12ihipStream_tbEUlT_E_NS1_11comp_targetILNS1_3genE3ELNS1_11target_archE908ELNS1_3gpuE7ELNS1_3repE0EEENS1_30default_config_static_selectorELNS0_4arch9wavefront6targetE0EEEvT1_
    .private_segment_fixed_size: 0
    .sgpr_count:     0
    .sgpr_spill_count: 0
    .symbol:         _ZN7rocprim17ROCPRIM_400000_NS6detail17trampoline_kernelINS0_14default_configENS1_35adjacent_difference_config_selectorILb0ElEEZNS1_24adjacent_difference_implIS3_Lb0ELb0EPlS7_N6thrust23THRUST_200600_302600_NS5minusIlEEEE10hipError_tPvRmT2_T3_mT4_P12ihipStream_tbEUlT_E_NS1_11comp_targetILNS1_3genE3ELNS1_11target_archE908ELNS1_3gpuE7ELNS1_3repE0EEENS1_30default_config_static_selectorELNS0_4arch9wavefront6targetE0EEEvT1_.kd
    .uniform_work_group_size: 1
    .uses_dynamic_stack: false
    .vgpr_count:     0
    .vgpr_spill_count: 0
    .wavefront_size: 32
    .workgroup_processor_mode: 1
  - .args:
      - .offset:         0
        .size:           56
        .value_kind:     by_value
    .group_segment_fixed_size: 0
    .kernarg_segment_align: 8
    .kernarg_segment_size: 56
    .language:       OpenCL C
    .language_version:
      - 2
      - 0
    .max_flat_workgroup_size: 128
    .name:           _ZN7rocprim17ROCPRIM_400000_NS6detail17trampoline_kernelINS0_14default_configENS1_35adjacent_difference_config_selectorILb0ElEEZNS1_24adjacent_difference_implIS3_Lb0ELb0EPlS7_N6thrust23THRUST_200600_302600_NS5minusIlEEEE10hipError_tPvRmT2_T3_mT4_P12ihipStream_tbEUlT_E_NS1_11comp_targetILNS1_3genE2ELNS1_11target_archE906ELNS1_3gpuE6ELNS1_3repE0EEENS1_30default_config_static_selectorELNS0_4arch9wavefront6targetE0EEEvT1_
    .private_segment_fixed_size: 0
    .sgpr_count:     0
    .sgpr_spill_count: 0
    .symbol:         _ZN7rocprim17ROCPRIM_400000_NS6detail17trampoline_kernelINS0_14default_configENS1_35adjacent_difference_config_selectorILb0ElEEZNS1_24adjacent_difference_implIS3_Lb0ELb0EPlS7_N6thrust23THRUST_200600_302600_NS5minusIlEEEE10hipError_tPvRmT2_T3_mT4_P12ihipStream_tbEUlT_E_NS1_11comp_targetILNS1_3genE2ELNS1_11target_archE906ELNS1_3gpuE6ELNS1_3repE0EEENS1_30default_config_static_selectorELNS0_4arch9wavefront6targetE0EEEvT1_.kd
    .uniform_work_group_size: 1
    .uses_dynamic_stack: false
    .vgpr_count:     0
    .vgpr_spill_count: 0
    .wavefront_size: 32
    .workgroup_processor_mode: 1
  - .args:
      - .offset:         0
        .size:           56
        .value_kind:     by_value
    .group_segment_fixed_size: 8192
    .kernarg_segment_align: 8
    .kernarg_segment_size: 56
    .language:       OpenCL C
    .language_version:
      - 2
      - 0
    .max_flat_workgroup_size: 512
    .name:           _ZN7rocprim17ROCPRIM_400000_NS6detail17trampoline_kernelINS0_14default_configENS1_35adjacent_difference_config_selectorILb0ElEEZNS1_24adjacent_difference_implIS3_Lb0ELb0EPlS7_N6thrust23THRUST_200600_302600_NS5minusIlEEEE10hipError_tPvRmT2_T3_mT4_P12ihipStream_tbEUlT_E_NS1_11comp_targetILNS1_3genE9ELNS1_11target_archE1100ELNS1_3gpuE3ELNS1_3repE0EEENS1_30default_config_static_selectorELNS0_4arch9wavefront6targetE0EEEvT1_
    .private_segment_fixed_size: 0
    .sgpr_count:     22
    .sgpr_spill_count: 0
    .symbol:         _ZN7rocprim17ROCPRIM_400000_NS6detail17trampoline_kernelINS0_14default_configENS1_35adjacent_difference_config_selectorILb0ElEEZNS1_24adjacent_difference_implIS3_Lb0ELb0EPlS7_N6thrust23THRUST_200600_302600_NS5minusIlEEEE10hipError_tPvRmT2_T3_mT4_P12ihipStream_tbEUlT_E_NS1_11comp_targetILNS1_3genE9ELNS1_11target_archE1100ELNS1_3gpuE3ELNS1_3repE0EEENS1_30default_config_static_selectorELNS0_4arch9wavefront6targetE0EEEvT1_.kd
    .uniform_work_group_size: 1
    .uses_dynamic_stack: false
    .vgpr_count:     6
    .vgpr_spill_count: 0
    .wavefront_size: 32
    .workgroup_processor_mode: 1
  - .args:
      - .offset:         0
        .size:           56
        .value_kind:     by_value
    .group_segment_fixed_size: 0
    .kernarg_segment_align: 8
    .kernarg_segment_size: 56
    .language:       OpenCL C
    .language_version:
      - 2
      - 0
    .max_flat_workgroup_size: 1024
    .name:           _ZN7rocprim17ROCPRIM_400000_NS6detail17trampoline_kernelINS0_14default_configENS1_35adjacent_difference_config_selectorILb0ElEEZNS1_24adjacent_difference_implIS3_Lb0ELb0EPlS7_N6thrust23THRUST_200600_302600_NS5minusIlEEEE10hipError_tPvRmT2_T3_mT4_P12ihipStream_tbEUlT_E_NS1_11comp_targetILNS1_3genE8ELNS1_11target_archE1030ELNS1_3gpuE2ELNS1_3repE0EEENS1_30default_config_static_selectorELNS0_4arch9wavefront6targetE0EEEvT1_
    .private_segment_fixed_size: 0
    .sgpr_count:     0
    .sgpr_spill_count: 0
    .symbol:         _ZN7rocprim17ROCPRIM_400000_NS6detail17trampoline_kernelINS0_14default_configENS1_35adjacent_difference_config_selectorILb0ElEEZNS1_24adjacent_difference_implIS3_Lb0ELb0EPlS7_N6thrust23THRUST_200600_302600_NS5minusIlEEEE10hipError_tPvRmT2_T3_mT4_P12ihipStream_tbEUlT_E_NS1_11comp_targetILNS1_3genE8ELNS1_11target_archE1030ELNS1_3gpuE2ELNS1_3repE0EEENS1_30default_config_static_selectorELNS0_4arch9wavefront6targetE0EEEvT1_.kd
    .uniform_work_group_size: 1
    .uses_dynamic_stack: false
    .vgpr_count:     0
    .vgpr_spill_count: 0
    .wavefront_size: 32
    .workgroup_processor_mode: 1
  - .args:
      - .offset:         0
        .size:           56
        .value_kind:     by_value
    .group_segment_fixed_size: 0
    .kernarg_segment_align: 8
    .kernarg_segment_size: 56
    .language:       OpenCL C
    .language_version:
      - 2
      - 0
    .max_flat_workgroup_size: 128
    .name:           _ZN7rocprim17ROCPRIM_400000_NS6detail17trampoline_kernelINS0_14default_configENS1_25transform_config_selectorIlLb0EEEZNS1_14transform_implILb0ES3_S5_NS0_18transform_iteratorINS0_17counting_iteratorImlEEZNS1_24adjacent_difference_implIS3_Lb1ELb0EPlSB_N6thrust23THRUST_200600_302600_NS5minusIlEEEE10hipError_tPvRmT2_T3_mT4_P12ihipStream_tbEUlmE_lEESB_NS0_8identityIvEEEESG_SJ_SK_mSL_SN_bEUlT_E_NS1_11comp_targetILNS1_3genE0ELNS1_11target_archE4294967295ELNS1_3gpuE0ELNS1_3repE0EEENS1_30default_config_static_selectorELNS0_4arch9wavefront6targetE0EEEvT1_
    .private_segment_fixed_size: 0
    .sgpr_count:     0
    .sgpr_spill_count: 0
    .symbol:         _ZN7rocprim17ROCPRIM_400000_NS6detail17trampoline_kernelINS0_14default_configENS1_25transform_config_selectorIlLb0EEEZNS1_14transform_implILb0ES3_S5_NS0_18transform_iteratorINS0_17counting_iteratorImlEEZNS1_24adjacent_difference_implIS3_Lb1ELb0EPlSB_N6thrust23THRUST_200600_302600_NS5minusIlEEEE10hipError_tPvRmT2_T3_mT4_P12ihipStream_tbEUlmE_lEESB_NS0_8identityIvEEEESG_SJ_SK_mSL_SN_bEUlT_E_NS1_11comp_targetILNS1_3genE0ELNS1_11target_archE4294967295ELNS1_3gpuE0ELNS1_3repE0EEENS1_30default_config_static_selectorELNS0_4arch9wavefront6targetE0EEEvT1_.kd
    .uniform_work_group_size: 1
    .uses_dynamic_stack: false
    .vgpr_count:     0
    .vgpr_spill_count: 0
    .wavefront_size: 32
    .workgroup_processor_mode: 1
  - .args:
      - .offset:         0
        .size:           56
        .value_kind:     by_value
    .group_segment_fixed_size: 0
    .kernarg_segment_align: 8
    .kernarg_segment_size: 56
    .language:       OpenCL C
    .language_version:
      - 2
      - 0
    .max_flat_workgroup_size: 512
    .name:           _ZN7rocprim17ROCPRIM_400000_NS6detail17trampoline_kernelINS0_14default_configENS1_25transform_config_selectorIlLb0EEEZNS1_14transform_implILb0ES3_S5_NS0_18transform_iteratorINS0_17counting_iteratorImlEEZNS1_24adjacent_difference_implIS3_Lb1ELb0EPlSB_N6thrust23THRUST_200600_302600_NS5minusIlEEEE10hipError_tPvRmT2_T3_mT4_P12ihipStream_tbEUlmE_lEESB_NS0_8identityIvEEEESG_SJ_SK_mSL_SN_bEUlT_E_NS1_11comp_targetILNS1_3genE5ELNS1_11target_archE942ELNS1_3gpuE9ELNS1_3repE0EEENS1_30default_config_static_selectorELNS0_4arch9wavefront6targetE0EEEvT1_
    .private_segment_fixed_size: 0
    .sgpr_count:     0
    .sgpr_spill_count: 0
    .symbol:         _ZN7rocprim17ROCPRIM_400000_NS6detail17trampoline_kernelINS0_14default_configENS1_25transform_config_selectorIlLb0EEEZNS1_14transform_implILb0ES3_S5_NS0_18transform_iteratorINS0_17counting_iteratorImlEEZNS1_24adjacent_difference_implIS3_Lb1ELb0EPlSB_N6thrust23THRUST_200600_302600_NS5minusIlEEEE10hipError_tPvRmT2_T3_mT4_P12ihipStream_tbEUlmE_lEESB_NS0_8identityIvEEEESG_SJ_SK_mSL_SN_bEUlT_E_NS1_11comp_targetILNS1_3genE5ELNS1_11target_archE942ELNS1_3gpuE9ELNS1_3repE0EEENS1_30default_config_static_selectorELNS0_4arch9wavefront6targetE0EEEvT1_.kd
    .uniform_work_group_size: 1
    .uses_dynamic_stack: false
    .vgpr_count:     0
    .vgpr_spill_count: 0
    .wavefront_size: 32
    .workgroup_processor_mode: 1
  - .args:
      - .offset:         0
        .size:           56
        .value_kind:     by_value
    .group_segment_fixed_size: 0
    .kernarg_segment_align: 8
    .kernarg_segment_size: 56
    .language:       OpenCL C
    .language_version:
      - 2
      - 0
    .max_flat_workgroup_size: 256
    .name:           _ZN7rocprim17ROCPRIM_400000_NS6detail17trampoline_kernelINS0_14default_configENS1_25transform_config_selectorIlLb0EEEZNS1_14transform_implILb0ES3_S5_NS0_18transform_iteratorINS0_17counting_iteratorImlEEZNS1_24adjacent_difference_implIS3_Lb1ELb0EPlSB_N6thrust23THRUST_200600_302600_NS5minusIlEEEE10hipError_tPvRmT2_T3_mT4_P12ihipStream_tbEUlmE_lEESB_NS0_8identityIvEEEESG_SJ_SK_mSL_SN_bEUlT_E_NS1_11comp_targetILNS1_3genE4ELNS1_11target_archE910ELNS1_3gpuE8ELNS1_3repE0EEENS1_30default_config_static_selectorELNS0_4arch9wavefront6targetE0EEEvT1_
    .private_segment_fixed_size: 0
    .sgpr_count:     0
    .sgpr_spill_count: 0
    .symbol:         _ZN7rocprim17ROCPRIM_400000_NS6detail17trampoline_kernelINS0_14default_configENS1_25transform_config_selectorIlLb0EEEZNS1_14transform_implILb0ES3_S5_NS0_18transform_iteratorINS0_17counting_iteratorImlEEZNS1_24adjacent_difference_implIS3_Lb1ELb0EPlSB_N6thrust23THRUST_200600_302600_NS5minusIlEEEE10hipError_tPvRmT2_T3_mT4_P12ihipStream_tbEUlmE_lEESB_NS0_8identityIvEEEESG_SJ_SK_mSL_SN_bEUlT_E_NS1_11comp_targetILNS1_3genE4ELNS1_11target_archE910ELNS1_3gpuE8ELNS1_3repE0EEENS1_30default_config_static_selectorELNS0_4arch9wavefront6targetE0EEEvT1_.kd
    .uniform_work_group_size: 1
    .uses_dynamic_stack: false
    .vgpr_count:     0
    .vgpr_spill_count: 0
    .wavefront_size: 32
    .workgroup_processor_mode: 1
  - .args:
      - .offset:         0
        .size:           56
        .value_kind:     by_value
    .group_segment_fixed_size: 0
    .kernarg_segment_align: 8
    .kernarg_segment_size: 56
    .language:       OpenCL C
    .language_version:
      - 2
      - 0
    .max_flat_workgroup_size: 128
    .name:           _ZN7rocprim17ROCPRIM_400000_NS6detail17trampoline_kernelINS0_14default_configENS1_25transform_config_selectorIlLb0EEEZNS1_14transform_implILb0ES3_S5_NS0_18transform_iteratorINS0_17counting_iteratorImlEEZNS1_24adjacent_difference_implIS3_Lb1ELb0EPlSB_N6thrust23THRUST_200600_302600_NS5minusIlEEEE10hipError_tPvRmT2_T3_mT4_P12ihipStream_tbEUlmE_lEESB_NS0_8identityIvEEEESG_SJ_SK_mSL_SN_bEUlT_E_NS1_11comp_targetILNS1_3genE3ELNS1_11target_archE908ELNS1_3gpuE7ELNS1_3repE0EEENS1_30default_config_static_selectorELNS0_4arch9wavefront6targetE0EEEvT1_
    .private_segment_fixed_size: 0
    .sgpr_count:     0
    .sgpr_spill_count: 0
    .symbol:         _ZN7rocprim17ROCPRIM_400000_NS6detail17trampoline_kernelINS0_14default_configENS1_25transform_config_selectorIlLb0EEEZNS1_14transform_implILb0ES3_S5_NS0_18transform_iteratorINS0_17counting_iteratorImlEEZNS1_24adjacent_difference_implIS3_Lb1ELb0EPlSB_N6thrust23THRUST_200600_302600_NS5minusIlEEEE10hipError_tPvRmT2_T3_mT4_P12ihipStream_tbEUlmE_lEESB_NS0_8identityIvEEEESG_SJ_SK_mSL_SN_bEUlT_E_NS1_11comp_targetILNS1_3genE3ELNS1_11target_archE908ELNS1_3gpuE7ELNS1_3repE0EEENS1_30default_config_static_selectorELNS0_4arch9wavefront6targetE0EEEvT1_.kd
    .uniform_work_group_size: 1
    .uses_dynamic_stack: false
    .vgpr_count:     0
    .vgpr_spill_count: 0
    .wavefront_size: 32
    .workgroup_processor_mode: 1
  - .args:
      - .offset:         0
        .size:           56
        .value_kind:     by_value
    .group_segment_fixed_size: 0
    .kernarg_segment_align: 8
    .kernarg_segment_size: 56
    .language:       OpenCL C
    .language_version:
      - 2
      - 0
    .max_flat_workgroup_size: 512
    .name:           _ZN7rocprim17ROCPRIM_400000_NS6detail17trampoline_kernelINS0_14default_configENS1_25transform_config_selectorIlLb0EEEZNS1_14transform_implILb0ES3_S5_NS0_18transform_iteratorINS0_17counting_iteratorImlEEZNS1_24adjacent_difference_implIS3_Lb1ELb0EPlSB_N6thrust23THRUST_200600_302600_NS5minusIlEEEE10hipError_tPvRmT2_T3_mT4_P12ihipStream_tbEUlmE_lEESB_NS0_8identityIvEEEESG_SJ_SK_mSL_SN_bEUlT_E_NS1_11comp_targetILNS1_3genE2ELNS1_11target_archE906ELNS1_3gpuE6ELNS1_3repE0EEENS1_30default_config_static_selectorELNS0_4arch9wavefront6targetE0EEEvT1_
    .private_segment_fixed_size: 0
    .sgpr_count:     0
    .sgpr_spill_count: 0
    .symbol:         _ZN7rocprim17ROCPRIM_400000_NS6detail17trampoline_kernelINS0_14default_configENS1_25transform_config_selectorIlLb0EEEZNS1_14transform_implILb0ES3_S5_NS0_18transform_iteratorINS0_17counting_iteratorImlEEZNS1_24adjacent_difference_implIS3_Lb1ELb0EPlSB_N6thrust23THRUST_200600_302600_NS5minusIlEEEE10hipError_tPvRmT2_T3_mT4_P12ihipStream_tbEUlmE_lEESB_NS0_8identityIvEEEESG_SJ_SK_mSL_SN_bEUlT_E_NS1_11comp_targetILNS1_3genE2ELNS1_11target_archE906ELNS1_3gpuE6ELNS1_3repE0EEENS1_30default_config_static_selectorELNS0_4arch9wavefront6targetE0EEEvT1_.kd
    .uniform_work_group_size: 1
    .uses_dynamic_stack: false
    .vgpr_count:     0
    .vgpr_spill_count: 0
    .wavefront_size: 32
    .workgroup_processor_mode: 1
  - .args:
      - .offset:         0
        .size:           56
        .value_kind:     by_value
    .group_segment_fixed_size: 0
    .kernarg_segment_align: 8
    .kernarg_segment_size: 56
    .language:       OpenCL C
    .language_version:
      - 2
      - 0
    .max_flat_workgroup_size: 1024
    .name:           _ZN7rocprim17ROCPRIM_400000_NS6detail17trampoline_kernelINS0_14default_configENS1_25transform_config_selectorIlLb0EEEZNS1_14transform_implILb0ES3_S5_NS0_18transform_iteratorINS0_17counting_iteratorImlEEZNS1_24adjacent_difference_implIS3_Lb1ELb0EPlSB_N6thrust23THRUST_200600_302600_NS5minusIlEEEE10hipError_tPvRmT2_T3_mT4_P12ihipStream_tbEUlmE_lEESB_NS0_8identityIvEEEESG_SJ_SK_mSL_SN_bEUlT_E_NS1_11comp_targetILNS1_3genE10ELNS1_11target_archE1201ELNS1_3gpuE5ELNS1_3repE0EEENS1_30default_config_static_selectorELNS0_4arch9wavefront6targetE0EEEvT1_
    .private_segment_fixed_size: 0
    .sgpr_count:     0
    .sgpr_spill_count: 0
    .symbol:         _ZN7rocprim17ROCPRIM_400000_NS6detail17trampoline_kernelINS0_14default_configENS1_25transform_config_selectorIlLb0EEEZNS1_14transform_implILb0ES3_S5_NS0_18transform_iteratorINS0_17counting_iteratorImlEEZNS1_24adjacent_difference_implIS3_Lb1ELb0EPlSB_N6thrust23THRUST_200600_302600_NS5minusIlEEEE10hipError_tPvRmT2_T3_mT4_P12ihipStream_tbEUlmE_lEESB_NS0_8identityIvEEEESG_SJ_SK_mSL_SN_bEUlT_E_NS1_11comp_targetILNS1_3genE10ELNS1_11target_archE1201ELNS1_3gpuE5ELNS1_3repE0EEENS1_30default_config_static_selectorELNS0_4arch9wavefront6targetE0EEEvT1_.kd
    .uniform_work_group_size: 1
    .uses_dynamic_stack: false
    .vgpr_count:     0
    .vgpr_spill_count: 0
    .wavefront_size: 32
    .workgroup_processor_mode: 1
  - .args:
      - .offset:         0
        .size:           56
        .value_kind:     by_value
    .group_segment_fixed_size: 0
    .kernarg_segment_align: 8
    .kernarg_segment_size: 56
    .language:       OpenCL C
    .language_version:
      - 2
      - 0
    .max_flat_workgroup_size: 512
    .name:           _ZN7rocprim17ROCPRIM_400000_NS6detail17trampoline_kernelINS0_14default_configENS1_25transform_config_selectorIlLb0EEEZNS1_14transform_implILb0ES3_S5_NS0_18transform_iteratorINS0_17counting_iteratorImlEEZNS1_24adjacent_difference_implIS3_Lb1ELb0EPlSB_N6thrust23THRUST_200600_302600_NS5minusIlEEEE10hipError_tPvRmT2_T3_mT4_P12ihipStream_tbEUlmE_lEESB_NS0_8identityIvEEEESG_SJ_SK_mSL_SN_bEUlT_E_NS1_11comp_targetILNS1_3genE10ELNS1_11target_archE1200ELNS1_3gpuE4ELNS1_3repE0EEENS1_30default_config_static_selectorELNS0_4arch9wavefront6targetE0EEEvT1_
    .private_segment_fixed_size: 0
    .sgpr_count:     0
    .sgpr_spill_count: 0
    .symbol:         _ZN7rocprim17ROCPRIM_400000_NS6detail17trampoline_kernelINS0_14default_configENS1_25transform_config_selectorIlLb0EEEZNS1_14transform_implILb0ES3_S5_NS0_18transform_iteratorINS0_17counting_iteratorImlEEZNS1_24adjacent_difference_implIS3_Lb1ELb0EPlSB_N6thrust23THRUST_200600_302600_NS5minusIlEEEE10hipError_tPvRmT2_T3_mT4_P12ihipStream_tbEUlmE_lEESB_NS0_8identityIvEEEESG_SJ_SK_mSL_SN_bEUlT_E_NS1_11comp_targetILNS1_3genE10ELNS1_11target_archE1200ELNS1_3gpuE4ELNS1_3repE0EEENS1_30default_config_static_selectorELNS0_4arch9wavefront6targetE0EEEvT1_.kd
    .uniform_work_group_size: 1
    .uses_dynamic_stack: false
    .vgpr_count:     0
    .vgpr_spill_count: 0
    .wavefront_size: 32
    .workgroup_processor_mode: 1
  - .args:
      - .offset:         0
        .size:           56
        .value_kind:     by_value
      - .offset:         56
        .size:           4
        .value_kind:     hidden_block_count_x
      - .offset:         60
        .size:           4
        .value_kind:     hidden_block_count_y
      - .offset:         64
        .size:           4
        .value_kind:     hidden_block_count_z
      - .offset:         68
        .size:           2
        .value_kind:     hidden_group_size_x
      - .offset:         70
        .size:           2
        .value_kind:     hidden_group_size_y
      - .offset:         72
        .size:           2
        .value_kind:     hidden_group_size_z
      - .offset:         74
        .size:           2
        .value_kind:     hidden_remainder_x
      - .offset:         76
        .size:           2
        .value_kind:     hidden_remainder_y
      - .offset:         78
        .size:           2
        .value_kind:     hidden_remainder_z
      - .offset:         96
        .size:           8
        .value_kind:     hidden_global_offset_x
      - .offset:         104
        .size:           8
        .value_kind:     hidden_global_offset_y
      - .offset:         112
        .size:           8
        .value_kind:     hidden_global_offset_z
      - .offset:         120
        .size:           2
        .value_kind:     hidden_grid_dims
    .group_segment_fixed_size: 0
    .kernarg_segment_align: 8
    .kernarg_segment_size: 312
    .language:       OpenCL C
    .language_version:
      - 2
      - 0
    .max_flat_workgroup_size: 512
    .name:           _ZN7rocprim17ROCPRIM_400000_NS6detail17trampoline_kernelINS0_14default_configENS1_25transform_config_selectorIlLb0EEEZNS1_14transform_implILb0ES3_S5_NS0_18transform_iteratorINS0_17counting_iteratorImlEEZNS1_24adjacent_difference_implIS3_Lb1ELb0EPlSB_N6thrust23THRUST_200600_302600_NS5minusIlEEEE10hipError_tPvRmT2_T3_mT4_P12ihipStream_tbEUlmE_lEESB_NS0_8identityIvEEEESG_SJ_SK_mSL_SN_bEUlT_E_NS1_11comp_targetILNS1_3genE9ELNS1_11target_archE1100ELNS1_3gpuE3ELNS1_3repE0EEENS1_30default_config_static_selectorELNS0_4arch9wavefront6targetE0EEEvT1_
    .private_segment_fixed_size: 0
    .sgpr_count:     18
    .sgpr_spill_count: 0
    .symbol:         _ZN7rocprim17ROCPRIM_400000_NS6detail17trampoline_kernelINS0_14default_configENS1_25transform_config_selectorIlLb0EEEZNS1_14transform_implILb0ES3_S5_NS0_18transform_iteratorINS0_17counting_iteratorImlEEZNS1_24adjacent_difference_implIS3_Lb1ELb0EPlSB_N6thrust23THRUST_200600_302600_NS5minusIlEEEE10hipError_tPvRmT2_T3_mT4_P12ihipStream_tbEUlmE_lEESB_NS0_8identityIvEEEESG_SJ_SK_mSL_SN_bEUlT_E_NS1_11comp_targetILNS1_3genE9ELNS1_11target_archE1100ELNS1_3gpuE3ELNS1_3repE0EEENS1_30default_config_static_selectorELNS0_4arch9wavefront6targetE0EEEvT1_.kd
    .uniform_work_group_size: 1
    .uses_dynamic_stack: false
    .vgpr_count:     6
    .vgpr_spill_count: 0
    .wavefront_size: 32
    .workgroup_processor_mode: 1
  - .args:
      - .offset:         0
        .size:           56
        .value_kind:     by_value
    .group_segment_fixed_size: 0
    .kernarg_segment_align: 8
    .kernarg_segment_size: 56
    .language:       OpenCL C
    .language_version:
      - 2
      - 0
    .max_flat_workgroup_size: 512
    .name:           _ZN7rocprim17ROCPRIM_400000_NS6detail17trampoline_kernelINS0_14default_configENS1_25transform_config_selectorIlLb0EEEZNS1_14transform_implILb0ES3_S5_NS0_18transform_iteratorINS0_17counting_iteratorImlEEZNS1_24adjacent_difference_implIS3_Lb1ELb0EPlSB_N6thrust23THRUST_200600_302600_NS5minusIlEEEE10hipError_tPvRmT2_T3_mT4_P12ihipStream_tbEUlmE_lEESB_NS0_8identityIvEEEESG_SJ_SK_mSL_SN_bEUlT_E_NS1_11comp_targetILNS1_3genE8ELNS1_11target_archE1030ELNS1_3gpuE2ELNS1_3repE0EEENS1_30default_config_static_selectorELNS0_4arch9wavefront6targetE0EEEvT1_
    .private_segment_fixed_size: 0
    .sgpr_count:     0
    .sgpr_spill_count: 0
    .symbol:         _ZN7rocprim17ROCPRIM_400000_NS6detail17trampoline_kernelINS0_14default_configENS1_25transform_config_selectorIlLb0EEEZNS1_14transform_implILb0ES3_S5_NS0_18transform_iteratorINS0_17counting_iteratorImlEEZNS1_24adjacent_difference_implIS3_Lb1ELb0EPlSB_N6thrust23THRUST_200600_302600_NS5minusIlEEEE10hipError_tPvRmT2_T3_mT4_P12ihipStream_tbEUlmE_lEESB_NS0_8identityIvEEEESG_SJ_SK_mSL_SN_bEUlT_E_NS1_11comp_targetILNS1_3genE8ELNS1_11target_archE1030ELNS1_3gpuE2ELNS1_3repE0EEENS1_30default_config_static_selectorELNS0_4arch9wavefront6targetE0EEEvT1_.kd
    .uniform_work_group_size: 1
    .uses_dynamic_stack: false
    .vgpr_count:     0
    .vgpr_spill_count: 0
    .wavefront_size: 32
    .workgroup_processor_mode: 1
  - .args:
      - .offset:         0
        .size:           56
        .value_kind:     by_value
    .group_segment_fixed_size: 0
    .kernarg_segment_align: 8
    .kernarg_segment_size: 56
    .language:       OpenCL C
    .language_version:
      - 2
      - 0
    .max_flat_workgroup_size: 512
    .name:           _ZN7rocprim17ROCPRIM_400000_NS6detail17trampoline_kernelINS0_14default_configENS1_35adjacent_difference_config_selectorILb1ElEEZNS1_24adjacent_difference_implIS3_Lb1ELb0EPlS7_N6thrust23THRUST_200600_302600_NS5minusIlEEEE10hipError_tPvRmT2_T3_mT4_P12ihipStream_tbEUlT_E_NS1_11comp_targetILNS1_3genE0ELNS1_11target_archE4294967295ELNS1_3gpuE0ELNS1_3repE0EEENS1_30default_config_static_selectorELNS0_4arch9wavefront6targetE0EEEvT1_
    .private_segment_fixed_size: 0
    .sgpr_count:     0
    .sgpr_spill_count: 0
    .symbol:         _ZN7rocprim17ROCPRIM_400000_NS6detail17trampoline_kernelINS0_14default_configENS1_35adjacent_difference_config_selectorILb1ElEEZNS1_24adjacent_difference_implIS3_Lb1ELb0EPlS7_N6thrust23THRUST_200600_302600_NS5minusIlEEEE10hipError_tPvRmT2_T3_mT4_P12ihipStream_tbEUlT_E_NS1_11comp_targetILNS1_3genE0ELNS1_11target_archE4294967295ELNS1_3gpuE0ELNS1_3repE0EEENS1_30default_config_static_selectorELNS0_4arch9wavefront6targetE0EEEvT1_.kd
    .uniform_work_group_size: 1
    .uses_dynamic_stack: false
    .vgpr_count:     0
    .vgpr_spill_count: 0
    .wavefront_size: 32
    .workgroup_processor_mode: 1
  - .args:
      - .offset:         0
        .size:           56
        .value_kind:     by_value
    .group_segment_fixed_size: 0
    .kernarg_segment_align: 8
    .kernarg_segment_size: 56
    .language:       OpenCL C
    .language_version:
      - 2
      - 0
    .max_flat_workgroup_size: 32
    .name:           _ZN7rocprim17ROCPRIM_400000_NS6detail17trampoline_kernelINS0_14default_configENS1_35adjacent_difference_config_selectorILb1ElEEZNS1_24adjacent_difference_implIS3_Lb1ELb0EPlS7_N6thrust23THRUST_200600_302600_NS5minusIlEEEE10hipError_tPvRmT2_T3_mT4_P12ihipStream_tbEUlT_E_NS1_11comp_targetILNS1_3genE10ELNS1_11target_archE1201ELNS1_3gpuE5ELNS1_3repE0EEENS1_30default_config_static_selectorELNS0_4arch9wavefront6targetE0EEEvT1_
    .private_segment_fixed_size: 0
    .sgpr_count:     0
    .sgpr_spill_count: 0
    .symbol:         _ZN7rocprim17ROCPRIM_400000_NS6detail17trampoline_kernelINS0_14default_configENS1_35adjacent_difference_config_selectorILb1ElEEZNS1_24adjacent_difference_implIS3_Lb1ELb0EPlS7_N6thrust23THRUST_200600_302600_NS5minusIlEEEE10hipError_tPvRmT2_T3_mT4_P12ihipStream_tbEUlT_E_NS1_11comp_targetILNS1_3genE10ELNS1_11target_archE1201ELNS1_3gpuE5ELNS1_3repE0EEENS1_30default_config_static_selectorELNS0_4arch9wavefront6targetE0EEEvT1_.kd
    .uniform_work_group_size: 1
    .uses_dynamic_stack: false
    .vgpr_count:     0
    .vgpr_spill_count: 0
    .wavefront_size: 32
    .workgroup_processor_mode: 1
  - .args:
      - .offset:         0
        .size:           56
        .value_kind:     by_value
    .group_segment_fixed_size: 0
    .kernarg_segment_align: 8
    .kernarg_segment_size: 56
    .language:       OpenCL C
    .language_version:
      - 2
      - 0
    .max_flat_workgroup_size: 256
    .name:           _ZN7rocprim17ROCPRIM_400000_NS6detail17trampoline_kernelINS0_14default_configENS1_35adjacent_difference_config_selectorILb1ElEEZNS1_24adjacent_difference_implIS3_Lb1ELb0EPlS7_N6thrust23THRUST_200600_302600_NS5minusIlEEEE10hipError_tPvRmT2_T3_mT4_P12ihipStream_tbEUlT_E_NS1_11comp_targetILNS1_3genE5ELNS1_11target_archE942ELNS1_3gpuE9ELNS1_3repE0EEENS1_30default_config_static_selectorELNS0_4arch9wavefront6targetE0EEEvT1_
    .private_segment_fixed_size: 0
    .sgpr_count:     0
    .sgpr_spill_count: 0
    .symbol:         _ZN7rocprim17ROCPRIM_400000_NS6detail17trampoline_kernelINS0_14default_configENS1_35adjacent_difference_config_selectorILb1ElEEZNS1_24adjacent_difference_implIS3_Lb1ELb0EPlS7_N6thrust23THRUST_200600_302600_NS5minusIlEEEE10hipError_tPvRmT2_T3_mT4_P12ihipStream_tbEUlT_E_NS1_11comp_targetILNS1_3genE5ELNS1_11target_archE942ELNS1_3gpuE9ELNS1_3repE0EEENS1_30default_config_static_selectorELNS0_4arch9wavefront6targetE0EEEvT1_.kd
    .uniform_work_group_size: 1
    .uses_dynamic_stack: false
    .vgpr_count:     0
    .vgpr_spill_count: 0
    .wavefront_size: 32
    .workgroup_processor_mode: 1
  - .args:
      - .offset:         0
        .size:           56
        .value_kind:     by_value
    .group_segment_fixed_size: 0
    .kernarg_segment_align: 8
    .kernarg_segment_size: 56
    .language:       OpenCL C
    .language_version:
      - 2
      - 0
    .max_flat_workgroup_size: 512
    .name:           _ZN7rocprim17ROCPRIM_400000_NS6detail17trampoline_kernelINS0_14default_configENS1_35adjacent_difference_config_selectorILb1ElEEZNS1_24adjacent_difference_implIS3_Lb1ELb0EPlS7_N6thrust23THRUST_200600_302600_NS5minusIlEEEE10hipError_tPvRmT2_T3_mT4_P12ihipStream_tbEUlT_E_NS1_11comp_targetILNS1_3genE4ELNS1_11target_archE910ELNS1_3gpuE8ELNS1_3repE0EEENS1_30default_config_static_selectorELNS0_4arch9wavefront6targetE0EEEvT1_
    .private_segment_fixed_size: 0
    .sgpr_count:     0
    .sgpr_spill_count: 0
    .symbol:         _ZN7rocprim17ROCPRIM_400000_NS6detail17trampoline_kernelINS0_14default_configENS1_35adjacent_difference_config_selectorILb1ElEEZNS1_24adjacent_difference_implIS3_Lb1ELb0EPlS7_N6thrust23THRUST_200600_302600_NS5minusIlEEEE10hipError_tPvRmT2_T3_mT4_P12ihipStream_tbEUlT_E_NS1_11comp_targetILNS1_3genE4ELNS1_11target_archE910ELNS1_3gpuE8ELNS1_3repE0EEENS1_30default_config_static_selectorELNS0_4arch9wavefront6targetE0EEEvT1_.kd
    .uniform_work_group_size: 1
    .uses_dynamic_stack: false
    .vgpr_count:     0
    .vgpr_spill_count: 0
    .wavefront_size: 32
    .workgroup_processor_mode: 1
  - .args:
      - .offset:         0
        .size:           56
        .value_kind:     by_value
    .group_segment_fixed_size: 0
    .kernarg_segment_align: 8
    .kernarg_segment_size: 56
    .language:       OpenCL C
    .language_version:
      - 2
      - 0
    .max_flat_workgroup_size: 512
    .name:           _ZN7rocprim17ROCPRIM_400000_NS6detail17trampoline_kernelINS0_14default_configENS1_35adjacent_difference_config_selectorILb1ElEEZNS1_24adjacent_difference_implIS3_Lb1ELb0EPlS7_N6thrust23THRUST_200600_302600_NS5minusIlEEEE10hipError_tPvRmT2_T3_mT4_P12ihipStream_tbEUlT_E_NS1_11comp_targetILNS1_3genE3ELNS1_11target_archE908ELNS1_3gpuE7ELNS1_3repE0EEENS1_30default_config_static_selectorELNS0_4arch9wavefront6targetE0EEEvT1_
    .private_segment_fixed_size: 0
    .sgpr_count:     0
    .sgpr_spill_count: 0
    .symbol:         _ZN7rocprim17ROCPRIM_400000_NS6detail17trampoline_kernelINS0_14default_configENS1_35adjacent_difference_config_selectorILb1ElEEZNS1_24adjacent_difference_implIS3_Lb1ELb0EPlS7_N6thrust23THRUST_200600_302600_NS5minusIlEEEE10hipError_tPvRmT2_T3_mT4_P12ihipStream_tbEUlT_E_NS1_11comp_targetILNS1_3genE3ELNS1_11target_archE908ELNS1_3gpuE7ELNS1_3repE0EEENS1_30default_config_static_selectorELNS0_4arch9wavefront6targetE0EEEvT1_.kd
    .uniform_work_group_size: 1
    .uses_dynamic_stack: false
    .vgpr_count:     0
    .vgpr_spill_count: 0
    .wavefront_size: 32
    .workgroup_processor_mode: 1
  - .args:
      - .offset:         0
        .size:           56
        .value_kind:     by_value
    .group_segment_fixed_size: 0
    .kernarg_segment_align: 8
    .kernarg_segment_size: 56
    .language:       OpenCL C
    .language_version:
      - 2
      - 0
    .max_flat_workgroup_size: 128
    .name:           _ZN7rocprim17ROCPRIM_400000_NS6detail17trampoline_kernelINS0_14default_configENS1_35adjacent_difference_config_selectorILb1ElEEZNS1_24adjacent_difference_implIS3_Lb1ELb0EPlS7_N6thrust23THRUST_200600_302600_NS5minusIlEEEE10hipError_tPvRmT2_T3_mT4_P12ihipStream_tbEUlT_E_NS1_11comp_targetILNS1_3genE2ELNS1_11target_archE906ELNS1_3gpuE6ELNS1_3repE0EEENS1_30default_config_static_selectorELNS0_4arch9wavefront6targetE0EEEvT1_
    .private_segment_fixed_size: 0
    .sgpr_count:     0
    .sgpr_spill_count: 0
    .symbol:         _ZN7rocprim17ROCPRIM_400000_NS6detail17trampoline_kernelINS0_14default_configENS1_35adjacent_difference_config_selectorILb1ElEEZNS1_24adjacent_difference_implIS3_Lb1ELb0EPlS7_N6thrust23THRUST_200600_302600_NS5minusIlEEEE10hipError_tPvRmT2_T3_mT4_P12ihipStream_tbEUlT_E_NS1_11comp_targetILNS1_3genE2ELNS1_11target_archE906ELNS1_3gpuE6ELNS1_3repE0EEENS1_30default_config_static_selectorELNS0_4arch9wavefront6targetE0EEEvT1_.kd
    .uniform_work_group_size: 1
    .uses_dynamic_stack: false
    .vgpr_count:     0
    .vgpr_spill_count: 0
    .wavefront_size: 32
    .workgroup_processor_mode: 1
  - .args:
      - .offset:         0
        .size:           56
        .value_kind:     by_value
    .group_segment_fixed_size: 29696
    .kernarg_segment_align: 8
    .kernarg_segment_size: 56
    .language:       OpenCL C
    .language_version:
      - 2
      - 0
    .max_flat_workgroup_size: 128
    .name:           _ZN7rocprim17ROCPRIM_400000_NS6detail17trampoline_kernelINS0_14default_configENS1_35adjacent_difference_config_selectorILb1ElEEZNS1_24adjacent_difference_implIS3_Lb1ELb0EPlS7_N6thrust23THRUST_200600_302600_NS5minusIlEEEE10hipError_tPvRmT2_T3_mT4_P12ihipStream_tbEUlT_E_NS1_11comp_targetILNS1_3genE9ELNS1_11target_archE1100ELNS1_3gpuE3ELNS1_3repE0EEENS1_30default_config_static_selectorELNS0_4arch9wavefront6targetE0EEEvT1_
    .private_segment_fixed_size: 0
    .sgpr_count:     28
    .sgpr_spill_count: 0
    .symbol:         _ZN7rocprim17ROCPRIM_400000_NS6detail17trampoline_kernelINS0_14default_configENS1_35adjacent_difference_config_selectorILb1ElEEZNS1_24adjacent_difference_implIS3_Lb1ELb0EPlS7_N6thrust23THRUST_200600_302600_NS5minusIlEEEE10hipError_tPvRmT2_T3_mT4_P12ihipStream_tbEUlT_E_NS1_11comp_targetILNS1_3genE9ELNS1_11target_archE1100ELNS1_3gpuE3ELNS1_3repE0EEENS1_30default_config_static_selectorELNS0_4arch9wavefront6targetE0EEEvT1_.kd
    .uniform_work_group_size: 1
    .uses_dynamic_stack: false
    .vgpr_count:     122
    .vgpr_spill_count: 0
    .wavefront_size: 32
    .workgroup_processor_mode: 1
  - .args:
      - .offset:         0
        .size:           56
        .value_kind:     by_value
    .group_segment_fixed_size: 0
    .kernarg_segment_align: 8
    .kernarg_segment_size: 56
    .language:       OpenCL C
    .language_version:
      - 2
      - 0
    .max_flat_workgroup_size: 32
    .name:           _ZN7rocprim17ROCPRIM_400000_NS6detail17trampoline_kernelINS0_14default_configENS1_35adjacent_difference_config_selectorILb1ElEEZNS1_24adjacent_difference_implIS3_Lb1ELb0EPlS7_N6thrust23THRUST_200600_302600_NS5minusIlEEEE10hipError_tPvRmT2_T3_mT4_P12ihipStream_tbEUlT_E_NS1_11comp_targetILNS1_3genE8ELNS1_11target_archE1030ELNS1_3gpuE2ELNS1_3repE0EEENS1_30default_config_static_selectorELNS0_4arch9wavefront6targetE0EEEvT1_
    .private_segment_fixed_size: 0
    .sgpr_count:     0
    .sgpr_spill_count: 0
    .symbol:         _ZN7rocprim17ROCPRIM_400000_NS6detail17trampoline_kernelINS0_14default_configENS1_35adjacent_difference_config_selectorILb1ElEEZNS1_24adjacent_difference_implIS3_Lb1ELb0EPlS7_N6thrust23THRUST_200600_302600_NS5minusIlEEEE10hipError_tPvRmT2_T3_mT4_P12ihipStream_tbEUlT_E_NS1_11comp_targetILNS1_3genE8ELNS1_11target_archE1030ELNS1_3gpuE2ELNS1_3repE0EEENS1_30default_config_static_selectorELNS0_4arch9wavefront6targetE0EEEvT1_.kd
    .uniform_work_group_size: 1
    .uses_dynamic_stack: false
    .vgpr_count:     0
    .vgpr_spill_count: 0
    .wavefront_size: 32
    .workgroup_processor_mode: 1
  - .args:
      - .offset:         0
        .size:           72
        .value_kind:     by_value
    .group_segment_fixed_size: 0
    .kernarg_segment_align: 8
    .kernarg_segment_size: 72
    .language:       OpenCL C
    .language_version:
      - 2
      - 0
    .max_flat_workgroup_size: 256
    .name:           _ZN7rocprim17ROCPRIM_400000_NS6detail17trampoline_kernelINS0_14default_configENS1_37merge_sort_block_sort_config_selectorIlNS0_10empty_typeEEEZNS1_21merge_sort_block_sortIS3_PlS8_PS5_S9_ZN2at6native12_GLOBAL__N_124unique_dim_cuda_templateIaEESt5tupleIJNSA_6TensorESF_SF_EERKSF_lbbbEUlllE_EE10hipError_tT0_T1_T2_T3_mRjT4_P12ihipStream_tbNS1_7vsmem_tEEUlT_E_NS1_11comp_targetILNS1_3genE0ELNS1_11target_archE4294967295ELNS1_3gpuE0ELNS1_3repE0EEENS1_30default_config_static_selectorELNS0_4arch9wavefront6targetE0EEEvSM_
    .private_segment_fixed_size: 0
    .sgpr_count:     0
    .sgpr_spill_count: 0
    .symbol:         _ZN7rocprim17ROCPRIM_400000_NS6detail17trampoline_kernelINS0_14default_configENS1_37merge_sort_block_sort_config_selectorIlNS0_10empty_typeEEEZNS1_21merge_sort_block_sortIS3_PlS8_PS5_S9_ZN2at6native12_GLOBAL__N_124unique_dim_cuda_templateIaEESt5tupleIJNSA_6TensorESF_SF_EERKSF_lbbbEUlllE_EE10hipError_tT0_T1_T2_T3_mRjT4_P12ihipStream_tbNS1_7vsmem_tEEUlT_E_NS1_11comp_targetILNS1_3genE0ELNS1_11target_archE4294967295ELNS1_3gpuE0ELNS1_3repE0EEENS1_30default_config_static_selectorELNS0_4arch9wavefront6targetE0EEEvSM_.kd
    .uniform_work_group_size: 1
    .uses_dynamic_stack: false
    .vgpr_count:     0
    .vgpr_spill_count: 0
    .wavefront_size: 32
    .workgroup_processor_mode: 1
  - .args:
      - .offset:         0
        .size:           72
        .value_kind:     by_value
    .group_segment_fixed_size: 0
    .kernarg_segment_align: 8
    .kernarg_segment_size: 72
    .language:       OpenCL C
    .language_version:
      - 2
      - 0
    .max_flat_workgroup_size: 256
    .name:           _ZN7rocprim17ROCPRIM_400000_NS6detail17trampoline_kernelINS0_14default_configENS1_37merge_sort_block_sort_config_selectorIlNS0_10empty_typeEEEZNS1_21merge_sort_block_sortIS3_PlS8_PS5_S9_ZN2at6native12_GLOBAL__N_124unique_dim_cuda_templateIaEESt5tupleIJNSA_6TensorESF_SF_EERKSF_lbbbEUlllE_EE10hipError_tT0_T1_T2_T3_mRjT4_P12ihipStream_tbNS1_7vsmem_tEEUlT_E_NS1_11comp_targetILNS1_3genE5ELNS1_11target_archE942ELNS1_3gpuE9ELNS1_3repE0EEENS1_30default_config_static_selectorELNS0_4arch9wavefront6targetE0EEEvSM_
    .private_segment_fixed_size: 0
    .sgpr_count:     0
    .sgpr_spill_count: 0
    .symbol:         _ZN7rocprim17ROCPRIM_400000_NS6detail17trampoline_kernelINS0_14default_configENS1_37merge_sort_block_sort_config_selectorIlNS0_10empty_typeEEEZNS1_21merge_sort_block_sortIS3_PlS8_PS5_S9_ZN2at6native12_GLOBAL__N_124unique_dim_cuda_templateIaEESt5tupleIJNSA_6TensorESF_SF_EERKSF_lbbbEUlllE_EE10hipError_tT0_T1_T2_T3_mRjT4_P12ihipStream_tbNS1_7vsmem_tEEUlT_E_NS1_11comp_targetILNS1_3genE5ELNS1_11target_archE942ELNS1_3gpuE9ELNS1_3repE0EEENS1_30default_config_static_selectorELNS0_4arch9wavefront6targetE0EEEvSM_.kd
    .uniform_work_group_size: 1
    .uses_dynamic_stack: false
    .vgpr_count:     0
    .vgpr_spill_count: 0
    .wavefront_size: 32
    .workgroup_processor_mode: 1
  - .args:
      - .offset:         0
        .size:           72
        .value_kind:     by_value
    .group_segment_fixed_size: 0
    .kernarg_segment_align: 8
    .kernarg_segment_size: 72
    .language:       OpenCL C
    .language_version:
      - 2
      - 0
    .max_flat_workgroup_size: 256
    .name:           _ZN7rocprim17ROCPRIM_400000_NS6detail17trampoline_kernelINS0_14default_configENS1_37merge_sort_block_sort_config_selectorIlNS0_10empty_typeEEEZNS1_21merge_sort_block_sortIS3_PlS8_PS5_S9_ZN2at6native12_GLOBAL__N_124unique_dim_cuda_templateIaEESt5tupleIJNSA_6TensorESF_SF_EERKSF_lbbbEUlllE_EE10hipError_tT0_T1_T2_T3_mRjT4_P12ihipStream_tbNS1_7vsmem_tEEUlT_E_NS1_11comp_targetILNS1_3genE4ELNS1_11target_archE910ELNS1_3gpuE8ELNS1_3repE0EEENS1_30default_config_static_selectorELNS0_4arch9wavefront6targetE0EEEvSM_
    .private_segment_fixed_size: 0
    .sgpr_count:     0
    .sgpr_spill_count: 0
    .symbol:         _ZN7rocprim17ROCPRIM_400000_NS6detail17trampoline_kernelINS0_14default_configENS1_37merge_sort_block_sort_config_selectorIlNS0_10empty_typeEEEZNS1_21merge_sort_block_sortIS3_PlS8_PS5_S9_ZN2at6native12_GLOBAL__N_124unique_dim_cuda_templateIaEESt5tupleIJNSA_6TensorESF_SF_EERKSF_lbbbEUlllE_EE10hipError_tT0_T1_T2_T3_mRjT4_P12ihipStream_tbNS1_7vsmem_tEEUlT_E_NS1_11comp_targetILNS1_3genE4ELNS1_11target_archE910ELNS1_3gpuE8ELNS1_3repE0EEENS1_30default_config_static_selectorELNS0_4arch9wavefront6targetE0EEEvSM_.kd
    .uniform_work_group_size: 1
    .uses_dynamic_stack: false
    .vgpr_count:     0
    .vgpr_spill_count: 0
    .wavefront_size: 32
    .workgroup_processor_mode: 1
  - .args:
      - .offset:         0
        .size:           72
        .value_kind:     by_value
    .group_segment_fixed_size: 0
    .kernarg_segment_align: 8
    .kernarg_segment_size: 72
    .language:       OpenCL C
    .language_version:
      - 2
      - 0
    .max_flat_workgroup_size: 256
    .name:           _ZN7rocprim17ROCPRIM_400000_NS6detail17trampoline_kernelINS0_14default_configENS1_37merge_sort_block_sort_config_selectorIlNS0_10empty_typeEEEZNS1_21merge_sort_block_sortIS3_PlS8_PS5_S9_ZN2at6native12_GLOBAL__N_124unique_dim_cuda_templateIaEESt5tupleIJNSA_6TensorESF_SF_EERKSF_lbbbEUlllE_EE10hipError_tT0_T1_T2_T3_mRjT4_P12ihipStream_tbNS1_7vsmem_tEEUlT_E_NS1_11comp_targetILNS1_3genE3ELNS1_11target_archE908ELNS1_3gpuE7ELNS1_3repE0EEENS1_30default_config_static_selectorELNS0_4arch9wavefront6targetE0EEEvSM_
    .private_segment_fixed_size: 0
    .sgpr_count:     0
    .sgpr_spill_count: 0
    .symbol:         _ZN7rocprim17ROCPRIM_400000_NS6detail17trampoline_kernelINS0_14default_configENS1_37merge_sort_block_sort_config_selectorIlNS0_10empty_typeEEEZNS1_21merge_sort_block_sortIS3_PlS8_PS5_S9_ZN2at6native12_GLOBAL__N_124unique_dim_cuda_templateIaEESt5tupleIJNSA_6TensorESF_SF_EERKSF_lbbbEUlllE_EE10hipError_tT0_T1_T2_T3_mRjT4_P12ihipStream_tbNS1_7vsmem_tEEUlT_E_NS1_11comp_targetILNS1_3genE3ELNS1_11target_archE908ELNS1_3gpuE7ELNS1_3repE0EEENS1_30default_config_static_selectorELNS0_4arch9wavefront6targetE0EEEvSM_.kd
    .uniform_work_group_size: 1
    .uses_dynamic_stack: false
    .vgpr_count:     0
    .vgpr_spill_count: 0
    .wavefront_size: 32
    .workgroup_processor_mode: 1
  - .args:
      - .offset:         0
        .size:           72
        .value_kind:     by_value
    .group_segment_fixed_size: 0
    .kernarg_segment_align: 8
    .kernarg_segment_size: 72
    .language:       OpenCL C
    .language_version:
      - 2
      - 0
    .max_flat_workgroup_size: 256
    .name:           _ZN7rocprim17ROCPRIM_400000_NS6detail17trampoline_kernelINS0_14default_configENS1_37merge_sort_block_sort_config_selectorIlNS0_10empty_typeEEEZNS1_21merge_sort_block_sortIS3_PlS8_PS5_S9_ZN2at6native12_GLOBAL__N_124unique_dim_cuda_templateIaEESt5tupleIJNSA_6TensorESF_SF_EERKSF_lbbbEUlllE_EE10hipError_tT0_T1_T2_T3_mRjT4_P12ihipStream_tbNS1_7vsmem_tEEUlT_E_NS1_11comp_targetILNS1_3genE2ELNS1_11target_archE906ELNS1_3gpuE6ELNS1_3repE0EEENS1_30default_config_static_selectorELNS0_4arch9wavefront6targetE0EEEvSM_
    .private_segment_fixed_size: 0
    .sgpr_count:     0
    .sgpr_spill_count: 0
    .symbol:         _ZN7rocprim17ROCPRIM_400000_NS6detail17trampoline_kernelINS0_14default_configENS1_37merge_sort_block_sort_config_selectorIlNS0_10empty_typeEEEZNS1_21merge_sort_block_sortIS3_PlS8_PS5_S9_ZN2at6native12_GLOBAL__N_124unique_dim_cuda_templateIaEESt5tupleIJNSA_6TensorESF_SF_EERKSF_lbbbEUlllE_EE10hipError_tT0_T1_T2_T3_mRjT4_P12ihipStream_tbNS1_7vsmem_tEEUlT_E_NS1_11comp_targetILNS1_3genE2ELNS1_11target_archE906ELNS1_3gpuE6ELNS1_3repE0EEENS1_30default_config_static_selectorELNS0_4arch9wavefront6targetE0EEEvSM_.kd
    .uniform_work_group_size: 1
    .uses_dynamic_stack: false
    .vgpr_count:     0
    .vgpr_spill_count: 0
    .wavefront_size: 32
    .workgroup_processor_mode: 1
  - .args:
      - .offset:         0
        .size:           72
        .value_kind:     by_value
    .group_segment_fixed_size: 0
    .kernarg_segment_align: 8
    .kernarg_segment_size: 72
    .language:       OpenCL C
    .language_version:
      - 2
      - 0
    .max_flat_workgroup_size: 256
    .name:           _ZN7rocprim17ROCPRIM_400000_NS6detail17trampoline_kernelINS0_14default_configENS1_37merge_sort_block_sort_config_selectorIlNS0_10empty_typeEEEZNS1_21merge_sort_block_sortIS3_PlS8_PS5_S9_ZN2at6native12_GLOBAL__N_124unique_dim_cuda_templateIaEESt5tupleIJNSA_6TensorESF_SF_EERKSF_lbbbEUlllE_EE10hipError_tT0_T1_T2_T3_mRjT4_P12ihipStream_tbNS1_7vsmem_tEEUlT_E_NS1_11comp_targetILNS1_3genE10ELNS1_11target_archE1201ELNS1_3gpuE5ELNS1_3repE0EEENS1_30default_config_static_selectorELNS0_4arch9wavefront6targetE0EEEvSM_
    .private_segment_fixed_size: 0
    .sgpr_count:     0
    .sgpr_spill_count: 0
    .symbol:         _ZN7rocprim17ROCPRIM_400000_NS6detail17trampoline_kernelINS0_14default_configENS1_37merge_sort_block_sort_config_selectorIlNS0_10empty_typeEEEZNS1_21merge_sort_block_sortIS3_PlS8_PS5_S9_ZN2at6native12_GLOBAL__N_124unique_dim_cuda_templateIaEESt5tupleIJNSA_6TensorESF_SF_EERKSF_lbbbEUlllE_EE10hipError_tT0_T1_T2_T3_mRjT4_P12ihipStream_tbNS1_7vsmem_tEEUlT_E_NS1_11comp_targetILNS1_3genE10ELNS1_11target_archE1201ELNS1_3gpuE5ELNS1_3repE0EEENS1_30default_config_static_selectorELNS0_4arch9wavefront6targetE0EEEvSM_.kd
    .uniform_work_group_size: 1
    .uses_dynamic_stack: false
    .vgpr_count:     0
    .vgpr_spill_count: 0
    .wavefront_size: 32
    .workgroup_processor_mode: 1
  - .args:
      - .offset:         0
        .size:           72
        .value_kind:     by_value
    .group_segment_fixed_size: 0
    .kernarg_segment_align: 8
    .kernarg_segment_size: 72
    .language:       OpenCL C
    .language_version:
      - 2
      - 0
    .max_flat_workgroup_size: 512
    .name:           _ZN7rocprim17ROCPRIM_400000_NS6detail17trampoline_kernelINS0_14default_configENS1_37merge_sort_block_sort_config_selectorIlNS0_10empty_typeEEEZNS1_21merge_sort_block_sortIS3_PlS8_PS5_S9_ZN2at6native12_GLOBAL__N_124unique_dim_cuda_templateIaEESt5tupleIJNSA_6TensorESF_SF_EERKSF_lbbbEUlllE_EE10hipError_tT0_T1_T2_T3_mRjT4_P12ihipStream_tbNS1_7vsmem_tEEUlT_E_NS1_11comp_targetILNS1_3genE10ELNS1_11target_archE1200ELNS1_3gpuE4ELNS1_3repE0EEENS1_30default_config_static_selectorELNS0_4arch9wavefront6targetE0EEEvSM_
    .private_segment_fixed_size: 0
    .sgpr_count:     0
    .sgpr_spill_count: 0
    .symbol:         _ZN7rocprim17ROCPRIM_400000_NS6detail17trampoline_kernelINS0_14default_configENS1_37merge_sort_block_sort_config_selectorIlNS0_10empty_typeEEEZNS1_21merge_sort_block_sortIS3_PlS8_PS5_S9_ZN2at6native12_GLOBAL__N_124unique_dim_cuda_templateIaEESt5tupleIJNSA_6TensorESF_SF_EERKSF_lbbbEUlllE_EE10hipError_tT0_T1_T2_T3_mRjT4_P12ihipStream_tbNS1_7vsmem_tEEUlT_E_NS1_11comp_targetILNS1_3genE10ELNS1_11target_archE1200ELNS1_3gpuE4ELNS1_3repE0EEENS1_30default_config_static_selectorELNS0_4arch9wavefront6targetE0EEEvSM_.kd
    .uniform_work_group_size: 1
    .uses_dynamic_stack: false
    .vgpr_count:     0
    .vgpr_spill_count: 0
    .wavefront_size: 32
    .workgroup_processor_mode: 1
  - .args:
      - .offset:         0
        .size:           72
        .value_kind:     by_value
      - .offset:         72
        .size:           4
        .value_kind:     hidden_block_count_x
      - .offset:         76
        .size:           4
        .value_kind:     hidden_block_count_y
      - .offset:         80
        .size:           4
        .value_kind:     hidden_block_count_z
      - .offset:         84
        .size:           2
        .value_kind:     hidden_group_size_x
      - .offset:         86
        .size:           2
        .value_kind:     hidden_group_size_y
      - .offset:         88
        .size:           2
        .value_kind:     hidden_group_size_z
      - .offset:         90
        .size:           2
        .value_kind:     hidden_remainder_x
      - .offset:         92
        .size:           2
        .value_kind:     hidden_remainder_y
      - .offset:         94
        .size:           2
        .value_kind:     hidden_remainder_z
      - .offset:         112
        .size:           8
        .value_kind:     hidden_global_offset_x
      - .offset:         120
        .size:           8
        .value_kind:     hidden_global_offset_y
      - .offset:         128
        .size:           8
        .value_kind:     hidden_global_offset_z
      - .offset:         136
        .size:           2
        .value_kind:     hidden_grid_dims
    .group_segment_fixed_size: 8448
    .kernarg_segment_align: 8
    .kernarg_segment_size: 328
    .language:       OpenCL C
    .language_version:
      - 2
      - 0
    .max_flat_workgroup_size: 256
    .name:           _ZN7rocprim17ROCPRIM_400000_NS6detail17trampoline_kernelINS0_14default_configENS1_37merge_sort_block_sort_config_selectorIlNS0_10empty_typeEEEZNS1_21merge_sort_block_sortIS3_PlS8_PS5_S9_ZN2at6native12_GLOBAL__N_124unique_dim_cuda_templateIaEESt5tupleIJNSA_6TensorESF_SF_EERKSF_lbbbEUlllE_EE10hipError_tT0_T1_T2_T3_mRjT4_P12ihipStream_tbNS1_7vsmem_tEEUlT_E_NS1_11comp_targetILNS1_3genE9ELNS1_11target_archE1100ELNS1_3gpuE3ELNS1_3repE0EEENS1_30default_config_static_selectorELNS0_4arch9wavefront6targetE0EEEvSM_
    .private_segment_fixed_size: 0
    .sgpr_count:     34
    .sgpr_spill_count: 0
    .symbol:         _ZN7rocprim17ROCPRIM_400000_NS6detail17trampoline_kernelINS0_14default_configENS1_37merge_sort_block_sort_config_selectorIlNS0_10empty_typeEEEZNS1_21merge_sort_block_sortIS3_PlS8_PS5_S9_ZN2at6native12_GLOBAL__N_124unique_dim_cuda_templateIaEESt5tupleIJNSA_6TensorESF_SF_EERKSF_lbbbEUlllE_EE10hipError_tT0_T1_T2_T3_mRjT4_P12ihipStream_tbNS1_7vsmem_tEEUlT_E_NS1_11comp_targetILNS1_3genE9ELNS1_11target_archE1100ELNS1_3gpuE3ELNS1_3repE0EEENS1_30default_config_static_selectorELNS0_4arch9wavefront6targetE0EEEvSM_.kd
    .uniform_work_group_size: 1
    .uses_dynamic_stack: false
    .vgpr_count:     49
    .vgpr_spill_count: 0
    .wavefront_size: 32
    .workgroup_processor_mode: 1
  - .args:
      - .offset:         0
        .size:           72
        .value_kind:     by_value
    .group_segment_fixed_size: 0
    .kernarg_segment_align: 8
    .kernarg_segment_size: 72
    .language:       OpenCL C
    .language_version:
      - 2
      - 0
    .max_flat_workgroup_size: 256
    .name:           _ZN7rocprim17ROCPRIM_400000_NS6detail17trampoline_kernelINS0_14default_configENS1_37merge_sort_block_sort_config_selectorIlNS0_10empty_typeEEEZNS1_21merge_sort_block_sortIS3_PlS8_PS5_S9_ZN2at6native12_GLOBAL__N_124unique_dim_cuda_templateIaEESt5tupleIJNSA_6TensorESF_SF_EERKSF_lbbbEUlllE_EE10hipError_tT0_T1_T2_T3_mRjT4_P12ihipStream_tbNS1_7vsmem_tEEUlT_E_NS1_11comp_targetILNS1_3genE8ELNS1_11target_archE1030ELNS1_3gpuE2ELNS1_3repE0EEENS1_30default_config_static_selectorELNS0_4arch9wavefront6targetE0EEEvSM_
    .private_segment_fixed_size: 0
    .sgpr_count:     0
    .sgpr_spill_count: 0
    .symbol:         _ZN7rocprim17ROCPRIM_400000_NS6detail17trampoline_kernelINS0_14default_configENS1_37merge_sort_block_sort_config_selectorIlNS0_10empty_typeEEEZNS1_21merge_sort_block_sortIS3_PlS8_PS5_S9_ZN2at6native12_GLOBAL__N_124unique_dim_cuda_templateIaEESt5tupleIJNSA_6TensorESF_SF_EERKSF_lbbbEUlllE_EE10hipError_tT0_T1_T2_T3_mRjT4_P12ihipStream_tbNS1_7vsmem_tEEUlT_E_NS1_11comp_targetILNS1_3genE8ELNS1_11target_archE1030ELNS1_3gpuE2ELNS1_3repE0EEENS1_30default_config_static_selectorELNS0_4arch9wavefront6targetE0EEEvSM_.kd
    .uniform_work_group_size: 1
    .uses_dynamic_stack: false
    .vgpr_count:     0
    .vgpr_spill_count: 0
    .wavefront_size: 32
    .workgroup_processor_mode: 1
  - .args:
      - .offset:         0
        .size:           56
        .value_kind:     by_value
    .group_segment_fixed_size: 0
    .kernarg_segment_align: 8
    .kernarg_segment_size: 56
    .language:       OpenCL C
    .language_version:
      - 2
      - 0
    .max_flat_workgroup_size: 128
    .name:           _ZN7rocprim17ROCPRIM_400000_NS6detail17trampoline_kernelINS0_14default_configENS1_38merge_sort_block_merge_config_selectorIlNS0_10empty_typeEEEZZNS1_27merge_sort_block_merge_implIS3_PlPS5_mZN2at6native12_GLOBAL__N_124unique_dim_cuda_templateIaEESt5tupleIJNSA_6TensorESF_SF_EERKSF_lbbbEUlllE_EE10hipError_tT0_T1_T2_jT3_P12ihipStream_tbPNSt15iterator_traitsISL_E10value_typeEPNSR_ISM_E10value_typeEPSN_NS1_7vsmem_tEENKUlT_SL_SM_SN_E_clIS8_S8_S9_S9_EESK_S10_SL_SM_SN_EUlS10_E_NS1_11comp_targetILNS1_3genE0ELNS1_11target_archE4294967295ELNS1_3gpuE0ELNS1_3repE0EEENS1_48merge_mergepath_partition_config_static_selectorELNS0_4arch9wavefront6targetE0EEEvSM_
    .private_segment_fixed_size: 0
    .sgpr_count:     0
    .sgpr_spill_count: 0
    .symbol:         _ZN7rocprim17ROCPRIM_400000_NS6detail17trampoline_kernelINS0_14default_configENS1_38merge_sort_block_merge_config_selectorIlNS0_10empty_typeEEEZZNS1_27merge_sort_block_merge_implIS3_PlPS5_mZN2at6native12_GLOBAL__N_124unique_dim_cuda_templateIaEESt5tupleIJNSA_6TensorESF_SF_EERKSF_lbbbEUlllE_EE10hipError_tT0_T1_T2_jT3_P12ihipStream_tbPNSt15iterator_traitsISL_E10value_typeEPNSR_ISM_E10value_typeEPSN_NS1_7vsmem_tEENKUlT_SL_SM_SN_E_clIS8_S8_S9_S9_EESK_S10_SL_SM_SN_EUlS10_E_NS1_11comp_targetILNS1_3genE0ELNS1_11target_archE4294967295ELNS1_3gpuE0ELNS1_3repE0EEENS1_48merge_mergepath_partition_config_static_selectorELNS0_4arch9wavefront6targetE0EEEvSM_.kd
    .uniform_work_group_size: 1
    .uses_dynamic_stack: false
    .vgpr_count:     0
    .vgpr_spill_count: 0
    .wavefront_size: 32
    .workgroup_processor_mode: 1
  - .args:
      - .offset:         0
        .size:           56
        .value_kind:     by_value
    .group_segment_fixed_size: 0
    .kernarg_segment_align: 8
    .kernarg_segment_size: 56
    .language:       OpenCL C
    .language_version:
      - 2
      - 0
    .max_flat_workgroup_size: 128
    .name:           _ZN7rocprim17ROCPRIM_400000_NS6detail17trampoline_kernelINS0_14default_configENS1_38merge_sort_block_merge_config_selectorIlNS0_10empty_typeEEEZZNS1_27merge_sort_block_merge_implIS3_PlPS5_mZN2at6native12_GLOBAL__N_124unique_dim_cuda_templateIaEESt5tupleIJNSA_6TensorESF_SF_EERKSF_lbbbEUlllE_EE10hipError_tT0_T1_T2_jT3_P12ihipStream_tbPNSt15iterator_traitsISL_E10value_typeEPNSR_ISM_E10value_typeEPSN_NS1_7vsmem_tEENKUlT_SL_SM_SN_E_clIS8_S8_S9_S9_EESK_S10_SL_SM_SN_EUlS10_E_NS1_11comp_targetILNS1_3genE10ELNS1_11target_archE1201ELNS1_3gpuE5ELNS1_3repE0EEENS1_48merge_mergepath_partition_config_static_selectorELNS0_4arch9wavefront6targetE0EEEvSM_
    .private_segment_fixed_size: 0
    .sgpr_count:     0
    .sgpr_spill_count: 0
    .symbol:         _ZN7rocprim17ROCPRIM_400000_NS6detail17trampoline_kernelINS0_14default_configENS1_38merge_sort_block_merge_config_selectorIlNS0_10empty_typeEEEZZNS1_27merge_sort_block_merge_implIS3_PlPS5_mZN2at6native12_GLOBAL__N_124unique_dim_cuda_templateIaEESt5tupleIJNSA_6TensorESF_SF_EERKSF_lbbbEUlllE_EE10hipError_tT0_T1_T2_jT3_P12ihipStream_tbPNSt15iterator_traitsISL_E10value_typeEPNSR_ISM_E10value_typeEPSN_NS1_7vsmem_tEENKUlT_SL_SM_SN_E_clIS8_S8_S9_S9_EESK_S10_SL_SM_SN_EUlS10_E_NS1_11comp_targetILNS1_3genE10ELNS1_11target_archE1201ELNS1_3gpuE5ELNS1_3repE0EEENS1_48merge_mergepath_partition_config_static_selectorELNS0_4arch9wavefront6targetE0EEEvSM_.kd
    .uniform_work_group_size: 1
    .uses_dynamic_stack: false
    .vgpr_count:     0
    .vgpr_spill_count: 0
    .wavefront_size: 32
    .workgroup_processor_mode: 1
  - .args:
      - .offset:         0
        .size:           56
        .value_kind:     by_value
    .group_segment_fixed_size: 0
    .kernarg_segment_align: 8
    .kernarg_segment_size: 56
    .language:       OpenCL C
    .language_version:
      - 2
      - 0
    .max_flat_workgroup_size: 128
    .name:           _ZN7rocprim17ROCPRIM_400000_NS6detail17trampoline_kernelINS0_14default_configENS1_38merge_sort_block_merge_config_selectorIlNS0_10empty_typeEEEZZNS1_27merge_sort_block_merge_implIS3_PlPS5_mZN2at6native12_GLOBAL__N_124unique_dim_cuda_templateIaEESt5tupleIJNSA_6TensorESF_SF_EERKSF_lbbbEUlllE_EE10hipError_tT0_T1_T2_jT3_P12ihipStream_tbPNSt15iterator_traitsISL_E10value_typeEPNSR_ISM_E10value_typeEPSN_NS1_7vsmem_tEENKUlT_SL_SM_SN_E_clIS8_S8_S9_S9_EESK_S10_SL_SM_SN_EUlS10_E_NS1_11comp_targetILNS1_3genE5ELNS1_11target_archE942ELNS1_3gpuE9ELNS1_3repE0EEENS1_48merge_mergepath_partition_config_static_selectorELNS0_4arch9wavefront6targetE0EEEvSM_
    .private_segment_fixed_size: 0
    .sgpr_count:     0
    .sgpr_spill_count: 0
    .symbol:         _ZN7rocprim17ROCPRIM_400000_NS6detail17trampoline_kernelINS0_14default_configENS1_38merge_sort_block_merge_config_selectorIlNS0_10empty_typeEEEZZNS1_27merge_sort_block_merge_implIS3_PlPS5_mZN2at6native12_GLOBAL__N_124unique_dim_cuda_templateIaEESt5tupleIJNSA_6TensorESF_SF_EERKSF_lbbbEUlllE_EE10hipError_tT0_T1_T2_jT3_P12ihipStream_tbPNSt15iterator_traitsISL_E10value_typeEPNSR_ISM_E10value_typeEPSN_NS1_7vsmem_tEENKUlT_SL_SM_SN_E_clIS8_S8_S9_S9_EESK_S10_SL_SM_SN_EUlS10_E_NS1_11comp_targetILNS1_3genE5ELNS1_11target_archE942ELNS1_3gpuE9ELNS1_3repE0EEENS1_48merge_mergepath_partition_config_static_selectorELNS0_4arch9wavefront6targetE0EEEvSM_.kd
    .uniform_work_group_size: 1
    .uses_dynamic_stack: false
    .vgpr_count:     0
    .vgpr_spill_count: 0
    .wavefront_size: 32
    .workgroup_processor_mode: 1
  - .args:
      - .offset:         0
        .size:           56
        .value_kind:     by_value
    .group_segment_fixed_size: 0
    .kernarg_segment_align: 8
    .kernarg_segment_size: 56
    .language:       OpenCL C
    .language_version:
      - 2
      - 0
    .max_flat_workgroup_size: 128
    .name:           _ZN7rocprim17ROCPRIM_400000_NS6detail17trampoline_kernelINS0_14default_configENS1_38merge_sort_block_merge_config_selectorIlNS0_10empty_typeEEEZZNS1_27merge_sort_block_merge_implIS3_PlPS5_mZN2at6native12_GLOBAL__N_124unique_dim_cuda_templateIaEESt5tupleIJNSA_6TensorESF_SF_EERKSF_lbbbEUlllE_EE10hipError_tT0_T1_T2_jT3_P12ihipStream_tbPNSt15iterator_traitsISL_E10value_typeEPNSR_ISM_E10value_typeEPSN_NS1_7vsmem_tEENKUlT_SL_SM_SN_E_clIS8_S8_S9_S9_EESK_S10_SL_SM_SN_EUlS10_E_NS1_11comp_targetILNS1_3genE4ELNS1_11target_archE910ELNS1_3gpuE8ELNS1_3repE0EEENS1_48merge_mergepath_partition_config_static_selectorELNS0_4arch9wavefront6targetE0EEEvSM_
    .private_segment_fixed_size: 0
    .sgpr_count:     0
    .sgpr_spill_count: 0
    .symbol:         _ZN7rocprim17ROCPRIM_400000_NS6detail17trampoline_kernelINS0_14default_configENS1_38merge_sort_block_merge_config_selectorIlNS0_10empty_typeEEEZZNS1_27merge_sort_block_merge_implIS3_PlPS5_mZN2at6native12_GLOBAL__N_124unique_dim_cuda_templateIaEESt5tupleIJNSA_6TensorESF_SF_EERKSF_lbbbEUlllE_EE10hipError_tT0_T1_T2_jT3_P12ihipStream_tbPNSt15iterator_traitsISL_E10value_typeEPNSR_ISM_E10value_typeEPSN_NS1_7vsmem_tEENKUlT_SL_SM_SN_E_clIS8_S8_S9_S9_EESK_S10_SL_SM_SN_EUlS10_E_NS1_11comp_targetILNS1_3genE4ELNS1_11target_archE910ELNS1_3gpuE8ELNS1_3repE0EEENS1_48merge_mergepath_partition_config_static_selectorELNS0_4arch9wavefront6targetE0EEEvSM_.kd
    .uniform_work_group_size: 1
    .uses_dynamic_stack: false
    .vgpr_count:     0
    .vgpr_spill_count: 0
    .wavefront_size: 32
    .workgroup_processor_mode: 1
  - .args:
      - .offset:         0
        .size:           56
        .value_kind:     by_value
    .group_segment_fixed_size: 0
    .kernarg_segment_align: 8
    .kernarg_segment_size: 56
    .language:       OpenCL C
    .language_version:
      - 2
      - 0
    .max_flat_workgroup_size: 128
    .name:           _ZN7rocprim17ROCPRIM_400000_NS6detail17trampoline_kernelINS0_14default_configENS1_38merge_sort_block_merge_config_selectorIlNS0_10empty_typeEEEZZNS1_27merge_sort_block_merge_implIS3_PlPS5_mZN2at6native12_GLOBAL__N_124unique_dim_cuda_templateIaEESt5tupleIJNSA_6TensorESF_SF_EERKSF_lbbbEUlllE_EE10hipError_tT0_T1_T2_jT3_P12ihipStream_tbPNSt15iterator_traitsISL_E10value_typeEPNSR_ISM_E10value_typeEPSN_NS1_7vsmem_tEENKUlT_SL_SM_SN_E_clIS8_S8_S9_S9_EESK_S10_SL_SM_SN_EUlS10_E_NS1_11comp_targetILNS1_3genE3ELNS1_11target_archE908ELNS1_3gpuE7ELNS1_3repE0EEENS1_48merge_mergepath_partition_config_static_selectorELNS0_4arch9wavefront6targetE0EEEvSM_
    .private_segment_fixed_size: 0
    .sgpr_count:     0
    .sgpr_spill_count: 0
    .symbol:         _ZN7rocprim17ROCPRIM_400000_NS6detail17trampoline_kernelINS0_14default_configENS1_38merge_sort_block_merge_config_selectorIlNS0_10empty_typeEEEZZNS1_27merge_sort_block_merge_implIS3_PlPS5_mZN2at6native12_GLOBAL__N_124unique_dim_cuda_templateIaEESt5tupleIJNSA_6TensorESF_SF_EERKSF_lbbbEUlllE_EE10hipError_tT0_T1_T2_jT3_P12ihipStream_tbPNSt15iterator_traitsISL_E10value_typeEPNSR_ISM_E10value_typeEPSN_NS1_7vsmem_tEENKUlT_SL_SM_SN_E_clIS8_S8_S9_S9_EESK_S10_SL_SM_SN_EUlS10_E_NS1_11comp_targetILNS1_3genE3ELNS1_11target_archE908ELNS1_3gpuE7ELNS1_3repE0EEENS1_48merge_mergepath_partition_config_static_selectorELNS0_4arch9wavefront6targetE0EEEvSM_.kd
    .uniform_work_group_size: 1
    .uses_dynamic_stack: false
    .vgpr_count:     0
    .vgpr_spill_count: 0
    .wavefront_size: 32
    .workgroup_processor_mode: 1
  - .args:
      - .offset:         0
        .size:           56
        .value_kind:     by_value
    .group_segment_fixed_size: 0
    .kernarg_segment_align: 8
    .kernarg_segment_size: 56
    .language:       OpenCL C
    .language_version:
      - 2
      - 0
    .max_flat_workgroup_size: 128
    .name:           _ZN7rocprim17ROCPRIM_400000_NS6detail17trampoline_kernelINS0_14default_configENS1_38merge_sort_block_merge_config_selectorIlNS0_10empty_typeEEEZZNS1_27merge_sort_block_merge_implIS3_PlPS5_mZN2at6native12_GLOBAL__N_124unique_dim_cuda_templateIaEESt5tupleIJNSA_6TensorESF_SF_EERKSF_lbbbEUlllE_EE10hipError_tT0_T1_T2_jT3_P12ihipStream_tbPNSt15iterator_traitsISL_E10value_typeEPNSR_ISM_E10value_typeEPSN_NS1_7vsmem_tEENKUlT_SL_SM_SN_E_clIS8_S8_S9_S9_EESK_S10_SL_SM_SN_EUlS10_E_NS1_11comp_targetILNS1_3genE2ELNS1_11target_archE906ELNS1_3gpuE6ELNS1_3repE0EEENS1_48merge_mergepath_partition_config_static_selectorELNS0_4arch9wavefront6targetE0EEEvSM_
    .private_segment_fixed_size: 0
    .sgpr_count:     0
    .sgpr_spill_count: 0
    .symbol:         _ZN7rocprim17ROCPRIM_400000_NS6detail17trampoline_kernelINS0_14default_configENS1_38merge_sort_block_merge_config_selectorIlNS0_10empty_typeEEEZZNS1_27merge_sort_block_merge_implIS3_PlPS5_mZN2at6native12_GLOBAL__N_124unique_dim_cuda_templateIaEESt5tupleIJNSA_6TensorESF_SF_EERKSF_lbbbEUlllE_EE10hipError_tT0_T1_T2_jT3_P12ihipStream_tbPNSt15iterator_traitsISL_E10value_typeEPNSR_ISM_E10value_typeEPSN_NS1_7vsmem_tEENKUlT_SL_SM_SN_E_clIS8_S8_S9_S9_EESK_S10_SL_SM_SN_EUlS10_E_NS1_11comp_targetILNS1_3genE2ELNS1_11target_archE906ELNS1_3gpuE6ELNS1_3repE0EEENS1_48merge_mergepath_partition_config_static_selectorELNS0_4arch9wavefront6targetE0EEEvSM_.kd
    .uniform_work_group_size: 1
    .uses_dynamic_stack: false
    .vgpr_count:     0
    .vgpr_spill_count: 0
    .wavefront_size: 32
    .workgroup_processor_mode: 1
  - .args:
      - .offset:         0
        .size:           56
        .value_kind:     by_value
    .group_segment_fixed_size: 0
    .kernarg_segment_align: 8
    .kernarg_segment_size: 56
    .language:       OpenCL C
    .language_version:
      - 2
      - 0
    .max_flat_workgroup_size: 128
    .name:           _ZN7rocprim17ROCPRIM_400000_NS6detail17trampoline_kernelINS0_14default_configENS1_38merge_sort_block_merge_config_selectorIlNS0_10empty_typeEEEZZNS1_27merge_sort_block_merge_implIS3_PlPS5_mZN2at6native12_GLOBAL__N_124unique_dim_cuda_templateIaEESt5tupleIJNSA_6TensorESF_SF_EERKSF_lbbbEUlllE_EE10hipError_tT0_T1_T2_jT3_P12ihipStream_tbPNSt15iterator_traitsISL_E10value_typeEPNSR_ISM_E10value_typeEPSN_NS1_7vsmem_tEENKUlT_SL_SM_SN_E_clIS8_S8_S9_S9_EESK_S10_SL_SM_SN_EUlS10_E_NS1_11comp_targetILNS1_3genE9ELNS1_11target_archE1100ELNS1_3gpuE3ELNS1_3repE0EEENS1_48merge_mergepath_partition_config_static_selectorELNS0_4arch9wavefront6targetE0EEEvSM_
    .private_segment_fixed_size: 0
    .sgpr_count:     21
    .sgpr_spill_count: 0
    .symbol:         _ZN7rocprim17ROCPRIM_400000_NS6detail17trampoline_kernelINS0_14default_configENS1_38merge_sort_block_merge_config_selectorIlNS0_10empty_typeEEEZZNS1_27merge_sort_block_merge_implIS3_PlPS5_mZN2at6native12_GLOBAL__N_124unique_dim_cuda_templateIaEESt5tupleIJNSA_6TensorESF_SF_EERKSF_lbbbEUlllE_EE10hipError_tT0_T1_T2_jT3_P12ihipStream_tbPNSt15iterator_traitsISL_E10value_typeEPNSR_ISM_E10value_typeEPSN_NS1_7vsmem_tEENKUlT_SL_SM_SN_E_clIS8_S8_S9_S9_EESK_S10_SL_SM_SN_EUlS10_E_NS1_11comp_targetILNS1_3genE9ELNS1_11target_archE1100ELNS1_3gpuE3ELNS1_3repE0EEENS1_48merge_mergepath_partition_config_static_selectorELNS0_4arch9wavefront6targetE0EEEvSM_.kd
    .uniform_work_group_size: 1
    .uses_dynamic_stack: false
    .vgpr_count:     22
    .vgpr_spill_count: 0
    .wavefront_size: 32
    .workgroup_processor_mode: 1
  - .args:
      - .offset:         0
        .size:           56
        .value_kind:     by_value
    .group_segment_fixed_size: 0
    .kernarg_segment_align: 8
    .kernarg_segment_size: 56
    .language:       OpenCL C
    .language_version:
      - 2
      - 0
    .max_flat_workgroup_size: 128
    .name:           _ZN7rocprim17ROCPRIM_400000_NS6detail17trampoline_kernelINS0_14default_configENS1_38merge_sort_block_merge_config_selectorIlNS0_10empty_typeEEEZZNS1_27merge_sort_block_merge_implIS3_PlPS5_mZN2at6native12_GLOBAL__N_124unique_dim_cuda_templateIaEESt5tupleIJNSA_6TensorESF_SF_EERKSF_lbbbEUlllE_EE10hipError_tT0_T1_T2_jT3_P12ihipStream_tbPNSt15iterator_traitsISL_E10value_typeEPNSR_ISM_E10value_typeEPSN_NS1_7vsmem_tEENKUlT_SL_SM_SN_E_clIS8_S8_S9_S9_EESK_S10_SL_SM_SN_EUlS10_E_NS1_11comp_targetILNS1_3genE8ELNS1_11target_archE1030ELNS1_3gpuE2ELNS1_3repE0EEENS1_48merge_mergepath_partition_config_static_selectorELNS0_4arch9wavefront6targetE0EEEvSM_
    .private_segment_fixed_size: 0
    .sgpr_count:     0
    .sgpr_spill_count: 0
    .symbol:         _ZN7rocprim17ROCPRIM_400000_NS6detail17trampoline_kernelINS0_14default_configENS1_38merge_sort_block_merge_config_selectorIlNS0_10empty_typeEEEZZNS1_27merge_sort_block_merge_implIS3_PlPS5_mZN2at6native12_GLOBAL__N_124unique_dim_cuda_templateIaEESt5tupleIJNSA_6TensorESF_SF_EERKSF_lbbbEUlllE_EE10hipError_tT0_T1_T2_jT3_P12ihipStream_tbPNSt15iterator_traitsISL_E10value_typeEPNSR_ISM_E10value_typeEPSN_NS1_7vsmem_tEENKUlT_SL_SM_SN_E_clIS8_S8_S9_S9_EESK_S10_SL_SM_SN_EUlS10_E_NS1_11comp_targetILNS1_3genE8ELNS1_11target_archE1030ELNS1_3gpuE2ELNS1_3repE0EEENS1_48merge_mergepath_partition_config_static_selectorELNS0_4arch9wavefront6targetE0EEEvSM_.kd
    .uniform_work_group_size: 1
    .uses_dynamic_stack: false
    .vgpr_count:     0
    .vgpr_spill_count: 0
    .wavefront_size: 32
    .workgroup_processor_mode: 1
  - .args:
      - .offset:         0
        .size:           88
        .value_kind:     by_value
    .group_segment_fixed_size: 0
    .kernarg_segment_align: 8
    .kernarg_segment_size: 88
    .language:       OpenCL C
    .language_version:
      - 2
      - 0
    .max_flat_workgroup_size: 128
    .name:           _ZN7rocprim17ROCPRIM_400000_NS6detail17trampoline_kernelINS0_14default_configENS1_38merge_sort_block_merge_config_selectorIlNS0_10empty_typeEEEZZNS1_27merge_sort_block_merge_implIS3_PlPS5_mZN2at6native12_GLOBAL__N_124unique_dim_cuda_templateIaEESt5tupleIJNSA_6TensorESF_SF_EERKSF_lbbbEUlllE_EE10hipError_tT0_T1_T2_jT3_P12ihipStream_tbPNSt15iterator_traitsISL_E10value_typeEPNSR_ISM_E10value_typeEPSN_NS1_7vsmem_tEENKUlT_SL_SM_SN_E_clIS8_S8_S9_S9_EESK_S10_SL_SM_SN_EUlS10_E0_NS1_11comp_targetILNS1_3genE0ELNS1_11target_archE4294967295ELNS1_3gpuE0ELNS1_3repE0EEENS1_38merge_mergepath_config_static_selectorELNS0_4arch9wavefront6targetE0EEEvSM_
    .private_segment_fixed_size: 0
    .sgpr_count:     0
    .sgpr_spill_count: 0
    .symbol:         _ZN7rocprim17ROCPRIM_400000_NS6detail17trampoline_kernelINS0_14default_configENS1_38merge_sort_block_merge_config_selectorIlNS0_10empty_typeEEEZZNS1_27merge_sort_block_merge_implIS3_PlPS5_mZN2at6native12_GLOBAL__N_124unique_dim_cuda_templateIaEESt5tupleIJNSA_6TensorESF_SF_EERKSF_lbbbEUlllE_EE10hipError_tT0_T1_T2_jT3_P12ihipStream_tbPNSt15iterator_traitsISL_E10value_typeEPNSR_ISM_E10value_typeEPSN_NS1_7vsmem_tEENKUlT_SL_SM_SN_E_clIS8_S8_S9_S9_EESK_S10_SL_SM_SN_EUlS10_E0_NS1_11comp_targetILNS1_3genE0ELNS1_11target_archE4294967295ELNS1_3gpuE0ELNS1_3repE0EEENS1_38merge_mergepath_config_static_selectorELNS0_4arch9wavefront6targetE0EEEvSM_.kd
    .uniform_work_group_size: 1
    .uses_dynamic_stack: false
    .vgpr_count:     0
    .vgpr_spill_count: 0
    .wavefront_size: 32
    .workgroup_processor_mode: 1
  - .args:
      - .offset:         0
        .size:           88
        .value_kind:     by_value
    .group_segment_fixed_size: 0
    .kernarg_segment_align: 8
    .kernarg_segment_size: 88
    .language:       OpenCL C
    .language_version:
      - 2
      - 0
    .max_flat_workgroup_size: 512
    .name:           _ZN7rocprim17ROCPRIM_400000_NS6detail17trampoline_kernelINS0_14default_configENS1_38merge_sort_block_merge_config_selectorIlNS0_10empty_typeEEEZZNS1_27merge_sort_block_merge_implIS3_PlPS5_mZN2at6native12_GLOBAL__N_124unique_dim_cuda_templateIaEESt5tupleIJNSA_6TensorESF_SF_EERKSF_lbbbEUlllE_EE10hipError_tT0_T1_T2_jT3_P12ihipStream_tbPNSt15iterator_traitsISL_E10value_typeEPNSR_ISM_E10value_typeEPSN_NS1_7vsmem_tEENKUlT_SL_SM_SN_E_clIS8_S8_S9_S9_EESK_S10_SL_SM_SN_EUlS10_E0_NS1_11comp_targetILNS1_3genE10ELNS1_11target_archE1201ELNS1_3gpuE5ELNS1_3repE0EEENS1_38merge_mergepath_config_static_selectorELNS0_4arch9wavefront6targetE0EEEvSM_
    .private_segment_fixed_size: 0
    .sgpr_count:     0
    .sgpr_spill_count: 0
    .symbol:         _ZN7rocprim17ROCPRIM_400000_NS6detail17trampoline_kernelINS0_14default_configENS1_38merge_sort_block_merge_config_selectorIlNS0_10empty_typeEEEZZNS1_27merge_sort_block_merge_implIS3_PlPS5_mZN2at6native12_GLOBAL__N_124unique_dim_cuda_templateIaEESt5tupleIJNSA_6TensorESF_SF_EERKSF_lbbbEUlllE_EE10hipError_tT0_T1_T2_jT3_P12ihipStream_tbPNSt15iterator_traitsISL_E10value_typeEPNSR_ISM_E10value_typeEPSN_NS1_7vsmem_tEENKUlT_SL_SM_SN_E_clIS8_S8_S9_S9_EESK_S10_SL_SM_SN_EUlS10_E0_NS1_11comp_targetILNS1_3genE10ELNS1_11target_archE1201ELNS1_3gpuE5ELNS1_3repE0EEENS1_38merge_mergepath_config_static_selectorELNS0_4arch9wavefront6targetE0EEEvSM_.kd
    .uniform_work_group_size: 1
    .uses_dynamic_stack: false
    .vgpr_count:     0
    .vgpr_spill_count: 0
    .wavefront_size: 32
    .workgroup_processor_mode: 1
  - .args:
      - .offset:         0
        .size:           88
        .value_kind:     by_value
    .group_segment_fixed_size: 0
    .kernarg_segment_align: 8
    .kernarg_segment_size: 88
    .language:       OpenCL C
    .language_version:
      - 2
      - 0
    .max_flat_workgroup_size: 128
    .name:           _ZN7rocprim17ROCPRIM_400000_NS6detail17trampoline_kernelINS0_14default_configENS1_38merge_sort_block_merge_config_selectorIlNS0_10empty_typeEEEZZNS1_27merge_sort_block_merge_implIS3_PlPS5_mZN2at6native12_GLOBAL__N_124unique_dim_cuda_templateIaEESt5tupleIJNSA_6TensorESF_SF_EERKSF_lbbbEUlllE_EE10hipError_tT0_T1_T2_jT3_P12ihipStream_tbPNSt15iterator_traitsISL_E10value_typeEPNSR_ISM_E10value_typeEPSN_NS1_7vsmem_tEENKUlT_SL_SM_SN_E_clIS8_S8_S9_S9_EESK_S10_SL_SM_SN_EUlS10_E0_NS1_11comp_targetILNS1_3genE5ELNS1_11target_archE942ELNS1_3gpuE9ELNS1_3repE0EEENS1_38merge_mergepath_config_static_selectorELNS0_4arch9wavefront6targetE0EEEvSM_
    .private_segment_fixed_size: 0
    .sgpr_count:     0
    .sgpr_spill_count: 0
    .symbol:         _ZN7rocprim17ROCPRIM_400000_NS6detail17trampoline_kernelINS0_14default_configENS1_38merge_sort_block_merge_config_selectorIlNS0_10empty_typeEEEZZNS1_27merge_sort_block_merge_implIS3_PlPS5_mZN2at6native12_GLOBAL__N_124unique_dim_cuda_templateIaEESt5tupleIJNSA_6TensorESF_SF_EERKSF_lbbbEUlllE_EE10hipError_tT0_T1_T2_jT3_P12ihipStream_tbPNSt15iterator_traitsISL_E10value_typeEPNSR_ISM_E10value_typeEPSN_NS1_7vsmem_tEENKUlT_SL_SM_SN_E_clIS8_S8_S9_S9_EESK_S10_SL_SM_SN_EUlS10_E0_NS1_11comp_targetILNS1_3genE5ELNS1_11target_archE942ELNS1_3gpuE9ELNS1_3repE0EEENS1_38merge_mergepath_config_static_selectorELNS0_4arch9wavefront6targetE0EEEvSM_.kd
    .uniform_work_group_size: 1
    .uses_dynamic_stack: false
    .vgpr_count:     0
    .vgpr_spill_count: 0
    .wavefront_size: 32
    .workgroup_processor_mode: 1
  - .args:
      - .offset:         0
        .size:           88
        .value_kind:     by_value
    .group_segment_fixed_size: 0
    .kernarg_segment_align: 8
    .kernarg_segment_size: 88
    .language:       OpenCL C
    .language_version:
      - 2
      - 0
    .max_flat_workgroup_size: 256
    .name:           _ZN7rocprim17ROCPRIM_400000_NS6detail17trampoline_kernelINS0_14default_configENS1_38merge_sort_block_merge_config_selectorIlNS0_10empty_typeEEEZZNS1_27merge_sort_block_merge_implIS3_PlPS5_mZN2at6native12_GLOBAL__N_124unique_dim_cuda_templateIaEESt5tupleIJNSA_6TensorESF_SF_EERKSF_lbbbEUlllE_EE10hipError_tT0_T1_T2_jT3_P12ihipStream_tbPNSt15iterator_traitsISL_E10value_typeEPNSR_ISM_E10value_typeEPSN_NS1_7vsmem_tEENKUlT_SL_SM_SN_E_clIS8_S8_S9_S9_EESK_S10_SL_SM_SN_EUlS10_E0_NS1_11comp_targetILNS1_3genE4ELNS1_11target_archE910ELNS1_3gpuE8ELNS1_3repE0EEENS1_38merge_mergepath_config_static_selectorELNS0_4arch9wavefront6targetE0EEEvSM_
    .private_segment_fixed_size: 0
    .sgpr_count:     0
    .sgpr_spill_count: 0
    .symbol:         _ZN7rocprim17ROCPRIM_400000_NS6detail17trampoline_kernelINS0_14default_configENS1_38merge_sort_block_merge_config_selectorIlNS0_10empty_typeEEEZZNS1_27merge_sort_block_merge_implIS3_PlPS5_mZN2at6native12_GLOBAL__N_124unique_dim_cuda_templateIaEESt5tupleIJNSA_6TensorESF_SF_EERKSF_lbbbEUlllE_EE10hipError_tT0_T1_T2_jT3_P12ihipStream_tbPNSt15iterator_traitsISL_E10value_typeEPNSR_ISM_E10value_typeEPSN_NS1_7vsmem_tEENKUlT_SL_SM_SN_E_clIS8_S8_S9_S9_EESK_S10_SL_SM_SN_EUlS10_E0_NS1_11comp_targetILNS1_3genE4ELNS1_11target_archE910ELNS1_3gpuE8ELNS1_3repE0EEENS1_38merge_mergepath_config_static_selectorELNS0_4arch9wavefront6targetE0EEEvSM_.kd
    .uniform_work_group_size: 1
    .uses_dynamic_stack: false
    .vgpr_count:     0
    .vgpr_spill_count: 0
    .wavefront_size: 32
    .workgroup_processor_mode: 1
  - .args:
      - .offset:         0
        .size:           88
        .value_kind:     by_value
    .group_segment_fixed_size: 0
    .kernarg_segment_align: 8
    .kernarg_segment_size: 88
    .language:       OpenCL C
    .language_version:
      - 2
      - 0
    .max_flat_workgroup_size: 128
    .name:           _ZN7rocprim17ROCPRIM_400000_NS6detail17trampoline_kernelINS0_14default_configENS1_38merge_sort_block_merge_config_selectorIlNS0_10empty_typeEEEZZNS1_27merge_sort_block_merge_implIS3_PlPS5_mZN2at6native12_GLOBAL__N_124unique_dim_cuda_templateIaEESt5tupleIJNSA_6TensorESF_SF_EERKSF_lbbbEUlllE_EE10hipError_tT0_T1_T2_jT3_P12ihipStream_tbPNSt15iterator_traitsISL_E10value_typeEPNSR_ISM_E10value_typeEPSN_NS1_7vsmem_tEENKUlT_SL_SM_SN_E_clIS8_S8_S9_S9_EESK_S10_SL_SM_SN_EUlS10_E0_NS1_11comp_targetILNS1_3genE3ELNS1_11target_archE908ELNS1_3gpuE7ELNS1_3repE0EEENS1_38merge_mergepath_config_static_selectorELNS0_4arch9wavefront6targetE0EEEvSM_
    .private_segment_fixed_size: 0
    .sgpr_count:     0
    .sgpr_spill_count: 0
    .symbol:         _ZN7rocprim17ROCPRIM_400000_NS6detail17trampoline_kernelINS0_14default_configENS1_38merge_sort_block_merge_config_selectorIlNS0_10empty_typeEEEZZNS1_27merge_sort_block_merge_implIS3_PlPS5_mZN2at6native12_GLOBAL__N_124unique_dim_cuda_templateIaEESt5tupleIJNSA_6TensorESF_SF_EERKSF_lbbbEUlllE_EE10hipError_tT0_T1_T2_jT3_P12ihipStream_tbPNSt15iterator_traitsISL_E10value_typeEPNSR_ISM_E10value_typeEPSN_NS1_7vsmem_tEENKUlT_SL_SM_SN_E_clIS8_S8_S9_S9_EESK_S10_SL_SM_SN_EUlS10_E0_NS1_11comp_targetILNS1_3genE3ELNS1_11target_archE908ELNS1_3gpuE7ELNS1_3repE0EEENS1_38merge_mergepath_config_static_selectorELNS0_4arch9wavefront6targetE0EEEvSM_.kd
    .uniform_work_group_size: 1
    .uses_dynamic_stack: false
    .vgpr_count:     0
    .vgpr_spill_count: 0
    .wavefront_size: 32
    .workgroup_processor_mode: 1
  - .args:
      - .offset:         0
        .size:           88
        .value_kind:     by_value
    .group_segment_fixed_size: 0
    .kernarg_segment_align: 8
    .kernarg_segment_size: 88
    .language:       OpenCL C
    .language_version:
      - 2
      - 0
    .max_flat_workgroup_size: 256
    .name:           _ZN7rocprim17ROCPRIM_400000_NS6detail17trampoline_kernelINS0_14default_configENS1_38merge_sort_block_merge_config_selectorIlNS0_10empty_typeEEEZZNS1_27merge_sort_block_merge_implIS3_PlPS5_mZN2at6native12_GLOBAL__N_124unique_dim_cuda_templateIaEESt5tupleIJNSA_6TensorESF_SF_EERKSF_lbbbEUlllE_EE10hipError_tT0_T1_T2_jT3_P12ihipStream_tbPNSt15iterator_traitsISL_E10value_typeEPNSR_ISM_E10value_typeEPSN_NS1_7vsmem_tEENKUlT_SL_SM_SN_E_clIS8_S8_S9_S9_EESK_S10_SL_SM_SN_EUlS10_E0_NS1_11comp_targetILNS1_3genE2ELNS1_11target_archE906ELNS1_3gpuE6ELNS1_3repE0EEENS1_38merge_mergepath_config_static_selectorELNS0_4arch9wavefront6targetE0EEEvSM_
    .private_segment_fixed_size: 0
    .sgpr_count:     0
    .sgpr_spill_count: 0
    .symbol:         _ZN7rocprim17ROCPRIM_400000_NS6detail17trampoline_kernelINS0_14default_configENS1_38merge_sort_block_merge_config_selectorIlNS0_10empty_typeEEEZZNS1_27merge_sort_block_merge_implIS3_PlPS5_mZN2at6native12_GLOBAL__N_124unique_dim_cuda_templateIaEESt5tupleIJNSA_6TensorESF_SF_EERKSF_lbbbEUlllE_EE10hipError_tT0_T1_T2_jT3_P12ihipStream_tbPNSt15iterator_traitsISL_E10value_typeEPNSR_ISM_E10value_typeEPSN_NS1_7vsmem_tEENKUlT_SL_SM_SN_E_clIS8_S8_S9_S9_EESK_S10_SL_SM_SN_EUlS10_E0_NS1_11comp_targetILNS1_3genE2ELNS1_11target_archE906ELNS1_3gpuE6ELNS1_3repE0EEENS1_38merge_mergepath_config_static_selectorELNS0_4arch9wavefront6targetE0EEEvSM_.kd
    .uniform_work_group_size: 1
    .uses_dynamic_stack: false
    .vgpr_count:     0
    .vgpr_spill_count: 0
    .wavefront_size: 32
    .workgroup_processor_mode: 1
  - .args:
      - .offset:         0
        .size:           88
        .value_kind:     by_value
      - .offset:         88
        .size:           4
        .value_kind:     hidden_block_count_x
      - .offset:         92
        .size:           4
        .value_kind:     hidden_block_count_y
      - .offset:         96
        .size:           4
        .value_kind:     hidden_block_count_z
      - .offset:         100
        .size:           2
        .value_kind:     hidden_group_size_x
      - .offset:         102
        .size:           2
        .value_kind:     hidden_group_size_y
      - .offset:         104
        .size:           2
        .value_kind:     hidden_group_size_z
      - .offset:         106
        .size:           2
        .value_kind:     hidden_remainder_x
      - .offset:         108
        .size:           2
        .value_kind:     hidden_remainder_y
      - .offset:         110
        .size:           2
        .value_kind:     hidden_remainder_z
      - .offset:         128
        .size:           8
        .value_kind:     hidden_global_offset_x
      - .offset:         136
        .size:           8
        .value_kind:     hidden_global_offset_y
      - .offset:         144
        .size:           8
        .value_kind:     hidden_global_offset_z
      - .offset:         152
        .size:           2
        .value_kind:     hidden_grid_dims
    .group_segment_fixed_size: 8448
    .kernarg_segment_align: 8
    .kernarg_segment_size: 344
    .language:       OpenCL C
    .language_version:
      - 2
      - 0
    .max_flat_workgroup_size: 512
    .name:           _ZN7rocprim17ROCPRIM_400000_NS6detail17trampoline_kernelINS0_14default_configENS1_38merge_sort_block_merge_config_selectorIlNS0_10empty_typeEEEZZNS1_27merge_sort_block_merge_implIS3_PlPS5_mZN2at6native12_GLOBAL__N_124unique_dim_cuda_templateIaEESt5tupleIJNSA_6TensorESF_SF_EERKSF_lbbbEUlllE_EE10hipError_tT0_T1_T2_jT3_P12ihipStream_tbPNSt15iterator_traitsISL_E10value_typeEPNSR_ISM_E10value_typeEPSN_NS1_7vsmem_tEENKUlT_SL_SM_SN_E_clIS8_S8_S9_S9_EESK_S10_SL_SM_SN_EUlS10_E0_NS1_11comp_targetILNS1_3genE9ELNS1_11target_archE1100ELNS1_3gpuE3ELNS1_3repE0EEENS1_38merge_mergepath_config_static_selectorELNS0_4arch9wavefront6targetE0EEEvSM_
    .private_segment_fixed_size: 0
    .sgpr_count:     36
    .sgpr_spill_count: 0
    .symbol:         _ZN7rocprim17ROCPRIM_400000_NS6detail17trampoline_kernelINS0_14default_configENS1_38merge_sort_block_merge_config_selectorIlNS0_10empty_typeEEEZZNS1_27merge_sort_block_merge_implIS3_PlPS5_mZN2at6native12_GLOBAL__N_124unique_dim_cuda_templateIaEESt5tupleIJNSA_6TensorESF_SF_EERKSF_lbbbEUlllE_EE10hipError_tT0_T1_T2_jT3_P12ihipStream_tbPNSt15iterator_traitsISL_E10value_typeEPNSR_ISM_E10value_typeEPSN_NS1_7vsmem_tEENKUlT_SL_SM_SN_E_clIS8_S8_S9_S9_EESK_S10_SL_SM_SN_EUlS10_E0_NS1_11comp_targetILNS1_3genE9ELNS1_11target_archE1100ELNS1_3gpuE3ELNS1_3repE0EEENS1_38merge_mergepath_config_static_selectorELNS0_4arch9wavefront6targetE0EEEvSM_.kd
    .uniform_work_group_size: 1
    .uses_dynamic_stack: false
    .vgpr_count:     21
    .vgpr_spill_count: 0
    .wavefront_size: 32
    .workgroup_processor_mode: 1
  - .args:
      - .offset:         0
        .size:           88
        .value_kind:     by_value
    .group_segment_fixed_size: 0
    .kernarg_segment_align: 8
    .kernarg_segment_size: 88
    .language:       OpenCL C
    .language_version:
      - 2
      - 0
    .max_flat_workgroup_size: 1024
    .name:           _ZN7rocprim17ROCPRIM_400000_NS6detail17trampoline_kernelINS0_14default_configENS1_38merge_sort_block_merge_config_selectorIlNS0_10empty_typeEEEZZNS1_27merge_sort_block_merge_implIS3_PlPS5_mZN2at6native12_GLOBAL__N_124unique_dim_cuda_templateIaEESt5tupleIJNSA_6TensorESF_SF_EERKSF_lbbbEUlllE_EE10hipError_tT0_T1_T2_jT3_P12ihipStream_tbPNSt15iterator_traitsISL_E10value_typeEPNSR_ISM_E10value_typeEPSN_NS1_7vsmem_tEENKUlT_SL_SM_SN_E_clIS8_S8_S9_S9_EESK_S10_SL_SM_SN_EUlS10_E0_NS1_11comp_targetILNS1_3genE8ELNS1_11target_archE1030ELNS1_3gpuE2ELNS1_3repE0EEENS1_38merge_mergepath_config_static_selectorELNS0_4arch9wavefront6targetE0EEEvSM_
    .private_segment_fixed_size: 0
    .sgpr_count:     0
    .sgpr_spill_count: 0
    .symbol:         _ZN7rocprim17ROCPRIM_400000_NS6detail17trampoline_kernelINS0_14default_configENS1_38merge_sort_block_merge_config_selectorIlNS0_10empty_typeEEEZZNS1_27merge_sort_block_merge_implIS3_PlPS5_mZN2at6native12_GLOBAL__N_124unique_dim_cuda_templateIaEESt5tupleIJNSA_6TensorESF_SF_EERKSF_lbbbEUlllE_EE10hipError_tT0_T1_T2_jT3_P12ihipStream_tbPNSt15iterator_traitsISL_E10value_typeEPNSR_ISM_E10value_typeEPSN_NS1_7vsmem_tEENKUlT_SL_SM_SN_E_clIS8_S8_S9_S9_EESK_S10_SL_SM_SN_EUlS10_E0_NS1_11comp_targetILNS1_3genE8ELNS1_11target_archE1030ELNS1_3gpuE2ELNS1_3repE0EEENS1_38merge_mergepath_config_static_selectorELNS0_4arch9wavefront6targetE0EEEvSM_.kd
    .uniform_work_group_size: 1
    .uses_dynamic_stack: false
    .vgpr_count:     0
    .vgpr_spill_count: 0
    .wavefront_size: 32
    .workgroup_processor_mode: 1
  - .args:
      - .offset:         0
        .size:           64
        .value_kind:     by_value
    .group_segment_fixed_size: 0
    .kernarg_segment_align: 8
    .kernarg_segment_size: 64
    .language:       OpenCL C
    .language_version:
      - 2
      - 0
    .max_flat_workgroup_size: 256
    .name:           _ZN7rocprim17ROCPRIM_400000_NS6detail17trampoline_kernelINS0_14default_configENS1_38merge_sort_block_merge_config_selectorIlNS0_10empty_typeEEEZZNS1_27merge_sort_block_merge_implIS3_PlPS5_mZN2at6native12_GLOBAL__N_124unique_dim_cuda_templateIaEESt5tupleIJNSA_6TensorESF_SF_EERKSF_lbbbEUlllE_EE10hipError_tT0_T1_T2_jT3_P12ihipStream_tbPNSt15iterator_traitsISL_E10value_typeEPNSR_ISM_E10value_typeEPSN_NS1_7vsmem_tEENKUlT_SL_SM_SN_E_clIS8_S8_S9_S9_EESK_S10_SL_SM_SN_EUlS10_E1_NS1_11comp_targetILNS1_3genE0ELNS1_11target_archE4294967295ELNS1_3gpuE0ELNS1_3repE0EEENS1_36merge_oddeven_config_static_selectorELNS0_4arch9wavefront6targetE0EEEvSM_
    .private_segment_fixed_size: 0
    .sgpr_count:     0
    .sgpr_spill_count: 0
    .symbol:         _ZN7rocprim17ROCPRIM_400000_NS6detail17trampoline_kernelINS0_14default_configENS1_38merge_sort_block_merge_config_selectorIlNS0_10empty_typeEEEZZNS1_27merge_sort_block_merge_implIS3_PlPS5_mZN2at6native12_GLOBAL__N_124unique_dim_cuda_templateIaEESt5tupleIJNSA_6TensorESF_SF_EERKSF_lbbbEUlllE_EE10hipError_tT0_T1_T2_jT3_P12ihipStream_tbPNSt15iterator_traitsISL_E10value_typeEPNSR_ISM_E10value_typeEPSN_NS1_7vsmem_tEENKUlT_SL_SM_SN_E_clIS8_S8_S9_S9_EESK_S10_SL_SM_SN_EUlS10_E1_NS1_11comp_targetILNS1_3genE0ELNS1_11target_archE4294967295ELNS1_3gpuE0ELNS1_3repE0EEENS1_36merge_oddeven_config_static_selectorELNS0_4arch9wavefront6targetE0EEEvSM_.kd
    .uniform_work_group_size: 1
    .uses_dynamic_stack: false
    .vgpr_count:     0
    .vgpr_spill_count: 0
    .wavefront_size: 32
    .workgroup_processor_mode: 1
  - .args:
      - .offset:         0
        .size:           64
        .value_kind:     by_value
    .group_segment_fixed_size: 0
    .kernarg_segment_align: 8
    .kernarg_segment_size: 64
    .language:       OpenCL C
    .language_version:
      - 2
      - 0
    .max_flat_workgroup_size: 256
    .name:           _ZN7rocprim17ROCPRIM_400000_NS6detail17trampoline_kernelINS0_14default_configENS1_38merge_sort_block_merge_config_selectorIlNS0_10empty_typeEEEZZNS1_27merge_sort_block_merge_implIS3_PlPS5_mZN2at6native12_GLOBAL__N_124unique_dim_cuda_templateIaEESt5tupleIJNSA_6TensorESF_SF_EERKSF_lbbbEUlllE_EE10hipError_tT0_T1_T2_jT3_P12ihipStream_tbPNSt15iterator_traitsISL_E10value_typeEPNSR_ISM_E10value_typeEPSN_NS1_7vsmem_tEENKUlT_SL_SM_SN_E_clIS8_S8_S9_S9_EESK_S10_SL_SM_SN_EUlS10_E1_NS1_11comp_targetILNS1_3genE10ELNS1_11target_archE1201ELNS1_3gpuE5ELNS1_3repE0EEENS1_36merge_oddeven_config_static_selectorELNS0_4arch9wavefront6targetE0EEEvSM_
    .private_segment_fixed_size: 0
    .sgpr_count:     0
    .sgpr_spill_count: 0
    .symbol:         _ZN7rocprim17ROCPRIM_400000_NS6detail17trampoline_kernelINS0_14default_configENS1_38merge_sort_block_merge_config_selectorIlNS0_10empty_typeEEEZZNS1_27merge_sort_block_merge_implIS3_PlPS5_mZN2at6native12_GLOBAL__N_124unique_dim_cuda_templateIaEESt5tupleIJNSA_6TensorESF_SF_EERKSF_lbbbEUlllE_EE10hipError_tT0_T1_T2_jT3_P12ihipStream_tbPNSt15iterator_traitsISL_E10value_typeEPNSR_ISM_E10value_typeEPSN_NS1_7vsmem_tEENKUlT_SL_SM_SN_E_clIS8_S8_S9_S9_EESK_S10_SL_SM_SN_EUlS10_E1_NS1_11comp_targetILNS1_3genE10ELNS1_11target_archE1201ELNS1_3gpuE5ELNS1_3repE0EEENS1_36merge_oddeven_config_static_selectorELNS0_4arch9wavefront6targetE0EEEvSM_.kd
    .uniform_work_group_size: 1
    .uses_dynamic_stack: false
    .vgpr_count:     0
    .vgpr_spill_count: 0
    .wavefront_size: 32
    .workgroup_processor_mode: 1
  - .args:
      - .offset:         0
        .size:           64
        .value_kind:     by_value
    .group_segment_fixed_size: 0
    .kernarg_segment_align: 8
    .kernarg_segment_size: 64
    .language:       OpenCL C
    .language_version:
      - 2
      - 0
    .max_flat_workgroup_size: 256
    .name:           _ZN7rocprim17ROCPRIM_400000_NS6detail17trampoline_kernelINS0_14default_configENS1_38merge_sort_block_merge_config_selectorIlNS0_10empty_typeEEEZZNS1_27merge_sort_block_merge_implIS3_PlPS5_mZN2at6native12_GLOBAL__N_124unique_dim_cuda_templateIaEESt5tupleIJNSA_6TensorESF_SF_EERKSF_lbbbEUlllE_EE10hipError_tT0_T1_T2_jT3_P12ihipStream_tbPNSt15iterator_traitsISL_E10value_typeEPNSR_ISM_E10value_typeEPSN_NS1_7vsmem_tEENKUlT_SL_SM_SN_E_clIS8_S8_S9_S9_EESK_S10_SL_SM_SN_EUlS10_E1_NS1_11comp_targetILNS1_3genE5ELNS1_11target_archE942ELNS1_3gpuE9ELNS1_3repE0EEENS1_36merge_oddeven_config_static_selectorELNS0_4arch9wavefront6targetE0EEEvSM_
    .private_segment_fixed_size: 0
    .sgpr_count:     0
    .sgpr_spill_count: 0
    .symbol:         _ZN7rocprim17ROCPRIM_400000_NS6detail17trampoline_kernelINS0_14default_configENS1_38merge_sort_block_merge_config_selectorIlNS0_10empty_typeEEEZZNS1_27merge_sort_block_merge_implIS3_PlPS5_mZN2at6native12_GLOBAL__N_124unique_dim_cuda_templateIaEESt5tupleIJNSA_6TensorESF_SF_EERKSF_lbbbEUlllE_EE10hipError_tT0_T1_T2_jT3_P12ihipStream_tbPNSt15iterator_traitsISL_E10value_typeEPNSR_ISM_E10value_typeEPSN_NS1_7vsmem_tEENKUlT_SL_SM_SN_E_clIS8_S8_S9_S9_EESK_S10_SL_SM_SN_EUlS10_E1_NS1_11comp_targetILNS1_3genE5ELNS1_11target_archE942ELNS1_3gpuE9ELNS1_3repE0EEENS1_36merge_oddeven_config_static_selectorELNS0_4arch9wavefront6targetE0EEEvSM_.kd
    .uniform_work_group_size: 1
    .uses_dynamic_stack: false
    .vgpr_count:     0
    .vgpr_spill_count: 0
    .wavefront_size: 32
    .workgroup_processor_mode: 1
  - .args:
      - .offset:         0
        .size:           64
        .value_kind:     by_value
    .group_segment_fixed_size: 0
    .kernarg_segment_align: 8
    .kernarg_segment_size: 64
    .language:       OpenCL C
    .language_version:
      - 2
      - 0
    .max_flat_workgroup_size: 256
    .name:           _ZN7rocprim17ROCPRIM_400000_NS6detail17trampoline_kernelINS0_14default_configENS1_38merge_sort_block_merge_config_selectorIlNS0_10empty_typeEEEZZNS1_27merge_sort_block_merge_implIS3_PlPS5_mZN2at6native12_GLOBAL__N_124unique_dim_cuda_templateIaEESt5tupleIJNSA_6TensorESF_SF_EERKSF_lbbbEUlllE_EE10hipError_tT0_T1_T2_jT3_P12ihipStream_tbPNSt15iterator_traitsISL_E10value_typeEPNSR_ISM_E10value_typeEPSN_NS1_7vsmem_tEENKUlT_SL_SM_SN_E_clIS8_S8_S9_S9_EESK_S10_SL_SM_SN_EUlS10_E1_NS1_11comp_targetILNS1_3genE4ELNS1_11target_archE910ELNS1_3gpuE8ELNS1_3repE0EEENS1_36merge_oddeven_config_static_selectorELNS0_4arch9wavefront6targetE0EEEvSM_
    .private_segment_fixed_size: 0
    .sgpr_count:     0
    .sgpr_spill_count: 0
    .symbol:         _ZN7rocprim17ROCPRIM_400000_NS6detail17trampoline_kernelINS0_14default_configENS1_38merge_sort_block_merge_config_selectorIlNS0_10empty_typeEEEZZNS1_27merge_sort_block_merge_implIS3_PlPS5_mZN2at6native12_GLOBAL__N_124unique_dim_cuda_templateIaEESt5tupleIJNSA_6TensorESF_SF_EERKSF_lbbbEUlllE_EE10hipError_tT0_T1_T2_jT3_P12ihipStream_tbPNSt15iterator_traitsISL_E10value_typeEPNSR_ISM_E10value_typeEPSN_NS1_7vsmem_tEENKUlT_SL_SM_SN_E_clIS8_S8_S9_S9_EESK_S10_SL_SM_SN_EUlS10_E1_NS1_11comp_targetILNS1_3genE4ELNS1_11target_archE910ELNS1_3gpuE8ELNS1_3repE0EEENS1_36merge_oddeven_config_static_selectorELNS0_4arch9wavefront6targetE0EEEvSM_.kd
    .uniform_work_group_size: 1
    .uses_dynamic_stack: false
    .vgpr_count:     0
    .vgpr_spill_count: 0
    .wavefront_size: 32
    .workgroup_processor_mode: 1
  - .args:
      - .offset:         0
        .size:           64
        .value_kind:     by_value
    .group_segment_fixed_size: 0
    .kernarg_segment_align: 8
    .kernarg_segment_size: 64
    .language:       OpenCL C
    .language_version:
      - 2
      - 0
    .max_flat_workgroup_size: 256
    .name:           _ZN7rocprim17ROCPRIM_400000_NS6detail17trampoline_kernelINS0_14default_configENS1_38merge_sort_block_merge_config_selectorIlNS0_10empty_typeEEEZZNS1_27merge_sort_block_merge_implIS3_PlPS5_mZN2at6native12_GLOBAL__N_124unique_dim_cuda_templateIaEESt5tupleIJNSA_6TensorESF_SF_EERKSF_lbbbEUlllE_EE10hipError_tT0_T1_T2_jT3_P12ihipStream_tbPNSt15iterator_traitsISL_E10value_typeEPNSR_ISM_E10value_typeEPSN_NS1_7vsmem_tEENKUlT_SL_SM_SN_E_clIS8_S8_S9_S9_EESK_S10_SL_SM_SN_EUlS10_E1_NS1_11comp_targetILNS1_3genE3ELNS1_11target_archE908ELNS1_3gpuE7ELNS1_3repE0EEENS1_36merge_oddeven_config_static_selectorELNS0_4arch9wavefront6targetE0EEEvSM_
    .private_segment_fixed_size: 0
    .sgpr_count:     0
    .sgpr_spill_count: 0
    .symbol:         _ZN7rocprim17ROCPRIM_400000_NS6detail17trampoline_kernelINS0_14default_configENS1_38merge_sort_block_merge_config_selectorIlNS0_10empty_typeEEEZZNS1_27merge_sort_block_merge_implIS3_PlPS5_mZN2at6native12_GLOBAL__N_124unique_dim_cuda_templateIaEESt5tupleIJNSA_6TensorESF_SF_EERKSF_lbbbEUlllE_EE10hipError_tT0_T1_T2_jT3_P12ihipStream_tbPNSt15iterator_traitsISL_E10value_typeEPNSR_ISM_E10value_typeEPSN_NS1_7vsmem_tEENKUlT_SL_SM_SN_E_clIS8_S8_S9_S9_EESK_S10_SL_SM_SN_EUlS10_E1_NS1_11comp_targetILNS1_3genE3ELNS1_11target_archE908ELNS1_3gpuE7ELNS1_3repE0EEENS1_36merge_oddeven_config_static_selectorELNS0_4arch9wavefront6targetE0EEEvSM_.kd
    .uniform_work_group_size: 1
    .uses_dynamic_stack: false
    .vgpr_count:     0
    .vgpr_spill_count: 0
    .wavefront_size: 32
    .workgroup_processor_mode: 1
  - .args:
      - .offset:         0
        .size:           64
        .value_kind:     by_value
    .group_segment_fixed_size: 0
    .kernarg_segment_align: 8
    .kernarg_segment_size: 64
    .language:       OpenCL C
    .language_version:
      - 2
      - 0
    .max_flat_workgroup_size: 256
    .name:           _ZN7rocprim17ROCPRIM_400000_NS6detail17trampoline_kernelINS0_14default_configENS1_38merge_sort_block_merge_config_selectorIlNS0_10empty_typeEEEZZNS1_27merge_sort_block_merge_implIS3_PlPS5_mZN2at6native12_GLOBAL__N_124unique_dim_cuda_templateIaEESt5tupleIJNSA_6TensorESF_SF_EERKSF_lbbbEUlllE_EE10hipError_tT0_T1_T2_jT3_P12ihipStream_tbPNSt15iterator_traitsISL_E10value_typeEPNSR_ISM_E10value_typeEPSN_NS1_7vsmem_tEENKUlT_SL_SM_SN_E_clIS8_S8_S9_S9_EESK_S10_SL_SM_SN_EUlS10_E1_NS1_11comp_targetILNS1_3genE2ELNS1_11target_archE906ELNS1_3gpuE6ELNS1_3repE0EEENS1_36merge_oddeven_config_static_selectorELNS0_4arch9wavefront6targetE0EEEvSM_
    .private_segment_fixed_size: 0
    .sgpr_count:     0
    .sgpr_spill_count: 0
    .symbol:         _ZN7rocprim17ROCPRIM_400000_NS6detail17trampoline_kernelINS0_14default_configENS1_38merge_sort_block_merge_config_selectorIlNS0_10empty_typeEEEZZNS1_27merge_sort_block_merge_implIS3_PlPS5_mZN2at6native12_GLOBAL__N_124unique_dim_cuda_templateIaEESt5tupleIJNSA_6TensorESF_SF_EERKSF_lbbbEUlllE_EE10hipError_tT0_T1_T2_jT3_P12ihipStream_tbPNSt15iterator_traitsISL_E10value_typeEPNSR_ISM_E10value_typeEPSN_NS1_7vsmem_tEENKUlT_SL_SM_SN_E_clIS8_S8_S9_S9_EESK_S10_SL_SM_SN_EUlS10_E1_NS1_11comp_targetILNS1_3genE2ELNS1_11target_archE906ELNS1_3gpuE6ELNS1_3repE0EEENS1_36merge_oddeven_config_static_selectorELNS0_4arch9wavefront6targetE0EEEvSM_.kd
    .uniform_work_group_size: 1
    .uses_dynamic_stack: false
    .vgpr_count:     0
    .vgpr_spill_count: 0
    .wavefront_size: 32
    .workgroup_processor_mode: 1
  - .args:
      - .offset:         0
        .size:           64
        .value_kind:     by_value
    .group_segment_fixed_size: 0
    .kernarg_segment_align: 8
    .kernarg_segment_size: 64
    .language:       OpenCL C
    .language_version:
      - 2
      - 0
    .max_flat_workgroup_size: 256
    .name:           _ZN7rocprim17ROCPRIM_400000_NS6detail17trampoline_kernelINS0_14default_configENS1_38merge_sort_block_merge_config_selectorIlNS0_10empty_typeEEEZZNS1_27merge_sort_block_merge_implIS3_PlPS5_mZN2at6native12_GLOBAL__N_124unique_dim_cuda_templateIaEESt5tupleIJNSA_6TensorESF_SF_EERKSF_lbbbEUlllE_EE10hipError_tT0_T1_T2_jT3_P12ihipStream_tbPNSt15iterator_traitsISL_E10value_typeEPNSR_ISM_E10value_typeEPSN_NS1_7vsmem_tEENKUlT_SL_SM_SN_E_clIS8_S8_S9_S9_EESK_S10_SL_SM_SN_EUlS10_E1_NS1_11comp_targetILNS1_3genE9ELNS1_11target_archE1100ELNS1_3gpuE3ELNS1_3repE0EEENS1_36merge_oddeven_config_static_selectorELNS0_4arch9wavefront6targetE0EEEvSM_
    .private_segment_fixed_size: 0
    .sgpr_count:     28
    .sgpr_spill_count: 0
    .symbol:         _ZN7rocprim17ROCPRIM_400000_NS6detail17trampoline_kernelINS0_14default_configENS1_38merge_sort_block_merge_config_selectorIlNS0_10empty_typeEEEZZNS1_27merge_sort_block_merge_implIS3_PlPS5_mZN2at6native12_GLOBAL__N_124unique_dim_cuda_templateIaEESt5tupleIJNSA_6TensorESF_SF_EERKSF_lbbbEUlllE_EE10hipError_tT0_T1_T2_jT3_P12ihipStream_tbPNSt15iterator_traitsISL_E10value_typeEPNSR_ISM_E10value_typeEPSN_NS1_7vsmem_tEENKUlT_SL_SM_SN_E_clIS8_S8_S9_S9_EESK_S10_SL_SM_SN_EUlS10_E1_NS1_11comp_targetILNS1_3genE9ELNS1_11target_archE1100ELNS1_3gpuE3ELNS1_3repE0EEENS1_36merge_oddeven_config_static_selectorELNS0_4arch9wavefront6targetE0EEEvSM_.kd
    .uniform_work_group_size: 1
    .uses_dynamic_stack: false
    .vgpr_count:     20
    .vgpr_spill_count: 0
    .wavefront_size: 32
    .workgroup_processor_mode: 1
  - .args:
      - .offset:         0
        .size:           64
        .value_kind:     by_value
    .group_segment_fixed_size: 0
    .kernarg_segment_align: 8
    .kernarg_segment_size: 64
    .language:       OpenCL C
    .language_version:
      - 2
      - 0
    .max_flat_workgroup_size: 256
    .name:           _ZN7rocprim17ROCPRIM_400000_NS6detail17trampoline_kernelINS0_14default_configENS1_38merge_sort_block_merge_config_selectorIlNS0_10empty_typeEEEZZNS1_27merge_sort_block_merge_implIS3_PlPS5_mZN2at6native12_GLOBAL__N_124unique_dim_cuda_templateIaEESt5tupleIJNSA_6TensorESF_SF_EERKSF_lbbbEUlllE_EE10hipError_tT0_T1_T2_jT3_P12ihipStream_tbPNSt15iterator_traitsISL_E10value_typeEPNSR_ISM_E10value_typeEPSN_NS1_7vsmem_tEENKUlT_SL_SM_SN_E_clIS8_S8_S9_S9_EESK_S10_SL_SM_SN_EUlS10_E1_NS1_11comp_targetILNS1_3genE8ELNS1_11target_archE1030ELNS1_3gpuE2ELNS1_3repE0EEENS1_36merge_oddeven_config_static_selectorELNS0_4arch9wavefront6targetE0EEEvSM_
    .private_segment_fixed_size: 0
    .sgpr_count:     0
    .sgpr_spill_count: 0
    .symbol:         _ZN7rocprim17ROCPRIM_400000_NS6detail17trampoline_kernelINS0_14default_configENS1_38merge_sort_block_merge_config_selectorIlNS0_10empty_typeEEEZZNS1_27merge_sort_block_merge_implIS3_PlPS5_mZN2at6native12_GLOBAL__N_124unique_dim_cuda_templateIaEESt5tupleIJNSA_6TensorESF_SF_EERKSF_lbbbEUlllE_EE10hipError_tT0_T1_T2_jT3_P12ihipStream_tbPNSt15iterator_traitsISL_E10value_typeEPNSR_ISM_E10value_typeEPSN_NS1_7vsmem_tEENKUlT_SL_SM_SN_E_clIS8_S8_S9_S9_EESK_S10_SL_SM_SN_EUlS10_E1_NS1_11comp_targetILNS1_3genE8ELNS1_11target_archE1030ELNS1_3gpuE2ELNS1_3repE0EEENS1_36merge_oddeven_config_static_selectorELNS0_4arch9wavefront6targetE0EEEvSM_.kd
    .uniform_work_group_size: 1
    .uses_dynamic_stack: false
    .vgpr_count:     0
    .vgpr_spill_count: 0
    .wavefront_size: 32
    .workgroup_processor_mode: 1
  - .args:
      - .offset:         0
        .size:           64
        .value_kind:     by_value
    .group_segment_fixed_size: 0
    .kernarg_segment_align: 8
    .kernarg_segment_size: 64
    .language:       OpenCL C
    .language_version:
      - 2
      - 0
    .max_flat_workgroup_size: 128
    .name:           _ZN7rocprim17ROCPRIM_400000_NS6detail17trampoline_kernelINS0_14default_configENS1_35adjacent_difference_config_selectorILb0ElEEZNS1_24adjacent_difference_implIS3_Lb0ELb0EPlS7_ZN2at6native12_GLOBAL__N_124unique_dim_cuda_templateIaEESt5tupleIJNS8_6TensorESD_SD_EERKSD_lbbbEUlllE1_EE10hipError_tPvRmT2_T3_mT4_P12ihipStream_tbEUlT_E_NS1_11comp_targetILNS1_3genE0ELNS1_11target_archE4294967295ELNS1_3gpuE0ELNS1_3repE0EEENS1_30default_config_static_selectorELNS0_4arch9wavefront6targetE0EEEvT1_
    .private_segment_fixed_size: 0
    .sgpr_count:     0
    .sgpr_spill_count: 0
    .symbol:         _ZN7rocprim17ROCPRIM_400000_NS6detail17trampoline_kernelINS0_14default_configENS1_35adjacent_difference_config_selectorILb0ElEEZNS1_24adjacent_difference_implIS3_Lb0ELb0EPlS7_ZN2at6native12_GLOBAL__N_124unique_dim_cuda_templateIaEESt5tupleIJNS8_6TensorESD_SD_EERKSD_lbbbEUlllE1_EE10hipError_tPvRmT2_T3_mT4_P12ihipStream_tbEUlT_E_NS1_11comp_targetILNS1_3genE0ELNS1_11target_archE4294967295ELNS1_3gpuE0ELNS1_3repE0EEENS1_30default_config_static_selectorELNS0_4arch9wavefront6targetE0EEEvT1_.kd
    .uniform_work_group_size: 1
    .uses_dynamic_stack: false
    .vgpr_count:     0
    .vgpr_spill_count: 0
    .wavefront_size: 32
    .workgroup_processor_mode: 1
  - .args:
      - .offset:         0
        .size:           64
        .value_kind:     by_value
    .group_segment_fixed_size: 0
    .kernarg_segment_align: 8
    .kernarg_segment_size: 64
    .language:       OpenCL C
    .language_version:
      - 2
      - 0
    .max_flat_workgroup_size: 128
    .name:           _ZN7rocprim17ROCPRIM_400000_NS6detail17trampoline_kernelINS0_14default_configENS1_35adjacent_difference_config_selectorILb0ElEEZNS1_24adjacent_difference_implIS3_Lb0ELb0EPlS7_ZN2at6native12_GLOBAL__N_124unique_dim_cuda_templateIaEESt5tupleIJNS8_6TensorESD_SD_EERKSD_lbbbEUlllE1_EE10hipError_tPvRmT2_T3_mT4_P12ihipStream_tbEUlT_E_NS1_11comp_targetILNS1_3genE10ELNS1_11target_archE1201ELNS1_3gpuE5ELNS1_3repE0EEENS1_30default_config_static_selectorELNS0_4arch9wavefront6targetE0EEEvT1_
    .private_segment_fixed_size: 0
    .sgpr_count:     0
    .sgpr_spill_count: 0
    .symbol:         _ZN7rocprim17ROCPRIM_400000_NS6detail17trampoline_kernelINS0_14default_configENS1_35adjacent_difference_config_selectorILb0ElEEZNS1_24adjacent_difference_implIS3_Lb0ELb0EPlS7_ZN2at6native12_GLOBAL__N_124unique_dim_cuda_templateIaEESt5tupleIJNS8_6TensorESD_SD_EERKSD_lbbbEUlllE1_EE10hipError_tPvRmT2_T3_mT4_P12ihipStream_tbEUlT_E_NS1_11comp_targetILNS1_3genE10ELNS1_11target_archE1201ELNS1_3gpuE5ELNS1_3repE0EEENS1_30default_config_static_selectorELNS0_4arch9wavefront6targetE0EEEvT1_.kd
    .uniform_work_group_size: 1
    .uses_dynamic_stack: false
    .vgpr_count:     0
    .vgpr_spill_count: 0
    .wavefront_size: 32
    .workgroup_processor_mode: 1
  - .args:
      - .offset:         0
        .size:           64
        .value_kind:     by_value
    .group_segment_fixed_size: 0
    .kernarg_segment_align: 8
    .kernarg_segment_size: 64
    .language:       OpenCL C
    .language_version:
      - 2
      - 0
    .max_flat_workgroup_size: 64
    .name:           _ZN7rocprim17ROCPRIM_400000_NS6detail17trampoline_kernelINS0_14default_configENS1_35adjacent_difference_config_selectorILb0ElEEZNS1_24adjacent_difference_implIS3_Lb0ELb0EPlS7_ZN2at6native12_GLOBAL__N_124unique_dim_cuda_templateIaEESt5tupleIJNS8_6TensorESD_SD_EERKSD_lbbbEUlllE1_EE10hipError_tPvRmT2_T3_mT4_P12ihipStream_tbEUlT_E_NS1_11comp_targetILNS1_3genE5ELNS1_11target_archE942ELNS1_3gpuE9ELNS1_3repE0EEENS1_30default_config_static_selectorELNS0_4arch9wavefront6targetE0EEEvT1_
    .private_segment_fixed_size: 0
    .sgpr_count:     0
    .sgpr_spill_count: 0
    .symbol:         _ZN7rocprim17ROCPRIM_400000_NS6detail17trampoline_kernelINS0_14default_configENS1_35adjacent_difference_config_selectorILb0ElEEZNS1_24adjacent_difference_implIS3_Lb0ELb0EPlS7_ZN2at6native12_GLOBAL__N_124unique_dim_cuda_templateIaEESt5tupleIJNS8_6TensorESD_SD_EERKSD_lbbbEUlllE1_EE10hipError_tPvRmT2_T3_mT4_P12ihipStream_tbEUlT_E_NS1_11comp_targetILNS1_3genE5ELNS1_11target_archE942ELNS1_3gpuE9ELNS1_3repE0EEENS1_30default_config_static_selectorELNS0_4arch9wavefront6targetE0EEEvT1_.kd
    .uniform_work_group_size: 1
    .uses_dynamic_stack: false
    .vgpr_count:     0
    .vgpr_spill_count: 0
    .wavefront_size: 32
    .workgroup_processor_mode: 1
  - .args:
      - .offset:         0
        .size:           64
        .value_kind:     by_value
    .group_segment_fixed_size: 0
    .kernarg_segment_align: 8
    .kernarg_segment_size: 64
    .language:       OpenCL C
    .language_version:
      - 2
      - 0
    .max_flat_workgroup_size: 256
    .name:           _ZN7rocprim17ROCPRIM_400000_NS6detail17trampoline_kernelINS0_14default_configENS1_35adjacent_difference_config_selectorILb0ElEEZNS1_24adjacent_difference_implIS3_Lb0ELb0EPlS7_ZN2at6native12_GLOBAL__N_124unique_dim_cuda_templateIaEESt5tupleIJNS8_6TensorESD_SD_EERKSD_lbbbEUlllE1_EE10hipError_tPvRmT2_T3_mT4_P12ihipStream_tbEUlT_E_NS1_11comp_targetILNS1_3genE4ELNS1_11target_archE910ELNS1_3gpuE8ELNS1_3repE0EEENS1_30default_config_static_selectorELNS0_4arch9wavefront6targetE0EEEvT1_
    .private_segment_fixed_size: 0
    .sgpr_count:     0
    .sgpr_spill_count: 0
    .symbol:         _ZN7rocprim17ROCPRIM_400000_NS6detail17trampoline_kernelINS0_14default_configENS1_35adjacent_difference_config_selectorILb0ElEEZNS1_24adjacent_difference_implIS3_Lb0ELb0EPlS7_ZN2at6native12_GLOBAL__N_124unique_dim_cuda_templateIaEESt5tupleIJNS8_6TensorESD_SD_EERKSD_lbbbEUlllE1_EE10hipError_tPvRmT2_T3_mT4_P12ihipStream_tbEUlT_E_NS1_11comp_targetILNS1_3genE4ELNS1_11target_archE910ELNS1_3gpuE8ELNS1_3repE0EEENS1_30default_config_static_selectorELNS0_4arch9wavefront6targetE0EEEvT1_.kd
    .uniform_work_group_size: 1
    .uses_dynamic_stack: false
    .vgpr_count:     0
    .vgpr_spill_count: 0
    .wavefront_size: 32
    .workgroup_processor_mode: 1
  - .args:
      - .offset:         0
        .size:           64
        .value_kind:     by_value
    .group_segment_fixed_size: 0
    .kernarg_segment_align: 8
    .kernarg_segment_size: 64
    .language:       OpenCL C
    .language_version:
      - 2
      - 0
    .max_flat_workgroup_size: 128
    .name:           _ZN7rocprim17ROCPRIM_400000_NS6detail17trampoline_kernelINS0_14default_configENS1_35adjacent_difference_config_selectorILb0ElEEZNS1_24adjacent_difference_implIS3_Lb0ELb0EPlS7_ZN2at6native12_GLOBAL__N_124unique_dim_cuda_templateIaEESt5tupleIJNS8_6TensorESD_SD_EERKSD_lbbbEUlllE1_EE10hipError_tPvRmT2_T3_mT4_P12ihipStream_tbEUlT_E_NS1_11comp_targetILNS1_3genE3ELNS1_11target_archE908ELNS1_3gpuE7ELNS1_3repE0EEENS1_30default_config_static_selectorELNS0_4arch9wavefront6targetE0EEEvT1_
    .private_segment_fixed_size: 0
    .sgpr_count:     0
    .sgpr_spill_count: 0
    .symbol:         _ZN7rocprim17ROCPRIM_400000_NS6detail17trampoline_kernelINS0_14default_configENS1_35adjacent_difference_config_selectorILb0ElEEZNS1_24adjacent_difference_implIS3_Lb0ELb0EPlS7_ZN2at6native12_GLOBAL__N_124unique_dim_cuda_templateIaEESt5tupleIJNS8_6TensorESD_SD_EERKSD_lbbbEUlllE1_EE10hipError_tPvRmT2_T3_mT4_P12ihipStream_tbEUlT_E_NS1_11comp_targetILNS1_3genE3ELNS1_11target_archE908ELNS1_3gpuE7ELNS1_3repE0EEENS1_30default_config_static_selectorELNS0_4arch9wavefront6targetE0EEEvT1_.kd
    .uniform_work_group_size: 1
    .uses_dynamic_stack: false
    .vgpr_count:     0
    .vgpr_spill_count: 0
    .wavefront_size: 32
    .workgroup_processor_mode: 1
  - .args:
      - .offset:         0
        .size:           64
        .value_kind:     by_value
    .group_segment_fixed_size: 0
    .kernarg_segment_align: 8
    .kernarg_segment_size: 64
    .language:       OpenCL C
    .language_version:
      - 2
      - 0
    .max_flat_workgroup_size: 128
    .name:           _ZN7rocprim17ROCPRIM_400000_NS6detail17trampoline_kernelINS0_14default_configENS1_35adjacent_difference_config_selectorILb0ElEEZNS1_24adjacent_difference_implIS3_Lb0ELb0EPlS7_ZN2at6native12_GLOBAL__N_124unique_dim_cuda_templateIaEESt5tupleIJNS8_6TensorESD_SD_EERKSD_lbbbEUlllE1_EE10hipError_tPvRmT2_T3_mT4_P12ihipStream_tbEUlT_E_NS1_11comp_targetILNS1_3genE2ELNS1_11target_archE906ELNS1_3gpuE6ELNS1_3repE0EEENS1_30default_config_static_selectorELNS0_4arch9wavefront6targetE0EEEvT1_
    .private_segment_fixed_size: 0
    .sgpr_count:     0
    .sgpr_spill_count: 0
    .symbol:         _ZN7rocprim17ROCPRIM_400000_NS6detail17trampoline_kernelINS0_14default_configENS1_35adjacent_difference_config_selectorILb0ElEEZNS1_24adjacent_difference_implIS3_Lb0ELb0EPlS7_ZN2at6native12_GLOBAL__N_124unique_dim_cuda_templateIaEESt5tupleIJNS8_6TensorESD_SD_EERKSD_lbbbEUlllE1_EE10hipError_tPvRmT2_T3_mT4_P12ihipStream_tbEUlT_E_NS1_11comp_targetILNS1_3genE2ELNS1_11target_archE906ELNS1_3gpuE6ELNS1_3repE0EEENS1_30default_config_static_selectorELNS0_4arch9wavefront6targetE0EEEvT1_.kd
    .uniform_work_group_size: 1
    .uses_dynamic_stack: false
    .vgpr_count:     0
    .vgpr_spill_count: 0
    .wavefront_size: 32
    .workgroup_processor_mode: 1
  - .args:
      - .offset:         0
        .size:           64
        .value_kind:     by_value
    .group_segment_fixed_size: 8192
    .kernarg_segment_align: 8
    .kernarg_segment_size: 64
    .language:       OpenCL C
    .language_version:
      - 2
      - 0
    .max_flat_workgroup_size: 512
    .name:           _ZN7rocprim17ROCPRIM_400000_NS6detail17trampoline_kernelINS0_14default_configENS1_35adjacent_difference_config_selectorILb0ElEEZNS1_24adjacent_difference_implIS3_Lb0ELb0EPlS7_ZN2at6native12_GLOBAL__N_124unique_dim_cuda_templateIaEESt5tupleIJNS8_6TensorESD_SD_EERKSD_lbbbEUlllE1_EE10hipError_tPvRmT2_T3_mT4_P12ihipStream_tbEUlT_E_NS1_11comp_targetILNS1_3genE9ELNS1_11target_archE1100ELNS1_3gpuE3ELNS1_3repE0EEENS1_30default_config_static_selectorELNS0_4arch9wavefront6targetE0EEEvT1_
    .private_segment_fixed_size: 0
    .sgpr_count:     27
    .sgpr_spill_count: 0
    .symbol:         _ZN7rocprim17ROCPRIM_400000_NS6detail17trampoline_kernelINS0_14default_configENS1_35adjacent_difference_config_selectorILb0ElEEZNS1_24adjacent_difference_implIS3_Lb0ELb0EPlS7_ZN2at6native12_GLOBAL__N_124unique_dim_cuda_templateIaEESt5tupleIJNS8_6TensorESD_SD_EERKSD_lbbbEUlllE1_EE10hipError_tPvRmT2_T3_mT4_P12ihipStream_tbEUlT_E_NS1_11comp_targetILNS1_3genE9ELNS1_11target_archE1100ELNS1_3gpuE3ELNS1_3repE0EEENS1_30default_config_static_selectorELNS0_4arch9wavefront6targetE0EEEvT1_.kd
    .uniform_work_group_size: 1
    .uses_dynamic_stack: false
    .vgpr_count:     13
    .vgpr_spill_count: 0
    .wavefront_size: 32
    .workgroup_processor_mode: 1
  - .args:
      - .offset:         0
        .size:           64
        .value_kind:     by_value
    .group_segment_fixed_size: 0
    .kernarg_segment_align: 8
    .kernarg_segment_size: 64
    .language:       OpenCL C
    .language_version:
      - 2
      - 0
    .max_flat_workgroup_size: 1024
    .name:           _ZN7rocprim17ROCPRIM_400000_NS6detail17trampoline_kernelINS0_14default_configENS1_35adjacent_difference_config_selectorILb0ElEEZNS1_24adjacent_difference_implIS3_Lb0ELb0EPlS7_ZN2at6native12_GLOBAL__N_124unique_dim_cuda_templateIaEESt5tupleIJNS8_6TensorESD_SD_EERKSD_lbbbEUlllE1_EE10hipError_tPvRmT2_T3_mT4_P12ihipStream_tbEUlT_E_NS1_11comp_targetILNS1_3genE8ELNS1_11target_archE1030ELNS1_3gpuE2ELNS1_3repE0EEENS1_30default_config_static_selectorELNS0_4arch9wavefront6targetE0EEEvT1_
    .private_segment_fixed_size: 0
    .sgpr_count:     0
    .sgpr_spill_count: 0
    .symbol:         _ZN7rocprim17ROCPRIM_400000_NS6detail17trampoline_kernelINS0_14default_configENS1_35adjacent_difference_config_selectorILb0ElEEZNS1_24adjacent_difference_implIS3_Lb0ELb0EPlS7_ZN2at6native12_GLOBAL__N_124unique_dim_cuda_templateIaEESt5tupleIJNS8_6TensorESD_SD_EERKSD_lbbbEUlllE1_EE10hipError_tPvRmT2_T3_mT4_P12ihipStream_tbEUlT_E_NS1_11comp_targetILNS1_3genE8ELNS1_11target_archE1030ELNS1_3gpuE2ELNS1_3repE0EEENS1_30default_config_static_selectorELNS0_4arch9wavefront6targetE0EEEvT1_.kd
    .uniform_work_group_size: 1
    .uses_dynamic_stack: false
    .vgpr_count:     0
    .vgpr_spill_count: 0
    .wavefront_size: 32
    .workgroup_processor_mode: 1
  - .args:
      - .offset:         0
        .size:           56
        .value_kind:     by_value
    .group_segment_fixed_size: 0
    .kernarg_segment_align: 8
    .kernarg_segment_size: 56
    .language:       OpenCL C
    .language_version:
      - 2
      - 0
    .max_flat_workgroup_size: 128
    .name:           _ZN7rocprim17ROCPRIM_400000_NS6detail17trampoline_kernelINS0_14default_configENS1_25transform_config_selectorIlLb0EEEZNS1_14transform_implILb0ES3_S5_NS0_18transform_iteratorINS0_17counting_iteratorImlEEZNS1_24adjacent_difference_implIS3_Lb1ELb0EPlSB_ZN2at6native12_GLOBAL__N_124unique_dim_cuda_templateIaEESt5tupleIJNSC_6TensorESH_SH_EERKSH_lbbbEUlllE1_EE10hipError_tPvRmT2_T3_mT4_P12ihipStream_tbEUlmE_lEESB_NS0_8identityIvEEEESM_SP_SQ_mSR_ST_bEUlT_E_NS1_11comp_targetILNS1_3genE0ELNS1_11target_archE4294967295ELNS1_3gpuE0ELNS1_3repE0EEENS1_30default_config_static_selectorELNS0_4arch9wavefront6targetE0EEEvT1_
    .private_segment_fixed_size: 0
    .sgpr_count:     0
    .sgpr_spill_count: 0
    .symbol:         _ZN7rocprim17ROCPRIM_400000_NS6detail17trampoline_kernelINS0_14default_configENS1_25transform_config_selectorIlLb0EEEZNS1_14transform_implILb0ES3_S5_NS0_18transform_iteratorINS0_17counting_iteratorImlEEZNS1_24adjacent_difference_implIS3_Lb1ELb0EPlSB_ZN2at6native12_GLOBAL__N_124unique_dim_cuda_templateIaEESt5tupleIJNSC_6TensorESH_SH_EERKSH_lbbbEUlllE1_EE10hipError_tPvRmT2_T3_mT4_P12ihipStream_tbEUlmE_lEESB_NS0_8identityIvEEEESM_SP_SQ_mSR_ST_bEUlT_E_NS1_11comp_targetILNS1_3genE0ELNS1_11target_archE4294967295ELNS1_3gpuE0ELNS1_3repE0EEENS1_30default_config_static_selectorELNS0_4arch9wavefront6targetE0EEEvT1_.kd
    .uniform_work_group_size: 1
    .uses_dynamic_stack: false
    .vgpr_count:     0
    .vgpr_spill_count: 0
    .wavefront_size: 32
    .workgroup_processor_mode: 1
  - .args:
      - .offset:         0
        .size:           56
        .value_kind:     by_value
    .group_segment_fixed_size: 0
    .kernarg_segment_align: 8
    .kernarg_segment_size: 56
    .language:       OpenCL C
    .language_version:
      - 2
      - 0
    .max_flat_workgroup_size: 512
    .name:           _ZN7rocprim17ROCPRIM_400000_NS6detail17trampoline_kernelINS0_14default_configENS1_25transform_config_selectorIlLb0EEEZNS1_14transform_implILb0ES3_S5_NS0_18transform_iteratorINS0_17counting_iteratorImlEEZNS1_24adjacent_difference_implIS3_Lb1ELb0EPlSB_ZN2at6native12_GLOBAL__N_124unique_dim_cuda_templateIaEESt5tupleIJNSC_6TensorESH_SH_EERKSH_lbbbEUlllE1_EE10hipError_tPvRmT2_T3_mT4_P12ihipStream_tbEUlmE_lEESB_NS0_8identityIvEEEESM_SP_SQ_mSR_ST_bEUlT_E_NS1_11comp_targetILNS1_3genE5ELNS1_11target_archE942ELNS1_3gpuE9ELNS1_3repE0EEENS1_30default_config_static_selectorELNS0_4arch9wavefront6targetE0EEEvT1_
    .private_segment_fixed_size: 0
    .sgpr_count:     0
    .sgpr_spill_count: 0
    .symbol:         _ZN7rocprim17ROCPRIM_400000_NS6detail17trampoline_kernelINS0_14default_configENS1_25transform_config_selectorIlLb0EEEZNS1_14transform_implILb0ES3_S5_NS0_18transform_iteratorINS0_17counting_iteratorImlEEZNS1_24adjacent_difference_implIS3_Lb1ELb0EPlSB_ZN2at6native12_GLOBAL__N_124unique_dim_cuda_templateIaEESt5tupleIJNSC_6TensorESH_SH_EERKSH_lbbbEUlllE1_EE10hipError_tPvRmT2_T3_mT4_P12ihipStream_tbEUlmE_lEESB_NS0_8identityIvEEEESM_SP_SQ_mSR_ST_bEUlT_E_NS1_11comp_targetILNS1_3genE5ELNS1_11target_archE942ELNS1_3gpuE9ELNS1_3repE0EEENS1_30default_config_static_selectorELNS0_4arch9wavefront6targetE0EEEvT1_.kd
    .uniform_work_group_size: 1
    .uses_dynamic_stack: false
    .vgpr_count:     0
    .vgpr_spill_count: 0
    .wavefront_size: 32
    .workgroup_processor_mode: 1
  - .args:
      - .offset:         0
        .size:           56
        .value_kind:     by_value
    .group_segment_fixed_size: 0
    .kernarg_segment_align: 8
    .kernarg_segment_size: 56
    .language:       OpenCL C
    .language_version:
      - 2
      - 0
    .max_flat_workgroup_size: 256
    .name:           _ZN7rocprim17ROCPRIM_400000_NS6detail17trampoline_kernelINS0_14default_configENS1_25transform_config_selectorIlLb0EEEZNS1_14transform_implILb0ES3_S5_NS0_18transform_iteratorINS0_17counting_iteratorImlEEZNS1_24adjacent_difference_implIS3_Lb1ELb0EPlSB_ZN2at6native12_GLOBAL__N_124unique_dim_cuda_templateIaEESt5tupleIJNSC_6TensorESH_SH_EERKSH_lbbbEUlllE1_EE10hipError_tPvRmT2_T3_mT4_P12ihipStream_tbEUlmE_lEESB_NS0_8identityIvEEEESM_SP_SQ_mSR_ST_bEUlT_E_NS1_11comp_targetILNS1_3genE4ELNS1_11target_archE910ELNS1_3gpuE8ELNS1_3repE0EEENS1_30default_config_static_selectorELNS0_4arch9wavefront6targetE0EEEvT1_
    .private_segment_fixed_size: 0
    .sgpr_count:     0
    .sgpr_spill_count: 0
    .symbol:         _ZN7rocprim17ROCPRIM_400000_NS6detail17trampoline_kernelINS0_14default_configENS1_25transform_config_selectorIlLb0EEEZNS1_14transform_implILb0ES3_S5_NS0_18transform_iteratorINS0_17counting_iteratorImlEEZNS1_24adjacent_difference_implIS3_Lb1ELb0EPlSB_ZN2at6native12_GLOBAL__N_124unique_dim_cuda_templateIaEESt5tupleIJNSC_6TensorESH_SH_EERKSH_lbbbEUlllE1_EE10hipError_tPvRmT2_T3_mT4_P12ihipStream_tbEUlmE_lEESB_NS0_8identityIvEEEESM_SP_SQ_mSR_ST_bEUlT_E_NS1_11comp_targetILNS1_3genE4ELNS1_11target_archE910ELNS1_3gpuE8ELNS1_3repE0EEENS1_30default_config_static_selectorELNS0_4arch9wavefront6targetE0EEEvT1_.kd
    .uniform_work_group_size: 1
    .uses_dynamic_stack: false
    .vgpr_count:     0
    .vgpr_spill_count: 0
    .wavefront_size: 32
    .workgroup_processor_mode: 1
  - .args:
      - .offset:         0
        .size:           56
        .value_kind:     by_value
    .group_segment_fixed_size: 0
    .kernarg_segment_align: 8
    .kernarg_segment_size: 56
    .language:       OpenCL C
    .language_version:
      - 2
      - 0
    .max_flat_workgroup_size: 128
    .name:           _ZN7rocprim17ROCPRIM_400000_NS6detail17trampoline_kernelINS0_14default_configENS1_25transform_config_selectorIlLb0EEEZNS1_14transform_implILb0ES3_S5_NS0_18transform_iteratorINS0_17counting_iteratorImlEEZNS1_24adjacent_difference_implIS3_Lb1ELb0EPlSB_ZN2at6native12_GLOBAL__N_124unique_dim_cuda_templateIaEESt5tupleIJNSC_6TensorESH_SH_EERKSH_lbbbEUlllE1_EE10hipError_tPvRmT2_T3_mT4_P12ihipStream_tbEUlmE_lEESB_NS0_8identityIvEEEESM_SP_SQ_mSR_ST_bEUlT_E_NS1_11comp_targetILNS1_3genE3ELNS1_11target_archE908ELNS1_3gpuE7ELNS1_3repE0EEENS1_30default_config_static_selectorELNS0_4arch9wavefront6targetE0EEEvT1_
    .private_segment_fixed_size: 0
    .sgpr_count:     0
    .sgpr_spill_count: 0
    .symbol:         _ZN7rocprim17ROCPRIM_400000_NS6detail17trampoline_kernelINS0_14default_configENS1_25transform_config_selectorIlLb0EEEZNS1_14transform_implILb0ES3_S5_NS0_18transform_iteratorINS0_17counting_iteratorImlEEZNS1_24adjacent_difference_implIS3_Lb1ELb0EPlSB_ZN2at6native12_GLOBAL__N_124unique_dim_cuda_templateIaEESt5tupleIJNSC_6TensorESH_SH_EERKSH_lbbbEUlllE1_EE10hipError_tPvRmT2_T3_mT4_P12ihipStream_tbEUlmE_lEESB_NS0_8identityIvEEEESM_SP_SQ_mSR_ST_bEUlT_E_NS1_11comp_targetILNS1_3genE3ELNS1_11target_archE908ELNS1_3gpuE7ELNS1_3repE0EEENS1_30default_config_static_selectorELNS0_4arch9wavefront6targetE0EEEvT1_.kd
    .uniform_work_group_size: 1
    .uses_dynamic_stack: false
    .vgpr_count:     0
    .vgpr_spill_count: 0
    .wavefront_size: 32
    .workgroup_processor_mode: 1
  - .args:
      - .offset:         0
        .size:           56
        .value_kind:     by_value
    .group_segment_fixed_size: 0
    .kernarg_segment_align: 8
    .kernarg_segment_size: 56
    .language:       OpenCL C
    .language_version:
      - 2
      - 0
    .max_flat_workgroup_size: 512
    .name:           _ZN7rocprim17ROCPRIM_400000_NS6detail17trampoline_kernelINS0_14default_configENS1_25transform_config_selectorIlLb0EEEZNS1_14transform_implILb0ES3_S5_NS0_18transform_iteratorINS0_17counting_iteratorImlEEZNS1_24adjacent_difference_implIS3_Lb1ELb0EPlSB_ZN2at6native12_GLOBAL__N_124unique_dim_cuda_templateIaEESt5tupleIJNSC_6TensorESH_SH_EERKSH_lbbbEUlllE1_EE10hipError_tPvRmT2_T3_mT4_P12ihipStream_tbEUlmE_lEESB_NS0_8identityIvEEEESM_SP_SQ_mSR_ST_bEUlT_E_NS1_11comp_targetILNS1_3genE2ELNS1_11target_archE906ELNS1_3gpuE6ELNS1_3repE0EEENS1_30default_config_static_selectorELNS0_4arch9wavefront6targetE0EEEvT1_
    .private_segment_fixed_size: 0
    .sgpr_count:     0
    .sgpr_spill_count: 0
    .symbol:         _ZN7rocprim17ROCPRIM_400000_NS6detail17trampoline_kernelINS0_14default_configENS1_25transform_config_selectorIlLb0EEEZNS1_14transform_implILb0ES3_S5_NS0_18transform_iteratorINS0_17counting_iteratorImlEEZNS1_24adjacent_difference_implIS3_Lb1ELb0EPlSB_ZN2at6native12_GLOBAL__N_124unique_dim_cuda_templateIaEESt5tupleIJNSC_6TensorESH_SH_EERKSH_lbbbEUlllE1_EE10hipError_tPvRmT2_T3_mT4_P12ihipStream_tbEUlmE_lEESB_NS0_8identityIvEEEESM_SP_SQ_mSR_ST_bEUlT_E_NS1_11comp_targetILNS1_3genE2ELNS1_11target_archE906ELNS1_3gpuE6ELNS1_3repE0EEENS1_30default_config_static_selectorELNS0_4arch9wavefront6targetE0EEEvT1_.kd
    .uniform_work_group_size: 1
    .uses_dynamic_stack: false
    .vgpr_count:     0
    .vgpr_spill_count: 0
    .wavefront_size: 32
    .workgroup_processor_mode: 1
  - .args:
      - .offset:         0
        .size:           56
        .value_kind:     by_value
    .group_segment_fixed_size: 0
    .kernarg_segment_align: 8
    .kernarg_segment_size: 56
    .language:       OpenCL C
    .language_version:
      - 2
      - 0
    .max_flat_workgroup_size: 1024
    .name:           _ZN7rocprim17ROCPRIM_400000_NS6detail17trampoline_kernelINS0_14default_configENS1_25transform_config_selectorIlLb0EEEZNS1_14transform_implILb0ES3_S5_NS0_18transform_iteratorINS0_17counting_iteratorImlEEZNS1_24adjacent_difference_implIS3_Lb1ELb0EPlSB_ZN2at6native12_GLOBAL__N_124unique_dim_cuda_templateIaEESt5tupleIJNSC_6TensorESH_SH_EERKSH_lbbbEUlllE1_EE10hipError_tPvRmT2_T3_mT4_P12ihipStream_tbEUlmE_lEESB_NS0_8identityIvEEEESM_SP_SQ_mSR_ST_bEUlT_E_NS1_11comp_targetILNS1_3genE10ELNS1_11target_archE1201ELNS1_3gpuE5ELNS1_3repE0EEENS1_30default_config_static_selectorELNS0_4arch9wavefront6targetE0EEEvT1_
    .private_segment_fixed_size: 0
    .sgpr_count:     0
    .sgpr_spill_count: 0
    .symbol:         _ZN7rocprim17ROCPRIM_400000_NS6detail17trampoline_kernelINS0_14default_configENS1_25transform_config_selectorIlLb0EEEZNS1_14transform_implILb0ES3_S5_NS0_18transform_iteratorINS0_17counting_iteratorImlEEZNS1_24adjacent_difference_implIS3_Lb1ELb0EPlSB_ZN2at6native12_GLOBAL__N_124unique_dim_cuda_templateIaEESt5tupleIJNSC_6TensorESH_SH_EERKSH_lbbbEUlllE1_EE10hipError_tPvRmT2_T3_mT4_P12ihipStream_tbEUlmE_lEESB_NS0_8identityIvEEEESM_SP_SQ_mSR_ST_bEUlT_E_NS1_11comp_targetILNS1_3genE10ELNS1_11target_archE1201ELNS1_3gpuE5ELNS1_3repE0EEENS1_30default_config_static_selectorELNS0_4arch9wavefront6targetE0EEEvT1_.kd
    .uniform_work_group_size: 1
    .uses_dynamic_stack: false
    .vgpr_count:     0
    .vgpr_spill_count: 0
    .wavefront_size: 32
    .workgroup_processor_mode: 1
  - .args:
      - .offset:         0
        .size:           56
        .value_kind:     by_value
    .group_segment_fixed_size: 0
    .kernarg_segment_align: 8
    .kernarg_segment_size: 56
    .language:       OpenCL C
    .language_version:
      - 2
      - 0
    .max_flat_workgroup_size: 512
    .name:           _ZN7rocprim17ROCPRIM_400000_NS6detail17trampoline_kernelINS0_14default_configENS1_25transform_config_selectorIlLb0EEEZNS1_14transform_implILb0ES3_S5_NS0_18transform_iteratorINS0_17counting_iteratorImlEEZNS1_24adjacent_difference_implIS3_Lb1ELb0EPlSB_ZN2at6native12_GLOBAL__N_124unique_dim_cuda_templateIaEESt5tupleIJNSC_6TensorESH_SH_EERKSH_lbbbEUlllE1_EE10hipError_tPvRmT2_T3_mT4_P12ihipStream_tbEUlmE_lEESB_NS0_8identityIvEEEESM_SP_SQ_mSR_ST_bEUlT_E_NS1_11comp_targetILNS1_3genE10ELNS1_11target_archE1200ELNS1_3gpuE4ELNS1_3repE0EEENS1_30default_config_static_selectorELNS0_4arch9wavefront6targetE0EEEvT1_
    .private_segment_fixed_size: 0
    .sgpr_count:     0
    .sgpr_spill_count: 0
    .symbol:         _ZN7rocprim17ROCPRIM_400000_NS6detail17trampoline_kernelINS0_14default_configENS1_25transform_config_selectorIlLb0EEEZNS1_14transform_implILb0ES3_S5_NS0_18transform_iteratorINS0_17counting_iteratorImlEEZNS1_24adjacent_difference_implIS3_Lb1ELb0EPlSB_ZN2at6native12_GLOBAL__N_124unique_dim_cuda_templateIaEESt5tupleIJNSC_6TensorESH_SH_EERKSH_lbbbEUlllE1_EE10hipError_tPvRmT2_T3_mT4_P12ihipStream_tbEUlmE_lEESB_NS0_8identityIvEEEESM_SP_SQ_mSR_ST_bEUlT_E_NS1_11comp_targetILNS1_3genE10ELNS1_11target_archE1200ELNS1_3gpuE4ELNS1_3repE0EEENS1_30default_config_static_selectorELNS0_4arch9wavefront6targetE0EEEvT1_.kd
    .uniform_work_group_size: 1
    .uses_dynamic_stack: false
    .vgpr_count:     0
    .vgpr_spill_count: 0
    .wavefront_size: 32
    .workgroup_processor_mode: 1
  - .args:
      - .offset:         0
        .size:           56
        .value_kind:     by_value
      - .offset:         56
        .size:           4
        .value_kind:     hidden_block_count_x
      - .offset:         60
        .size:           4
        .value_kind:     hidden_block_count_y
      - .offset:         64
        .size:           4
        .value_kind:     hidden_block_count_z
      - .offset:         68
        .size:           2
        .value_kind:     hidden_group_size_x
      - .offset:         70
        .size:           2
        .value_kind:     hidden_group_size_y
      - .offset:         72
        .size:           2
        .value_kind:     hidden_group_size_z
      - .offset:         74
        .size:           2
        .value_kind:     hidden_remainder_x
      - .offset:         76
        .size:           2
        .value_kind:     hidden_remainder_y
      - .offset:         78
        .size:           2
        .value_kind:     hidden_remainder_z
      - .offset:         96
        .size:           8
        .value_kind:     hidden_global_offset_x
      - .offset:         104
        .size:           8
        .value_kind:     hidden_global_offset_y
      - .offset:         112
        .size:           8
        .value_kind:     hidden_global_offset_z
      - .offset:         120
        .size:           2
        .value_kind:     hidden_grid_dims
    .group_segment_fixed_size: 0
    .kernarg_segment_align: 8
    .kernarg_segment_size: 312
    .language:       OpenCL C
    .language_version:
      - 2
      - 0
    .max_flat_workgroup_size: 512
    .name:           _ZN7rocprim17ROCPRIM_400000_NS6detail17trampoline_kernelINS0_14default_configENS1_25transform_config_selectorIlLb0EEEZNS1_14transform_implILb0ES3_S5_NS0_18transform_iteratorINS0_17counting_iteratorImlEEZNS1_24adjacent_difference_implIS3_Lb1ELb0EPlSB_ZN2at6native12_GLOBAL__N_124unique_dim_cuda_templateIaEESt5tupleIJNSC_6TensorESH_SH_EERKSH_lbbbEUlllE1_EE10hipError_tPvRmT2_T3_mT4_P12ihipStream_tbEUlmE_lEESB_NS0_8identityIvEEEESM_SP_SQ_mSR_ST_bEUlT_E_NS1_11comp_targetILNS1_3genE9ELNS1_11target_archE1100ELNS1_3gpuE3ELNS1_3repE0EEENS1_30default_config_static_selectorELNS0_4arch9wavefront6targetE0EEEvT1_
    .private_segment_fixed_size: 0
    .sgpr_count:     18
    .sgpr_spill_count: 0
    .symbol:         _ZN7rocprim17ROCPRIM_400000_NS6detail17trampoline_kernelINS0_14default_configENS1_25transform_config_selectorIlLb0EEEZNS1_14transform_implILb0ES3_S5_NS0_18transform_iteratorINS0_17counting_iteratorImlEEZNS1_24adjacent_difference_implIS3_Lb1ELb0EPlSB_ZN2at6native12_GLOBAL__N_124unique_dim_cuda_templateIaEESt5tupleIJNSC_6TensorESH_SH_EERKSH_lbbbEUlllE1_EE10hipError_tPvRmT2_T3_mT4_P12ihipStream_tbEUlmE_lEESB_NS0_8identityIvEEEESM_SP_SQ_mSR_ST_bEUlT_E_NS1_11comp_targetILNS1_3genE9ELNS1_11target_archE1100ELNS1_3gpuE3ELNS1_3repE0EEENS1_30default_config_static_selectorELNS0_4arch9wavefront6targetE0EEEvT1_.kd
    .uniform_work_group_size: 1
    .uses_dynamic_stack: false
    .vgpr_count:     6
    .vgpr_spill_count: 0
    .wavefront_size: 32
    .workgroup_processor_mode: 1
  - .args:
      - .offset:         0
        .size:           56
        .value_kind:     by_value
    .group_segment_fixed_size: 0
    .kernarg_segment_align: 8
    .kernarg_segment_size: 56
    .language:       OpenCL C
    .language_version:
      - 2
      - 0
    .max_flat_workgroup_size: 512
    .name:           _ZN7rocprim17ROCPRIM_400000_NS6detail17trampoline_kernelINS0_14default_configENS1_25transform_config_selectorIlLb0EEEZNS1_14transform_implILb0ES3_S5_NS0_18transform_iteratorINS0_17counting_iteratorImlEEZNS1_24adjacent_difference_implIS3_Lb1ELb0EPlSB_ZN2at6native12_GLOBAL__N_124unique_dim_cuda_templateIaEESt5tupleIJNSC_6TensorESH_SH_EERKSH_lbbbEUlllE1_EE10hipError_tPvRmT2_T3_mT4_P12ihipStream_tbEUlmE_lEESB_NS0_8identityIvEEEESM_SP_SQ_mSR_ST_bEUlT_E_NS1_11comp_targetILNS1_3genE8ELNS1_11target_archE1030ELNS1_3gpuE2ELNS1_3repE0EEENS1_30default_config_static_selectorELNS0_4arch9wavefront6targetE0EEEvT1_
    .private_segment_fixed_size: 0
    .sgpr_count:     0
    .sgpr_spill_count: 0
    .symbol:         _ZN7rocprim17ROCPRIM_400000_NS6detail17trampoline_kernelINS0_14default_configENS1_25transform_config_selectorIlLb0EEEZNS1_14transform_implILb0ES3_S5_NS0_18transform_iteratorINS0_17counting_iteratorImlEEZNS1_24adjacent_difference_implIS3_Lb1ELb0EPlSB_ZN2at6native12_GLOBAL__N_124unique_dim_cuda_templateIaEESt5tupleIJNSC_6TensorESH_SH_EERKSH_lbbbEUlllE1_EE10hipError_tPvRmT2_T3_mT4_P12ihipStream_tbEUlmE_lEESB_NS0_8identityIvEEEESM_SP_SQ_mSR_ST_bEUlT_E_NS1_11comp_targetILNS1_3genE8ELNS1_11target_archE1030ELNS1_3gpuE2ELNS1_3repE0EEENS1_30default_config_static_selectorELNS0_4arch9wavefront6targetE0EEEvT1_.kd
    .uniform_work_group_size: 1
    .uses_dynamic_stack: false
    .vgpr_count:     0
    .vgpr_spill_count: 0
    .wavefront_size: 32
    .workgroup_processor_mode: 1
  - .args:
      - .offset:         0
        .size:           64
        .value_kind:     by_value
    .group_segment_fixed_size: 0
    .kernarg_segment_align: 8
    .kernarg_segment_size: 64
    .language:       OpenCL C
    .language_version:
      - 2
      - 0
    .max_flat_workgroup_size: 512
    .name:           _ZN7rocprim17ROCPRIM_400000_NS6detail17trampoline_kernelINS0_14default_configENS1_35adjacent_difference_config_selectorILb1ElEEZNS1_24adjacent_difference_implIS3_Lb1ELb0EPlS7_ZN2at6native12_GLOBAL__N_124unique_dim_cuda_templateIaEESt5tupleIJNS8_6TensorESD_SD_EERKSD_lbbbEUlllE1_EE10hipError_tPvRmT2_T3_mT4_P12ihipStream_tbEUlT_E_NS1_11comp_targetILNS1_3genE0ELNS1_11target_archE4294967295ELNS1_3gpuE0ELNS1_3repE0EEENS1_30default_config_static_selectorELNS0_4arch9wavefront6targetE0EEEvT1_
    .private_segment_fixed_size: 0
    .sgpr_count:     0
    .sgpr_spill_count: 0
    .symbol:         _ZN7rocprim17ROCPRIM_400000_NS6detail17trampoline_kernelINS0_14default_configENS1_35adjacent_difference_config_selectorILb1ElEEZNS1_24adjacent_difference_implIS3_Lb1ELb0EPlS7_ZN2at6native12_GLOBAL__N_124unique_dim_cuda_templateIaEESt5tupleIJNS8_6TensorESD_SD_EERKSD_lbbbEUlllE1_EE10hipError_tPvRmT2_T3_mT4_P12ihipStream_tbEUlT_E_NS1_11comp_targetILNS1_3genE0ELNS1_11target_archE4294967295ELNS1_3gpuE0ELNS1_3repE0EEENS1_30default_config_static_selectorELNS0_4arch9wavefront6targetE0EEEvT1_.kd
    .uniform_work_group_size: 1
    .uses_dynamic_stack: false
    .vgpr_count:     0
    .vgpr_spill_count: 0
    .wavefront_size: 32
    .workgroup_processor_mode: 1
  - .args:
      - .offset:         0
        .size:           64
        .value_kind:     by_value
    .group_segment_fixed_size: 0
    .kernarg_segment_align: 8
    .kernarg_segment_size: 64
    .language:       OpenCL C
    .language_version:
      - 2
      - 0
    .max_flat_workgroup_size: 32
    .name:           _ZN7rocprim17ROCPRIM_400000_NS6detail17trampoline_kernelINS0_14default_configENS1_35adjacent_difference_config_selectorILb1ElEEZNS1_24adjacent_difference_implIS3_Lb1ELb0EPlS7_ZN2at6native12_GLOBAL__N_124unique_dim_cuda_templateIaEESt5tupleIJNS8_6TensorESD_SD_EERKSD_lbbbEUlllE1_EE10hipError_tPvRmT2_T3_mT4_P12ihipStream_tbEUlT_E_NS1_11comp_targetILNS1_3genE10ELNS1_11target_archE1201ELNS1_3gpuE5ELNS1_3repE0EEENS1_30default_config_static_selectorELNS0_4arch9wavefront6targetE0EEEvT1_
    .private_segment_fixed_size: 0
    .sgpr_count:     0
    .sgpr_spill_count: 0
    .symbol:         _ZN7rocprim17ROCPRIM_400000_NS6detail17trampoline_kernelINS0_14default_configENS1_35adjacent_difference_config_selectorILb1ElEEZNS1_24adjacent_difference_implIS3_Lb1ELb0EPlS7_ZN2at6native12_GLOBAL__N_124unique_dim_cuda_templateIaEESt5tupleIJNS8_6TensorESD_SD_EERKSD_lbbbEUlllE1_EE10hipError_tPvRmT2_T3_mT4_P12ihipStream_tbEUlT_E_NS1_11comp_targetILNS1_3genE10ELNS1_11target_archE1201ELNS1_3gpuE5ELNS1_3repE0EEENS1_30default_config_static_selectorELNS0_4arch9wavefront6targetE0EEEvT1_.kd
    .uniform_work_group_size: 1
    .uses_dynamic_stack: false
    .vgpr_count:     0
    .vgpr_spill_count: 0
    .wavefront_size: 32
    .workgroup_processor_mode: 1
  - .args:
      - .offset:         0
        .size:           64
        .value_kind:     by_value
    .group_segment_fixed_size: 0
    .kernarg_segment_align: 8
    .kernarg_segment_size: 64
    .language:       OpenCL C
    .language_version:
      - 2
      - 0
    .max_flat_workgroup_size: 256
    .name:           _ZN7rocprim17ROCPRIM_400000_NS6detail17trampoline_kernelINS0_14default_configENS1_35adjacent_difference_config_selectorILb1ElEEZNS1_24adjacent_difference_implIS3_Lb1ELb0EPlS7_ZN2at6native12_GLOBAL__N_124unique_dim_cuda_templateIaEESt5tupleIJNS8_6TensorESD_SD_EERKSD_lbbbEUlllE1_EE10hipError_tPvRmT2_T3_mT4_P12ihipStream_tbEUlT_E_NS1_11comp_targetILNS1_3genE5ELNS1_11target_archE942ELNS1_3gpuE9ELNS1_3repE0EEENS1_30default_config_static_selectorELNS0_4arch9wavefront6targetE0EEEvT1_
    .private_segment_fixed_size: 0
    .sgpr_count:     0
    .sgpr_spill_count: 0
    .symbol:         _ZN7rocprim17ROCPRIM_400000_NS6detail17trampoline_kernelINS0_14default_configENS1_35adjacent_difference_config_selectorILb1ElEEZNS1_24adjacent_difference_implIS3_Lb1ELb0EPlS7_ZN2at6native12_GLOBAL__N_124unique_dim_cuda_templateIaEESt5tupleIJNS8_6TensorESD_SD_EERKSD_lbbbEUlllE1_EE10hipError_tPvRmT2_T3_mT4_P12ihipStream_tbEUlT_E_NS1_11comp_targetILNS1_3genE5ELNS1_11target_archE942ELNS1_3gpuE9ELNS1_3repE0EEENS1_30default_config_static_selectorELNS0_4arch9wavefront6targetE0EEEvT1_.kd
    .uniform_work_group_size: 1
    .uses_dynamic_stack: false
    .vgpr_count:     0
    .vgpr_spill_count: 0
    .wavefront_size: 32
    .workgroup_processor_mode: 1
  - .args:
      - .offset:         0
        .size:           64
        .value_kind:     by_value
    .group_segment_fixed_size: 0
    .kernarg_segment_align: 8
    .kernarg_segment_size: 64
    .language:       OpenCL C
    .language_version:
      - 2
      - 0
    .max_flat_workgroup_size: 512
    .name:           _ZN7rocprim17ROCPRIM_400000_NS6detail17trampoline_kernelINS0_14default_configENS1_35adjacent_difference_config_selectorILb1ElEEZNS1_24adjacent_difference_implIS3_Lb1ELb0EPlS7_ZN2at6native12_GLOBAL__N_124unique_dim_cuda_templateIaEESt5tupleIJNS8_6TensorESD_SD_EERKSD_lbbbEUlllE1_EE10hipError_tPvRmT2_T3_mT4_P12ihipStream_tbEUlT_E_NS1_11comp_targetILNS1_3genE4ELNS1_11target_archE910ELNS1_3gpuE8ELNS1_3repE0EEENS1_30default_config_static_selectorELNS0_4arch9wavefront6targetE0EEEvT1_
    .private_segment_fixed_size: 0
    .sgpr_count:     0
    .sgpr_spill_count: 0
    .symbol:         _ZN7rocprim17ROCPRIM_400000_NS6detail17trampoline_kernelINS0_14default_configENS1_35adjacent_difference_config_selectorILb1ElEEZNS1_24adjacent_difference_implIS3_Lb1ELb0EPlS7_ZN2at6native12_GLOBAL__N_124unique_dim_cuda_templateIaEESt5tupleIJNS8_6TensorESD_SD_EERKSD_lbbbEUlllE1_EE10hipError_tPvRmT2_T3_mT4_P12ihipStream_tbEUlT_E_NS1_11comp_targetILNS1_3genE4ELNS1_11target_archE910ELNS1_3gpuE8ELNS1_3repE0EEENS1_30default_config_static_selectorELNS0_4arch9wavefront6targetE0EEEvT1_.kd
    .uniform_work_group_size: 1
    .uses_dynamic_stack: false
    .vgpr_count:     0
    .vgpr_spill_count: 0
    .wavefront_size: 32
    .workgroup_processor_mode: 1
  - .args:
      - .offset:         0
        .size:           64
        .value_kind:     by_value
    .group_segment_fixed_size: 0
    .kernarg_segment_align: 8
    .kernarg_segment_size: 64
    .language:       OpenCL C
    .language_version:
      - 2
      - 0
    .max_flat_workgroup_size: 512
    .name:           _ZN7rocprim17ROCPRIM_400000_NS6detail17trampoline_kernelINS0_14default_configENS1_35adjacent_difference_config_selectorILb1ElEEZNS1_24adjacent_difference_implIS3_Lb1ELb0EPlS7_ZN2at6native12_GLOBAL__N_124unique_dim_cuda_templateIaEESt5tupleIJNS8_6TensorESD_SD_EERKSD_lbbbEUlllE1_EE10hipError_tPvRmT2_T3_mT4_P12ihipStream_tbEUlT_E_NS1_11comp_targetILNS1_3genE3ELNS1_11target_archE908ELNS1_3gpuE7ELNS1_3repE0EEENS1_30default_config_static_selectorELNS0_4arch9wavefront6targetE0EEEvT1_
    .private_segment_fixed_size: 0
    .sgpr_count:     0
    .sgpr_spill_count: 0
    .symbol:         _ZN7rocprim17ROCPRIM_400000_NS6detail17trampoline_kernelINS0_14default_configENS1_35adjacent_difference_config_selectorILb1ElEEZNS1_24adjacent_difference_implIS3_Lb1ELb0EPlS7_ZN2at6native12_GLOBAL__N_124unique_dim_cuda_templateIaEESt5tupleIJNS8_6TensorESD_SD_EERKSD_lbbbEUlllE1_EE10hipError_tPvRmT2_T3_mT4_P12ihipStream_tbEUlT_E_NS1_11comp_targetILNS1_3genE3ELNS1_11target_archE908ELNS1_3gpuE7ELNS1_3repE0EEENS1_30default_config_static_selectorELNS0_4arch9wavefront6targetE0EEEvT1_.kd
    .uniform_work_group_size: 1
    .uses_dynamic_stack: false
    .vgpr_count:     0
    .vgpr_spill_count: 0
    .wavefront_size: 32
    .workgroup_processor_mode: 1
  - .args:
      - .offset:         0
        .size:           64
        .value_kind:     by_value
    .group_segment_fixed_size: 0
    .kernarg_segment_align: 8
    .kernarg_segment_size: 64
    .language:       OpenCL C
    .language_version:
      - 2
      - 0
    .max_flat_workgroup_size: 128
    .name:           _ZN7rocprim17ROCPRIM_400000_NS6detail17trampoline_kernelINS0_14default_configENS1_35adjacent_difference_config_selectorILb1ElEEZNS1_24adjacent_difference_implIS3_Lb1ELb0EPlS7_ZN2at6native12_GLOBAL__N_124unique_dim_cuda_templateIaEESt5tupleIJNS8_6TensorESD_SD_EERKSD_lbbbEUlllE1_EE10hipError_tPvRmT2_T3_mT4_P12ihipStream_tbEUlT_E_NS1_11comp_targetILNS1_3genE2ELNS1_11target_archE906ELNS1_3gpuE6ELNS1_3repE0EEENS1_30default_config_static_selectorELNS0_4arch9wavefront6targetE0EEEvT1_
    .private_segment_fixed_size: 0
    .sgpr_count:     0
    .sgpr_spill_count: 0
    .symbol:         _ZN7rocprim17ROCPRIM_400000_NS6detail17trampoline_kernelINS0_14default_configENS1_35adjacent_difference_config_selectorILb1ElEEZNS1_24adjacent_difference_implIS3_Lb1ELb0EPlS7_ZN2at6native12_GLOBAL__N_124unique_dim_cuda_templateIaEESt5tupleIJNS8_6TensorESD_SD_EERKSD_lbbbEUlllE1_EE10hipError_tPvRmT2_T3_mT4_P12ihipStream_tbEUlT_E_NS1_11comp_targetILNS1_3genE2ELNS1_11target_archE906ELNS1_3gpuE6ELNS1_3repE0EEENS1_30default_config_static_selectorELNS0_4arch9wavefront6targetE0EEEvT1_.kd
    .uniform_work_group_size: 1
    .uses_dynamic_stack: false
    .vgpr_count:     0
    .vgpr_spill_count: 0
    .wavefront_size: 32
    .workgroup_processor_mode: 1
  - .args:
      - .offset:         0
        .size:           64
        .value_kind:     by_value
    .group_segment_fixed_size: 29696
    .kernarg_segment_align: 8
    .kernarg_segment_size: 64
    .language:       OpenCL C
    .language_version:
      - 2
      - 0
    .max_flat_workgroup_size: 128
    .name:           _ZN7rocprim17ROCPRIM_400000_NS6detail17trampoline_kernelINS0_14default_configENS1_35adjacent_difference_config_selectorILb1ElEEZNS1_24adjacent_difference_implIS3_Lb1ELb0EPlS7_ZN2at6native12_GLOBAL__N_124unique_dim_cuda_templateIaEESt5tupleIJNS8_6TensorESD_SD_EERKSD_lbbbEUlllE1_EE10hipError_tPvRmT2_T3_mT4_P12ihipStream_tbEUlT_E_NS1_11comp_targetILNS1_3genE9ELNS1_11target_archE1100ELNS1_3gpuE3ELNS1_3repE0EEENS1_30default_config_static_selectorELNS0_4arch9wavefront6targetE0EEEvT1_
    .private_segment_fixed_size: 0
    .sgpr_count:     32
    .sgpr_spill_count: 0
    .symbol:         _ZN7rocprim17ROCPRIM_400000_NS6detail17trampoline_kernelINS0_14default_configENS1_35adjacent_difference_config_selectorILb1ElEEZNS1_24adjacent_difference_implIS3_Lb1ELb0EPlS7_ZN2at6native12_GLOBAL__N_124unique_dim_cuda_templateIaEESt5tupleIJNS8_6TensorESD_SD_EERKSD_lbbbEUlllE1_EE10hipError_tPvRmT2_T3_mT4_P12ihipStream_tbEUlT_E_NS1_11comp_targetILNS1_3genE9ELNS1_11target_archE1100ELNS1_3gpuE3ELNS1_3repE0EEENS1_30default_config_static_selectorELNS0_4arch9wavefront6targetE0EEEvT1_.kd
    .uniform_work_group_size: 1
    .uses_dynamic_stack: false
    .vgpr_count:     196
    .vgpr_spill_count: 0
    .wavefront_size: 32
    .workgroup_processor_mode: 1
  - .args:
      - .offset:         0
        .size:           64
        .value_kind:     by_value
    .group_segment_fixed_size: 0
    .kernarg_segment_align: 8
    .kernarg_segment_size: 64
    .language:       OpenCL C
    .language_version:
      - 2
      - 0
    .max_flat_workgroup_size: 32
    .name:           _ZN7rocprim17ROCPRIM_400000_NS6detail17trampoline_kernelINS0_14default_configENS1_35adjacent_difference_config_selectorILb1ElEEZNS1_24adjacent_difference_implIS3_Lb1ELb0EPlS7_ZN2at6native12_GLOBAL__N_124unique_dim_cuda_templateIaEESt5tupleIJNS8_6TensorESD_SD_EERKSD_lbbbEUlllE1_EE10hipError_tPvRmT2_T3_mT4_P12ihipStream_tbEUlT_E_NS1_11comp_targetILNS1_3genE8ELNS1_11target_archE1030ELNS1_3gpuE2ELNS1_3repE0EEENS1_30default_config_static_selectorELNS0_4arch9wavefront6targetE0EEEvT1_
    .private_segment_fixed_size: 0
    .sgpr_count:     0
    .sgpr_spill_count: 0
    .symbol:         _ZN7rocprim17ROCPRIM_400000_NS6detail17trampoline_kernelINS0_14default_configENS1_35adjacent_difference_config_selectorILb1ElEEZNS1_24adjacent_difference_implIS3_Lb1ELb0EPlS7_ZN2at6native12_GLOBAL__N_124unique_dim_cuda_templateIaEESt5tupleIJNS8_6TensorESD_SD_EERKSD_lbbbEUlllE1_EE10hipError_tPvRmT2_T3_mT4_P12ihipStream_tbEUlT_E_NS1_11comp_targetILNS1_3genE8ELNS1_11target_archE1030ELNS1_3gpuE2ELNS1_3repE0EEENS1_30default_config_static_selectorELNS0_4arch9wavefront6targetE0EEEvT1_.kd
    .uniform_work_group_size: 1
    .uses_dynamic_stack: false
    .vgpr_count:     0
    .vgpr_spill_count: 0
    .wavefront_size: 32
    .workgroup_processor_mode: 1
  - .args:
      - .offset:         0
        .size:           120
        .value_kind:     by_value
    .group_segment_fixed_size: 0
    .kernarg_segment_align: 8
    .kernarg_segment_size: 120
    .language:       OpenCL C
    .language_version:
      - 2
      - 0
    .max_flat_workgroup_size: 512
    .name:           _ZN7rocprim17ROCPRIM_400000_NS6detail17trampoline_kernelINS0_14default_configENS1_25partition_config_selectorILNS1_17partition_subalgoE8ElNS0_10empty_typeEbEEZZNS1_14partition_implILS5_8ELb0ES3_jPlPS6_PKS6_NS0_5tupleIJS9_S6_EEENSD_IJSA_SA_EEENS0_18inequality_wrapperIZN2at6native12_GLOBAL__N_124unique_dim_cuda_templateIaEESt5tupleIJNSH_6TensorESM_SM_EERKSM_lbbbEUlllE0_EEPmJS6_EEE10hipError_tPvRmT3_T4_T5_T6_T7_T9_mT8_P12ihipStream_tbDpT10_ENKUlT_T0_E_clISt17integral_constantIbLb0EES1C_EEDaS17_S18_EUlS17_E_NS1_11comp_targetILNS1_3genE0ELNS1_11target_archE4294967295ELNS1_3gpuE0ELNS1_3repE0EEENS1_30default_config_static_selectorELNS0_4arch9wavefront6targetE0EEEvT1_
    .private_segment_fixed_size: 0
    .sgpr_count:     0
    .sgpr_spill_count: 0
    .symbol:         _ZN7rocprim17ROCPRIM_400000_NS6detail17trampoline_kernelINS0_14default_configENS1_25partition_config_selectorILNS1_17partition_subalgoE8ElNS0_10empty_typeEbEEZZNS1_14partition_implILS5_8ELb0ES3_jPlPS6_PKS6_NS0_5tupleIJS9_S6_EEENSD_IJSA_SA_EEENS0_18inequality_wrapperIZN2at6native12_GLOBAL__N_124unique_dim_cuda_templateIaEESt5tupleIJNSH_6TensorESM_SM_EERKSM_lbbbEUlllE0_EEPmJS6_EEE10hipError_tPvRmT3_T4_T5_T6_T7_T9_mT8_P12ihipStream_tbDpT10_ENKUlT_T0_E_clISt17integral_constantIbLb0EES1C_EEDaS17_S18_EUlS17_E_NS1_11comp_targetILNS1_3genE0ELNS1_11target_archE4294967295ELNS1_3gpuE0ELNS1_3repE0EEENS1_30default_config_static_selectorELNS0_4arch9wavefront6targetE0EEEvT1_.kd
    .uniform_work_group_size: 1
    .uses_dynamic_stack: false
    .vgpr_count:     0
    .vgpr_spill_count: 0
    .wavefront_size: 32
    .workgroup_processor_mode: 1
  - .args:
      - .offset:         0
        .size:           120
        .value_kind:     by_value
    .group_segment_fixed_size: 0
    .kernarg_segment_align: 8
    .kernarg_segment_size: 120
    .language:       OpenCL C
    .language_version:
      - 2
      - 0
    .max_flat_workgroup_size: 512
    .name:           _ZN7rocprim17ROCPRIM_400000_NS6detail17trampoline_kernelINS0_14default_configENS1_25partition_config_selectorILNS1_17partition_subalgoE8ElNS0_10empty_typeEbEEZZNS1_14partition_implILS5_8ELb0ES3_jPlPS6_PKS6_NS0_5tupleIJS9_S6_EEENSD_IJSA_SA_EEENS0_18inequality_wrapperIZN2at6native12_GLOBAL__N_124unique_dim_cuda_templateIaEESt5tupleIJNSH_6TensorESM_SM_EERKSM_lbbbEUlllE0_EEPmJS6_EEE10hipError_tPvRmT3_T4_T5_T6_T7_T9_mT8_P12ihipStream_tbDpT10_ENKUlT_T0_E_clISt17integral_constantIbLb0EES1C_EEDaS17_S18_EUlS17_E_NS1_11comp_targetILNS1_3genE5ELNS1_11target_archE942ELNS1_3gpuE9ELNS1_3repE0EEENS1_30default_config_static_selectorELNS0_4arch9wavefront6targetE0EEEvT1_
    .private_segment_fixed_size: 0
    .sgpr_count:     0
    .sgpr_spill_count: 0
    .symbol:         _ZN7rocprim17ROCPRIM_400000_NS6detail17trampoline_kernelINS0_14default_configENS1_25partition_config_selectorILNS1_17partition_subalgoE8ElNS0_10empty_typeEbEEZZNS1_14partition_implILS5_8ELb0ES3_jPlPS6_PKS6_NS0_5tupleIJS9_S6_EEENSD_IJSA_SA_EEENS0_18inequality_wrapperIZN2at6native12_GLOBAL__N_124unique_dim_cuda_templateIaEESt5tupleIJNSH_6TensorESM_SM_EERKSM_lbbbEUlllE0_EEPmJS6_EEE10hipError_tPvRmT3_T4_T5_T6_T7_T9_mT8_P12ihipStream_tbDpT10_ENKUlT_T0_E_clISt17integral_constantIbLb0EES1C_EEDaS17_S18_EUlS17_E_NS1_11comp_targetILNS1_3genE5ELNS1_11target_archE942ELNS1_3gpuE9ELNS1_3repE0EEENS1_30default_config_static_selectorELNS0_4arch9wavefront6targetE0EEEvT1_.kd
    .uniform_work_group_size: 1
    .uses_dynamic_stack: false
    .vgpr_count:     0
    .vgpr_spill_count: 0
    .wavefront_size: 32
    .workgroup_processor_mode: 1
  - .args:
      - .offset:         0
        .size:           120
        .value_kind:     by_value
    .group_segment_fixed_size: 0
    .kernarg_segment_align: 8
    .kernarg_segment_size: 120
    .language:       OpenCL C
    .language_version:
      - 2
      - 0
    .max_flat_workgroup_size: 256
    .name:           _ZN7rocprim17ROCPRIM_400000_NS6detail17trampoline_kernelINS0_14default_configENS1_25partition_config_selectorILNS1_17partition_subalgoE8ElNS0_10empty_typeEbEEZZNS1_14partition_implILS5_8ELb0ES3_jPlPS6_PKS6_NS0_5tupleIJS9_S6_EEENSD_IJSA_SA_EEENS0_18inequality_wrapperIZN2at6native12_GLOBAL__N_124unique_dim_cuda_templateIaEESt5tupleIJNSH_6TensorESM_SM_EERKSM_lbbbEUlllE0_EEPmJS6_EEE10hipError_tPvRmT3_T4_T5_T6_T7_T9_mT8_P12ihipStream_tbDpT10_ENKUlT_T0_E_clISt17integral_constantIbLb0EES1C_EEDaS17_S18_EUlS17_E_NS1_11comp_targetILNS1_3genE4ELNS1_11target_archE910ELNS1_3gpuE8ELNS1_3repE0EEENS1_30default_config_static_selectorELNS0_4arch9wavefront6targetE0EEEvT1_
    .private_segment_fixed_size: 0
    .sgpr_count:     0
    .sgpr_spill_count: 0
    .symbol:         _ZN7rocprim17ROCPRIM_400000_NS6detail17trampoline_kernelINS0_14default_configENS1_25partition_config_selectorILNS1_17partition_subalgoE8ElNS0_10empty_typeEbEEZZNS1_14partition_implILS5_8ELb0ES3_jPlPS6_PKS6_NS0_5tupleIJS9_S6_EEENSD_IJSA_SA_EEENS0_18inequality_wrapperIZN2at6native12_GLOBAL__N_124unique_dim_cuda_templateIaEESt5tupleIJNSH_6TensorESM_SM_EERKSM_lbbbEUlllE0_EEPmJS6_EEE10hipError_tPvRmT3_T4_T5_T6_T7_T9_mT8_P12ihipStream_tbDpT10_ENKUlT_T0_E_clISt17integral_constantIbLb0EES1C_EEDaS17_S18_EUlS17_E_NS1_11comp_targetILNS1_3genE4ELNS1_11target_archE910ELNS1_3gpuE8ELNS1_3repE0EEENS1_30default_config_static_selectorELNS0_4arch9wavefront6targetE0EEEvT1_.kd
    .uniform_work_group_size: 1
    .uses_dynamic_stack: false
    .vgpr_count:     0
    .vgpr_spill_count: 0
    .wavefront_size: 32
    .workgroup_processor_mode: 1
  - .args:
      - .offset:         0
        .size:           120
        .value_kind:     by_value
    .group_segment_fixed_size: 0
    .kernarg_segment_align: 8
    .kernarg_segment_size: 120
    .language:       OpenCL C
    .language_version:
      - 2
      - 0
    .max_flat_workgroup_size: 512
    .name:           _ZN7rocprim17ROCPRIM_400000_NS6detail17trampoline_kernelINS0_14default_configENS1_25partition_config_selectorILNS1_17partition_subalgoE8ElNS0_10empty_typeEbEEZZNS1_14partition_implILS5_8ELb0ES3_jPlPS6_PKS6_NS0_5tupleIJS9_S6_EEENSD_IJSA_SA_EEENS0_18inequality_wrapperIZN2at6native12_GLOBAL__N_124unique_dim_cuda_templateIaEESt5tupleIJNSH_6TensorESM_SM_EERKSM_lbbbEUlllE0_EEPmJS6_EEE10hipError_tPvRmT3_T4_T5_T6_T7_T9_mT8_P12ihipStream_tbDpT10_ENKUlT_T0_E_clISt17integral_constantIbLb0EES1C_EEDaS17_S18_EUlS17_E_NS1_11comp_targetILNS1_3genE3ELNS1_11target_archE908ELNS1_3gpuE7ELNS1_3repE0EEENS1_30default_config_static_selectorELNS0_4arch9wavefront6targetE0EEEvT1_
    .private_segment_fixed_size: 0
    .sgpr_count:     0
    .sgpr_spill_count: 0
    .symbol:         _ZN7rocprim17ROCPRIM_400000_NS6detail17trampoline_kernelINS0_14default_configENS1_25partition_config_selectorILNS1_17partition_subalgoE8ElNS0_10empty_typeEbEEZZNS1_14partition_implILS5_8ELb0ES3_jPlPS6_PKS6_NS0_5tupleIJS9_S6_EEENSD_IJSA_SA_EEENS0_18inequality_wrapperIZN2at6native12_GLOBAL__N_124unique_dim_cuda_templateIaEESt5tupleIJNSH_6TensorESM_SM_EERKSM_lbbbEUlllE0_EEPmJS6_EEE10hipError_tPvRmT3_T4_T5_T6_T7_T9_mT8_P12ihipStream_tbDpT10_ENKUlT_T0_E_clISt17integral_constantIbLb0EES1C_EEDaS17_S18_EUlS17_E_NS1_11comp_targetILNS1_3genE3ELNS1_11target_archE908ELNS1_3gpuE7ELNS1_3repE0EEENS1_30default_config_static_selectorELNS0_4arch9wavefront6targetE0EEEvT1_.kd
    .uniform_work_group_size: 1
    .uses_dynamic_stack: false
    .vgpr_count:     0
    .vgpr_spill_count: 0
    .wavefront_size: 32
    .workgroup_processor_mode: 1
  - .args:
      - .offset:         0
        .size:           120
        .value_kind:     by_value
    .group_segment_fixed_size: 0
    .kernarg_segment_align: 8
    .kernarg_segment_size: 120
    .language:       OpenCL C
    .language_version:
      - 2
      - 0
    .max_flat_workgroup_size: 256
    .name:           _ZN7rocprim17ROCPRIM_400000_NS6detail17trampoline_kernelINS0_14default_configENS1_25partition_config_selectorILNS1_17partition_subalgoE8ElNS0_10empty_typeEbEEZZNS1_14partition_implILS5_8ELb0ES3_jPlPS6_PKS6_NS0_5tupleIJS9_S6_EEENSD_IJSA_SA_EEENS0_18inequality_wrapperIZN2at6native12_GLOBAL__N_124unique_dim_cuda_templateIaEESt5tupleIJNSH_6TensorESM_SM_EERKSM_lbbbEUlllE0_EEPmJS6_EEE10hipError_tPvRmT3_T4_T5_T6_T7_T9_mT8_P12ihipStream_tbDpT10_ENKUlT_T0_E_clISt17integral_constantIbLb0EES1C_EEDaS17_S18_EUlS17_E_NS1_11comp_targetILNS1_3genE2ELNS1_11target_archE906ELNS1_3gpuE6ELNS1_3repE0EEENS1_30default_config_static_selectorELNS0_4arch9wavefront6targetE0EEEvT1_
    .private_segment_fixed_size: 0
    .sgpr_count:     0
    .sgpr_spill_count: 0
    .symbol:         _ZN7rocprim17ROCPRIM_400000_NS6detail17trampoline_kernelINS0_14default_configENS1_25partition_config_selectorILNS1_17partition_subalgoE8ElNS0_10empty_typeEbEEZZNS1_14partition_implILS5_8ELb0ES3_jPlPS6_PKS6_NS0_5tupleIJS9_S6_EEENSD_IJSA_SA_EEENS0_18inequality_wrapperIZN2at6native12_GLOBAL__N_124unique_dim_cuda_templateIaEESt5tupleIJNSH_6TensorESM_SM_EERKSM_lbbbEUlllE0_EEPmJS6_EEE10hipError_tPvRmT3_T4_T5_T6_T7_T9_mT8_P12ihipStream_tbDpT10_ENKUlT_T0_E_clISt17integral_constantIbLb0EES1C_EEDaS17_S18_EUlS17_E_NS1_11comp_targetILNS1_3genE2ELNS1_11target_archE906ELNS1_3gpuE6ELNS1_3repE0EEENS1_30default_config_static_selectorELNS0_4arch9wavefront6targetE0EEEvT1_.kd
    .uniform_work_group_size: 1
    .uses_dynamic_stack: false
    .vgpr_count:     0
    .vgpr_spill_count: 0
    .wavefront_size: 32
    .workgroup_processor_mode: 1
  - .args:
      - .offset:         0
        .size:           120
        .value_kind:     by_value
    .group_segment_fixed_size: 0
    .kernarg_segment_align: 8
    .kernarg_segment_size: 120
    .language:       OpenCL C
    .language_version:
      - 2
      - 0
    .max_flat_workgroup_size: 384
    .name:           _ZN7rocprim17ROCPRIM_400000_NS6detail17trampoline_kernelINS0_14default_configENS1_25partition_config_selectorILNS1_17partition_subalgoE8ElNS0_10empty_typeEbEEZZNS1_14partition_implILS5_8ELb0ES3_jPlPS6_PKS6_NS0_5tupleIJS9_S6_EEENSD_IJSA_SA_EEENS0_18inequality_wrapperIZN2at6native12_GLOBAL__N_124unique_dim_cuda_templateIaEESt5tupleIJNSH_6TensorESM_SM_EERKSM_lbbbEUlllE0_EEPmJS6_EEE10hipError_tPvRmT3_T4_T5_T6_T7_T9_mT8_P12ihipStream_tbDpT10_ENKUlT_T0_E_clISt17integral_constantIbLb0EES1C_EEDaS17_S18_EUlS17_E_NS1_11comp_targetILNS1_3genE10ELNS1_11target_archE1200ELNS1_3gpuE4ELNS1_3repE0EEENS1_30default_config_static_selectorELNS0_4arch9wavefront6targetE0EEEvT1_
    .private_segment_fixed_size: 0
    .sgpr_count:     0
    .sgpr_spill_count: 0
    .symbol:         _ZN7rocprim17ROCPRIM_400000_NS6detail17trampoline_kernelINS0_14default_configENS1_25partition_config_selectorILNS1_17partition_subalgoE8ElNS0_10empty_typeEbEEZZNS1_14partition_implILS5_8ELb0ES3_jPlPS6_PKS6_NS0_5tupleIJS9_S6_EEENSD_IJSA_SA_EEENS0_18inequality_wrapperIZN2at6native12_GLOBAL__N_124unique_dim_cuda_templateIaEESt5tupleIJNSH_6TensorESM_SM_EERKSM_lbbbEUlllE0_EEPmJS6_EEE10hipError_tPvRmT3_T4_T5_T6_T7_T9_mT8_P12ihipStream_tbDpT10_ENKUlT_T0_E_clISt17integral_constantIbLb0EES1C_EEDaS17_S18_EUlS17_E_NS1_11comp_targetILNS1_3genE10ELNS1_11target_archE1200ELNS1_3gpuE4ELNS1_3repE0EEENS1_30default_config_static_selectorELNS0_4arch9wavefront6targetE0EEEvT1_.kd
    .uniform_work_group_size: 1
    .uses_dynamic_stack: false
    .vgpr_count:     0
    .vgpr_spill_count: 0
    .wavefront_size: 32
    .workgroup_processor_mode: 1
  - .args:
      - .offset:         0
        .size:           120
        .value_kind:     by_value
    .group_segment_fixed_size: 33804
    .kernarg_segment_align: 8
    .kernarg_segment_size: 120
    .language:       OpenCL C
    .language_version:
      - 2
      - 0
    .max_flat_workgroup_size: 512
    .name:           _ZN7rocprim17ROCPRIM_400000_NS6detail17trampoline_kernelINS0_14default_configENS1_25partition_config_selectorILNS1_17partition_subalgoE8ElNS0_10empty_typeEbEEZZNS1_14partition_implILS5_8ELb0ES3_jPlPS6_PKS6_NS0_5tupleIJS9_S6_EEENSD_IJSA_SA_EEENS0_18inequality_wrapperIZN2at6native12_GLOBAL__N_124unique_dim_cuda_templateIaEESt5tupleIJNSH_6TensorESM_SM_EERKSM_lbbbEUlllE0_EEPmJS6_EEE10hipError_tPvRmT3_T4_T5_T6_T7_T9_mT8_P12ihipStream_tbDpT10_ENKUlT_T0_E_clISt17integral_constantIbLb0EES1C_EEDaS17_S18_EUlS17_E_NS1_11comp_targetILNS1_3genE9ELNS1_11target_archE1100ELNS1_3gpuE3ELNS1_3repE0EEENS1_30default_config_static_selectorELNS0_4arch9wavefront6targetE0EEEvT1_
    .private_segment_fixed_size: 0
    .sgpr_count:     38
    .sgpr_spill_count: 0
    .symbol:         _ZN7rocprim17ROCPRIM_400000_NS6detail17trampoline_kernelINS0_14default_configENS1_25partition_config_selectorILNS1_17partition_subalgoE8ElNS0_10empty_typeEbEEZZNS1_14partition_implILS5_8ELb0ES3_jPlPS6_PKS6_NS0_5tupleIJS9_S6_EEENSD_IJSA_SA_EEENS0_18inequality_wrapperIZN2at6native12_GLOBAL__N_124unique_dim_cuda_templateIaEESt5tupleIJNSH_6TensorESM_SM_EERKSM_lbbbEUlllE0_EEPmJS6_EEE10hipError_tPvRmT3_T4_T5_T6_T7_T9_mT8_P12ihipStream_tbDpT10_ENKUlT_T0_E_clISt17integral_constantIbLb0EES1C_EEDaS17_S18_EUlS17_E_NS1_11comp_targetILNS1_3genE9ELNS1_11target_archE1100ELNS1_3gpuE3ELNS1_3repE0EEENS1_30default_config_static_selectorELNS0_4arch9wavefront6targetE0EEEvT1_.kd
    .uniform_work_group_size: 1
    .uses_dynamic_stack: false
    .vgpr_count:     52
    .vgpr_spill_count: 0
    .wavefront_size: 32
    .workgroup_processor_mode: 1
  - .args:
      - .offset:         0
        .size:           120
        .value_kind:     by_value
    .group_segment_fixed_size: 0
    .kernarg_segment_align: 8
    .kernarg_segment_size: 120
    .language:       OpenCL C
    .language_version:
      - 2
      - 0
    .max_flat_workgroup_size: 512
    .name:           _ZN7rocprim17ROCPRIM_400000_NS6detail17trampoline_kernelINS0_14default_configENS1_25partition_config_selectorILNS1_17partition_subalgoE8ElNS0_10empty_typeEbEEZZNS1_14partition_implILS5_8ELb0ES3_jPlPS6_PKS6_NS0_5tupleIJS9_S6_EEENSD_IJSA_SA_EEENS0_18inequality_wrapperIZN2at6native12_GLOBAL__N_124unique_dim_cuda_templateIaEESt5tupleIJNSH_6TensorESM_SM_EERKSM_lbbbEUlllE0_EEPmJS6_EEE10hipError_tPvRmT3_T4_T5_T6_T7_T9_mT8_P12ihipStream_tbDpT10_ENKUlT_T0_E_clISt17integral_constantIbLb0EES1C_EEDaS17_S18_EUlS17_E_NS1_11comp_targetILNS1_3genE8ELNS1_11target_archE1030ELNS1_3gpuE2ELNS1_3repE0EEENS1_30default_config_static_selectorELNS0_4arch9wavefront6targetE0EEEvT1_
    .private_segment_fixed_size: 0
    .sgpr_count:     0
    .sgpr_spill_count: 0
    .symbol:         _ZN7rocprim17ROCPRIM_400000_NS6detail17trampoline_kernelINS0_14default_configENS1_25partition_config_selectorILNS1_17partition_subalgoE8ElNS0_10empty_typeEbEEZZNS1_14partition_implILS5_8ELb0ES3_jPlPS6_PKS6_NS0_5tupleIJS9_S6_EEENSD_IJSA_SA_EEENS0_18inequality_wrapperIZN2at6native12_GLOBAL__N_124unique_dim_cuda_templateIaEESt5tupleIJNSH_6TensorESM_SM_EERKSM_lbbbEUlllE0_EEPmJS6_EEE10hipError_tPvRmT3_T4_T5_T6_T7_T9_mT8_P12ihipStream_tbDpT10_ENKUlT_T0_E_clISt17integral_constantIbLb0EES1C_EEDaS17_S18_EUlS17_E_NS1_11comp_targetILNS1_3genE8ELNS1_11target_archE1030ELNS1_3gpuE2ELNS1_3repE0EEENS1_30default_config_static_selectorELNS0_4arch9wavefront6targetE0EEEvT1_.kd
    .uniform_work_group_size: 1
    .uses_dynamic_stack: false
    .vgpr_count:     0
    .vgpr_spill_count: 0
    .wavefront_size: 32
    .workgroup_processor_mode: 1
  - .args:
      - .offset:         0
        .size:           136
        .value_kind:     by_value
    .group_segment_fixed_size: 0
    .kernarg_segment_align: 8
    .kernarg_segment_size: 136
    .language:       OpenCL C
    .language_version:
      - 2
      - 0
    .max_flat_workgroup_size: 512
    .name:           _ZN7rocprim17ROCPRIM_400000_NS6detail17trampoline_kernelINS0_14default_configENS1_25partition_config_selectorILNS1_17partition_subalgoE8ElNS0_10empty_typeEbEEZZNS1_14partition_implILS5_8ELb0ES3_jPlPS6_PKS6_NS0_5tupleIJS9_S6_EEENSD_IJSA_SA_EEENS0_18inequality_wrapperIZN2at6native12_GLOBAL__N_124unique_dim_cuda_templateIaEESt5tupleIJNSH_6TensorESM_SM_EERKSM_lbbbEUlllE0_EEPmJS6_EEE10hipError_tPvRmT3_T4_T5_T6_T7_T9_mT8_P12ihipStream_tbDpT10_ENKUlT_T0_E_clISt17integral_constantIbLb1EES1C_EEDaS17_S18_EUlS17_E_NS1_11comp_targetILNS1_3genE0ELNS1_11target_archE4294967295ELNS1_3gpuE0ELNS1_3repE0EEENS1_30default_config_static_selectorELNS0_4arch9wavefront6targetE0EEEvT1_
    .private_segment_fixed_size: 0
    .sgpr_count:     0
    .sgpr_spill_count: 0
    .symbol:         _ZN7rocprim17ROCPRIM_400000_NS6detail17trampoline_kernelINS0_14default_configENS1_25partition_config_selectorILNS1_17partition_subalgoE8ElNS0_10empty_typeEbEEZZNS1_14partition_implILS5_8ELb0ES3_jPlPS6_PKS6_NS0_5tupleIJS9_S6_EEENSD_IJSA_SA_EEENS0_18inequality_wrapperIZN2at6native12_GLOBAL__N_124unique_dim_cuda_templateIaEESt5tupleIJNSH_6TensorESM_SM_EERKSM_lbbbEUlllE0_EEPmJS6_EEE10hipError_tPvRmT3_T4_T5_T6_T7_T9_mT8_P12ihipStream_tbDpT10_ENKUlT_T0_E_clISt17integral_constantIbLb1EES1C_EEDaS17_S18_EUlS17_E_NS1_11comp_targetILNS1_3genE0ELNS1_11target_archE4294967295ELNS1_3gpuE0ELNS1_3repE0EEENS1_30default_config_static_selectorELNS0_4arch9wavefront6targetE0EEEvT1_.kd
    .uniform_work_group_size: 1
    .uses_dynamic_stack: false
    .vgpr_count:     0
    .vgpr_spill_count: 0
    .wavefront_size: 32
    .workgroup_processor_mode: 1
  - .args:
      - .offset:         0
        .size:           136
        .value_kind:     by_value
    .group_segment_fixed_size: 0
    .kernarg_segment_align: 8
    .kernarg_segment_size: 136
    .language:       OpenCL C
    .language_version:
      - 2
      - 0
    .max_flat_workgroup_size: 512
    .name:           _ZN7rocprim17ROCPRIM_400000_NS6detail17trampoline_kernelINS0_14default_configENS1_25partition_config_selectorILNS1_17partition_subalgoE8ElNS0_10empty_typeEbEEZZNS1_14partition_implILS5_8ELb0ES3_jPlPS6_PKS6_NS0_5tupleIJS9_S6_EEENSD_IJSA_SA_EEENS0_18inequality_wrapperIZN2at6native12_GLOBAL__N_124unique_dim_cuda_templateIaEESt5tupleIJNSH_6TensorESM_SM_EERKSM_lbbbEUlllE0_EEPmJS6_EEE10hipError_tPvRmT3_T4_T5_T6_T7_T9_mT8_P12ihipStream_tbDpT10_ENKUlT_T0_E_clISt17integral_constantIbLb1EES1C_EEDaS17_S18_EUlS17_E_NS1_11comp_targetILNS1_3genE5ELNS1_11target_archE942ELNS1_3gpuE9ELNS1_3repE0EEENS1_30default_config_static_selectorELNS0_4arch9wavefront6targetE0EEEvT1_
    .private_segment_fixed_size: 0
    .sgpr_count:     0
    .sgpr_spill_count: 0
    .symbol:         _ZN7rocprim17ROCPRIM_400000_NS6detail17trampoline_kernelINS0_14default_configENS1_25partition_config_selectorILNS1_17partition_subalgoE8ElNS0_10empty_typeEbEEZZNS1_14partition_implILS5_8ELb0ES3_jPlPS6_PKS6_NS0_5tupleIJS9_S6_EEENSD_IJSA_SA_EEENS0_18inequality_wrapperIZN2at6native12_GLOBAL__N_124unique_dim_cuda_templateIaEESt5tupleIJNSH_6TensorESM_SM_EERKSM_lbbbEUlllE0_EEPmJS6_EEE10hipError_tPvRmT3_T4_T5_T6_T7_T9_mT8_P12ihipStream_tbDpT10_ENKUlT_T0_E_clISt17integral_constantIbLb1EES1C_EEDaS17_S18_EUlS17_E_NS1_11comp_targetILNS1_3genE5ELNS1_11target_archE942ELNS1_3gpuE9ELNS1_3repE0EEENS1_30default_config_static_selectorELNS0_4arch9wavefront6targetE0EEEvT1_.kd
    .uniform_work_group_size: 1
    .uses_dynamic_stack: false
    .vgpr_count:     0
    .vgpr_spill_count: 0
    .wavefront_size: 32
    .workgroup_processor_mode: 1
  - .args:
      - .offset:         0
        .size:           136
        .value_kind:     by_value
    .group_segment_fixed_size: 0
    .kernarg_segment_align: 8
    .kernarg_segment_size: 136
    .language:       OpenCL C
    .language_version:
      - 2
      - 0
    .max_flat_workgroup_size: 256
    .name:           _ZN7rocprim17ROCPRIM_400000_NS6detail17trampoline_kernelINS0_14default_configENS1_25partition_config_selectorILNS1_17partition_subalgoE8ElNS0_10empty_typeEbEEZZNS1_14partition_implILS5_8ELb0ES3_jPlPS6_PKS6_NS0_5tupleIJS9_S6_EEENSD_IJSA_SA_EEENS0_18inequality_wrapperIZN2at6native12_GLOBAL__N_124unique_dim_cuda_templateIaEESt5tupleIJNSH_6TensorESM_SM_EERKSM_lbbbEUlllE0_EEPmJS6_EEE10hipError_tPvRmT3_T4_T5_T6_T7_T9_mT8_P12ihipStream_tbDpT10_ENKUlT_T0_E_clISt17integral_constantIbLb1EES1C_EEDaS17_S18_EUlS17_E_NS1_11comp_targetILNS1_3genE4ELNS1_11target_archE910ELNS1_3gpuE8ELNS1_3repE0EEENS1_30default_config_static_selectorELNS0_4arch9wavefront6targetE0EEEvT1_
    .private_segment_fixed_size: 0
    .sgpr_count:     0
    .sgpr_spill_count: 0
    .symbol:         _ZN7rocprim17ROCPRIM_400000_NS6detail17trampoline_kernelINS0_14default_configENS1_25partition_config_selectorILNS1_17partition_subalgoE8ElNS0_10empty_typeEbEEZZNS1_14partition_implILS5_8ELb0ES3_jPlPS6_PKS6_NS0_5tupleIJS9_S6_EEENSD_IJSA_SA_EEENS0_18inequality_wrapperIZN2at6native12_GLOBAL__N_124unique_dim_cuda_templateIaEESt5tupleIJNSH_6TensorESM_SM_EERKSM_lbbbEUlllE0_EEPmJS6_EEE10hipError_tPvRmT3_T4_T5_T6_T7_T9_mT8_P12ihipStream_tbDpT10_ENKUlT_T0_E_clISt17integral_constantIbLb1EES1C_EEDaS17_S18_EUlS17_E_NS1_11comp_targetILNS1_3genE4ELNS1_11target_archE910ELNS1_3gpuE8ELNS1_3repE0EEENS1_30default_config_static_selectorELNS0_4arch9wavefront6targetE0EEEvT1_.kd
    .uniform_work_group_size: 1
    .uses_dynamic_stack: false
    .vgpr_count:     0
    .vgpr_spill_count: 0
    .wavefront_size: 32
    .workgroup_processor_mode: 1
  - .args:
      - .offset:         0
        .size:           136
        .value_kind:     by_value
    .group_segment_fixed_size: 0
    .kernarg_segment_align: 8
    .kernarg_segment_size: 136
    .language:       OpenCL C
    .language_version:
      - 2
      - 0
    .max_flat_workgroup_size: 512
    .name:           _ZN7rocprim17ROCPRIM_400000_NS6detail17trampoline_kernelINS0_14default_configENS1_25partition_config_selectorILNS1_17partition_subalgoE8ElNS0_10empty_typeEbEEZZNS1_14partition_implILS5_8ELb0ES3_jPlPS6_PKS6_NS0_5tupleIJS9_S6_EEENSD_IJSA_SA_EEENS0_18inequality_wrapperIZN2at6native12_GLOBAL__N_124unique_dim_cuda_templateIaEESt5tupleIJNSH_6TensorESM_SM_EERKSM_lbbbEUlllE0_EEPmJS6_EEE10hipError_tPvRmT3_T4_T5_T6_T7_T9_mT8_P12ihipStream_tbDpT10_ENKUlT_T0_E_clISt17integral_constantIbLb1EES1C_EEDaS17_S18_EUlS17_E_NS1_11comp_targetILNS1_3genE3ELNS1_11target_archE908ELNS1_3gpuE7ELNS1_3repE0EEENS1_30default_config_static_selectorELNS0_4arch9wavefront6targetE0EEEvT1_
    .private_segment_fixed_size: 0
    .sgpr_count:     0
    .sgpr_spill_count: 0
    .symbol:         _ZN7rocprim17ROCPRIM_400000_NS6detail17trampoline_kernelINS0_14default_configENS1_25partition_config_selectorILNS1_17partition_subalgoE8ElNS0_10empty_typeEbEEZZNS1_14partition_implILS5_8ELb0ES3_jPlPS6_PKS6_NS0_5tupleIJS9_S6_EEENSD_IJSA_SA_EEENS0_18inequality_wrapperIZN2at6native12_GLOBAL__N_124unique_dim_cuda_templateIaEESt5tupleIJNSH_6TensorESM_SM_EERKSM_lbbbEUlllE0_EEPmJS6_EEE10hipError_tPvRmT3_T4_T5_T6_T7_T9_mT8_P12ihipStream_tbDpT10_ENKUlT_T0_E_clISt17integral_constantIbLb1EES1C_EEDaS17_S18_EUlS17_E_NS1_11comp_targetILNS1_3genE3ELNS1_11target_archE908ELNS1_3gpuE7ELNS1_3repE0EEENS1_30default_config_static_selectorELNS0_4arch9wavefront6targetE0EEEvT1_.kd
    .uniform_work_group_size: 1
    .uses_dynamic_stack: false
    .vgpr_count:     0
    .vgpr_spill_count: 0
    .wavefront_size: 32
    .workgroup_processor_mode: 1
  - .args:
      - .offset:         0
        .size:           136
        .value_kind:     by_value
    .group_segment_fixed_size: 0
    .kernarg_segment_align: 8
    .kernarg_segment_size: 136
    .language:       OpenCL C
    .language_version:
      - 2
      - 0
    .max_flat_workgroup_size: 256
    .name:           _ZN7rocprim17ROCPRIM_400000_NS6detail17trampoline_kernelINS0_14default_configENS1_25partition_config_selectorILNS1_17partition_subalgoE8ElNS0_10empty_typeEbEEZZNS1_14partition_implILS5_8ELb0ES3_jPlPS6_PKS6_NS0_5tupleIJS9_S6_EEENSD_IJSA_SA_EEENS0_18inequality_wrapperIZN2at6native12_GLOBAL__N_124unique_dim_cuda_templateIaEESt5tupleIJNSH_6TensorESM_SM_EERKSM_lbbbEUlllE0_EEPmJS6_EEE10hipError_tPvRmT3_T4_T5_T6_T7_T9_mT8_P12ihipStream_tbDpT10_ENKUlT_T0_E_clISt17integral_constantIbLb1EES1C_EEDaS17_S18_EUlS17_E_NS1_11comp_targetILNS1_3genE2ELNS1_11target_archE906ELNS1_3gpuE6ELNS1_3repE0EEENS1_30default_config_static_selectorELNS0_4arch9wavefront6targetE0EEEvT1_
    .private_segment_fixed_size: 0
    .sgpr_count:     0
    .sgpr_spill_count: 0
    .symbol:         _ZN7rocprim17ROCPRIM_400000_NS6detail17trampoline_kernelINS0_14default_configENS1_25partition_config_selectorILNS1_17partition_subalgoE8ElNS0_10empty_typeEbEEZZNS1_14partition_implILS5_8ELb0ES3_jPlPS6_PKS6_NS0_5tupleIJS9_S6_EEENSD_IJSA_SA_EEENS0_18inequality_wrapperIZN2at6native12_GLOBAL__N_124unique_dim_cuda_templateIaEESt5tupleIJNSH_6TensorESM_SM_EERKSM_lbbbEUlllE0_EEPmJS6_EEE10hipError_tPvRmT3_T4_T5_T6_T7_T9_mT8_P12ihipStream_tbDpT10_ENKUlT_T0_E_clISt17integral_constantIbLb1EES1C_EEDaS17_S18_EUlS17_E_NS1_11comp_targetILNS1_3genE2ELNS1_11target_archE906ELNS1_3gpuE6ELNS1_3repE0EEENS1_30default_config_static_selectorELNS0_4arch9wavefront6targetE0EEEvT1_.kd
    .uniform_work_group_size: 1
    .uses_dynamic_stack: false
    .vgpr_count:     0
    .vgpr_spill_count: 0
    .wavefront_size: 32
    .workgroup_processor_mode: 1
  - .args:
      - .offset:         0
        .size:           136
        .value_kind:     by_value
    .group_segment_fixed_size: 0
    .kernarg_segment_align: 8
    .kernarg_segment_size: 136
    .language:       OpenCL C
    .language_version:
      - 2
      - 0
    .max_flat_workgroup_size: 384
    .name:           _ZN7rocprim17ROCPRIM_400000_NS6detail17trampoline_kernelINS0_14default_configENS1_25partition_config_selectorILNS1_17partition_subalgoE8ElNS0_10empty_typeEbEEZZNS1_14partition_implILS5_8ELb0ES3_jPlPS6_PKS6_NS0_5tupleIJS9_S6_EEENSD_IJSA_SA_EEENS0_18inequality_wrapperIZN2at6native12_GLOBAL__N_124unique_dim_cuda_templateIaEESt5tupleIJNSH_6TensorESM_SM_EERKSM_lbbbEUlllE0_EEPmJS6_EEE10hipError_tPvRmT3_T4_T5_T6_T7_T9_mT8_P12ihipStream_tbDpT10_ENKUlT_T0_E_clISt17integral_constantIbLb1EES1C_EEDaS17_S18_EUlS17_E_NS1_11comp_targetILNS1_3genE10ELNS1_11target_archE1200ELNS1_3gpuE4ELNS1_3repE0EEENS1_30default_config_static_selectorELNS0_4arch9wavefront6targetE0EEEvT1_
    .private_segment_fixed_size: 0
    .sgpr_count:     0
    .sgpr_spill_count: 0
    .symbol:         _ZN7rocprim17ROCPRIM_400000_NS6detail17trampoline_kernelINS0_14default_configENS1_25partition_config_selectorILNS1_17partition_subalgoE8ElNS0_10empty_typeEbEEZZNS1_14partition_implILS5_8ELb0ES3_jPlPS6_PKS6_NS0_5tupleIJS9_S6_EEENSD_IJSA_SA_EEENS0_18inequality_wrapperIZN2at6native12_GLOBAL__N_124unique_dim_cuda_templateIaEESt5tupleIJNSH_6TensorESM_SM_EERKSM_lbbbEUlllE0_EEPmJS6_EEE10hipError_tPvRmT3_T4_T5_T6_T7_T9_mT8_P12ihipStream_tbDpT10_ENKUlT_T0_E_clISt17integral_constantIbLb1EES1C_EEDaS17_S18_EUlS17_E_NS1_11comp_targetILNS1_3genE10ELNS1_11target_archE1200ELNS1_3gpuE4ELNS1_3repE0EEENS1_30default_config_static_selectorELNS0_4arch9wavefront6targetE0EEEvT1_.kd
    .uniform_work_group_size: 1
    .uses_dynamic_stack: false
    .vgpr_count:     0
    .vgpr_spill_count: 0
    .wavefront_size: 32
    .workgroup_processor_mode: 1
  - .args:
      - .offset:         0
        .size:           136
        .value_kind:     by_value
    .group_segment_fixed_size: 33804
    .kernarg_segment_align: 8
    .kernarg_segment_size: 136
    .language:       OpenCL C
    .language_version:
      - 2
      - 0
    .max_flat_workgroup_size: 512
    .name:           _ZN7rocprim17ROCPRIM_400000_NS6detail17trampoline_kernelINS0_14default_configENS1_25partition_config_selectorILNS1_17partition_subalgoE8ElNS0_10empty_typeEbEEZZNS1_14partition_implILS5_8ELb0ES3_jPlPS6_PKS6_NS0_5tupleIJS9_S6_EEENSD_IJSA_SA_EEENS0_18inequality_wrapperIZN2at6native12_GLOBAL__N_124unique_dim_cuda_templateIaEESt5tupleIJNSH_6TensorESM_SM_EERKSM_lbbbEUlllE0_EEPmJS6_EEE10hipError_tPvRmT3_T4_T5_T6_T7_T9_mT8_P12ihipStream_tbDpT10_ENKUlT_T0_E_clISt17integral_constantIbLb1EES1C_EEDaS17_S18_EUlS17_E_NS1_11comp_targetILNS1_3genE9ELNS1_11target_archE1100ELNS1_3gpuE3ELNS1_3repE0EEENS1_30default_config_static_selectorELNS0_4arch9wavefront6targetE0EEEvT1_
    .private_segment_fixed_size: 0
    .sgpr_count:     40
    .sgpr_spill_count: 0
    .symbol:         _ZN7rocprim17ROCPRIM_400000_NS6detail17trampoline_kernelINS0_14default_configENS1_25partition_config_selectorILNS1_17partition_subalgoE8ElNS0_10empty_typeEbEEZZNS1_14partition_implILS5_8ELb0ES3_jPlPS6_PKS6_NS0_5tupleIJS9_S6_EEENSD_IJSA_SA_EEENS0_18inequality_wrapperIZN2at6native12_GLOBAL__N_124unique_dim_cuda_templateIaEESt5tupleIJNSH_6TensorESM_SM_EERKSM_lbbbEUlllE0_EEPmJS6_EEE10hipError_tPvRmT3_T4_T5_T6_T7_T9_mT8_P12ihipStream_tbDpT10_ENKUlT_T0_E_clISt17integral_constantIbLb1EES1C_EEDaS17_S18_EUlS17_E_NS1_11comp_targetILNS1_3genE9ELNS1_11target_archE1100ELNS1_3gpuE3ELNS1_3repE0EEENS1_30default_config_static_selectorELNS0_4arch9wavefront6targetE0EEEvT1_.kd
    .uniform_work_group_size: 1
    .uses_dynamic_stack: false
    .vgpr_count:     52
    .vgpr_spill_count: 0
    .wavefront_size: 32
    .workgroup_processor_mode: 1
  - .args:
      - .offset:         0
        .size:           136
        .value_kind:     by_value
    .group_segment_fixed_size: 0
    .kernarg_segment_align: 8
    .kernarg_segment_size: 136
    .language:       OpenCL C
    .language_version:
      - 2
      - 0
    .max_flat_workgroup_size: 512
    .name:           _ZN7rocprim17ROCPRIM_400000_NS6detail17trampoline_kernelINS0_14default_configENS1_25partition_config_selectorILNS1_17partition_subalgoE8ElNS0_10empty_typeEbEEZZNS1_14partition_implILS5_8ELb0ES3_jPlPS6_PKS6_NS0_5tupleIJS9_S6_EEENSD_IJSA_SA_EEENS0_18inequality_wrapperIZN2at6native12_GLOBAL__N_124unique_dim_cuda_templateIaEESt5tupleIJNSH_6TensorESM_SM_EERKSM_lbbbEUlllE0_EEPmJS6_EEE10hipError_tPvRmT3_T4_T5_T6_T7_T9_mT8_P12ihipStream_tbDpT10_ENKUlT_T0_E_clISt17integral_constantIbLb1EES1C_EEDaS17_S18_EUlS17_E_NS1_11comp_targetILNS1_3genE8ELNS1_11target_archE1030ELNS1_3gpuE2ELNS1_3repE0EEENS1_30default_config_static_selectorELNS0_4arch9wavefront6targetE0EEEvT1_
    .private_segment_fixed_size: 0
    .sgpr_count:     0
    .sgpr_spill_count: 0
    .symbol:         _ZN7rocprim17ROCPRIM_400000_NS6detail17trampoline_kernelINS0_14default_configENS1_25partition_config_selectorILNS1_17partition_subalgoE8ElNS0_10empty_typeEbEEZZNS1_14partition_implILS5_8ELb0ES3_jPlPS6_PKS6_NS0_5tupleIJS9_S6_EEENSD_IJSA_SA_EEENS0_18inequality_wrapperIZN2at6native12_GLOBAL__N_124unique_dim_cuda_templateIaEESt5tupleIJNSH_6TensorESM_SM_EERKSM_lbbbEUlllE0_EEPmJS6_EEE10hipError_tPvRmT3_T4_T5_T6_T7_T9_mT8_P12ihipStream_tbDpT10_ENKUlT_T0_E_clISt17integral_constantIbLb1EES1C_EEDaS17_S18_EUlS17_E_NS1_11comp_targetILNS1_3genE8ELNS1_11target_archE1030ELNS1_3gpuE2ELNS1_3repE0EEENS1_30default_config_static_selectorELNS0_4arch9wavefront6targetE0EEEvT1_.kd
    .uniform_work_group_size: 1
    .uses_dynamic_stack: false
    .vgpr_count:     0
    .vgpr_spill_count: 0
    .wavefront_size: 32
    .workgroup_processor_mode: 1
  - .args:
      - .offset:         0
        .size:           120
        .value_kind:     by_value
    .group_segment_fixed_size: 0
    .kernarg_segment_align: 8
    .kernarg_segment_size: 120
    .language:       OpenCL C
    .language_version:
      - 2
      - 0
    .max_flat_workgroup_size: 512
    .name:           _ZN7rocprim17ROCPRIM_400000_NS6detail17trampoline_kernelINS0_14default_configENS1_25partition_config_selectorILNS1_17partition_subalgoE8ElNS0_10empty_typeEbEEZZNS1_14partition_implILS5_8ELb0ES3_jPlPS6_PKS6_NS0_5tupleIJS9_S6_EEENSD_IJSA_SA_EEENS0_18inequality_wrapperIZN2at6native12_GLOBAL__N_124unique_dim_cuda_templateIaEESt5tupleIJNSH_6TensorESM_SM_EERKSM_lbbbEUlllE0_EEPmJS6_EEE10hipError_tPvRmT3_T4_T5_T6_T7_T9_mT8_P12ihipStream_tbDpT10_ENKUlT_T0_E_clISt17integral_constantIbLb1EES1B_IbLb0EEEEDaS17_S18_EUlS17_E_NS1_11comp_targetILNS1_3genE0ELNS1_11target_archE4294967295ELNS1_3gpuE0ELNS1_3repE0EEENS1_30default_config_static_selectorELNS0_4arch9wavefront6targetE0EEEvT1_
    .private_segment_fixed_size: 0
    .sgpr_count:     0
    .sgpr_spill_count: 0
    .symbol:         _ZN7rocprim17ROCPRIM_400000_NS6detail17trampoline_kernelINS0_14default_configENS1_25partition_config_selectorILNS1_17partition_subalgoE8ElNS0_10empty_typeEbEEZZNS1_14partition_implILS5_8ELb0ES3_jPlPS6_PKS6_NS0_5tupleIJS9_S6_EEENSD_IJSA_SA_EEENS0_18inequality_wrapperIZN2at6native12_GLOBAL__N_124unique_dim_cuda_templateIaEESt5tupleIJNSH_6TensorESM_SM_EERKSM_lbbbEUlllE0_EEPmJS6_EEE10hipError_tPvRmT3_T4_T5_T6_T7_T9_mT8_P12ihipStream_tbDpT10_ENKUlT_T0_E_clISt17integral_constantIbLb1EES1B_IbLb0EEEEDaS17_S18_EUlS17_E_NS1_11comp_targetILNS1_3genE0ELNS1_11target_archE4294967295ELNS1_3gpuE0ELNS1_3repE0EEENS1_30default_config_static_selectorELNS0_4arch9wavefront6targetE0EEEvT1_.kd
    .uniform_work_group_size: 1
    .uses_dynamic_stack: false
    .vgpr_count:     0
    .vgpr_spill_count: 0
    .wavefront_size: 32
    .workgroup_processor_mode: 1
  - .args:
      - .offset:         0
        .size:           120
        .value_kind:     by_value
    .group_segment_fixed_size: 0
    .kernarg_segment_align: 8
    .kernarg_segment_size: 120
    .language:       OpenCL C
    .language_version:
      - 2
      - 0
    .max_flat_workgroup_size: 512
    .name:           _ZN7rocprim17ROCPRIM_400000_NS6detail17trampoline_kernelINS0_14default_configENS1_25partition_config_selectorILNS1_17partition_subalgoE8ElNS0_10empty_typeEbEEZZNS1_14partition_implILS5_8ELb0ES3_jPlPS6_PKS6_NS0_5tupleIJS9_S6_EEENSD_IJSA_SA_EEENS0_18inequality_wrapperIZN2at6native12_GLOBAL__N_124unique_dim_cuda_templateIaEESt5tupleIJNSH_6TensorESM_SM_EERKSM_lbbbEUlllE0_EEPmJS6_EEE10hipError_tPvRmT3_T4_T5_T6_T7_T9_mT8_P12ihipStream_tbDpT10_ENKUlT_T0_E_clISt17integral_constantIbLb1EES1B_IbLb0EEEEDaS17_S18_EUlS17_E_NS1_11comp_targetILNS1_3genE5ELNS1_11target_archE942ELNS1_3gpuE9ELNS1_3repE0EEENS1_30default_config_static_selectorELNS0_4arch9wavefront6targetE0EEEvT1_
    .private_segment_fixed_size: 0
    .sgpr_count:     0
    .sgpr_spill_count: 0
    .symbol:         _ZN7rocprim17ROCPRIM_400000_NS6detail17trampoline_kernelINS0_14default_configENS1_25partition_config_selectorILNS1_17partition_subalgoE8ElNS0_10empty_typeEbEEZZNS1_14partition_implILS5_8ELb0ES3_jPlPS6_PKS6_NS0_5tupleIJS9_S6_EEENSD_IJSA_SA_EEENS0_18inequality_wrapperIZN2at6native12_GLOBAL__N_124unique_dim_cuda_templateIaEESt5tupleIJNSH_6TensorESM_SM_EERKSM_lbbbEUlllE0_EEPmJS6_EEE10hipError_tPvRmT3_T4_T5_T6_T7_T9_mT8_P12ihipStream_tbDpT10_ENKUlT_T0_E_clISt17integral_constantIbLb1EES1B_IbLb0EEEEDaS17_S18_EUlS17_E_NS1_11comp_targetILNS1_3genE5ELNS1_11target_archE942ELNS1_3gpuE9ELNS1_3repE0EEENS1_30default_config_static_selectorELNS0_4arch9wavefront6targetE0EEEvT1_.kd
    .uniform_work_group_size: 1
    .uses_dynamic_stack: false
    .vgpr_count:     0
    .vgpr_spill_count: 0
    .wavefront_size: 32
    .workgroup_processor_mode: 1
  - .args:
      - .offset:         0
        .size:           120
        .value_kind:     by_value
    .group_segment_fixed_size: 0
    .kernarg_segment_align: 8
    .kernarg_segment_size: 120
    .language:       OpenCL C
    .language_version:
      - 2
      - 0
    .max_flat_workgroup_size: 256
    .name:           _ZN7rocprim17ROCPRIM_400000_NS6detail17trampoline_kernelINS0_14default_configENS1_25partition_config_selectorILNS1_17partition_subalgoE8ElNS0_10empty_typeEbEEZZNS1_14partition_implILS5_8ELb0ES3_jPlPS6_PKS6_NS0_5tupleIJS9_S6_EEENSD_IJSA_SA_EEENS0_18inequality_wrapperIZN2at6native12_GLOBAL__N_124unique_dim_cuda_templateIaEESt5tupleIJNSH_6TensorESM_SM_EERKSM_lbbbEUlllE0_EEPmJS6_EEE10hipError_tPvRmT3_T4_T5_T6_T7_T9_mT8_P12ihipStream_tbDpT10_ENKUlT_T0_E_clISt17integral_constantIbLb1EES1B_IbLb0EEEEDaS17_S18_EUlS17_E_NS1_11comp_targetILNS1_3genE4ELNS1_11target_archE910ELNS1_3gpuE8ELNS1_3repE0EEENS1_30default_config_static_selectorELNS0_4arch9wavefront6targetE0EEEvT1_
    .private_segment_fixed_size: 0
    .sgpr_count:     0
    .sgpr_spill_count: 0
    .symbol:         _ZN7rocprim17ROCPRIM_400000_NS6detail17trampoline_kernelINS0_14default_configENS1_25partition_config_selectorILNS1_17partition_subalgoE8ElNS0_10empty_typeEbEEZZNS1_14partition_implILS5_8ELb0ES3_jPlPS6_PKS6_NS0_5tupleIJS9_S6_EEENSD_IJSA_SA_EEENS0_18inequality_wrapperIZN2at6native12_GLOBAL__N_124unique_dim_cuda_templateIaEESt5tupleIJNSH_6TensorESM_SM_EERKSM_lbbbEUlllE0_EEPmJS6_EEE10hipError_tPvRmT3_T4_T5_T6_T7_T9_mT8_P12ihipStream_tbDpT10_ENKUlT_T0_E_clISt17integral_constantIbLb1EES1B_IbLb0EEEEDaS17_S18_EUlS17_E_NS1_11comp_targetILNS1_3genE4ELNS1_11target_archE910ELNS1_3gpuE8ELNS1_3repE0EEENS1_30default_config_static_selectorELNS0_4arch9wavefront6targetE0EEEvT1_.kd
    .uniform_work_group_size: 1
    .uses_dynamic_stack: false
    .vgpr_count:     0
    .vgpr_spill_count: 0
    .wavefront_size: 32
    .workgroup_processor_mode: 1
  - .args:
      - .offset:         0
        .size:           120
        .value_kind:     by_value
    .group_segment_fixed_size: 0
    .kernarg_segment_align: 8
    .kernarg_segment_size: 120
    .language:       OpenCL C
    .language_version:
      - 2
      - 0
    .max_flat_workgroup_size: 512
    .name:           _ZN7rocprim17ROCPRIM_400000_NS6detail17trampoline_kernelINS0_14default_configENS1_25partition_config_selectorILNS1_17partition_subalgoE8ElNS0_10empty_typeEbEEZZNS1_14partition_implILS5_8ELb0ES3_jPlPS6_PKS6_NS0_5tupleIJS9_S6_EEENSD_IJSA_SA_EEENS0_18inequality_wrapperIZN2at6native12_GLOBAL__N_124unique_dim_cuda_templateIaEESt5tupleIJNSH_6TensorESM_SM_EERKSM_lbbbEUlllE0_EEPmJS6_EEE10hipError_tPvRmT3_T4_T5_T6_T7_T9_mT8_P12ihipStream_tbDpT10_ENKUlT_T0_E_clISt17integral_constantIbLb1EES1B_IbLb0EEEEDaS17_S18_EUlS17_E_NS1_11comp_targetILNS1_3genE3ELNS1_11target_archE908ELNS1_3gpuE7ELNS1_3repE0EEENS1_30default_config_static_selectorELNS0_4arch9wavefront6targetE0EEEvT1_
    .private_segment_fixed_size: 0
    .sgpr_count:     0
    .sgpr_spill_count: 0
    .symbol:         _ZN7rocprim17ROCPRIM_400000_NS6detail17trampoline_kernelINS0_14default_configENS1_25partition_config_selectorILNS1_17partition_subalgoE8ElNS0_10empty_typeEbEEZZNS1_14partition_implILS5_8ELb0ES3_jPlPS6_PKS6_NS0_5tupleIJS9_S6_EEENSD_IJSA_SA_EEENS0_18inequality_wrapperIZN2at6native12_GLOBAL__N_124unique_dim_cuda_templateIaEESt5tupleIJNSH_6TensorESM_SM_EERKSM_lbbbEUlllE0_EEPmJS6_EEE10hipError_tPvRmT3_T4_T5_T6_T7_T9_mT8_P12ihipStream_tbDpT10_ENKUlT_T0_E_clISt17integral_constantIbLb1EES1B_IbLb0EEEEDaS17_S18_EUlS17_E_NS1_11comp_targetILNS1_3genE3ELNS1_11target_archE908ELNS1_3gpuE7ELNS1_3repE0EEENS1_30default_config_static_selectorELNS0_4arch9wavefront6targetE0EEEvT1_.kd
    .uniform_work_group_size: 1
    .uses_dynamic_stack: false
    .vgpr_count:     0
    .vgpr_spill_count: 0
    .wavefront_size: 32
    .workgroup_processor_mode: 1
  - .args:
      - .offset:         0
        .size:           120
        .value_kind:     by_value
    .group_segment_fixed_size: 0
    .kernarg_segment_align: 8
    .kernarg_segment_size: 120
    .language:       OpenCL C
    .language_version:
      - 2
      - 0
    .max_flat_workgroup_size: 256
    .name:           _ZN7rocprim17ROCPRIM_400000_NS6detail17trampoline_kernelINS0_14default_configENS1_25partition_config_selectorILNS1_17partition_subalgoE8ElNS0_10empty_typeEbEEZZNS1_14partition_implILS5_8ELb0ES3_jPlPS6_PKS6_NS0_5tupleIJS9_S6_EEENSD_IJSA_SA_EEENS0_18inequality_wrapperIZN2at6native12_GLOBAL__N_124unique_dim_cuda_templateIaEESt5tupleIJNSH_6TensorESM_SM_EERKSM_lbbbEUlllE0_EEPmJS6_EEE10hipError_tPvRmT3_T4_T5_T6_T7_T9_mT8_P12ihipStream_tbDpT10_ENKUlT_T0_E_clISt17integral_constantIbLb1EES1B_IbLb0EEEEDaS17_S18_EUlS17_E_NS1_11comp_targetILNS1_3genE2ELNS1_11target_archE906ELNS1_3gpuE6ELNS1_3repE0EEENS1_30default_config_static_selectorELNS0_4arch9wavefront6targetE0EEEvT1_
    .private_segment_fixed_size: 0
    .sgpr_count:     0
    .sgpr_spill_count: 0
    .symbol:         _ZN7rocprim17ROCPRIM_400000_NS6detail17trampoline_kernelINS0_14default_configENS1_25partition_config_selectorILNS1_17partition_subalgoE8ElNS0_10empty_typeEbEEZZNS1_14partition_implILS5_8ELb0ES3_jPlPS6_PKS6_NS0_5tupleIJS9_S6_EEENSD_IJSA_SA_EEENS0_18inequality_wrapperIZN2at6native12_GLOBAL__N_124unique_dim_cuda_templateIaEESt5tupleIJNSH_6TensorESM_SM_EERKSM_lbbbEUlllE0_EEPmJS6_EEE10hipError_tPvRmT3_T4_T5_T6_T7_T9_mT8_P12ihipStream_tbDpT10_ENKUlT_T0_E_clISt17integral_constantIbLb1EES1B_IbLb0EEEEDaS17_S18_EUlS17_E_NS1_11comp_targetILNS1_3genE2ELNS1_11target_archE906ELNS1_3gpuE6ELNS1_3repE0EEENS1_30default_config_static_selectorELNS0_4arch9wavefront6targetE0EEEvT1_.kd
    .uniform_work_group_size: 1
    .uses_dynamic_stack: false
    .vgpr_count:     0
    .vgpr_spill_count: 0
    .wavefront_size: 32
    .workgroup_processor_mode: 1
  - .args:
      - .offset:         0
        .size:           120
        .value_kind:     by_value
    .group_segment_fixed_size: 0
    .kernarg_segment_align: 8
    .kernarg_segment_size: 120
    .language:       OpenCL C
    .language_version:
      - 2
      - 0
    .max_flat_workgroup_size: 384
    .name:           _ZN7rocprim17ROCPRIM_400000_NS6detail17trampoline_kernelINS0_14default_configENS1_25partition_config_selectorILNS1_17partition_subalgoE8ElNS0_10empty_typeEbEEZZNS1_14partition_implILS5_8ELb0ES3_jPlPS6_PKS6_NS0_5tupleIJS9_S6_EEENSD_IJSA_SA_EEENS0_18inequality_wrapperIZN2at6native12_GLOBAL__N_124unique_dim_cuda_templateIaEESt5tupleIJNSH_6TensorESM_SM_EERKSM_lbbbEUlllE0_EEPmJS6_EEE10hipError_tPvRmT3_T4_T5_T6_T7_T9_mT8_P12ihipStream_tbDpT10_ENKUlT_T0_E_clISt17integral_constantIbLb1EES1B_IbLb0EEEEDaS17_S18_EUlS17_E_NS1_11comp_targetILNS1_3genE10ELNS1_11target_archE1200ELNS1_3gpuE4ELNS1_3repE0EEENS1_30default_config_static_selectorELNS0_4arch9wavefront6targetE0EEEvT1_
    .private_segment_fixed_size: 0
    .sgpr_count:     0
    .sgpr_spill_count: 0
    .symbol:         _ZN7rocprim17ROCPRIM_400000_NS6detail17trampoline_kernelINS0_14default_configENS1_25partition_config_selectorILNS1_17partition_subalgoE8ElNS0_10empty_typeEbEEZZNS1_14partition_implILS5_8ELb0ES3_jPlPS6_PKS6_NS0_5tupleIJS9_S6_EEENSD_IJSA_SA_EEENS0_18inequality_wrapperIZN2at6native12_GLOBAL__N_124unique_dim_cuda_templateIaEESt5tupleIJNSH_6TensorESM_SM_EERKSM_lbbbEUlllE0_EEPmJS6_EEE10hipError_tPvRmT3_T4_T5_T6_T7_T9_mT8_P12ihipStream_tbDpT10_ENKUlT_T0_E_clISt17integral_constantIbLb1EES1B_IbLb0EEEEDaS17_S18_EUlS17_E_NS1_11comp_targetILNS1_3genE10ELNS1_11target_archE1200ELNS1_3gpuE4ELNS1_3repE0EEENS1_30default_config_static_selectorELNS0_4arch9wavefront6targetE0EEEvT1_.kd
    .uniform_work_group_size: 1
    .uses_dynamic_stack: false
    .vgpr_count:     0
    .vgpr_spill_count: 0
    .wavefront_size: 32
    .workgroup_processor_mode: 1
  - .args:
      - .offset:         0
        .size:           120
        .value_kind:     by_value
    .group_segment_fixed_size: 33804
    .kernarg_segment_align: 8
    .kernarg_segment_size: 120
    .language:       OpenCL C
    .language_version:
      - 2
      - 0
    .max_flat_workgroup_size: 512
    .name:           _ZN7rocprim17ROCPRIM_400000_NS6detail17trampoline_kernelINS0_14default_configENS1_25partition_config_selectorILNS1_17partition_subalgoE8ElNS0_10empty_typeEbEEZZNS1_14partition_implILS5_8ELb0ES3_jPlPS6_PKS6_NS0_5tupleIJS9_S6_EEENSD_IJSA_SA_EEENS0_18inequality_wrapperIZN2at6native12_GLOBAL__N_124unique_dim_cuda_templateIaEESt5tupleIJNSH_6TensorESM_SM_EERKSM_lbbbEUlllE0_EEPmJS6_EEE10hipError_tPvRmT3_T4_T5_T6_T7_T9_mT8_P12ihipStream_tbDpT10_ENKUlT_T0_E_clISt17integral_constantIbLb1EES1B_IbLb0EEEEDaS17_S18_EUlS17_E_NS1_11comp_targetILNS1_3genE9ELNS1_11target_archE1100ELNS1_3gpuE3ELNS1_3repE0EEENS1_30default_config_static_selectorELNS0_4arch9wavefront6targetE0EEEvT1_
    .private_segment_fixed_size: 0
    .sgpr_count:     38
    .sgpr_spill_count: 0
    .symbol:         _ZN7rocprim17ROCPRIM_400000_NS6detail17trampoline_kernelINS0_14default_configENS1_25partition_config_selectorILNS1_17partition_subalgoE8ElNS0_10empty_typeEbEEZZNS1_14partition_implILS5_8ELb0ES3_jPlPS6_PKS6_NS0_5tupleIJS9_S6_EEENSD_IJSA_SA_EEENS0_18inequality_wrapperIZN2at6native12_GLOBAL__N_124unique_dim_cuda_templateIaEESt5tupleIJNSH_6TensorESM_SM_EERKSM_lbbbEUlllE0_EEPmJS6_EEE10hipError_tPvRmT3_T4_T5_T6_T7_T9_mT8_P12ihipStream_tbDpT10_ENKUlT_T0_E_clISt17integral_constantIbLb1EES1B_IbLb0EEEEDaS17_S18_EUlS17_E_NS1_11comp_targetILNS1_3genE9ELNS1_11target_archE1100ELNS1_3gpuE3ELNS1_3repE0EEENS1_30default_config_static_selectorELNS0_4arch9wavefront6targetE0EEEvT1_.kd
    .uniform_work_group_size: 1
    .uses_dynamic_stack: false
    .vgpr_count:     52
    .vgpr_spill_count: 0
    .wavefront_size: 32
    .workgroup_processor_mode: 1
  - .args:
      - .offset:         0
        .size:           120
        .value_kind:     by_value
    .group_segment_fixed_size: 0
    .kernarg_segment_align: 8
    .kernarg_segment_size: 120
    .language:       OpenCL C
    .language_version:
      - 2
      - 0
    .max_flat_workgroup_size: 512
    .name:           _ZN7rocprim17ROCPRIM_400000_NS6detail17trampoline_kernelINS0_14default_configENS1_25partition_config_selectorILNS1_17partition_subalgoE8ElNS0_10empty_typeEbEEZZNS1_14partition_implILS5_8ELb0ES3_jPlPS6_PKS6_NS0_5tupleIJS9_S6_EEENSD_IJSA_SA_EEENS0_18inequality_wrapperIZN2at6native12_GLOBAL__N_124unique_dim_cuda_templateIaEESt5tupleIJNSH_6TensorESM_SM_EERKSM_lbbbEUlllE0_EEPmJS6_EEE10hipError_tPvRmT3_T4_T5_T6_T7_T9_mT8_P12ihipStream_tbDpT10_ENKUlT_T0_E_clISt17integral_constantIbLb1EES1B_IbLb0EEEEDaS17_S18_EUlS17_E_NS1_11comp_targetILNS1_3genE8ELNS1_11target_archE1030ELNS1_3gpuE2ELNS1_3repE0EEENS1_30default_config_static_selectorELNS0_4arch9wavefront6targetE0EEEvT1_
    .private_segment_fixed_size: 0
    .sgpr_count:     0
    .sgpr_spill_count: 0
    .symbol:         _ZN7rocprim17ROCPRIM_400000_NS6detail17trampoline_kernelINS0_14default_configENS1_25partition_config_selectorILNS1_17partition_subalgoE8ElNS0_10empty_typeEbEEZZNS1_14partition_implILS5_8ELb0ES3_jPlPS6_PKS6_NS0_5tupleIJS9_S6_EEENSD_IJSA_SA_EEENS0_18inequality_wrapperIZN2at6native12_GLOBAL__N_124unique_dim_cuda_templateIaEESt5tupleIJNSH_6TensorESM_SM_EERKSM_lbbbEUlllE0_EEPmJS6_EEE10hipError_tPvRmT3_T4_T5_T6_T7_T9_mT8_P12ihipStream_tbDpT10_ENKUlT_T0_E_clISt17integral_constantIbLb1EES1B_IbLb0EEEEDaS17_S18_EUlS17_E_NS1_11comp_targetILNS1_3genE8ELNS1_11target_archE1030ELNS1_3gpuE2ELNS1_3repE0EEENS1_30default_config_static_selectorELNS0_4arch9wavefront6targetE0EEEvT1_.kd
    .uniform_work_group_size: 1
    .uses_dynamic_stack: false
    .vgpr_count:     0
    .vgpr_spill_count: 0
    .wavefront_size: 32
    .workgroup_processor_mode: 1
  - .args:
      - .offset:         0
        .size:           136
        .value_kind:     by_value
    .group_segment_fixed_size: 0
    .kernarg_segment_align: 8
    .kernarg_segment_size: 136
    .language:       OpenCL C
    .language_version:
      - 2
      - 0
    .max_flat_workgroup_size: 512
    .name:           _ZN7rocprim17ROCPRIM_400000_NS6detail17trampoline_kernelINS0_14default_configENS1_25partition_config_selectorILNS1_17partition_subalgoE8ElNS0_10empty_typeEbEEZZNS1_14partition_implILS5_8ELb0ES3_jPlPS6_PKS6_NS0_5tupleIJS9_S6_EEENSD_IJSA_SA_EEENS0_18inequality_wrapperIZN2at6native12_GLOBAL__N_124unique_dim_cuda_templateIaEESt5tupleIJNSH_6TensorESM_SM_EERKSM_lbbbEUlllE0_EEPmJS6_EEE10hipError_tPvRmT3_T4_T5_T6_T7_T9_mT8_P12ihipStream_tbDpT10_ENKUlT_T0_E_clISt17integral_constantIbLb0EES1B_IbLb1EEEEDaS17_S18_EUlS17_E_NS1_11comp_targetILNS1_3genE0ELNS1_11target_archE4294967295ELNS1_3gpuE0ELNS1_3repE0EEENS1_30default_config_static_selectorELNS0_4arch9wavefront6targetE0EEEvT1_
    .private_segment_fixed_size: 0
    .sgpr_count:     0
    .sgpr_spill_count: 0
    .symbol:         _ZN7rocprim17ROCPRIM_400000_NS6detail17trampoline_kernelINS0_14default_configENS1_25partition_config_selectorILNS1_17partition_subalgoE8ElNS0_10empty_typeEbEEZZNS1_14partition_implILS5_8ELb0ES3_jPlPS6_PKS6_NS0_5tupleIJS9_S6_EEENSD_IJSA_SA_EEENS0_18inequality_wrapperIZN2at6native12_GLOBAL__N_124unique_dim_cuda_templateIaEESt5tupleIJNSH_6TensorESM_SM_EERKSM_lbbbEUlllE0_EEPmJS6_EEE10hipError_tPvRmT3_T4_T5_T6_T7_T9_mT8_P12ihipStream_tbDpT10_ENKUlT_T0_E_clISt17integral_constantIbLb0EES1B_IbLb1EEEEDaS17_S18_EUlS17_E_NS1_11comp_targetILNS1_3genE0ELNS1_11target_archE4294967295ELNS1_3gpuE0ELNS1_3repE0EEENS1_30default_config_static_selectorELNS0_4arch9wavefront6targetE0EEEvT1_.kd
    .uniform_work_group_size: 1
    .uses_dynamic_stack: false
    .vgpr_count:     0
    .vgpr_spill_count: 0
    .wavefront_size: 32
    .workgroup_processor_mode: 1
  - .args:
      - .offset:         0
        .size:           136
        .value_kind:     by_value
    .group_segment_fixed_size: 0
    .kernarg_segment_align: 8
    .kernarg_segment_size: 136
    .language:       OpenCL C
    .language_version:
      - 2
      - 0
    .max_flat_workgroup_size: 512
    .name:           _ZN7rocprim17ROCPRIM_400000_NS6detail17trampoline_kernelINS0_14default_configENS1_25partition_config_selectorILNS1_17partition_subalgoE8ElNS0_10empty_typeEbEEZZNS1_14partition_implILS5_8ELb0ES3_jPlPS6_PKS6_NS0_5tupleIJS9_S6_EEENSD_IJSA_SA_EEENS0_18inequality_wrapperIZN2at6native12_GLOBAL__N_124unique_dim_cuda_templateIaEESt5tupleIJNSH_6TensorESM_SM_EERKSM_lbbbEUlllE0_EEPmJS6_EEE10hipError_tPvRmT3_T4_T5_T6_T7_T9_mT8_P12ihipStream_tbDpT10_ENKUlT_T0_E_clISt17integral_constantIbLb0EES1B_IbLb1EEEEDaS17_S18_EUlS17_E_NS1_11comp_targetILNS1_3genE5ELNS1_11target_archE942ELNS1_3gpuE9ELNS1_3repE0EEENS1_30default_config_static_selectorELNS0_4arch9wavefront6targetE0EEEvT1_
    .private_segment_fixed_size: 0
    .sgpr_count:     0
    .sgpr_spill_count: 0
    .symbol:         _ZN7rocprim17ROCPRIM_400000_NS6detail17trampoline_kernelINS0_14default_configENS1_25partition_config_selectorILNS1_17partition_subalgoE8ElNS0_10empty_typeEbEEZZNS1_14partition_implILS5_8ELb0ES3_jPlPS6_PKS6_NS0_5tupleIJS9_S6_EEENSD_IJSA_SA_EEENS0_18inequality_wrapperIZN2at6native12_GLOBAL__N_124unique_dim_cuda_templateIaEESt5tupleIJNSH_6TensorESM_SM_EERKSM_lbbbEUlllE0_EEPmJS6_EEE10hipError_tPvRmT3_T4_T5_T6_T7_T9_mT8_P12ihipStream_tbDpT10_ENKUlT_T0_E_clISt17integral_constantIbLb0EES1B_IbLb1EEEEDaS17_S18_EUlS17_E_NS1_11comp_targetILNS1_3genE5ELNS1_11target_archE942ELNS1_3gpuE9ELNS1_3repE0EEENS1_30default_config_static_selectorELNS0_4arch9wavefront6targetE0EEEvT1_.kd
    .uniform_work_group_size: 1
    .uses_dynamic_stack: false
    .vgpr_count:     0
    .vgpr_spill_count: 0
    .wavefront_size: 32
    .workgroup_processor_mode: 1
  - .args:
      - .offset:         0
        .size:           136
        .value_kind:     by_value
    .group_segment_fixed_size: 0
    .kernarg_segment_align: 8
    .kernarg_segment_size: 136
    .language:       OpenCL C
    .language_version:
      - 2
      - 0
    .max_flat_workgroup_size: 256
    .name:           _ZN7rocprim17ROCPRIM_400000_NS6detail17trampoline_kernelINS0_14default_configENS1_25partition_config_selectorILNS1_17partition_subalgoE8ElNS0_10empty_typeEbEEZZNS1_14partition_implILS5_8ELb0ES3_jPlPS6_PKS6_NS0_5tupleIJS9_S6_EEENSD_IJSA_SA_EEENS0_18inequality_wrapperIZN2at6native12_GLOBAL__N_124unique_dim_cuda_templateIaEESt5tupleIJNSH_6TensorESM_SM_EERKSM_lbbbEUlllE0_EEPmJS6_EEE10hipError_tPvRmT3_T4_T5_T6_T7_T9_mT8_P12ihipStream_tbDpT10_ENKUlT_T0_E_clISt17integral_constantIbLb0EES1B_IbLb1EEEEDaS17_S18_EUlS17_E_NS1_11comp_targetILNS1_3genE4ELNS1_11target_archE910ELNS1_3gpuE8ELNS1_3repE0EEENS1_30default_config_static_selectorELNS0_4arch9wavefront6targetE0EEEvT1_
    .private_segment_fixed_size: 0
    .sgpr_count:     0
    .sgpr_spill_count: 0
    .symbol:         _ZN7rocprim17ROCPRIM_400000_NS6detail17trampoline_kernelINS0_14default_configENS1_25partition_config_selectorILNS1_17partition_subalgoE8ElNS0_10empty_typeEbEEZZNS1_14partition_implILS5_8ELb0ES3_jPlPS6_PKS6_NS0_5tupleIJS9_S6_EEENSD_IJSA_SA_EEENS0_18inequality_wrapperIZN2at6native12_GLOBAL__N_124unique_dim_cuda_templateIaEESt5tupleIJNSH_6TensorESM_SM_EERKSM_lbbbEUlllE0_EEPmJS6_EEE10hipError_tPvRmT3_T4_T5_T6_T7_T9_mT8_P12ihipStream_tbDpT10_ENKUlT_T0_E_clISt17integral_constantIbLb0EES1B_IbLb1EEEEDaS17_S18_EUlS17_E_NS1_11comp_targetILNS1_3genE4ELNS1_11target_archE910ELNS1_3gpuE8ELNS1_3repE0EEENS1_30default_config_static_selectorELNS0_4arch9wavefront6targetE0EEEvT1_.kd
    .uniform_work_group_size: 1
    .uses_dynamic_stack: false
    .vgpr_count:     0
    .vgpr_spill_count: 0
    .wavefront_size: 32
    .workgroup_processor_mode: 1
  - .args:
      - .offset:         0
        .size:           136
        .value_kind:     by_value
    .group_segment_fixed_size: 0
    .kernarg_segment_align: 8
    .kernarg_segment_size: 136
    .language:       OpenCL C
    .language_version:
      - 2
      - 0
    .max_flat_workgroup_size: 512
    .name:           _ZN7rocprim17ROCPRIM_400000_NS6detail17trampoline_kernelINS0_14default_configENS1_25partition_config_selectorILNS1_17partition_subalgoE8ElNS0_10empty_typeEbEEZZNS1_14partition_implILS5_8ELb0ES3_jPlPS6_PKS6_NS0_5tupleIJS9_S6_EEENSD_IJSA_SA_EEENS0_18inequality_wrapperIZN2at6native12_GLOBAL__N_124unique_dim_cuda_templateIaEESt5tupleIJNSH_6TensorESM_SM_EERKSM_lbbbEUlllE0_EEPmJS6_EEE10hipError_tPvRmT3_T4_T5_T6_T7_T9_mT8_P12ihipStream_tbDpT10_ENKUlT_T0_E_clISt17integral_constantIbLb0EES1B_IbLb1EEEEDaS17_S18_EUlS17_E_NS1_11comp_targetILNS1_3genE3ELNS1_11target_archE908ELNS1_3gpuE7ELNS1_3repE0EEENS1_30default_config_static_selectorELNS0_4arch9wavefront6targetE0EEEvT1_
    .private_segment_fixed_size: 0
    .sgpr_count:     0
    .sgpr_spill_count: 0
    .symbol:         _ZN7rocprim17ROCPRIM_400000_NS6detail17trampoline_kernelINS0_14default_configENS1_25partition_config_selectorILNS1_17partition_subalgoE8ElNS0_10empty_typeEbEEZZNS1_14partition_implILS5_8ELb0ES3_jPlPS6_PKS6_NS0_5tupleIJS9_S6_EEENSD_IJSA_SA_EEENS0_18inequality_wrapperIZN2at6native12_GLOBAL__N_124unique_dim_cuda_templateIaEESt5tupleIJNSH_6TensorESM_SM_EERKSM_lbbbEUlllE0_EEPmJS6_EEE10hipError_tPvRmT3_T4_T5_T6_T7_T9_mT8_P12ihipStream_tbDpT10_ENKUlT_T0_E_clISt17integral_constantIbLb0EES1B_IbLb1EEEEDaS17_S18_EUlS17_E_NS1_11comp_targetILNS1_3genE3ELNS1_11target_archE908ELNS1_3gpuE7ELNS1_3repE0EEENS1_30default_config_static_selectorELNS0_4arch9wavefront6targetE0EEEvT1_.kd
    .uniform_work_group_size: 1
    .uses_dynamic_stack: false
    .vgpr_count:     0
    .vgpr_spill_count: 0
    .wavefront_size: 32
    .workgroup_processor_mode: 1
  - .args:
      - .offset:         0
        .size:           136
        .value_kind:     by_value
    .group_segment_fixed_size: 0
    .kernarg_segment_align: 8
    .kernarg_segment_size: 136
    .language:       OpenCL C
    .language_version:
      - 2
      - 0
    .max_flat_workgroup_size: 256
    .name:           _ZN7rocprim17ROCPRIM_400000_NS6detail17trampoline_kernelINS0_14default_configENS1_25partition_config_selectorILNS1_17partition_subalgoE8ElNS0_10empty_typeEbEEZZNS1_14partition_implILS5_8ELb0ES3_jPlPS6_PKS6_NS0_5tupleIJS9_S6_EEENSD_IJSA_SA_EEENS0_18inequality_wrapperIZN2at6native12_GLOBAL__N_124unique_dim_cuda_templateIaEESt5tupleIJNSH_6TensorESM_SM_EERKSM_lbbbEUlllE0_EEPmJS6_EEE10hipError_tPvRmT3_T4_T5_T6_T7_T9_mT8_P12ihipStream_tbDpT10_ENKUlT_T0_E_clISt17integral_constantIbLb0EES1B_IbLb1EEEEDaS17_S18_EUlS17_E_NS1_11comp_targetILNS1_3genE2ELNS1_11target_archE906ELNS1_3gpuE6ELNS1_3repE0EEENS1_30default_config_static_selectorELNS0_4arch9wavefront6targetE0EEEvT1_
    .private_segment_fixed_size: 0
    .sgpr_count:     0
    .sgpr_spill_count: 0
    .symbol:         _ZN7rocprim17ROCPRIM_400000_NS6detail17trampoline_kernelINS0_14default_configENS1_25partition_config_selectorILNS1_17partition_subalgoE8ElNS0_10empty_typeEbEEZZNS1_14partition_implILS5_8ELb0ES3_jPlPS6_PKS6_NS0_5tupleIJS9_S6_EEENSD_IJSA_SA_EEENS0_18inequality_wrapperIZN2at6native12_GLOBAL__N_124unique_dim_cuda_templateIaEESt5tupleIJNSH_6TensorESM_SM_EERKSM_lbbbEUlllE0_EEPmJS6_EEE10hipError_tPvRmT3_T4_T5_T6_T7_T9_mT8_P12ihipStream_tbDpT10_ENKUlT_T0_E_clISt17integral_constantIbLb0EES1B_IbLb1EEEEDaS17_S18_EUlS17_E_NS1_11comp_targetILNS1_3genE2ELNS1_11target_archE906ELNS1_3gpuE6ELNS1_3repE0EEENS1_30default_config_static_selectorELNS0_4arch9wavefront6targetE0EEEvT1_.kd
    .uniform_work_group_size: 1
    .uses_dynamic_stack: false
    .vgpr_count:     0
    .vgpr_spill_count: 0
    .wavefront_size: 32
    .workgroup_processor_mode: 1
  - .args:
      - .offset:         0
        .size:           136
        .value_kind:     by_value
    .group_segment_fixed_size: 0
    .kernarg_segment_align: 8
    .kernarg_segment_size: 136
    .language:       OpenCL C
    .language_version:
      - 2
      - 0
    .max_flat_workgroup_size: 384
    .name:           _ZN7rocprim17ROCPRIM_400000_NS6detail17trampoline_kernelINS0_14default_configENS1_25partition_config_selectorILNS1_17partition_subalgoE8ElNS0_10empty_typeEbEEZZNS1_14partition_implILS5_8ELb0ES3_jPlPS6_PKS6_NS0_5tupleIJS9_S6_EEENSD_IJSA_SA_EEENS0_18inequality_wrapperIZN2at6native12_GLOBAL__N_124unique_dim_cuda_templateIaEESt5tupleIJNSH_6TensorESM_SM_EERKSM_lbbbEUlllE0_EEPmJS6_EEE10hipError_tPvRmT3_T4_T5_T6_T7_T9_mT8_P12ihipStream_tbDpT10_ENKUlT_T0_E_clISt17integral_constantIbLb0EES1B_IbLb1EEEEDaS17_S18_EUlS17_E_NS1_11comp_targetILNS1_3genE10ELNS1_11target_archE1200ELNS1_3gpuE4ELNS1_3repE0EEENS1_30default_config_static_selectorELNS0_4arch9wavefront6targetE0EEEvT1_
    .private_segment_fixed_size: 0
    .sgpr_count:     0
    .sgpr_spill_count: 0
    .symbol:         _ZN7rocprim17ROCPRIM_400000_NS6detail17trampoline_kernelINS0_14default_configENS1_25partition_config_selectorILNS1_17partition_subalgoE8ElNS0_10empty_typeEbEEZZNS1_14partition_implILS5_8ELb0ES3_jPlPS6_PKS6_NS0_5tupleIJS9_S6_EEENSD_IJSA_SA_EEENS0_18inequality_wrapperIZN2at6native12_GLOBAL__N_124unique_dim_cuda_templateIaEESt5tupleIJNSH_6TensorESM_SM_EERKSM_lbbbEUlllE0_EEPmJS6_EEE10hipError_tPvRmT3_T4_T5_T6_T7_T9_mT8_P12ihipStream_tbDpT10_ENKUlT_T0_E_clISt17integral_constantIbLb0EES1B_IbLb1EEEEDaS17_S18_EUlS17_E_NS1_11comp_targetILNS1_3genE10ELNS1_11target_archE1200ELNS1_3gpuE4ELNS1_3repE0EEENS1_30default_config_static_selectorELNS0_4arch9wavefront6targetE0EEEvT1_.kd
    .uniform_work_group_size: 1
    .uses_dynamic_stack: false
    .vgpr_count:     0
    .vgpr_spill_count: 0
    .wavefront_size: 32
    .workgroup_processor_mode: 1
  - .args:
      - .offset:         0
        .size:           136
        .value_kind:     by_value
    .group_segment_fixed_size: 33804
    .kernarg_segment_align: 8
    .kernarg_segment_size: 136
    .language:       OpenCL C
    .language_version:
      - 2
      - 0
    .max_flat_workgroup_size: 512
    .name:           _ZN7rocprim17ROCPRIM_400000_NS6detail17trampoline_kernelINS0_14default_configENS1_25partition_config_selectorILNS1_17partition_subalgoE8ElNS0_10empty_typeEbEEZZNS1_14partition_implILS5_8ELb0ES3_jPlPS6_PKS6_NS0_5tupleIJS9_S6_EEENSD_IJSA_SA_EEENS0_18inequality_wrapperIZN2at6native12_GLOBAL__N_124unique_dim_cuda_templateIaEESt5tupleIJNSH_6TensorESM_SM_EERKSM_lbbbEUlllE0_EEPmJS6_EEE10hipError_tPvRmT3_T4_T5_T6_T7_T9_mT8_P12ihipStream_tbDpT10_ENKUlT_T0_E_clISt17integral_constantIbLb0EES1B_IbLb1EEEEDaS17_S18_EUlS17_E_NS1_11comp_targetILNS1_3genE9ELNS1_11target_archE1100ELNS1_3gpuE3ELNS1_3repE0EEENS1_30default_config_static_selectorELNS0_4arch9wavefront6targetE0EEEvT1_
    .private_segment_fixed_size: 0
    .sgpr_count:     40
    .sgpr_spill_count: 0
    .symbol:         _ZN7rocprim17ROCPRIM_400000_NS6detail17trampoline_kernelINS0_14default_configENS1_25partition_config_selectorILNS1_17partition_subalgoE8ElNS0_10empty_typeEbEEZZNS1_14partition_implILS5_8ELb0ES3_jPlPS6_PKS6_NS0_5tupleIJS9_S6_EEENSD_IJSA_SA_EEENS0_18inequality_wrapperIZN2at6native12_GLOBAL__N_124unique_dim_cuda_templateIaEESt5tupleIJNSH_6TensorESM_SM_EERKSM_lbbbEUlllE0_EEPmJS6_EEE10hipError_tPvRmT3_T4_T5_T6_T7_T9_mT8_P12ihipStream_tbDpT10_ENKUlT_T0_E_clISt17integral_constantIbLb0EES1B_IbLb1EEEEDaS17_S18_EUlS17_E_NS1_11comp_targetILNS1_3genE9ELNS1_11target_archE1100ELNS1_3gpuE3ELNS1_3repE0EEENS1_30default_config_static_selectorELNS0_4arch9wavefront6targetE0EEEvT1_.kd
    .uniform_work_group_size: 1
    .uses_dynamic_stack: false
    .vgpr_count:     52
    .vgpr_spill_count: 0
    .wavefront_size: 32
    .workgroup_processor_mode: 1
  - .args:
      - .offset:         0
        .size:           136
        .value_kind:     by_value
    .group_segment_fixed_size: 0
    .kernarg_segment_align: 8
    .kernarg_segment_size: 136
    .language:       OpenCL C
    .language_version:
      - 2
      - 0
    .max_flat_workgroup_size: 512
    .name:           _ZN7rocprim17ROCPRIM_400000_NS6detail17trampoline_kernelINS0_14default_configENS1_25partition_config_selectorILNS1_17partition_subalgoE8ElNS0_10empty_typeEbEEZZNS1_14partition_implILS5_8ELb0ES3_jPlPS6_PKS6_NS0_5tupleIJS9_S6_EEENSD_IJSA_SA_EEENS0_18inequality_wrapperIZN2at6native12_GLOBAL__N_124unique_dim_cuda_templateIaEESt5tupleIJNSH_6TensorESM_SM_EERKSM_lbbbEUlllE0_EEPmJS6_EEE10hipError_tPvRmT3_T4_T5_T6_T7_T9_mT8_P12ihipStream_tbDpT10_ENKUlT_T0_E_clISt17integral_constantIbLb0EES1B_IbLb1EEEEDaS17_S18_EUlS17_E_NS1_11comp_targetILNS1_3genE8ELNS1_11target_archE1030ELNS1_3gpuE2ELNS1_3repE0EEENS1_30default_config_static_selectorELNS0_4arch9wavefront6targetE0EEEvT1_
    .private_segment_fixed_size: 0
    .sgpr_count:     0
    .sgpr_spill_count: 0
    .symbol:         _ZN7rocprim17ROCPRIM_400000_NS6detail17trampoline_kernelINS0_14default_configENS1_25partition_config_selectorILNS1_17partition_subalgoE8ElNS0_10empty_typeEbEEZZNS1_14partition_implILS5_8ELb0ES3_jPlPS6_PKS6_NS0_5tupleIJS9_S6_EEENSD_IJSA_SA_EEENS0_18inequality_wrapperIZN2at6native12_GLOBAL__N_124unique_dim_cuda_templateIaEESt5tupleIJNSH_6TensorESM_SM_EERKSM_lbbbEUlllE0_EEPmJS6_EEE10hipError_tPvRmT3_T4_T5_T6_T7_T9_mT8_P12ihipStream_tbDpT10_ENKUlT_T0_E_clISt17integral_constantIbLb0EES1B_IbLb1EEEEDaS17_S18_EUlS17_E_NS1_11comp_targetILNS1_3genE8ELNS1_11target_archE1030ELNS1_3gpuE2ELNS1_3repE0EEENS1_30default_config_static_selectorELNS0_4arch9wavefront6targetE0EEEvT1_.kd
    .uniform_work_group_size: 1
    .uses_dynamic_stack: false
    .vgpr_count:     0
    .vgpr_spill_count: 0
    .wavefront_size: 32
    .workgroup_processor_mode: 1
  - .args:
      - .offset:         0
        .size:           120
        .value_kind:     by_value
    .group_segment_fixed_size: 0
    .kernarg_segment_align: 8
    .kernarg_segment_size: 120
    .language:       OpenCL C
    .language_version:
      - 2
      - 0
    .max_flat_workgroup_size: 128
    .name:           _ZN7rocprim17ROCPRIM_400000_NS6detail17trampoline_kernelINS0_14default_configENS1_25partition_config_selectorILNS1_17partition_subalgoE9EllbEEZZNS1_14partition_implILS5_9ELb0ES3_jPlS8_PNS0_10empty_typeENS0_5tupleIJS8_S9_EEENSB_IJS8_SA_EEENS0_18inequality_wrapperIZN2at6native12_GLOBAL__N_124unique_dim_cuda_templateIaEESt5tupleIJNSF_6TensorESK_SK_EERKSK_lbbbEUlllE0_EEPmJS9_EEE10hipError_tPvRmT3_T4_T5_T6_T7_T9_mT8_P12ihipStream_tbDpT10_ENKUlT_T0_E_clISt17integral_constantIbLb0EES1A_EEDaS15_S16_EUlS15_E_NS1_11comp_targetILNS1_3genE0ELNS1_11target_archE4294967295ELNS1_3gpuE0ELNS1_3repE0EEENS1_30default_config_static_selectorELNS0_4arch9wavefront6targetE0EEEvT1_
    .private_segment_fixed_size: 0
    .sgpr_count:     0
    .sgpr_spill_count: 0
    .symbol:         _ZN7rocprim17ROCPRIM_400000_NS6detail17trampoline_kernelINS0_14default_configENS1_25partition_config_selectorILNS1_17partition_subalgoE9EllbEEZZNS1_14partition_implILS5_9ELb0ES3_jPlS8_PNS0_10empty_typeENS0_5tupleIJS8_S9_EEENSB_IJS8_SA_EEENS0_18inequality_wrapperIZN2at6native12_GLOBAL__N_124unique_dim_cuda_templateIaEESt5tupleIJNSF_6TensorESK_SK_EERKSK_lbbbEUlllE0_EEPmJS9_EEE10hipError_tPvRmT3_T4_T5_T6_T7_T9_mT8_P12ihipStream_tbDpT10_ENKUlT_T0_E_clISt17integral_constantIbLb0EES1A_EEDaS15_S16_EUlS15_E_NS1_11comp_targetILNS1_3genE0ELNS1_11target_archE4294967295ELNS1_3gpuE0ELNS1_3repE0EEENS1_30default_config_static_selectorELNS0_4arch9wavefront6targetE0EEEvT1_.kd
    .uniform_work_group_size: 1
    .uses_dynamic_stack: false
    .vgpr_count:     0
    .vgpr_spill_count: 0
    .wavefront_size: 32
    .workgroup_processor_mode: 1
  - .args:
      - .offset:         0
        .size:           120
        .value_kind:     by_value
    .group_segment_fixed_size: 0
    .kernarg_segment_align: 8
    .kernarg_segment_size: 120
    .language:       OpenCL C
    .language_version:
      - 2
      - 0
    .max_flat_workgroup_size: 512
    .name:           _ZN7rocprim17ROCPRIM_400000_NS6detail17trampoline_kernelINS0_14default_configENS1_25partition_config_selectorILNS1_17partition_subalgoE9EllbEEZZNS1_14partition_implILS5_9ELb0ES3_jPlS8_PNS0_10empty_typeENS0_5tupleIJS8_S9_EEENSB_IJS8_SA_EEENS0_18inequality_wrapperIZN2at6native12_GLOBAL__N_124unique_dim_cuda_templateIaEESt5tupleIJNSF_6TensorESK_SK_EERKSK_lbbbEUlllE0_EEPmJS9_EEE10hipError_tPvRmT3_T4_T5_T6_T7_T9_mT8_P12ihipStream_tbDpT10_ENKUlT_T0_E_clISt17integral_constantIbLb0EES1A_EEDaS15_S16_EUlS15_E_NS1_11comp_targetILNS1_3genE5ELNS1_11target_archE942ELNS1_3gpuE9ELNS1_3repE0EEENS1_30default_config_static_selectorELNS0_4arch9wavefront6targetE0EEEvT1_
    .private_segment_fixed_size: 0
    .sgpr_count:     0
    .sgpr_spill_count: 0
    .symbol:         _ZN7rocprim17ROCPRIM_400000_NS6detail17trampoline_kernelINS0_14default_configENS1_25partition_config_selectorILNS1_17partition_subalgoE9EllbEEZZNS1_14partition_implILS5_9ELb0ES3_jPlS8_PNS0_10empty_typeENS0_5tupleIJS8_S9_EEENSB_IJS8_SA_EEENS0_18inequality_wrapperIZN2at6native12_GLOBAL__N_124unique_dim_cuda_templateIaEESt5tupleIJNSF_6TensorESK_SK_EERKSK_lbbbEUlllE0_EEPmJS9_EEE10hipError_tPvRmT3_T4_T5_T6_T7_T9_mT8_P12ihipStream_tbDpT10_ENKUlT_T0_E_clISt17integral_constantIbLb0EES1A_EEDaS15_S16_EUlS15_E_NS1_11comp_targetILNS1_3genE5ELNS1_11target_archE942ELNS1_3gpuE9ELNS1_3repE0EEENS1_30default_config_static_selectorELNS0_4arch9wavefront6targetE0EEEvT1_.kd
    .uniform_work_group_size: 1
    .uses_dynamic_stack: false
    .vgpr_count:     0
    .vgpr_spill_count: 0
    .wavefront_size: 32
    .workgroup_processor_mode: 1
  - .args:
      - .offset:         0
        .size:           120
        .value_kind:     by_value
    .group_segment_fixed_size: 0
    .kernarg_segment_align: 8
    .kernarg_segment_size: 120
    .language:       OpenCL C
    .language_version:
      - 2
      - 0
    .max_flat_workgroup_size: 128
    .name:           _ZN7rocprim17ROCPRIM_400000_NS6detail17trampoline_kernelINS0_14default_configENS1_25partition_config_selectorILNS1_17partition_subalgoE9EllbEEZZNS1_14partition_implILS5_9ELb0ES3_jPlS8_PNS0_10empty_typeENS0_5tupleIJS8_S9_EEENSB_IJS8_SA_EEENS0_18inequality_wrapperIZN2at6native12_GLOBAL__N_124unique_dim_cuda_templateIaEESt5tupleIJNSF_6TensorESK_SK_EERKSK_lbbbEUlllE0_EEPmJS9_EEE10hipError_tPvRmT3_T4_T5_T6_T7_T9_mT8_P12ihipStream_tbDpT10_ENKUlT_T0_E_clISt17integral_constantIbLb0EES1A_EEDaS15_S16_EUlS15_E_NS1_11comp_targetILNS1_3genE4ELNS1_11target_archE910ELNS1_3gpuE8ELNS1_3repE0EEENS1_30default_config_static_selectorELNS0_4arch9wavefront6targetE0EEEvT1_
    .private_segment_fixed_size: 0
    .sgpr_count:     0
    .sgpr_spill_count: 0
    .symbol:         _ZN7rocprim17ROCPRIM_400000_NS6detail17trampoline_kernelINS0_14default_configENS1_25partition_config_selectorILNS1_17partition_subalgoE9EllbEEZZNS1_14partition_implILS5_9ELb0ES3_jPlS8_PNS0_10empty_typeENS0_5tupleIJS8_S9_EEENSB_IJS8_SA_EEENS0_18inequality_wrapperIZN2at6native12_GLOBAL__N_124unique_dim_cuda_templateIaEESt5tupleIJNSF_6TensorESK_SK_EERKSK_lbbbEUlllE0_EEPmJS9_EEE10hipError_tPvRmT3_T4_T5_T6_T7_T9_mT8_P12ihipStream_tbDpT10_ENKUlT_T0_E_clISt17integral_constantIbLb0EES1A_EEDaS15_S16_EUlS15_E_NS1_11comp_targetILNS1_3genE4ELNS1_11target_archE910ELNS1_3gpuE8ELNS1_3repE0EEENS1_30default_config_static_selectorELNS0_4arch9wavefront6targetE0EEEvT1_.kd
    .uniform_work_group_size: 1
    .uses_dynamic_stack: false
    .vgpr_count:     0
    .vgpr_spill_count: 0
    .wavefront_size: 32
    .workgroup_processor_mode: 1
  - .args:
      - .offset:         0
        .size:           120
        .value_kind:     by_value
    .group_segment_fixed_size: 0
    .kernarg_segment_align: 8
    .kernarg_segment_size: 120
    .language:       OpenCL C
    .language_version:
      - 2
      - 0
    .max_flat_workgroup_size: 128
    .name:           _ZN7rocprim17ROCPRIM_400000_NS6detail17trampoline_kernelINS0_14default_configENS1_25partition_config_selectorILNS1_17partition_subalgoE9EllbEEZZNS1_14partition_implILS5_9ELb0ES3_jPlS8_PNS0_10empty_typeENS0_5tupleIJS8_S9_EEENSB_IJS8_SA_EEENS0_18inequality_wrapperIZN2at6native12_GLOBAL__N_124unique_dim_cuda_templateIaEESt5tupleIJNSF_6TensorESK_SK_EERKSK_lbbbEUlllE0_EEPmJS9_EEE10hipError_tPvRmT3_T4_T5_T6_T7_T9_mT8_P12ihipStream_tbDpT10_ENKUlT_T0_E_clISt17integral_constantIbLb0EES1A_EEDaS15_S16_EUlS15_E_NS1_11comp_targetILNS1_3genE3ELNS1_11target_archE908ELNS1_3gpuE7ELNS1_3repE0EEENS1_30default_config_static_selectorELNS0_4arch9wavefront6targetE0EEEvT1_
    .private_segment_fixed_size: 0
    .sgpr_count:     0
    .sgpr_spill_count: 0
    .symbol:         _ZN7rocprim17ROCPRIM_400000_NS6detail17trampoline_kernelINS0_14default_configENS1_25partition_config_selectorILNS1_17partition_subalgoE9EllbEEZZNS1_14partition_implILS5_9ELb0ES3_jPlS8_PNS0_10empty_typeENS0_5tupleIJS8_S9_EEENSB_IJS8_SA_EEENS0_18inequality_wrapperIZN2at6native12_GLOBAL__N_124unique_dim_cuda_templateIaEESt5tupleIJNSF_6TensorESK_SK_EERKSK_lbbbEUlllE0_EEPmJS9_EEE10hipError_tPvRmT3_T4_T5_T6_T7_T9_mT8_P12ihipStream_tbDpT10_ENKUlT_T0_E_clISt17integral_constantIbLb0EES1A_EEDaS15_S16_EUlS15_E_NS1_11comp_targetILNS1_3genE3ELNS1_11target_archE908ELNS1_3gpuE7ELNS1_3repE0EEENS1_30default_config_static_selectorELNS0_4arch9wavefront6targetE0EEEvT1_.kd
    .uniform_work_group_size: 1
    .uses_dynamic_stack: false
    .vgpr_count:     0
    .vgpr_spill_count: 0
    .wavefront_size: 32
    .workgroup_processor_mode: 1
  - .args:
      - .offset:         0
        .size:           120
        .value_kind:     by_value
    .group_segment_fixed_size: 0
    .kernarg_segment_align: 8
    .kernarg_segment_size: 120
    .language:       OpenCL C
    .language_version:
      - 2
      - 0
    .max_flat_workgroup_size: 192
    .name:           _ZN7rocprim17ROCPRIM_400000_NS6detail17trampoline_kernelINS0_14default_configENS1_25partition_config_selectorILNS1_17partition_subalgoE9EllbEEZZNS1_14partition_implILS5_9ELb0ES3_jPlS8_PNS0_10empty_typeENS0_5tupleIJS8_S9_EEENSB_IJS8_SA_EEENS0_18inequality_wrapperIZN2at6native12_GLOBAL__N_124unique_dim_cuda_templateIaEESt5tupleIJNSF_6TensorESK_SK_EERKSK_lbbbEUlllE0_EEPmJS9_EEE10hipError_tPvRmT3_T4_T5_T6_T7_T9_mT8_P12ihipStream_tbDpT10_ENKUlT_T0_E_clISt17integral_constantIbLb0EES1A_EEDaS15_S16_EUlS15_E_NS1_11comp_targetILNS1_3genE2ELNS1_11target_archE906ELNS1_3gpuE6ELNS1_3repE0EEENS1_30default_config_static_selectorELNS0_4arch9wavefront6targetE0EEEvT1_
    .private_segment_fixed_size: 0
    .sgpr_count:     0
    .sgpr_spill_count: 0
    .symbol:         _ZN7rocprim17ROCPRIM_400000_NS6detail17trampoline_kernelINS0_14default_configENS1_25partition_config_selectorILNS1_17partition_subalgoE9EllbEEZZNS1_14partition_implILS5_9ELb0ES3_jPlS8_PNS0_10empty_typeENS0_5tupleIJS8_S9_EEENSB_IJS8_SA_EEENS0_18inequality_wrapperIZN2at6native12_GLOBAL__N_124unique_dim_cuda_templateIaEESt5tupleIJNSF_6TensorESK_SK_EERKSK_lbbbEUlllE0_EEPmJS9_EEE10hipError_tPvRmT3_T4_T5_T6_T7_T9_mT8_P12ihipStream_tbDpT10_ENKUlT_T0_E_clISt17integral_constantIbLb0EES1A_EEDaS15_S16_EUlS15_E_NS1_11comp_targetILNS1_3genE2ELNS1_11target_archE906ELNS1_3gpuE6ELNS1_3repE0EEENS1_30default_config_static_selectorELNS0_4arch9wavefront6targetE0EEEvT1_.kd
    .uniform_work_group_size: 1
    .uses_dynamic_stack: false
    .vgpr_count:     0
    .vgpr_spill_count: 0
    .wavefront_size: 32
    .workgroup_processor_mode: 1
  - .args:
      - .offset:         0
        .size:           120
        .value_kind:     by_value
    .group_segment_fixed_size: 0
    .kernarg_segment_align: 8
    .kernarg_segment_size: 120
    .language:       OpenCL C
    .language_version:
      - 2
      - 0
    .max_flat_workgroup_size: 384
    .name:           _ZN7rocprim17ROCPRIM_400000_NS6detail17trampoline_kernelINS0_14default_configENS1_25partition_config_selectorILNS1_17partition_subalgoE9EllbEEZZNS1_14partition_implILS5_9ELb0ES3_jPlS8_PNS0_10empty_typeENS0_5tupleIJS8_S9_EEENSB_IJS8_SA_EEENS0_18inequality_wrapperIZN2at6native12_GLOBAL__N_124unique_dim_cuda_templateIaEESt5tupleIJNSF_6TensorESK_SK_EERKSK_lbbbEUlllE0_EEPmJS9_EEE10hipError_tPvRmT3_T4_T5_T6_T7_T9_mT8_P12ihipStream_tbDpT10_ENKUlT_T0_E_clISt17integral_constantIbLb0EES1A_EEDaS15_S16_EUlS15_E_NS1_11comp_targetILNS1_3genE10ELNS1_11target_archE1200ELNS1_3gpuE4ELNS1_3repE0EEENS1_30default_config_static_selectorELNS0_4arch9wavefront6targetE0EEEvT1_
    .private_segment_fixed_size: 0
    .sgpr_count:     0
    .sgpr_spill_count: 0
    .symbol:         _ZN7rocprim17ROCPRIM_400000_NS6detail17trampoline_kernelINS0_14default_configENS1_25partition_config_selectorILNS1_17partition_subalgoE9EllbEEZZNS1_14partition_implILS5_9ELb0ES3_jPlS8_PNS0_10empty_typeENS0_5tupleIJS8_S9_EEENSB_IJS8_SA_EEENS0_18inequality_wrapperIZN2at6native12_GLOBAL__N_124unique_dim_cuda_templateIaEESt5tupleIJNSF_6TensorESK_SK_EERKSK_lbbbEUlllE0_EEPmJS9_EEE10hipError_tPvRmT3_T4_T5_T6_T7_T9_mT8_P12ihipStream_tbDpT10_ENKUlT_T0_E_clISt17integral_constantIbLb0EES1A_EEDaS15_S16_EUlS15_E_NS1_11comp_targetILNS1_3genE10ELNS1_11target_archE1200ELNS1_3gpuE4ELNS1_3repE0EEENS1_30default_config_static_selectorELNS0_4arch9wavefront6targetE0EEEvT1_.kd
    .uniform_work_group_size: 1
    .uses_dynamic_stack: false
    .vgpr_count:     0
    .vgpr_spill_count: 0
    .wavefront_size: 32
    .workgroup_processor_mode: 1
  - .args:
      - .offset:         0
        .size:           120
        .value_kind:     by_value
    .group_segment_fixed_size: 33804
    .kernarg_segment_align: 8
    .kernarg_segment_size: 120
    .language:       OpenCL C
    .language_version:
      - 2
      - 0
    .max_flat_workgroup_size: 512
    .name:           _ZN7rocprim17ROCPRIM_400000_NS6detail17trampoline_kernelINS0_14default_configENS1_25partition_config_selectorILNS1_17partition_subalgoE9EllbEEZZNS1_14partition_implILS5_9ELb0ES3_jPlS8_PNS0_10empty_typeENS0_5tupleIJS8_S9_EEENSB_IJS8_SA_EEENS0_18inequality_wrapperIZN2at6native12_GLOBAL__N_124unique_dim_cuda_templateIaEESt5tupleIJNSF_6TensorESK_SK_EERKSK_lbbbEUlllE0_EEPmJS9_EEE10hipError_tPvRmT3_T4_T5_T6_T7_T9_mT8_P12ihipStream_tbDpT10_ENKUlT_T0_E_clISt17integral_constantIbLb0EES1A_EEDaS15_S16_EUlS15_E_NS1_11comp_targetILNS1_3genE9ELNS1_11target_archE1100ELNS1_3gpuE3ELNS1_3repE0EEENS1_30default_config_static_selectorELNS0_4arch9wavefront6targetE0EEEvT1_
    .private_segment_fixed_size: 0
    .sgpr_count:     38
    .sgpr_spill_count: 0
    .symbol:         _ZN7rocprim17ROCPRIM_400000_NS6detail17trampoline_kernelINS0_14default_configENS1_25partition_config_selectorILNS1_17partition_subalgoE9EllbEEZZNS1_14partition_implILS5_9ELb0ES3_jPlS8_PNS0_10empty_typeENS0_5tupleIJS8_S9_EEENSB_IJS8_SA_EEENS0_18inequality_wrapperIZN2at6native12_GLOBAL__N_124unique_dim_cuda_templateIaEESt5tupleIJNSF_6TensorESK_SK_EERKSK_lbbbEUlllE0_EEPmJS9_EEE10hipError_tPvRmT3_T4_T5_T6_T7_T9_mT8_P12ihipStream_tbDpT10_ENKUlT_T0_E_clISt17integral_constantIbLb0EES1A_EEDaS15_S16_EUlS15_E_NS1_11comp_targetILNS1_3genE9ELNS1_11target_archE1100ELNS1_3gpuE3ELNS1_3repE0EEENS1_30default_config_static_selectorELNS0_4arch9wavefront6targetE0EEEvT1_.kd
    .uniform_work_group_size: 1
    .uses_dynamic_stack: false
    .vgpr_count:     68
    .vgpr_spill_count: 0
    .wavefront_size: 32
    .workgroup_processor_mode: 1
  - .args:
      - .offset:         0
        .size:           120
        .value_kind:     by_value
    .group_segment_fixed_size: 0
    .kernarg_segment_align: 8
    .kernarg_segment_size: 120
    .language:       OpenCL C
    .language_version:
      - 2
      - 0
    .max_flat_workgroup_size: 512
    .name:           _ZN7rocprim17ROCPRIM_400000_NS6detail17trampoline_kernelINS0_14default_configENS1_25partition_config_selectorILNS1_17partition_subalgoE9EllbEEZZNS1_14partition_implILS5_9ELb0ES3_jPlS8_PNS0_10empty_typeENS0_5tupleIJS8_S9_EEENSB_IJS8_SA_EEENS0_18inequality_wrapperIZN2at6native12_GLOBAL__N_124unique_dim_cuda_templateIaEESt5tupleIJNSF_6TensorESK_SK_EERKSK_lbbbEUlllE0_EEPmJS9_EEE10hipError_tPvRmT3_T4_T5_T6_T7_T9_mT8_P12ihipStream_tbDpT10_ENKUlT_T0_E_clISt17integral_constantIbLb0EES1A_EEDaS15_S16_EUlS15_E_NS1_11comp_targetILNS1_3genE8ELNS1_11target_archE1030ELNS1_3gpuE2ELNS1_3repE0EEENS1_30default_config_static_selectorELNS0_4arch9wavefront6targetE0EEEvT1_
    .private_segment_fixed_size: 0
    .sgpr_count:     0
    .sgpr_spill_count: 0
    .symbol:         _ZN7rocprim17ROCPRIM_400000_NS6detail17trampoline_kernelINS0_14default_configENS1_25partition_config_selectorILNS1_17partition_subalgoE9EllbEEZZNS1_14partition_implILS5_9ELb0ES3_jPlS8_PNS0_10empty_typeENS0_5tupleIJS8_S9_EEENSB_IJS8_SA_EEENS0_18inequality_wrapperIZN2at6native12_GLOBAL__N_124unique_dim_cuda_templateIaEESt5tupleIJNSF_6TensorESK_SK_EERKSK_lbbbEUlllE0_EEPmJS9_EEE10hipError_tPvRmT3_T4_T5_T6_T7_T9_mT8_P12ihipStream_tbDpT10_ENKUlT_T0_E_clISt17integral_constantIbLb0EES1A_EEDaS15_S16_EUlS15_E_NS1_11comp_targetILNS1_3genE8ELNS1_11target_archE1030ELNS1_3gpuE2ELNS1_3repE0EEENS1_30default_config_static_selectorELNS0_4arch9wavefront6targetE0EEEvT1_.kd
    .uniform_work_group_size: 1
    .uses_dynamic_stack: false
    .vgpr_count:     0
    .vgpr_spill_count: 0
    .wavefront_size: 32
    .workgroup_processor_mode: 1
  - .args:
      - .offset:         0
        .size:           136
        .value_kind:     by_value
    .group_segment_fixed_size: 0
    .kernarg_segment_align: 8
    .kernarg_segment_size: 136
    .language:       OpenCL C
    .language_version:
      - 2
      - 0
    .max_flat_workgroup_size: 128
    .name:           _ZN7rocprim17ROCPRIM_400000_NS6detail17trampoline_kernelINS0_14default_configENS1_25partition_config_selectorILNS1_17partition_subalgoE9EllbEEZZNS1_14partition_implILS5_9ELb0ES3_jPlS8_PNS0_10empty_typeENS0_5tupleIJS8_S9_EEENSB_IJS8_SA_EEENS0_18inequality_wrapperIZN2at6native12_GLOBAL__N_124unique_dim_cuda_templateIaEESt5tupleIJNSF_6TensorESK_SK_EERKSK_lbbbEUlllE0_EEPmJS9_EEE10hipError_tPvRmT3_T4_T5_T6_T7_T9_mT8_P12ihipStream_tbDpT10_ENKUlT_T0_E_clISt17integral_constantIbLb1EES1A_EEDaS15_S16_EUlS15_E_NS1_11comp_targetILNS1_3genE0ELNS1_11target_archE4294967295ELNS1_3gpuE0ELNS1_3repE0EEENS1_30default_config_static_selectorELNS0_4arch9wavefront6targetE0EEEvT1_
    .private_segment_fixed_size: 0
    .sgpr_count:     0
    .sgpr_spill_count: 0
    .symbol:         _ZN7rocprim17ROCPRIM_400000_NS6detail17trampoline_kernelINS0_14default_configENS1_25partition_config_selectorILNS1_17partition_subalgoE9EllbEEZZNS1_14partition_implILS5_9ELb0ES3_jPlS8_PNS0_10empty_typeENS0_5tupleIJS8_S9_EEENSB_IJS8_SA_EEENS0_18inequality_wrapperIZN2at6native12_GLOBAL__N_124unique_dim_cuda_templateIaEESt5tupleIJNSF_6TensorESK_SK_EERKSK_lbbbEUlllE0_EEPmJS9_EEE10hipError_tPvRmT3_T4_T5_T6_T7_T9_mT8_P12ihipStream_tbDpT10_ENKUlT_T0_E_clISt17integral_constantIbLb1EES1A_EEDaS15_S16_EUlS15_E_NS1_11comp_targetILNS1_3genE0ELNS1_11target_archE4294967295ELNS1_3gpuE0ELNS1_3repE0EEENS1_30default_config_static_selectorELNS0_4arch9wavefront6targetE0EEEvT1_.kd
    .uniform_work_group_size: 1
    .uses_dynamic_stack: false
    .vgpr_count:     0
    .vgpr_spill_count: 0
    .wavefront_size: 32
    .workgroup_processor_mode: 1
  - .args:
      - .offset:         0
        .size:           136
        .value_kind:     by_value
    .group_segment_fixed_size: 0
    .kernarg_segment_align: 8
    .kernarg_segment_size: 136
    .language:       OpenCL C
    .language_version:
      - 2
      - 0
    .max_flat_workgroup_size: 512
    .name:           _ZN7rocprim17ROCPRIM_400000_NS6detail17trampoline_kernelINS0_14default_configENS1_25partition_config_selectorILNS1_17partition_subalgoE9EllbEEZZNS1_14partition_implILS5_9ELb0ES3_jPlS8_PNS0_10empty_typeENS0_5tupleIJS8_S9_EEENSB_IJS8_SA_EEENS0_18inequality_wrapperIZN2at6native12_GLOBAL__N_124unique_dim_cuda_templateIaEESt5tupleIJNSF_6TensorESK_SK_EERKSK_lbbbEUlllE0_EEPmJS9_EEE10hipError_tPvRmT3_T4_T5_T6_T7_T9_mT8_P12ihipStream_tbDpT10_ENKUlT_T0_E_clISt17integral_constantIbLb1EES1A_EEDaS15_S16_EUlS15_E_NS1_11comp_targetILNS1_3genE5ELNS1_11target_archE942ELNS1_3gpuE9ELNS1_3repE0EEENS1_30default_config_static_selectorELNS0_4arch9wavefront6targetE0EEEvT1_
    .private_segment_fixed_size: 0
    .sgpr_count:     0
    .sgpr_spill_count: 0
    .symbol:         _ZN7rocprim17ROCPRIM_400000_NS6detail17trampoline_kernelINS0_14default_configENS1_25partition_config_selectorILNS1_17partition_subalgoE9EllbEEZZNS1_14partition_implILS5_9ELb0ES3_jPlS8_PNS0_10empty_typeENS0_5tupleIJS8_S9_EEENSB_IJS8_SA_EEENS0_18inequality_wrapperIZN2at6native12_GLOBAL__N_124unique_dim_cuda_templateIaEESt5tupleIJNSF_6TensorESK_SK_EERKSK_lbbbEUlllE0_EEPmJS9_EEE10hipError_tPvRmT3_T4_T5_T6_T7_T9_mT8_P12ihipStream_tbDpT10_ENKUlT_T0_E_clISt17integral_constantIbLb1EES1A_EEDaS15_S16_EUlS15_E_NS1_11comp_targetILNS1_3genE5ELNS1_11target_archE942ELNS1_3gpuE9ELNS1_3repE0EEENS1_30default_config_static_selectorELNS0_4arch9wavefront6targetE0EEEvT1_.kd
    .uniform_work_group_size: 1
    .uses_dynamic_stack: false
    .vgpr_count:     0
    .vgpr_spill_count: 0
    .wavefront_size: 32
    .workgroup_processor_mode: 1
  - .args:
      - .offset:         0
        .size:           136
        .value_kind:     by_value
    .group_segment_fixed_size: 0
    .kernarg_segment_align: 8
    .kernarg_segment_size: 136
    .language:       OpenCL C
    .language_version:
      - 2
      - 0
    .max_flat_workgroup_size: 128
    .name:           _ZN7rocprim17ROCPRIM_400000_NS6detail17trampoline_kernelINS0_14default_configENS1_25partition_config_selectorILNS1_17partition_subalgoE9EllbEEZZNS1_14partition_implILS5_9ELb0ES3_jPlS8_PNS0_10empty_typeENS0_5tupleIJS8_S9_EEENSB_IJS8_SA_EEENS0_18inequality_wrapperIZN2at6native12_GLOBAL__N_124unique_dim_cuda_templateIaEESt5tupleIJNSF_6TensorESK_SK_EERKSK_lbbbEUlllE0_EEPmJS9_EEE10hipError_tPvRmT3_T4_T5_T6_T7_T9_mT8_P12ihipStream_tbDpT10_ENKUlT_T0_E_clISt17integral_constantIbLb1EES1A_EEDaS15_S16_EUlS15_E_NS1_11comp_targetILNS1_3genE4ELNS1_11target_archE910ELNS1_3gpuE8ELNS1_3repE0EEENS1_30default_config_static_selectorELNS0_4arch9wavefront6targetE0EEEvT1_
    .private_segment_fixed_size: 0
    .sgpr_count:     0
    .sgpr_spill_count: 0
    .symbol:         _ZN7rocprim17ROCPRIM_400000_NS6detail17trampoline_kernelINS0_14default_configENS1_25partition_config_selectorILNS1_17partition_subalgoE9EllbEEZZNS1_14partition_implILS5_9ELb0ES3_jPlS8_PNS0_10empty_typeENS0_5tupleIJS8_S9_EEENSB_IJS8_SA_EEENS0_18inequality_wrapperIZN2at6native12_GLOBAL__N_124unique_dim_cuda_templateIaEESt5tupleIJNSF_6TensorESK_SK_EERKSK_lbbbEUlllE0_EEPmJS9_EEE10hipError_tPvRmT3_T4_T5_T6_T7_T9_mT8_P12ihipStream_tbDpT10_ENKUlT_T0_E_clISt17integral_constantIbLb1EES1A_EEDaS15_S16_EUlS15_E_NS1_11comp_targetILNS1_3genE4ELNS1_11target_archE910ELNS1_3gpuE8ELNS1_3repE0EEENS1_30default_config_static_selectorELNS0_4arch9wavefront6targetE0EEEvT1_.kd
    .uniform_work_group_size: 1
    .uses_dynamic_stack: false
    .vgpr_count:     0
    .vgpr_spill_count: 0
    .wavefront_size: 32
    .workgroup_processor_mode: 1
  - .args:
      - .offset:         0
        .size:           136
        .value_kind:     by_value
    .group_segment_fixed_size: 0
    .kernarg_segment_align: 8
    .kernarg_segment_size: 136
    .language:       OpenCL C
    .language_version:
      - 2
      - 0
    .max_flat_workgroup_size: 128
    .name:           _ZN7rocprim17ROCPRIM_400000_NS6detail17trampoline_kernelINS0_14default_configENS1_25partition_config_selectorILNS1_17partition_subalgoE9EllbEEZZNS1_14partition_implILS5_9ELb0ES3_jPlS8_PNS0_10empty_typeENS0_5tupleIJS8_S9_EEENSB_IJS8_SA_EEENS0_18inequality_wrapperIZN2at6native12_GLOBAL__N_124unique_dim_cuda_templateIaEESt5tupleIJNSF_6TensorESK_SK_EERKSK_lbbbEUlllE0_EEPmJS9_EEE10hipError_tPvRmT3_T4_T5_T6_T7_T9_mT8_P12ihipStream_tbDpT10_ENKUlT_T0_E_clISt17integral_constantIbLb1EES1A_EEDaS15_S16_EUlS15_E_NS1_11comp_targetILNS1_3genE3ELNS1_11target_archE908ELNS1_3gpuE7ELNS1_3repE0EEENS1_30default_config_static_selectorELNS0_4arch9wavefront6targetE0EEEvT1_
    .private_segment_fixed_size: 0
    .sgpr_count:     0
    .sgpr_spill_count: 0
    .symbol:         _ZN7rocprim17ROCPRIM_400000_NS6detail17trampoline_kernelINS0_14default_configENS1_25partition_config_selectorILNS1_17partition_subalgoE9EllbEEZZNS1_14partition_implILS5_9ELb0ES3_jPlS8_PNS0_10empty_typeENS0_5tupleIJS8_S9_EEENSB_IJS8_SA_EEENS0_18inequality_wrapperIZN2at6native12_GLOBAL__N_124unique_dim_cuda_templateIaEESt5tupleIJNSF_6TensorESK_SK_EERKSK_lbbbEUlllE0_EEPmJS9_EEE10hipError_tPvRmT3_T4_T5_T6_T7_T9_mT8_P12ihipStream_tbDpT10_ENKUlT_T0_E_clISt17integral_constantIbLb1EES1A_EEDaS15_S16_EUlS15_E_NS1_11comp_targetILNS1_3genE3ELNS1_11target_archE908ELNS1_3gpuE7ELNS1_3repE0EEENS1_30default_config_static_selectorELNS0_4arch9wavefront6targetE0EEEvT1_.kd
    .uniform_work_group_size: 1
    .uses_dynamic_stack: false
    .vgpr_count:     0
    .vgpr_spill_count: 0
    .wavefront_size: 32
    .workgroup_processor_mode: 1
  - .args:
      - .offset:         0
        .size:           136
        .value_kind:     by_value
    .group_segment_fixed_size: 0
    .kernarg_segment_align: 8
    .kernarg_segment_size: 136
    .language:       OpenCL C
    .language_version:
      - 2
      - 0
    .max_flat_workgroup_size: 192
    .name:           _ZN7rocprim17ROCPRIM_400000_NS6detail17trampoline_kernelINS0_14default_configENS1_25partition_config_selectorILNS1_17partition_subalgoE9EllbEEZZNS1_14partition_implILS5_9ELb0ES3_jPlS8_PNS0_10empty_typeENS0_5tupleIJS8_S9_EEENSB_IJS8_SA_EEENS0_18inequality_wrapperIZN2at6native12_GLOBAL__N_124unique_dim_cuda_templateIaEESt5tupleIJNSF_6TensorESK_SK_EERKSK_lbbbEUlllE0_EEPmJS9_EEE10hipError_tPvRmT3_T4_T5_T6_T7_T9_mT8_P12ihipStream_tbDpT10_ENKUlT_T0_E_clISt17integral_constantIbLb1EES1A_EEDaS15_S16_EUlS15_E_NS1_11comp_targetILNS1_3genE2ELNS1_11target_archE906ELNS1_3gpuE6ELNS1_3repE0EEENS1_30default_config_static_selectorELNS0_4arch9wavefront6targetE0EEEvT1_
    .private_segment_fixed_size: 0
    .sgpr_count:     0
    .sgpr_spill_count: 0
    .symbol:         _ZN7rocprim17ROCPRIM_400000_NS6detail17trampoline_kernelINS0_14default_configENS1_25partition_config_selectorILNS1_17partition_subalgoE9EllbEEZZNS1_14partition_implILS5_9ELb0ES3_jPlS8_PNS0_10empty_typeENS0_5tupleIJS8_S9_EEENSB_IJS8_SA_EEENS0_18inequality_wrapperIZN2at6native12_GLOBAL__N_124unique_dim_cuda_templateIaEESt5tupleIJNSF_6TensorESK_SK_EERKSK_lbbbEUlllE0_EEPmJS9_EEE10hipError_tPvRmT3_T4_T5_T6_T7_T9_mT8_P12ihipStream_tbDpT10_ENKUlT_T0_E_clISt17integral_constantIbLb1EES1A_EEDaS15_S16_EUlS15_E_NS1_11comp_targetILNS1_3genE2ELNS1_11target_archE906ELNS1_3gpuE6ELNS1_3repE0EEENS1_30default_config_static_selectorELNS0_4arch9wavefront6targetE0EEEvT1_.kd
    .uniform_work_group_size: 1
    .uses_dynamic_stack: false
    .vgpr_count:     0
    .vgpr_spill_count: 0
    .wavefront_size: 32
    .workgroup_processor_mode: 1
  - .args:
      - .offset:         0
        .size:           136
        .value_kind:     by_value
    .group_segment_fixed_size: 0
    .kernarg_segment_align: 8
    .kernarg_segment_size: 136
    .language:       OpenCL C
    .language_version:
      - 2
      - 0
    .max_flat_workgroup_size: 384
    .name:           _ZN7rocprim17ROCPRIM_400000_NS6detail17trampoline_kernelINS0_14default_configENS1_25partition_config_selectorILNS1_17partition_subalgoE9EllbEEZZNS1_14partition_implILS5_9ELb0ES3_jPlS8_PNS0_10empty_typeENS0_5tupleIJS8_S9_EEENSB_IJS8_SA_EEENS0_18inequality_wrapperIZN2at6native12_GLOBAL__N_124unique_dim_cuda_templateIaEESt5tupleIJNSF_6TensorESK_SK_EERKSK_lbbbEUlllE0_EEPmJS9_EEE10hipError_tPvRmT3_T4_T5_T6_T7_T9_mT8_P12ihipStream_tbDpT10_ENKUlT_T0_E_clISt17integral_constantIbLb1EES1A_EEDaS15_S16_EUlS15_E_NS1_11comp_targetILNS1_3genE10ELNS1_11target_archE1200ELNS1_3gpuE4ELNS1_3repE0EEENS1_30default_config_static_selectorELNS0_4arch9wavefront6targetE0EEEvT1_
    .private_segment_fixed_size: 0
    .sgpr_count:     0
    .sgpr_spill_count: 0
    .symbol:         _ZN7rocprim17ROCPRIM_400000_NS6detail17trampoline_kernelINS0_14default_configENS1_25partition_config_selectorILNS1_17partition_subalgoE9EllbEEZZNS1_14partition_implILS5_9ELb0ES3_jPlS8_PNS0_10empty_typeENS0_5tupleIJS8_S9_EEENSB_IJS8_SA_EEENS0_18inequality_wrapperIZN2at6native12_GLOBAL__N_124unique_dim_cuda_templateIaEESt5tupleIJNSF_6TensorESK_SK_EERKSK_lbbbEUlllE0_EEPmJS9_EEE10hipError_tPvRmT3_T4_T5_T6_T7_T9_mT8_P12ihipStream_tbDpT10_ENKUlT_T0_E_clISt17integral_constantIbLb1EES1A_EEDaS15_S16_EUlS15_E_NS1_11comp_targetILNS1_3genE10ELNS1_11target_archE1200ELNS1_3gpuE4ELNS1_3repE0EEENS1_30default_config_static_selectorELNS0_4arch9wavefront6targetE0EEEvT1_.kd
    .uniform_work_group_size: 1
    .uses_dynamic_stack: false
    .vgpr_count:     0
    .vgpr_spill_count: 0
    .wavefront_size: 32
    .workgroup_processor_mode: 1
  - .args:
      - .offset:         0
        .size:           136
        .value_kind:     by_value
    .group_segment_fixed_size: 33804
    .kernarg_segment_align: 8
    .kernarg_segment_size: 136
    .language:       OpenCL C
    .language_version:
      - 2
      - 0
    .max_flat_workgroup_size: 512
    .name:           _ZN7rocprim17ROCPRIM_400000_NS6detail17trampoline_kernelINS0_14default_configENS1_25partition_config_selectorILNS1_17partition_subalgoE9EllbEEZZNS1_14partition_implILS5_9ELb0ES3_jPlS8_PNS0_10empty_typeENS0_5tupleIJS8_S9_EEENSB_IJS8_SA_EEENS0_18inequality_wrapperIZN2at6native12_GLOBAL__N_124unique_dim_cuda_templateIaEESt5tupleIJNSF_6TensorESK_SK_EERKSK_lbbbEUlllE0_EEPmJS9_EEE10hipError_tPvRmT3_T4_T5_T6_T7_T9_mT8_P12ihipStream_tbDpT10_ENKUlT_T0_E_clISt17integral_constantIbLb1EES1A_EEDaS15_S16_EUlS15_E_NS1_11comp_targetILNS1_3genE9ELNS1_11target_archE1100ELNS1_3gpuE3ELNS1_3repE0EEENS1_30default_config_static_selectorELNS0_4arch9wavefront6targetE0EEEvT1_
    .private_segment_fixed_size: 0
    .sgpr_count:     42
    .sgpr_spill_count: 0
    .symbol:         _ZN7rocprim17ROCPRIM_400000_NS6detail17trampoline_kernelINS0_14default_configENS1_25partition_config_selectorILNS1_17partition_subalgoE9EllbEEZZNS1_14partition_implILS5_9ELb0ES3_jPlS8_PNS0_10empty_typeENS0_5tupleIJS8_S9_EEENSB_IJS8_SA_EEENS0_18inequality_wrapperIZN2at6native12_GLOBAL__N_124unique_dim_cuda_templateIaEESt5tupleIJNSF_6TensorESK_SK_EERKSK_lbbbEUlllE0_EEPmJS9_EEE10hipError_tPvRmT3_T4_T5_T6_T7_T9_mT8_P12ihipStream_tbDpT10_ENKUlT_T0_E_clISt17integral_constantIbLb1EES1A_EEDaS15_S16_EUlS15_E_NS1_11comp_targetILNS1_3genE9ELNS1_11target_archE1100ELNS1_3gpuE3ELNS1_3repE0EEENS1_30default_config_static_selectorELNS0_4arch9wavefront6targetE0EEEvT1_.kd
    .uniform_work_group_size: 1
    .uses_dynamic_stack: false
    .vgpr_count:     68
    .vgpr_spill_count: 0
    .wavefront_size: 32
    .workgroup_processor_mode: 1
  - .args:
      - .offset:         0
        .size:           136
        .value_kind:     by_value
    .group_segment_fixed_size: 0
    .kernarg_segment_align: 8
    .kernarg_segment_size: 136
    .language:       OpenCL C
    .language_version:
      - 2
      - 0
    .max_flat_workgroup_size: 512
    .name:           _ZN7rocprim17ROCPRIM_400000_NS6detail17trampoline_kernelINS0_14default_configENS1_25partition_config_selectorILNS1_17partition_subalgoE9EllbEEZZNS1_14partition_implILS5_9ELb0ES3_jPlS8_PNS0_10empty_typeENS0_5tupleIJS8_S9_EEENSB_IJS8_SA_EEENS0_18inequality_wrapperIZN2at6native12_GLOBAL__N_124unique_dim_cuda_templateIaEESt5tupleIJNSF_6TensorESK_SK_EERKSK_lbbbEUlllE0_EEPmJS9_EEE10hipError_tPvRmT3_T4_T5_T6_T7_T9_mT8_P12ihipStream_tbDpT10_ENKUlT_T0_E_clISt17integral_constantIbLb1EES1A_EEDaS15_S16_EUlS15_E_NS1_11comp_targetILNS1_3genE8ELNS1_11target_archE1030ELNS1_3gpuE2ELNS1_3repE0EEENS1_30default_config_static_selectorELNS0_4arch9wavefront6targetE0EEEvT1_
    .private_segment_fixed_size: 0
    .sgpr_count:     0
    .sgpr_spill_count: 0
    .symbol:         _ZN7rocprim17ROCPRIM_400000_NS6detail17trampoline_kernelINS0_14default_configENS1_25partition_config_selectorILNS1_17partition_subalgoE9EllbEEZZNS1_14partition_implILS5_9ELb0ES3_jPlS8_PNS0_10empty_typeENS0_5tupleIJS8_S9_EEENSB_IJS8_SA_EEENS0_18inequality_wrapperIZN2at6native12_GLOBAL__N_124unique_dim_cuda_templateIaEESt5tupleIJNSF_6TensorESK_SK_EERKSK_lbbbEUlllE0_EEPmJS9_EEE10hipError_tPvRmT3_T4_T5_T6_T7_T9_mT8_P12ihipStream_tbDpT10_ENKUlT_T0_E_clISt17integral_constantIbLb1EES1A_EEDaS15_S16_EUlS15_E_NS1_11comp_targetILNS1_3genE8ELNS1_11target_archE1030ELNS1_3gpuE2ELNS1_3repE0EEENS1_30default_config_static_selectorELNS0_4arch9wavefront6targetE0EEEvT1_.kd
    .uniform_work_group_size: 1
    .uses_dynamic_stack: false
    .vgpr_count:     0
    .vgpr_spill_count: 0
    .wavefront_size: 32
    .workgroup_processor_mode: 1
  - .args:
      - .offset:         0
        .size:           120
        .value_kind:     by_value
    .group_segment_fixed_size: 0
    .kernarg_segment_align: 8
    .kernarg_segment_size: 120
    .language:       OpenCL C
    .language_version:
      - 2
      - 0
    .max_flat_workgroup_size: 128
    .name:           _ZN7rocprim17ROCPRIM_400000_NS6detail17trampoline_kernelINS0_14default_configENS1_25partition_config_selectorILNS1_17partition_subalgoE9EllbEEZZNS1_14partition_implILS5_9ELb0ES3_jPlS8_PNS0_10empty_typeENS0_5tupleIJS8_S9_EEENSB_IJS8_SA_EEENS0_18inequality_wrapperIZN2at6native12_GLOBAL__N_124unique_dim_cuda_templateIaEESt5tupleIJNSF_6TensorESK_SK_EERKSK_lbbbEUlllE0_EEPmJS9_EEE10hipError_tPvRmT3_T4_T5_T6_T7_T9_mT8_P12ihipStream_tbDpT10_ENKUlT_T0_E_clISt17integral_constantIbLb1EES19_IbLb0EEEEDaS15_S16_EUlS15_E_NS1_11comp_targetILNS1_3genE0ELNS1_11target_archE4294967295ELNS1_3gpuE0ELNS1_3repE0EEENS1_30default_config_static_selectorELNS0_4arch9wavefront6targetE0EEEvT1_
    .private_segment_fixed_size: 0
    .sgpr_count:     0
    .sgpr_spill_count: 0
    .symbol:         _ZN7rocprim17ROCPRIM_400000_NS6detail17trampoline_kernelINS0_14default_configENS1_25partition_config_selectorILNS1_17partition_subalgoE9EllbEEZZNS1_14partition_implILS5_9ELb0ES3_jPlS8_PNS0_10empty_typeENS0_5tupleIJS8_S9_EEENSB_IJS8_SA_EEENS0_18inequality_wrapperIZN2at6native12_GLOBAL__N_124unique_dim_cuda_templateIaEESt5tupleIJNSF_6TensorESK_SK_EERKSK_lbbbEUlllE0_EEPmJS9_EEE10hipError_tPvRmT3_T4_T5_T6_T7_T9_mT8_P12ihipStream_tbDpT10_ENKUlT_T0_E_clISt17integral_constantIbLb1EES19_IbLb0EEEEDaS15_S16_EUlS15_E_NS1_11comp_targetILNS1_3genE0ELNS1_11target_archE4294967295ELNS1_3gpuE0ELNS1_3repE0EEENS1_30default_config_static_selectorELNS0_4arch9wavefront6targetE0EEEvT1_.kd
    .uniform_work_group_size: 1
    .uses_dynamic_stack: false
    .vgpr_count:     0
    .vgpr_spill_count: 0
    .wavefront_size: 32
    .workgroup_processor_mode: 1
  - .args:
      - .offset:         0
        .size:           120
        .value_kind:     by_value
    .group_segment_fixed_size: 0
    .kernarg_segment_align: 8
    .kernarg_segment_size: 120
    .language:       OpenCL C
    .language_version:
      - 2
      - 0
    .max_flat_workgroup_size: 512
    .name:           _ZN7rocprim17ROCPRIM_400000_NS6detail17trampoline_kernelINS0_14default_configENS1_25partition_config_selectorILNS1_17partition_subalgoE9EllbEEZZNS1_14partition_implILS5_9ELb0ES3_jPlS8_PNS0_10empty_typeENS0_5tupleIJS8_S9_EEENSB_IJS8_SA_EEENS0_18inequality_wrapperIZN2at6native12_GLOBAL__N_124unique_dim_cuda_templateIaEESt5tupleIJNSF_6TensorESK_SK_EERKSK_lbbbEUlllE0_EEPmJS9_EEE10hipError_tPvRmT3_T4_T5_T6_T7_T9_mT8_P12ihipStream_tbDpT10_ENKUlT_T0_E_clISt17integral_constantIbLb1EES19_IbLb0EEEEDaS15_S16_EUlS15_E_NS1_11comp_targetILNS1_3genE5ELNS1_11target_archE942ELNS1_3gpuE9ELNS1_3repE0EEENS1_30default_config_static_selectorELNS0_4arch9wavefront6targetE0EEEvT1_
    .private_segment_fixed_size: 0
    .sgpr_count:     0
    .sgpr_spill_count: 0
    .symbol:         _ZN7rocprim17ROCPRIM_400000_NS6detail17trampoline_kernelINS0_14default_configENS1_25partition_config_selectorILNS1_17partition_subalgoE9EllbEEZZNS1_14partition_implILS5_9ELb0ES3_jPlS8_PNS0_10empty_typeENS0_5tupleIJS8_S9_EEENSB_IJS8_SA_EEENS0_18inequality_wrapperIZN2at6native12_GLOBAL__N_124unique_dim_cuda_templateIaEESt5tupleIJNSF_6TensorESK_SK_EERKSK_lbbbEUlllE0_EEPmJS9_EEE10hipError_tPvRmT3_T4_T5_T6_T7_T9_mT8_P12ihipStream_tbDpT10_ENKUlT_T0_E_clISt17integral_constantIbLb1EES19_IbLb0EEEEDaS15_S16_EUlS15_E_NS1_11comp_targetILNS1_3genE5ELNS1_11target_archE942ELNS1_3gpuE9ELNS1_3repE0EEENS1_30default_config_static_selectorELNS0_4arch9wavefront6targetE0EEEvT1_.kd
    .uniform_work_group_size: 1
    .uses_dynamic_stack: false
    .vgpr_count:     0
    .vgpr_spill_count: 0
    .wavefront_size: 32
    .workgroup_processor_mode: 1
  - .args:
      - .offset:         0
        .size:           120
        .value_kind:     by_value
    .group_segment_fixed_size: 0
    .kernarg_segment_align: 8
    .kernarg_segment_size: 120
    .language:       OpenCL C
    .language_version:
      - 2
      - 0
    .max_flat_workgroup_size: 128
    .name:           _ZN7rocprim17ROCPRIM_400000_NS6detail17trampoline_kernelINS0_14default_configENS1_25partition_config_selectorILNS1_17partition_subalgoE9EllbEEZZNS1_14partition_implILS5_9ELb0ES3_jPlS8_PNS0_10empty_typeENS0_5tupleIJS8_S9_EEENSB_IJS8_SA_EEENS0_18inequality_wrapperIZN2at6native12_GLOBAL__N_124unique_dim_cuda_templateIaEESt5tupleIJNSF_6TensorESK_SK_EERKSK_lbbbEUlllE0_EEPmJS9_EEE10hipError_tPvRmT3_T4_T5_T6_T7_T9_mT8_P12ihipStream_tbDpT10_ENKUlT_T0_E_clISt17integral_constantIbLb1EES19_IbLb0EEEEDaS15_S16_EUlS15_E_NS1_11comp_targetILNS1_3genE4ELNS1_11target_archE910ELNS1_3gpuE8ELNS1_3repE0EEENS1_30default_config_static_selectorELNS0_4arch9wavefront6targetE0EEEvT1_
    .private_segment_fixed_size: 0
    .sgpr_count:     0
    .sgpr_spill_count: 0
    .symbol:         _ZN7rocprim17ROCPRIM_400000_NS6detail17trampoline_kernelINS0_14default_configENS1_25partition_config_selectorILNS1_17partition_subalgoE9EllbEEZZNS1_14partition_implILS5_9ELb0ES3_jPlS8_PNS0_10empty_typeENS0_5tupleIJS8_S9_EEENSB_IJS8_SA_EEENS0_18inequality_wrapperIZN2at6native12_GLOBAL__N_124unique_dim_cuda_templateIaEESt5tupleIJNSF_6TensorESK_SK_EERKSK_lbbbEUlllE0_EEPmJS9_EEE10hipError_tPvRmT3_T4_T5_T6_T7_T9_mT8_P12ihipStream_tbDpT10_ENKUlT_T0_E_clISt17integral_constantIbLb1EES19_IbLb0EEEEDaS15_S16_EUlS15_E_NS1_11comp_targetILNS1_3genE4ELNS1_11target_archE910ELNS1_3gpuE8ELNS1_3repE0EEENS1_30default_config_static_selectorELNS0_4arch9wavefront6targetE0EEEvT1_.kd
    .uniform_work_group_size: 1
    .uses_dynamic_stack: false
    .vgpr_count:     0
    .vgpr_spill_count: 0
    .wavefront_size: 32
    .workgroup_processor_mode: 1
  - .args:
      - .offset:         0
        .size:           120
        .value_kind:     by_value
    .group_segment_fixed_size: 0
    .kernarg_segment_align: 8
    .kernarg_segment_size: 120
    .language:       OpenCL C
    .language_version:
      - 2
      - 0
    .max_flat_workgroup_size: 128
    .name:           _ZN7rocprim17ROCPRIM_400000_NS6detail17trampoline_kernelINS0_14default_configENS1_25partition_config_selectorILNS1_17partition_subalgoE9EllbEEZZNS1_14partition_implILS5_9ELb0ES3_jPlS8_PNS0_10empty_typeENS0_5tupleIJS8_S9_EEENSB_IJS8_SA_EEENS0_18inequality_wrapperIZN2at6native12_GLOBAL__N_124unique_dim_cuda_templateIaEESt5tupleIJNSF_6TensorESK_SK_EERKSK_lbbbEUlllE0_EEPmJS9_EEE10hipError_tPvRmT3_T4_T5_T6_T7_T9_mT8_P12ihipStream_tbDpT10_ENKUlT_T0_E_clISt17integral_constantIbLb1EES19_IbLb0EEEEDaS15_S16_EUlS15_E_NS1_11comp_targetILNS1_3genE3ELNS1_11target_archE908ELNS1_3gpuE7ELNS1_3repE0EEENS1_30default_config_static_selectorELNS0_4arch9wavefront6targetE0EEEvT1_
    .private_segment_fixed_size: 0
    .sgpr_count:     0
    .sgpr_spill_count: 0
    .symbol:         _ZN7rocprim17ROCPRIM_400000_NS6detail17trampoline_kernelINS0_14default_configENS1_25partition_config_selectorILNS1_17partition_subalgoE9EllbEEZZNS1_14partition_implILS5_9ELb0ES3_jPlS8_PNS0_10empty_typeENS0_5tupleIJS8_S9_EEENSB_IJS8_SA_EEENS0_18inequality_wrapperIZN2at6native12_GLOBAL__N_124unique_dim_cuda_templateIaEESt5tupleIJNSF_6TensorESK_SK_EERKSK_lbbbEUlllE0_EEPmJS9_EEE10hipError_tPvRmT3_T4_T5_T6_T7_T9_mT8_P12ihipStream_tbDpT10_ENKUlT_T0_E_clISt17integral_constantIbLb1EES19_IbLb0EEEEDaS15_S16_EUlS15_E_NS1_11comp_targetILNS1_3genE3ELNS1_11target_archE908ELNS1_3gpuE7ELNS1_3repE0EEENS1_30default_config_static_selectorELNS0_4arch9wavefront6targetE0EEEvT1_.kd
    .uniform_work_group_size: 1
    .uses_dynamic_stack: false
    .vgpr_count:     0
    .vgpr_spill_count: 0
    .wavefront_size: 32
    .workgroup_processor_mode: 1
  - .args:
      - .offset:         0
        .size:           120
        .value_kind:     by_value
    .group_segment_fixed_size: 0
    .kernarg_segment_align: 8
    .kernarg_segment_size: 120
    .language:       OpenCL C
    .language_version:
      - 2
      - 0
    .max_flat_workgroup_size: 192
    .name:           _ZN7rocprim17ROCPRIM_400000_NS6detail17trampoline_kernelINS0_14default_configENS1_25partition_config_selectorILNS1_17partition_subalgoE9EllbEEZZNS1_14partition_implILS5_9ELb0ES3_jPlS8_PNS0_10empty_typeENS0_5tupleIJS8_S9_EEENSB_IJS8_SA_EEENS0_18inequality_wrapperIZN2at6native12_GLOBAL__N_124unique_dim_cuda_templateIaEESt5tupleIJNSF_6TensorESK_SK_EERKSK_lbbbEUlllE0_EEPmJS9_EEE10hipError_tPvRmT3_T4_T5_T6_T7_T9_mT8_P12ihipStream_tbDpT10_ENKUlT_T0_E_clISt17integral_constantIbLb1EES19_IbLb0EEEEDaS15_S16_EUlS15_E_NS1_11comp_targetILNS1_3genE2ELNS1_11target_archE906ELNS1_3gpuE6ELNS1_3repE0EEENS1_30default_config_static_selectorELNS0_4arch9wavefront6targetE0EEEvT1_
    .private_segment_fixed_size: 0
    .sgpr_count:     0
    .sgpr_spill_count: 0
    .symbol:         _ZN7rocprim17ROCPRIM_400000_NS6detail17trampoline_kernelINS0_14default_configENS1_25partition_config_selectorILNS1_17partition_subalgoE9EllbEEZZNS1_14partition_implILS5_9ELb0ES3_jPlS8_PNS0_10empty_typeENS0_5tupleIJS8_S9_EEENSB_IJS8_SA_EEENS0_18inequality_wrapperIZN2at6native12_GLOBAL__N_124unique_dim_cuda_templateIaEESt5tupleIJNSF_6TensorESK_SK_EERKSK_lbbbEUlllE0_EEPmJS9_EEE10hipError_tPvRmT3_T4_T5_T6_T7_T9_mT8_P12ihipStream_tbDpT10_ENKUlT_T0_E_clISt17integral_constantIbLb1EES19_IbLb0EEEEDaS15_S16_EUlS15_E_NS1_11comp_targetILNS1_3genE2ELNS1_11target_archE906ELNS1_3gpuE6ELNS1_3repE0EEENS1_30default_config_static_selectorELNS0_4arch9wavefront6targetE0EEEvT1_.kd
    .uniform_work_group_size: 1
    .uses_dynamic_stack: false
    .vgpr_count:     0
    .vgpr_spill_count: 0
    .wavefront_size: 32
    .workgroup_processor_mode: 1
  - .args:
      - .offset:         0
        .size:           120
        .value_kind:     by_value
    .group_segment_fixed_size: 0
    .kernarg_segment_align: 8
    .kernarg_segment_size: 120
    .language:       OpenCL C
    .language_version:
      - 2
      - 0
    .max_flat_workgroup_size: 384
    .name:           _ZN7rocprim17ROCPRIM_400000_NS6detail17trampoline_kernelINS0_14default_configENS1_25partition_config_selectorILNS1_17partition_subalgoE9EllbEEZZNS1_14partition_implILS5_9ELb0ES3_jPlS8_PNS0_10empty_typeENS0_5tupleIJS8_S9_EEENSB_IJS8_SA_EEENS0_18inequality_wrapperIZN2at6native12_GLOBAL__N_124unique_dim_cuda_templateIaEESt5tupleIJNSF_6TensorESK_SK_EERKSK_lbbbEUlllE0_EEPmJS9_EEE10hipError_tPvRmT3_T4_T5_T6_T7_T9_mT8_P12ihipStream_tbDpT10_ENKUlT_T0_E_clISt17integral_constantIbLb1EES19_IbLb0EEEEDaS15_S16_EUlS15_E_NS1_11comp_targetILNS1_3genE10ELNS1_11target_archE1200ELNS1_3gpuE4ELNS1_3repE0EEENS1_30default_config_static_selectorELNS0_4arch9wavefront6targetE0EEEvT1_
    .private_segment_fixed_size: 0
    .sgpr_count:     0
    .sgpr_spill_count: 0
    .symbol:         _ZN7rocprim17ROCPRIM_400000_NS6detail17trampoline_kernelINS0_14default_configENS1_25partition_config_selectorILNS1_17partition_subalgoE9EllbEEZZNS1_14partition_implILS5_9ELb0ES3_jPlS8_PNS0_10empty_typeENS0_5tupleIJS8_S9_EEENSB_IJS8_SA_EEENS0_18inequality_wrapperIZN2at6native12_GLOBAL__N_124unique_dim_cuda_templateIaEESt5tupleIJNSF_6TensorESK_SK_EERKSK_lbbbEUlllE0_EEPmJS9_EEE10hipError_tPvRmT3_T4_T5_T6_T7_T9_mT8_P12ihipStream_tbDpT10_ENKUlT_T0_E_clISt17integral_constantIbLb1EES19_IbLb0EEEEDaS15_S16_EUlS15_E_NS1_11comp_targetILNS1_3genE10ELNS1_11target_archE1200ELNS1_3gpuE4ELNS1_3repE0EEENS1_30default_config_static_selectorELNS0_4arch9wavefront6targetE0EEEvT1_.kd
    .uniform_work_group_size: 1
    .uses_dynamic_stack: false
    .vgpr_count:     0
    .vgpr_spill_count: 0
    .wavefront_size: 32
    .workgroup_processor_mode: 1
  - .args:
      - .offset:         0
        .size:           120
        .value_kind:     by_value
    .group_segment_fixed_size: 33804
    .kernarg_segment_align: 8
    .kernarg_segment_size: 120
    .language:       OpenCL C
    .language_version:
      - 2
      - 0
    .max_flat_workgroup_size: 512
    .name:           _ZN7rocprim17ROCPRIM_400000_NS6detail17trampoline_kernelINS0_14default_configENS1_25partition_config_selectorILNS1_17partition_subalgoE9EllbEEZZNS1_14partition_implILS5_9ELb0ES3_jPlS8_PNS0_10empty_typeENS0_5tupleIJS8_S9_EEENSB_IJS8_SA_EEENS0_18inequality_wrapperIZN2at6native12_GLOBAL__N_124unique_dim_cuda_templateIaEESt5tupleIJNSF_6TensorESK_SK_EERKSK_lbbbEUlllE0_EEPmJS9_EEE10hipError_tPvRmT3_T4_T5_T6_T7_T9_mT8_P12ihipStream_tbDpT10_ENKUlT_T0_E_clISt17integral_constantIbLb1EES19_IbLb0EEEEDaS15_S16_EUlS15_E_NS1_11comp_targetILNS1_3genE9ELNS1_11target_archE1100ELNS1_3gpuE3ELNS1_3repE0EEENS1_30default_config_static_selectorELNS0_4arch9wavefront6targetE0EEEvT1_
    .private_segment_fixed_size: 0
    .sgpr_count:     38
    .sgpr_spill_count: 0
    .symbol:         _ZN7rocprim17ROCPRIM_400000_NS6detail17trampoline_kernelINS0_14default_configENS1_25partition_config_selectorILNS1_17partition_subalgoE9EllbEEZZNS1_14partition_implILS5_9ELb0ES3_jPlS8_PNS0_10empty_typeENS0_5tupleIJS8_S9_EEENSB_IJS8_SA_EEENS0_18inequality_wrapperIZN2at6native12_GLOBAL__N_124unique_dim_cuda_templateIaEESt5tupleIJNSF_6TensorESK_SK_EERKSK_lbbbEUlllE0_EEPmJS9_EEE10hipError_tPvRmT3_T4_T5_T6_T7_T9_mT8_P12ihipStream_tbDpT10_ENKUlT_T0_E_clISt17integral_constantIbLb1EES19_IbLb0EEEEDaS15_S16_EUlS15_E_NS1_11comp_targetILNS1_3genE9ELNS1_11target_archE1100ELNS1_3gpuE3ELNS1_3repE0EEENS1_30default_config_static_selectorELNS0_4arch9wavefront6targetE0EEEvT1_.kd
    .uniform_work_group_size: 1
    .uses_dynamic_stack: false
    .vgpr_count:     68
    .vgpr_spill_count: 0
    .wavefront_size: 32
    .workgroup_processor_mode: 1
  - .args:
      - .offset:         0
        .size:           120
        .value_kind:     by_value
    .group_segment_fixed_size: 0
    .kernarg_segment_align: 8
    .kernarg_segment_size: 120
    .language:       OpenCL C
    .language_version:
      - 2
      - 0
    .max_flat_workgroup_size: 512
    .name:           _ZN7rocprim17ROCPRIM_400000_NS6detail17trampoline_kernelINS0_14default_configENS1_25partition_config_selectorILNS1_17partition_subalgoE9EllbEEZZNS1_14partition_implILS5_9ELb0ES3_jPlS8_PNS0_10empty_typeENS0_5tupleIJS8_S9_EEENSB_IJS8_SA_EEENS0_18inequality_wrapperIZN2at6native12_GLOBAL__N_124unique_dim_cuda_templateIaEESt5tupleIJNSF_6TensorESK_SK_EERKSK_lbbbEUlllE0_EEPmJS9_EEE10hipError_tPvRmT3_T4_T5_T6_T7_T9_mT8_P12ihipStream_tbDpT10_ENKUlT_T0_E_clISt17integral_constantIbLb1EES19_IbLb0EEEEDaS15_S16_EUlS15_E_NS1_11comp_targetILNS1_3genE8ELNS1_11target_archE1030ELNS1_3gpuE2ELNS1_3repE0EEENS1_30default_config_static_selectorELNS0_4arch9wavefront6targetE0EEEvT1_
    .private_segment_fixed_size: 0
    .sgpr_count:     0
    .sgpr_spill_count: 0
    .symbol:         _ZN7rocprim17ROCPRIM_400000_NS6detail17trampoline_kernelINS0_14default_configENS1_25partition_config_selectorILNS1_17partition_subalgoE9EllbEEZZNS1_14partition_implILS5_9ELb0ES3_jPlS8_PNS0_10empty_typeENS0_5tupleIJS8_S9_EEENSB_IJS8_SA_EEENS0_18inequality_wrapperIZN2at6native12_GLOBAL__N_124unique_dim_cuda_templateIaEESt5tupleIJNSF_6TensorESK_SK_EERKSK_lbbbEUlllE0_EEPmJS9_EEE10hipError_tPvRmT3_T4_T5_T6_T7_T9_mT8_P12ihipStream_tbDpT10_ENKUlT_T0_E_clISt17integral_constantIbLb1EES19_IbLb0EEEEDaS15_S16_EUlS15_E_NS1_11comp_targetILNS1_3genE8ELNS1_11target_archE1030ELNS1_3gpuE2ELNS1_3repE0EEENS1_30default_config_static_selectorELNS0_4arch9wavefront6targetE0EEEvT1_.kd
    .uniform_work_group_size: 1
    .uses_dynamic_stack: false
    .vgpr_count:     0
    .vgpr_spill_count: 0
    .wavefront_size: 32
    .workgroup_processor_mode: 1
  - .args:
      - .offset:         0
        .size:           136
        .value_kind:     by_value
    .group_segment_fixed_size: 0
    .kernarg_segment_align: 8
    .kernarg_segment_size: 136
    .language:       OpenCL C
    .language_version:
      - 2
      - 0
    .max_flat_workgroup_size: 128
    .name:           _ZN7rocprim17ROCPRIM_400000_NS6detail17trampoline_kernelINS0_14default_configENS1_25partition_config_selectorILNS1_17partition_subalgoE9EllbEEZZNS1_14partition_implILS5_9ELb0ES3_jPlS8_PNS0_10empty_typeENS0_5tupleIJS8_S9_EEENSB_IJS8_SA_EEENS0_18inequality_wrapperIZN2at6native12_GLOBAL__N_124unique_dim_cuda_templateIaEESt5tupleIJNSF_6TensorESK_SK_EERKSK_lbbbEUlllE0_EEPmJS9_EEE10hipError_tPvRmT3_T4_T5_T6_T7_T9_mT8_P12ihipStream_tbDpT10_ENKUlT_T0_E_clISt17integral_constantIbLb0EES19_IbLb1EEEEDaS15_S16_EUlS15_E_NS1_11comp_targetILNS1_3genE0ELNS1_11target_archE4294967295ELNS1_3gpuE0ELNS1_3repE0EEENS1_30default_config_static_selectorELNS0_4arch9wavefront6targetE0EEEvT1_
    .private_segment_fixed_size: 0
    .sgpr_count:     0
    .sgpr_spill_count: 0
    .symbol:         _ZN7rocprim17ROCPRIM_400000_NS6detail17trampoline_kernelINS0_14default_configENS1_25partition_config_selectorILNS1_17partition_subalgoE9EllbEEZZNS1_14partition_implILS5_9ELb0ES3_jPlS8_PNS0_10empty_typeENS0_5tupleIJS8_S9_EEENSB_IJS8_SA_EEENS0_18inequality_wrapperIZN2at6native12_GLOBAL__N_124unique_dim_cuda_templateIaEESt5tupleIJNSF_6TensorESK_SK_EERKSK_lbbbEUlllE0_EEPmJS9_EEE10hipError_tPvRmT3_T4_T5_T6_T7_T9_mT8_P12ihipStream_tbDpT10_ENKUlT_T0_E_clISt17integral_constantIbLb0EES19_IbLb1EEEEDaS15_S16_EUlS15_E_NS1_11comp_targetILNS1_3genE0ELNS1_11target_archE4294967295ELNS1_3gpuE0ELNS1_3repE0EEENS1_30default_config_static_selectorELNS0_4arch9wavefront6targetE0EEEvT1_.kd
    .uniform_work_group_size: 1
    .uses_dynamic_stack: false
    .vgpr_count:     0
    .vgpr_spill_count: 0
    .wavefront_size: 32
    .workgroup_processor_mode: 1
  - .args:
      - .offset:         0
        .size:           136
        .value_kind:     by_value
    .group_segment_fixed_size: 0
    .kernarg_segment_align: 8
    .kernarg_segment_size: 136
    .language:       OpenCL C
    .language_version:
      - 2
      - 0
    .max_flat_workgroup_size: 512
    .name:           _ZN7rocprim17ROCPRIM_400000_NS6detail17trampoline_kernelINS0_14default_configENS1_25partition_config_selectorILNS1_17partition_subalgoE9EllbEEZZNS1_14partition_implILS5_9ELb0ES3_jPlS8_PNS0_10empty_typeENS0_5tupleIJS8_S9_EEENSB_IJS8_SA_EEENS0_18inequality_wrapperIZN2at6native12_GLOBAL__N_124unique_dim_cuda_templateIaEESt5tupleIJNSF_6TensorESK_SK_EERKSK_lbbbEUlllE0_EEPmJS9_EEE10hipError_tPvRmT3_T4_T5_T6_T7_T9_mT8_P12ihipStream_tbDpT10_ENKUlT_T0_E_clISt17integral_constantIbLb0EES19_IbLb1EEEEDaS15_S16_EUlS15_E_NS1_11comp_targetILNS1_3genE5ELNS1_11target_archE942ELNS1_3gpuE9ELNS1_3repE0EEENS1_30default_config_static_selectorELNS0_4arch9wavefront6targetE0EEEvT1_
    .private_segment_fixed_size: 0
    .sgpr_count:     0
    .sgpr_spill_count: 0
    .symbol:         _ZN7rocprim17ROCPRIM_400000_NS6detail17trampoline_kernelINS0_14default_configENS1_25partition_config_selectorILNS1_17partition_subalgoE9EllbEEZZNS1_14partition_implILS5_9ELb0ES3_jPlS8_PNS0_10empty_typeENS0_5tupleIJS8_S9_EEENSB_IJS8_SA_EEENS0_18inequality_wrapperIZN2at6native12_GLOBAL__N_124unique_dim_cuda_templateIaEESt5tupleIJNSF_6TensorESK_SK_EERKSK_lbbbEUlllE0_EEPmJS9_EEE10hipError_tPvRmT3_T4_T5_T6_T7_T9_mT8_P12ihipStream_tbDpT10_ENKUlT_T0_E_clISt17integral_constantIbLb0EES19_IbLb1EEEEDaS15_S16_EUlS15_E_NS1_11comp_targetILNS1_3genE5ELNS1_11target_archE942ELNS1_3gpuE9ELNS1_3repE0EEENS1_30default_config_static_selectorELNS0_4arch9wavefront6targetE0EEEvT1_.kd
    .uniform_work_group_size: 1
    .uses_dynamic_stack: false
    .vgpr_count:     0
    .vgpr_spill_count: 0
    .wavefront_size: 32
    .workgroup_processor_mode: 1
  - .args:
      - .offset:         0
        .size:           136
        .value_kind:     by_value
    .group_segment_fixed_size: 0
    .kernarg_segment_align: 8
    .kernarg_segment_size: 136
    .language:       OpenCL C
    .language_version:
      - 2
      - 0
    .max_flat_workgroup_size: 128
    .name:           _ZN7rocprim17ROCPRIM_400000_NS6detail17trampoline_kernelINS0_14default_configENS1_25partition_config_selectorILNS1_17partition_subalgoE9EllbEEZZNS1_14partition_implILS5_9ELb0ES3_jPlS8_PNS0_10empty_typeENS0_5tupleIJS8_S9_EEENSB_IJS8_SA_EEENS0_18inequality_wrapperIZN2at6native12_GLOBAL__N_124unique_dim_cuda_templateIaEESt5tupleIJNSF_6TensorESK_SK_EERKSK_lbbbEUlllE0_EEPmJS9_EEE10hipError_tPvRmT3_T4_T5_T6_T7_T9_mT8_P12ihipStream_tbDpT10_ENKUlT_T0_E_clISt17integral_constantIbLb0EES19_IbLb1EEEEDaS15_S16_EUlS15_E_NS1_11comp_targetILNS1_3genE4ELNS1_11target_archE910ELNS1_3gpuE8ELNS1_3repE0EEENS1_30default_config_static_selectorELNS0_4arch9wavefront6targetE0EEEvT1_
    .private_segment_fixed_size: 0
    .sgpr_count:     0
    .sgpr_spill_count: 0
    .symbol:         _ZN7rocprim17ROCPRIM_400000_NS6detail17trampoline_kernelINS0_14default_configENS1_25partition_config_selectorILNS1_17partition_subalgoE9EllbEEZZNS1_14partition_implILS5_9ELb0ES3_jPlS8_PNS0_10empty_typeENS0_5tupleIJS8_S9_EEENSB_IJS8_SA_EEENS0_18inequality_wrapperIZN2at6native12_GLOBAL__N_124unique_dim_cuda_templateIaEESt5tupleIJNSF_6TensorESK_SK_EERKSK_lbbbEUlllE0_EEPmJS9_EEE10hipError_tPvRmT3_T4_T5_T6_T7_T9_mT8_P12ihipStream_tbDpT10_ENKUlT_T0_E_clISt17integral_constantIbLb0EES19_IbLb1EEEEDaS15_S16_EUlS15_E_NS1_11comp_targetILNS1_3genE4ELNS1_11target_archE910ELNS1_3gpuE8ELNS1_3repE0EEENS1_30default_config_static_selectorELNS0_4arch9wavefront6targetE0EEEvT1_.kd
    .uniform_work_group_size: 1
    .uses_dynamic_stack: false
    .vgpr_count:     0
    .vgpr_spill_count: 0
    .wavefront_size: 32
    .workgroup_processor_mode: 1
  - .args:
      - .offset:         0
        .size:           136
        .value_kind:     by_value
    .group_segment_fixed_size: 0
    .kernarg_segment_align: 8
    .kernarg_segment_size: 136
    .language:       OpenCL C
    .language_version:
      - 2
      - 0
    .max_flat_workgroup_size: 128
    .name:           _ZN7rocprim17ROCPRIM_400000_NS6detail17trampoline_kernelINS0_14default_configENS1_25partition_config_selectorILNS1_17partition_subalgoE9EllbEEZZNS1_14partition_implILS5_9ELb0ES3_jPlS8_PNS0_10empty_typeENS0_5tupleIJS8_S9_EEENSB_IJS8_SA_EEENS0_18inequality_wrapperIZN2at6native12_GLOBAL__N_124unique_dim_cuda_templateIaEESt5tupleIJNSF_6TensorESK_SK_EERKSK_lbbbEUlllE0_EEPmJS9_EEE10hipError_tPvRmT3_T4_T5_T6_T7_T9_mT8_P12ihipStream_tbDpT10_ENKUlT_T0_E_clISt17integral_constantIbLb0EES19_IbLb1EEEEDaS15_S16_EUlS15_E_NS1_11comp_targetILNS1_3genE3ELNS1_11target_archE908ELNS1_3gpuE7ELNS1_3repE0EEENS1_30default_config_static_selectorELNS0_4arch9wavefront6targetE0EEEvT1_
    .private_segment_fixed_size: 0
    .sgpr_count:     0
    .sgpr_spill_count: 0
    .symbol:         _ZN7rocprim17ROCPRIM_400000_NS6detail17trampoline_kernelINS0_14default_configENS1_25partition_config_selectorILNS1_17partition_subalgoE9EllbEEZZNS1_14partition_implILS5_9ELb0ES3_jPlS8_PNS0_10empty_typeENS0_5tupleIJS8_S9_EEENSB_IJS8_SA_EEENS0_18inequality_wrapperIZN2at6native12_GLOBAL__N_124unique_dim_cuda_templateIaEESt5tupleIJNSF_6TensorESK_SK_EERKSK_lbbbEUlllE0_EEPmJS9_EEE10hipError_tPvRmT3_T4_T5_T6_T7_T9_mT8_P12ihipStream_tbDpT10_ENKUlT_T0_E_clISt17integral_constantIbLb0EES19_IbLb1EEEEDaS15_S16_EUlS15_E_NS1_11comp_targetILNS1_3genE3ELNS1_11target_archE908ELNS1_3gpuE7ELNS1_3repE0EEENS1_30default_config_static_selectorELNS0_4arch9wavefront6targetE0EEEvT1_.kd
    .uniform_work_group_size: 1
    .uses_dynamic_stack: false
    .vgpr_count:     0
    .vgpr_spill_count: 0
    .wavefront_size: 32
    .workgroup_processor_mode: 1
  - .args:
      - .offset:         0
        .size:           136
        .value_kind:     by_value
    .group_segment_fixed_size: 0
    .kernarg_segment_align: 8
    .kernarg_segment_size: 136
    .language:       OpenCL C
    .language_version:
      - 2
      - 0
    .max_flat_workgroup_size: 192
    .name:           _ZN7rocprim17ROCPRIM_400000_NS6detail17trampoline_kernelINS0_14default_configENS1_25partition_config_selectorILNS1_17partition_subalgoE9EllbEEZZNS1_14partition_implILS5_9ELb0ES3_jPlS8_PNS0_10empty_typeENS0_5tupleIJS8_S9_EEENSB_IJS8_SA_EEENS0_18inequality_wrapperIZN2at6native12_GLOBAL__N_124unique_dim_cuda_templateIaEESt5tupleIJNSF_6TensorESK_SK_EERKSK_lbbbEUlllE0_EEPmJS9_EEE10hipError_tPvRmT3_T4_T5_T6_T7_T9_mT8_P12ihipStream_tbDpT10_ENKUlT_T0_E_clISt17integral_constantIbLb0EES19_IbLb1EEEEDaS15_S16_EUlS15_E_NS1_11comp_targetILNS1_3genE2ELNS1_11target_archE906ELNS1_3gpuE6ELNS1_3repE0EEENS1_30default_config_static_selectorELNS0_4arch9wavefront6targetE0EEEvT1_
    .private_segment_fixed_size: 0
    .sgpr_count:     0
    .sgpr_spill_count: 0
    .symbol:         _ZN7rocprim17ROCPRIM_400000_NS6detail17trampoline_kernelINS0_14default_configENS1_25partition_config_selectorILNS1_17partition_subalgoE9EllbEEZZNS1_14partition_implILS5_9ELb0ES3_jPlS8_PNS0_10empty_typeENS0_5tupleIJS8_S9_EEENSB_IJS8_SA_EEENS0_18inequality_wrapperIZN2at6native12_GLOBAL__N_124unique_dim_cuda_templateIaEESt5tupleIJNSF_6TensorESK_SK_EERKSK_lbbbEUlllE0_EEPmJS9_EEE10hipError_tPvRmT3_T4_T5_T6_T7_T9_mT8_P12ihipStream_tbDpT10_ENKUlT_T0_E_clISt17integral_constantIbLb0EES19_IbLb1EEEEDaS15_S16_EUlS15_E_NS1_11comp_targetILNS1_3genE2ELNS1_11target_archE906ELNS1_3gpuE6ELNS1_3repE0EEENS1_30default_config_static_selectorELNS0_4arch9wavefront6targetE0EEEvT1_.kd
    .uniform_work_group_size: 1
    .uses_dynamic_stack: false
    .vgpr_count:     0
    .vgpr_spill_count: 0
    .wavefront_size: 32
    .workgroup_processor_mode: 1
  - .args:
      - .offset:         0
        .size:           136
        .value_kind:     by_value
    .group_segment_fixed_size: 0
    .kernarg_segment_align: 8
    .kernarg_segment_size: 136
    .language:       OpenCL C
    .language_version:
      - 2
      - 0
    .max_flat_workgroup_size: 384
    .name:           _ZN7rocprim17ROCPRIM_400000_NS6detail17trampoline_kernelINS0_14default_configENS1_25partition_config_selectorILNS1_17partition_subalgoE9EllbEEZZNS1_14partition_implILS5_9ELb0ES3_jPlS8_PNS0_10empty_typeENS0_5tupleIJS8_S9_EEENSB_IJS8_SA_EEENS0_18inequality_wrapperIZN2at6native12_GLOBAL__N_124unique_dim_cuda_templateIaEESt5tupleIJNSF_6TensorESK_SK_EERKSK_lbbbEUlllE0_EEPmJS9_EEE10hipError_tPvRmT3_T4_T5_T6_T7_T9_mT8_P12ihipStream_tbDpT10_ENKUlT_T0_E_clISt17integral_constantIbLb0EES19_IbLb1EEEEDaS15_S16_EUlS15_E_NS1_11comp_targetILNS1_3genE10ELNS1_11target_archE1200ELNS1_3gpuE4ELNS1_3repE0EEENS1_30default_config_static_selectorELNS0_4arch9wavefront6targetE0EEEvT1_
    .private_segment_fixed_size: 0
    .sgpr_count:     0
    .sgpr_spill_count: 0
    .symbol:         _ZN7rocprim17ROCPRIM_400000_NS6detail17trampoline_kernelINS0_14default_configENS1_25partition_config_selectorILNS1_17partition_subalgoE9EllbEEZZNS1_14partition_implILS5_9ELb0ES3_jPlS8_PNS0_10empty_typeENS0_5tupleIJS8_S9_EEENSB_IJS8_SA_EEENS0_18inequality_wrapperIZN2at6native12_GLOBAL__N_124unique_dim_cuda_templateIaEESt5tupleIJNSF_6TensorESK_SK_EERKSK_lbbbEUlllE0_EEPmJS9_EEE10hipError_tPvRmT3_T4_T5_T6_T7_T9_mT8_P12ihipStream_tbDpT10_ENKUlT_T0_E_clISt17integral_constantIbLb0EES19_IbLb1EEEEDaS15_S16_EUlS15_E_NS1_11comp_targetILNS1_3genE10ELNS1_11target_archE1200ELNS1_3gpuE4ELNS1_3repE0EEENS1_30default_config_static_selectorELNS0_4arch9wavefront6targetE0EEEvT1_.kd
    .uniform_work_group_size: 1
    .uses_dynamic_stack: false
    .vgpr_count:     0
    .vgpr_spill_count: 0
    .wavefront_size: 32
    .workgroup_processor_mode: 1
  - .args:
      - .offset:         0
        .size:           136
        .value_kind:     by_value
    .group_segment_fixed_size: 33804
    .kernarg_segment_align: 8
    .kernarg_segment_size: 136
    .language:       OpenCL C
    .language_version:
      - 2
      - 0
    .max_flat_workgroup_size: 512
    .name:           _ZN7rocprim17ROCPRIM_400000_NS6detail17trampoline_kernelINS0_14default_configENS1_25partition_config_selectorILNS1_17partition_subalgoE9EllbEEZZNS1_14partition_implILS5_9ELb0ES3_jPlS8_PNS0_10empty_typeENS0_5tupleIJS8_S9_EEENSB_IJS8_SA_EEENS0_18inequality_wrapperIZN2at6native12_GLOBAL__N_124unique_dim_cuda_templateIaEESt5tupleIJNSF_6TensorESK_SK_EERKSK_lbbbEUlllE0_EEPmJS9_EEE10hipError_tPvRmT3_T4_T5_T6_T7_T9_mT8_P12ihipStream_tbDpT10_ENKUlT_T0_E_clISt17integral_constantIbLb0EES19_IbLb1EEEEDaS15_S16_EUlS15_E_NS1_11comp_targetILNS1_3genE9ELNS1_11target_archE1100ELNS1_3gpuE3ELNS1_3repE0EEENS1_30default_config_static_selectorELNS0_4arch9wavefront6targetE0EEEvT1_
    .private_segment_fixed_size: 0
    .sgpr_count:     42
    .sgpr_spill_count: 0
    .symbol:         _ZN7rocprim17ROCPRIM_400000_NS6detail17trampoline_kernelINS0_14default_configENS1_25partition_config_selectorILNS1_17partition_subalgoE9EllbEEZZNS1_14partition_implILS5_9ELb0ES3_jPlS8_PNS0_10empty_typeENS0_5tupleIJS8_S9_EEENSB_IJS8_SA_EEENS0_18inequality_wrapperIZN2at6native12_GLOBAL__N_124unique_dim_cuda_templateIaEESt5tupleIJNSF_6TensorESK_SK_EERKSK_lbbbEUlllE0_EEPmJS9_EEE10hipError_tPvRmT3_T4_T5_T6_T7_T9_mT8_P12ihipStream_tbDpT10_ENKUlT_T0_E_clISt17integral_constantIbLb0EES19_IbLb1EEEEDaS15_S16_EUlS15_E_NS1_11comp_targetILNS1_3genE9ELNS1_11target_archE1100ELNS1_3gpuE3ELNS1_3repE0EEENS1_30default_config_static_selectorELNS0_4arch9wavefront6targetE0EEEvT1_.kd
    .uniform_work_group_size: 1
    .uses_dynamic_stack: false
    .vgpr_count:     68
    .vgpr_spill_count: 0
    .wavefront_size: 32
    .workgroup_processor_mode: 1
  - .args:
      - .offset:         0
        .size:           136
        .value_kind:     by_value
    .group_segment_fixed_size: 0
    .kernarg_segment_align: 8
    .kernarg_segment_size: 136
    .language:       OpenCL C
    .language_version:
      - 2
      - 0
    .max_flat_workgroup_size: 512
    .name:           _ZN7rocprim17ROCPRIM_400000_NS6detail17trampoline_kernelINS0_14default_configENS1_25partition_config_selectorILNS1_17partition_subalgoE9EllbEEZZNS1_14partition_implILS5_9ELb0ES3_jPlS8_PNS0_10empty_typeENS0_5tupleIJS8_S9_EEENSB_IJS8_SA_EEENS0_18inequality_wrapperIZN2at6native12_GLOBAL__N_124unique_dim_cuda_templateIaEESt5tupleIJNSF_6TensorESK_SK_EERKSK_lbbbEUlllE0_EEPmJS9_EEE10hipError_tPvRmT3_T4_T5_T6_T7_T9_mT8_P12ihipStream_tbDpT10_ENKUlT_T0_E_clISt17integral_constantIbLb0EES19_IbLb1EEEEDaS15_S16_EUlS15_E_NS1_11comp_targetILNS1_3genE8ELNS1_11target_archE1030ELNS1_3gpuE2ELNS1_3repE0EEENS1_30default_config_static_selectorELNS0_4arch9wavefront6targetE0EEEvT1_
    .private_segment_fixed_size: 0
    .sgpr_count:     0
    .sgpr_spill_count: 0
    .symbol:         _ZN7rocprim17ROCPRIM_400000_NS6detail17trampoline_kernelINS0_14default_configENS1_25partition_config_selectorILNS1_17partition_subalgoE9EllbEEZZNS1_14partition_implILS5_9ELb0ES3_jPlS8_PNS0_10empty_typeENS0_5tupleIJS8_S9_EEENSB_IJS8_SA_EEENS0_18inequality_wrapperIZN2at6native12_GLOBAL__N_124unique_dim_cuda_templateIaEESt5tupleIJNSF_6TensorESK_SK_EERKSK_lbbbEUlllE0_EEPmJS9_EEE10hipError_tPvRmT3_T4_T5_T6_T7_T9_mT8_P12ihipStream_tbDpT10_ENKUlT_T0_E_clISt17integral_constantIbLb0EES19_IbLb1EEEEDaS15_S16_EUlS15_E_NS1_11comp_targetILNS1_3genE8ELNS1_11target_archE1030ELNS1_3gpuE2ELNS1_3repE0EEENS1_30default_config_static_selectorELNS0_4arch9wavefront6targetE0EEEvT1_.kd
    .uniform_work_group_size: 1
    .uses_dynamic_stack: false
    .vgpr_count:     0
    .vgpr_spill_count: 0
    .wavefront_size: 32
    .workgroup_processor_mode: 1
  - .args:
      - .offset:         0
        .size:           72
        .value_kind:     by_value
    .group_segment_fixed_size: 0
    .kernarg_segment_align: 8
    .kernarg_segment_size: 72
    .language:       OpenCL C
    .language_version:
      - 2
      - 0
    .max_flat_workgroup_size: 256
    .name:           _ZN7rocprim17ROCPRIM_400000_NS6detail17trampoline_kernelINS0_14default_configENS1_37merge_sort_block_sort_config_selectorIlNS0_10empty_typeEEEZNS1_21merge_sort_block_sortIS3_PlS8_PS5_S9_ZN2at6native12_GLOBAL__N_124unique_dim_cuda_templateIiEESt5tupleIJNSA_6TensorESF_SF_EERKSF_lbbbEUlllE_EE10hipError_tT0_T1_T2_T3_mRjT4_P12ihipStream_tbNS1_7vsmem_tEEUlT_E_NS1_11comp_targetILNS1_3genE0ELNS1_11target_archE4294967295ELNS1_3gpuE0ELNS1_3repE0EEENS1_30default_config_static_selectorELNS0_4arch9wavefront6targetE0EEEvSM_
    .private_segment_fixed_size: 0
    .sgpr_count:     0
    .sgpr_spill_count: 0
    .symbol:         _ZN7rocprim17ROCPRIM_400000_NS6detail17trampoline_kernelINS0_14default_configENS1_37merge_sort_block_sort_config_selectorIlNS0_10empty_typeEEEZNS1_21merge_sort_block_sortIS3_PlS8_PS5_S9_ZN2at6native12_GLOBAL__N_124unique_dim_cuda_templateIiEESt5tupleIJNSA_6TensorESF_SF_EERKSF_lbbbEUlllE_EE10hipError_tT0_T1_T2_T3_mRjT4_P12ihipStream_tbNS1_7vsmem_tEEUlT_E_NS1_11comp_targetILNS1_3genE0ELNS1_11target_archE4294967295ELNS1_3gpuE0ELNS1_3repE0EEENS1_30default_config_static_selectorELNS0_4arch9wavefront6targetE0EEEvSM_.kd
    .uniform_work_group_size: 1
    .uses_dynamic_stack: false
    .vgpr_count:     0
    .vgpr_spill_count: 0
    .wavefront_size: 32
    .workgroup_processor_mode: 1
  - .args:
      - .offset:         0
        .size:           72
        .value_kind:     by_value
    .group_segment_fixed_size: 0
    .kernarg_segment_align: 8
    .kernarg_segment_size: 72
    .language:       OpenCL C
    .language_version:
      - 2
      - 0
    .max_flat_workgroup_size: 256
    .name:           _ZN7rocprim17ROCPRIM_400000_NS6detail17trampoline_kernelINS0_14default_configENS1_37merge_sort_block_sort_config_selectorIlNS0_10empty_typeEEEZNS1_21merge_sort_block_sortIS3_PlS8_PS5_S9_ZN2at6native12_GLOBAL__N_124unique_dim_cuda_templateIiEESt5tupleIJNSA_6TensorESF_SF_EERKSF_lbbbEUlllE_EE10hipError_tT0_T1_T2_T3_mRjT4_P12ihipStream_tbNS1_7vsmem_tEEUlT_E_NS1_11comp_targetILNS1_3genE5ELNS1_11target_archE942ELNS1_3gpuE9ELNS1_3repE0EEENS1_30default_config_static_selectorELNS0_4arch9wavefront6targetE0EEEvSM_
    .private_segment_fixed_size: 0
    .sgpr_count:     0
    .sgpr_spill_count: 0
    .symbol:         _ZN7rocprim17ROCPRIM_400000_NS6detail17trampoline_kernelINS0_14default_configENS1_37merge_sort_block_sort_config_selectorIlNS0_10empty_typeEEEZNS1_21merge_sort_block_sortIS3_PlS8_PS5_S9_ZN2at6native12_GLOBAL__N_124unique_dim_cuda_templateIiEESt5tupleIJNSA_6TensorESF_SF_EERKSF_lbbbEUlllE_EE10hipError_tT0_T1_T2_T3_mRjT4_P12ihipStream_tbNS1_7vsmem_tEEUlT_E_NS1_11comp_targetILNS1_3genE5ELNS1_11target_archE942ELNS1_3gpuE9ELNS1_3repE0EEENS1_30default_config_static_selectorELNS0_4arch9wavefront6targetE0EEEvSM_.kd
    .uniform_work_group_size: 1
    .uses_dynamic_stack: false
    .vgpr_count:     0
    .vgpr_spill_count: 0
    .wavefront_size: 32
    .workgroup_processor_mode: 1
  - .args:
      - .offset:         0
        .size:           72
        .value_kind:     by_value
    .group_segment_fixed_size: 0
    .kernarg_segment_align: 8
    .kernarg_segment_size: 72
    .language:       OpenCL C
    .language_version:
      - 2
      - 0
    .max_flat_workgroup_size: 256
    .name:           _ZN7rocprim17ROCPRIM_400000_NS6detail17trampoline_kernelINS0_14default_configENS1_37merge_sort_block_sort_config_selectorIlNS0_10empty_typeEEEZNS1_21merge_sort_block_sortIS3_PlS8_PS5_S9_ZN2at6native12_GLOBAL__N_124unique_dim_cuda_templateIiEESt5tupleIJNSA_6TensorESF_SF_EERKSF_lbbbEUlllE_EE10hipError_tT0_T1_T2_T3_mRjT4_P12ihipStream_tbNS1_7vsmem_tEEUlT_E_NS1_11comp_targetILNS1_3genE4ELNS1_11target_archE910ELNS1_3gpuE8ELNS1_3repE0EEENS1_30default_config_static_selectorELNS0_4arch9wavefront6targetE0EEEvSM_
    .private_segment_fixed_size: 0
    .sgpr_count:     0
    .sgpr_spill_count: 0
    .symbol:         _ZN7rocprim17ROCPRIM_400000_NS6detail17trampoline_kernelINS0_14default_configENS1_37merge_sort_block_sort_config_selectorIlNS0_10empty_typeEEEZNS1_21merge_sort_block_sortIS3_PlS8_PS5_S9_ZN2at6native12_GLOBAL__N_124unique_dim_cuda_templateIiEESt5tupleIJNSA_6TensorESF_SF_EERKSF_lbbbEUlllE_EE10hipError_tT0_T1_T2_T3_mRjT4_P12ihipStream_tbNS1_7vsmem_tEEUlT_E_NS1_11comp_targetILNS1_3genE4ELNS1_11target_archE910ELNS1_3gpuE8ELNS1_3repE0EEENS1_30default_config_static_selectorELNS0_4arch9wavefront6targetE0EEEvSM_.kd
    .uniform_work_group_size: 1
    .uses_dynamic_stack: false
    .vgpr_count:     0
    .vgpr_spill_count: 0
    .wavefront_size: 32
    .workgroup_processor_mode: 1
  - .args:
      - .offset:         0
        .size:           72
        .value_kind:     by_value
    .group_segment_fixed_size: 0
    .kernarg_segment_align: 8
    .kernarg_segment_size: 72
    .language:       OpenCL C
    .language_version:
      - 2
      - 0
    .max_flat_workgroup_size: 256
    .name:           _ZN7rocprim17ROCPRIM_400000_NS6detail17trampoline_kernelINS0_14default_configENS1_37merge_sort_block_sort_config_selectorIlNS0_10empty_typeEEEZNS1_21merge_sort_block_sortIS3_PlS8_PS5_S9_ZN2at6native12_GLOBAL__N_124unique_dim_cuda_templateIiEESt5tupleIJNSA_6TensorESF_SF_EERKSF_lbbbEUlllE_EE10hipError_tT0_T1_T2_T3_mRjT4_P12ihipStream_tbNS1_7vsmem_tEEUlT_E_NS1_11comp_targetILNS1_3genE3ELNS1_11target_archE908ELNS1_3gpuE7ELNS1_3repE0EEENS1_30default_config_static_selectorELNS0_4arch9wavefront6targetE0EEEvSM_
    .private_segment_fixed_size: 0
    .sgpr_count:     0
    .sgpr_spill_count: 0
    .symbol:         _ZN7rocprim17ROCPRIM_400000_NS6detail17trampoline_kernelINS0_14default_configENS1_37merge_sort_block_sort_config_selectorIlNS0_10empty_typeEEEZNS1_21merge_sort_block_sortIS3_PlS8_PS5_S9_ZN2at6native12_GLOBAL__N_124unique_dim_cuda_templateIiEESt5tupleIJNSA_6TensorESF_SF_EERKSF_lbbbEUlllE_EE10hipError_tT0_T1_T2_T3_mRjT4_P12ihipStream_tbNS1_7vsmem_tEEUlT_E_NS1_11comp_targetILNS1_3genE3ELNS1_11target_archE908ELNS1_3gpuE7ELNS1_3repE0EEENS1_30default_config_static_selectorELNS0_4arch9wavefront6targetE0EEEvSM_.kd
    .uniform_work_group_size: 1
    .uses_dynamic_stack: false
    .vgpr_count:     0
    .vgpr_spill_count: 0
    .wavefront_size: 32
    .workgroup_processor_mode: 1
  - .args:
      - .offset:         0
        .size:           72
        .value_kind:     by_value
    .group_segment_fixed_size: 0
    .kernarg_segment_align: 8
    .kernarg_segment_size: 72
    .language:       OpenCL C
    .language_version:
      - 2
      - 0
    .max_flat_workgroup_size: 256
    .name:           _ZN7rocprim17ROCPRIM_400000_NS6detail17trampoline_kernelINS0_14default_configENS1_37merge_sort_block_sort_config_selectorIlNS0_10empty_typeEEEZNS1_21merge_sort_block_sortIS3_PlS8_PS5_S9_ZN2at6native12_GLOBAL__N_124unique_dim_cuda_templateIiEESt5tupleIJNSA_6TensorESF_SF_EERKSF_lbbbEUlllE_EE10hipError_tT0_T1_T2_T3_mRjT4_P12ihipStream_tbNS1_7vsmem_tEEUlT_E_NS1_11comp_targetILNS1_3genE2ELNS1_11target_archE906ELNS1_3gpuE6ELNS1_3repE0EEENS1_30default_config_static_selectorELNS0_4arch9wavefront6targetE0EEEvSM_
    .private_segment_fixed_size: 0
    .sgpr_count:     0
    .sgpr_spill_count: 0
    .symbol:         _ZN7rocprim17ROCPRIM_400000_NS6detail17trampoline_kernelINS0_14default_configENS1_37merge_sort_block_sort_config_selectorIlNS0_10empty_typeEEEZNS1_21merge_sort_block_sortIS3_PlS8_PS5_S9_ZN2at6native12_GLOBAL__N_124unique_dim_cuda_templateIiEESt5tupleIJNSA_6TensorESF_SF_EERKSF_lbbbEUlllE_EE10hipError_tT0_T1_T2_T3_mRjT4_P12ihipStream_tbNS1_7vsmem_tEEUlT_E_NS1_11comp_targetILNS1_3genE2ELNS1_11target_archE906ELNS1_3gpuE6ELNS1_3repE0EEENS1_30default_config_static_selectorELNS0_4arch9wavefront6targetE0EEEvSM_.kd
    .uniform_work_group_size: 1
    .uses_dynamic_stack: false
    .vgpr_count:     0
    .vgpr_spill_count: 0
    .wavefront_size: 32
    .workgroup_processor_mode: 1
  - .args:
      - .offset:         0
        .size:           72
        .value_kind:     by_value
    .group_segment_fixed_size: 0
    .kernarg_segment_align: 8
    .kernarg_segment_size: 72
    .language:       OpenCL C
    .language_version:
      - 2
      - 0
    .max_flat_workgroup_size: 256
    .name:           _ZN7rocprim17ROCPRIM_400000_NS6detail17trampoline_kernelINS0_14default_configENS1_37merge_sort_block_sort_config_selectorIlNS0_10empty_typeEEEZNS1_21merge_sort_block_sortIS3_PlS8_PS5_S9_ZN2at6native12_GLOBAL__N_124unique_dim_cuda_templateIiEESt5tupleIJNSA_6TensorESF_SF_EERKSF_lbbbEUlllE_EE10hipError_tT0_T1_T2_T3_mRjT4_P12ihipStream_tbNS1_7vsmem_tEEUlT_E_NS1_11comp_targetILNS1_3genE10ELNS1_11target_archE1201ELNS1_3gpuE5ELNS1_3repE0EEENS1_30default_config_static_selectorELNS0_4arch9wavefront6targetE0EEEvSM_
    .private_segment_fixed_size: 0
    .sgpr_count:     0
    .sgpr_spill_count: 0
    .symbol:         _ZN7rocprim17ROCPRIM_400000_NS6detail17trampoline_kernelINS0_14default_configENS1_37merge_sort_block_sort_config_selectorIlNS0_10empty_typeEEEZNS1_21merge_sort_block_sortIS3_PlS8_PS5_S9_ZN2at6native12_GLOBAL__N_124unique_dim_cuda_templateIiEESt5tupleIJNSA_6TensorESF_SF_EERKSF_lbbbEUlllE_EE10hipError_tT0_T1_T2_T3_mRjT4_P12ihipStream_tbNS1_7vsmem_tEEUlT_E_NS1_11comp_targetILNS1_3genE10ELNS1_11target_archE1201ELNS1_3gpuE5ELNS1_3repE0EEENS1_30default_config_static_selectorELNS0_4arch9wavefront6targetE0EEEvSM_.kd
    .uniform_work_group_size: 1
    .uses_dynamic_stack: false
    .vgpr_count:     0
    .vgpr_spill_count: 0
    .wavefront_size: 32
    .workgroup_processor_mode: 1
  - .args:
      - .offset:         0
        .size:           72
        .value_kind:     by_value
    .group_segment_fixed_size: 0
    .kernarg_segment_align: 8
    .kernarg_segment_size: 72
    .language:       OpenCL C
    .language_version:
      - 2
      - 0
    .max_flat_workgroup_size: 512
    .name:           _ZN7rocprim17ROCPRIM_400000_NS6detail17trampoline_kernelINS0_14default_configENS1_37merge_sort_block_sort_config_selectorIlNS0_10empty_typeEEEZNS1_21merge_sort_block_sortIS3_PlS8_PS5_S9_ZN2at6native12_GLOBAL__N_124unique_dim_cuda_templateIiEESt5tupleIJNSA_6TensorESF_SF_EERKSF_lbbbEUlllE_EE10hipError_tT0_T1_T2_T3_mRjT4_P12ihipStream_tbNS1_7vsmem_tEEUlT_E_NS1_11comp_targetILNS1_3genE10ELNS1_11target_archE1200ELNS1_3gpuE4ELNS1_3repE0EEENS1_30default_config_static_selectorELNS0_4arch9wavefront6targetE0EEEvSM_
    .private_segment_fixed_size: 0
    .sgpr_count:     0
    .sgpr_spill_count: 0
    .symbol:         _ZN7rocprim17ROCPRIM_400000_NS6detail17trampoline_kernelINS0_14default_configENS1_37merge_sort_block_sort_config_selectorIlNS0_10empty_typeEEEZNS1_21merge_sort_block_sortIS3_PlS8_PS5_S9_ZN2at6native12_GLOBAL__N_124unique_dim_cuda_templateIiEESt5tupleIJNSA_6TensorESF_SF_EERKSF_lbbbEUlllE_EE10hipError_tT0_T1_T2_T3_mRjT4_P12ihipStream_tbNS1_7vsmem_tEEUlT_E_NS1_11comp_targetILNS1_3genE10ELNS1_11target_archE1200ELNS1_3gpuE4ELNS1_3repE0EEENS1_30default_config_static_selectorELNS0_4arch9wavefront6targetE0EEEvSM_.kd
    .uniform_work_group_size: 1
    .uses_dynamic_stack: false
    .vgpr_count:     0
    .vgpr_spill_count: 0
    .wavefront_size: 32
    .workgroup_processor_mode: 1
  - .args:
      - .offset:         0
        .size:           72
        .value_kind:     by_value
      - .offset:         72
        .size:           4
        .value_kind:     hidden_block_count_x
      - .offset:         76
        .size:           4
        .value_kind:     hidden_block_count_y
      - .offset:         80
        .size:           4
        .value_kind:     hidden_block_count_z
      - .offset:         84
        .size:           2
        .value_kind:     hidden_group_size_x
      - .offset:         86
        .size:           2
        .value_kind:     hidden_group_size_y
      - .offset:         88
        .size:           2
        .value_kind:     hidden_group_size_z
      - .offset:         90
        .size:           2
        .value_kind:     hidden_remainder_x
      - .offset:         92
        .size:           2
        .value_kind:     hidden_remainder_y
      - .offset:         94
        .size:           2
        .value_kind:     hidden_remainder_z
      - .offset:         112
        .size:           8
        .value_kind:     hidden_global_offset_x
      - .offset:         120
        .size:           8
        .value_kind:     hidden_global_offset_y
      - .offset:         128
        .size:           8
        .value_kind:     hidden_global_offset_z
      - .offset:         136
        .size:           2
        .value_kind:     hidden_grid_dims
    .group_segment_fixed_size: 8448
    .kernarg_segment_align: 8
    .kernarg_segment_size: 328
    .language:       OpenCL C
    .language_version:
      - 2
      - 0
    .max_flat_workgroup_size: 256
    .name:           _ZN7rocprim17ROCPRIM_400000_NS6detail17trampoline_kernelINS0_14default_configENS1_37merge_sort_block_sort_config_selectorIlNS0_10empty_typeEEEZNS1_21merge_sort_block_sortIS3_PlS8_PS5_S9_ZN2at6native12_GLOBAL__N_124unique_dim_cuda_templateIiEESt5tupleIJNSA_6TensorESF_SF_EERKSF_lbbbEUlllE_EE10hipError_tT0_T1_T2_T3_mRjT4_P12ihipStream_tbNS1_7vsmem_tEEUlT_E_NS1_11comp_targetILNS1_3genE9ELNS1_11target_archE1100ELNS1_3gpuE3ELNS1_3repE0EEENS1_30default_config_static_selectorELNS0_4arch9wavefront6targetE0EEEvSM_
    .private_segment_fixed_size: 0
    .sgpr_count:     34
    .sgpr_spill_count: 0
    .symbol:         _ZN7rocprim17ROCPRIM_400000_NS6detail17trampoline_kernelINS0_14default_configENS1_37merge_sort_block_sort_config_selectorIlNS0_10empty_typeEEEZNS1_21merge_sort_block_sortIS3_PlS8_PS5_S9_ZN2at6native12_GLOBAL__N_124unique_dim_cuda_templateIiEESt5tupleIJNSA_6TensorESF_SF_EERKSF_lbbbEUlllE_EE10hipError_tT0_T1_T2_T3_mRjT4_P12ihipStream_tbNS1_7vsmem_tEEUlT_E_NS1_11comp_targetILNS1_3genE9ELNS1_11target_archE1100ELNS1_3gpuE3ELNS1_3repE0EEENS1_30default_config_static_selectorELNS0_4arch9wavefront6targetE0EEEvSM_.kd
    .uniform_work_group_size: 1
    .uses_dynamic_stack: false
    .vgpr_count:     49
    .vgpr_spill_count: 0
    .wavefront_size: 32
    .workgroup_processor_mode: 1
  - .args:
      - .offset:         0
        .size:           72
        .value_kind:     by_value
    .group_segment_fixed_size: 0
    .kernarg_segment_align: 8
    .kernarg_segment_size: 72
    .language:       OpenCL C
    .language_version:
      - 2
      - 0
    .max_flat_workgroup_size: 256
    .name:           _ZN7rocprim17ROCPRIM_400000_NS6detail17trampoline_kernelINS0_14default_configENS1_37merge_sort_block_sort_config_selectorIlNS0_10empty_typeEEEZNS1_21merge_sort_block_sortIS3_PlS8_PS5_S9_ZN2at6native12_GLOBAL__N_124unique_dim_cuda_templateIiEESt5tupleIJNSA_6TensorESF_SF_EERKSF_lbbbEUlllE_EE10hipError_tT0_T1_T2_T3_mRjT4_P12ihipStream_tbNS1_7vsmem_tEEUlT_E_NS1_11comp_targetILNS1_3genE8ELNS1_11target_archE1030ELNS1_3gpuE2ELNS1_3repE0EEENS1_30default_config_static_selectorELNS0_4arch9wavefront6targetE0EEEvSM_
    .private_segment_fixed_size: 0
    .sgpr_count:     0
    .sgpr_spill_count: 0
    .symbol:         _ZN7rocprim17ROCPRIM_400000_NS6detail17trampoline_kernelINS0_14default_configENS1_37merge_sort_block_sort_config_selectorIlNS0_10empty_typeEEEZNS1_21merge_sort_block_sortIS3_PlS8_PS5_S9_ZN2at6native12_GLOBAL__N_124unique_dim_cuda_templateIiEESt5tupleIJNSA_6TensorESF_SF_EERKSF_lbbbEUlllE_EE10hipError_tT0_T1_T2_T3_mRjT4_P12ihipStream_tbNS1_7vsmem_tEEUlT_E_NS1_11comp_targetILNS1_3genE8ELNS1_11target_archE1030ELNS1_3gpuE2ELNS1_3repE0EEENS1_30default_config_static_selectorELNS0_4arch9wavefront6targetE0EEEvSM_.kd
    .uniform_work_group_size: 1
    .uses_dynamic_stack: false
    .vgpr_count:     0
    .vgpr_spill_count: 0
    .wavefront_size: 32
    .workgroup_processor_mode: 1
  - .args:
      - .offset:         0
        .size:           56
        .value_kind:     by_value
    .group_segment_fixed_size: 0
    .kernarg_segment_align: 8
    .kernarg_segment_size: 56
    .language:       OpenCL C
    .language_version:
      - 2
      - 0
    .max_flat_workgroup_size: 128
    .name:           _ZN7rocprim17ROCPRIM_400000_NS6detail17trampoline_kernelINS0_14default_configENS1_38merge_sort_block_merge_config_selectorIlNS0_10empty_typeEEEZZNS1_27merge_sort_block_merge_implIS3_PlPS5_mZN2at6native12_GLOBAL__N_124unique_dim_cuda_templateIiEESt5tupleIJNSA_6TensorESF_SF_EERKSF_lbbbEUlllE_EE10hipError_tT0_T1_T2_jT3_P12ihipStream_tbPNSt15iterator_traitsISL_E10value_typeEPNSR_ISM_E10value_typeEPSN_NS1_7vsmem_tEENKUlT_SL_SM_SN_E_clIS8_S8_S9_S9_EESK_S10_SL_SM_SN_EUlS10_E_NS1_11comp_targetILNS1_3genE0ELNS1_11target_archE4294967295ELNS1_3gpuE0ELNS1_3repE0EEENS1_48merge_mergepath_partition_config_static_selectorELNS0_4arch9wavefront6targetE0EEEvSM_
    .private_segment_fixed_size: 0
    .sgpr_count:     0
    .sgpr_spill_count: 0
    .symbol:         _ZN7rocprim17ROCPRIM_400000_NS6detail17trampoline_kernelINS0_14default_configENS1_38merge_sort_block_merge_config_selectorIlNS0_10empty_typeEEEZZNS1_27merge_sort_block_merge_implIS3_PlPS5_mZN2at6native12_GLOBAL__N_124unique_dim_cuda_templateIiEESt5tupleIJNSA_6TensorESF_SF_EERKSF_lbbbEUlllE_EE10hipError_tT0_T1_T2_jT3_P12ihipStream_tbPNSt15iterator_traitsISL_E10value_typeEPNSR_ISM_E10value_typeEPSN_NS1_7vsmem_tEENKUlT_SL_SM_SN_E_clIS8_S8_S9_S9_EESK_S10_SL_SM_SN_EUlS10_E_NS1_11comp_targetILNS1_3genE0ELNS1_11target_archE4294967295ELNS1_3gpuE0ELNS1_3repE0EEENS1_48merge_mergepath_partition_config_static_selectorELNS0_4arch9wavefront6targetE0EEEvSM_.kd
    .uniform_work_group_size: 1
    .uses_dynamic_stack: false
    .vgpr_count:     0
    .vgpr_spill_count: 0
    .wavefront_size: 32
    .workgroup_processor_mode: 1
  - .args:
      - .offset:         0
        .size:           56
        .value_kind:     by_value
    .group_segment_fixed_size: 0
    .kernarg_segment_align: 8
    .kernarg_segment_size: 56
    .language:       OpenCL C
    .language_version:
      - 2
      - 0
    .max_flat_workgroup_size: 128
    .name:           _ZN7rocprim17ROCPRIM_400000_NS6detail17trampoline_kernelINS0_14default_configENS1_38merge_sort_block_merge_config_selectorIlNS0_10empty_typeEEEZZNS1_27merge_sort_block_merge_implIS3_PlPS5_mZN2at6native12_GLOBAL__N_124unique_dim_cuda_templateIiEESt5tupleIJNSA_6TensorESF_SF_EERKSF_lbbbEUlllE_EE10hipError_tT0_T1_T2_jT3_P12ihipStream_tbPNSt15iterator_traitsISL_E10value_typeEPNSR_ISM_E10value_typeEPSN_NS1_7vsmem_tEENKUlT_SL_SM_SN_E_clIS8_S8_S9_S9_EESK_S10_SL_SM_SN_EUlS10_E_NS1_11comp_targetILNS1_3genE10ELNS1_11target_archE1201ELNS1_3gpuE5ELNS1_3repE0EEENS1_48merge_mergepath_partition_config_static_selectorELNS0_4arch9wavefront6targetE0EEEvSM_
    .private_segment_fixed_size: 0
    .sgpr_count:     0
    .sgpr_spill_count: 0
    .symbol:         _ZN7rocprim17ROCPRIM_400000_NS6detail17trampoline_kernelINS0_14default_configENS1_38merge_sort_block_merge_config_selectorIlNS0_10empty_typeEEEZZNS1_27merge_sort_block_merge_implIS3_PlPS5_mZN2at6native12_GLOBAL__N_124unique_dim_cuda_templateIiEESt5tupleIJNSA_6TensorESF_SF_EERKSF_lbbbEUlllE_EE10hipError_tT0_T1_T2_jT3_P12ihipStream_tbPNSt15iterator_traitsISL_E10value_typeEPNSR_ISM_E10value_typeEPSN_NS1_7vsmem_tEENKUlT_SL_SM_SN_E_clIS8_S8_S9_S9_EESK_S10_SL_SM_SN_EUlS10_E_NS1_11comp_targetILNS1_3genE10ELNS1_11target_archE1201ELNS1_3gpuE5ELNS1_3repE0EEENS1_48merge_mergepath_partition_config_static_selectorELNS0_4arch9wavefront6targetE0EEEvSM_.kd
    .uniform_work_group_size: 1
    .uses_dynamic_stack: false
    .vgpr_count:     0
    .vgpr_spill_count: 0
    .wavefront_size: 32
    .workgroup_processor_mode: 1
  - .args:
      - .offset:         0
        .size:           56
        .value_kind:     by_value
    .group_segment_fixed_size: 0
    .kernarg_segment_align: 8
    .kernarg_segment_size: 56
    .language:       OpenCL C
    .language_version:
      - 2
      - 0
    .max_flat_workgroup_size: 128
    .name:           _ZN7rocprim17ROCPRIM_400000_NS6detail17trampoline_kernelINS0_14default_configENS1_38merge_sort_block_merge_config_selectorIlNS0_10empty_typeEEEZZNS1_27merge_sort_block_merge_implIS3_PlPS5_mZN2at6native12_GLOBAL__N_124unique_dim_cuda_templateIiEESt5tupleIJNSA_6TensorESF_SF_EERKSF_lbbbEUlllE_EE10hipError_tT0_T1_T2_jT3_P12ihipStream_tbPNSt15iterator_traitsISL_E10value_typeEPNSR_ISM_E10value_typeEPSN_NS1_7vsmem_tEENKUlT_SL_SM_SN_E_clIS8_S8_S9_S9_EESK_S10_SL_SM_SN_EUlS10_E_NS1_11comp_targetILNS1_3genE5ELNS1_11target_archE942ELNS1_3gpuE9ELNS1_3repE0EEENS1_48merge_mergepath_partition_config_static_selectorELNS0_4arch9wavefront6targetE0EEEvSM_
    .private_segment_fixed_size: 0
    .sgpr_count:     0
    .sgpr_spill_count: 0
    .symbol:         _ZN7rocprim17ROCPRIM_400000_NS6detail17trampoline_kernelINS0_14default_configENS1_38merge_sort_block_merge_config_selectorIlNS0_10empty_typeEEEZZNS1_27merge_sort_block_merge_implIS3_PlPS5_mZN2at6native12_GLOBAL__N_124unique_dim_cuda_templateIiEESt5tupleIJNSA_6TensorESF_SF_EERKSF_lbbbEUlllE_EE10hipError_tT0_T1_T2_jT3_P12ihipStream_tbPNSt15iterator_traitsISL_E10value_typeEPNSR_ISM_E10value_typeEPSN_NS1_7vsmem_tEENKUlT_SL_SM_SN_E_clIS8_S8_S9_S9_EESK_S10_SL_SM_SN_EUlS10_E_NS1_11comp_targetILNS1_3genE5ELNS1_11target_archE942ELNS1_3gpuE9ELNS1_3repE0EEENS1_48merge_mergepath_partition_config_static_selectorELNS0_4arch9wavefront6targetE0EEEvSM_.kd
    .uniform_work_group_size: 1
    .uses_dynamic_stack: false
    .vgpr_count:     0
    .vgpr_spill_count: 0
    .wavefront_size: 32
    .workgroup_processor_mode: 1
  - .args:
      - .offset:         0
        .size:           56
        .value_kind:     by_value
    .group_segment_fixed_size: 0
    .kernarg_segment_align: 8
    .kernarg_segment_size: 56
    .language:       OpenCL C
    .language_version:
      - 2
      - 0
    .max_flat_workgroup_size: 128
    .name:           _ZN7rocprim17ROCPRIM_400000_NS6detail17trampoline_kernelINS0_14default_configENS1_38merge_sort_block_merge_config_selectorIlNS0_10empty_typeEEEZZNS1_27merge_sort_block_merge_implIS3_PlPS5_mZN2at6native12_GLOBAL__N_124unique_dim_cuda_templateIiEESt5tupleIJNSA_6TensorESF_SF_EERKSF_lbbbEUlllE_EE10hipError_tT0_T1_T2_jT3_P12ihipStream_tbPNSt15iterator_traitsISL_E10value_typeEPNSR_ISM_E10value_typeEPSN_NS1_7vsmem_tEENKUlT_SL_SM_SN_E_clIS8_S8_S9_S9_EESK_S10_SL_SM_SN_EUlS10_E_NS1_11comp_targetILNS1_3genE4ELNS1_11target_archE910ELNS1_3gpuE8ELNS1_3repE0EEENS1_48merge_mergepath_partition_config_static_selectorELNS0_4arch9wavefront6targetE0EEEvSM_
    .private_segment_fixed_size: 0
    .sgpr_count:     0
    .sgpr_spill_count: 0
    .symbol:         _ZN7rocprim17ROCPRIM_400000_NS6detail17trampoline_kernelINS0_14default_configENS1_38merge_sort_block_merge_config_selectorIlNS0_10empty_typeEEEZZNS1_27merge_sort_block_merge_implIS3_PlPS5_mZN2at6native12_GLOBAL__N_124unique_dim_cuda_templateIiEESt5tupleIJNSA_6TensorESF_SF_EERKSF_lbbbEUlllE_EE10hipError_tT0_T1_T2_jT3_P12ihipStream_tbPNSt15iterator_traitsISL_E10value_typeEPNSR_ISM_E10value_typeEPSN_NS1_7vsmem_tEENKUlT_SL_SM_SN_E_clIS8_S8_S9_S9_EESK_S10_SL_SM_SN_EUlS10_E_NS1_11comp_targetILNS1_3genE4ELNS1_11target_archE910ELNS1_3gpuE8ELNS1_3repE0EEENS1_48merge_mergepath_partition_config_static_selectorELNS0_4arch9wavefront6targetE0EEEvSM_.kd
    .uniform_work_group_size: 1
    .uses_dynamic_stack: false
    .vgpr_count:     0
    .vgpr_spill_count: 0
    .wavefront_size: 32
    .workgroup_processor_mode: 1
  - .args:
      - .offset:         0
        .size:           56
        .value_kind:     by_value
    .group_segment_fixed_size: 0
    .kernarg_segment_align: 8
    .kernarg_segment_size: 56
    .language:       OpenCL C
    .language_version:
      - 2
      - 0
    .max_flat_workgroup_size: 128
    .name:           _ZN7rocprim17ROCPRIM_400000_NS6detail17trampoline_kernelINS0_14default_configENS1_38merge_sort_block_merge_config_selectorIlNS0_10empty_typeEEEZZNS1_27merge_sort_block_merge_implIS3_PlPS5_mZN2at6native12_GLOBAL__N_124unique_dim_cuda_templateIiEESt5tupleIJNSA_6TensorESF_SF_EERKSF_lbbbEUlllE_EE10hipError_tT0_T1_T2_jT3_P12ihipStream_tbPNSt15iterator_traitsISL_E10value_typeEPNSR_ISM_E10value_typeEPSN_NS1_7vsmem_tEENKUlT_SL_SM_SN_E_clIS8_S8_S9_S9_EESK_S10_SL_SM_SN_EUlS10_E_NS1_11comp_targetILNS1_3genE3ELNS1_11target_archE908ELNS1_3gpuE7ELNS1_3repE0EEENS1_48merge_mergepath_partition_config_static_selectorELNS0_4arch9wavefront6targetE0EEEvSM_
    .private_segment_fixed_size: 0
    .sgpr_count:     0
    .sgpr_spill_count: 0
    .symbol:         _ZN7rocprim17ROCPRIM_400000_NS6detail17trampoline_kernelINS0_14default_configENS1_38merge_sort_block_merge_config_selectorIlNS0_10empty_typeEEEZZNS1_27merge_sort_block_merge_implIS3_PlPS5_mZN2at6native12_GLOBAL__N_124unique_dim_cuda_templateIiEESt5tupleIJNSA_6TensorESF_SF_EERKSF_lbbbEUlllE_EE10hipError_tT0_T1_T2_jT3_P12ihipStream_tbPNSt15iterator_traitsISL_E10value_typeEPNSR_ISM_E10value_typeEPSN_NS1_7vsmem_tEENKUlT_SL_SM_SN_E_clIS8_S8_S9_S9_EESK_S10_SL_SM_SN_EUlS10_E_NS1_11comp_targetILNS1_3genE3ELNS1_11target_archE908ELNS1_3gpuE7ELNS1_3repE0EEENS1_48merge_mergepath_partition_config_static_selectorELNS0_4arch9wavefront6targetE0EEEvSM_.kd
    .uniform_work_group_size: 1
    .uses_dynamic_stack: false
    .vgpr_count:     0
    .vgpr_spill_count: 0
    .wavefront_size: 32
    .workgroup_processor_mode: 1
  - .args:
      - .offset:         0
        .size:           56
        .value_kind:     by_value
    .group_segment_fixed_size: 0
    .kernarg_segment_align: 8
    .kernarg_segment_size: 56
    .language:       OpenCL C
    .language_version:
      - 2
      - 0
    .max_flat_workgroup_size: 128
    .name:           _ZN7rocprim17ROCPRIM_400000_NS6detail17trampoline_kernelINS0_14default_configENS1_38merge_sort_block_merge_config_selectorIlNS0_10empty_typeEEEZZNS1_27merge_sort_block_merge_implIS3_PlPS5_mZN2at6native12_GLOBAL__N_124unique_dim_cuda_templateIiEESt5tupleIJNSA_6TensorESF_SF_EERKSF_lbbbEUlllE_EE10hipError_tT0_T1_T2_jT3_P12ihipStream_tbPNSt15iterator_traitsISL_E10value_typeEPNSR_ISM_E10value_typeEPSN_NS1_7vsmem_tEENKUlT_SL_SM_SN_E_clIS8_S8_S9_S9_EESK_S10_SL_SM_SN_EUlS10_E_NS1_11comp_targetILNS1_3genE2ELNS1_11target_archE906ELNS1_3gpuE6ELNS1_3repE0EEENS1_48merge_mergepath_partition_config_static_selectorELNS0_4arch9wavefront6targetE0EEEvSM_
    .private_segment_fixed_size: 0
    .sgpr_count:     0
    .sgpr_spill_count: 0
    .symbol:         _ZN7rocprim17ROCPRIM_400000_NS6detail17trampoline_kernelINS0_14default_configENS1_38merge_sort_block_merge_config_selectorIlNS0_10empty_typeEEEZZNS1_27merge_sort_block_merge_implIS3_PlPS5_mZN2at6native12_GLOBAL__N_124unique_dim_cuda_templateIiEESt5tupleIJNSA_6TensorESF_SF_EERKSF_lbbbEUlllE_EE10hipError_tT0_T1_T2_jT3_P12ihipStream_tbPNSt15iterator_traitsISL_E10value_typeEPNSR_ISM_E10value_typeEPSN_NS1_7vsmem_tEENKUlT_SL_SM_SN_E_clIS8_S8_S9_S9_EESK_S10_SL_SM_SN_EUlS10_E_NS1_11comp_targetILNS1_3genE2ELNS1_11target_archE906ELNS1_3gpuE6ELNS1_3repE0EEENS1_48merge_mergepath_partition_config_static_selectorELNS0_4arch9wavefront6targetE0EEEvSM_.kd
    .uniform_work_group_size: 1
    .uses_dynamic_stack: false
    .vgpr_count:     0
    .vgpr_spill_count: 0
    .wavefront_size: 32
    .workgroup_processor_mode: 1
  - .args:
      - .offset:         0
        .size:           56
        .value_kind:     by_value
    .group_segment_fixed_size: 0
    .kernarg_segment_align: 8
    .kernarg_segment_size: 56
    .language:       OpenCL C
    .language_version:
      - 2
      - 0
    .max_flat_workgroup_size: 128
    .name:           _ZN7rocprim17ROCPRIM_400000_NS6detail17trampoline_kernelINS0_14default_configENS1_38merge_sort_block_merge_config_selectorIlNS0_10empty_typeEEEZZNS1_27merge_sort_block_merge_implIS3_PlPS5_mZN2at6native12_GLOBAL__N_124unique_dim_cuda_templateIiEESt5tupleIJNSA_6TensorESF_SF_EERKSF_lbbbEUlllE_EE10hipError_tT0_T1_T2_jT3_P12ihipStream_tbPNSt15iterator_traitsISL_E10value_typeEPNSR_ISM_E10value_typeEPSN_NS1_7vsmem_tEENKUlT_SL_SM_SN_E_clIS8_S8_S9_S9_EESK_S10_SL_SM_SN_EUlS10_E_NS1_11comp_targetILNS1_3genE9ELNS1_11target_archE1100ELNS1_3gpuE3ELNS1_3repE0EEENS1_48merge_mergepath_partition_config_static_selectorELNS0_4arch9wavefront6targetE0EEEvSM_
    .private_segment_fixed_size: 0
    .sgpr_count:     23
    .sgpr_spill_count: 0
    .symbol:         _ZN7rocprim17ROCPRIM_400000_NS6detail17trampoline_kernelINS0_14default_configENS1_38merge_sort_block_merge_config_selectorIlNS0_10empty_typeEEEZZNS1_27merge_sort_block_merge_implIS3_PlPS5_mZN2at6native12_GLOBAL__N_124unique_dim_cuda_templateIiEESt5tupleIJNSA_6TensorESF_SF_EERKSF_lbbbEUlllE_EE10hipError_tT0_T1_T2_jT3_P12ihipStream_tbPNSt15iterator_traitsISL_E10value_typeEPNSR_ISM_E10value_typeEPSN_NS1_7vsmem_tEENKUlT_SL_SM_SN_E_clIS8_S8_S9_S9_EESK_S10_SL_SM_SN_EUlS10_E_NS1_11comp_targetILNS1_3genE9ELNS1_11target_archE1100ELNS1_3gpuE3ELNS1_3repE0EEENS1_48merge_mergepath_partition_config_static_selectorELNS0_4arch9wavefront6targetE0EEEvSM_.kd
    .uniform_work_group_size: 1
    .uses_dynamic_stack: false
    .vgpr_count:     22
    .vgpr_spill_count: 0
    .wavefront_size: 32
    .workgroup_processor_mode: 1
  - .args:
      - .offset:         0
        .size:           56
        .value_kind:     by_value
    .group_segment_fixed_size: 0
    .kernarg_segment_align: 8
    .kernarg_segment_size: 56
    .language:       OpenCL C
    .language_version:
      - 2
      - 0
    .max_flat_workgroup_size: 128
    .name:           _ZN7rocprim17ROCPRIM_400000_NS6detail17trampoline_kernelINS0_14default_configENS1_38merge_sort_block_merge_config_selectorIlNS0_10empty_typeEEEZZNS1_27merge_sort_block_merge_implIS3_PlPS5_mZN2at6native12_GLOBAL__N_124unique_dim_cuda_templateIiEESt5tupleIJNSA_6TensorESF_SF_EERKSF_lbbbEUlllE_EE10hipError_tT0_T1_T2_jT3_P12ihipStream_tbPNSt15iterator_traitsISL_E10value_typeEPNSR_ISM_E10value_typeEPSN_NS1_7vsmem_tEENKUlT_SL_SM_SN_E_clIS8_S8_S9_S9_EESK_S10_SL_SM_SN_EUlS10_E_NS1_11comp_targetILNS1_3genE8ELNS1_11target_archE1030ELNS1_3gpuE2ELNS1_3repE0EEENS1_48merge_mergepath_partition_config_static_selectorELNS0_4arch9wavefront6targetE0EEEvSM_
    .private_segment_fixed_size: 0
    .sgpr_count:     0
    .sgpr_spill_count: 0
    .symbol:         _ZN7rocprim17ROCPRIM_400000_NS6detail17trampoline_kernelINS0_14default_configENS1_38merge_sort_block_merge_config_selectorIlNS0_10empty_typeEEEZZNS1_27merge_sort_block_merge_implIS3_PlPS5_mZN2at6native12_GLOBAL__N_124unique_dim_cuda_templateIiEESt5tupleIJNSA_6TensorESF_SF_EERKSF_lbbbEUlllE_EE10hipError_tT0_T1_T2_jT3_P12ihipStream_tbPNSt15iterator_traitsISL_E10value_typeEPNSR_ISM_E10value_typeEPSN_NS1_7vsmem_tEENKUlT_SL_SM_SN_E_clIS8_S8_S9_S9_EESK_S10_SL_SM_SN_EUlS10_E_NS1_11comp_targetILNS1_3genE8ELNS1_11target_archE1030ELNS1_3gpuE2ELNS1_3repE0EEENS1_48merge_mergepath_partition_config_static_selectorELNS0_4arch9wavefront6targetE0EEEvSM_.kd
    .uniform_work_group_size: 1
    .uses_dynamic_stack: false
    .vgpr_count:     0
    .vgpr_spill_count: 0
    .wavefront_size: 32
    .workgroup_processor_mode: 1
  - .args:
      - .offset:         0
        .size:           88
        .value_kind:     by_value
    .group_segment_fixed_size: 0
    .kernarg_segment_align: 8
    .kernarg_segment_size: 88
    .language:       OpenCL C
    .language_version:
      - 2
      - 0
    .max_flat_workgroup_size: 128
    .name:           _ZN7rocprim17ROCPRIM_400000_NS6detail17trampoline_kernelINS0_14default_configENS1_38merge_sort_block_merge_config_selectorIlNS0_10empty_typeEEEZZNS1_27merge_sort_block_merge_implIS3_PlPS5_mZN2at6native12_GLOBAL__N_124unique_dim_cuda_templateIiEESt5tupleIJNSA_6TensorESF_SF_EERKSF_lbbbEUlllE_EE10hipError_tT0_T1_T2_jT3_P12ihipStream_tbPNSt15iterator_traitsISL_E10value_typeEPNSR_ISM_E10value_typeEPSN_NS1_7vsmem_tEENKUlT_SL_SM_SN_E_clIS8_S8_S9_S9_EESK_S10_SL_SM_SN_EUlS10_E0_NS1_11comp_targetILNS1_3genE0ELNS1_11target_archE4294967295ELNS1_3gpuE0ELNS1_3repE0EEENS1_38merge_mergepath_config_static_selectorELNS0_4arch9wavefront6targetE0EEEvSM_
    .private_segment_fixed_size: 0
    .sgpr_count:     0
    .sgpr_spill_count: 0
    .symbol:         _ZN7rocprim17ROCPRIM_400000_NS6detail17trampoline_kernelINS0_14default_configENS1_38merge_sort_block_merge_config_selectorIlNS0_10empty_typeEEEZZNS1_27merge_sort_block_merge_implIS3_PlPS5_mZN2at6native12_GLOBAL__N_124unique_dim_cuda_templateIiEESt5tupleIJNSA_6TensorESF_SF_EERKSF_lbbbEUlllE_EE10hipError_tT0_T1_T2_jT3_P12ihipStream_tbPNSt15iterator_traitsISL_E10value_typeEPNSR_ISM_E10value_typeEPSN_NS1_7vsmem_tEENKUlT_SL_SM_SN_E_clIS8_S8_S9_S9_EESK_S10_SL_SM_SN_EUlS10_E0_NS1_11comp_targetILNS1_3genE0ELNS1_11target_archE4294967295ELNS1_3gpuE0ELNS1_3repE0EEENS1_38merge_mergepath_config_static_selectorELNS0_4arch9wavefront6targetE0EEEvSM_.kd
    .uniform_work_group_size: 1
    .uses_dynamic_stack: false
    .vgpr_count:     0
    .vgpr_spill_count: 0
    .wavefront_size: 32
    .workgroup_processor_mode: 1
  - .args:
      - .offset:         0
        .size:           88
        .value_kind:     by_value
    .group_segment_fixed_size: 0
    .kernarg_segment_align: 8
    .kernarg_segment_size: 88
    .language:       OpenCL C
    .language_version:
      - 2
      - 0
    .max_flat_workgroup_size: 512
    .name:           _ZN7rocprim17ROCPRIM_400000_NS6detail17trampoline_kernelINS0_14default_configENS1_38merge_sort_block_merge_config_selectorIlNS0_10empty_typeEEEZZNS1_27merge_sort_block_merge_implIS3_PlPS5_mZN2at6native12_GLOBAL__N_124unique_dim_cuda_templateIiEESt5tupleIJNSA_6TensorESF_SF_EERKSF_lbbbEUlllE_EE10hipError_tT0_T1_T2_jT3_P12ihipStream_tbPNSt15iterator_traitsISL_E10value_typeEPNSR_ISM_E10value_typeEPSN_NS1_7vsmem_tEENKUlT_SL_SM_SN_E_clIS8_S8_S9_S9_EESK_S10_SL_SM_SN_EUlS10_E0_NS1_11comp_targetILNS1_3genE10ELNS1_11target_archE1201ELNS1_3gpuE5ELNS1_3repE0EEENS1_38merge_mergepath_config_static_selectorELNS0_4arch9wavefront6targetE0EEEvSM_
    .private_segment_fixed_size: 0
    .sgpr_count:     0
    .sgpr_spill_count: 0
    .symbol:         _ZN7rocprim17ROCPRIM_400000_NS6detail17trampoline_kernelINS0_14default_configENS1_38merge_sort_block_merge_config_selectorIlNS0_10empty_typeEEEZZNS1_27merge_sort_block_merge_implIS3_PlPS5_mZN2at6native12_GLOBAL__N_124unique_dim_cuda_templateIiEESt5tupleIJNSA_6TensorESF_SF_EERKSF_lbbbEUlllE_EE10hipError_tT0_T1_T2_jT3_P12ihipStream_tbPNSt15iterator_traitsISL_E10value_typeEPNSR_ISM_E10value_typeEPSN_NS1_7vsmem_tEENKUlT_SL_SM_SN_E_clIS8_S8_S9_S9_EESK_S10_SL_SM_SN_EUlS10_E0_NS1_11comp_targetILNS1_3genE10ELNS1_11target_archE1201ELNS1_3gpuE5ELNS1_3repE0EEENS1_38merge_mergepath_config_static_selectorELNS0_4arch9wavefront6targetE0EEEvSM_.kd
    .uniform_work_group_size: 1
    .uses_dynamic_stack: false
    .vgpr_count:     0
    .vgpr_spill_count: 0
    .wavefront_size: 32
    .workgroup_processor_mode: 1
  - .args:
      - .offset:         0
        .size:           88
        .value_kind:     by_value
    .group_segment_fixed_size: 0
    .kernarg_segment_align: 8
    .kernarg_segment_size: 88
    .language:       OpenCL C
    .language_version:
      - 2
      - 0
    .max_flat_workgroup_size: 128
    .name:           _ZN7rocprim17ROCPRIM_400000_NS6detail17trampoline_kernelINS0_14default_configENS1_38merge_sort_block_merge_config_selectorIlNS0_10empty_typeEEEZZNS1_27merge_sort_block_merge_implIS3_PlPS5_mZN2at6native12_GLOBAL__N_124unique_dim_cuda_templateIiEESt5tupleIJNSA_6TensorESF_SF_EERKSF_lbbbEUlllE_EE10hipError_tT0_T1_T2_jT3_P12ihipStream_tbPNSt15iterator_traitsISL_E10value_typeEPNSR_ISM_E10value_typeEPSN_NS1_7vsmem_tEENKUlT_SL_SM_SN_E_clIS8_S8_S9_S9_EESK_S10_SL_SM_SN_EUlS10_E0_NS1_11comp_targetILNS1_3genE5ELNS1_11target_archE942ELNS1_3gpuE9ELNS1_3repE0EEENS1_38merge_mergepath_config_static_selectorELNS0_4arch9wavefront6targetE0EEEvSM_
    .private_segment_fixed_size: 0
    .sgpr_count:     0
    .sgpr_spill_count: 0
    .symbol:         _ZN7rocprim17ROCPRIM_400000_NS6detail17trampoline_kernelINS0_14default_configENS1_38merge_sort_block_merge_config_selectorIlNS0_10empty_typeEEEZZNS1_27merge_sort_block_merge_implIS3_PlPS5_mZN2at6native12_GLOBAL__N_124unique_dim_cuda_templateIiEESt5tupleIJNSA_6TensorESF_SF_EERKSF_lbbbEUlllE_EE10hipError_tT0_T1_T2_jT3_P12ihipStream_tbPNSt15iterator_traitsISL_E10value_typeEPNSR_ISM_E10value_typeEPSN_NS1_7vsmem_tEENKUlT_SL_SM_SN_E_clIS8_S8_S9_S9_EESK_S10_SL_SM_SN_EUlS10_E0_NS1_11comp_targetILNS1_3genE5ELNS1_11target_archE942ELNS1_3gpuE9ELNS1_3repE0EEENS1_38merge_mergepath_config_static_selectorELNS0_4arch9wavefront6targetE0EEEvSM_.kd
    .uniform_work_group_size: 1
    .uses_dynamic_stack: false
    .vgpr_count:     0
    .vgpr_spill_count: 0
    .wavefront_size: 32
    .workgroup_processor_mode: 1
  - .args:
      - .offset:         0
        .size:           88
        .value_kind:     by_value
    .group_segment_fixed_size: 0
    .kernarg_segment_align: 8
    .kernarg_segment_size: 88
    .language:       OpenCL C
    .language_version:
      - 2
      - 0
    .max_flat_workgroup_size: 256
    .name:           _ZN7rocprim17ROCPRIM_400000_NS6detail17trampoline_kernelINS0_14default_configENS1_38merge_sort_block_merge_config_selectorIlNS0_10empty_typeEEEZZNS1_27merge_sort_block_merge_implIS3_PlPS5_mZN2at6native12_GLOBAL__N_124unique_dim_cuda_templateIiEESt5tupleIJNSA_6TensorESF_SF_EERKSF_lbbbEUlllE_EE10hipError_tT0_T1_T2_jT3_P12ihipStream_tbPNSt15iterator_traitsISL_E10value_typeEPNSR_ISM_E10value_typeEPSN_NS1_7vsmem_tEENKUlT_SL_SM_SN_E_clIS8_S8_S9_S9_EESK_S10_SL_SM_SN_EUlS10_E0_NS1_11comp_targetILNS1_3genE4ELNS1_11target_archE910ELNS1_3gpuE8ELNS1_3repE0EEENS1_38merge_mergepath_config_static_selectorELNS0_4arch9wavefront6targetE0EEEvSM_
    .private_segment_fixed_size: 0
    .sgpr_count:     0
    .sgpr_spill_count: 0
    .symbol:         _ZN7rocprim17ROCPRIM_400000_NS6detail17trampoline_kernelINS0_14default_configENS1_38merge_sort_block_merge_config_selectorIlNS0_10empty_typeEEEZZNS1_27merge_sort_block_merge_implIS3_PlPS5_mZN2at6native12_GLOBAL__N_124unique_dim_cuda_templateIiEESt5tupleIJNSA_6TensorESF_SF_EERKSF_lbbbEUlllE_EE10hipError_tT0_T1_T2_jT3_P12ihipStream_tbPNSt15iterator_traitsISL_E10value_typeEPNSR_ISM_E10value_typeEPSN_NS1_7vsmem_tEENKUlT_SL_SM_SN_E_clIS8_S8_S9_S9_EESK_S10_SL_SM_SN_EUlS10_E0_NS1_11comp_targetILNS1_3genE4ELNS1_11target_archE910ELNS1_3gpuE8ELNS1_3repE0EEENS1_38merge_mergepath_config_static_selectorELNS0_4arch9wavefront6targetE0EEEvSM_.kd
    .uniform_work_group_size: 1
    .uses_dynamic_stack: false
    .vgpr_count:     0
    .vgpr_spill_count: 0
    .wavefront_size: 32
    .workgroup_processor_mode: 1
  - .args:
      - .offset:         0
        .size:           88
        .value_kind:     by_value
    .group_segment_fixed_size: 0
    .kernarg_segment_align: 8
    .kernarg_segment_size: 88
    .language:       OpenCL C
    .language_version:
      - 2
      - 0
    .max_flat_workgroup_size: 128
    .name:           _ZN7rocprim17ROCPRIM_400000_NS6detail17trampoline_kernelINS0_14default_configENS1_38merge_sort_block_merge_config_selectorIlNS0_10empty_typeEEEZZNS1_27merge_sort_block_merge_implIS3_PlPS5_mZN2at6native12_GLOBAL__N_124unique_dim_cuda_templateIiEESt5tupleIJNSA_6TensorESF_SF_EERKSF_lbbbEUlllE_EE10hipError_tT0_T1_T2_jT3_P12ihipStream_tbPNSt15iterator_traitsISL_E10value_typeEPNSR_ISM_E10value_typeEPSN_NS1_7vsmem_tEENKUlT_SL_SM_SN_E_clIS8_S8_S9_S9_EESK_S10_SL_SM_SN_EUlS10_E0_NS1_11comp_targetILNS1_3genE3ELNS1_11target_archE908ELNS1_3gpuE7ELNS1_3repE0EEENS1_38merge_mergepath_config_static_selectorELNS0_4arch9wavefront6targetE0EEEvSM_
    .private_segment_fixed_size: 0
    .sgpr_count:     0
    .sgpr_spill_count: 0
    .symbol:         _ZN7rocprim17ROCPRIM_400000_NS6detail17trampoline_kernelINS0_14default_configENS1_38merge_sort_block_merge_config_selectorIlNS0_10empty_typeEEEZZNS1_27merge_sort_block_merge_implIS3_PlPS5_mZN2at6native12_GLOBAL__N_124unique_dim_cuda_templateIiEESt5tupleIJNSA_6TensorESF_SF_EERKSF_lbbbEUlllE_EE10hipError_tT0_T1_T2_jT3_P12ihipStream_tbPNSt15iterator_traitsISL_E10value_typeEPNSR_ISM_E10value_typeEPSN_NS1_7vsmem_tEENKUlT_SL_SM_SN_E_clIS8_S8_S9_S9_EESK_S10_SL_SM_SN_EUlS10_E0_NS1_11comp_targetILNS1_3genE3ELNS1_11target_archE908ELNS1_3gpuE7ELNS1_3repE0EEENS1_38merge_mergepath_config_static_selectorELNS0_4arch9wavefront6targetE0EEEvSM_.kd
    .uniform_work_group_size: 1
    .uses_dynamic_stack: false
    .vgpr_count:     0
    .vgpr_spill_count: 0
    .wavefront_size: 32
    .workgroup_processor_mode: 1
  - .args:
      - .offset:         0
        .size:           88
        .value_kind:     by_value
    .group_segment_fixed_size: 0
    .kernarg_segment_align: 8
    .kernarg_segment_size: 88
    .language:       OpenCL C
    .language_version:
      - 2
      - 0
    .max_flat_workgroup_size: 256
    .name:           _ZN7rocprim17ROCPRIM_400000_NS6detail17trampoline_kernelINS0_14default_configENS1_38merge_sort_block_merge_config_selectorIlNS0_10empty_typeEEEZZNS1_27merge_sort_block_merge_implIS3_PlPS5_mZN2at6native12_GLOBAL__N_124unique_dim_cuda_templateIiEESt5tupleIJNSA_6TensorESF_SF_EERKSF_lbbbEUlllE_EE10hipError_tT0_T1_T2_jT3_P12ihipStream_tbPNSt15iterator_traitsISL_E10value_typeEPNSR_ISM_E10value_typeEPSN_NS1_7vsmem_tEENKUlT_SL_SM_SN_E_clIS8_S8_S9_S9_EESK_S10_SL_SM_SN_EUlS10_E0_NS1_11comp_targetILNS1_3genE2ELNS1_11target_archE906ELNS1_3gpuE6ELNS1_3repE0EEENS1_38merge_mergepath_config_static_selectorELNS0_4arch9wavefront6targetE0EEEvSM_
    .private_segment_fixed_size: 0
    .sgpr_count:     0
    .sgpr_spill_count: 0
    .symbol:         _ZN7rocprim17ROCPRIM_400000_NS6detail17trampoline_kernelINS0_14default_configENS1_38merge_sort_block_merge_config_selectorIlNS0_10empty_typeEEEZZNS1_27merge_sort_block_merge_implIS3_PlPS5_mZN2at6native12_GLOBAL__N_124unique_dim_cuda_templateIiEESt5tupleIJNSA_6TensorESF_SF_EERKSF_lbbbEUlllE_EE10hipError_tT0_T1_T2_jT3_P12ihipStream_tbPNSt15iterator_traitsISL_E10value_typeEPNSR_ISM_E10value_typeEPSN_NS1_7vsmem_tEENKUlT_SL_SM_SN_E_clIS8_S8_S9_S9_EESK_S10_SL_SM_SN_EUlS10_E0_NS1_11comp_targetILNS1_3genE2ELNS1_11target_archE906ELNS1_3gpuE6ELNS1_3repE0EEENS1_38merge_mergepath_config_static_selectorELNS0_4arch9wavefront6targetE0EEEvSM_.kd
    .uniform_work_group_size: 1
    .uses_dynamic_stack: false
    .vgpr_count:     0
    .vgpr_spill_count: 0
    .wavefront_size: 32
    .workgroup_processor_mode: 1
  - .args:
      - .offset:         0
        .size:           88
        .value_kind:     by_value
      - .offset:         88
        .size:           4
        .value_kind:     hidden_block_count_x
      - .offset:         92
        .size:           4
        .value_kind:     hidden_block_count_y
      - .offset:         96
        .size:           4
        .value_kind:     hidden_block_count_z
      - .offset:         100
        .size:           2
        .value_kind:     hidden_group_size_x
      - .offset:         102
        .size:           2
        .value_kind:     hidden_group_size_y
      - .offset:         104
        .size:           2
        .value_kind:     hidden_group_size_z
      - .offset:         106
        .size:           2
        .value_kind:     hidden_remainder_x
      - .offset:         108
        .size:           2
        .value_kind:     hidden_remainder_y
      - .offset:         110
        .size:           2
        .value_kind:     hidden_remainder_z
      - .offset:         128
        .size:           8
        .value_kind:     hidden_global_offset_x
      - .offset:         136
        .size:           8
        .value_kind:     hidden_global_offset_y
      - .offset:         144
        .size:           8
        .value_kind:     hidden_global_offset_z
      - .offset:         152
        .size:           2
        .value_kind:     hidden_grid_dims
    .group_segment_fixed_size: 8448
    .kernarg_segment_align: 8
    .kernarg_segment_size: 344
    .language:       OpenCL C
    .language_version:
      - 2
      - 0
    .max_flat_workgroup_size: 512
    .name:           _ZN7rocprim17ROCPRIM_400000_NS6detail17trampoline_kernelINS0_14default_configENS1_38merge_sort_block_merge_config_selectorIlNS0_10empty_typeEEEZZNS1_27merge_sort_block_merge_implIS3_PlPS5_mZN2at6native12_GLOBAL__N_124unique_dim_cuda_templateIiEESt5tupleIJNSA_6TensorESF_SF_EERKSF_lbbbEUlllE_EE10hipError_tT0_T1_T2_jT3_P12ihipStream_tbPNSt15iterator_traitsISL_E10value_typeEPNSR_ISM_E10value_typeEPSN_NS1_7vsmem_tEENKUlT_SL_SM_SN_E_clIS8_S8_S9_S9_EESK_S10_SL_SM_SN_EUlS10_E0_NS1_11comp_targetILNS1_3genE9ELNS1_11target_archE1100ELNS1_3gpuE3ELNS1_3repE0EEENS1_38merge_mergepath_config_static_selectorELNS0_4arch9wavefront6targetE0EEEvSM_
    .private_segment_fixed_size: 0
    .sgpr_count:     34
    .sgpr_spill_count: 0
    .symbol:         _ZN7rocprim17ROCPRIM_400000_NS6detail17trampoline_kernelINS0_14default_configENS1_38merge_sort_block_merge_config_selectorIlNS0_10empty_typeEEEZZNS1_27merge_sort_block_merge_implIS3_PlPS5_mZN2at6native12_GLOBAL__N_124unique_dim_cuda_templateIiEESt5tupleIJNSA_6TensorESF_SF_EERKSF_lbbbEUlllE_EE10hipError_tT0_T1_T2_jT3_P12ihipStream_tbPNSt15iterator_traitsISL_E10value_typeEPNSR_ISM_E10value_typeEPSN_NS1_7vsmem_tEENKUlT_SL_SM_SN_E_clIS8_S8_S9_S9_EESK_S10_SL_SM_SN_EUlS10_E0_NS1_11comp_targetILNS1_3genE9ELNS1_11target_archE1100ELNS1_3gpuE3ELNS1_3repE0EEENS1_38merge_mergepath_config_static_selectorELNS0_4arch9wavefront6targetE0EEEvSM_.kd
    .uniform_work_group_size: 1
    .uses_dynamic_stack: false
    .vgpr_count:     21
    .vgpr_spill_count: 0
    .wavefront_size: 32
    .workgroup_processor_mode: 1
  - .args:
      - .offset:         0
        .size:           88
        .value_kind:     by_value
    .group_segment_fixed_size: 0
    .kernarg_segment_align: 8
    .kernarg_segment_size: 88
    .language:       OpenCL C
    .language_version:
      - 2
      - 0
    .max_flat_workgroup_size: 1024
    .name:           _ZN7rocprim17ROCPRIM_400000_NS6detail17trampoline_kernelINS0_14default_configENS1_38merge_sort_block_merge_config_selectorIlNS0_10empty_typeEEEZZNS1_27merge_sort_block_merge_implIS3_PlPS5_mZN2at6native12_GLOBAL__N_124unique_dim_cuda_templateIiEESt5tupleIJNSA_6TensorESF_SF_EERKSF_lbbbEUlllE_EE10hipError_tT0_T1_T2_jT3_P12ihipStream_tbPNSt15iterator_traitsISL_E10value_typeEPNSR_ISM_E10value_typeEPSN_NS1_7vsmem_tEENKUlT_SL_SM_SN_E_clIS8_S8_S9_S9_EESK_S10_SL_SM_SN_EUlS10_E0_NS1_11comp_targetILNS1_3genE8ELNS1_11target_archE1030ELNS1_3gpuE2ELNS1_3repE0EEENS1_38merge_mergepath_config_static_selectorELNS0_4arch9wavefront6targetE0EEEvSM_
    .private_segment_fixed_size: 0
    .sgpr_count:     0
    .sgpr_spill_count: 0
    .symbol:         _ZN7rocprim17ROCPRIM_400000_NS6detail17trampoline_kernelINS0_14default_configENS1_38merge_sort_block_merge_config_selectorIlNS0_10empty_typeEEEZZNS1_27merge_sort_block_merge_implIS3_PlPS5_mZN2at6native12_GLOBAL__N_124unique_dim_cuda_templateIiEESt5tupleIJNSA_6TensorESF_SF_EERKSF_lbbbEUlllE_EE10hipError_tT0_T1_T2_jT3_P12ihipStream_tbPNSt15iterator_traitsISL_E10value_typeEPNSR_ISM_E10value_typeEPSN_NS1_7vsmem_tEENKUlT_SL_SM_SN_E_clIS8_S8_S9_S9_EESK_S10_SL_SM_SN_EUlS10_E0_NS1_11comp_targetILNS1_3genE8ELNS1_11target_archE1030ELNS1_3gpuE2ELNS1_3repE0EEENS1_38merge_mergepath_config_static_selectorELNS0_4arch9wavefront6targetE0EEEvSM_.kd
    .uniform_work_group_size: 1
    .uses_dynamic_stack: false
    .vgpr_count:     0
    .vgpr_spill_count: 0
    .wavefront_size: 32
    .workgroup_processor_mode: 1
  - .args:
      - .offset:         0
        .size:           64
        .value_kind:     by_value
    .group_segment_fixed_size: 0
    .kernarg_segment_align: 8
    .kernarg_segment_size: 64
    .language:       OpenCL C
    .language_version:
      - 2
      - 0
    .max_flat_workgroup_size: 256
    .name:           _ZN7rocprim17ROCPRIM_400000_NS6detail17trampoline_kernelINS0_14default_configENS1_38merge_sort_block_merge_config_selectorIlNS0_10empty_typeEEEZZNS1_27merge_sort_block_merge_implIS3_PlPS5_mZN2at6native12_GLOBAL__N_124unique_dim_cuda_templateIiEESt5tupleIJNSA_6TensorESF_SF_EERKSF_lbbbEUlllE_EE10hipError_tT0_T1_T2_jT3_P12ihipStream_tbPNSt15iterator_traitsISL_E10value_typeEPNSR_ISM_E10value_typeEPSN_NS1_7vsmem_tEENKUlT_SL_SM_SN_E_clIS8_S8_S9_S9_EESK_S10_SL_SM_SN_EUlS10_E1_NS1_11comp_targetILNS1_3genE0ELNS1_11target_archE4294967295ELNS1_3gpuE0ELNS1_3repE0EEENS1_36merge_oddeven_config_static_selectorELNS0_4arch9wavefront6targetE0EEEvSM_
    .private_segment_fixed_size: 0
    .sgpr_count:     0
    .sgpr_spill_count: 0
    .symbol:         _ZN7rocprim17ROCPRIM_400000_NS6detail17trampoline_kernelINS0_14default_configENS1_38merge_sort_block_merge_config_selectorIlNS0_10empty_typeEEEZZNS1_27merge_sort_block_merge_implIS3_PlPS5_mZN2at6native12_GLOBAL__N_124unique_dim_cuda_templateIiEESt5tupleIJNSA_6TensorESF_SF_EERKSF_lbbbEUlllE_EE10hipError_tT0_T1_T2_jT3_P12ihipStream_tbPNSt15iterator_traitsISL_E10value_typeEPNSR_ISM_E10value_typeEPSN_NS1_7vsmem_tEENKUlT_SL_SM_SN_E_clIS8_S8_S9_S9_EESK_S10_SL_SM_SN_EUlS10_E1_NS1_11comp_targetILNS1_3genE0ELNS1_11target_archE4294967295ELNS1_3gpuE0ELNS1_3repE0EEENS1_36merge_oddeven_config_static_selectorELNS0_4arch9wavefront6targetE0EEEvSM_.kd
    .uniform_work_group_size: 1
    .uses_dynamic_stack: false
    .vgpr_count:     0
    .vgpr_spill_count: 0
    .wavefront_size: 32
    .workgroup_processor_mode: 1
  - .args:
      - .offset:         0
        .size:           64
        .value_kind:     by_value
    .group_segment_fixed_size: 0
    .kernarg_segment_align: 8
    .kernarg_segment_size: 64
    .language:       OpenCL C
    .language_version:
      - 2
      - 0
    .max_flat_workgroup_size: 256
    .name:           _ZN7rocprim17ROCPRIM_400000_NS6detail17trampoline_kernelINS0_14default_configENS1_38merge_sort_block_merge_config_selectorIlNS0_10empty_typeEEEZZNS1_27merge_sort_block_merge_implIS3_PlPS5_mZN2at6native12_GLOBAL__N_124unique_dim_cuda_templateIiEESt5tupleIJNSA_6TensorESF_SF_EERKSF_lbbbEUlllE_EE10hipError_tT0_T1_T2_jT3_P12ihipStream_tbPNSt15iterator_traitsISL_E10value_typeEPNSR_ISM_E10value_typeEPSN_NS1_7vsmem_tEENKUlT_SL_SM_SN_E_clIS8_S8_S9_S9_EESK_S10_SL_SM_SN_EUlS10_E1_NS1_11comp_targetILNS1_3genE10ELNS1_11target_archE1201ELNS1_3gpuE5ELNS1_3repE0EEENS1_36merge_oddeven_config_static_selectorELNS0_4arch9wavefront6targetE0EEEvSM_
    .private_segment_fixed_size: 0
    .sgpr_count:     0
    .sgpr_spill_count: 0
    .symbol:         _ZN7rocprim17ROCPRIM_400000_NS6detail17trampoline_kernelINS0_14default_configENS1_38merge_sort_block_merge_config_selectorIlNS0_10empty_typeEEEZZNS1_27merge_sort_block_merge_implIS3_PlPS5_mZN2at6native12_GLOBAL__N_124unique_dim_cuda_templateIiEESt5tupleIJNSA_6TensorESF_SF_EERKSF_lbbbEUlllE_EE10hipError_tT0_T1_T2_jT3_P12ihipStream_tbPNSt15iterator_traitsISL_E10value_typeEPNSR_ISM_E10value_typeEPSN_NS1_7vsmem_tEENKUlT_SL_SM_SN_E_clIS8_S8_S9_S9_EESK_S10_SL_SM_SN_EUlS10_E1_NS1_11comp_targetILNS1_3genE10ELNS1_11target_archE1201ELNS1_3gpuE5ELNS1_3repE0EEENS1_36merge_oddeven_config_static_selectorELNS0_4arch9wavefront6targetE0EEEvSM_.kd
    .uniform_work_group_size: 1
    .uses_dynamic_stack: false
    .vgpr_count:     0
    .vgpr_spill_count: 0
    .wavefront_size: 32
    .workgroup_processor_mode: 1
  - .args:
      - .offset:         0
        .size:           64
        .value_kind:     by_value
    .group_segment_fixed_size: 0
    .kernarg_segment_align: 8
    .kernarg_segment_size: 64
    .language:       OpenCL C
    .language_version:
      - 2
      - 0
    .max_flat_workgroup_size: 256
    .name:           _ZN7rocprim17ROCPRIM_400000_NS6detail17trampoline_kernelINS0_14default_configENS1_38merge_sort_block_merge_config_selectorIlNS0_10empty_typeEEEZZNS1_27merge_sort_block_merge_implIS3_PlPS5_mZN2at6native12_GLOBAL__N_124unique_dim_cuda_templateIiEESt5tupleIJNSA_6TensorESF_SF_EERKSF_lbbbEUlllE_EE10hipError_tT0_T1_T2_jT3_P12ihipStream_tbPNSt15iterator_traitsISL_E10value_typeEPNSR_ISM_E10value_typeEPSN_NS1_7vsmem_tEENKUlT_SL_SM_SN_E_clIS8_S8_S9_S9_EESK_S10_SL_SM_SN_EUlS10_E1_NS1_11comp_targetILNS1_3genE5ELNS1_11target_archE942ELNS1_3gpuE9ELNS1_3repE0EEENS1_36merge_oddeven_config_static_selectorELNS0_4arch9wavefront6targetE0EEEvSM_
    .private_segment_fixed_size: 0
    .sgpr_count:     0
    .sgpr_spill_count: 0
    .symbol:         _ZN7rocprim17ROCPRIM_400000_NS6detail17trampoline_kernelINS0_14default_configENS1_38merge_sort_block_merge_config_selectorIlNS0_10empty_typeEEEZZNS1_27merge_sort_block_merge_implIS3_PlPS5_mZN2at6native12_GLOBAL__N_124unique_dim_cuda_templateIiEESt5tupleIJNSA_6TensorESF_SF_EERKSF_lbbbEUlllE_EE10hipError_tT0_T1_T2_jT3_P12ihipStream_tbPNSt15iterator_traitsISL_E10value_typeEPNSR_ISM_E10value_typeEPSN_NS1_7vsmem_tEENKUlT_SL_SM_SN_E_clIS8_S8_S9_S9_EESK_S10_SL_SM_SN_EUlS10_E1_NS1_11comp_targetILNS1_3genE5ELNS1_11target_archE942ELNS1_3gpuE9ELNS1_3repE0EEENS1_36merge_oddeven_config_static_selectorELNS0_4arch9wavefront6targetE0EEEvSM_.kd
    .uniform_work_group_size: 1
    .uses_dynamic_stack: false
    .vgpr_count:     0
    .vgpr_spill_count: 0
    .wavefront_size: 32
    .workgroup_processor_mode: 1
  - .args:
      - .offset:         0
        .size:           64
        .value_kind:     by_value
    .group_segment_fixed_size: 0
    .kernarg_segment_align: 8
    .kernarg_segment_size: 64
    .language:       OpenCL C
    .language_version:
      - 2
      - 0
    .max_flat_workgroup_size: 256
    .name:           _ZN7rocprim17ROCPRIM_400000_NS6detail17trampoline_kernelINS0_14default_configENS1_38merge_sort_block_merge_config_selectorIlNS0_10empty_typeEEEZZNS1_27merge_sort_block_merge_implIS3_PlPS5_mZN2at6native12_GLOBAL__N_124unique_dim_cuda_templateIiEESt5tupleIJNSA_6TensorESF_SF_EERKSF_lbbbEUlllE_EE10hipError_tT0_T1_T2_jT3_P12ihipStream_tbPNSt15iterator_traitsISL_E10value_typeEPNSR_ISM_E10value_typeEPSN_NS1_7vsmem_tEENKUlT_SL_SM_SN_E_clIS8_S8_S9_S9_EESK_S10_SL_SM_SN_EUlS10_E1_NS1_11comp_targetILNS1_3genE4ELNS1_11target_archE910ELNS1_3gpuE8ELNS1_3repE0EEENS1_36merge_oddeven_config_static_selectorELNS0_4arch9wavefront6targetE0EEEvSM_
    .private_segment_fixed_size: 0
    .sgpr_count:     0
    .sgpr_spill_count: 0
    .symbol:         _ZN7rocprim17ROCPRIM_400000_NS6detail17trampoline_kernelINS0_14default_configENS1_38merge_sort_block_merge_config_selectorIlNS0_10empty_typeEEEZZNS1_27merge_sort_block_merge_implIS3_PlPS5_mZN2at6native12_GLOBAL__N_124unique_dim_cuda_templateIiEESt5tupleIJNSA_6TensorESF_SF_EERKSF_lbbbEUlllE_EE10hipError_tT0_T1_T2_jT3_P12ihipStream_tbPNSt15iterator_traitsISL_E10value_typeEPNSR_ISM_E10value_typeEPSN_NS1_7vsmem_tEENKUlT_SL_SM_SN_E_clIS8_S8_S9_S9_EESK_S10_SL_SM_SN_EUlS10_E1_NS1_11comp_targetILNS1_3genE4ELNS1_11target_archE910ELNS1_3gpuE8ELNS1_3repE0EEENS1_36merge_oddeven_config_static_selectorELNS0_4arch9wavefront6targetE0EEEvSM_.kd
    .uniform_work_group_size: 1
    .uses_dynamic_stack: false
    .vgpr_count:     0
    .vgpr_spill_count: 0
    .wavefront_size: 32
    .workgroup_processor_mode: 1
  - .args:
      - .offset:         0
        .size:           64
        .value_kind:     by_value
    .group_segment_fixed_size: 0
    .kernarg_segment_align: 8
    .kernarg_segment_size: 64
    .language:       OpenCL C
    .language_version:
      - 2
      - 0
    .max_flat_workgroup_size: 256
    .name:           _ZN7rocprim17ROCPRIM_400000_NS6detail17trampoline_kernelINS0_14default_configENS1_38merge_sort_block_merge_config_selectorIlNS0_10empty_typeEEEZZNS1_27merge_sort_block_merge_implIS3_PlPS5_mZN2at6native12_GLOBAL__N_124unique_dim_cuda_templateIiEESt5tupleIJNSA_6TensorESF_SF_EERKSF_lbbbEUlllE_EE10hipError_tT0_T1_T2_jT3_P12ihipStream_tbPNSt15iterator_traitsISL_E10value_typeEPNSR_ISM_E10value_typeEPSN_NS1_7vsmem_tEENKUlT_SL_SM_SN_E_clIS8_S8_S9_S9_EESK_S10_SL_SM_SN_EUlS10_E1_NS1_11comp_targetILNS1_3genE3ELNS1_11target_archE908ELNS1_3gpuE7ELNS1_3repE0EEENS1_36merge_oddeven_config_static_selectorELNS0_4arch9wavefront6targetE0EEEvSM_
    .private_segment_fixed_size: 0
    .sgpr_count:     0
    .sgpr_spill_count: 0
    .symbol:         _ZN7rocprim17ROCPRIM_400000_NS6detail17trampoline_kernelINS0_14default_configENS1_38merge_sort_block_merge_config_selectorIlNS0_10empty_typeEEEZZNS1_27merge_sort_block_merge_implIS3_PlPS5_mZN2at6native12_GLOBAL__N_124unique_dim_cuda_templateIiEESt5tupleIJNSA_6TensorESF_SF_EERKSF_lbbbEUlllE_EE10hipError_tT0_T1_T2_jT3_P12ihipStream_tbPNSt15iterator_traitsISL_E10value_typeEPNSR_ISM_E10value_typeEPSN_NS1_7vsmem_tEENKUlT_SL_SM_SN_E_clIS8_S8_S9_S9_EESK_S10_SL_SM_SN_EUlS10_E1_NS1_11comp_targetILNS1_3genE3ELNS1_11target_archE908ELNS1_3gpuE7ELNS1_3repE0EEENS1_36merge_oddeven_config_static_selectorELNS0_4arch9wavefront6targetE0EEEvSM_.kd
    .uniform_work_group_size: 1
    .uses_dynamic_stack: false
    .vgpr_count:     0
    .vgpr_spill_count: 0
    .wavefront_size: 32
    .workgroup_processor_mode: 1
  - .args:
      - .offset:         0
        .size:           64
        .value_kind:     by_value
    .group_segment_fixed_size: 0
    .kernarg_segment_align: 8
    .kernarg_segment_size: 64
    .language:       OpenCL C
    .language_version:
      - 2
      - 0
    .max_flat_workgroup_size: 256
    .name:           _ZN7rocprim17ROCPRIM_400000_NS6detail17trampoline_kernelINS0_14default_configENS1_38merge_sort_block_merge_config_selectorIlNS0_10empty_typeEEEZZNS1_27merge_sort_block_merge_implIS3_PlPS5_mZN2at6native12_GLOBAL__N_124unique_dim_cuda_templateIiEESt5tupleIJNSA_6TensorESF_SF_EERKSF_lbbbEUlllE_EE10hipError_tT0_T1_T2_jT3_P12ihipStream_tbPNSt15iterator_traitsISL_E10value_typeEPNSR_ISM_E10value_typeEPSN_NS1_7vsmem_tEENKUlT_SL_SM_SN_E_clIS8_S8_S9_S9_EESK_S10_SL_SM_SN_EUlS10_E1_NS1_11comp_targetILNS1_3genE2ELNS1_11target_archE906ELNS1_3gpuE6ELNS1_3repE0EEENS1_36merge_oddeven_config_static_selectorELNS0_4arch9wavefront6targetE0EEEvSM_
    .private_segment_fixed_size: 0
    .sgpr_count:     0
    .sgpr_spill_count: 0
    .symbol:         _ZN7rocprim17ROCPRIM_400000_NS6detail17trampoline_kernelINS0_14default_configENS1_38merge_sort_block_merge_config_selectorIlNS0_10empty_typeEEEZZNS1_27merge_sort_block_merge_implIS3_PlPS5_mZN2at6native12_GLOBAL__N_124unique_dim_cuda_templateIiEESt5tupleIJNSA_6TensorESF_SF_EERKSF_lbbbEUlllE_EE10hipError_tT0_T1_T2_jT3_P12ihipStream_tbPNSt15iterator_traitsISL_E10value_typeEPNSR_ISM_E10value_typeEPSN_NS1_7vsmem_tEENKUlT_SL_SM_SN_E_clIS8_S8_S9_S9_EESK_S10_SL_SM_SN_EUlS10_E1_NS1_11comp_targetILNS1_3genE2ELNS1_11target_archE906ELNS1_3gpuE6ELNS1_3repE0EEENS1_36merge_oddeven_config_static_selectorELNS0_4arch9wavefront6targetE0EEEvSM_.kd
    .uniform_work_group_size: 1
    .uses_dynamic_stack: false
    .vgpr_count:     0
    .vgpr_spill_count: 0
    .wavefront_size: 32
    .workgroup_processor_mode: 1
  - .args:
      - .offset:         0
        .size:           64
        .value_kind:     by_value
    .group_segment_fixed_size: 0
    .kernarg_segment_align: 8
    .kernarg_segment_size: 64
    .language:       OpenCL C
    .language_version:
      - 2
      - 0
    .max_flat_workgroup_size: 256
    .name:           _ZN7rocprim17ROCPRIM_400000_NS6detail17trampoline_kernelINS0_14default_configENS1_38merge_sort_block_merge_config_selectorIlNS0_10empty_typeEEEZZNS1_27merge_sort_block_merge_implIS3_PlPS5_mZN2at6native12_GLOBAL__N_124unique_dim_cuda_templateIiEESt5tupleIJNSA_6TensorESF_SF_EERKSF_lbbbEUlllE_EE10hipError_tT0_T1_T2_jT3_P12ihipStream_tbPNSt15iterator_traitsISL_E10value_typeEPNSR_ISM_E10value_typeEPSN_NS1_7vsmem_tEENKUlT_SL_SM_SN_E_clIS8_S8_S9_S9_EESK_S10_SL_SM_SN_EUlS10_E1_NS1_11comp_targetILNS1_3genE9ELNS1_11target_archE1100ELNS1_3gpuE3ELNS1_3repE0EEENS1_36merge_oddeven_config_static_selectorELNS0_4arch9wavefront6targetE0EEEvSM_
    .private_segment_fixed_size: 0
    .sgpr_count:     30
    .sgpr_spill_count: 0
    .symbol:         _ZN7rocprim17ROCPRIM_400000_NS6detail17trampoline_kernelINS0_14default_configENS1_38merge_sort_block_merge_config_selectorIlNS0_10empty_typeEEEZZNS1_27merge_sort_block_merge_implIS3_PlPS5_mZN2at6native12_GLOBAL__N_124unique_dim_cuda_templateIiEESt5tupleIJNSA_6TensorESF_SF_EERKSF_lbbbEUlllE_EE10hipError_tT0_T1_T2_jT3_P12ihipStream_tbPNSt15iterator_traitsISL_E10value_typeEPNSR_ISM_E10value_typeEPSN_NS1_7vsmem_tEENKUlT_SL_SM_SN_E_clIS8_S8_S9_S9_EESK_S10_SL_SM_SN_EUlS10_E1_NS1_11comp_targetILNS1_3genE9ELNS1_11target_archE1100ELNS1_3gpuE3ELNS1_3repE0EEENS1_36merge_oddeven_config_static_selectorELNS0_4arch9wavefront6targetE0EEEvSM_.kd
    .uniform_work_group_size: 1
    .uses_dynamic_stack: false
    .vgpr_count:     18
    .vgpr_spill_count: 0
    .wavefront_size: 32
    .workgroup_processor_mode: 1
  - .args:
      - .offset:         0
        .size:           64
        .value_kind:     by_value
    .group_segment_fixed_size: 0
    .kernarg_segment_align: 8
    .kernarg_segment_size: 64
    .language:       OpenCL C
    .language_version:
      - 2
      - 0
    .max_flat_workgroup_size: 256
    .name:           _ZN7rocprim17ROCPRIM_400000_NS6detail17trampoline_kernelINS0_14default_configENS1_38merge_sort_block_merge_config_selectorIlNS0_10empty_typeEEEZZNS1_27merge_sort_block_merge_implIS3_PlPS5_mZN2at6native12_GLOBAL__N_124unique_dim_cuda_templateIiEESt5tupleIJNSA_6TensorESF_SF_EERKSF_lbbbEUlllE_EE10hipError_tT0_T1_T2_jT3_P12ihipStream_tbPNSt15iterator_traitsISL_E10value_typeEPNSR_ISM_E10value_typeEPSN_NS1_7vsmem_tEENKUlT_SL_SM_SN_E_clIS8_S8_S9_S9_EESK_S10_SL_SM_SN_EUlS10_E1_NS1_11comp_targetILNS1_3genE8ELNS1_11target_archE1030ELNS1_3gpuE2ELNS1_3repE0EEENS1_36merge_oddeven_config_static_selectorELNS0_4arch9wavefront6targetE0EEEvSM_
    .private_segment_fixed_size: 0
    .sgpr_count:     0
    .sgpr_spill_count: 0
    .symbol:         _ZN7rocprim17ROCPRIM_400000_NS6detail17trampoline_kernelINS0_14default_configENS1_38merge_sort_block_merge_config_selectorIlNS0_10empty_typeEEEZZNS1_27merge_sort_block_merge_implIS3_PlPS5_mZN2at6native12_GLOBAL__N_124unique_dim_cuda_templateIiEESt5tupleIJNSA_6TensorESF_SF_EERKSF_lbbbEUlllE_EE10hipError_tT0_T1_T2_jT3_P12ihipStream_tbPNSt15iterator_traitsISL_E10value_typeEPNSR_ISM_E10value_typeEPSN_NS1_7vsmem_tEENKUlT_SL_SM_SN_E_clIS8_S8_S9_S9_EESK_S10_SL_SM_SN_EUlS10_E1_NS1_11comp_targetILNS1_3genE8ELNS1_11target_archE1030ELNS1_3gpuE2ELNS1_3repE0EEENS1_36merge_oddeven_config_static_selectorELNS0_4arch9wavefront6targetE0EEEvSM_.kd
    .uniform_work_group_size: 1
    .uses_dynamic_stack: false
    .vgpr_count:     0
    .vgpr_spill_count: 0
    .wavefront_size: 32
    .workgroup_processor_mode: 1
  - .args:
      - .offset:         0
        .size:           64
        .value_kind:     by_value
    .group_segment_fixed_size: 0
    .kernarg_segment_align: 8
    .kernarg_segment_size: 64
    .language:       OpenCL C
    .language_version:
      - 2
      - 0
    .max_flat_workgroup_size: 128
    .name:           _ZN7rocprim17ROCPRIM_400000_NS6detail17trampoline_kernelINS0_14default_configENS1_35adjacent_difference_config_selectorILb0ElEEZNS1_24adjacent_difference_implIS3_Lb0ELb0EPlS7_ZN2at6native12_GLOBAL__N_124unique_dim_cuda_templateIiEESt5tupleIJNS8_6TensorESD_SD_EERKSD_lbbbEUlllE1_EE10hipError_tPvRmT2_T3_mT4_P12ihipStream_tbEUlT_E_NS1_11comp_targetILNS1_3genE0ELNS1_11target_archE4294967295ELNS1_3gpuE0ELNS1_3repE0EEENS1_30default_config_static_selectorELNS0_4arch9wavefront6targetE0EEEvT1_
    .private_segment_fixed_size: 0
    .sgpr_count:     0
    .sgpr_spill_count: 0
    .symbol:         _ZN7rocprim17ROCPRIM_400000_NS6detail17trampoline_kernelINS0_14default_configENS1_35adjacent_difference_config_selectorILb0ElEEZNS1_24adjacent_difference_implIS3_Lb0ELb0EPlS7_ZN2at6native12_GLOBAL__N_124unique_dim_cuda_templateIiEESt5tupleIJNS8_6TensorESD_SD_EERKSD_lbbbEUlllE1_EE10hipError_tPvRmT2_T3_mT4_P12ihipStream_tbEUlT_E_NS1_11comp_targetILNS1_3genE0ELNS1_11target_archE4294967295ELNS1_3gpuE0ELNS1_3repE0EEENS1_30default_config_static_selectorELNS0_4arch9wavefront6targetE0EEEvT1_.kd
    .uniform_work_group_size: 1
    .uses_dynamic_stack: false
    .vgpr_count:     0
    .vgpr_spill_count: 0
    .wavefront_size: 32
    .workgroup_processor_mode: 1
  - .args:
      - .offset:         0
        .size:           64
        .value_kind:     by_value
    .group_segment_fixed_size: 0
    .kernarg_segment_align: 8
    .kernarg_segment_size: 64
    .language:       OpenCL C
    .language_version:
      - 2
      - 0
    .max_flat_workgroup_size: 128
    .name:           _ZN7rocprim17ROCPRIM_400000_NS6detail17trampoline_kernelINS0_14default_configENS1_35adjacent_difference_config_selectorILb0ElEEZNS1_24adjacent_difference_implIS3_Lb0ELb0EPlS7_ZN2at6native12_GLOBAL__N_124unique_dim_cuda_templateIiEESt5tupleIJNS8_6TensorESD_SD_EERKSD_lbbbEUlllE1_EE10hipError_tPvRmT2_T3_mT4_P12ihipStream_tbEUlT_E_NS1_11comp_targetILNS1_3genE10ELNS1_11target_archE1201ELNS1_3gpuE5ELNS1_3repE0EEENS1_30default_config_static_selectorELNS0_4arch9wavefront6targetE0EEEvT1_
    .private_segment_fixed_size: 0
    .sgpr_count:     0
    .sgpr_spill_count: 0
    .symbol:         _ZN7rocprim17ROCPRIM_400000_NS6detail17trampoline_kernelINS0_14default_configENS1_35adjacent_difference_config_selectorILb0ElEEZNS1_24adjacent_difference_implIS3_Lb0ELb0EPlS7_ZN2at6native12_GLOBAL__N_124unique_dim_cuda_templateIiEESt5tupleIJNS8_6TensorESD_SD_EERKSD_lbbbEUlllE1_EE10hipError_tPvRmT2_T3_mT4_P12ihipStream_tbEUlT_E_NS1_11comp_targetILNS1_3genE10ELNS1_11target_archE1201ELNS1_3gpuE5ELNS1_3repE0EEENS1_30default_config_static_selectorELNS0_4arch9wavefront6targetE0EEEvT1_.kd
    .uniform_work_group_size: 1
    .uses_dynamic_stack: false
    .vgpr_count:     0
    .vgpr_spill_count: 0
    .wavefront_size: 32
    .workgroup_processor_mode: 1
  - .args:
      - .offset:         0
        .size:           64
        .value_kind:     by_value
    .group_segment_fixed_size: 0
    .kernarg_segment_align: 8
    .kernarg_segment_size: 64
    .language:       OpenCL C
    .language_version:
      - 2
      - 0
    .max_flat_workgroup_size: 64
    .name:           _ZN7rocprim17ROCPRIM_400000_NS6detail17trampoline_kernelINS0_14default_configENS1_35adjacent_difference_config_selectorILb0ElEEZNS1_24adjacent_difference_implIS3_Lb0ELb0EPlS7_ZN2at6native12_GLOBAL__N_124unique_dim_cuda_templateIiEESt5tupleIJNS8_6TensorESD_SD_EERKSD_lbbbEUlllE1_EE10hipError_tPvRmT2_T3_mT4_P12ihipStream_tbEUlT_E_NS1_11comp_targetILNS1_3genE5ELNS1_11target_archE942ELNS1_3gpuE9ELNS1_3repE0EEENS1_30default_config_static_selectorELNS0_4arch9wavefront6targetE0EEEvT1_
    .private_segment_fixed_size: 0
    .sgpr_count:     0
    .sgpr_spill_count: 0
    .symbol:         _ZN7rocprim17ROCPRIM_400000_NS6detail17trampoline_kernelINS0_14default_configENS1_35adjacent_difference_config_selectorILb0ElEEZNS1_24adjacent_difference_implIS3_Lb0ELb0EPlS7_ZN2at6native12_GLOBAL__N_124unique_dim_cuda_templateIiEESt5tupleIJNS8_6TensorESD_SD_EERKSD_lbbbEUlllE1_EE10hipError_tPvRmT2_T3_mT4_P12ihipStream_tbEUlT_E_NS1_11comp_targetILNS1_3genE5ELNS1_11target_archE942ELNS1_3gpuE9ELNS1_3repE0EEENS1_30default_config_static_selectorELNS0_4arch9wavefront6targetE0EEEvT1_.kd
    .uniform_work_group_size: 1
    .uses_dynamic_stack: false
    .vgpr_count:     0
    .vgpr_spill_count: 0
    .wavefront_size: 32
    .workgroup_processor_mode: 1
  - .args:
      - .offset:         0
        .size:           64
        .value_kind:     by_value
    .group_segment_fixed_size: 0
    .kernarg_segment_align: 8
    .kernarg_segment_size: 64
    .language:       OpenCL C
    .language_version:
      - 2
      - 0
    .max_flat_workgroup_size: 256
    .name:           _ZN7rocprim17ROCPRIM_400000_NS6detail17trampoline_kernelINS0_14default_configENS1_35adjacent_difference_config_selectorILb0ElEEZNS1_24adjacent_difference_implIS3_Lb0ELb0EPlS7_ZN2at6native12_GLOBAL__N_124unique_dim_cuda_templateIiEESt5tupleIJNS8_6TensorESD_SD_EERKSD_lbbbEUlllE1_EE10hipError_tPvRmT2_T3_mT4_P12ihipStream_tbEUlT_E_NS1_11comp_targetILNS1_3genE4ELNS1_11target_archE910ELNS1_3gpuE8ELNS1_3repE0EEENS1_30default_config_static_selectorELNS0_4arch9wavefront6targetE0EEEvT1_
    .private_segment_fixed_size: 0
    .sgpr_count:     0
    .sgpr_spill_count: 0
    .symbol:         _ZN7rocprim17ROCPRIM_400000_NS6detail17trampoline_kernelINS0_14default_configENS1_35adjacent_difference_config_selectorILb0ElEEZNS1_24adjacent_difference_implIS3_Lb0ELb0EPlS7_ZN2at6native12_GLOBAL__N_124unique_dim_cuda_templateIiEESt5tupleIJNS8_6TensorESD_SD_EERKSD_lbbbEUlllE1_EE10hipError_tPvRmT2_T3_mT4_P12ihipStream_tbEUlT_E_NS1_11comp_targetILNS1_3genE4ELNS1_11target_archE910ELNS1_3gpuE8ELNS1_3repE0EEENS1_30default_config_static_selectorELNS0_4arch9wavefront6targetE0EEEvT1_.kd
    .uniform_work_group_size: 1
    .uses_dynamic_stack: false
    .vgpr_count:     0
    .vgpr_spill_count: 0
    .wavefront_size: 32
    .workgroup_processor_mode: 1
  - .args:
      - .offset:         0
        .size:           64
        .value_kind:     by_value
    .group_segment_fixed_size: 0
    .kernarg_segment_align: 8
    .kernarg_segment_size: 64
    .language:       OpenCL C
    .language_version:
      - 2
      - 0
    .max_flat_workgroup_size: 128
    .name:           _ZN7rocprim17ROCPRIM_400000_NS6detail17trampoline_kernelINS0_14default_configENS1_35adjacent_difference_config_selectorILb0ElEEZNS1_24adjacent_difference_implIS3_Lb0ELb0EPlS7_ZN2at6native12_GLOBAL__N_124unique_dim_cuda_templateIiEESt5tupleIJNS8_6TensorESD_SD_EERKSD_lbbbEUlllE1_EE10hipError_tPvRmT2_T3_mT4_P12ihipStream_tbEUlT_E_NS1_11comp_targetILNS1_3genE3ELNS1_11target_archE908ELNS1_3gpuE7ELNS1_3repE0EEENS1_30default_config_static_selectorELNS0_4arch9wavefront6targetE0EEEvT1_
    .private_segment_fixed_size: 0
    .sgpr_count:     0
    .sgpr_spill_count: 0
    .symbol:         _ZN7rocprim17ROCPRIM_400000_NS6detail17trampoline_kernelINS0_14default_configENS1_35adjacent_difference_config_selectorILb0ElEEZNS1_24adjacent_difference_implIS3_Lb0ELb0EPlS7_ZN2at6native12_GLOBAL__N_124unique_dim_cuda_templateIiEESt5tupleIJNS8_6TensorESD_SD_EERKSD_lbbbEUlllE1_EE10hipError_tPvRmT2_T3_mT4_P12ihipStream_tbEUlT_E_NS1_11comp_targetILNS1_3genE3ELNS1_11target_archE908ELNS1_3gpuE7ELNS1_3repE0EEENS1_30default_config_static_selectorELNS0_4arch9wavefront6targetE0EEEvT1_.kd
    .uniform_work_group_size: 1
    .uses_dynamic_stack: false
    .vgpr_count:     0
    .vgpr_spill_count: 0
    .wavefront_size: 32
    .workgroup_processor_mode: 1
  - .args:
      - .offset:         0
        .size:           64
        .value_kind:     by_value
    .group_segment_fixed_size: 0
    .kernarg_segment_align: 8
    .kernarg_segment_size: 64
    .language:       OpenCL C
    .language_version:
      - 2
      - 0
    .max_flat_workgroup_size: 128
    .name:           _ZN7rocprim17ROCPRIM_400000_NS6detail17trampoline_kernelINS0_14default_configENS1_35adjacent_difference_config_selectorILb0ElEEZNS1_24adjacent_difference_implIS3_Lb0ELb0EPlS7_ZN2at6native12_GLOBAL__N_124unique_dim_cuda_templateIiEESt5tupleIJNS8_6TensorESD_SD_EERKSD_lbbbEUlllE1_EE10hipError_tPvRmT2_T3_mT4_P12ihipStream_tbEUlT_E_NS1_11comp_targetILNS1_3genE2ELNS1_11target_archE906ELNS1_3gpuE6ELNS1_3repE0EEENS1_30default_config_static_selectorELNS0_4arch9wavefront6targetE0EEEvT1_
    .private_segment_fixed_size: 0
    .sgpr_count:     0
    .sgpr_spill_count: 0
    .symbol:         _ZN7rocprim17ROCPRIM_400000_NS6detail17trampoline_kernelINS0_14default_configENS1_35adjacent_difference_config_selectorILb0ElEEZNS1_24adjacent_difference_implIS3_Lb0ELb0EPlS7_ZN2at6native12_GLOBAL__N_124unique_dim_cuda_templateIiEESt5tupleIJNS8_6TensorESD_SD_EERKSD_lbbbEUlllE1_EE10hipError_tPvRmT2_T3_mT4_P12ihipStream_tbEUlT_E_NS1_11comp_targetILNS1_3genE2ELNS1_11target_archE906ELNS1_3gpuE6ELNS1_3repE0EEENS1_30default_config_static_selectorELNS0_4arch9wavefront6targetE0EEEvT1_.kd
    .uniform_work_group_size: 1
    .uses_dynamic_stack: false
    .vgpr_count:     0
    .vgpr_spill_count: 0
    .wavefront_size: 32
    .workgroup_processor_mode: 1
  - .args:
      - .offset:         0
        .size:           64
        .value_kind:     by_value
    .group_segment_fixed_size: 8192
    .kernarg_segment_align: 8
    .kernarg_segment_size: 64
    .language:       OpenCL C
    .language_version:
      - 2
      - 0
    .max_flat_workgroup_size: 512
    .name:           _ZN7rocprim17ROCPRIM_400000_NS6detail17trampoline_kernelINS0_14default_configENS1_35adjacent_difference_config_selectorILb0ElEEZNS1_24adjacent_difference_implIS3_Lb0ELb0EPlS7_ZN2at6native12_GLOBAL__N_124unique_dim_cuda_templateIiEESt5tupleIJNS8_6TensorESD_SD_EERKSD_lbbbEUlllE1_EE10hipError_tPvRmT2_T3_mT4_P12ihipStream_tbEUlT_E_NS1_11comp_targetILNS1_3genE9ELNS1_11target_archE1100ELNS1_3gpuE3ELNS1_3repE0EEENS1_30default_config_static_selectorELNS0_4arch9wavefront6targetE0EEEvT1_
    .private_segment_fixed_size: 0
    .sgpr_count:     28
    .sgpr_spill_count: 0
    .symbol:         _ZN7rocprim17ROCPRIM_400000_NS6detail17trampoline_kernelINS0_14default_configENS1_35adjacent_difference_config_selectorILb0ElEEZNS1_24adjacent_difference_implIS3_Lb0ELb0EPlS7_ZN2at6native12_GLOBAL__N_124unique_dim_cuda_templateIiEESt5tupleIJNS8_6TensorESD_SD_EERKSD_lbbbEUlllE1_EE10hipError_tPvRmT2_T3_mT4_P12ihipStream_tbEUlT_E_NS1_11comp_targetILNS1_3genE9ELNS1_11target_archE1100ELNS1_3gpuE3ELNS1_3repE0EEENS1_30default_config_static_selectorELNS0_4arch9wavefront6targetE0EEEvT1_.kd
    .uniform_work_group_size: 1
    .uses_dynamic_stack: false
    .vgpr_count:     13
    .vgpr_spill_count: 0
    .wavefront_size: 32
    .workgroup_processor_mode: 1
  - .args:
      - .offset:         0
        .size:           64
        .value_kind:     by_value
    .group_segment_fixed_size: 0
    .kernarg_segment_align: 8
    .kernarg_segment_size: 64
    .language:       OpenCL C
    .language_version:
      - 2
      - 0
    .max_flat_workgroup_size: 1024
    .name:           _ZN7rocprim17ROCPRIM_400000_NS6detail17trampoline_kernelINS0_14default_configENS1_35adjacent_difference_config_selectorILb0ElEEZNS1_24adjacent_difference_implIS3_Lb0ELb0EPlS7_ZN2at6native12_GLOBAL__N_124unique_dim_cuda_templateIiEESt5tupleIJNS8_6TensorESD_SD_EERKSD_lbbbEUlllE1_EE10hipError_tPvRmT2_T3_mT4_P12ihipStream_tbEUlT_E_NS1_11comp_targetILNS1_3genE8ELNS1_11target_archE1030ELNS1_3gpuE2ELNS1_3repE0EEENS1_30default_config_static_selectorELNS0_4arch9wavefront6targetE0EEEvT1_
    .private_segment_fixed_size: 0
    .sgpr_count:     0
    .sgpr_spill_count: 0
    .symbol:         _ZN7rocprim17ROCPRIM_400000_NS6detail17trampoline_kernelINS0_14default_configENS1_35adjacent_difference_config_selectorILb0ElEEZNS1_24adjacent_difference_implIS3_Lb0ELb0EPlS7_ZN2at6native12_GLOBAL__N_124unique_dim_cuda_templateIiEESt5tupleIJNS8_6TensorESD_SD_EERKSD_lbbbEUlllE1_EE10hipError_tPvRmT2_T3_mT4_P12ihipStream_tbEUlT_E_NS1_11comp_targetILNS1_3genE8ELNS1_11target_archE1030ELNS1_3gpuE2ELNS1_3repE0EEENS1_30default_config_static_selectorELNS0_4arch9wavefront6targetE0EEEvT1_.kd
    .uniform_work_group_size: 1
    .uses_dynamic_stack: false
    .vgpr_count:     0
    .vgpr_spill_count: 0
    .wavefront_size: 32
    .workgroup_processor_mode: 1
  - .args:
      - .offset:         0
        .size:           56
        .value_kind:     by_value
    .group_segment_fixed_size: 0
    .kernarg_segment_align: 8
    .kernarg_segment_size: 56
    .language:       OpenCL C
    .language_version:
      - 2
      - 0
    .max_flat_workgroup_size: 128
    .name:           _ZN7rocprim17ROCPRIM_400000_NS6detail17trampoline_kernelINS0_14default_configENS1_25transform_config_selectorIlLb0EEEZNS1_14transform_implILb0ES3_S5_NS0_18transform_iteratorINS0_17counting_iteratorImlEEZNS1_24adjacent_difference_implIS3_Lb1ELb0EPlSB_ZN2at6native12_GLOBAL__N_124unique_dim_cuda_templateIiEESt5tupleIJNSC_6TensorESH_SH_EERKSH_lbbbEUlllE1_EE10hipError_tPvRmT2_T3_mT4_P12ihipStream_tbEUlmE_lEESB_NS0_8identityIvEEEESM_SP_SQ_mSR_ST_bEUlT_E_NS1_11comp_targetILNS1_3genE0ELNS1_11target_archE4294967295ELNS1_3gpuE0ELNS1_3repE0EEENS1_30default_config_static_selectorELNS0_4arch9wavefront6targetE0EEEvT1_
    .private_segment_fixed_size: 0
    .sgpr_count:     0
    .sgpr_spill_count: 0
    .symbol:         _ZN7rocprim17ROCPRIM_400000_NS6detail17trampoline_kernelINS0_14default_configENS1_25transform_config_selectorIlLb0EEEZNS1_14transform_implILb0ES3_S5_NS0_18transform_iteratorINS0_17counting_iteratorImlEEZNS1_24adjacent_difference_implIS3_Lb1ELb0EPlSB_ZN2at6native12_GLOBAL__N_124unique_dim_cuda_templateIiEESt5tupleIJNSC_6TensorESH_SH_EERKSH_lbbbEUlllE1_EE10hipError_tPvRmT2_T3_mT4_P12ihipStream_tbEUlmE_lEESB_NS0_8identityIvEEEESM_SP_SQ_mSR_ST_bEUlT_E_NS1_11comp_targetILNS1_3genE0ELNS1_11target_archE4294967295ELNS1_3gpuE0ELNS1_3repE0EEENS1_30default_config_static_selectorELNS0_4arch9wavefront6targetE0EEEvT1_.kd
    .uniform_work_group_size: 1
    .uses_dynamic_stack: false
    .vgpr_count:     0
    .vgpr_spill_count: 0
    .wavefront_size: 32
    .workgroup_processor_mode: 1
  - .args:
      - .offset:         0
        .size:           56
        .value_kind:     by_value
    .group_segment_fixed_size: 0
    .kernarg_segment_align: 8
    .kernarg_segment_size: 56
    .language:       OpenCL C
    .language_version:
      - 2
      - 0
    .max_flat_workgroup_size: 512
    .name:           _ZN7rocprim17ROCPRIM_400000_NS6detail17trampoline_kernelINS0_14default_configENS1_25transform_config_selectorIlLb0EEEZNS1_14transform_implILb0ES3_S5_NS0_18transform_iteratorINS0_17counting_iteratorImlEEZNS1_24adjacent_difference_implIS3_Lb1ELb0EPlSB_ZN2at6native12_GLOBAL__N_124unique_dim_cuda_templateIiEESt5tupleIJNSC_6TensorESH_SH_EERKSH_lbbbEUlllE1_EE10hipError_tPvRmT2_T3_mT4_P12ihipStream_tbEUlmE_lEESB_NS0_8identityIvEEEESM_SP_SQ_mSR_ST_bEUlT_E_NS1_11comp_targetILNS1_3genE5ELNS1_11target_archE942ELNS1_3gpuE9ELNS1_3repE0EEENS1_30default_config_static_selectorELNS0_4arch9wavefront6targetE0EEEvT1_
    .private_segment_fixed_size: 0
    .sgpr_count:     0
    .sgpr_spill_count: 0
    .symbol:         _ZN7rocprim17ROCPRIM_400000_NS6detail17trampoline_kernelINS0_14default_configENS1_25transform_config_selectorIlLb0EEEZNS1_14transform_implILb0ES3_S5_NS0_18transform_iteratorINS0_17counting_iteratorImlEEZNS1_24adjacent_difference_implIS3_Lb1ELb0EPlSB_ZN2at6native12_GLOBAL__N_124unique_dim_cuda_templateIiEESt5tupleIJNSC_6TensorESH_SH_EERKSH_lbbbEUlllE1_EE10hipError_tPvRmT2_T3_mT4_P12ihipStream_tbEUlmE_lEESB_NS0_8identityIvEEEESM_SP_SQ_mSR_ST_bEUlT_E_NS1_11comp_targetILNS1_3genE5ELNS1_11target_archE942ELNS1_3gpuE9ELNS1_3repE0EEENS1_30default_config_static_selectorELNS0_4arch9wavefront6targetE0EEEvT1_.kd
    .uniform_work_group_size: 1
    .uses_dynamic_stack: false
    .vgpr_count:     0
    .vgpr_spill_count: 0
    .wavefront_size: 32
    .workgroup_processor_mode: 1
  - .args:
      - .offset:         0
        .size:           56
        .value_kind:     by_value
    .group_segment_fixed_size: 0
    .kernarg_segment_align: 8
    .kernarg_segment_size: 56
    .language:       OpenCL C
    .language_version:
      - 2
      - 0
    .max_flat_workgroup_size: 256
    .name:           _ZN7rocprim17ROCPRIM_400000_NS6detail17trampoline_kernelINS0_14default_configENS1_25transform_config_selectorIlLb0EEEZNS1_14transform_implILb0ES3_S5_NS0_18transform_iteratorINS0_17counting_iteratorImlEEZNS1_24adjacent_difference_implIS3_Lb1ELb0EPlSB_ZN2at6native12_GLOBAL__N_124unique_dim_cuda_templateIiEESt5tupleIJNSC_6TensorESH_SH_EERKSH_lbbbEUlllE1_EE10hipError_tPvRmT2_T3_mT4_P12ihipStream_tbEUlmE_lEESB_NS0_8identityIvEEEESM_SP_SQ_mSR_ST_bEUlT_E_NS1_11comp_targetILNS1_3genE4ELNS1_11target_archE910ELNS1_3gpuE8ELNS1_3repE0EEENS1_30default_config_static_selectorELNS0_4arch9wavefront6targetE0EEEvT1_
    .private_segment_fixed_size: 0
    .sgpr_count:     0
    .sgpr_spill_count: 0
    .symbol:         _ZN7rocprim17ROCPRIM_400000_NS6detail17trampoline_kernelINS0_14default_configENS1_25transform_config_selectorIlLb0EEEZNS1_14transform_implILb0ES3_S5_NS0_18transform_iteratorINS0_17counting_iteratorImlEEZNS1_24adjacent_difference_implIS3_Lb1ELb0EPlSB_ZN2at6native12_GLOBAL__N_124unique_dim_cuda_templateIiEESt5tupleIJNSC_6TensorESH_SH_EERKSH_lbbbEUlllE1_EE10hipError_tPvRmT2_T3_mT4_P12ihipStream_tbEUlmE_lEESB_NS0_8identityIvEEEESM_SP_SQ_mSR_ST_bEUlT_E_NS1_11comp_targetILNS1_3genE4ELNS1_11target_archE910ELNS1_3gpuE8ELNS1_3repE0EEENS1_30default_config_static_selectorELNS0_4arch9wavefront6targetE0EEEvT1_.kd
    .uniform_work_group_size: 1
    .uses_dynamic_stack: false
    .vgpr_count:     0
    .vgpr_spill_count: 0
    .wavefront_size: 32
    .workgroup_processor_mode: 1
  - .args:
      - .offset:         0
        .size:           56
        .value_kind:     by_value
    .group_segment_fixed_size: 0
    .kernarg_segment_align: 8
    .kernarg_segment_size: 56
    .language:       OpenCL C
    .language_version:
      - 2
      - 0
    .max_flat_workgroup_size: 128
    .name:           _ZN7rocprim17ROCPRIM_400000_NS6detail17trampoline_kernelINS0_14default_configENS1_25transform_config_selectorIlLb0EEEZNS1_14transform_implILb0ES3_S5_NS0_18transform_iteratorINS0_17counting_iteratorImlEEZNS1_24adjacent_difference_implIS3_Lb1ELb0EPlSB_ZN2at6native12_GLOBAL__N_124unique_dim_cuda_templateIiEESt5tupleIJNSC_6TensorESH_SH_EERKSH_lbbbEUlllE1_EE10hipError_tPvRmT2_T3_mT4_P12ihipStream_tbEUlmE_lEESB_NS0_8identityIvEEEESM_SP_SQ_mSR_ST_bEUlT_E_NS1_11comp_targetILNS1_3genE3ELNS1_11target_archE908ELNS1_3gpuE7ELNS1_3repE0EEENS1_30default_config_static_selectorELNS0_4arch9wavefront6targetE0EEEvT1_
    .private_segment_fixed_size: 0
    .sgpr_count:     0
    .sgpr_spill_count: 0
    .symbol:         _ZN7rocprim17ROCPRIM_400000_NS6detail17trampoline_kernelINS0_14default_configENS1_25transform_config_selectorIlLb0EEEZNS1_14transform_implILb0ES3_S5_NS0_18transform_iteratorINS0_17counting_iteratorImlEEZNS1_24adjacent_difference_implIS3_Lb1ELb0EPlSB_ZN2at6native12_GLOBAL__N_124unique_dim_cuda_templateIiEESt5tupleIJNSC_6TensorESH_SH_EERKSH_lbbbEUlllE1_EE10hipError_tPvRmT2_T3_mT4_P12ihipStream_tbEUlmE_lEESB_NS0_8identityIvEEEESM_SP_SQ_mSR_ST_bEUlT_E_NS1_11comp_targetILNS1_3genE3ELNS1_11target_archE908ELNS1_3gpuE7ELNS1_3repE0EEENS1_30default_config_static_selectorELNS0_4arch9wavefront6targetE0EEEvT1_.kd
    .uniform_work_group_size: 1
    .uses_dynamic_stack: false
    .vgpr_count:     0
    .vgpr_spill_count: 0
    .wavefront_size: 32
    .workgroup_processor_mode: 1
  - .args:
      - .offset:         0
        .size:           56
        .value_kind:     by_value
    .group_segment_fixed_size: 0
    .kernarg_segment_align: 8
    .kernarg_segment_size: 56
    .language:       OpenCL C
    .language_version:
      - 2
      - 0
    .max_flat_workgroup_size: 512
    .name:           _ZN7rocprim17ROCPRIM_400000_NS6detail17trampoline_kernelINS0_14default_configENS1_25transform_config_selectorIlLb0EEEZNS1_14transform_implILb0ES3_S5_NS0_18transform_iteratorINS0_17counting_iteratorImlEEZNS1_24adjacent_difference_implIS3_Lb1ELb0EPlSB_ZN2at6native12_GLOBAL__N_124unique_dim_cuda_templateIiEESt5tupleIJNSC_6TensorESH_SH_EERKSH_lbbbEUlllE1_EE10hipError_tPvRmT2_T3_mT4_P12ihipStream_tbEUlmE_lEESB_NS0_8identityIvEEEESM_SP_SQ_mSR_ST_bEUlT_E_NS1_11comp_targetILNS1_3genE2ELNS1_11target_archE906ELNS1_3gpuE6ELNS1_3repE0EEENS1_30default_config_static_selectorELNS0_4arch9wavefront6targetE0EEEvT1_
    .private_segment_fixed_size: 0
    .sgpr_count:     0
    .sgpr_spill_count: 0
    .symbol:         _ZN7rocprim17ROCPRIM_400000_NS6detail17trampoline_kernelINS0_14default_configENS1_25transform_config_selectorIlLb0EEEZNS1_14transform_implILb0ES3_S5_NS0_18transform_iteratorINS0_17counting_iteratorImlEEZNS1_24adjacent_difference_implIS3_Lb1ELb0EPlSB_ZN2at6native12_GLOBAL__N_124unique_dim_cuda_templateIiEESt5tupleIJNSC_6TensorESH_SH_EERKSH_lbbbEUlllE1_EE10hipError_tPvRmT2_T3_mT4_P12ihipStream_tbEUlmE_lEESB_NS0_8identityIvEEEESM_SP_SQ_mSR_ST_bEUlT_E_NS1_11comp_targetILNS1_3genE2ELNS1_11target_archE906ELNS1_3gpuE6ELNS1_3repE0EEENS1_30default_config_static_selectorELNS0_4arch9wavefront6targetE0EEEvT1_.kd
    .uniform_work_group_size: 1
    .uses_dynamic_stack: false
    .vgpr_count:     0
    .vgpr_spill_count: 0
    .wavefront_size: 32
    .workgroup_processor_mode: 1
  - .args:
      - .offset:         0
        .size:           56
        .value_kind:     by_value
    .group_segment_fixed_size: 0
    .kernarg_segment_align: 8
    .kernarg_segment_size: 56
    .language:       OpenCL C
    .language_version:
      - 2
      - 0
    .max_flat_workgroup_size: 1024
    .name:           _ZN7rocprim17ROCPRIM_400000_NS6detail17trampoline_kernelINS0_14default_configENS1_25transform_config_selectorIlLb0EEEZNS1_14transform_implILb0ES3_S5_NS0_18transform_iteratorINS0_17counting_iteratorImlEEZNS1_24adjacent_difference_implIS3_Lb1ELb0EPlSB_ZN2at6native12_GLOBAL__N_124unique_dim_cuda_templateIiEESt5tupleIJNSC_6TensorESH_SH_EERKSH_lbbbEUlllE1_EE10hipError_tPvRmT2_T3_mT4_P12ihipStream_tbEUlmE_lEESB_NS0_8identityIvEEEESM_SP_SQ_mSR_ST_bEUlT_E_NS1_11comp_targetILNS1_3genE10ELNS1_11target_archE1201ELNS1_3gpuE5ELNS1_3repE0EEENS1_30default_config_static_selectorELNS0_4arch9wavefront6targetE0EEEvT1_
    .private_segment_fixed_size: 0
    .sgpr_count:     0
    .sgpr_spill_count: 0
    .symbol:         _ZN7rocprim17ROCPRIM_400000_NS6detail17trampoline_kernelINS0_14default_configENS1_25transform_config_selectorIlLb0EEEZNS1_14transform_implILb0ES3_S5_NS0_18transform_iteratorINS0_17counting_iteratorImlEEZNS1_24adjacent_difference_implIS3_Lb1ELb0EPlSB_ZN2at6native12_GLOBAL__N_124unique_dim_cuda_templateIiEESt5tupleIJNSC_6TensorESH_SH_EERKSH_lbbbEUlllE1_EE10hipError_tPvRmT2_T3_mT4_P12ihipStream_tbEUlmE_lEESB_NS0_8identityIvEEEESM_SP_SQ_mSR_ST_bEUlT_E_NS1_11comp_targetILNS1_3genE10ELNS1_11target_archE1201ELNS1_3gpuE5ELNS1_3repE0EEENS1_30default_config_static_selectorELNS0_4arch9wavefront6targetE0EEEvT1_.kd
    .uniform_work_group_size: 1
    .uses_dynamic_stack: false
    .vgpr_count:     0
    .vgpr_spill_count: 0
    .wavefront_size: 32
    .workgroup_processor_mode: 1
  - .args:
      - .offset:         0
        .size:           56
        .value_kind:     by_value
    .group_segment_fixed_size: 0
    .kernarg_segment_align: 8
    .kernarg_segment_size: 56
    .language:       OpenCL C
    .language_version:
      - 2
      - 0
    .max_flat_workgroup_size: 512
    .name:           _ZN7rocprim17ROCPRIM_400000_NS6detail17trampoline_kernelINS0_14default_configENS1_25transform_config_selectorIlLb0EEEZNS1_14transform_implILb0ES3_S5_NS0_18transform_iteratorINS0_17counting_iteratorImlEEZNS1_24adjacent_difference_implIS3_Lb1ELb0EPlSB_ZN2at6native12_GLOBAL__N_124unique_dim_cuda_templateIiEESt5tupleIJNSC_6TensorESH_SH_EERKSH_lbbbEUlllE1_EE10hipError_tPvRmT2_T3_mT4_P12ihipStream_tbEUlmE_lEESB_NS0_8identityIvEEEESM_SP_SQ_mSR_ST_bEUlT_E_NS1_11comp_targetILNS1_3genE10ELNS1_11target_archE1200ELNS1_3gpuE4ELNS1_3repE0EEENS1_30default_config_static_selectorELNS0_4arch9wavefront6targetE0EEEvT1_
    .private_segment_fixed_size: 0
    .sgpr_count:     0
    .sgpr_spill_count: 0
    .symbol:         _ZN7rocprim17ROCPRIM_400000_NS6detail17trampoline_kernelINS0_14default_configENS1_25transform_config_selectorIlLb0EEEZNS1_14transform_implILb0ES3_S5_NS0_18transform_iteratorINS0_17counting_iteratorImlEEZNS1_24adjacent_difference_implIS3_Lb1ELb0EPlSB_ZN2at6native12_GLOBAL__N_124unique_dim_cuda_templateIiEESt5tupleIJNSC_6TensorESH_SH_EERKSH_lbbbEUlllE1_EE10hipError_tPvRmT2_T3_mT4_P12ihipStream_tbEUlmE_lEESB_NS0_8identityIvEEEESM_SP_SQ_mSR_ST_bEUlT_E_NS1_11comp_targetILNS1_3genE10ELNS1_11target_archE1200ELNS1_3gpuE4ELNS1_3repE0EEENS1_30default_config_static_selectorELNS0_4arch9wavefront6targetE0EEEvT1_.kd
    .uniform_work_group_size: 1
    .uses_dynamic_stack: false
    .vgpr_count:     0
    .vgpr_spill_count: 0
    .wavefront_size: 32
    .workgroup_processor_mode: 1
  - .args:
      - .offset:         0
        .size:           56
        .value_kind:     by_value
      - .offset:         56
        .size:           4
        .value_kind:     hidden_block_count_x
      - .offset:         60
        .size:           4
        .value_kind:     hidden_block_count_y
      - .offset:         64
        .size:           4
        .value_kind:     hidden_block_count_z
      - .offset:         68
        .size:           2
        .value_kind:     hidden_group_size_x
      - .offset:         70
        .size:           2
        .value_kind:     hidden_group_size_y
      - .offset:         72
        .size:           2
        .value_kind:     hidden_group_size_z
      - .offset:         74
        .size:           2
        .value_kind:     hidden_remainder_x
      - .offset:         76
        .size:           2
        .value_kind:     hidden_remainder_y
      - .offset:         78
        .size:           2
        .value_kind:     hidden_remainder_z
      - .offset:         96
        .size:           8
        .value_kind:     hidden_global_offset_x
      - .offset:         104
        .size:           8
        .value_kind:     hidden_global_offset_y
      - .offset:         112
        .size:           8
        .value_kind:     hidden_global_offset_z
      - .offset:         120
        .size:           2
        .value_kind:     hidden_grid_dims
    .group_segment_fixed_size: 0
    .kernarg_segment_align: 8
    .kernarg_segment_size: 312
    .language:       OpenCL C
    .language_version:
      - 2
      - 0
    .max_flat_workgroup_size: 512
    .name:           _ZN7rocprim17ROCPRIM_400000_NS6detail17trampoline_kernelINS0_14default_configENS1_25transform_config_selectorIlLb0EEEZNS1_14transform_implILb0ES3_S5_NS0_18transform_iteratorINS0_17counting_iteratorImlEEZNS1_24adjacent_difference_implIS3_Lb1ELb0EPlSB_ZN2at6native12_GLOBAL__N_124unique_dim_cuda_templateIiEESt5tupleIJNSC_6TensorESH_SH_EERKSH_lbbbEUlllE1_EE10hipError_tPvRmT2_T3_mT4_P12ihipStream_tbEUlmE_lEESB_NS0_8identityIvEEEESM_SP_SQ_mSR_ST_bEUlT_E_NS1_11comp_targetILNS1_3genE9ELNS1_11target_archE1100ELNS1_3gpuE3ELNS1_3repE0EEENS1_30default_config_static_selectorELNS0_4arch9wavefront6targetE0EEEvT1_
    .private_segment_fixed_size: 0
    .sgpr_count:     18
    .sgpr_spill_count: 0
    .symbol:         _ZN7rocprim17ROCPRIM_400000_NS6detail17trampoline_kernelINS0_14default_configENS1_25transform_config_selectorIlLb0EEEZNS1_14transform_implILb0ES3_S5_NS0_18transform_iteratorINS0_17counting_iteratorImlEEZNS1_24adjacent_difference_implIS3_Lb1ELb0EPlSB_ZN2at6native12_GLOBAL__N_124unique_dim_cuda_templateIiEESt5tupleIJNSC_6TensorESH_SH_EERKSH_lbbbEUlllE1_EE10hipError_tPvRmT2_T3_mT4_P12ihipStream_tbEUlmE_lEESB_NS0_8identityIvEEEESM_SP_SQ_mSR_ST_bEUlT_E_NS1_11comp_targetILNS1_3genE9ELNS1_11target_archE1100ELNS1_3gpuE3ELNS1_3repE0EEENS1_30default_config_static_selectorELNS0_4arch9wavefront6targetE0EEEvT1_.kd
    .uniform_work_group_size: 1
    .uses_dynamic_stack: false
    .vgpr_count:     6
    .vgpr_spill_count: 0
    .wavefront_size: 32
    .workgroup_processor_mode: 1
  - .args:
      - .offset:         0
        .size:           56
        .value_kind:     by_value
    .group_segment_fixed_size: 0
    .kernarg_segment_align: 8
    .kernarg_segment_size: 56
    .language:       OpenCL C
    .language_version:
      - 2
      - 0
    .max_flat_workgroup_size: 512
    .name:           _ZN7rocprim17ROCPRIM_400000_NS6detail17trampoline_kernelINS0_14default_configENS1_25transform_config_selectorIlLb0EEEZNS1_14transform_implILb0ES3_S5_NS0_18transform_iteratorINS0_17counting_iteratorImlEEZNS1_24adjacent_difference_implIS3_Lb1ELb0EPlSB_ZN2at6native12_GLOBAL__N_124unique_dim_cuda_templateIiEESt5tupleIJNSC_6TensorESH_SH_EERKSH_lbbbEUlllE1_EE10hipError_tPvRmT2_T3_mT4_P12ihipStream_tbEUlmE_lEESB_NS0_8identityIvEEEESM_SP_SQ_mSR_ST_bEUlT_E_NS1_11comp_targetILNS1_3genE8ELNS1_11target_archE1030ELNS1_3gpuE2ELNS1_3repE0EEENS1_30default_config_static_selectorELNS0_4arch9wavefront6targetE0EEEvT1_
    .private_segment_fixed_size: 0
    .sgpr_count:     0
    .sgpr_spill_count: 0
    .symbol:         _ZN7rocprim17ROCPRIM_400000_NS6detail17trampoline_kernelINS0_14default_configENS1_25transform_config_selectorIlLb0EEEZNS1_14transform_implILb0ES3_S5_NS0_18transform_iteratorINS0_17counting_iteratorImlEEZNS1_24adjacent_difference_implIS3_Lb1ELb0EPlSB_ZN2at6native12_GLOBAL__N_124unique_dim_cuda_templateIiEESt5tupleIJNSC_6TensorESH_SH_EERKSH_lbbbEUlllE1_EE10hipError_tPvRmT2_T3_mT4_P12ihipStream_tbEUlmE_lEESB_NS0_8identityIvEEEESM_SP_SQ_mSR_ST_bEUlT_E_NS1_11comp_targetILNS1_3genE8ELNS1_11target_archE1030ELNS1_3gpuE2ELNS1_3repE0EEENS1_30default_config_static_selectorELNS0_4arch9wavefront6targetE0EEEvT1_.kd
    .uniform_work_group_size: 1
    .uses_dynamic_stack: false
    .vgpr_count:     0
    .vgpr_spill_count: 0
    .wavefront_size: 32
    .workgroup_processor_mode: 1
  - .args:
      - .offset:         0
        .size:           64
        .value_kind:     by_value
    .group_segment_fixed_size: 0
    .kernarg_segment_align: 8
    .kernarg_segment_size: 64
    .language:       OpenCL C
    .language_version:
      - 2
      - 0
    .max_flat_workgroup_size: 512
    .name:           _ZN7rocprim17ROCPRIM_400000_NS6detail17trampoline_kernelINS0_14default_configENS1_35adjacent_difference_config_selectorILb1ElEEZNS1_24adjacent_difference_implIS3_Lb1ELb0EPlS7_ZN2at6native12_GLOBAL__N_124unique_dim_cuda_templateIiEESt5tupleIJNS8_6TensorESD_SD_EERKSD_lbbbEUlllE1_EE10hipError_tPvRmT2_T3_mT4_P12ihipStream_tbEUlT_E_NS1_11comp_targetILNS1_3genE0ELNS1_11target_archE4294967295ELNS1_3gpuE0ELNS1_3repE0EEENS1_30default_config_static_selectorELNS0_4arch9wavefront6targetE0EEEvT1_
    .private_segment_fixed_size: 0
    .sgpr_count:     0
    .sgpr_spill_count: 0
    .symbol:         _ZN7rocprim17ROCPRIM_400000_NS6detail17trampoline_kernelINS0_14default_configENS1_35adjacent_difference_config_selectorILb1ElEEZNS1_24adjacent_difference_implIS3_Lb1ELb0EPlS7_ZN2at6native12_GLOBAL__N_124unique_dim_cuda_templateIiEESt5tupleIJNS8_6TensorESD_SD_EERKSD_lbbbEUlllE1_EE10hipError_tPvRmT2_T3_mT4_P12ihipStream_tbEUlT_E_NS1_11comp_targetILNS1_3genE0ELNS1_11target_archE4294967295ELNS1_3gpuE0ELNS1_3repE0EEENS1_30default_config_static_selectorELNS0_4arch9wavefront6targetE0EEEvT1_.kd
    .uniform_work_group_size: 1
    .uses_dynamic_stack: false
    .vgpr_count:     0
    .vgpr_spill_count: 0
    .wavefront_size: 32
    .workgroup_processor_mode: 1
  - .args:
      - .offset:         0
        .size:           64
        .value_kind:     by_value
    .group_segment_fixed_size: 0
    .kernarg_segment_align: 8
    .kernarg_segment_size: 64
    .language:       OpenCL C
    .language_version:
      - 2
      - 0
    .max_flat_workgroup_size: 32
    .name:           _ZN7rocprim17ROCPRIM_400000_NS6detail17trampoline_kernelINS0_14default_configENS1_35adjacent_difference_config_selectorILb1ElEEZNS1_24adjacent_difference_implIS3_Lb1ELb0EPlS7_ZN2at6native12_GLOBAL__N_124unique_dim_cuda_templateIiEESt5tupleIJNS8_6TensorESD_SD_EERKSD_lbbbEUlllE1_EE10hipError_tPvRmT2_T3_mT4_P12ihipStream_tbEUlT_E_NS1_11comp_targetILNS1_3genE10ELNS1_11target_archE1201ELNS1_3gpuE5ELNS1_3repE0EEENS1_30default_config_static_selectorELNS0_4arch9wavefront6targetE0EEEvT1_
    .private_segment_fixed_size: 0
    .sgpr_count:     0
    .sgpr_spill_count: 0
    .symbol:         _ZN7rocprim17ROCPRIM_400000_NS6detail17trampoline_kernelINS0_14default_configENS1_35adjacent_difference_config_selectorILb1ElEEZNS1_24adjacent_difference_implIS3_Lb1ELb0EPlS7_ZN2at6native12_GLOBAL__N_124unique_dim_cuda_templateIiEESt5tupleIJNS8_6TensorESD_SD_EERKSD_lbbbEUlllE1_EE10hipError_tPvRmT2_T3_mT4_P12ihipStream_tbEUlT_E_NS1_11comp_targetILNS1_3genE10ELNS1_11target_archE1201ELNS1_3gpuE5ELNS1_3repE0EEENS1_30default_config_static_selectorELNS0_4arch9wavefront6targetE0EEEvT1_.kd
    .uniform_work_group_size: 1
    .uses_dynamic_stack: false
    .vgpr_count:     0
    .vgpr_spill_count: 0
    .wavefront_size: 32
    .workgroup_processor_mode: 1
  - .args:
      - .offset:         0
        .size:           64
        .value_kind:     by_value
    .group_segment_fixed_size: 0
    .kernarg_segment_align: 8
    .kernarg_segment_size: 64
    .language:       OpenCL C
    .language_version:
      - 2
      - 0
    .max_flat_workgroup_size: 256
    .name:           _ZN7rocprim17ROCPRIM_400000_NS6detail17trampoline_kernelINS0_14default_configENS1_35adjacent_difference_config_selectorILb1ElEEZNS1_24adjacent_difference_implIS3_Lb1ELb0EPlS7_ZN2at6native12_GLOBAL__N_124unique_dim_cuda_templateIiEESt5tupleIJNS8_6TensorESD_SD_EERKSD_lbbbEUlllE1_EE10hipError_tPvRmT2_T3_mT4_P12ihipStream_tbEUlT_E_NS1_11comp_targetILNS1_3genE5ELNS1_11target_archE942ELNS1_3gpuE9ELNS1_3repE0EEENS1_30default_config_static_selectorELNS0_4arch9wavefront6targetE0EEEvT1_
    .private_segment_fixed_size: 0
    .sgpr_count:     0
    .sgpr_spill_count: 0
    .symbol:         _ZN7rocprim17ROCPRIM_400000_NS6detail17trampoline_kernelINS0_14default_configENS1_35adjacent_difference_config_selectorILb1ElEEZNS1_24adjacent_difference_implIS3_Lb1ELb0EPlS7_ZN2at6native12_GLOBAL__N_124unique_dim_cuda_templateIiEESt5tupleIJNS8_6TensorESD_SD_EERKSD_lbbbEUlllE1_EE10hipError_tPvRmT2_T3_mT4_P12ihipStream_tbEUlT_E_NS1_11comp_targetILNS1_3genE5ELNS1_11target_archE942ELNS1_3gpuE9ELNS1_3repE0EEENS1_30default_config_static_selectorELNS0_4arch9wavefront6targetE0EEEvT1_.kd
    .uniform_work_group_size: 1
    .uses_dynamic_stack: false
    .vgpr_count:     0
    .vgpr_spill_count: 0
    .wavefront_size: 32
    .workgroup_processor_mode: 1
  - .args:
      - .offset:         0
        .size:           64
        .value_kind:     by_value
    .group_segment_fixed_size: 0
    .kernarg_segment_align: 8
    .kernarg_segment_size: 64
    .language:       OpenCL C
    .language_version:
      - 2
      - 0
    .max_flat_workgroup_size: 512
    .name:           _ZN7rocprim17ROCPRIM_400000_NS6detail17trampoline_kernelINS0_14default_configENS1_35adjacent_difference_config_selectorILb1ElEEZNS1_24adjacent_difference_implIS3_Lb1ELb0EPlS7_ZN2at6native12_GLOBAL__N_124unique_dim_cuda_templateIiEESt5tupleIJNS8_6TensorESD_SD_EERKSD_lbbbEUlllE1_EE10hipError_tPvRmT2_T3_mT4_P12ihipStream_tbEUlT_E_NS1_11comp_targetILNS1_3genE4ELNS1_11target_archE910ELNS1_3gpuE8ELNS1_3repE0EEENS1_30default_config_static_selectorELNS0_4arch9wavefront6targetE0EEEvT1_
    .private_segment_fixed_size: 0
    .sgpr_count:     0
    .sgpr_spill_count: 0
    .symbol:         _ZN7rocprim17ROCPRIM_400000_NS6detail17trampoline_kernelINS0_14default_configENS1_35adjacent_difference_config_selectorILb1ElEEZNS1_24adjacent_difference_implIS3_Lb1ELb0EPlS7_ZN2at6native12_GLOBAL__N_124unique_dim_cuda_templateIiEESt5tupleIJNS8_6TensorESD_SD_EERKSD_lbbbEUlllE1_EE10hipError_tPvRmT2_T3_mT4_P12ihipStream_tbEUlT_E_NS1_11comp_targetILNS1_3genE4ELNS1_11target_archE910ELNS1_3gpuE8ELNS1_3repE0EEENS1_30default_config_static_selectorELNS0_4arch9wavefront6targetE0EEEvT1_.kd
    .uniform_work_group_size: 1
    .uses_dynamic_stack: false
    .vgpr_count:     0
    .vgpr_spill_count: 0
    .wavefront_size: 32
    .workgroup_processor_mode: 1
  - .args:
      - .offset:         0
        .size:           64
        .value_kind:     by_value
    .group_segment_fixed_size: 0
    .kernarg_segment_align: 8
    .kernarg_segment_size: 64
    .language:       OpenCL C
    .language_version:
      - 2
      - 0
    .max_flat_workgroup_size: 512
    .name:           _ZN7rocprim17ROCPRIM_400000_NS6detail17trampoline_kernelINS0_14default_configENS1_35adjacent_difference_config_selectorILb1ElEEZNS1_24adjacent_difference_implIS3_Lb1ELb0EPlS7_ZN2at6native12_GLOBAL__N_124unique_dim_cuda_templateIiEESt5tupleIJNS8_6TensorESD_SD_EERKSD_lbbbEUlllE1_EE10hipError_tPvRmT2_T3_mT4_P12ihipStream_tbEUlT_E_NS1_11comp_targetILNS1_3genE3ELNS1_11target_archE908ELNS1_3gpuE7ELNS1_3repE0EEENS1_30default_config_static_selectorELNS0_4arch9wavefront6targetE0EEEvT1_
    .private_segment_fixed_size: 0
    .sgpr_count:     0
    .sgpr_spill_count: 0
    .symbol:         _ZN7rocprim17ROCPRIM_400000_NS6detail17trampoline_kernelINS0_14default_configENS1_35adjacent_difference_config_selectorILb1ElEEZNS1_24adjacent_difference_implIS3_Lb1ELb0EPlS7_ZN2at6native12_GLOBAL__N_124unique_dim_cuda_templateIiEESt5tupleIJNS8_6TensorESD_SD_EERKSD_lbbbEUlllE1_EE10hipError_tPvRmT2_T3_mT4_P12ihipStream_tbEUlT_E_NS1_11comp_targetILNS1_3genE3ELNS1_11target_archE908ELNS1_3gpuE7ELNS1_3repE0EEENS1_30default_config_static_selectorELNS0_4arch9wavefront6targetE0EEEvT1_.kd
    .uniform_work_group_size: 1
    .uses_dynamic_stack: false
    .vgpr_count:     0
    .vgpr_spill_count: 0
    .wavefront_size: 32
    .workgroup_processor_mode: 1
  - .args:
      - .offset:         0
        .size:           64
        .value_kind:     by_value
    .group_segment_fixed_size: 0
    .kernarg_segment_align: 8
    .kernarg_segment_size: 64
    .language:       OpenCL C
    .language_version:
      - 2
      - 0
    .max_flat_workgroup_size: 128
    .name:           _ZN7rocprim17ROCPRIM_400000_NS6detail17trampoline_kernelINS0_14default_configENS1_35adjacent_difference_config_selectorILb1ElEEZNS1_24adjacent_difference_implIS3_Lb1ELb0EPlS7_ZN2at6native12_GLOBAL__N_124unique_dim_cuda_templateIiEESt5tupleIJNS8_6TensorESD_SD_EERKSD_lbbbEUlllE1_EE10hipError_tPvRmT2_T3_mT4_P12ihipStream_tbEUlT_E_NS1_11comp_targetILNS1_3genE2ELNS1_11target_archE906ELNS1_3gpuE6ELNS1_3repE0EEENS1_30default_config_static_selectorELNS0_4arch9wavefront6targetE0EEEvT1_
    .private_segment_fixed_size: 0
    .sgpr_count:     0
    .sgpr_spill_count: 0
    .symbol:         _ZN7rocprim17ROCPRIM_400000_NS6detail17trampoline_kernelINS0_14default_configENS1_35adjacent_difference_config_selectorILb1ElEEZNS1_24adjacent_difference_implIS3_Lb1ELb0EPlS7_ZN2at6native12_GLOBAL__N_124unique_dim_cuda_templateIiEESt5tupleIJNS8_6TensorESD_SD_EERKSD_lbbbEUlllE1_EE10hipError_tPvRmT2_T3_mT4_P12ihipStream_tbEUlT_E_NS1_11comp_targetILNS1_3genE2ELNS1_11target_archE906ELNS1_3gpuE6ELNS1_3repE0EEENS1_30default_config_static_selectorELNS0_4arch9wavefront6targetE0EEEvT1_.kd
    .uniform_work_group_size: 1
    .uses_dynamic_stack: false
    .vgpr_count:     0
    .vgpr_spill_count: 0
    .wavefront_size: 32
    .workgroup_processor_mode: 1
  - .args:
      - .offset:         0
        .size:           64
        .value_kind:     by_value
    .group_segment_fixed_size: 29696
    .kernarg_segment_align: 8
    .kernarg_segment_size: 64
    .language:       OpenCL C
    .language_version:
      - 2
      - 0
    .max_flat_workgroup_size: 128
    .name:           _ZN7rocprim17ROCPRIM_400000_NS6detail17trampoline_kernelINS0_14default_configENS1_35adjacent_difference_config_selectorILb1ElEEZNS1_24adjacent_difference_implIS3_Lb1ELb0EPlS7_ZN2at6native12_GLOBAL__N_124unique_dim_cuda_templateIiEESt5tupleIJNS8_6TensorESD_SD_EERKSD_lbbbEUlllE1_EE10hipError_tPvRmT2_T3_mT4_P12ihipStream_tbEUlT_E_NS1_11comp_targetILNS1_3genE9ELNS1_11target_archE1100ELNS1_3gpuE3ELNS1_3repE0EEENS1_30default_config_static_selectorELNS0_4arch9wavefront6targetE0EEEvT1_
    .private_segment_fixed_size: 0
    .sgpr_count:     32
    .sgpr_spill_count: 0
    .symbol:         _ZN7rocprim17ROCPRIM_400000_NS6detail17trampoline_kernelINS0_14default_configENS1_35adjacent_difference_config_selectorILb1ElEEZNS1_24adjacent_difference_implIS3_Lb1ELb0EPlS7_ZN2at6native12_GLOBAL__N_124unique_dim_cuda_templateIiEESt5tupleIJNS8_6TensorESD_SD_EERKSD_lbbbEUlllE1_EE10hipError_tPvRmT2_T3_mT4_P12ihipStream_tbEUlT_E_NS1_11comp_targetILNS1_3genE9ELNS1_11target_archE1100ELNS1_3gpuE3ELNS1_3repE0EEENS1_30default_config_static_selectorELNS0_4arch9wavefront6targetE0EEEvT1_.kd
    .uniform_work_group_size: 1
    .uses_dynamic_stack: false
    .vgpr_count:     196
    .vgpr_spill_count: 0
    .wavefront_size: 32
    .workgroup_processor_mode: 1
  - .args:
      - .offset:         0
        .size:           64
        .value_kind:     by_value
    .group_segment_fixed_size: 0
    .kernarg_segment_align: 8
    .kernarg_segment_size: 64
    .language:       OpenCL C
    .language_version:
      - 2
      - 0
    .max_flat_workgroup_size: 32
    .name:           _ZN7rocprim17ROCPRIM_400000_NS6detail17trampoline_kernelINS0_14default_configENS1_35adjacent_difference_config_selectorILb1ElEEZNS1_24adjacent_difference_implIS3_Lb1ELb0EPlS7_ZN2at6native12_GLOBAL__N_124unique_dim_cuda_templateIiEESt5tupleIJNS8_6TensorESD_SD_EERKSD_lbbbEUlllE1_EE10hipError_tPvRmT2_T3_mT4_P12ihipStream_tbEUlT_E_NS1_11comp_targetILNS1_3genE8ELNS1_11target_archE1030ELNS1_3gpuE2ELNS1_3repE0EEENS1_30default_config_static_selectorELNS0_4arch9wavefront6targetE0EEEvT1_
    .private_segment_fixed_size: 0
    .sgpr_count:     0
    .sgpr_spill_count: 0
    .symbol:         _ZN7rocprim17ROCPRIM_400000_NS6detail17trampoline_kernelINS0_14default_configENS1_35adjacent_difference_config_selectorILb1ElEEZNS1_24adjacent_difference_implIS3_Lb1ELb0EPlS7_ZN2at6native12_GLOBAL__N_124unique_dim_cuda_templateIiEESt5tupleIJNS8_6TensorESD_SD_EERKSD_lbbbEUlllE1_EE10hipError_tPvRmT2_T3_mT4_P12ihipStream_tbEUlT_E_NS1_11comp_targetILNS1_3genE8ELNS1_11target_archE1030ELNS1_3gpuE2ELNS1_3repE0EEENS1_30default_config_static_selectorELNS0_4arch9wavefront6targetE0EEEvT1_.kd
    .uniform_work_group_size: 1
    .uses_dynamic_stack: false
    .vgpr_count:     0
    .vgpr_spill_count: 0
    .wavefront_size: 32
    .workgroup_processor_mode: 1
  - .args:
      - .offset:         0
        .size:           120
        .value_kind:     by_value
    .group_segment_fixed_size: 0
    .kernarg_segment_align: 8
    .kernarg_segment_size: 120
    .language:       OpenCL C
    .language_version:
      - 2
      - 0
    .max_flat_workgroup_size: 512
    .name:           _ZN7rocprim17ROCPRIM_400000_NS6detail17trampoline_kernelINS0_14default_configENS1_25partition_config_selectorILNS1_17partition_subalgoE8ElNS0_10empty_typeEbEEZZNS1_14partition_implILS5_8ELb0ES3_jPlPS6_PKS6_NS0_5tupleIJS9_S6_EEENSD_IJSA_SA_EEENS0_18inequality_wrapperIZN2at6native12_GLOBAL__N_124unique_dim_cuda_templateIiEESt5tupleIJNSH_6TensorESM_SM_EERKSM_lbbbEUlllE0_EEPmJS6_EEE10hipError_tPvRmT3_T4_T5_T6_T7_T9_mT8_P12ihipStream_tbDpT10_ENKUlT_T0_E_clISt17integral_constantIbLb0EES1C_EEDaS17_S18_EUlS17_E_NS1_11comp_targetILNS1_3genE0ELNS1_11target_archE4294967295ELNS1_3gpuE0ELNS1_3repE0EEENS1_30default_config_static_selectorELNS0_4arch9wavefront6targetE0EEEvT1_
    .private_segment_fixed_size: 0
    .sgpr_count:     0
    .sgpr_spill_count: 0
    .symbol:         _ZN7rocprim17ROCPRIM_400000_NS6detail17trampoline_kernelINS0_14default_configENS1_25partition_config_selectorILNS1_17partition_subalgoE8ElNS0_10empty_typeEbEEZZNS1_14partition_implILS5_8ELb0ES3_jPlPS6_PKS6_NS0_5tupleIJS9_S6_EEENSD_IJSA_SA_EEENS0_18inequality_wrapperIZN2at6native12_GLOBAL__N_124unique_dim_cuda_templateIiEESt5tupleIJNSH_6TensorESM_SM_EERKSM_lbbbEUlllE0_EEPmJS6_EEE10hipError_tPvRmT3_T4_T5_T6_T7_T9_mT8_P12ihipStream_tbDpT10_ENKUlT_T0_E_clISt17integral_constantIbLb0EES1C_EEDaS17_S18_EUlS17_E_NS1_11comp_targetILNS1_3genE0ELNS1_11target_archE4294967295ELNS1_3gpuE0ELNS1_3repE0EEENS1_30default_config_static_selectorELNS0_4arch9wavefront6targetE0EEEvT1_.kd
    .uniform_work_group_size: 1
    .uses_dynamic_stack: false
    .vgpr_count:     0
    .vgpr_spill_count: 0
    .wavefront_size: 32
    .workgroup_processor_mode: 1
  - .args:
      - .offset:         0
        .size:           120
        .value_kind:     by_value
    .group_segment_fixed_size: 0
    .kernarg_segment_align: 8
    .kernarg_segment_size: 120
    .language:       OpenCL C
    .language_version:
      - 2
      - 0
    .max_flat_workgroup_size: 512
    .name:           _ZN7rocprim17ROCPRIM_400000_NS6detail17trampoline_kernelINS0_14default_configENS1_25partition_config_selectorILNS1_17partition_subalgoE8ElNS0_10empty_typeEbEEZZNS1_14partition_implILS5_8ELb0ES3_jPlPS6_PKS6_NS0_5tupleIJS9_S6_EEENSD_IJSA_SA_EEENS0_18inequality_wrapperIZN2at6native12_GLOBAL__N_124unique_dim_cuda_templateIiEESt5tupleIJNSH_6TensorESM_SM_EERKSM_lbbbEUlllE0_EEPmJS6_EEE10hipError_tPvRmT3_T4_T5_T6_T7_T9_mT8_P12ihipStream_tbDpT10_ENKUlT_T0_E_clISt17integral_constantIbLb0EES1C_EEDaS17_S18_EUlS17_E_NS1_11comp_targetILNS1_3genE5ELNS1_11target_archE942ELNS1_3gpuE9ELNS1_3repE0EEENS1_30default_config_static_selectorELNS0_4arch9wavefront6targetE0EEEvT1_
    .private_segment_fixed_size: 0
    .sgpr_count:     0
    .sgpr_spill_count: 0
    .symbol:         _ZN7rocprim17ROCPRIM_400000_NS6detail17trampoline_kernelINS0_14default_configENS1_25partition_config_selectorILNS1_17partition_subalgoE8ElNS0_10empty_typeEbEEZZNS1_14partition_implILS5_8ELb0ES3_jPlPS6_PKS6_NS0_5tupleIJS9_S6_EEENSD_IJSA_SA_EEENS0_18inequality_wrapperIZN2at6native12_GLOBAL__N_124unique_dim_cuda_templateIiEESt5tupleIJNSH_6TensorESM_SM_EERKSM_lbbbEUlllE0_EEPmJS6_EEE10hipError_tPvRmT3_T4_T5_T6_T7_T9_mT8_P12ihipStream_tbDpT10_ENKUlT_T0_E_clISt17integral_constantIbLb0EES1C_EEDaS17_S18_EUlS17_E_NS1_11comp_targetILNS1_3genE5ELNS1_11target_archE942ELNS1_3gpuE9ELNS1_3repE0EEENS1_30default_config_static_selectorELNS0_4arch9wavefront6targetE0EEEvT1_.kd
    .uniform_work_group_size: 1
    .uses_dynamic_stack: false
    .vgpr_count:     0
    .vgpr_spill_count: 0
    .wavefront_size: 32
    .workgroup_processor_mode: 1
  - .args:
      - .offset:         0
        .size:           120
        .value_kind:     by_value
    .group_segment_fixed_size: 0
    .kernarg_segment_align: 8
    .kernarg_segment_size: 120
    .language:       OpenCL C
    .language_version:
      - 2
      - 0
    .max_flat_workgroup_size: 256
    .name:           _ZN7rocprim17ROCPRIM_400000_NS6detail17trampoline_kernelINS0_14default_configENS1_25partition_config_selectorILNS1_17partition_subalgoE8ElNS0_10empty_typeEbEEZZNS1_14partition_implILS5_8ELb0ES3_jPlPS6_PKS6_NS0_5tupleIJS9_S6_EEENSD_IJSA_SA_EEENS0_18inequality_wrapperIZN2at6native12_GLOBAL__N_124unique_dim_cuda_templateIiEESt5tupleIJNSH_6TensorESM_SM_EERKSM_lbbbEUlllE0_EEPmJS6_EEE10hipError_tPvRmT3_T4_T5_T6_T7_T9_mT8_P12ihipStream_tbDpT10_ENKUlT_T0_E_clISt17integral_constantIbLb0EES1C_EEDaS17_S18_EUlS17_E_NS1_11comp_targetILNS1_3genE4ELNS1_11target_archE910ELNS1_3gpuE8ELNS1_3repE0EEENS1_30default_config_static_selectorELNS0_4arch9wavefront6targetE0EEEvT1_
    .private_segment_fixed_size: 0
    .sgpr_count:     0
    .sgpr_spill_count: 0
    .symbol:         _ZN7rocprim17ROCPRIM_400000_NS6detail17trampoline_kernelINS0_14default_configENS1_25partition_config_selectorILNS1_17partition_subalgoE8ElNS0_10empty_typeEbEEZZNS1_14partition_implILS5_8ELb0ES3_jPlPS6_PKS6_NS0_5tupleIJS9_S6_EEENSD_IJSA_SA_EEENS0_18inequality_wrapperIZN2at6native12_GLOBAL__N_124unique_dim_cuda_templateIiEESt5tupleIJNSH_6TensorESM_SM_EERKSM_lbbbEUlllE0_EEPmJS6_EEE10hipError_tPvRmT3_T4_T5_T6_T7_T9_mT8_P12ihipStream_tbDpT10_ENKUlT_T0_E_clISt17integral_constantIbLb0EES1C_EEDaS17_S18_EUlS17_E_NS1_11comp_targetILNS1_3genE4ELNS1_11target_archE910ELNS1_3gpuE8ELNS1_3repE0EEENS1_30default_config_static_selectorELNS0_4arch9wavefront6targetE0EEEvT1_.kd
    .uniform_work_group_size: 1
    .uses_dynamic_stack: false
    .vgpr_count:     0
    .vgpr_spill_count: 0
    .wavefront_size: 32
    .workgroup_processor_mode: 1
  - .args:
      - .offset:         0
        .size:           120
        .value_kind:     by_value
    .group_segment_fixed_size: 0
    .kernarg_segment_align: 8
    .kernarg_segment_size: 120
    .language:       OpenCL C
    .language_version:
      - 2
      - 0
    .max_flat_workgroup_size: 512
    .name:           _ZN7rocprim17ROCPRIM_400000_NS6detail17trampoline_kernelINS0_14default_configENS1_25partition_config_selectorILNS1_17partition_subalgoE8ElNS0_10empty_typeEbEEZZNS1_14partition_implILS5_8ELb0ES3_jPlPS6_PKS6_NS0_5tupleIJS9_S6_EEENSD_IJSA_SA_EEENS0_18inequality_wrapperIZN2at6native12_GLOBAL__N_124unique_dim_cuda_templateIiEESt5tupleIJNSH_6TensorESM_SM_EERKSM_lbbbEUlllE0_EEPmJS6_EEE10hipError_tPvRmT3_T4_T5_T6_T7_T9_mT8_P12ihipStream_tbDpT10_ENKUlT_T0_E_clISt17integral_constantIbLb0EES1C_EEDaS17_S18_EUlS17_E_NS1_11comp_targetILNS1_3genE3ELNS1_11target_archE908ELNS1_3gpuE7ELNS1_3repE0EEENS1_30default_config_static_selectorELNS0_4arch9wavefront6targetE0EEEvT1_
    .private_segment_fixed_size: 0
    .sgpr_count:     0
    .sgpr_spill_count: 0
    .symbol:         _ZN7rocprim17ROCPRIM_400000_NS6detail17trampoline_kernelINS0_14default_configENS1_25partition_config_selectorILNS1_17partition_subalgoE8ElNS0_10empty_typeEbEEZZNS1_14partition_implILS5_8ELb0ES3_jPlPS6_PKS6_NS0_5tupleIJS9_S6_EEENSD_IJSA_SA_EEENS0_18inequality_wrapperIZN2at6native12_GLOBAL__N_124unique_dim_cuda_templateIiEESt5tupleIJNSH_6TensorESM_SM_EERKSM_lbbbEUlllE0_EEPmJS6_EEE10hipError_tPvRmT3_T4_T5_T6_T7_T9_mT8_P12ihipStream_tbDpT10_ENKUlT_T0_E_clISt17integral_constantIbLb0EES1C_EEDaS17_S18_EUlS17_E_NS1_11comp_targetILNS1_3genE3ELNS1_11target_archE908ELNS1_3gpuE7ELNS1_3repE0EEENS1_30default_config_static_selectorELNS0_4arch9wavefront6targetE0EEEvT1_.kd
    .uniform_work_group_size: 1
    .uses_dynamic_stack: false
    .vgpr_count:     0
    .vgpr_spill_count: 0
    .wavefront_size: 32
    .workgroup_processor_mode: 1
  - .args:
      - .offset:         0
        .size:           120
        .value_kind:     by_value
    .group_segment_fixed_size: 0
    .kernarg_segment_align: 8
    .kernarg_segment_size: 120
    .language:       OpenCL C
    .language_version:
      - 2
      - 0
    .max_flat_workgroup_size: 256
    .name:           _ZN7rocprim17ROCPRIM_400000_NS6detail17trampoline_kernelINS0_14default_configENS1_25partition_config_selectorILNS1_17partition_subalgoE8ElNS0_10empty_typeEbEEZZNS1_14partition_implILS5_8ELb0ES3_jPlPS6_PKS6_NS0_5tupleIJS9_S6_EEENSD_IJSA_SA_EEENS0_18inequality_wrapperIZN2at6native12_GLOBAL__N_124unique_dim_cuda_templateIiEESt5tupleIJNSH_6TensorESM_SM_EERKSM_lbbbEUlllE0_EEPmJS6_EEE10hipError_tPvRmT3_T4_T5_T6_T7_T9_mT8_P12ihipStream_tbDpT10_ENKUlT_T0_E_clISt17integral_constantIbLb0EES1C_EEDaS17_S18_EUlS17_E_NS1_11comp_targetILNS1_3genE2ELNS1_11target_archE906ELNS1_3gpuE6ELNS1_3repE0EEENS1_30default_config_static_selectorELNS0_4arch9wavefront6targetE0EEEvT1_
    .private_segment_fixed_size: 0
    .sgpr_count:     0
    .sgpr_spill_count: 0
    .symbol:         _ZN7rocprim17ROCPRIM_400000_NS6detail17trampoline_kernelINS0_14default_configENS1_25partition_config_selectorILNS1_17partition_subalgoE8ElNS0_10empty_typeEbEEZZNS1_14partition_implILS5_8ELb0ES3_jPlPS6_PKS6_NS0_5tupleIJS9_S6_EEENSD_IJSA_SA_EEENS0_18inequality_wrapperIZN2at6native12_GLOBAL__N_124unique_dim_cuda_templateIiEESt5tupleIJNSH_6TensorESM_SM_EERKSM_lbbbEUlllE0_EEPmJS6_EEE10hipError_tPvRmT3_T4_T5_T6_T7_T9_mT8_P12ihipStream_tbDpT10_ENKUlT_T0_E_clISt17integral_constantIbLb0EES1C_EEDaS17_S18_EUlS17_E_NS1_11comp_targetILNS1_3genE2ELNS1_11target_archE906ELNS1_3gpuE6ELNS1_3repE0EEENS1_30default_config_static_selectorELNS0_4arch9wavefront6targetE0EEEvT1_.kd
    .uniform_work_group_size: 1
    .uses_dynamic_stack: false
    .vgpr_count:     0
    .vgpr_spill_count: 0
    .wavefront_size: 32
    .workgroup_processor_mode: 1
  - .args:
      - .offset:         0
        .size:           120
        .value_kind:     by_value
    .group_segment_fixed_size: 0
    .kernarg_segment_align: 8
    .kernarg_segment_size: 120
    .language:       OpenCL C
    .language_version:
      - 2
      - 0
    .max_flat_workgroup_size: 384
    .name:           _ZN7rocprim17ROCPRIM_400000_NS6detail17trampoline_kernelINS0_14default_configENS1_25partition_config_selectorILNS1_17partition_subalgoE8ElNS0_10empty_typeEbEEZZNS1_14partition_implILS5_8ELb0ES3_jPlPS6_PKS6_NS0_5tupleIJS9_S6_EEENSD_IJSA_SA_EEENS0_18inequality_wrapperIZN2at6native12_GLOBAL__N_124unique_dim_cuda_templateIiEESt5tupleIJNSH_6TensorESM_SM_EERKSM_lbbbEUlllE0_EEPmJS6_EEE10hipError_tPvRmT3_T4_T5_T6_T7_T9_mT8_P12ihipStream_tbDpT10_ENKUlT_T0_E_clISt17integral_constantIbLb0EES1C_EEDaS17_S18_EUlS17_E_NS1_11comp_targetILNS1_3genE10ELNS1_11target_archE1200ELNS1_3gpuE4ELNS1_3repE0EEENS1_30default_config_static_selectorELNS0_4arch9wavefront6targetE0EEEvT1_
    .private_segment_fixed_size: 0
    .sgpr_count:     0
    .sgpr_spill_count: 0
    .symbol:         _ZN7rocprim17ROCPRIM_400000_NS6detail17trampoline_kernelINS0_14default_configENS1_25partition_config_selectorILNS1_17partition_subalgoE8ElNS0_10empty_typeEbEEZZNS1_14partition_implILS5_8ELb0ES3_jPlPS6_PKS6_NS0_5tupleIJS9_S6_EEENSD_IJSA_SA_EEENS0_18inequality_wrapperIZN2at6native12_GLOBAL__N_124unique_dim_cuda_templateIiEESt5tupleIJNSH_6TensorESM_SM_EERKSM_lbbbEUlllE0_EEPmJS6_EEE10hipError_tPvRmT3_T4_T5_T6_T7_T9_mT8_P12ihipStream_tbDpT10_ENKUlT_T0_E_clISt17integral_constantIbLb0EES1C_EEDaS17_S18_EUlS17_E_NS1_11comp_targetILNS1_3genE10ELNS1_11target_archE1200ELNS1_3gpuE4ELNS1_3repE0EEENS1_30default_config_static_selectorELNS0_4arch9wavefront6targetE0EEEvT1_.kd
    .uniform_work_group_size: 1
    .uses_dynamic_stack: false
    .vgpr_count:     0
    .vgpr_spill_count: 0
    .wavefront_size: 32
    .workgroup_processor_mode: 1
  - .args:
      - .offset:         0
        .size:           120
        .value_kind:     by_value
    .group_segment_fixed_size: 33804
    .kernarg_segment_align: 8
    .kernarg_segment_size: 120
    .language:       OpenCL C
    .language_version:
      - 2
      - 0
    .max_flat_workgroup_size: 512
    .name:           _ZN7rocprim17ROCPRIM_400000_NS6detail17trampoline_kernelINS0_14default_configENS1_25partition_config_selectorILNS1_17partition_subalgoE8ElNS0_10empty_typeEbEEZZNS1_14partition_implILS5_8ELb0ES3_jPlPS6_PKS6_NS0_5tupleIJS9_S6_EEENSD_IJSA_SA_EEENS0_18inequality_wrapperIZN2at6native12_GLOBAL__N_124unique_dim_cuda_templateIiEESt5tupleIJNSH_6TensorESM_SM_EERKSM_lbbbEUlllE0_EEPmJS6_EEE10hipError_tPvRmT3_T4_T5_T6_T7_T9_mT8_P12ihipStream_tbDpT10_ENKUlT_T0_E_clISt17integral_constantIbLb0EES1C_EEDaS17_S18_EUlS17_E_NS1_11comp_targetILNS1_3genE9ELNS1_11target_archE1100ELNS1_3gpuE3ELNS1_3repE0EEENS1_30default_config_static_selectorELNS0_4arch9wavefront6targetE0EEEvT1_
    .private_segment_fixed_size: 0
    .sgpr_count:     38
    .sgpr_spill_count: 0
    .symbol:         _ZN7rocprim17ROCPRIM_400000_NS6detail17trampoline_kernelINS0_14default_configENS1_25partition_config_selectorILNS1_17partition_subalgoE8ElNS0_10empty_typeEbEEZZNS1_14partition_implILS5_8ELb0ES3_jPlPS6_PKS6_NS0_5tupleIJS9_S6_EEENSD_IJSA_SA_EEENS0_18inequality_wrapperIZN2at6native12_GLOBAL__N_124unique_dim_cuda_templateIiEESt5tupleIJNSH_6TensorESM_SM_EERKSM_lbbbEUlllE0_EEPmJS6_EEE10hipError_tPvRmT3_T4_T5_T6_T7_T9_mT8_P12ihipStream_tbDpT10_ENKUlT_T0_E_clISt17integral_constantIbLb0EES1C_EEDaS17_S18_EUlS17_E_NS1_11comp_targetILNS1_3genE9ELNS1_11target_archE1100ELNS1_3gpuE3ELNS1_3repE0EEENS1_30default_config_static_selectorELNS0_4arch9wavefront6targetE0EEEvT1_.kd
    .uniform_work_group_size: 1
    .uses_dynamic_stack: false
    .vgpr_count:     52
    .vgpr_spill_count: 0
    .wavefront_size: 32
    .workgroup_processor_mode: 1
  - .args:
      - .offset:         0
        .size:           120
        .value_kind:     by_value
    .group_segment_fixed_size: 0
    .kernarg_segment_align: 8
    .kernarg_segment_size: 120
    .language:       OpenCL C
    .language_version:
      - 2
      - 0
    .max_flat_workgroup_size: 512
    .name:           _ZN7rocprim17ROCPRIM_400000_NS6detail17trampoline_kernelINS0_14default_configENS1_25partition_config_selectorILNS1_17partition_subalgoE8ElNS0_10empty_typeEbEEZZNS1_14partition_implILS5_8ELb0ES3_jPlPS6_PKS6_NS0_5tupleIJS9_S6_EEENSD_IJSA_SA_EEENS0_18inequality_wrapperIZN2at6native12_GLOBAL__N_124unique_dim_cuda_templateIiEESt5tupleIJNSH_6TensorESM_SM_EERKSM_lbbbEUlllE0_EEPmJS6_EEE10hipError_tPvRmT3_T4_T5_T6_T7_T9_mT8_P12ihipStream_tbDpT10_ENKUlT_T0_E_clISt17integral_constantIbLb0EES1C_EEDaS17_S18_EUlS17_E_NS1_11comp_targetILNS1_3genE8ELNS1_11target_archE1030ELNS1_3gpuE2ELNS1_3repE0EEENS1_30default_config_static_selectorELNS0_4arch9wavefront6targetE0EEEvT1_
    .private_segment_fixed_size: 0
    .sgpr_count:     0
    .sgpr_spill_count: 0
    .symbol:         _ZN7rocprim17ROCPRIM_400000_NS6detail17trampoline_kernelINS0_14default_configENS1_25partition_config_selectorILNS1_17partition_subalgoE8ElNS0_10empty_typeEbEEZZNS1_14partition_implILS5_8ELb0ES3_jPlPS6_PKS6_NS0_5tupleIJS9_S6_EEENSD_IJSA_SA_EEENS0_18inequality_wrapperIZN2at6native12_GLOBAL__N_124unique_dim_cuda_templateIiEESt5tupleIJNSH_6TensorESM_SM_EERKSM_lbbbEUlllE0_EEPmJS6_EEE10hipError_tPvRmT3_T4_T5_T6_T7_T9_mT8_P12ihipStream_tbDpT10_ENKUlT_T0_E_clISt17integral_constantIbLb0EES1C_EEDaS17_S18_EUlS17_E_NS1_11comp_targetILNS1_3genE8ELNS1_11target_archE1030ELNS1_3gpuE2ELNS1_3repE0EEENS1_30default_config_static_selectorELNS0_4arch9wavefront6targetE0EEEvT1_.kd
    .uniform_work_group_size: 1
    .uses_dynamic_stack: false
    .vgpr_count:     0
    .vgpr_spill_count: 0
    .wavefront_size: 32
    .workgroup_processor_mode: 1
  - .args:
      - .offset:         0
        .size:           136
        .value_kind:     by_value
    .group_segment_fixed_size: 0
    .kernarg_segment_align: 8
    .kernarg_segment_size: 136
    .language:       OpenCL C
    .language_version:
      - 2
      - 0
    .max_flat_workgroup_size: 512
    .name:           _ZN7rocprim17ROCPRIM_400000_NS6detail17trampoline_kernelINS0_14default_configENS1_25partition_config_selectorILNS1_17partition_subalgoE8ElNS0_10empty_typeEbEEZZNS1_14partition_implILS5_8ELb0ES3_jPlPS6_PKS6_NS0_5tupleIJS9_S6_EEENSD_IJSA_SA_EEENS0_18inequality_wrapperIZN2at6native12_GLOBAL__N_124unique_dim_cuda_templateIiEESt5tupleIJNSH_6TensorESM_SM_EERKSM_lbbbEUlllE0_EEPmJS6_EEE10hipError_tPvRmT3_T4_T5_T6_T7_T9_mT8_P12ihipStream_tbDpT10_ENKUlT_T0_E_clISt17integral_constantIbLb1EES1C_EEDaS17_S18_EUlS17_E_NS1_11comp_targetILNS1_3genE0ELNS1_11target_archE4294967295ELNS1_3gpuE0ELNS1_3repE0EEENS1_30default_config_static_selectorELNS0_4arch9wavefront6targetE0EEEvT1_
    .private_segment_fixed_size: 0
    .sgpr_count:     0
    .sgpr_spill_count: 0
    .symbol:         _ZN7rocprim17ROCPRIM_400000_NS6detail17trampoline_kernelINS0_14default_configENS1_25partition_config_selectorILNS1_17partition_subalgoE8ElNS0_10empty_typeEbEEZZNS1_14partition_implILS5_8ELb0ES3_jPlPS6_PKS6_NS0_5tupleIJS9_S6_EEENSD_IJSA_SA_EEENS0_18inequality_wrapperIZN2at6native12_GLOBAL__N_124unique_dim_cuda_templateIiEESt5tupleIJNSH_6TensorESM_SM_EERKSM_lbbbEUlllE0_EEPmJS6_EEE10hipError_tPvRmT3_T4_T5_T6_T7_T9_mT8_P12ihipStream_tbDpT10_ENKUlT_T0_E_clISt17integral_constantIbLb1EES1C_EEDaS17_S18_EUlS17_E_NS1_11comp_targetILNS1_3genE0ELNS1_11target_archE4294967295ELNS1_3gpuE0ELNS1_3repE0EEENS1_30default_config_static_selectorELNS0_4arch9wavefront6targetE0EEEvT1_.kd
    .uniform_work_group_size: 1
    .uses_dynamic_stack: false
    .vgpr_count:     0
    .vgpr_spill_count: 0
    .wavefront_size: 32
    .workgroup_processor_mode: 1
  - .args:
      - .offset:         0
        .size:           136
        .value_kind:     by_value
    .group_segment_fixed_size: 0
    .kernarg_segment_align: 8
    .kernarg_segment_size: 136
    .language:       OpenCL C
    .language_version:
      - 2
      - 0
    .max_flat_workgroup_size: 512
    .name:           _ZN7rocprim17ROCPRIM_400000_NS6detail17trampoline_kernelINS0_14default_configENS1_25partition_config_selectorILNS1_17partition_subalgoE8ElNS0_10empty_typeEbEEZZNS1_14partition_implILS5_8ELb0ES3_jPlPS6_PKS6_NS0_5tupleIJS9_S6_EEENSD_IJSA_SA_EEENS0_18inequality_wrapperIZN2at6native12_GLOBAL__N_124unique_dim_cuda_templateIiEESt5tupleIJNSH_6TensorESM_SM_EERKSM_lbbbEUlllE0_EEPmJS6_EEE10hipError_tPvRmT3_T4_T5_T6_T7_T9_mT8_P12ihipStream_tbDpT10_ENKUlT_T0_E_clISt17integral_constantIbLb1EES1C_EEDaS17_S18_EUlS17_E_NS1_11comp_targetILNS1_3genE5ELNS1_11target_archE942ELNS1_3gpuE9ELNS1_3repE0EEENS1_30default_config_static_selectorELNS0_4arch9wavefront6targetE0EEEvT1_
    .private_segment_fixed_size: 0
    .sgpr_count:     0
    .sgpr_spill_count: 0
    .symbol:         _ZN7rocprim17ROCPRIM_400000_NS6detail17trampoline_kernelINS0_14default_configENS1_25partition_config_selectorILNS1_17partition_subalgoE8ElNS0_10empty_typeEbEEZZNS1_14partition_implILS5_8ELb0ES3_jPlPS6_PKS6_NS0_5tupleIJS9_S6_EEENSD_IJSA_SA_EEENS0_18inequality_wrapperIZN2at6native12_GLOBAL__N_124unique_dim_cuda_templateIiEESt5tupleIJNSH_6TensorESM_SM_EERKSM_lbbbEUlllE0_EEPmJS6_EEE10hipError_tPvRmT3_T4_T5_T6_T7_T9_mT8_P12ihipStream_tbDpT10_ENKUlT_T0_E_clISt17integral_constantIbLb1EES1C_EEDaS17_S18_EUlS17_E_NS1_11comp_targetILNS1_3genE5ELNS1_11target_archE942ELNS1_3gpuE9ELNS1_3repE0EEENS1_30default_config_static_selectorELNS0_4arch9wavefront6targetE0EEEvT1_.kd
    .uniform_work_group_size: 1
    .uses_dynamic_stack: false
    .vgpr_count:     0
    .vgpr_spill_count: 0
    .wavefront_size: 32
    .workgroup_processor_mode: 1
  - .args:
      - .offset:         0
        .size:           136
        .value_kind:     by_value
    .group_segment_fixed_size: 0
    .kernarg_segment_align: 8
    .kernarg_segment_size: 136
    .language:       OpenCL C
    .language_version:
      - 2
      - 0
    .max_flat_workgroup_size: 256
    .name:           _ZN7rocprim17ROCPRIM_400000_NS6detail17trampoline_kernelINS0_14default_configENS1_25partition_config_selectorILNS1_17partition_subalgoE8ElNS0_10empty_typeEbEEZZNS1_14partition_implILS5_8ELb0ES3_jPlPS6_PKS6_NS0_5tupleIJS9_S6_EEENSD_IJSA_SA_EEENS0_18inequality_wrapperIZN2at6native12_GLOBAL__N_124unique_dim_cuda_templateIiEESt5tupleIJNSH_6TensorESM_SM_EERKSM_lbbbEUlllE0_EEPmJS6_EEE10hipError_tPvRmT3_T4_T5_T6_T7_T9_mT8_P12ihipStream_tbDpT10_ENKUlT_T0_E_clISt17integral_constantIbLb1EES1C_EEDaS17_S18_EUlS17_E_NS1_11comp_targetILNS1_3genE4ELNS1_11target_archE910ELNS1_3gpuE8ELNS1_3repE0EEENS1_30default_config_static_selectorELNS0_4arch9wavefront6targetE0EEEvT1_
    .private_segment_fixed_size: 0
    .sgpr_count:     0
    .sgpr_spill_count: 0
    .symbol:         _ZN7rocprim17ROCPRIM_400000_NS6detail17trampoline_kernelINS0_14default_configENS1_25partition_config_selectorILNS1_17partition_subalgoE8ElNS0_10empty_typeEbEEZZNS1_14partition_implILS5_8ELb0ES3_jPlPS6_PKS6_NS0_5tupleIJS9_S6_EEENSD_IJSA_SA_EEENS0_18inequality_wrapperIZN2at6native12_GLOBAL__N_124unique_dim_cuda_templateIiEESt5tupleIJNSH_6TensorESM_SM_EERKSM_lbbbEUlllE0_EEPmJS6_EEE10hipError_tPvRmT3_T4_T5_T6_T7_T9_mT8_P12ihipStream_tbDpT10_ENKUlT_T0_E_clISt17integral_constantIbLb1EES1C_EEDaS17_S18_EUlS17_E_NS1_11comp_targetILNS1_3genE4ELNS1_11target_archE910ELNS1_3gpuE8ELNS1_3repE0EEENS1_30default_config_static_selectorELNS0_4arch9wavefront6targetE0EEEvT1_.kd
    .uniform_work_group_size: 1
    .uses_dynamic_stack: false
    .vgpr_count:     0
    .vgpr_spill_count: 0
    .wavefront_size: 32
    .workgroup_processor_mode: 1
  - .args:
      - .offset:         0
        .size:           136
        .value_kind:     by_value
    .group_segment_fixed_size: 0
    .kernarg_segment_align: 8
    .kernarg_segment_size: 136
    .language:       OpenCL C
    .language_version:
      - 2
      - 0
    .max_flat_workgroup_size: 512
    .name:           _ZN7rocprim17ROCPRIM_400000_NS6detail17trampoline_kernelINS0_14default_configENS1_25partition_config_selectorILNS1_17partition_subalgoE8ElNS0_10empty_typeEbEEZZNS1_14partition_implILS5_8ELb0ES3_jPlPS6_PKS6_NS0_5tupleIJS9_S6_EEENSD_IJSA_SA_EEENS0_18inequality_wrapperIZN2at6native12_GLOBAL__N_124unique_dim_cuda_templateIiEESt5tupleIJNSH_6TensorESM_SM_EERKSM_lbbbEUlllE0_EEPmJS6_EEE10hipError_tPvRmT3_T4_T5_T6_T7_T9_mT8_P12ihipStream_tbDpT10_ENKUlT_T0_E_clISt17integral_constantIbLb1EES1C_EEDaS17_S18_EUlS17_E_NS1_11comp_targetILNS1_3genE3ELNS1_11target_archE908ELNS1_3gpuE7ELNS1_3repE0EEENS1_30default_config_static_selectorELNS0_4arch9wavefront6targetE0EEEvT1_
    .private_segment_fixed_size: 0
    .sgpr_count:     0
    .sgpr_spill_count: 0
    .symbol:         _ZN7rocprim17ROCPRIM_400000_NS6detail17trampoline_kernelINS0_14default_configENS1_25partition_config_selectorILNS1_17partition_subalgoE8ElNS0_10empty_typeEbEEZZNS1_14partition_implILS5_8ELb0ES3_jPlPS6_PKS6_NS0_5tupleIJS9_S6_EEENSD_IJSA_SA_EEENS0_18inequality_wrapperIZN2at6native12_GLOBAL__N_124unique_dim_cuda_templateIiEESt5tupleIJNSH_6TensorESM_SM_EERKSM_lbbbEUlllE0_EEPmJS6_EEE10hipError_tPvRmT3_T4_T5_T6_T7_T9_mT8_P12ihipStream_tbDpT10_ENKUlT_T0_E_clISt17integral_constantIbLb1EES1C_EEDaS17_S18_EUlS17_E_NS1_11comp_targetILNS1_3genE3ELNS1_11target_archE908ELNS1_3gpuE7ELNS1_3repE0EEENS1_30default_config_static_selectorELNS0_4arch9wavefront6targetE0EEEvT1_.kd
    .uniform_work_group_size: 1
    .uses_dynamic_stack: false
    .vgpr_count:     0
    .vgpr_spill_count: 0
    .wavefront_size: 32
    .workgroup_processor_mode: 1
  - .args:
      - .offset:         0
        .size:           136
        .value_kind:     by_value
    .group_segment_fixed_size: 0
    .kernarg_segment_align: 8
    .kernarg_segment_size: 136
    .language:       OpenCL C
    .language_version:
      - 2
      - 0
    .max_flat_workgroup_size: 256
    .name:           _ZN7rocprim17ROCPRIM_400000_NS6detail17trampoline_kernelINS0_14default_configENS1_25partition_config_selectorILNS1_17partition_subalgoE8ElNS0_10empty_typeEbEEZZNS1_14partition_implILS5_8ELb0ES3_jPlPS6_PKS6_NS0_5tupleIJS9_S6_EEENSD_IJSA_SA_EEENS0_18inequality_wrapperIZN2at6native12_GLOBAL__N_124unique_dim_cuda_templateIiEESt5tupleIJNSH_6TensorESM_SM_EERKSM_lbbbEUlllE0_EEPmJS6_EEE10hipError_tPvRmT3_T4_T5_T6_T7_T9_mT8_P12ihipStream_tbDpT10_ENKUlT_T0_E_clISt17integral_constantIbLb1EES1C_EEDaS17_S18_EUlS17_E_NS1_11comp_targetILNS1_3genE2ELNS1_11target_archE906ELNS1_3gpuE6ELNS1_3repE0EEENS1_30default_config_static_selectorELNS0_4arch9wavefront6targetE0EEEvT1_
    .private_segment_fixed_size: 0
    .sgpr_count:     0
    .sgpr_spill_count: 0
    .symbol:         _ZN7rocprim17ROCPRIM_400000_NS6detail17trampoline_kernelINS0_14default_configENS1_25partition_config_selectorILNS1_17partition_subalgoE8ElNS0_10empty_typeEbEEZZNS1_14partition_implILS5_8ELb0ES3_jPlPS6_PKS6_NS0_5tupleIJS9_S6_EEENSD_IJSA_SA_EEENS0_18inequality_wrapperIZN2at6native12_GLOBAL__N_124unique_dim_cuda_templateIiEESt5tupleIJNSH_6TensorESM_SM_EERKSM_lbbbEUlllE0_EEPmJS6_EEE10hipError_tPvRmT3_T4_T5_T6_T7_T9_mT8_P12ihipStream_tbDpT10_ENKUlT_T0_E_clISt17integral_constantIbLb1EES1C_EEDaS17_S18_EUlS17_E_NS1_11comp_targetILNS1_3genE2ELNS1_11target_archE906ELNS1_3gpuE6ELNS1_3repE0EEENS1_30default_config_static_selectorELNS0_4arch9wavefront6targetE0EEEvT1_.kd
    .uniform_work_group_size: 1
    .uses_dynamic_stack: false
    .vgpr_count:     0
    .vgpr_spill_count: 0
    .wavefront_size: 32
    .workgroup_processor_mode: 1
  - .args:
      - .offset:         0
        .size:           136
        .value_kind:     by_value
    .group_segment_fixed_size: 0
    .kernarg_segment_align: 8
    .kernarg_segment_size: 136
    .language:       OpenCL C
    .language_version:
      - 2
      - 0
    .max_flat_workgroup_size: 384
    .name:           _ZN7rocprim17ROCPRIM_400000_NS6detail17trampoline_kernelINS0_14default_configENS1_25partition_config_selectorILNS1_17partition_subalgoE8ElNS0_10empty_typeEbEEZZNS1_14partition_implILS5_8ELb0ES3_jPlPS6_PKS6_NS0_5tupleIJS9_S6_EEENSD_IJSA_SA_EEENS0_18inequality_wrapperIZN2at6native12_GLOBAL__N_124unique_dim_cuda_templateIiEESt5tupleIJNSH_6TensorESM_SM_EERKSM_lbbbEUlllE0_EEPmJS6_EEE10hipError_tPvRmT3_T4_T5_T6_T7_T9_mT8_P12ihipStream_tbDpT10_ENKUlT_T0_E_clISt17integral_constantIbLb1EES1C_EEDaS17_S18_EUlS17_E_NS1_11comp_targetILNS1_3genE10ELNS1_11target_archE1200ELNS1_3gpuE4ELNS1_3repE0EEENS1_30default_config_static_selectorELNS0_4arch9wavefront6targetE0EEEvT1_
    .private_segment_fixed_size: 0
    .sgpr_count:     0
    .sgpr_spill_count: 0
    .symbol:         _ZN7rocprim17ROCPRIM_400000_NS6detail17trampoline_kernelINS0_14default_configENS1_25partition_config_selectorILNS1_17partition_subalgoE8ElNS0_10empty_typeEbEEZZNS1_14partition_implILS5_8ELb0ES3_jPlPS6_PKS6_NS0_5tupleIJS9_S6_EEENSD_IJSA_SA_EEENS0_18inequality_wrapperIZN2at6native12_GLOBAL__N_124unique_dim_cuda_templateIiEESt5tupleIJNSH_6TensorESM_SM_EERKSM_lbbbEUlllE0_EEPmJS6_EEE10hipError_tPvRmT3_T4_T5_T6_T7_T9_mT8_P12ihipStream_tbDpT10_ENKUlT_T0_E_clISt17integral_constantIbLb1EES1C_EEDaS17_S18_EUlS17_E_NS1_11comp_targetILNS1_3genE10ELNS1_11target_archE1200ELNS1_3gpuE4ELNS1_3repE0EEENS1_30default_config_static_selectorELNS0_4arch9wavefront6targetE0EEEvT1_.kd
    .uniform_work_group_size: 1
    .uses_dynamic_stack: false
    .vgpr_count:     0
    .vgpr_spill_count: 0
    .wavefront_size: 32
    .workgroup_processor_mode: 1
  - .args:
      - .offset:         0
        .size:           136
        .value_kind:     by_value
    .group_segment_fixed_size: 33804
    .kernarg_segment_align: 8
    .kernarg_segment_size: 136
    .language:       OpenCL C
    .language_version:
      - 2
      - 0
    .max_flat_workgroup_size: 512
    .name:           _ZN7rocprim17ROCPRIM_400000_NS6detail17trampoline_kernelINS0_14default_configENS1_25partition_config_selectorILNS1_17partition_subalgoE8ElNS0_10empty_typeEbEEZZNS1_14partition_implILS5_8ELb0ES3_jPlPS6_PKS6_NS0_5tupleIJS9_S6_EEENSD_IJSA_SA_EEENS0_18inequality_wrapperIZN2at6native12_GLOBAL__N_124unique_dim_cuda_templateIiEESt5tupleIJNSH_6TensorESM_SM_EERKSM_lbbbEUlllE0_EEPmJS6_EEE10hipError_tPvRmT3_T4_T5_T6_T7_T9_mT8_P12ihipStream_tbDpT10_ENKUlT_T0_E_clISt17integral_constantIbLb1EES1C_EEDaS17_S18_EUlS17_E_NS1_11comp_targetILNS1_3genE9ELNS1_11target_archE1100ELNS1_3gpuE3ELNS1_3repE0EEENS1_30default_config_static_selectorELNS0_4arch9wavefront6targetE0EEEvT1_
    .private_segment_fixed_size: 0
    .sgpr_count:     40
    .sgpr_spill_count: 0
    .symbol:         _ZN7rocprim17ROCPRIM_400000_NS6detail17trampoline_kernelINS0_14default_configENS1_25partition_config_selectorILNS1_17partition_subalgoE8ElNS0_10empty_typeEbEEZZNS1_14partition_implILS5_8ELb0ES3_jPlPS6_PKS6_NS0_5tupleIJS9_S6_EEENSD_IJSA_SA_EEENS0_18inequality_wrapperIZN2at6native12_GLOBAL__N_124unique_dim_cuda_templateIiEESt5tupleIJNSH_6TensorESM_SM_EERKSM_lbbbEUlllE0_EEPmJS6_EEE10hipError_tPvRmT3_T4_T5_T6_T7_T9_mT8_P12ihipStream_tbDpT10_ENKUlT_T0_E_clISt17integral_constantIbLb1EES1C_EEDaS17_S18_EUlS17_E_NS1_11comp_targetILNS1_3genE9ELNS1_11target_archE1100ELNS1_3gpuE3ELNS1_3repE0EEENS1_30default_config_static_selectorELNS0_4arch9wavefront6targetE0EEEvT1_.kd
    .uniform_work_group_size: 1
    .uses_dynamic_stack: false
    .vgpr_count:     52
    .vgpr_spill_count: 0
    .wavefront_size: 32
    .workgroup_processor_mode: 1
  - .args:
      - .offset:         0
        .size:           136
        .value_kind:     by_value
    .group_segment_fixed_size: 0
    .kernarg_segment_align: 8
    .kernarg_segment_size: 136
    .language:       OpenCL C
    .language_version:
      - 2
      - 0
    .max_flat_workgroup_size: 512
    .name:           _ZN7rocprim17ROCPRIM_400000_NS6detail17trampoline_kernelINS0_14default_configENS1_25partition_config_selectorILNS1_17partition_subalgoE8ElNS0_10empty_typeEbEEZZNS1_14partition_implILS5_8ELb0ES3_jPlPS6_PKS6_NS0_5tupleIJS9_S6_EEENSD_IJSA_SA_EEENS0_18inequality_wrapperIZN2at6native12_GLOBAL__N_124unique_dim_cuda_templateIiEESt5tupleIJNSH_6TensorESM_SM_EERKSM_lbbbEUlllE0_EEPmJS6_EEE10hipError_tPvRmT3_T4_T5_T6_T7_T9_mT8_P12ihipStream_tbDpT10_ENKUlT_T0_E_clISt17integral_constantIbLb1EES1C_EEDaS17_S18_EUlS17_E_NS1_11comp_targetILNS1_3genE8ELNS1_11target_archE1030ELNS1_3gpuE2ELNS1_3repE0EEENS1_30default_config_static_selectorELNS0_4arch9wavefront6targetE0EEEvT1_
    .private_segment_fixed_size: 0
    .sgpr_count:     0
    .sgpr_spill_count: 0
    .symbol:         _ZN7rocprim17ROCPRIM_400000_NS6detail17trampoline_kernelINS0_14default_configENS1_25partition_config_selectorILNS1_17partition_subalgoE8ElNS0_10empty_typeEbEEZZNS1_14partition_implILS5_8ELb0ES3_jPlPS6_PKS6_NS0_5tupleIJS9_S6_EEENSD_IJSA_SA_EEENS0_18inequality_wrapperIZN2at6native12_GLOBAL__N_124unique_dim_cuda_templateIiEESt5tupleIJNSH_6TensorESM_SM_EERKSM_lbbbEUlllE0_EEPmJS6_EEE10hipError_tPvRmT3_T4_T5_T6_T7_T9_mT8_P12ihipStream_tbDpT10_ENKUlT_T0_E_clISt17integral_constantIbLb1EES1C_EEDaS17_S18_EUlS17_E_NS1_11comp_targetILNS1_3genE8ELNS1_11target_archE1030ELNS1_3gpuE2ELNS1_3repE0EEENS1_30default_config_static_selectorELNS0_4arch9wavefront6targetE0EEEvT1_.kd
    .uniform_work_group_size: 1
    .uses_dynamic_stack: false
    .vgpr_count:     0
    .vgpr_spill_count: 0
    .wavefront_size: 32
    .workgroup_processor_mode: 1
  - .args:
      - .offset:         0
        .size:           120
        .value_kind:     by_value
    .group_segment_fixed_size: 0
    .kernarg_segment_align: 8
    .kernarg_segment_size: 120
    .language:       OpenCL C
    .language_version:
      - 2
      - 0
    .max_flat_workgroup_size: 512
    .name:           _ZN7rocprim17ROCPRIM_400000_NS6detail17trampoline_kernelINS0_14default_configENS1_25partition_config_selectorILNS1_17partition_subalgoE8ElNS0_10empty_typeEbEEZZNS1_14partition_implILS5_8ELb0ES3_jPlPS6_PKS6_NS0_5tupleIJS9_S6_EEENSD_IJSA_SA_EEENS0_18inequality_wrapperIZN2at6native12_GLOBAL__N_124unique_dim_cuda_templateIiEESt5tupleIJNSH_6TensorESM_SM_EERKSM_lbbbEUlllE0_EEPmJS6_EEE10hipError_tPvRmT3_T4_T5_T6_T7_T9_mT8_P12ihipStream_tbDpT10_ENKUlT_T0_E_clISt17integral_constantIbLb1EES1B_IbLb0EEEEDaS17_S18_EUlS17_E_NS1_11comp_targetILNS1_3genE0ELNS1_11target_archE4294967295ELNS1_3gpuE0ELNS1_3repE0EEENS1_30default_config_static_selectorELNS0_4arch9wavefront6targetE0EEEvT1_
    .private_segment_fixed_size: 0
    .sgpr_count:     0
    .sgpr_spill_count: 0
    .symbol:         _ZN7rocprim17ROCPRIM_400000_NS6detail17trampoline_kernelINS0_14default_configENS1_25partition_config_selectorILNS1_17partition_subalgoE8ElNS0_10empty_typeEbEEZZNS1_14partition_implILS5_8ELb0ES3_jPlPS6_PKS6_NS0_5tupleIJS9_S6_EEENSD_IJSA_SA_EEENS0_18inequality_wrapperIZN2at6native12_GLOBAL__N_124unique_dim_cuda_templateIiEESt5tupleIJNSH_6TensorESM_SM_EERKSM_lbbbEUlllE0_EEPmJS6_EEE10hipError_tPvRmT3_T4_T5_T6_T7_T9_mT8_P12ihipStream_tbDpT10_ENKUlT_T0_E_clISt17integral_constantIbLb1EES1B_IbLb0EEEEDaS17_S18_EUlS17_E_NS1_11comp_targetILNS1_3genE0ELNS1_11target_archE4294967295ELNS1_3gpuE0ELNS1_3repE0EEENS1_30default_config_static_selectorELNS0_4arch9wavefront6targetE0EEEvT1_.kd
    .uniform_work_group_size: 1
    .uses_dynamic_stack: false
    .vgpr_count:     0
    .vgpr_spill_count: 0
    .wavefront_size: 32
    .workgroup_processor_mode: 1
  - .args:
      - .offset:         0
        .size:           120
        .value_kind:     by_value
    .group_segment_fixed_size: 0
    .kernarg_segment_align: 8
    .kernarg_segment_size: 120
    .language:       OpenCL C
    .language_version:
      - 2
      - 0
    .max_flat_workgroup_size: 512
    .name:           _ZN7rocprim17ROCPRIM_400000_NS6detail17trampoline_kernelINS0_14default_configENS1_25partition_config_selectorILNS1_17partition_subalgoE8ElNS0_10empty_typeEbEEZZNS1_14partition_implILS5_8ELb0ES3_jPlPS6_PKS6_NS0_5tupleIJS9_S6_EEENSD_IJSA_SA_EEENS0_18inequality_wrapperIZN2at6native12_GLOBAL__N_124unique_dim_cuda_templateIiEESt5tupleIJNSH_6TensorESM_SM_EERKSM_lbbbEUlllE0_EEPmJS6_EEE10hipError_tPvRmT3_T4_T5_T6_T7_T9_mT8_P12ihipStream_tbDpT10_ENKUlT_T0_E_clISt17integral_constantIbLb1EES1B_IbLb0EEEEDaS17_S18_EUlS17_E_NS1_11comp_targetILNS1_3genE5ELNS1_11target_archE942ELNS1_3gpuE9ELNS1_3repE0EEENS1_30default_config_static_selectorELNS0_4arch9wavefront6targetE0EEEvT1_
    .private_segment_fixed_size: 0
    .sgpr_count:     0
    .sgpr_spill_count: 0
    .symbol:         _ZN7rocprim17ROCPRIM_400000_NS6detail17trampoline_kernelINS0_14default_configENS1_25partition_config_selectorILNS1_17partition_subalgoE8ElNS0_10empty_typeEbEEZZNS1_14partition_implILS5_8ELb0ES3_jPlPS6_PKS6_NS0_5tupleIJS9_S6_EEENSD_IJSA_SA_EEENS0_18inequality_wrapperIZN2at6native12_GLOBAL__N_124unique_dim_cuda_templateIiEESt5tupleIJNSH_6TensorESM_SM_EERKSM_lbbbEUlllE0_EEPmJS6_EEE10hipError_tPvRmT3_T4_T5_T6_T7_T9_mT8_P12ihipStream_tbDpT10_ENKUlT_T0_E_clISt17integral_constantIbLb1EES1B_IbLb0EEEEDaS17_S18_EUlS17_E_NS1_11comp_targetILNS1_3genE5ELNS1_11target_archE942ELNS1_3gpuE9ELNS1_3repE0EEENS1_30default_config_static_selectorELNS0_4arch9wavefront6targetE0EEEvT1_.kd
    .uniform_work_group_size: 1
    .uses_dynamic_stack: false
    .vgpr_count:     0
    .vgpr_spill_count: 0
    .wavefront_size: 32
    .workgroup_processor_mode: 1
  - .args:
      - .offset:         0
        .size:           120
        .value_kind:     by_value
    .group_segment_fixed_size: 0
    .kernarg_segment_align: 8
    .kernarg_segment_size: 120
    .language:       OpenCL C
    .language_version:
      - 2
      - 0
    .max_flat_workgroup_size: 256
    .name:           _ZN7rocprim17ROCPRIM_400000_NS6detail17trampoline_kernelINS0_14default_configENS1_25partition_config_selectorILNS1_17partition_subalgoE8ElNS0_10empty_typeEbEEZZNS1_14partition_implILS5_8ELb0ES3_jPlPS6_PKS6_NS0_5tupleIJS9_S6_EEENSD_IJSA_SA_EEENS0_18inequality_wrapperIZN2at6native12_GLOBAL__N_124unique_dim_cuda_templateIiEESt5tupleIJNSH_6TensorESM_SM_EERKSM_lbbbEUlllE0_EEPmJS6_EEE10hipError_tPvRmT3_T4_T5_T6_T7_T9_mT8_P12ihipStream_tbDpT10_ENKUlT_T0_E_clISt17integral_constantIbLb1EES1B_IbLb0EEEEDaS17_S18_EUlS17_E_NS1_11comp_targetILNS1_3genE4ELNS1_11target_archE910ELNS1_3gpuE8ELNS1_3repE0EEENS1_30default_config_static_selectorELNS0_4arch9wavefront6targetE0EEEvT1_
    .private_segment_fixed_size: 0
    .sgpr_count:     0
    .sgpr_spill_count: 0
    .symbol:         _ZN7rocprim17ROCPRIM_400000_NS6detail17trampoline_kernelINS0_14default_configENS1_25partition_config_selectorILNS1_17partition_subalgoE8ElNS0_10empty_typeEbEEZZNS1_14partition_implILS5_8ELb0ES3_jPlPS6_PKS6_NS0_5tupleIJS9_S6_EEENSD_IJSA_SA_EEENS0_18inequality_wrapperIZN2at6native12_GLOBAL__N_124unique_dim_cuda_templateIiEESt5tupleIJNSH_6TensorESM_SM_EERKSM_lbbbEUlllE0_EEPmJS6_EEE10hipError_tPvRmT3_T4_T5_T6_T7_T9_mT8_P12ihipStream_tbDpT10_ENKUlT_T0_E_clISt17integral_constantIbLb1EES1B_IbLb0EEEEDaS17_S18_EUlS17_E_NS1_11comp_targetILNS1_3genE4ELNS1_11target_archE910ELNS1_3gpuE8ELNS1_3repE0EEENS1_30default_config_static_selectorELNS0_4arch9wavefront6targetE0EEEvT1_.kd
    .uniform_work_group_size: 1
    .uses_dynamic_stack: false
    .vgpr_count:     0
    .vgpr_spill_count: 0
    .wavefront_size: 32
    .workgroup_processor_mode: 1
  - .args:
      - .offset:         0
        .size:           120
        .value_kind:     by_value
    .group_segment_fixed_size: 0
    .kernarg_segment_align: 8
    .kernarg_segment_size: 120
    .language:       OpenCL C
    .language_version:
      - 2
      - 0
    .max_flat_workgroup_size: 512
    .name:           _ZN7rocprim17ROCPRIM_400000_NS6detail17trampoline_kernelINS0_14default_configENS1_25partition_config_selectorILNS1_17partition_subalgoE8ElNS0_10empty_typeEbEEZZNS1_14partition_implILS5_8ELb0ES3_jPlPS6_PKS6_NS0_5tupleIJS9_S6_EEENSD_IJSA_SA_EEENS0_18inequality_wrapperIZN2at6native12_GLOBAL__N_124unique_dim_cuda_templateIiEESt5tupleIJNSH_6TensorESM_SM_EERKSM_lbbbEUlllE0_EEPmJS6_EEE10hipError_tPvRmT3_T4_T5_T6_T7_T9_mT8_P12ihipStream_tbDpT10_ENKUlT_T0_E_clISt17integral_constantIbLb1EES1B_IbLb0EEEEDaS17_S18_EUlS17_E_NS1_11comp_targetILNS1_3genE3ELNS1_11target_archE908ELNS1_3gpuE7ELNS1_3repE0EEENS1_30default_config_static_selectorELNS0_4arch9wavefront6targetE0EEEvT1_
    .private_segment_fixed_size: 0
    .sgpr_count:     0
    .sgpr_spill_count: 0
    .symbol:         _ZN7rocprim17ROCPRIM_400000_NS6detail17trampoline_kernelINS0_14default_configENS1_25partition_config_selectorILNS1_17partition_subalgoE8ElNS0_10empty_typeEbEEZZNS1_14partition_implILS5_8ELb0ES3_jPlPS6_PKS6_NS0_5tupleIJS9_S6_EEENSD_IJSA_SA_EEENS0_18inequality_wrapperIZN2at6native12_GLOBAL__N_124unique_dim_cuda_templateIiEESt5tupleIJNSH_6TensorESM_SM_EERKSM_lbbbEUlllE0_EEPmJS6_EEE10hipError_tPvRmT3_T4_T5_T6_T7_T9_mT8_P12ihipStream_tbDpT10_ENKUlT_T0_E_clISt17integral_constantIbLb1EES1B_IbLb0EEEEDaS17_S18_EUlS17_E_NS1_11comp_targetILNS1_3genE3ELNS1_11target_archE908ELNS1_3gpuE7ELNS1_3repE0EEENS1_30default_config_static_selectorELNS0_4arch9wavefront6targetE0EEEvT1_.kd
    .uniform_work_group_size: 1
    .uses_dynamic_stack: false
    .vgpr_count:     0
    .vgpr_spill_count: 0
    .wavefront_size: 32
    .workgroup_processor_mode: 1
  - .args:
      - .offset:         0
        .size:           120
        .value_kind:     by_value
    .group_segment_fixed_size: 0
    .kernarg_segment_align: 8
    .kernarg_segment_size: 120
    .language:       OpenCL C
    .language_version:
      - 2
      - 0
    .max_flat_workgroup_size: 256
    .name:           _ZN7rocprim17ROCPRIM_400000_NS6detail17trampoline_kernelINS0_14default_configENS1_25partition_config_selectorILNS1_17partition_subalgoE8ElNS0_10empty_typeEbEEZZNS1_14partition_implILS5_8ELb0ES3_jPlPS6_PKS6_NS0_5tupleIJS9_S6_EEENSD_IJSA_SA_EEENS0_18inequality_wrapperIZN2at6native12_GLOBAL__N_124unique_dim_cuda_templateIiEESt5tupleIJNSH_6TensorESM_SM_EERKSM_lbbbEUlllE0_EEPmJS6_EEE10hipError_tPvRmT3_T4_T5_T6_T7_T9_mT8_P12ihipStream_tbDpT10_ENKUlT_T0_E_clISt17integral_constantIbLb1EES1B_IbLb0EEEEDaS17_S18_EUlS17_E_NS1_11comp_targetILNS1_3genE2ELNS1_11target_archE906ELNS1_3gpuE6ELNS1_3repE0EEENS1_30default_config_static_selectorELNS0_4arch9wavefront6targetE0EEEvT1_
    .private_segment_fixed_size: 0
    .sgpr_count:     0
    .sgpr_spill_count: 0
    .symbol:         _ZN7rocprim17ROCPRIM_400000_NS6detail17trampoline_kernelINS0_14default_configENS1_25partition_config_selectorILNS1_17partition_subalgoE8ElNS0_10empty_typeEbEEZZNS1_14partition_implILS5_8ELb0ES3_jPlPS6_PKS6_NS0_5tupleIJS9_S6_EEENSD_IJSA_SA_EEENS0_18inequality_wrapperIZN2at6native12_GLOBAL__N_124unique_dim_cuda_templateIiEESt5tupleIJNSH_6TensorESM_SM_EERKSM_lbbbEUlllE0_EEPmJS6_EEE10hipError_tPvRmT3_T4_T5_T6_T7_T9_mT8_P12ihipStream_tbDpT10_ENKUlT_T0_E_clISt17integral_constantIbLb1EES1B_IbLb0EEEEDaS17_S18_EUlS17_E_NS1_11comp_targetILNS1_3genE2ELNS1_11target_archE906ELNS1_3gpuE6ELNS1_3repE0EEENS1_30default_config_static_selectorELNS0_4arch9wavefront6targetE0EEEvT1_.kd
    .uniform_work_group_size: 1
    .uses_dynamic_stack: false
    .vgpr_count:     0
    .vgpr_spill_count: 0
    .wavefront_size: 32
    .workgroup_processor_mode: 1
  - .args:
      - .offset:         0
        .size:           120
        .value_kind:     by_value
    .group_segment_fixed_size: 0
    .kernarg_segment_align: 8
    .kernarg_segment_size: 120
    .language:       OpenCL C
    .language_version:
      - 2
      - 0
    .max_flat_workgroup_size: 384
    .name:           _ZN7rocprim17ROCPRIM_400000_NS6detail17trampoline_kernelINS0_14default_configENS1_25partition_config_selectorILNS1_17partition_subalgoE8ElNS0_10empty_typeEbEEZZNS1_14partition_implILS5_8ELb0ES3_jPlPS6_PKS6_NS0_5tupleIJS9_S6_EEENSD_IJSA_SA_EEENS0_18inequality_wrapperIZN2at6native12_GLOBAL__N_124unique_dim_cuda_templateIiEESt5tupleIJNSH_6TensorESM_SM_EERKSM_lbbbEUlllE0_EEPmJS6_EEE10hipError_tPvRmT3_T4_T5_T6_T7_T9_mT8_P12ihipStream_tbDpT10_ENKUlT_T0_E_clISt17integral_constantIbLb1EES1B_IbLb0EEEEDaS17_S18_EUlS17_E_NS1_11comp_targetILNS1_3genE10ELNS1_11target_archE1200ELNS1_3gpuE4ELNS1_3repE0EEENS1_30default_config_static_selectorELNS0_4arch9wavefront6targetE0EEEvT1_
    .private_segment_fixed_size: 0
    .sgpr_count:     0
    .sgpr_spill_count: 0
    .symbol:         _ZN7rocprim17ROCPRIM_400000_NS6detail17trampoline_kernelINS0_14default_configENS1_25partition_config_selectorILNS1_17partition_subalgoE8ElNS0_10empty_typeEbEEZZNS1_14partition_implILS5_8ELb0ES3_jPlPS6_PKS6_NS0_5tupleIJS9_S6_EEENSD_IJSA_SA_EEENS0_18inequality_wrapperIZN2at6native12_GLOBAL__N_124unique_dim_cuda_templateIiEESt5tupleIJNSH_6TensorESM_SM_EERKSM_lbbbEUlllE0_EEPmJS6_EEE10hipError_tPvRmT3_T4_T5_T6_T7_T9_mT8_P12ihipStream_tbDpT10_ENKUlT_T0_E_clISt17integral_constantIbLb1EES1B_IbLb0EEEEDaS17_S18_EUlS17_E_NS1_11comp_targetILNS1_3genE10ELNS1_11target_archE1200ELNS1_3gpuE4ELNS1_3repE0EEENS1_30default_config_static_selectorELNS0_4arch9wavefront6targetE0EEEvT1_.kd
    .uniform_work_group_size: 1
    .uses_dynamic_stack: false
    .vgpr_count:     0
    .vgpr_spill_count: 0
    .wavefront_size: 32
    .workgroup_processor_mode: 1
  - .args:
      - .offset:         0
        .size:           120
        .value_kind:     by_value
    .group_segment_fixed_size: 33804
    .kernarg_segment_align: 8
    .kernarg_segment_size: 120
    .language:       OpenCL C
    .language_version:
      - 2
      - 0
    .max_flat_workgroup_size: 512
    .name:           _ZN7rocprim17ROCPRIM_400000_NS6detail17trampoline_kernelINS0_14default_configENS1_25partition_config_selectorILNS1_17partition_subalgoE8ElNS0_10empty_typeEbEEZZNS1_14partition_implILS5_8ELb0ES3_jPlPS6_PKS6_NS0_5tupleIJS9_S6_EEENSD_IJSA_SA_EEENS0_18inequality_wrapperIZN2at6native12_GLOBAL__N_124unique_dim_cuda_templateIiEESt5tupleIJNSH_6TensorESM_SM_EERKSM_lbbbEUlllE0_EEPmJS6_EEE10hipError_tPvRmT3_T4_T5_T6_T7_T9_mT8_P12ihipStream_tbDpT10_ENKUlT_T0_E_clISt17integral_constantIbLb1EES1B_IbLb0EEEEDaS17_S18_EUlS17_E_NS1_11comp_targetILNS1_3genE9ELNS1_11target_archE1100ELNS1_3gpuE3ELNS1_3repE0EEENS1_30default_config_static_selectorELNS0_4arch9wavefront6targetE0EEEvT1_
    .private_segment_fixed_size: 0
    .sgpr_count:     38
    .sgpr_spill_count: 0
    .symbol:         _ZN7rocprim17ROCPRIM_400000_NS6detail17trampoline_kernelINS0_14default_configENS1_25partition_config_selectorILNS1_17partition_subalgoE8ElNS0_10empty_typeEbEEZZNS1_14partition_implILS5_8ELb0ES3_jPlPS6_PKS6_NS0_5tupleIJS9_S6_EEENSD_IJSA_SA_EEENS0_18inequality_wrapperIZN2at6native12_GLOBAL__N_124unique_dim_cuda_templateIiEESt5tupleIJNSH_6TensorESM_SM_EERKSM_lbbbEUlllE0_EEPmJS6_EEE10hipError_tPvRmT3_T4_T5_T6_T7_T9_mT8_P12ihipStream_tbDpT10_ENKUlT_T0_E_clISt17integral_constantIbLb1EES1B_IbLb0EEEEDaS17_S18_EUlS17_E_NS1_11comp_targetILNS1_3genE9ELNS1_11target_archE1100ELNS1_3gpuE3ELNS1_3repE0EEENS1_30default_config_static_selectorELNS0_4arch9wavefront6targetE0EEEvT1_.kd
    .uniform_work_group_size: 1
    .uses_dynamic_stack: false
    .vgpr_count:     52
    .vgpr_spill_count: 0
    .wavefront_size: 32
    .workgroup_processor_mode: 1
  - .args:
      - .offset:         0
        .size:           120
        .value_kind:     by_value
    .group_segment_fixed_size: 0
    .kernarg_segment_align: 8
    .kernarg_segment_size: 120
    .language:       OpenCL C
    .language_version:
      - 2
      - 0
    .max_flat_workgroup_size: 512
    .name:           _ZN7rocprim17ROCPRIM_400000_NS6detail17trampoline_kernelINS0_14default_configENS1_25partition_config_selectorILNS1_17partition_subalgoE8ElNS0_10empty_typeEbEEZZNS1_14partition_implILS5_8ELb0ES3_jPlPS6_PKS6_NS0_5tupleIJS9_S6_EEENSD_IJSA_SA_EEENS0_18inequality_wrapperIZN2at6native12_GLOBAL__N_124unique_dim_cuda_templateIiEESt5tupleIJNSH_6TensorESM_SM_EERKSM_lbbbEUlllE0_EEPmJS6_EEE10hipError_tPvRmT3_T4_T5_T6_T7_T9_mT8_P12ihipStream_tbDpT10_ENKUlT_T0_E_clISt17integral_constantIbLb1EES1B_IbLb0EEEEDaS17_S18_EUlS17_E_NS1_11comp_targetILNS1_3genE8ELNS1_11target_archE1030ELNS1_3gpuE2ELNS1_3repE0EEENS1_30default_config_static_selectorELNS0_4arch9wavefront6targetE0EEEvT1_
    .private_segment_fixed_size: 0
    .sgpr_count:     0
    .sgpr_spill_count: 0
    .symbol:         _ZN7rocprim17ROCPRIM_400000_NS6detail17trampoline_kernelINS0_14default_configENS1_25partition_config_selectorILNS1_17partition_subalgoE8ElNS0_10empty_typeEbEEZZNS1_14partition_implILS5_8ELb0ES3_jPlPS6_PKS6_NS0_5tupleIJS9_S6_EEENSD_IJSA_SA_EEENS0_18inequality_wrapperIZN2at6native12_GLOBAL__N_124unique_dim_cuda_templateIiEESt5tupleIJNSH_6TensorESM_SM_EERKSM_lbbbEUlllE0_EEPmJS6_EEE10hipError_tPvRmT3_T4_T5_T6_T7_T9_mT8_P12ihipStream_tbDpT10_ENKUlT_T0_E_clISt17integral_constantIbLb1EES1B_IbLb0EEEEDaS17_S18_EUlS17_E_NS1_11comp_targetILNS1_3genE8ELNS1_11target_archE1030ELNS1_3gpuE2ELNS1_3repE0EEENS1_30default_config_static_selectorELNS0_4arch9wavefront6targetE0EEEvT1_.kd
    .uniform_work_group_size: 1
    .uses_dynamic_stack: false
    .vgpr_count:     0
    .vgpr_spill_count: 0
    .wavefront_size: 32
    .workgroup_processor_mode: 1
  - .args:
      - .offset:         0
        .size:           136
        .value_kind:     by_value
    .group_segment_fixed_size: 0
    .kernarg_segment_align: 8
    .kernarg_segment_size: 136
    .language:       OpenCL C
    .language_version:
      - 2
      - 0
    .max_flat_workgroup_size: 512
    .name:           _ZN7rocprim17ROCPRIM_400000_NS6detail17trampoline_kernelINS0_14default_configENS1_25partition_config_selectorILNS1_17partition_subalgoE8ElNS0_10empty_typeEbEEZZNS1_14partition_implILS5_8ELb0ES3_jPlPS6_PKS6_NS0_5tupleIJS9_S6_EEENSD_IJSA_SA_EEENS0_18inequality_wrapperIZN2at6native12_GLOBAL__N_124unique_dim_cuda_templateIiEESt5tupleIJNSH_6TensorESM_SM_EERKSM_lbbbEUlllE0_EEPmJS6_EEE10hipError_tPvRmT3_T4_T5_T6_T7_T9_mT8_P12ihipStream_tbDpT10_ENKUlT_T0_E_clISt17integral_constantIbLb0EES1B_IbLb1EEEEDaS17_S18_EUlS17_E_NS1_11comp_targetILNS1_3genE0ELNS1_11target_archE4294967295ELNS1_3gpuE0ELNS1_3repE0EEENS1_30default_config_static_selectorELNS0_4arch9wavefront6targetE0EEEvT1_
    .private_segment_fixed_size: 0
    .sgpr_count:     0
    .sgpr_spill_count: 0
    .symbol:         _ZN7rocprim17ROCPRIM_400000_NS6detail17trampoline_kernelINS0_14default_configENS1_25partition_config_selectorILNS1_17partition_subalgoE8ElNS0_10empty_typeEbEEZZNS1_14partition_implILS5_8ELb0ES3_jPlPS6_PKS6_NS0_5tupleIJS9_S6_EEENSD_IJSA_SA_EEENS0_18inequality_wrapperIZN2at6native12_GLOBAL__N_124unique_dim_cuda_templateIiEESt5tupleIJNSH_6TensorESM_SM_EERKSM_lbbbEUlllE0_EEPmJS6_EEE10hipError_tPvRmT3_T4_T5_T6_T7_T9_mT8_P12ihipStream_tbDpT10_ENKUlT_T0_E_clISt17integral_constantIbLb0EES1B_IbLb1EEEEDaS17_S18_EUlS17_E_NS1_11comp_targetILNS1_3genE0ELNS1_11target_archE4294967295ELNS1_3gpuE0ELNS1_3repE0EEENS1_30default_config_static_selectorELNS0_4arch9wavefront6targetE0EEEvT1_.kd
    .uniform_work_group_size: 1
    .uses_dynamic_stack: false
    .vgpr_count:     0
    .vgpr_spill_count: 0
    .wavefront_size: 32
    .workgroup_processor_mode: 1
  - .args:
      - .offset:         0
        .size:           136
        .value_kind:     by_value
    .group_segment_fixed_size: 0
    .kernarg_segment_align: 8
    .kernarg_segment_size: 136
    .language:       OpenCL C
    .language_version:
      - 2
      - 0
    .max_flat_workgroup_size: 512
    .name:           _ZN7rocprim17ROCPRIM_400000_NS6detail17trampoline_kernelINS0_14default_configENS1_25partition_config_selectorILNS1_17partition_subalgoE8ElNS0_10empty_typeEbEEZZNS1_14partition_implILS5_8ELb0ES3_jPlPS6_PKS6_NS0_5tupleIJS9_S6_EEENSD_IJSA_SA_EEENS0_18inequality_wrapperIZN2at6native12_GLOBAL__N_124unique_dim_cuda_templateIiEESt5tupleIJNSH_6TensorESM_SM_EERKSM_lbbbEUlllE0_EEPmJS6_EEE10hipError_tPvRmT3_T4_T5_T6_T7_T9_mT8_P12ihipStream_tbDpT10_ENKUlT_T0_E_clISt17integral_constantIbLb0EES1B_IbLb1EEEEDaS17_S18_EUlS17_E_NS1_11comp_targetILNS1_3genE5ELNS1_11target_archE942ELNS1_3gpuE9ELNS1_3repE0EEENS1_30default_config_static_selectorELNS0_4arch9wavefront6targetE0EEEvT1_
    .private_segment_fixed_size: 0
    .sgpr_count:     0
    .sgpr_spill_count: 0
    .symbol:         _ZN7rocprim17ROCPRIM_400000_NS6detail17trampoline_kernelINS0_14default_configENS1_25partition_config_selectorILNS1_17partition_subalgoE8ElNS0_10empty_typeEbEEZZNS1_14partition_implILS5_8ELb0ES3_jPlPS6_PKS6_NS0_5tupleIJS9_S6_EEENSD_IJSA_SA_EEENS0_18inequality_wrapperIZN2at6native12_GLOBAL__N_124unique_dim_cuda_templateIiEESt5tupleIJNSH_6TensorESM_SM_EERKSM_lbbbEUlllE0_EEPmJS6_EEE10hipError_tPvRmT3_T4_T5_T6_T7_T9_mT8_P12ihipStream_tbDpT10_ENKUlT_T0_E_clISt17integral_constantIbLb0EES1B_IbLb1EEEEDaS17_S18_EUlS17_E_NS1_11comp_targetILNS1_3genE5ELNS1_11target_archE942ELNS1_3gpuE9ELNS1_3repE0EEENS1_30default_config_static_selectorELNS0_4arch9wavefront6targetE0EEEvT1_.kd
    .uniform_work_group_size: 1
    .uses_dynamic_stack: false
    .vgpr_count:     0
    .vgpr_spill_count: 0
    .wavefront_size: 32
    .workgroup_processor_mode: 1
  - .args:
      - .offset:         0
        .size:           136
        .value_kind:     by_value
    .group_segment_fixed_size: 0
    .kernarg_segment_align: 8
    .kernarg_segment_size: 136
    .language:       OpenCL C
    .language_version:
      - 2
      - 0
    .max_flat_workgroup_size: 256
    .name:           _ZN7rocprim17ROCPRIM_400000_NS6detail17trampoline_kernelINS0_14default_configENS1_25partition_config_selectorILNS1_17partition_subalgoE8ElNS0_10empty_typeEbEEZZNS1_14partition_implILS5_8ELb0ES3_jPlPS6_PKS6_NS0_5tupleIJS9_S6_EEENSD_IJSA_SA_EEENS0_18inequality_wrapperIZN2at6native12_GLOBAL__N_124unique_dim_cuda_templateIiEESt5tupleIJNSH_6TensorESM_SM_EERKSM_lbbbEUlllE0_EEPmJS6_EEE10hipError_tPvRmT3_T4_T5_T6_T7_T9_mT8_P12ihipStream_tbDpT10_ENKUlT_T0_E_clISt17integral_constantIbLb0EES1B_IbLb1EEEEDaS17_S18_EUlS17_E_NS1_11comp_targetILNS1_3genE4ELNS1_11target_archE910ELNS1_3gpuE8ELNS1_3repE0EEENS1_30default_config_static_selectorELNS0_4arch9wavefront6targetE0EEEvT1_
    .private_segment_fixed_size: 0
    .sgpr_count:     0
    .sgpr_spill_count: 0
    .symbol:         _ZN7rocprim17ROCPRIM_400000_NS6detail17trampoline_kernelINS0_14default_configENS1_25partition_config_selectorILNS1_17partition_subalgoE8ElNS0_10empty_typeEbEEZZNS1_14partition_implILS5_8ELb0ES3_jPlPS6_PKS6_NS0_5tupleIJS9_S6_EEENSD_IJSA_SA_EEENS0_18inequality_wrapperIZN2at6native12_GLOBAL__N_124unique_dim_cuda_templateIiEESt5tupleIJNSH_6TensorESM_SM_EERKSM_lbbbEUlllE0_EEPmJS6_EEE10hipError_tPvRmT3_T4_T5_T6_T7_T9_mT8_P12ihipStream_tbDpT10_ENKUlT_T0_E_clISt17integral_constantIbLb0EES1B_IbLb1EEEEDaS17_S18_EUlS17_E_NS1_11comp_targetILNS1_3genE4ELNS1_11target_archE910ELNS1_3gpuE8ELNS1_3repE0EEENS1_30default_config_static_selectorELNS0_4arch9wavefront6targetE0EEEvT1_.kd
    .uniform_work_group_size: 1
    .uses_dynamic_stack: false
    .vgpr_count:     0
    .vgpr_spill_count: 0
    .wavefront_size: 32
    .workgroup_processor_mode: 1
  - .args:
      - .offset:         0
        .size:           136
        .value_kind:     by_value
    .group_segment_fixed_size: 0
    .kernarg_segment_align: 8
    .kernarg_segment_size: 136
    .language:       OpenCL C
    .language_version:
      - 2
      - 0
    .max_flat_workgroup_size: 512
    .name:           _ZN7rocprim17ROCPRIM_400000_NS6detail17trampoline_kernelINS0_14default_configENS1_25partition_config_selectorILNS1_17partition_subalgoE8ElNS0_10empty_typeEbEEZZNS1_14partition_implILS5_8ELb0ES3_jPlPS6_PKS6_NS0_5tupleIJS9_S6_EEENSD_IJSA_SA_EEENS0_18inequality_wrapperIZN2at6native12_GLOBAL__N_124unique_dim_cuda_templateIiEESt5tupleIJNSH_6TensorESM_SM_EERKSM_lbbbEUlllE0_EEPmJS6_EEE10hipError_tPvRmT3_T4_T5_T6_T7_T9_mT8_P12ihipStream_tbDpT10_ENKUlT_T0_E_clISt17integral_constantIbLb0EES1B_IbLb1EEEEDaS17_S18_EUlS17_E_NS1_11comp_targetILNS1_3genE3ELNS1_11target_archE908ELNS1_3gpuE7ELNS1_3repE0EEENS1_30default_config_static_selectorELNS0_4arch9wavefront6targetE0EEEvT1_
    .private_segment_fixed_size: 0
    .sgpr_count:     0
    .sgpr_spill_count: 0
    .symbol:         _ZN7rocprim17ROCPRIM_400000_NS6detail17trampoline_kernelINS0_14default_configENS1_25partition_config_selectorILNS1_17partition_subalgoE8ElNS0_10empty_typeEbEEZZNS1_14partition_implILS5_8ELb0ES3_jPlPS6_PKS6_NS0_5tupleIJS9_S6_EEENSD_IJSA_SA_EEENS0_18inequality_wrapperIZN2at6native12_GLOBAL__N_124unique_dim_cuda_templateIiEESt5tupleIJNSH_6TensorESM_SM_EERKSM_lbbbEUlllE0_EEPmJS6_EEE10hipError_tPvRmT3_T4_T5_T6_T7_T9_mT8_P12ihipStream_tbDpT10_ENKUlT_T0_E_clISt17integral_constantIbLb0EES1B_IbLb1EEEEDaS17_S18_EUlS17_E_NS1_11comp_targetILNS1_3genE3ELNS1_11target_archE908ELNS1_3gpuE7ELNS1_3repE0EEENS1_30default_config_static_selectorELNS0_4arch9wavefront6targetE0EEEvT1_.kd
    .uniform_work_group_size: 1
    .uses_dynamic_stack: false
    .vgpr_count:     0
    .vgpr_spill_count: 0
    .wavefront_size: 32
    .workgroup_processor_mode: 1
  - .args:
      - .offset:         0
        .size:           136
        .value_kind:     by_value
    .group_segment_fixed_size: 0
    .kernarg_segment_align: 8
    .kernarg_segment_size: 136
    .language:       OpenCL C
    .language_version:
      - 2
      - 0
    .max_flat_workgroup_size: 256
    .name:           _ZN7rocprim17ROCPRIM_400000_NS6detail17trampoline_kernelINS0_14default_configENS1_25partition_config_selectorILNS1_17partition_subalgoE8ElNS0_10empty_typeEbEEZZNS1_14partition_implILS5_8ELb0ES3_jPlPS6_PKS6_NS0_5tupleIJS9_S6_EEENSD_IJSA_SA_EEENS0_18inequality_wrapperIZN2at6native12_GLOBAL__N_124unique_dim_cuda_templateIiEESt5tupleIJNSH_6TensorESM_SM_EERKSM_lbbbEUlllE0_EEPmJS6_EEE10hipError_tPvRmT3_T4_T5_T6_T7_T9_mT8_P12ihipStream_tbDpT10_ENKUlT_T0_E_clISt17integral_constantIbLb0EES1B_IbLb1EEEEDaS17_S18_EUlS17_E_NS1_11comp_targetILNS1_3genE2ELNS1_11target_archE906ELNS1_3gpuE6ELNS1_3repE0EEENS1_30default_config_static_selectorELNS0_4arch9wavefront6targetE0EEEvT1_
    .private_segment_fixed_size: 0
    .sgpr_count:     0
    .sgpr_spill_count: 0
    .symbol:         _ZN7rocprim17ROCPRIM_400000_NS6detail17trampoline_kernelINS0_14default_configENS1_25partition_config_selectorILNS1_17partition_subalgoE8ElNS0_10empty_typeEbEEZZNS1_14partition_implILS5_8ELb0ES3_jPlPS6_PKS6_NS0_5tupleIJS9_S6_EEENSD_IJSA_SA_EEENS0_18inequality_wrapperIZN2at6native12_GLOBAL__N_124unique_dim_cuda_templateIiEESt5tupleIJNSH_6TensorESM_SM_EERKSM_lbbbEUlllE0_EEPmJS6_EEE10hipError_tPvRmT3_T4_T5_T6_T7_T9_mT8_P12ihipStream_tbDpT10_ENKUlT_T0_E_clISt17integral_constantIbLb0EES1B_IbLb1EEEEDaS17_S18_EUlS17_E_NS1_11comp_targetILNS1_3genE2ELNS1_11target_archE906ELNS1_3gpuE6ELNS1_3repE0EEENS1_30default_config_static_selectorELNS0_4arch9wavefront6targetE0EEEvT1_.kd
    .uniform_work_group_size: 1
    .uses_dynamic_stack: false
    .vgpr_count:     0
    .vgpr_spill_count: 0
    .wavefront_size: 32
    .workgroup_processor_mode: 1
  - .args:
      - .offset:         0
        .size:           136
        .value_kind:     by_value
    .group_segment_fixed_size: 0
    .kernarg_segment_align: 8
    .kernarg_segment_size: 136
    .language:       OpenCL C
    .language_version:
      - 2
      - 0
    .max_flat_workgroup_size: 384
    .name:           _ZN7rocprim17ROCPRIM_400000_NS6detail17trampoline_kernelINS0_14default_configENS1_25partition_config_selectorILNS1_17partition_subalgoE8ElNS0_10empty_typeEbEEZZNS1_14partition_implILS5_8ELb0ES3_jPlPS6_PKS6_NS0_5tupleIJS9_S6_EEENSD_IJSA_SA_EEENS0_18inequality_wrapperIZN2at6native12_GLOBAL__N_124unique_dim_cuda_templateIiEESt5tupleIJNSH_6TensorESM_SM_EERKSM_lbbbEUlllE0_EEPmJS6_EEE10hipError_tPvRmT3_T4_T5_T6_T7_T9_mT8_P12ihipStream_tbDpT10_ENKUlT_T0_E_clISt17integral_constantIbLb0EES1B_IbLb1EEEEDaS17_S18_EUlS17_E_NS1_11comp_targetILNS1_3genE10ELNS1_11target_archE1200ELNS1_3gpuE4ELNS1_3repE0EEENS1_30default_config_static_selectorELNS0_4arch9wavefront6targetE0EEEvT1_
    .private_segment_fixed_size: 0
    .sgpr_count:     0
    .sgpr_spill_count: 0
    .symbol:         _ZN7rocprim17ROCPRIM_400000_NS6detail17trampoline_kernelINS0_14default_configENS1_25partition_config_selectorILNS1_17partition_subalgoE8ElNS0_10empty_typeEbEEZZNS1_14partition_implILS5_8ELb0ES3_jPlPS6_PKS6_NS0_5tupleIJS9_S6_EEENSD_IJSA_SA_EEENS0_18inequality_wrapperIZN2at6native12_GLOBAL__N_124unique_dim_cuda_templateIiEESt5tupleIJNSH_6TensorESM_SM_EERKSM_lbbbEUlllE0_EEPmJS6_EEE10hipError_tPvRmT3_T4_T5_T6_T7_T9_mT8_P12ihipStream_tbDpT10_ENKUlT_T0_E_clISt17integral_constantIbLb0EES1B_IbLb1EEEEDaS17_S18_EUlS17_E_NS1_11comp_targetILNS1_3genE10ELNS1_11target_archE1200ELNS1_3gpuE4ELNS1_3repE0EEENS1_30default_config_static_selectorELNS0_4arch9wavefront6targetE0EEEvT1_.kd
    .uniform_work_group_size: 1
    .uses_dynamic_stack: false
    .vgpr_count:     0
    .vgpr_spill_count: 0
    .wavefront_size: 32
    .workgroup_processor_mode: 1
  - .args:
      - .offset:         0
        .size:           136
        .value_kind:     by_value
    .group_segment_fixed_size: 33804
    .kernarg_segment_align: 8
    .kernarg_segment_size: 136
    .language:       OpenCL C
    .language_version:
      - 2
      - 0
    .max_flat_workgroup_size: 512
    .name:           _ZN7rocprim17ROCPRIM_400000_NS6detail17trampoline_kernelINS0_14default_configENS1_25partition_config_selectorILNS1_17partition_subalgoE8ElNS0_10empty_typeEbEEZZNS1_14partition_implILS5_8ELb0ES3_jPlPS6_PKS6_NS0_5tupleIJS9_S6_EEENSD_IJSA_SA_EEENS0_18inequality_wrapperIZN2at6native12_GLOBAL__N_124unique_dim_cuda_templateIiEESt5tupleIJNSH_6TensorESM_SM_EERKSM_lbbbEUlllE0_EEPmJS6_EEE10hipError_tPvRmT3_T4_T5_T6_T7_T9_mT8_P12ihipStream_tbDpT10_ENKUlT_T0_E_clISt17integral_constantIbLb0EES1B_IbLb1EEEEDaS17_S18_EUlS17_E_NS1_11comp_targetILNS1_3genE9ELNS1_11target_archE1100ELNS1_3gpuE3ELNS1_3repE0EEENS1_30default_config_static_selectorELNS0_4arch9wavefront6targetE0EEEvT1_
    .private_segment_fixed_size: 0
    .sgpr_count:     40
    .sgpr_spill_count: 0
    .symbol:         _ZN7rocprim17ROCPRIM_400000_NS6detail17trampoline_kernelINS0_14default_configENS1_25partition_config_selectorILNS1_17partition_subalgoE8ElNS0_10empty_typeEbEEZZNS1_14partition_implILS5_8ELb0ES3_jPlPS6_PKS6_NS0_5tupleIJS9_S6_EEENSD_IJSA_SA_EEENS0_18inequality_wrapperIZN2at6native12_GLOBAL__N_124unique_dim_cuda_templateIiEESt5tupleIJNSH_6TensorESM_SM_EERKSM_lbbbEUlllE0_EEPmJS6_EEE10hipError_tPvRmT3_T4_T5_T6_T7_T9_mT8_P12ihipStream_tbDpT10_ENKUlT_T0_E_clISt17integral_constantIbLb0EES1B_IbLb1EEEEDaS17_S18_EUlS17_E_NS1_11comp_targetILNS1_3genE9ELNS1_11target_archE1100ELNS1_3gpuE3ELNS1_3repE0EEENS1_30default_config_static_selectorELNS0_4arch9wavefront6targetE0EEEvT1_.kd
    .uniform_work_group_size: 1
    .uses_dynamic_stack: false
    .vgpr_count:     52
    .vgpr_spill_count: 0
    .wavefront_size: 32
    .workgroup_processor_mode: 1
  - .args:
      - .offset:         0
        .size:           136
        .value_kind:     by_value
    .group_segment_fixed_size: 0
    .kernarg_segment_align: 8
    .kernarg_segment_size: 136
    .language:       OpenCL C
    .language_version:
      - 2
      - 0
    .max_flat_workgroup_size: 512
    .name:           _ZN7rocprim17ROCPRIM_400000_NS6detail17trampoline_kernelINS0_14default_configENS1_25partition_config_selectorILNS1_17partition_subalgoE8ElNS0_10empty_typeEbEEZZNS1_14partition_implILS5_8ELb0ES3_jPlPS6_PKS6_NS0_5tupleIJS9_S6_EEENSD_IJSA_SA_EEENS0_18inequality_wrapperIZN2at6native12_GLOBAL__N_124unique_dim_cuda_templateIiEESt5tupleIJNSH_6TensorESM_SM_EERKSM_lbbbEUlllE0_EEPmJS6_EEE10hipError_tPvRmT3_T4_T5_T6_T7_T9_mT8_P12ihipStream_tbDpT10_ENKUlT_T0_E_clISt17integral_constantIbLb0EES1B_IbLb1EEEEDaS17_S18_EUlS17_E_NS1_11comp_targetILNS1_3genE8ELNS1_11target_archE1030ELNS1_3gpuE2ELNS1_3repE0EEENS1_30default_config_static_selectorELNS0_4arch9wavefront6targetE0EEEvT1_
    .private_segment_fixed_size: 0
    .sgpr_count:     0
    .sgpr_spill_count: 0
    .symbol:         _ZN7rocprim17ROCPRIM_400000_NS6detail17trampoline_kernelINS0_14default_configENS1_25partition_config_selectorILNS1_17partition_subalgoE8ElNS0_10empty_typeEbEEZZNS1_14partition_implILS5_8ELb0ES3_jPlPS6_PKS6_NS0_5tupleIJS9_S6_EEENSD_IJSA_SA_EEENS0_18inequality_wrapperIZN2at6native12_GLOBAL__N_124unique_dim_cuda_templateIiEESt5tupleIJNSH_6TensorESM_SM_EERKSM_lbbbEUlllE0_EEPmJS6_EEE10hipError_tPvRmT3_T4_T5_T6_T7_T9_mT8_P12ihipStream_tbDpT10_ENKUlT_T0_E_clISt17integral_constantIbLb0EES1B_IbLb1EEEEDaS17_S18_EUlS17_E_NS1_11comp_targetILNS1_3genE8ELNS1_11target_archE1030ELNS1_3gpuE2ELNS1_3repE0EEENS1_30default_config_static_selectorELNS0_4arch9wavefront6targetE0EEEvT1_.kd
    .uniform_work_group_size: 1
    .uses_dynamic_stack: false
    .vgpr_count:     0
    .vgpr_spill_count: 0
    .wavefront_size: 32
    .workgroup_processor_mode: 1
  - .args:
      - .offset:         0
        .size:           120
        .value_kind:     by_value
    .group_segment_fixed_size: 0
    .kernarg_segment_align: 8
    .kernarg_segment_size: 120
    .language:       OpenCL C
    .language_version:
      - 2
      - 0
    .max_flat_workgroup_size: 128
    .name:           _ZN7rocprim17ROCPRIM_400000_NS6detail17trampoline_kernelINS0_14default_configENS1_25partition_config_selectorILNS1_17partition_subalgoE9EllbEEZZNS1_14partition_implILS5_9ELb0ES3_jPlS8_PNS0_10empty_typeENS0_5tupleIJS8_S9_EEENSB_IJS8_SA_EEENS0_18inequality_wrapperIZN2at6native12_GLOBAL__N_124unique_dim_cuda_templateIiEESt5tupleIJNSF_6TensorESK_SK_EERKSK_lbbbEUlllE0_EEPmJS9_EEE10hipError_tPvRmT3_T4_T5_T6_T7_T9_mT8_P12ihipStream_tbDpT10_ENKUlT_T0_E_clISt17integral_constantIbLb0EES1A_EEDaS15_S16_EUlS15_E_NS1_11comp_targetILNS1_3genE0ELNS1_11target_archE4294967295ELNS1_3gpuE0ELNS1_3repE0EEENS1_30default_config_static_selectorELNS0_4arch9wavefront6targetE0EEEvT1_
    .private_segment_fixed_size: 0
    .sgpr_count:     0
    .sgpr_spill_count: 0
    .symbol:         _ZN7rocprim17ROCPRIM_400000_NS6detail17trampoline_kernelINS0_14default_configENS1_25partition_config_selectorILNS1_17partition_subalgoE9EllbEEZZNS1_14partition_implILS5_9ELb0ES3_jPlS8_PNS0_10empty_typeENS0_5tupleIJS8_S9_EEENSB_IJS8_SA_EEENS0_18inequality_wrapperIZN2at6native12_GLOBAL__N_124unique_dim_cuda_templateIiEESt5tupleIJNSF_6TensorESK_SK_EERKSK_lbbbEUlllE0_EEPmJS9_EEE10hipError_tPvRmT3_T4_T5_T6_T7_T9_mT8_P12ihipStream_tbDpT10_ENKUlT_T0_E_clISt17integral_constantIbLb0EES1A_EEDaS15_S16_EUlS15_E_NS1_11comp_targetILNS1_3genE0ELNS1_11target_archE4294967295ELNS1_3gpuE0ELNS1_3repE0EEENS1_30default_config_static_selectorELNS0_4arch9wavefront6targetE0EEEvT1_.kd
    .uniform_work_group_size: 1
    .uses_dynamic_stack: false
    .vgpr_count:     0
    .vgpr_spill_count: 0
    .wavefront_size: 32
    .workgroup_processor_mode: 1
  - .args:
      - .offset:         0
        .size:           120
        .value_kind:     by_value
    .group_segment_fixed_size: 0
    .kernarg_segment_align: 8
    .kernarg_segment_size: 120
    .language:       OpenCL C
    .language_version:
      - 2
      - 0
    .max_flat_workgroup_size: 512
    .name:           _ZN7rocprim17ROCPRIM_400000_NS6detail17trampoline_kernelINS0_14default_configENS1_25partition_config_selectorILNS1_17partition_subalgoE9EllbEEZZNS1_14partition_implILS5_9ELb0ES3_jPlS8_PNS0_10empty_typeENS0_5tupleIJS8_S9_EEENSB_IJS8_SA_EEENS0_18inequality_wrapperIZN2at6native12_GLOBAL__N_124unique_dim_cuda_templateIiEESt5tupleIJNSF_6TensorESK_SK_EERKSK_lbbbEUlllE0_EEPmJS9_EEE10hipError_tPvRmT3_T4_T5_T6_T7_T9_mT8_P12ihipStream_tbDpT10_ENKUlT_T0_E_clISt17integral_constantIbLb0EES1A_EEDaS15_S16_EUlS15_E_NS1_11comp_targetILNS1_3genE5ELNS1_11target_archE942ELNS1_3gpuE9ELNS1_3repE0EEENS1_30default_config_static_selectorELNS0_4arch9wavefront6targetE0EEEvT1_
    .private_segment_fixed_size: 0
    .sgpr_count:     0
    .sgpr_spill_count: 0
    .symbol:         _ZN7rocprim17ROCPRIM_400000_NS6detail17trampoline_kernelINS0_14default_configENS1_25partition_config_selectorILNS1_17partition_subalgoE9EllbEEZZNS1_14partition_implILS5_9ELb0ES3_jPlS8_PNS0_10empty_typeENS0_5tupleIJS8_S9_EEENSB_IJS8_SA_EEENS0_18inequality_wrapperIZN2at6native12_GLOBAL__N_124unique_dim_cuda_templateIiEESt5tupleIJNSF_6TensorESK_SK_EERKSK_lbbbEUlllE0_EEPmJS9_EEE10hipError_tPvRmT3_T4_T5_T6_T7_T9_mT8_P12ihipStream_tbDpT10_ENKUlT_T0_E_clISt17integral_constantIbLb0EES1A_EEDaS15_S16_EUlS15_E_NS1_11comp_targetILNS1_3genE5ELNS1_11target_archE942ELNS1_3gpuE9ELNS1_3repE0EEENS1_30default_config_static_selectorELNS0_4arch9wavefront6targetE0EEEvT1_.kd
    .uniform_work_group_size: 1
    .uses_dynamic_stack: false
    .vgpr_count:     0
    .vgpr_spill_count: 0
    .wavefront_size: 32
    .workgroup_processor_mode: 1
  - .args:
      - .offset:         0
        .size:           120
        .value_kind:     by_value
    .group_segment_fixed_size: 0
    .kernarg_segment_align: 8
    .kernarg_segment_size: 120
    .language:       OpenCL C
    .language_version:
      - 2
      - 0
    .max_flat_workgroup_size: 128
    .name:           _ZN7rocprim17ROCPRIM_400000_NS6detail17trampoline_kernelINS0_14default_configENS1_25partition_config_selectorILNS1_17partition_subalgoE9EllbEEZZNS1_14partition_implILS5_9ELb0ES3_jPlS8_PNS0_10empty_typeENS0_5tupleIJS8_S9_EEENSB_IJS8_SA_EEENS0_18inequality_wrapperIZN2at6native12_GLOBAL__N_124unique_dim_cuda_templateIiEESt5tupleIJNSF_6TensorESK_SK_EERKSK_lbbbEUlllE0_EEPmJS9_EEE10hipError_tPvRmT3_T4_T5_T6_T7_T9_mT8_P12ihipStream_tbDpT10_ENKUlT_T0_E_clISt17integral_constantIbLb0EES1A_EEDaS15_S16_EUlS15_E_NS1_11comp_targetILNS1_3genE4ELNS1_11target_archE910ELNS1_3gpuE8ELNS1_3repE0EEENS1_30default_config_static_selectorELNS0_4arch9wavefront6targetE0EEEvT1_
    .private_segment_fixed_size: 0
    .sgpr_count:     0
    .sgpr_spill_count: 0
    .symbol:         _ZN7rocprim17ROCPRIM_400000_NS6detail17trampoline_kernelINS0_14default_configENS1_25partition_config_selectorILNS1_17partition_subalgoE9EllbEEZZNS1_14partition_implILS5_9ELb0ES3_jPlS8_PNS0_10empty_typeENS0_5tupleIJS8_S9_EEENSB_IJS8_SA_EEENS0_18inequality_wrapperIZN2at6native12_GLOBAL__N_124unique_dim_cuda_templateIiEESt5tupleIJNSF_6TensorESK_SK_EERKSK_lbbbEUlllE0_EEPmJS9_EEE10hipError_tPvRmT3_T4_T5_T6_T7_T9_mT8_P12ihipStream_tbDpT10_ENKUlT_T0_E_clISt17integral_constantIbLb0EES1A_EEDaS15_S16_EUlS15_E_NS1_11comp_targetILNS1_3genE4ELNS1_11target_archE910ELNS1_3gpuE8ELNS1_3repE0EEENS1_30default_config_static_selectorELNS0_4arch9wavefront6targetE0EEEvT1_.kd
    .uniform_work_group_size: 1
    .uses_dynamic_stack: false
    .vgpr_count:     0
    .vgpr_spill_count: 0
    .wavefront_size: 32
    .workgroup_processor_mode: 1
  - .args:
      - .offset:         0
        .size:           120
        .value_kind:     by_value
    .group_segment_fixed_size: 0
    .kernarg_segment_align: 8
    .kernarg_segment_size: 120
    .language:       OpenCL C
    .language_version:
      - 2
      - 0
    .max_flat_workgroup_size: 128
    .name:           _ZN7rocprim17ROCPRIM_400000_NS6detail17trampoline_kernelINS0_14default_configENS1_25partition_config_selectorILNS1_17partition_subalgoE9EllbEEZZNS1_14partition_implILS5_9ELb0ES3_jPlS8_PNS0_10empty_typeENS0_5tupleIJS8_S9_EEENSB_IJS8_SA_EEENS0_18inequality_wrapperIZN2at6native12_GLOBAL__N_124unique_dim_cuda_templateIiEESt5tupleIJNSF_6TensorESK_SK_EERKSK_lbbbEUlllE0_EEPmJS9_EEE10hipError_tPvRmT3_T4_T5_T6_T7_T9_mT8_P12ihipStream_tbDpT10_ENKUlT_T0_E_clISt17integral_constantIbLb0EES1A_EEDaS15_S16_EUlS15_E_NS1_11comp_targetILNS1_3genE3ELNS1_11target_archE908ELNS1_3gpuE7ELNS1_3repE0EEENS1_30default_config_static_selectorELNS0_4arch9wavefront6targetE0EEEvT1_
    .private_segment_fixed_size: 0
    .sgpr_count:     0
    .sgpr_spill_count: 0
    .symbol:         _ZN7rocprim17ROCPRIM_400000_NS6detail17trampoline_kernelINS0_14default_configENS1_25partition_config_selectorILNS1_17partition_subalgoE9EllbEEZZNS1_14partition_implILS5_9ELb0ES3_jPlS8_PNS0_10empty_typeENS0_5tupleIJS8_S9_EEENSB_IJS8_SA_EEENS0_18inequality_wrapperIZN2at6native12_GLOBAL__N_124unique_dim_cuda_templateIiEESt5tupleIJNSF_6TensorESK_SK_EERKSK_lbbbEUlllE0_EEPmJS9_EEE10hipError_tPvRmT3_T4_T5_T6_T7_T9_mT8_P12ihipStream_tbDpT10_ENKUlT_T0_E_clISt17integral_constantIbLb0EES1A_EEDaS15_S16_EUlS15_E_NS1_11comp_targetILNS1_3genE3ELNS1_11target_archE908ELNS1_3gpuE7ELNS1_3repE0EEENS1_30default_config_static_selectorELNS0_4arch9wavefront6targetE0EEEvT1_.kd
    .uniform_work_group_size: 1
    .uses_dynamic_stack: false
    .vgpr_count:     0
    .vgpr_spill_count: 0
    .wavefront_size: 32
    .workgroup_processor_mode: 1
  - .args:
      - .offset:         0
        .size:           120
        .value_kind:     by_value
    .group_segment_fixed_size: 0
    .kernarg_segment_align: 8
    .kernarg_segment_size: 120
    .language:       OpenCL C
    .language_version:
      - 2
      - 0
    .max_flat_workgroup_size: 192
    .name:           _ZN7rocprim17ROCPRIM_400000_NS6detail17trampoline_kernelINS0_14default_configENS1_25partition_config_selectorILNS1_17partition_subalgoE9EllbEEZZNS1_14partition_implILS5_9ELb0ES3_jPlS8_PNS0_10empty_typeENS0_5tupleIJS8_S9_EEENSB_IJS8_SA_EEENS0_18inequality_wrapperIZN2at6native12_GLOBAL__N_124unique_dim_cuda_templateIiEESt5tupleIJNSF_6TensorESK_SK_EERKSK_lbbbEUlllE0_EEPmJS9_EEE10hipError_tPvRmT3_T4_T5_T6_T7_T9_mT8_P12ihipStream_tbDpT10_ENKUlT_T0_E_clISt17integral_constantIbLb0EES1A_EEDaS15_S16_EUlS15_E_NS1_11comp_targetILNS1_3genE2ELNS1_11target_archE906ELNS1_3gpuE6ELNS1_3repE0EEENS1_30default_config_static_selectorELNS0_4arch9wavefront6targetE0EEEvT1_
    .private_segment_fixed_size: 0
    .sgpr_count:     0
    .sgpr_spill_count: 0
    .symbol:         _ZN7rocprim17ROCPRIM_400000_NS6detail17trampoline_kernelINS0_14default_configENS1_25partition_config_selectorILNS1_17partition_subalgoE9EllbEEZZNS1_14partition_implILS5_9ELb0ES3_jPlS8_PNS0_10empty_typeENS0_5tupleIJS8_S9_EEENSB_IJS8_SA_EEENS0_18inequality_wrapperIZN2at6native12_GLOBAL__N_124unique_dim_cuda_templateIiEESt5tupleIJNSF_6TensorESK_SK_EERKSK_lbbbEUlllE0_EEPmJS9_EEE10hipError_tPvRmT3_T4_T5_T6_T7_T9_mT8_P12ihipStream_tbDpT10_ENKUlT_T0_E_clISt17integral_constantIbLb0EES1A_EEDaS15_S16_EUlS15_E_NS1_11comp_targetILNS1_3genE2ELNS1_11target_archE906ELNS1_3gpuE6ELNS1_3repE0EEENS1_30default_config_static_selectorELNS0_4arch9wavefront6targetE0EEEvT1_.kd
    .uniform_work_group_size: 1
    .uses_dynamic_stack: false
    .vgpr_count:     0
    .vgpr_spill_count: 0
    .wavefront_size: 32
    .workgroup_processor_mode: 1
  - .args:
      - .offset:         0
        .size:           120
        .value_kind:     by_value
    .group_segment_fixed_size: 0
    .kernarg_segment_align: 8
    .kernarg_segment_size: 120
    .language:       OpenCL C
    .language_version:
      - 2
      - 0
    .max_flat_workgroup_size: 384
    .name:           _ZN7rocprim17ROCPRIM_400000_NS6detail17trampoline_kernelINS0_14default_configENS1_25partition_config_selectorILNS1_17partition_subalgoE9EllbEEZZNS1_14partition_implILS5_9ELb0ES3_jPlS8_PNS0_10empty_typeENS0_5tupleIJS8_S9_EEENSB_IJS8_SA_EEENS0_18inequality_wrapperIZN2at6native12_GLOBAL__N_124unique_dim_cuda_templateIiEESt5tupleIJNSF_6TensorESK_SK_EERKSK_lbbbEUlllE0_EEPmJS9_EEE10hipError_tPvRmT3_T4_T5_T6_T7_T9_mT8_P12ihipStream_tbDpT10_ENKUlT_T0_E_clISt17integral_constantIbLb0EES1A_EEDaS15_S16_EUlS15_E_NS1_11comp_targetILNS1_3genE10ELNS1_11target_archE1200ELNS1_3gpuE4ELNS1_3repE0EEENS1_30default_config_static_selectorELNS0_4arch9wavefront6targetE0EEEvT1_
    .private_segment_fixed_size: 0
    .sgpr_count:     0
    .sgpr_spill_count: 0
    .symbol:         _ZN7rocprim17ROCPRIM_400000_NS6detail17trampoline_kernelINS0_14default_configENS1_25partition_config_selectorILNS1_17partition_subalgoE9EllbEEZZNS1_14partition_implILS5_9ELb0ES3_jPlS8_PNS0_10empty_typeENS0_5tupleIJS8_S9_EEENSB_IJS8_SA_EEENS0_18inequality_wrapperIZN2at6native12_GLOBAL__N_124unique_dim_cuda_templateIiEESt5tupleIJNSF_6TensorESK_SK_EERKSK_lbbbEUlllE0_EEPmJS9_EEE10hipError_tPvRmT3_T4_T5_T6_T7_T9_mT8_P12ihipStream_tbDpT10_ENKUlT_T0_E_clISt17integral_constantIbLb0EES1A_EEDaS15_S16_EUlS15_E_NS1_11comp_targetILNS1_3genE10ELNS1_11target_archE1200ELNS1_3gpuE4ELNS1_3repE0EEENS1_30default_config_static_selectorELNS0_4arch9wavefront6targetE0EEEvT1_.kd
    .uniform_work_group_size: 1
    .uses_dynamic_stack: false
    .vgpr_count:     0
    .vgpr_spill_count: 0
    .wavefront_size: 32
    .workgroup_processor_mode: 1
  - .args:
      - .offset:         0
        .size:           120
        .value_kind:     by_value
    .group_segment_fixed_size: 33804
    .kernarg_segment_align: 8
    .kernarg_segment_size: 120
    .language:       OpenCL C
    .language_version:
      - 2
      - 0
    .max_flat_workgroup_size: 512
    .name:           _ZN7rocprim17ROCPRIM_400000_NS6detail17trampoline_kernelINS0_14default_configENS1_25partition_config_selectorILNS1_17partition_subalgoE9EllbEEZZNS1_14partition_implILS5_9ELb0ES3_jPlS8_PNS0_10empty_typeENS0_5tupleIJS8_S9_EEENSB_IJS8_SA_EEENS0_18inequality_wrapperIZN2at6native12_GLOBAL__N_124unique_dim_cuda_templateIiEESt5tupleIJNSF_6TensorESK_SK_EERKSK_lbbbEUlllE0_EEPmJS9_EEE10hipError_tPvRmT3_T4_T5_T6_T7_T9_mT8_P12ihipStream_tbDpT10_ENKUlT_T0_E_clISt17integral_constantIbLb0EES1A_EEDaS15_S16_EUlS15_E_NS1_11comp_targetILNS1_3genE9ELNS1_11target_archE1100ELNS1_3gpuE3ELNS1_3repE0EEENS1_30default_config_static_selectorELNS0_4arch9wavefront6targetE0EEEvT1_
    .private_segment_fixed_size: 0
    .sgpr_count:     38
    .sgpr_spill_count: 0
    .symbol:         _ZN7rocprim17ROCPRIM_400000_NS6detail17trampoline_kernelINS0_14default_configENS1_25partition_config_selectorILNS1_17partition_subalgoE9EllbEEZZNS1_14partition_implILS5_9ELb0ES3_jPlS8_PNS0_10empty_typeENS0_5tupleIJS8_S9_EEENSB_IJS8_SA_EEENS0_18inequality_wrapperIZN2at6native12_GLOBAL__N_124unique_dim_cuda_templateIiEESt5tupleIJNSF_6TensorESK_SK_EERKSK_lbbbEUlllE0_EEPmJS9_EEE10hipError_tPvRmT3_T4_T5_T6_T7_T9_mT8_P12ihipStream_tbDpT10_ENKUlT_T0_E_clISt17integral_constantIbLb0EES1A_EEDaS15_S16_EUlS15_E_NS1_11comp_targetILNS1_3genE9ELNS1_11target_archE1100ELNS1_3gpuE3ELNS1_3repE0EEENS1_30default_config_static_selectorELNS0_4arch9wavefront6targetE0EEEvT1_.kd
    .uniform_work_group_size: 1
    .uses_dynamic_stack: false
    .vgpr_count:     68
    .vgpr_spill_count: 0
    .wavefront_size: 32
    .workgroup_processor_mode: 1
  - .args:
      - .offset:         0
        .size:           120
        .value_kind:     by_value
    .group_segment_fixed_size: 0
    .kernarg_segment_align: 8
    .kernarg_segment_size: 120
    .language:       OpenCL C
    .language_version:
      - 2
      - 0
    .max_flat_workgroup_size: 512
    .name:           _ZN7rocprim17ROCPRIM_400000_NS6detail17trampoline_kernelINS0_14default_configENS1_25partition_config_selectorILNS1_17partition_subalgoE9EllbEEZZNS1_14partition_implILS5_9ELb0ES3_jPlS8_PNS0_10empty_typeENS0_5tupleIJS8_S9_EEENSB_IJS8_SA_EEENS0_18inequality_wrapperIZN2at6native12_GLOBAL__N_124unique_dim_cuda_templateIiEESt5tupleIJNSF_6TensorESK_SK_EERKSK_lbbbEUlllE0_EEPmJS9_EEE10hipError_tPvRmT3_T4_T5_T6_T7_T9_mT8_P12ihipStream_tbDpT10_ENKUlT_T0_E_clISt17integral_constantIbLb0EES1A_EEDaS15_S16_EUlS15_E_NS1_11comp_targetILNS1_3genE8ELNS1_11target_archE1030ELNS1_3gpuE2ELNS1_3repE0EEENS1_30default_config_static_selectorELNS0_4arch9wavefront6targetE0EEEvT1_
    .private_segment_fixed_size: 0
    .sgpr_count:     0
    .sgpr_spill_count: 0
    .symbol:         _ZN7rocprim17ROCPRIM_400000_NS6detail17trampoline_kernelINS0_14default_configENS1_25partition_config_selectorILNS1_17partition_subalgoE9EllbEEZZNS1_14partition_implILS5_9ELb0ES3_jPlS8_PNS0_10empty_typeENS0_5tupleIJS8_S9_EEENSB_IJS8_SA_EEENS0_18inequality_wrapperIZN2at6native12_GLOBAL__N_124unique_dim_cuda_templateIiEESt5tupleIJNSF_6TensorESK_SK_EERKSK_lbbbEUlllE0_EEPmJS9_EEE10hipError_tPvRmT3_T4_T5_T6_T7_T9_mT8_P12ihipStream_tbDpT10_ENKUlT_T0_E_clISt17integral_constantIbLb0EES1A_EEDaS15_S16_EUlS15_E_NS1_11comp_targetILNS1_3genE8ELNS1_11target_archE1030ELNS1_3gpuE2ELNS1_3repE0EEENS1_30default_config_static_selectorELNS0_4arch9wavefront6targetE0EEEvT1_.kd
    .uniform_work_group_size: 1
    .uses_dynamic_stack: false
    .vgpr_count:     0
    .vgpr_spill_count: 0
    .wavefront_size: 32
    .workgroup_processor_mode: 1
  - .args:
      - .offset:         0
        .size:           136
        .value_kind:     by_value
    .group_segment_fixed_size: 0
    .kernarg_segment_align: 8
    .kernarg_segment_size: 136
    .language:       OpenCL C
    .language_version:
      - 2
      - 0
    .max_flat_workgroup_size: 128
    .name:           _ZN7rocprim17ROCPRIM_400000_NS6detail17trampoline_kernelINS0_14default_configENS1_25partition_config_selectorILNS1_17partition_subalgoE9EllbEEZZNS1_14partition_implILS5_9ELb0ES3_jPlS8_PNS0_10empty_typeENS0_5tupleIJS8_S9_EEENSB_IJS8_SA_EEENS0_18inequality_wrapperIZN2at6native12_GLOBAL__N_124unique_dim_cuda_templateIiEESt5tupleIJNSF_6TensorESK_SK_EERKSK_lbbbEUlllE0_EEPmJS9_EEE10hipError_tPvRmT3_T4_T5_T6_T7_T9_mT8_P12ihipStream_tbDpT10_ENKUlT_T0_E_clISt17integral_constantIbLb1EES1A_EEDaS15_S16_EUlS15_E_NS1_11comp_targetILNS1_3genE0ELNS1_11target_archE4294967295ELNS1_3gpuE0ELNS1_3repE0EEENS1_30default_config_static_selectorELNS0_4arch9wavefront6targetE0EEEvT1_
    .private_segment_fixed_size: 0
    .sgpr_count:     0
    .sgpr_spill_count: 0
    .symbol:         _ZN7rocprim17ROCPRIM_400000_NS6detail17trampoline_kernelINS0_14default_configENS1_25partition_config_selectorILNS1_17partition_subalgoE9EllbEEZZNS1_14partition_implILS5_9ELb0ES3_jPlS8_PNS0_10empty_typeENS0_5tupleIJS8_S9_EEENSB_IJS8_SA_EEENS0_18inequality_wrapperIZN2at6native12_GLOBAL__N_124unique_dim_cuda_templateIiEESt5tupleIJNSF_6TensorESK_SK_EERKSK_lbbbEUlllE0_EEPmJS9_EEE10hipError_tPvRmT3_T4_T5_T6_T7_T9_mT8_P12ihipStream_tbDpT10_ENKUlT_T0_E_clISt17integral_constantIbLb1EES1A_EEDaS15_S16_EUlS15_E_NS1_11comp_targetILNS1_3genE0ELNS1_11target_archE4294967295ELNS1_3gpuE0ELNS1_3repE0EEENS1_30default_config_static_selectorELNS0_4arch9wavefront6targetE0EEEvT1_.kd
    .uniform_work_group_size: 1
    .uses_dynamic_stack: false
    .vgpr_count:     0
    .vgpr_spill_count: 0
    .wavefront_size: 32
    .workgroup_processor_mode: 1
  - .args:
      - .offset:         0
        .size:           136
        .value_kind:     by_value
    .group_segment_fixed_size: 0
    .kernarg_segment_align: 8
    .kernarg_segment_size: 136
    .language:       OpenCL C
    .language_version:
      - 2
      - 0
    .max_flat_workgroup_size: 512
    .name:           _ZN7rocprim17ROCPRIM_400000_NS6detail17trampoline_kernelINS0_14default_configENS1_25partition_config_selectorILNS1_17partition_subalgoE9EllbEEZZNS1_14partition_implILS5_9ELb0ES3_jPlS8_PNS0_10empty_typeENS0_5tupleIJS8_S9_EEENSB_IJS8_SA_EEENS0_18inequality_wrapperIZN2at6native12_GLOBAL__N_124unique_dim_cuda_templateIiEESt5tupleIJNSF_6TensorESK_SK_EERKSK_lbbbEUlllE0_EEPmJS9_EEE10hipError_tPvRmT3_T4_T5_T6_T7_T9_mT8_P12ihipStream_tbDpT10_ENKUlT_T0_E_clISt17integral_constantIbLb1EES1A_EEDaS15_S16_EUlS15_E_NS1_11comp_targetILNS1_3genE5ELNS1_11target_archE942ELNS1_3gpuE9ELNS1_3repE0EEENS1_30default_config_static_selectorELNS0_4arch9wavefront6targetE0EEEvT1_
    .private_segment_fixed_size: 0
    .sgpr_count:     0
    .sgpr_spill_count: 0
    .symbol:         _ZN7rocprim17ROCPRIM_400000_NS6detail17trampoline_kernelINS0_14default_configENS1_25partition_config_selectorILNS1_17partition_subalgoE9EllbEEZZNS1_14partition_implILS5_9ELb0ES3_jPlS8_PNS0_10empty_typeENS0_5tupleIJS8_S9_EEENSB_IJS8_SA_EEENS0_18inequality_wrapperIZN2at6native12_GLOBAL__N_124unique_dim_cuda_templateIiEESt5tupleIJNSF_6TensorESK_SK_EERKSK_lbbbEUlllE0_EEPmJS9_EEE10hipError_tPvRmT3_T4_T5_T6_T7_T9_mT8_P12ihipStream_tbDpT10_ENKUlT_T0_E_clISt17integral_constantIbLb1EES1A_EEDaS15_S16_EUlS15_E_NS1_11comp_targetILNS1_3genE5ELNS1_11target_archE942ELNS1_3gpuE9ELNS1_3repE0EEENS1_30default_config_static_selectorELNS0_4arch9wavefront6targetE0EEEvT1_.kd
    .uniform_work_group_size: 1
    .uses_dynamic_stack: false
    .vgpr_count:     0
    .vgpr_spill_count: 0
    .wavefront_size: 32
    .workgroup_processor_mode: 1
  - .args:
      - .offset:         0
        .size:           136
        .value_kind:     by_value
    .group_segment_fixed_size: 0
    .kernarg_segment_align: 8
    .kernarg_segment_size: 136
    .language:       OpenCL C
    .language_version:
      - 2
      - 0
    .max_flat_workgroup_size: 128
    .name:           _ZN7rocprim17ROCPRIM_400000_NS6detail17trampoline_kernelINS0_14default_configENS1_25partition_config_selectorILNS1_17partition_subalgoE9EllbEEZZNS1_14partition_implILS5_9ELb0ES3_jPlS8_PNS0_10empty_typeENS0_5tupleIJS8_S9_EEENSB_IJS8_SA_EEENS0_18inequality_wrapperIZN2at6native12_GLOBAL__N_124unique_dim_cuda_templateIiEESt5tupleIJNSF_6TensorESK_SK_EERKSK_lbbbEUlllE0_EEPmJS9_EEE10hipError_tPvRmT3_T4_T5_T6_T7_T9_mT8_P12ihipStream_tbDpT10_ENKUlT_T0_E_clISt17integral_constantIbLb1EES1A_EEDaS15_S16_EUlS15_E_NS1_11comp_targetILNS1_3genE4ELNS1_11target_archE910ELNS1_3gpuE8ELNS1_3repE0EEENS1_30default_config_static_selectorELNS0_4arch9wavefront6targetE0EEEvT1_
    .private_segment_fixed_size: 0
    .sgpr_count:     0
    .sgpr_spill_count: 0
    .symbol:         _ZN7rocprim17ROCPRIM_400000_NS6detail17trampoline_kernelINS0_14default_configENS1_25partition_config_selectorILNS1_17partition_subalgoE9EllbEEZZNS1_14partition_implILS5_9ELb0ES3_jPlS8_PNS0_10empty_typeENS0_5tupleIJS8_S9_EEENSB_IJS8_SA_EEENS0_18inequality_wrapperIZN2at6native12_GLOBAL__N_124unique_dim_cuda_templateIiEESt5tupleIJNSF_6TensorESK_SK_EERKSK_lbbbEUlllE0_EEPmJS9_EEE10hipError_tPvRmT3_T4_T5_T6_T7_T9_mT8_P12ihipStream_tbDpT10_ENKUlT_T0_E_clISt17integral_constantIbLb1EES1A_EEDaS15_S16_EUlS15_E_NS1_11comp_targetILNS1_3genE4ELNS1_11target_archE910ELNS1_3gpuE8ELNS1_3repE0EEENS1_30default_config_static_selectorELNS0_4arch9wavefront6targetE0EEEvT1_.kd
    .uniform_work_group_size: 1
    .uses_dynamic_stack: false
    .vgpr_count:     0
    .vgpr_spill_count: 0
    .wavefront_size: 32
    .workgroup_processor_mode: 1
  - .args:
      - .offset:         0
        .size:           136
        .value_kind:     by_value
    .group_segment_fixed_size: 0
    .kernarg_segment_align: 8
    .kernarg_segment_size: 136
    .language:       OpenCL C
    .language_version:
      - 2
      - 0
    .max_flat_workgroup_size: 128
    .name:           _ZN7rocprim17ROCPRIM_400000_NS6detail17trampoline_kernelINS0_14default_configENS1_25partition_config_selectorILNS1_17partition_subalgoE9EllbEEZZNS1_14partition_implILS5_9ELb0ES3_jPlS8_PNS0_10empty_typeENS0_5tupleIJS8_S9_EEENSB_IJS8_SA_EEENS0_18inequality_wrapperIZN2at6native12_GLOBAL__N_124unique_dim_cuda_templateIiEESt5tupleIJNSF_6TensorESK_SK_EERKSK_lbbbEUlllE0_EEPmJS9_EEE10hipError_tPvRmT3_T4_T5_T6_T7_T9_mT8_P12ihipStream_tbDpT10_ENKUlT_T0_E_clISt17integral_constantIbLb1EES1A_EEDaS15_S16_EUlS15_E_NS1_11comp_targetILNS1_3genE3ELNS1_11target_archE908ELNS1_3gpuE7ELNS1_3repE0EEENS1_30default_config_static_selectorELNS0_4arch9wavefront6targetE0EEEvT1_
    .private_segment_fixed_size: 0
    .sgpr_count:     0
    .sgpr_spill_count: 0
    .symbol:         _ZN7rocprim17ROCPRIM_400000_NS6detail17trampoline_kernelINS0_14default_configENS1_25partition_config_selectorILNS1_17partition_subalgoE9EllbEEZZNS1_14partition_implILS5_9ELb0ES3_jPlS8_PNS0_10empty_typeENS0_5tupleIJS8_S9_EEENSB_IJS8_SA_EEENS0_18inequality_wrapperIZN2at6native12_GLOBAL__N_124unique_dim_cuda_templateIiEESt5tupleIJNSF_6TensorESK_SK_EERKSK_lbbbEUlllE0_EEPmJS9_EEE10hipError_tPvRmT3_T4_T5_T6_T7_T9_mT8_P12ihipStream_tbDpT10_ENKUlT_T0_E_clISt17integral_constantIbLb1EES1A_EEDaS15_S16_EUlS15_E_NS1_11comp_targetILNS1_3genE3ELNS1_11target_archE908ELNS1_3gpuE7ELNS1_3repE0EEENS1_30default_config_static_selectorELNS0_4arch9wavefront6targetE0EEEvT1_.kd
    .uniform_work_group_size: 1
    .uses_dynamic_stack: false
    .vgpr_count:     0
    .vgpr_spill_count: 0
    .wavefront_size: 32
    .workgroup_processor_mode: 1
  - .args:
      - .offset:         0
        .size:           136
        .value_kind:     by_value
    .group_segment_fixed_size: 0
    .kernarg_segment_align: 8
    .kernarg_segment_size: 136
    .language:       OpenCL C
    .language_version:
      - 2
      - 0
    .max_flat_workgroup_size: 192
    .name:           _ZN7rocprim17ROCPRIM_400000_NS6detail17trampoline_kernelINS0_14default_configENS1_25partition_config_selectorILNS1_17partition_subalgoE9EllbEEZZNS1_14partition_implILS5_9ELb0ES3_jPlS8_PNS0_10empty_typeENS0_5tupleIJS8_S9_EEENSB_IJS8_SA_EEENS0_18inequality_wrapperIZN2at6native12_GLOBAL__N_124unique_dim_cuda_templateIiEESt5tupleIJNSF_6TensorESK_SK_EERKSK_lbbbEUlllE0_EEPmJS9_EEE10hipError_tPvRmT3_T4_T5_T6_T7_T9_mT8_P12ihipStream_tbDpT10_ENKUlT_T0_E_clISt17integral_constantIbLb1EES1A_EEDaS15_S16_EUlS15_E_NS1_11comp_targetILNS1_3genE2ELNS1_11target_archE906ELNS1_3gpuE6ELNS1_3repE0EEENS1_30default_config_static_selectorELNS0_4arch9wavefront6targetE0EEEvT1_
    .private_segment_fixed_size: 0
    .sgpr_count:     0
    .sgpr_spill_count: 0
    .symbol:         _ZN7rocprim17ROCPRIM_400000_NS6detail17trampoline_kernelINS0_14default_configENS1_25partition_config_selectorILNS1_17partition_subalgoE9EllbEEZZNS1_14partition_implILS5_9ELb0ES3_jPlS8_PNS0_10empty_typeENS0_5tupleIJS8_S9_EEENSB_IJS8_SA_EEENS0_18inequality_wrapperIZN2at6native12_GLOBAL__N_124unique_dim_cuda_templateIiEESt5tupleIJNSF_6TensorESK_SK_EERKSK_lbbbEUlllE0_EEPmJS9_EEE10hipError_tPvRmT3_T4_T5_T6_T7_T9_mT8_P12ihipStream_tbDpT10_ENKUlT_T0_E_clISt17integral_constantIbLb1EES1A_EEDaS15_S16_EUlS15_E_NS1_11comp_targetILNS1_3genE2ELNS1_11target_archE906ELNS1_3gpuE6ELNS1_3repE0EEENS1_30default_config_static_selectorELNS0_4arch9wavefront6targetE0EEEvT1_.kd
    .uniform_work_group_size: 1
    .uses_dynamic_stack: false
    .vgpr_count:     0
    .vgpr_spill_count: 0
    .wavefront_size: 32
    .workgroup_processor_mode: 1
  - .args:
      - .offset:         0
        .size:           136
        .value_kind:     by_value
    .group_segment_fixed_size: 0
    .kernarg_segment_align: 8
    .kernarg_segment_size: 136
    .language:       OpenCL C
    .language_version:
      - 2
      - 0
    .max_flat_workgroup_size: 384
    .name:           _ZN7rocprim17ROCPRIM_400000_NS6detail17trampoline_kernelINS0_14default_configENS1_25partition_config_selectorILNS1_17partition_subalgoE9EllbEEZZNS1_14partition_implILS5_9ELb0ES3_jPlS8_PNS0_10empty_typeENS0_5tupleIJS8_S9_EEENSB_IJS8_SA_EEENS0_18inequality_wrapperIZN2at6native12_GLOBAL__N_124unique_dim_cuda_templateIiEESt5tupleIJNSF_6TensorESK_SK_EERKSK_lbbbEUlllE0_EEPmJS9_EEE10hipError_tPvRmT3_T4_T5_T6_T7_T9_mT8_P12ihipStream_tbDpT10_ENKUlT_T0_E_clISt17integral_constantIbLb1EES1A_EEDaS15_S16_EUlS15_E_NS1_11comp_targetILNS1_3genE10ELNS1_11target_archE1200ELNS1_3gpuE4ELNS1_3repE0EEENS1_30default_config_static_selectorELNS0_4arch9wavefront6targetE0EEEvT1_
    .private_segment_fixed_size: 0
    .sgpr_count:     0
    .sgpr_spill_count: 0
    .symbol:         _ZN7rocprim17ROCPRIM_400000_NS6detail17trampoline_kernelINS0_14default_configENS1_25partition_config_selectorILNS1_17partition_subalgoE9EllbEEZZNS1_14partition_implILS5_9ELb0ES3_jPlS8_PNS0_10empty_typeENS0_5tupleIJS8_S9_EEENSB_IJS8_SA_EEENS0_18inequality_wrapperIZN2at6native12_GLOBAL__N_124unique_dim_cuda_templateIiEESt5tupleIJNSF_6TensorESK_SK_EERKSK_lbbbEUlllE0_EEPmJS9_EEE10hipError_tPvRmT3_T4_T5_T6_T7_T9_mT8_P12ihipStream_tbDpT10_ENKUlT_T0_E_clISt17integral_constantIbLb1EES1A_EEDaS15_S16_EUlS15_E_NS1_11comp_targetILNS1_3genE10ELNS1_11target_archE1200ELNS1_3gpuE4ELNS1_3repE0EEENS1_30default_config_static_selectorELNS0_4arch9wavefront6targetE0EEEvT1_.kd
    .uniform_work_group_size: 1
    .uses_dynamic_stack: false
    .vgpr_count:     0
    .vgpr_spill_count: 0
    .wavefront_size: 32
    .workgroup_processor_mode: 1
  - .args:
      - .offset:         0
        .size:           136
        .value_kind:     by_value
    .group_segment_fixed_size: 33804
    .kernarg_segment_align: 8
    .kernarg_segment_size: 136
    .language:       OpenCL C
    .language_version:
      - 2
      - 0
    .max_flat_workgroup_size: 512
    .name:           _ZN7rocprim17ROCPRIM_400000_NS6detail17trampoline_kernelINS0_14default_configENS1_25partition_config_selectorILNS1_17partition_subalgoE9EllbEEZZNS1_14partition_implILS5_9ELb0ES3_jPlS8_PNS0_10empty_typeENS0_5tupleIJS8_S9_EEENSB_IJS8_SA_EEENS0_18inequality_wrapperIZN2at6native12_GLOBAL__N_124unique_dim_cuda_templateIiEESt5tupleIJNSF_6TensorESK_SK_EERKSK_lbbbEUlllE0_EEPmJS9_EEE10hipError_tPvRmT3_T4_T5_T6_T7_T9_mT8_P12ihipStream_tbDpT10_ENKUlT_T0_E_clISt17integral_constantIbLb1EES1A_EEDaS15_S16_EUlS15_E_NS1_11comp_targetILNS1_3genE9ELNS1_11target_archE1100ELNS1_3gpuE3ELNS1_3repE0EEENS1_30default_config_static_selectorELNS0_4arch9wavefront6targetE0EEEvT1_
    .private_segment_fixed_size: 0
    .sgpr_count:     42
    .sgpr_spill_count: 0
    .symbol:         _ZN7rocprim17ROCPRIM_400000_NS6detail17trampoline_kernelINS0_14default_configENS1_25partition_config_selectorILNS1_17partition_subalgoE9EllbEEZZNS1_14partition_implILS5_9ELb0ES3_jPlS8_PNS0_10empty_typeENS0_5tupleIJS8_S9_EEENSB_IJS8_SA_EEENS0_18inequality_wrapperIZN2at6native12_GLOBAL__N_124unique_dim_cuda_templateIiEESt5tupleIJNSF_6TensorESK_SK_EERKSK_lbbbEUlllE0_EEPmJS9_EEE10hipError_tPvRmT3_T4_T5_T6_T7_T9_mT8_P12ihipStream_tbDpT10_ENKUlT_T0_E_clISt17integral_constantIbLb1EES1A_EEDaS15_S16_EUlS15_E_NS1_11comp_targetILNS1_3genE9ELNS1_11target_archE1100ELNS1_3gpuE3ELNS1_3repE0EEENS1_30default_config_static_selectorELNS0_4arch9wavefront6targetE0EEEvT1_.kd
    .uniform_work_group_size: 1
    .uses_dynamic_stack: false
    .vgpr_count:     68
    .vgpr_spill_count: 0
    .wavefront_size: 32
    .workgroup_processor_mode: 1
  - .args:
      - .offset:         0
        .size:           136
        .value_kind:     by_value
    .group_segment_fixed_size: 0
    .kernarg_segment_align: 8
    .kernarg_segment_size: 136
    .language:       OpenCL C
    .language_version:
      - 2
      - 0
    .max_flat_workgroup_size: 512
    .name:           _ZN7rocprim17ROCPRIM_400000_NS6detail17trampoline_kernelINS0_14default_configENS1_25partition_config_selectorILNS1_17partition_subalgoE9EllbEEZZNS1_14partition_implILS5_9ELb0ES3_jPlS8_PNS0_10empty_typeENS0_5tupleIJS8_S9_EEENSB_IJS8_SA_EEENS0_18inequality_wrapperIZN2at6native12_GLOBAL__N_124unique_dim_cuda_templateIiEESt5tupleIJNSF_6TensorESK_SK_EERKSK_lbbbEUlllE0_EEPmJS9_EEE10hipError_tPvRmT3_T4_T5_T6_T7_T9_mT8_P12ihipStream_tbDpT10_ENKUlT_T0_E_clISt17integral_constantIbLb1EES1A_EEDaS15_S16_EUlS15_E_NS1_11comp_targetILNS1_3genE8ELNS1_11target_archE1030ELNS1_3gpuE2ELNS1_3repE0EEENS1_30default_config_static_selectorELNS0_4arch9wavefront6targetE0EEEvT1_
    .private_segment_fixed_size: 0
    .sgpr_count:     0
    .sgpr_spill_count: 0
    .symbol:         _ZN7rocprim17ROCPRIM_400000_NS6detail17trampoline_kernelINS0_14default_configENS1_25partition_config_selectorILNS1_17partition_subalgoE9EllbEEZZNS1_14partition_implILS5_9ELb0ES3_jPlS8_PNS0_10empty_typeENS0_5tupleIJS8_S9_EEENSB_IJS8_SA_EEENS0_18inequality_wrapperIZN2at6native12_GLOBAL__N_124unique_dim_cuda_templateIiEESt5tupleIJNSF_6TensorESK_SK_EERKSK_lbbbEUlllE0_EEPmJS9_EEE10hipError_tPvRmT3_T4_T5_T6_T7_T9_mT8_P12ihipStream_tbDpT10_ENKUlT_T0_E_clISt17integral_constantIbLb1EES1A_EEDaS15_S16_EUlS15_E_NS1_11comp_targetILNS1_3genE8ELNS1_11target_archE1030ELNS1_3gpuE2ELNS1_3repE0EEENS1_30default_config_static_selectorELNS0_4arch9wavefront6targetE0EEEvT1_.kd
    .uniform_work_group_size: 1
    .uses_dynamic_stack: false
    .vgpr_count:     0
    .vgpr_spill_count: 0
    .wavefront_size: 32
    .workgroup_processor_mode: 1
  - .args:
      - .offset:         0
        .size:           120
        .value_kind:     by_value
    .group_segment_fixed_size: 0
    .kernarg_segment_align: 8
    .kernarg_segment_size: 120
    .language:       OpenCL C
    .language_version:
      - 2
      - 0
    .max_flat_workgroup_size: 128
    .name:           _ZN7rocprim17ROCPRIM_400000_NS6detail17trampoline_kernelINS0_14default_configENS1_25partition_config_selectorILNS1_17partition_subalgoE9EllbEEZZNS1_14partition_implILS5_9ELb0ES3_jPlS8_PNS0_10empty_typeENS0_5tupleIJS8_S9_EEENSB_IJS8_SA_EEENS0_18inequality_wrapperIZN2at6native12_GLOBAL__N_124unique_dim_cuda_templateIiEESt5tupleIJNSF_6TensorESK_SK_EERKSK_lbbbEUlllE0_EEPmJS9_EEE10hipError_tPvRmT3_T4_T5_T6_T7_T9_mT8_P12ihipStream_tbDpT10_ENKUlT_T0_E_clISt17integral_constantIbLb1EES19_IbLb0EEEEDaS15_S16_EUlS15_E_NS1_11comp_targetILNS1_3genE0ELNS1_11target_archE4294967295ELNS1_3gpuE0ELNS1_3repE0EEENS1_30default_config_static_selectorELNS0_4arch9wavefront6targetE0EEEvT1_
    .private_segment_fixed_size: 0
    .sgpr_count:     0
    .sgpr_spill_count: 0
    .symbol:         _ZN7rocprim17ROCPRIM_400000_NS6detail17trampoline_kernelINS0_14default_configENS1_25partition_config_selectorILNS1_17partition_subalgoE9EllbEEZZNS1_14partition_implILS5_9ELb0ES3_jPlS8_PNS0_10empty_typeENS0_5tupleIJS8_S9_EEENSB_IJS8_SA_EEENS0_18inequality_wrapperIZN2at6native12_GLOBAL__N_124unique_dim_cuda_templateIiEESt5tupleIJNSF_6TensorESK_SK_EERKSK_lbbbEUlllE0_EEPmJS9_EEE10hipError_tPvRmT3_T4_T5_T6_T7_T9_mT8_P12ihipStream_tbDpT10_ENKUlT_T0_E_clISt17integral_constantIbLb1EES19_IbLb0EEEEDaS15_S16_EUlS15_E_NS1_11comp_targetILNS1_3genE0ELNS1_11target_archE4294967295ELNS1_3gpuE0ELNS1_3repE0EEENS1_30default_config_static_selectorELNS0_4arch9wavefront6targetE0EEEvT1_.kd
    .uniform_work_group_size: 1
    .uses_dynamic_stack: false
    .vgpr_count:     0
    .vgpr_spill_count: 0
    .wavefront_size: 32
    .workgroup_processor_mode: 1
  - .args:
      - .offset:         0
        .size:           120
        .value_kind:     by_value
    .group_segment_fixed_size: 0
    .kernarg_segment_align: 8
    .kernarg_segment_size: 120
    .language:       OpenCL C
    .language_version:
      - 2
      - 0
    .max_flat_workgroup_size: 512
    .name:           _ZN7rocprim17ROCPRIM_400000_NS6detail17trampoline_kernelINS0_14default_configENS1_25partition_config_selectorILNS1_17partition_subalgoE9EllbEEZZNS1_14partition_implILS5_9ELb0ES3_jPlS8_PNS0_10empty_typeENS0_5tupleIJS8_S9_EEENSB_IJS8_SA_EEENS0_18inequality_wrapperIZN2at6native12_GLOBAL__N_124unique_dim_cuda_templateIiEESt5tupleIJNSF_6TensorESK_SK_EERKSK_lbbbEUlllE0_EEPmJS9_EEE10hipError_tPvRmT3_T4_T5_T6_T7_T9_mT8_P12ihipStream_tbDpT10_ENKUlT_T0_E_clISt17integral_constantIbLb1EES19_IbLb0EEEEDaS15_S16_EUlS15_E_NS1_11comp_targetILNS1_3genE5ELNS1_11target_archE942ELNS1_3gpuE9ELNS1_3repE0EEENS1_30default_config_static_selectorELNS0_4arch9wavefront6targetE0EEEvT1_
    .private_segment_fixed_size: 0
    .sgpr_count:     0
    .sgpr_spill_count: 0
    .symbol:         _ZN7rocprim17ROCPRIM_400000_NS6detail17trampoline_kernelINS0_14default_configENS1_25partition_config_selectorILNS1_17partition_subalgoE9EllbEEZZNS1_14partition_implILS5_9ELb0ES3_jPlS8_PNS0_10empty_typeENS0_5tupleIJS8_S9_EEENSB_IJS8_SA_EEENS0_18inequality_wrapperIZN2at6native12_GLOBAL__N_124unique_dim_cuda_templateIiEESt5tupleIJNSF_6TensorESK_SK_EERKSK_lbbbEUlllE0_EEPmJS9_EEE10hipError_tPvRmT3_T4_T5_T6_T7_T9_mT8_P12ihipStream_tbDpT10_ENKUlT_T0_E_clISt17integral_constantIbLb1EES19_IbLb0EEEEDaS15_S16_EUlS15_E_NS1_11comp_targetILNS1_3genE5ELNS1_11target_archE942ELNS1_3gpuE9ELNS1_3repE0EEENS1_30default_config_static_selectorELNS0_4arch9wavefront6targetE0EEEvT1_.kd
    .uniform_work_group_size: 1
    .uses_dynamic_stack: false
    .vgpr_count:     0
    .vgpr_spill_count: 0
    .wavefront_size: 32
    .workgroup_processor_mode: 1
  - .args:
      - .offset:         0
        .size:           120
        .value_kind:     by_value
    .group_segment_fixed_size: 0
    .kernarg_segment_align: 8
    .kernarg_segment_size: 120
    .language:       OpenCL C
    .language_version:
      - 2
      - 0
    .max_flat_workgroup_size: 128
    .name:           _ZN7rocprim17ROCPRIM_400000_NS6detail17trampoline_kernelINS0_14default_configENS1_25partition_config_selectorILNS1_17partition_subalgoE9EllbEEZZNS1_14partition_implILS5_9ELb0ES3_jPlS8_PNS0_10empty_typeENS0_5tupleIJS8_S9_EEENSB_IJS8_SA_EEENS0_18inequality_wrapperIZN2at6native12_GLOBAL__N_124unique_dim_cuda_templateIiEESt5tupleIJNSF_6TensorESK_SK_EERKSK_lbbbEUlllE0_EEPmJS9_EEE10hipError_tPvRmT3_T4_T5_T6_T7_T9_mT8_P12ihipStream_tbDpT10_ENKUlT_T0_E_clISt17integral_constantIbLb1EES19_IbLb0EEEEDaS15_S16_EUlS15_E_NS1_11comp_targetILNS1_3genE4ELNS1_11target_archE910ELNS1_3gpuE8ELNS1_3repE0EEENS1_30default_config_static_selectorELNS0_4arch9wavefront6targetE0EEEvT1_
    .private_segment_fixed_size: 0
    .sgpr_count:     0
    .sgpr_spill_count: 0
    .symbol:         _ZN7rocprim17ROCPRIM_400000_NS6detail17trampoline_kernelINS0_14default_configENS1_25partition_config_selectorILNS1_17partition_subalgoE9EllbEEZZNS1_14partition_implILS5_9ELb0ES3_jPlS8_PNS0_10empty_typeENS0_5tupleIJS8_S9_EEENSB_IJS8_SA_EEENS0_18inequality_wrapperIZN2at6native12_GLOBAL__N_124unique_dim_cuda_templateIiEESt5tupleIJNSF_6TensorESK_SK_EERKSK_lbbbEUlllE0_EEPmJS9_EEE10hipError_tPvRmT3_T4_T5_T6_T7_T9_mT8_P12ihipStream_tbDpT10_ENKUlT_T0_E_clISt17integral_constantIbLb1EES19_IbLb0EEEEDaS15_S16_EUlS15_E_NS1_11comp_targetILNS1_3genE4ELNS1_11target_archE910ELNS1_3gpuE8ELNS1_3repE0EEENS1_30default_config_static_selectorELNS0_4arch9wavefront6targetE0EEEvT1_.kd
    .uniform_work_group_size: 1
    .uses_dynamic_stack: false
    .vgpr_count:     0
    .vgpr_spill_count: 0
    .wavefront_size: 32
    .workgroup_processor_mode: 1
  - .args:
      - .offset:         0
        .size:           120
        .value_kind:     by_value
    .group_segment_fixed_size: 0
    .kernarg_segment_align: 8
    .kernarg_segment_size: 120
    .language:       OpenCL C
    .language_version:
      - 2
      - 0
    .max_flat_workgroup_size: 128
    .name:           _ZN7rocprim17ROCPRIM_400000_NS6detail17trampoline_kernelINS0_14default_configENS1_25partition_config_selectorILNS1_17partition_subalgoE9EllbEEZZNS1_14partition_implILS5_9ELb0ES3_jPlS8_PNS0_10empty_typeENS0_5tupleIJS8_S9_EEENSB_IJS8_SA_EEENS0_18inequality_wrapperIZN2at6native12_GLOBAL__N_124unique_dim_cuda_templateIiEESt5tupleIJNSF_6TensorESK_SK_EERKSK_lbbbEUlllE0_EEPmJS9_EEE10hipError_tPvRmT3_T4_T5_T6_T7_T9_mT8_P12ihipStream_tbDpT10_ENKUlT_T0_E_clISt17integral_constantIbLb1EES19_IbLb0EEEEDaS15_S16_EUlS15_E_NS1_11comp_targetILNS1_3genE3ELNS1_11target_archE908ELNS1_3gpuE7ELNS1_3repE0EEENS1_30default_config_static_selectorELNS0_4arch9wavefront6targetE0EEEvT1_
    .private_segment_fixed_size: 0
    .sgpr_count:     0
    .sgpr_spill_count: 0
    .symbol:         _ZN7rocprim17ROCPRIM_400000_NS6detail17trampoline_kernelINS0_14default_configENS1_25partition_config_selectorILNS1_17partition_subalgoE9EllbEEZZNS1_14partition_implILS5_9ELb0ES3_jPlS8_PNS0_10empty_typeENS0_5tupleIJS8_S9_EEENSB_IJS8_SA_EEENS0_18inequality_wrapperIZN2at6native12_GLOBAL__N_124unique_dim_cuda_templateIiEESt5tupleIJNSF_6TensorESK_SK_EERKSK_lbbbEUlllE0_EEPmJS9_EEE10hipError_tPvRmT3_T4_T5_T6_T7_T9_mT8_P12ihipStream_tbDpT10_ENKUlT_T0_E_clISt17integral_constantIbLb1EES19_IbLb0EEEEDaS15_S16_EUlS15_E_NS1_11comp_targetILNS1_3genE3ELNS1_11target_archE908ELNS1_3gpuE7ELNS1_3repE0EEENS1_30default_config_static_selectorELNS0_4arch9wavefront6targetE0EEEvT1_.kd
    .uniform_work_group_size: 1
    .uses_dynamic_stack: false
    .vgpr_count:     0
    .vgpr_spill_count: 0
    .wavefront_size: 32
    .workgroup_processor_mode: 1
  - .args:
      - .offset:         0
        .size:           120
        .value_kind:     by_value
    .group_segment_fixed_size: 0
    .kernarg_segment_align: 8
    .kernarg_segment_size: 120
    .language:       OpenCL C
    .language_version:
      - 2
      - 0
    .max_flat_workgroup_size: 192
    .name:           _ZN7rocprim17ROCPRIM_400000_NS6detail17trampoline_kernelINS0_14default_configENS1_25partition_config_selectorILNS1_17partition_subalgoE9EllbEEZZNS1_14partition_implILS5_9ELb0ES3_jPlS8_PNS0_10empty_typeENS0_5tupleIJS8_S9_EEENSB_IJS8_SA_EEENS0_18inequality_wrapperIZN2at6native12_GLOBAL__N_124unique_dim_cuda_templateIiEESt5tupleIJNSF_6TensorESK_SK_EERKSK_lbbbEUlllE0_EEPmJS9_EEE10hipError_tPvRmT3_T4_T5_T6_T7_T9_mT8_P12ihipStream_tbDpT10_ENKUlT_T0_E_clISt17integral_constantIbLb1EES19_IbLb0EEEEDaS15_S16_EUlS15_E_NS1_11comp_targetILNS1_3genE2ELNS1_11target_archE906ELNS1_3gpuE6ELNS1_3repE0EEENS1_30default_config_static_selectorELNS0_4arch9wavefront6targetE0EEEvT1_
    .private_segment_fixed_size: 0
    .sgpr_count:     0
    .sgpr_spill_count: 0
    .symbol:         _ZN7rocprim17ROCPRIM_400000_NS6detail17trampoline_kernelINS0_14default_configENS1_25partition_config_selectorILNS1_17partition_subalgoE9EllbEEZZNS1_14partition_implILS5_9ELb0ES3_jPlS8_PNS0_10empty_typeENS0_5tupleIJS8_S9_EEENSB_IJS8_SA_EEENS0_18inequality_wrapperIZN2at6native12_GLOBAL__N_124unique_dim_cuda_templateIiEESt5tupleIJNSF_6TensorESK_SK_EERKSK_lbbbEUlllE0_EEPmJS9_EEE10hipError_tPvRmT3_T4_T5_T6_T7_T9_mT8_P12ihipStream_tbDpT10_ENKUlT_T0_E_clISt17integral_constantIbLb1EES19_IbLb0EEEEDaS15_S16_EUlS15_E_NS1_11comp_targetILNS1_3genE2ELNS1_11target_archE906ELNS1_3gpuE6ELNS1_3repE0EEENS1_30default_config_static_selectorELNS0_4arch9wavefront6targetE0EEEvT1_.kd
    .uniform_work_group_size: 1
    .uses_dynamic_stack: false
    .vgpr_count:     0
    .vgpr_spill_count: 0
    .wavefront_size: 32
    .workgroup_processor_mode: 1
  - .args:
      - .offset:         0
        .size:           120
        .value_kind:     by_value
    .group_segment_fixed_size: 0
    .kernarg_segment_align: 8
    .kernarg_segment_size: 120
    .language:       OpenCL C
    .language_version:
      - 2
      - 0
    .max_flat_workgroup_size: 384
    .name:           _ZN7rocprim17ROCPRIM_400000_NS6detail17trampoline_kernelINS0_14default_configENS1_25partition_config_selectorILNS1_17partition_subalgoE9EllbEEZZNS1_14partition_implILS5_9ELb0ES3_jPlS8_PNS0_10empty_typeENS0_5tupleIJS8_S9_EEENSB_IJS8_SA_EEENS0_18inequality_wrapperIZN2at6native12_GLOBAL__N_124unique_dim_cuda_templateIiEESt5tupleIJNSF_6TensorESK_SK_EERKSK_lbbbEUlllE0_EEPmJS9_EEE10hipError_tPvRmT3_T4_T5_T6_T7_T9_mT8_P12ihipStream_tbDpT10_ENKUlT_T0_E_clISt17integral_constantIbLb1EES19_IbLb0EEEEDaS15_S16_EUlS15_E_NS1_11comp_targetILNS1_3genE10ELNS1_11target_archE1200ELNS1_3gpuE4ELNS1_3repE0EEENS1_30default_config_static_selectorELNS0_4arch9wavefront6targetE0EEEvT1_
    .private_segment_fixed_size: 0
    .sgpr_count:     0
    .sgpr_spill_count: 0
    .symbol:         _ZN7rocprim17ROCPRIM_400000_NS6detail17trampoline_kernelINS0_14default_configENS1_25partition_config_selectorILNS1_17partition_subalgoE9EllbEEZZNS1_14partition_implILS5_9ELb0ES3_jPlS8_PNS0_10empty_typeENS0_5tupleIJS8_S9_EEENSB_IJS8_SA_EEENS0_18inequality_wrapperIZN2at6native12_GLOBAL__N_124unique_dim_cuda_templateIiEESt5tupleIJNSF_6TensorESK_SK_EERKSK_lbbbEUlllE0_EEPmJS9_EEE10hipError_tPvRmT3_T4_T5_T6_T7_T9_mT8_P12ihipStream_tbDpT10_ENKUlT_T0_E_clISt17integral_constantIbLb1EES19_IbLb0EEEEDaS15_S16_EUlS15_E_NS1_11comp_targetILNS1_3genE10ELNS1_11target_archE1200ELNS1_3gpuE4ELNS1_3repE0EEENS1_30default_config_static_selectorELNS0_4arch9wavefront6targetE0EEEvT1_.kd
    .uniform_work_group_size: 1
    .uses_dynamic_stack: false
    .vgpr_count:     0
    .vgpr_spill_count: 0
    .wavefront_size: 32
    .workgroup_processor_mode: 1
  - .args:
      - .offset:         0
        .size:           120
        .value_kind:     by_value
    .group_segment_fixed_size: 33804
    .kernarg_segment_align: 8
    .kernarg_segment_size: 120
    .language:       OpenCL C
    .language_version:
      - 2
      - 0
    .max_flat_workgroup_size: 512
    .name:           _ZN7rocprim17ROCPRIM_400000_NS6detail17trampoline_kernelINS0_14default_configENS1_25partition_config_selectorILNS1_17partition_subalgoE9EllbEEZZNS1_14partition_implILS5_9ELb0ES3_jPlS8_PNS0_10empty_typeENS0_5tupleIJS8_S9_EEENSB_IJS8_SA_EEENS0_18inequality_wrapperIZN2at6native12_GLOBAL__N_124unique_dim_cuda_templateIiEESt5tupleIJNSF_6TensorESK_SK_EERKSK_lbbbEUlllE0_EEPmJS9_EEE10hipError_tPvRmT3_T4_T5_T6_T7_T9_mT8_P12ihipStream_tbDpT10_ENKUlT_T0_E_clISt17integral_constantIbLb1EES19_IbLb0EEEEDaS15_S16_EUlS15_E_NS1_11comp_targetILNS1_3genE9ELNS1_11target_archE1100ELNS1_3gpuE3ELNS1_3repE0EEENS1_30default_config_static_selectorELNS0_4arch9wavefront6targetE0EEEvT1_
    .private_segment_fixed_size: 0
    .sgpr_count:     38
    .sgpr_spill_count: 0
    .symbol:         _ZN7rocprim17ROCPRIM_400000_NS6detail17trampoline_kernelINS0_14default_configENS1_25partition_config_selectorILNS1_17partition_subalgoE9EllbEEZZNS1_14partition_implILS5_9ELb0ES3_jPlS8_PNS0_10empty_typeENS0_5tupleIJS8_S9_EEENSB_IJS8_SA_EEENS0_18inequality_wrapperIZN2at6native12_GLOBAL__N_124unique_dim_cuda_templateIiEESt5tupleIJNSF_6TensorESK_SK_EERKSK_lbbbEUlllE0_EEPmJS9_EEE10hipError_tPvRmT3_T4_T5_T6_T7_T9_mT8_P12ihipStream_tbDpT10_ENKUlT_T0_E_clISt17integral_constantIbLb1EES19_IbLb0EEEEDaS15_S16_EUlS15_E_NS1_11comp_targetILNS1_3genE9ELNS1_11target_archE1100ELNS1_3gpuE3ELNS1_3repE0EEENS1_30default_config_static_selectorELNS0_4arch9wavefront6targetE0EEEvT1_.kd
    .uniform_work_group_size: 1
    .uses_dynamic_stack: false
    .vgpr_count:     68
    .vgpr_spill_count: 0
    .wavefront_size: 32
    .workgroup_processor_mode: 1
  - .args:
      - .offset:         0
        .size:           120
        .value_kind:     by_value
    .group_segment_fixed_size: 0
    .kernarg_segment_align: 8
    .kernarg_segment_size: 120
    .language:       OpenCL C
    .language_version:
      - 2
      - 0
    .max_flat_workgroup_size: 512
    .name:           _ZN7rocprim17ROCPRIM_400000_NS6detail17trampoline_kernelINS0_14default_configENS1_25partition_config_selectorILNS1_17partition_subalgoE9EllbEEZZNS1_14partition_implILS5_9ELb0ES3_jPlS8_PNS0_10empty_typeENS0_5tupleIJS8_S9_EEENSB_IJS8_SA_EEENS0_18inequality_wrapperIZN2at6native12_GLOBAL__N_124unique_dim_cuda_templateIiEESt5tupleIJNSF_6TensorESK_SK_EERKSK_lbbbEUlllE0_EEPmJS9_EEE10hipError_tPvRmT3_T4_T5_T6_T7_T9_mT8_P12ihipStream_tbDpT10_ENKUlT_T0_E_clISt17integral_constantIbLb1EES19_IbLb0EEEEDaS15_S16_EUlS15_E_NS1_11comp_targetILNS1_3genE8ELNS1_11target_archE1030ELNS1_3gpuE2ELNS1_3repE0EEENS1_30default_config_static_selectorELNS0_4arch9wavefront6targetE0EEEvT1_
    .private_segment_fixed_size: 0
    .sgpr_count:     0
    .sgpr_spill_count: 0
    .symbol:         _ZN7rocprim17ROCPRIM_400000_NS6detail17trampoline_kernelINS0_14default_configENS1_25partition_config_selectorILNS1_17partition_subalgoE9EllbEEZZNS1_14partition_implILS5_9ELb0ES3_jPlS8_PNS0_10empty_typeENS0_5tupleIJS8_S9_EEENSB_IJS8_SA_EEENS0_18inequality_wrapperIZN2at6native12_GLOBAL__N_124unique_dim_cuda_templateIiEESt5tupleIJNSF_6TensorESK_SK_EERKSK_lbbbEUlllE0_EEPmJS9_EEE10hipError_tPvRmT3_T4_T5_T6_T7_T9_mT8_P12ihipStream_tbDpT10_ENKUlT_T0_E_clISt17integral_constantIbLb1EES19_IbLb0EEEEDaS15_S16_EUlS15_E_NS1_11comp_targetILNS1_3genE8ELNS1_11target_archE1030ELNS1_3gpuE2ELNS1_3repE0EEENS1_30default_config_static_selectorELNS0_4arch9wavefront6targetE0EEEvT1_.kd
    .uniform_work_group_size: 1
    .uses_dynamic_stack: false
    .vgpr_count:     0
    .vgpr_spill_count: 0
    .wavefront_size: 32
    .workgroup_processor_mode: 1
  - .args:
      - .offset:         0
        .size:           136
        .value_kind:     by_value
    .group_segment_fixed_size: 0
    .kernarg_segment_align: 8
    .kernarg_segment_size: 136
    .language:       OpenCL C
    .language_version:
      - 2
      - 0
    .max_flat_workgroup_size: 128
    .name:           _ZN7rocprim17ROCPRIM_400000_NS6detail17trampoline_kernelINS0_14default_configENS1_25partition_config_selectorILNS1_17partition_subalgoE9EllbEEZZNS1_14partition_implILS5_9ELb0ES3_jPlS8_PNS0_10empty_typeENS0_5tupleIJS8_S9_EEENSB_IJS8_SA_EEENS0_18inequality_wrapperIZN2at6native12_GLOBAL__N_124unique_dim_cuda_templateIiEESt5tupleIJNSF_6TensorESK_SK_EERKSK_lbbbEUlllE0_EEPmJS9_EEE10hipError_tPvRmT3_T4_T5_T6_T7_T9_mT8_P12ihipStream_tbDpT10_ENKUlT_T0_E_clISt17integral_constantIbLb0EES19_IbLb1EEEEDaS15_S16_EUlS15_E_NS1_11comp_targetILNS1_3genE0ELNS1_11target_archE4294967295ELNS1_3gpuE0ELNS1_3repE0EEENS1_30default_config_static_selectorELNS0_4arch9wavefront6targetE0EEEvT1_
    .private_segment_fixed_size: 0
    .sgpr_count:     0
    .sgpr_spill_count: 0
    .symbol:         _ZN7rocprim17ROCPRIM_400000_NS6detail17trampoline_kernelINS0_14default_configENS1_25partition_config_selectorILNS1_17partition_subalgoE9EllbEEZZNS1_14partition_implILS5_9ELb0ES3_jPlS8_PNS0_10empty_typeENS0_5tupleIJS8_S9_EEENSB_IJS8_SA_EEENS0_18inequality_wrapperIZN2at6native12_GLOBAL__N_124unique_dim_cuda_templateIiEESt5tupleIJNSF_6TensorESK_SK_EERKSK_lbbbEUlllE0_EEPmJS9_EEE10hipError_tPvRmT3_T4_T5_T6_T7_T9_mT8_P12ihipStream_tbDpT10_ENKUlT_T0_E_clISt17integral_constantIbLb0EES19_IbLb1EEEEDaS15_S16_EUlS15_E_NS1_11comp_targetILNS1_3genE0ELNS1_11target_archE4294967295ELNS1_3gpuE0ELNS1_3repE0EEENS1_30default_config_static_selectorELNS0_4arch9wavefront6targetE0EEEvT1_.kd
    .uniform_work_group_size: 1
    .uses_dynamic_stack: false
    .vgpr_count:     0
    .vgpr_spill_count: 0
    .wavefront_size: 32
    .workgroup_processor_mode: 1
  - .args:
      - .offset:         0
        .size:           136
        .value_kind:     by_value
    .group_segment_fixed_size: 0
    .kernarg_segment_align: 8
    .kernarg_segment_size: 136
    .language:       OpenCL C
    .language_version:
      - 2
      - 0
    .max_flat_workgroup_size: 512
    .name:           _ZN7rocprim17ROCPRIM_400000_NS6detail17trampoline_kernelINS0_14default_configENS1_25partition_config_selectorILNS1_17partition_subalgoE9EllbEEZZNS1_14partition_implILS5_9ELb0ES3_jPlS8_PNS0_10empty_typeENS0_5tupleIJS8_S9_EEENSB_IJS8_SA_EEENS0_18inequality_wrapperIZN2at6native12_GLOBAL__N_124unique_dim_cuda_templateIiEESt5tupleIJNSF_6TensorESK_SK_EERKSK_lbbbEUlllE0_EEPmJS9_EEE10hipError_tPvRmT3_T4_T5_T6_T7_T9_mT8_P12ihipStream_tbDpT10_ENKUlT_T0_E_clISt17integral_constantIbLb0EES19_IbLb1EEEEDaS15_S16_EUlS15_E_NS1_11comp_targetILNS1_3genE5ELNS1_11target_archE942ELNS1_3gpuE9ELNS1_3repE0EEENS1_30default_config_static_selectorELNS0_4arch9wavefront6targetE0EEEvT1_
    .private_segment_fixed_size: 0
    .sgpr_count:     0
    .sgpr_spill_count: 0
    .symbol:         _ZN7rocprim17ROCPRIM_400000_NS6detail17trampoline_kernelINS0_14default_configENS1_25partition_config_selectorILNS1_17partition_subalgoE9EllbEEZZNS1_14partition_implILS5_9ELb0ES3_jPlS8_PNS0_10empty_typeENS0_5tupleIJS8_S9_EEENSB_IJS8_SA_EEENS0_18inequality_wrapperIZN2at6native12_GLOBAL__N_124unique_dim_cuda_templateIiEESt5tupleIJNSF_6TensorESK_SK_EERKSK_lbbbEUlllE0_EEPmJS9_EEE10hipError_tPvRmT3_T4_T5_T6_T7_T9_mT8_P12ihipStream_tbDpT10_ENKUlT_T0_E_clISt17integral_constantIbLb0EES19_IbLb1EEEEDaS15_S16_EUlS15_E_NS1_11comp_targetILNS1_3genE5ELNS1_11target_archE942ELNS1_3gpuE9ELNS1_3repE0EEENS1_30default_config_static_selectorELNS0_4arch9wavefront6targetE0EEEvT1_.kd
    .uniform_work_group_size: 1
    .uses_dynamic_stack: false
    .vgpr_count:     0
    .vgpr_spill_count: 0
    .wavefront_size: 32
    .workgroup_processor_mode: 1
  - .args:
      - .offset:         0
        .size:           136
        .value_kind:     by_value
    .group_segment_fixed_size: 0
    .kernarg_segment_align: 8
    .kernarg_segment_size: 136
    .language:       OpenCL C
    .language_version:
      - 2
      - 0
    .max_flat_workgroup_size: 128
    .name:           _ZN7rocprim17ROCPRIM_400000_NS6detail17trampoline_kernelINS0_14default_configENS1_25partition_config_selectorILNS1_17partition_subalgoE9EllbEEZZNS1_14partition_implILS5_9ELb0ES3_jPlS8_PNS0_10empty_typeENS0_5tupleIJS8_S9_EEENSB_IJS8_SA_EEENS0_18inequality_wrapperIZN2at6native12_GLOBAL__N_124unique_dim_cuda_templateIiEESt5tupleIJNSF_6TensorESK_SK_EERKSK_lbbbEUlllE0_EEPmJS9_EEE10hipError_tPvRmT3_T4_T5_T6_T7_T9_mT8_P12ihipStream_tbDpT10_ENKUlT_T0_E_clISt17integral_constantIbLb0EES19_IbLb1EEEEDaS15_S16_EUlS15_E_NS1_11comp_targetILNS1_3genE4ELNS1_11target_archE910ELNS1_3gpuE8ELNS1_3repE0EEENS1_30default_config_static_selectorELNS0_4arch9wavefront6targetE0EEEvT1_
    .private_segment_fixed_size: 0
    .sgpr_count:     0
    .sgpr_spill_count: 0
    .symbol:         _ZN7rocprim17ROCPRIM_400000_NS6detail17trampoline_kernelINS0_14default_configENS1_25partition_config_selectorILNS1_17partition_subalgoE9EllbEEZZNS1_14partition_implILS5_9ELb0ES3_jPlS8_PNS0_10empty_typeENS0_5tupleIJS8_S9_EEENSB_IJS8_SA_EEENS0_18inequality_wrapperIZN2at6native12_GLOBAL__N_124unique_dim_cuda_templateIiEESt5tupleIJNSF_6TensorESK_SK_EERKSK_lbbbEUlllE0_EEPmJS9_EEE10hipError_tPvRmT3_T4_T5_T6_T7_T9_mT8_P12ihipStream_tbDpT10_ENKUlT_T0_E_clISt17integral_constantIbLb0EES19_IbLb1EEEEDaS15_S16_EUlS15_E_NS1_11comp_targetILNS1_3genE4ELNS1_11target_archE910ELNS1_3gpuE8ELNS1_3repE0EEENS1_30default_config_static_selectorELNS0_4arch9wavefront6targetE0EEEvT1_.kd
    .uniform_work_group_size: 1
    .uses_dynamic_stack: false
    .vgpr_count:     0
    .vgpr_spill_count: 0
    .wavefront_size: 32
    .workgroup_processor_mode: 1
  - .args:
      - .offset:         0
        .size:           136
        .value_kind:     by_value
    .group_segment_fixed_size: 0
    .kernarg_segment_align: 8
    .kernarg_segment_size: 136
    .language:       OpenCL C
    .language_version:
      - 2
      - 0
    .max_flat_workgroup_size: 128
    .name:           _ZN7rocprim17ROCPRIM_400000_NS6detail17trampoline_kernelINS0_14default_configENS1_25partition_config_selectorILNS1_17partition_subalgoE9EllbEEZZNS1_14partition_implILS5_9ELb0ES3_jPlS8_PNS0_10empty_typeENS0_5tupleIJS8_S9_EEENSB_IJS8_SA_EEENS0_18inequality_wrapperIZN2at6native12_GLOBAL__N_124unique_dim_cuda_templateIiEESt5tupleIJNSF_6TensorESK_SK_EERKSK_lbbbEUlllE0_EEPmJS9_EEE10hipError_tPvRmT3_T4_T5_T6_T7_T9_mT8_P12ihipStream_tbDpT10_ENKUlT_T0_E_clISt17integral_constantIbLb0EES19_IbLb1EEEEDaS15_S16_EUlS15_E_NS1_11comp_targetILNS1_3genE3ELNS1_11target_archE908ELNS1_3gpuE7ELNS1_3repE0EEENS1_30default_config_static_selectorELNS0_4arch9wavefront6targetE0EEEvT1_
    .private_segment_fixed_size: 0
    .sgpr_count:     0
    .sgpr_spill_count: 0
    .symbol:         _ZN7rocprim17ROCPRIM_400000_NS6detail17trampoline_kernelINS0_14default_configENS1_25partition_config_selectorILNS1_17partition_subalgoE9EllbEEZZNS1_14partition_implILS5_9ELb0ES3_jPlS8_PNS0_10empty_typeENS0_5tupleIJS8_S9_EEENSB_IJS8_SA_EEENS0_18inequality_wrapperIZN2at6native12_GLOBAL__N_124unique_dim_cuda_templateIiEESt5tupleIJNSF_6TensorESK_SK_EERKSK_lbbbEUlllE0_EEPmJS9_EEE10hipError_tPvRmT3_T4_T5_T6_T7_T9_mT8_P12ihipStream_tbDpT10_ENKUlT_T0_E_clISt17integral_constantIbLb0EES19_IbLb1EEEEDaS15_S16_EUlS15_E_NS1_11comp_targetILNS1_3genE3ELNS1_11target_archE908ELNS1_3gpuE7ELNS1_3repE0EEENS1_30default_config_static_selectorELNS0_4arch9wavefront6targetE0EEEvT1_.kd
    .uniform_work_group_size: 1
    .uses_dynamic_stack: false
    .vgpr_count:     0
    .vgpr_spill_count: 0
    .wavefront_size: 32
    .workgroup_processor_mode: 1
  - .args:
      - .offset:         0
        .size:           136
        .value_kind:     by_value
    .group_segment_fixed_size: 0
    .kernarg_segment_align: 8
    .kernarg_segment_size: 136
    .language:       OpenCL C
    .language_version:
      - 2
      - 0
    .max_flat_workgroup_size: 192
    .name:           _ZN7rocprim17ROCPRIM_400000_NS6detail17trampoline_kernelINS0_14default_configENS1_25partition_config_selectorILNS1_17partition_subalgoE9EllbEEZZNS1_14partition_implILS5_9ELb0ES3_jPlS8_PNS0_10empty_typeENS0_5tupleIJS8_S9_EEENSB_IJS8_SA_EEENS0_18inequality_wrapperIZN2at6native12_GLOBAL__N_124unique_dim_cuda_templateIiEESt5tupleIJNSF_6TensorESK_SK_EERKSK_lbbbEUlllE0_EEPmJS9_EEE10hipError_tPvRmT3_T4_T5_T6_T7_T9_mT8_P12ihipStream_tbDpT10_ENKUlT_T0_E_clISt17integral_constantIbLb0EES19_IbLb1EEEEDaS15_S16_EUlS15_E_NS1_11comp_targetILNS1_3genE2ELNS1_11target_archE906ELNS1_3gpuE6ELNS1_3repE0EEENS1_30default_config_static_selectorELNS0_4arch9wavefront6targetE0EEEvT1_
    .private_segment_fixed_size: 0
    .sgpr_count:     0
    .sgpr_spill_count: 0
    .symbol:         _ZN7rocprim17ROCPRIM_400000_NS6detail17trampoline_kernelINS0_14default_configENS1_25partition_config_selectorILNS1_17partition_subalgoE9EllbEEZZNS1_14partition_implILS5_9ELb0ES3_jPlS8_PNS0_10empty_typeENS0_5tupleIJS8_S9_EEENSB_IJS8_SA_EEENS0_18inequality_wrapperIZN2at6native12_GLOBAL__N_124unique_dim_cuda_templateIiEESt5tupleIJNSF_6TensorESK_SK_EERKSK_lbbbEUlllE0_EEPmJS9_EEE10hipError_tPvRmT3_T4_T5_T6_T7_T9_mT8_P12ihipStream_tbDpT10_ENKUlT_T0_E_clISt17integral_constantIbLb0EES19_IbLb1EEEEDaS15_S16_EUlS15_E_NS1_11comp_targetILNS1_3genE2ELNS1_11target_archE906ELNS1_3gpuE6ELNS1_3repE0EEENS1_30default_config_static_selectorELNS0_4arch9wavefront6targetE0EEEvT1_.kd
    .uniform_work_group_size: 1
    .uses_dynamic_stack: false
    .vgpr_count:     0
    .vgpr_spill_count: 0
    .wavefront_size: 32
    .workgroup_processor_mode: 1
  - .args:
      - .offset:         0
        .size:           136
        .value_kind:     by_value
    .group_segment_fixed_size: 0
    .kernarg_segment_align: 8
    .kernarg_segment_size: 136
    .language:       OpenCL C
    .language_version:
      - 2
      - 0
    .max_flat_workgroup_size: 384
    .name:           _ZN7rocprim17ROCPRIM_400000_NS6detail17trampoline_kernelINS0_14default_configENS1_25partition_config_selectorILNS1_17partition_subalgoE9EllbEEZZNS1_14partition_implILS5_9ELb0ES3_jPlS8_PNS0_10empty_typeENS0_5tupleIJS8_S9_EEENSB_IJS8_SA_EEENS0_18inequality_wrapperIZN2at6native12_GLOBAL__N_124unique_dim_cuda_templateIiEESt5tupleIJNSF_6TensorESK_SK_EERKSK_lbbbEUlllE0_EEPmJS9_EEE10hipError_tPvRmT3_T4_T5_T6_T7_T9_mT8_P12ihipStream_tbDpT10_ENKUlT_T0_E_clISt17integral_constantIbLb0EES19_IbLb1EEEEDaS15_S16_EUlS15_E_NS1_11comp_targetILNS1_3genE10ELNS1_11target_archE1200ELNS1_3gpuE4ELNS1_3repE0EEENS1_30default_config_static_selectorELNS0_4arch9wavefront6targetE0EEEvT1_
    .private_segment_fixed_size: 0
    .sgpr_count:     0
    .sgpr_spill_count: 0
    .symbol:         _ZN7rocprim17ROCPRIM_400000_NS6detail17trampoline_kernelINS0_14default_configENS1_25partition_config_selectorILNS1_17partition_subalgoE9EllbEEZZNS1_14partition_implILS5_9ELb0ES3_jPlS8_PNS0_10empty_typeENS0_5tupleIJS8_S9_EEENSB_IJS8_SA_EEENS0_18inequality_wrapperIZN2at6native12_GLOBAL__N_124unique_dim_cuda_templateIiEESt5tupleIJNSF_6TensorESK_SK_EERKSK_lbbbEUlllE0_EEPmJS9_EEE10hipError_tPvRmT3_T4_T5_T6_T7_T9_mT8_P12ihipStream_tbDpT10_ENKUlT_T0_E_clISt17integral_constantIbLb0EES19_IbLb1EEEEDaS15_S16_EUlS15_E_NS1_11comp_targetILNS1_3genE10ELNS1_11target_archE1200ELNS1_3gpuE4ELNS1_3repE0EEENS1_30default_config_static_selectorELNS0_4arch9wavefront6targetE0EEEvT1_.kd
    .uniform_work_group_size: 1
    .uses_dynamic_stack: false
    .vgpr_count:     0
    .vgpr_spill_count: 0
    .wavefront_size: 32
    .workgroup_processor_mode: 1
  - .args:
      - .offset:         0
        .size:           136
        .value_kind:     by_value
    .group_segment_fixed_size: 33804
    .kernarg_segment_align: 8
    .kernarg_segment_size: 136
    .language:       OpenCL C
    .language_version:
      - 2
      - 0
    .max_flat_workgroup_size: 512
    .name:           _ZN7rocprim17ROCPRIM_400000_NS6detail17trampoline_kernelINS0_14default_configENS1_25partition_config_selectorILNS1_17partition_subalgoE9EllbEEZZNS1_14partition_implILS5_9ELb0ES3_jPlS8_PNS0_10empty_typeENS0_5tupleIJS8_S9_EEENSB_IJS8_SA_EEENS0_18inequality_wrapperIZN2at6native12_GLOBAL__N_124unique_dim_cuda_templateIiEESt5tupleIJNSF_6TensorESK_SK_EERKSK_lbbbEUlllE0_EEPmJS9_EEE10hipError_tPvRmT3_T4_T5_T6_T7_T9_mT8_P12ihipStream_tbDpT10_ENKUlT_T0_E_clISt17integral_constantIbLb0EES19_IbLb1EEEEDaS15_S16_EUlS15_E_NS1_11comp_targetILNS1_3genE9ELNS1_11target_archE1100ELNS1_3gpuE3ELNS1_3repE0EEENS1_30default_config_static_selectorELNS0_4arch9wavefront6targetE0EEEvT1_
    .private_segment_fixed_size: 0
    .sgpr_count:     42
    .sgpr_spill_count: 0
    .symbol:         _ZN7rocprim17ROCPRIM_400000_NS6detail17trampoline_kernelINS0_14default_configENS1_25partition_config_selectorILNS1_17partition_subalgoE9EllbEEZZNS1_14partition_implILS5_9ELb0ES3_jPlS8_PNS0_10empty_typeENS0_5tupleIJS8_S9_EEENSB_IJS8_SA_EEENS0_18inequality_wrapperIZN2at6native12_GLOBAL__N_124unique_dim_cuda_templateIiEESt5tupleIJNSF_6TensorESK_SK_EERKSK_lbbbEUlllE0_EEPmJS9_EEE10hipError_tPvRmT3_T4_T5_T6_T7_T9_mT8_P12ihipStream_tbDpT10_ENKUlT_T0_E_clISt17integral_constantIbLb0EES19_IbLb1EEEEDaS15_S16_EUlS15_E_NS1_11comp_targetILNS1_3genE9ELNS1_11target_archE1100ELNS1_3gpuE3ELNS1_3repE0EEENS1_30default_config_static_selectorELNS0_4arch9wavefront6targetE0EEEvT1_.kd
    .uniform_work_group_size: 1
    .uses_dynamic_stack: false
    .vgpr_count:     68
    .vgpr_spill_count: 0
    .wavefront_size: 32
    .workgroup_processor_mode: 1
  - .args:
      - .offset:         0
        .size:           136
        .value_kind:     by_value
    .group_segment_fixed_size: 0
    .kernarg_segment_align: 8
    .kernarg_segment_size: 136
    .language:       OpenCL C
    .language_version:
      - 2
      - 0
    .max_flat_workgroup_size: 512
    .name:           _ZN7rocprim17ROCPRIM_400000_NS6detail17trampoline_kernelINS0_14default_configENS1_25partition_config_selectorILNS1_17partition_subalgoE9EllbEEZZNS1_14partition_implILS5_9ELb0ES3_jPlS8_PNS0_10empty_typeENS0_5tupleIJS8_S9_EEENSB_IJS8_SA_EEENS0_18inequality_wrapperIZN2at6native12_GLOBAL__N_124unique_dim_cuda_templateIiEESt5tupleIJNSF_6TensorESK_SK_EERKSK_lbbbEUlllE0_EEPmJS9_EEE10hipError_tPvRmT3_T4_T5_T6_T7_T9_mT8_P12ihipStream_tbDpT10_ENKUlT_T0_E_clISt17integral_constantIbLb0EES19_IbLb1EEEEDaS15_S16_EUlS15_E_NS1_11comp_targetILNS1_3genE8ELNS1_11target_archE1030ELNS1_3gpuE2ELNS1_3repE0EEENS1_30default_config_static_selectorELNS0_4arch9wavefront6targetE0EEEvT1_
    .private_segment_fixed_size: 0
    .sgpr_count:     0
    .sgpr_spill_count: 0
    .symbol:         _ZN7rocprim17ROCPRIM_400000_NS6detail17trampoline_kernelINS0_14default_configENS1_25partition_config_selectorILNS1_17partition_subalgoE9EllbEEZZNS1_14partition_implILS5_9ELb0ES3_jPlS8_PNS0_10empty_typeENS0_5tupleIJS8_S9_EEENSB_IJS8_SA_EEENS0_18inequality_wrapperIZN2at6native12_GLOBAL__N_124unique_dim_cuda_templateIiEESt5tupleIJNSF_6TensorESK_SK_EERKSK_lbbbEUlllE0_EEPmJS9_EEE10hipError_tPvRmT3_T4_T5_T6_T7_T9_mT8_P12ihipStream_tbDpT10_ENKUlT_T0_E_clISt17integral_constantIbLb0EES19_IbLb1EEEEDaS15_S16_EUlS15_E_NS1_11comp_targetILNS1_3genE8ELNS1_11target_archE1030ELNS1_3gpuE2ELNS1_3repE0EEENS1_30default_config_static_selectorELNS0_4arch9wavefront6targetE0EEEvT1_.kd
    .uniform_work_group_size: 1
    .uses_dynamic_stack: false
    .vgpr_count:     0
    .vgpr_spill_count: 0
    .wavefront_size: 32
    .workgroup_processor_mode: 1
  - .args:
      - .offset:         0
        .size:           72
        .value_kind:     by_value
    .group_segment_fixed_size: 0
    .kernarg_segment_align: 8
    .kernarg_segment_size: 72
    .language:       OpenCL C
    .language_version:
      - 2
      - 0
    .max_flat_workgroup_size: 256
    .name:           _ZN7rocprim17ROCPRIM_400000_NS6detail17trampoline_kernelINS0_14default_configENS1_37merge_sort_block_sort_config_selectorIlNS0_10empty_typeEEEZNS1_21merge_sort_block_sortIS3_PlS8_PS5_S9_ZN2at6native12_GLOBAL__N_124unique_dim_cuda_templateIlEESt5tupleIJNSA_6TensorESF_SF_EERKSF_lbbbEUlllE_EE10hipError_tT0_T1_T2_T3_mRjT4_P12ihipStream_tbNS1_7vsmem_tEEUlT_E_NS1_11comp_targetILNS1_3genE0ELNS1_11target_archE4294967295ELNS1_3gpuE0ELNS1_3repE0EEENS1_30default_config_static_selectorELNS0_4arch9wavefront6targetE0EEEvSM_
    .private_segment_fixed_size: 0
    .sgpr_count:     0
    .sgpr_spill_count: 0
    .symbol:         _ZN7rocprim17ROCPRIM_400000_NS6detail17trampoline_kernelINS0_14default_configENS1_37merge_sort_block_sort_config_selectorIlNS0_10empty_typeEEEZNS1_21merge_sort_block_sortIS3_PlS8_PS5_S9_ZN2at6native12_GLOBAL__N_124unique_dim_cuda_templateIlEESt5tupleIJNSA_6TensorESF_SF_EERKSF_lbbbEUlllE_EE10hipError_tT0_T1_T2_T3_mRjT4_P12ihipStream_tbNS1_7vsmem_tEEUlT_E_NS1_11comp_targetILNS1_3genE0ELNS1_11target_archE4294967295ELNS1_3gpuE0ELNS1_3repE0EEENS1_30default_config_static_selectorELNS0_4arch9wavefront6targetE0EEEvSM_.kd
    .uniform_work_group_size: 1
    .uses_dynamic_stack: false
    .vgpr_count:     0
    .vgpr_spill_count: 0
    .wavefront_size: 32
    .workgroup_processor_mode: 1
  - .args:
      - .offset:         0
        .size:           72
        .value_kind:     by_value
    .group_segment_fixed_size: 0
    .kernarg_segment_align: 8
    .kernarg_segment_size: 72
    .language:       OpenCL C
    .language_version:
      - 2
      - 0
    .max_flat_workgroup_size: 256
    .name:           _ZN7rocprim17ROCPRIM_400000_NS6detail17trampoline_kernelINS0_14default_configENS1_37merge_sort_block_sort_config_selectorIlNS0_10empty_typeEEEZNS1_21merge_sort_block_sortIS3_PlS8_PS5_S9_ZN2at6native12_GLOBAL__N_124unique_dim_cuda_templateIlEESt5tupleIJNSA_6TensorESF_SF_EERKSF_lbbbEUlllE_EE10hipError_tT0_T1_T2_T3_mRjT4_P12ihipStream_tbNS1_7vsmem_tEEUlT_E_NS1_11comp_targetILNS1_3genE5ELNS1_11target_archE942ELNS1_3gpuE9ELNS1_3repE0EEENS1_30default_config_static_selectorELNS0_4arch9wavefront6targetE0EEEvSM_
    .private_segment_fixed_size: 0
    .sgpr_count:     0
    .sgpr_spill_count: 0
    .symbol:         _ZN7rocprim17ROCPRIM_400000_NS6detail17trampoline_kernelINS0_14default_configENS1_37merge_sort_block_sort_config_selectorIlNS0_10empty_typeEEEZNS1_21merge_sort_block_sortIS3_PlS8_PS5_S9_ZN2at6native12_GLOBAL__N_124unique_dim_cuda_templateIlEESt5tupleIJNSA_6TensorESF_SF_EERKSF_lbbbEUlllE_EE10hipError_tT0_T1_T2_T3_mRjT4_P12ihipStream_tbNS1_7vsmem_tEEUlT_E_NS1_11comp_targetILNS1_3genE5ELNS1_11target_archE942ELNS1_3gpuE9ELNS1_3repE0EEENS1_30default_config_static_selectorELNS0_4arch9wavefront6targetE0EEEvSM_.kd
    .uniform_work_group_size: 1
    .uses_dynamic_stack: false
    .vgpr_count:     0
    .vgpr_spill_count: 0
    .wavefront_size: 32
    .workgroup_processor_mode: 1
  - .args:
      - .offset:         0
        .size:           72
        .value_kind:     by_value
    .group_segment_fixed_size: 0
    .kernarg_segment_align: 8
    .kernarg_segment_size: 72
    .language:       OpenCL C
    .language_version:
      - 2
      - 0
    .max_flat_workgroup_size: 256
    .name:           _ZN7rocprim17ROCPRIM_400000_NS6detail17trampoline_kernelINS0_14default_configENS1_37merge_sort_block_sort_config_selectorIlNS0_10empty_typeEEEZNS1_21merge_sort_block_sortIS3_PlS8_PS5_S9_ZN2at6native12_GLOBAL__N_124unique_dim_cuda_templateIlEESt5tupleIJNSA_6TensorESF_SF_EERKSF_lbbbEUlllE_EE10hipError_tT0_T1_T2_T3_mRjT4_P12ihipStream_tbNS1_7vsmem_tEEUlT_E_NS1_11comp_targetILNS1_3genE4ELNS1_11target_archE910ELNS1_3gpuE8ELNS1_3repE0EEENS1_30default_config_static_selectorELNS0_4arch9wavefront6targetE0EEEvSM_
    .private_segment_fixed_size: 0
    .sgpr_count:     0
    .sgpr_spill_count: 0
    .symbol:         _ZN7rocprim17ROCPRIM_400000_NS6detail17trampoline_kernelINS0_14default_configENS1_37merge_sort_block_sort_config_selectorIlNS0_10empty_typeEEEZNS1_21merge_sort_block_sortIS3_PlS8_PS5_S9_ZN2at6native12_GLOBAL__N_124unique_dim_cuda_templateIlEESt5tupleIJNSA_6TensorESF_SF_EERKSF_lbbbEUlllE_EE10hipError_tT0_T1_T2_T3_mRjT4_P12ihipStream_tbNS1_7vsmem_tEEUlT_E_NS1_11comp_targetILNS1_3genE4ELNS1_11target_archE910ELNS1_3gpuE8ELNS1_3repE0EEENS1_30default_config_static_selectorELNS0_4arch9wavefront6targetE0EEEvSM_.kd
    .uniform_work_group_size: 1
    .uses_dynamic_stack: false
    .vgpr_count:     0
    .vgpr_spill_count: 0
    .wavefront_size: 32
    .workgroup_processor_mode: 1
  - .args:
      - .offset:         0
        .size:           72
        .value_kind:     by_value
    .group_segment_fixed_size: 0
    .kernarg_segment_align: 8
    .kernarg_segment_size: 72
    .language:       OpenCL C
    .language_version:
      - 2
      - 0
    .max_flat_workgroup_size: 256
    .name:           _ZN7rocprim17ROCPRIM_400000_NS6detail17trampoline_kernelINS0_14default_configENS1_37merge_sort_block_sort_config_selectorIlNS0_10empty_typeEEEZNS1_21merge_sort_block_sortIS3_PlS8_PS5_S9_ZN2at6native12_GLOBAL__N_124unique_dim_cuda_templateIlEESt5tupleIJNSA_6TensorESF_SF_EERKSF_lbbbEUlllE_EE10hipError_tT0_T1_T2_T3_mRjT4_P12ihipStream_tbNS1_7vsmem_tEEUlT_E_NS1_11comp_targetILNS1_3genE3ELNS1_11target_archE908ELNS1_3gpuE7ELNS1_3repE0EEENS1_30default_config_static_selectorELNS0_4arch9wavefront6targetE0EEEvSM_
    .private_segment_fixed_size: 0
    .sgpr_count:     0
    .sgpr_spill_count: 0
    .symbol:         _ZN7rocprim17ROCPRIM_400000_NS6detail17trampoline_kernelINS0_14default_configENS1_37merge_sort_block_sort_config_selectorIlNS0_10empty_typeEEEZNS1_21merge_sort_block_sortIS3_PlS8_PS5_S9_ZN2at6native12_GLOBAL__N_124unique_dim_cuda_templateIlEESt5tupleIJNSA_6TensorESF_SF_EERKSF_lbbbEUlllE_EE10hipError_tT0_T1_T2_T3_mRjT4_P12ihipStream_tbNS1_7vsmem_tEEUlT_E_NS1_11comp_targetILNS1_3genE3ELNS1_11target_archE908ELNS1_3gpuE7ELNS1_3repE0EEENS1_30default_config_static_selectorELNS0_4arch9wavefront6targetE0EEEvSM_.kd
    .uniform_work_group_size: 1
    .uses_dynamic_stack: false
    .vgpr_count:     0
    .vgpr_spill_count: 0
    .wavefront_size: 32
    .workgroup_processor_mode: 1
  - .args:
      - .offset:         0
        .size:           72
        .value_kind:     by_value
    .group_segment_fixed_size: 0
    .kernarg_segment_align: 8
    .kernarg_segment_size: 72
    .language:       OpenCL C
    .language_version:
      - 2
      - 0
    .max_flat_workgroup_size: 256
    .name:           _ZN7rocprim17ROCPRIM_400000_NS6detail17trampoline_kernelINS0_14default_configENS1_37merge_sort_block_sort_config_selectorIlNS0_10empty_typeEEEZNS1_21merge_sort_block_sortIS3_PlS8_PS5_S9_ZN2at6native12_GLOBAL__N_124unique_dim_cuda_templateIlEESt5tupleIJNSA_6TensorESF_SF_EERKSF_lbbbEUlllE_EE10hipError_tT0_T1_T2_T3_mRjT4_P12ihipStream_tbNS1_7vsmem_tEEUlT_E_NS1_11comp_targetILNS1_3genE2ELNS1_11target_archE906ELNS1_3gpuE6ELNS1_3repE0EEENS1_30default_config_static_selectorELNS0_4arch9wavefront6targetE0EEEvSM_
    .private_segment_fixed_size: 0
    .sgpr_count:     0
    .sgpr_spill_count: 0
    .symbol:         _ZN7rocprim17ROCPRIM_400000_NS6detail17trampoline_kernelINS0_14default_configENS1_37merge_sort_block_sort_config_selectorIlNS0_10empty_typeEEEZNS1_21merge_sort_block_sortIS3_PlS8_PS5_S9_ZN2at6native12_GLOBAL__N_124unique_dim_cuda_templateIlEESt5tupleIJNSA_6TensorESF_SF_EERKSF_lbbbEUlllE_EE10hipError_tT0_T1_T2_T3_mRjT4_P12ihipStream_tbNS1_7vsmem_tEEUlT_E_NS1_11comp_targetILNS1_3genE2ELNS1_11target_archE906ELNS1_3gpuE6ELNS1_3repE0EEENS1_30default_config_static_selectorELNS0_4arch9wavefront6targetE0EEEvSM_.kd
    .uniform_work_group_size: 1
    .uses_dynamic_stack: false
    .vgpr_count:     0
    .vgpr_spill_count: 0
    .wavefront_size: 32
    .workgroup_processor_mode: 1
  - .args:
      - .offset:         0
        .size:           72
        .value_kind:     by_value
    .group_segment_fixed_size: 0
    .kernarg_segment_align: 8
    .kernarg_segment_size: 72
    .language:       OpenCL C
    .language_version:
      - 2
      - 0
    .max_flat_workgroup_size: 256
    .name:           _ZN7rocprim17ROCPRIM_400000_NS6detail17trampoline_kernelINS0_14default_configENS1_37merge_sort_block_sort_config_selectorIlNS0_10empty_typeEEEZNS1_21merge_sort_block_sortIS3_PlS8_PS5_S9_ZN2at6native12_GLOBAL__N_124unique_dim_cuda_templateIlEESt5tupleIJNSA_6TensorESF_SF_EERKSF_lbbbEUlllE_EE10hipError_tT0_T1_T2_T3_mRjT4_P12ihipStream_tbNS1_7vsmem_tEEUlT_E_NS1_11comp_targetILNS1_3genE10ELNS1_11target_archE1201ELNS1_3gpuE5ELNS1_3repE0EEENS1_30default_config_static_selectorELNS0_4arch9wavefront6targetE0EEEvSM_
    .private_segment_fixed_size: 0
    .sgpr_count:     0
    .sgpr_spill_count: 0
    .symbol:         _ZN7rocprim17ROCPRIM_400000_NS6detail17trampoline_kernelINS0_14default_configENS1_37merge_sort_block_sort_config_selectorIlNS0_10empty_typeEEEZNS1_21merge_sort_block_sortIS3_PlS8_PS5_S9_ZN2at6native12_GLOBAL__N_124unique_dim_cuda_templateIlEESt5tupleIJNSA_6TensorESF_SF_EERKSF_lbbbEUlllE_EE10hipError_tT0_T1_T2_T3_mRjT4_P12ihipStream_tbNS1_7vsmem_tEEUlT_E_NS1_11comp_targetILNS1_3genE10ELNS1_11target_archE1201ELNS1_3gpuE5ELNS1_3repE0EEENS1_30default_config_static_selectorELNS0_4arch9wavefront6targetE0EEEvSM_.kd
    .uniform_work_group_size: 1
    .uses_dynamic_stack: false
    .vgpr_count:     0
    .vgpr_spill_count: 0
    .wavefront_size: 32
    .workgroup_processor_mode: 1
  - .args:
      - .offset:         0
        .size:           72
        .value_kind:     by_value
    .group_segment_fixed_size: 0
    .kernarg_segment_align: 8
    .kernarg_segment_size: 72
    .language:       OpenCL C
    .language_version:
      - 2
      - 0
    .max_flat_workgroup_size: 512
    .name:           _ZN7rocprim17ROCPRIM_400000_NS6detail17trampoline_kernelINS0_14default_configENS1_37merge_sort_block_sort_config_selectorIlNS0_10empty_typeEEEZNS1_21merge_sort_block_sortIS3_PlS8_PS5_S9_ZN2at6native12_GLOBAL__N_124unique_dim_cuda_templateIlEESt5tupleIJNSA_6TensorESF_SF_EERKSF_lbbbEUlllE_EE10hipError_tT0_T1_T2_T3_mRjT4_P12ihipStream_tbNS1_7vsmem_tEEUlT_E_NS1_11comp_targetILNS1_3genE10ELNS1_11target_archE1200ELNS1_3gpuE4ELNS1_3repE0EEENS1_30default_config_static_selectorELNS0_4arch9wavefront6targetE0EEEvSM_
    .private_segment_fixed_size: 0
    .sgpr_count:     0
    .sgpr_spill_count: 0
    .symbol:         _ZN7rocprim17ROCPRIM_400000_NS6detail17trampoline_kernelINS0_14default_configENS1_37merge_sort_block_sort_config_selectorIlNS0_10empty_typeEEEZNS1_21merge_sort_block_sortIS3_PlS8_PS5_S9_ZN2at6native12_GLOBAL__N_124unique_dim_cuda_templateIlEESt5tupleIJNSA_6TensorESF_SF_EERKSF_lbbbEUlllE_EE10hipError_tT0_T1_T2_T3_mRjT4_P12ihipStream_tbNS1_7vsmem_tEEUlT_E_NS1_11comp_targetILNS1_3genE10ELNS1_11target_archE1200ELNS1_3gpuE4ELNS1_3repE0EEENS1_30default_config_static_selectorELNS0_4arch9wavefront6targetE0EEEvSM_.kd
    .uniform_work_group_size: 1
    .uses_dynamic_stack: false
    .vgpr_count:     0
    .vgpr_spill_count: 0
    .wavefront_size: 32
    .workgroup_processor_mode: 1
  - .args:
      - .offset:         0
        .size:           72
        .value_kind:     by_value
      - .offset:         72
        .size:           4
        .value_kind:     hidden_block_count_x
      - .offset:         76
        .size:           4
        .value_kind:     hidden_block_count_y
      - .offset:         80
        .size:           4
        .value_kind:     hidden_block_count_z
      - .offset:         84
        .size:           2
        .value_kind:     hidden_group_size_x
      - .offset:         86
        .size:           2
        .value_kind:     hidden_group_size_y
      - .offset:         88
        .size:           2
        .value_kind:     hidden_group_size_z
      - .offset:         90
        .size:           2
        .value_kind:     hidden_remainder_x
      - .offset:         92
        .size:           2
        .value_kind:     hidden_remainder_y
      - .offset:         94
        .size:           2
        .value_kind:     hidden_remainder_z
      - .offset:         112
        .size:           8
        .value_kind:     hidden_global_offset_x
      - .offset:         120
        .size:           8
        .value_kind:     hidden_global_offset_y
      - .offset:         128
        .size:           8
        .value_kind:     hidden_global_offset_z
      - .offset:         136
        .size:           2
        .value_kind:     hidden_grid_dims
    .group_segment_fixed_size: 8448
    .kernarg_segment_align: 8
    .kernarg_segment_size: 328
    .language:       OpenCL C
    .language_version:
      - 2
      - 0
    .max_flat_workgroup_size: 256
    .name:           _ZN7rocprim17ROCPRIM_400000_NS6detail17trampoline_kernelINS0_14default_configENS1_37merge_sort_block_sort_config_selectorIlNS0_10empty_typeEEEZNS1_21merge_sort_block_sortIS3_PlS8_PS5_S9_ZN2at6native12_GLOBAL__N_124unique_dim_cuda_templateIlEESt5tupleIJNSA_6TensorESF_SF_EERKSF_lbbbEUlllE_EE10hipError_tT0_T1_T2_T3_mRjT4_P12ihipStream_tbNS1_7vsmem_tEEUlT_E_NS1_11comp_targetILNS1_3genE9ELNS1_11target_archE1100ELNS1_3gpuE3ELNS1_3repE0EEENS1_30default_config_static_selectorELNS0_4arch9wavefront6targetE0EEEvSM_
    .private_segment_fixed_size: 0
    .sgpr_count:     34
    .sgpr_spill_count: 0
    .symbol:         _ZN7rocprim17ROCPRIM_400000_NS6detail17trampoline_kernelINS0_14default_configENS1_37merge_sort_block_sort_config_selectorIlNS0_10empty_typeEEEZNS1_21merge_sort_block_sortIS3_PlS8_PS5_S9_ZN2at6native12_GLOBAL__N_124unique_dim_cuda_templateIlEESt5tupleIJNSA_6TensorESF_SF_EERKSF_lbbbEUlllE_EE10hipError_tT0_T1_T2_T3_mRjT4_P12ihipStream_tbNS1_7vsmem_tEEUlT_E_NS1_11comp_targetILNS1_3genE9ELNS1_11target_archE1100ELNS1_3gpuE3ELNS1_3repE0EEENS1_30default_config_static_selectorELNS0_4arch9wavefront6targetE0EEEvSM_.kd
    .uniform_work_group_size: 1
    .uses_dynamic_stack: false
    .vgpr_count:     49
    .vgpr_spill_count: 0
    .wavefront_size: 32
    .workgroup_processor_mode: 1
  - .args:
      - .offset:         0
        .size:           72
        .value_kind:     by_value
    .group_segment_fixed_size: 0
    .kernarg_segment_align: 8
    .kernarg_segment_size: 72
    .language:       OpenCL C
    .language_version:
      - 2
      - 0
    .max_flat_workgroup_size: 256
    .name:           _ZN7rocprim17ROCPRIM_400000_NS6detail17trampoline_kernelINS0_14default_configENS1_37merge_sort_block_sort_config_selectorIlNS0_10empty_typeEEEZNS1_21merge_sort_block_sortIS3_PlS8_PS5_S9_ZN2at6native12_GLOBAL__N_124unique_dim_cuda_templateIlEESt5tupleIJNSA_6TensorESF_SF_EERKSF_lbbbEUlllE_EE10hipError_tT0_T1_T2_T3_mRjT4_P12ihipStream_tbNS1_7vsmem_tEEUlT_E_NS1_11comp_targetILNS1_3genE8ELNS1_11target_archE1030ELNS1_3gpuE2ELNS1_3repE0EEENS1_30default_config_static_selectorELNS0_4arch9wavefront6targetE0EEEvSM_
    .private_segment_fixed_size: 0
    .sgpr_count:     0
    .sgpr_spill_count: 0
    .symbol:         _ZN7rocprim17ROCPRIM_400000_NS6detail17trampoline_kernelINS0_14default_configENS1_37merge_sort_block_sort_config_selectorIlNS0_10empty_typeEEEZNS1_21merge_sort_block_sortIS3_PlS8_PS5_S9_ZN2at6native12_GLOBAL__N_124unique_dim_cuda_templateIlEESt5tupleIJNSA_6TensorESF_SF_EERKSF_lbbbEUlllE_EE10hipError_tT0_T1_T2_T3_mRjT4_P12ihipStream_tbNS1_7vsmem_tEEUlT_E_NS1_11comp_targetILNS1_3genE8ELNS1_11target_archE1030ELNS1_3gpuE2ELNS1_3repE0EEENS1_30default_config_static_selectorELNS0_4arch9wavefront6targetE0EEEvSM_.kd
    .uniform_work_group_size: 1
    .uses_dynamic_stack: false
    .vgpr_count:     0
    .vgpr_spill_count: 0
    .wavefront_size: 32
    .workgroup_processor_mode: 1
  - .args:
      - .offset:         0
        .size:           56
        .value_kind:     by_value
    .group_segment_fixed_size: 0
    .kernarg_segment_align: 8
    .kernarg_segment_size: 56
    .language:       OpenCL C
    .language_version:
      - 2
      - 0
    .max_flat_workgroup_size: 128
    .name:           _ZN7rocprim17ROCPRIM_400000_NS6detail17trampoline_kernelINS0_14default_configENS1_38merge_sort_block_merge_config_selectorIlNS0_10empty_typeEEEZZNS1_27merge_sort_block_merge_implIS3_PlPS5_mZN2at6native12_GLOBAL__N_124unique_dim_cuda_templateIlEESt5tupleIJNSA_6TensorESF_SF_EERKSF_lbbbEUlllE_EE10hipError_tT0_T1_T2_jT3_P12ihipStream_tbPNSt15iterator_traitsISL_E10value_typeEPNSR_ISM_E10value_typeEPSN_NS1_7vsmem_tEENKUlT_SL_SM_SN_E_clIS8_S8_S9_S9_EESK_S10_SL_SM_SN_EUlS10_E_NS1_11comp_targetILNS1_3genE0ELNS1_11target_archE4294967295ELNS1_3gpuE0ELNS1_3repE0EEENS1_48merge_mergepath_partition_config_static_selectorELNS0_4arch9wavefront6targetE0EEEvSM_
    .private_segment_fixed_size: 0
    .sgpr_count:     0
    .sgpr_spill_count: 0
    .symbol:         _ZN7rocprim17ROCPRIM_400000_NS6detail17trampoline_kernelINS0_14default_configENS1_38merge_sort_block_merge_config_selectorIlNS0_10empty_typeEEEZZNS1_27merge_sort_block_merge_implIS3_PlPS5_mZN2at6native12_GLOBAL__N_124unique_dim_cuda_templateIlEESt5tupleIJNSA_6TensorESF_SF_EERKSF_lbbbEUlllE_EE10hipError_tT0_T1_T2_jT3_P12ihipStream_tbPNSt15iterator_traitsISL_E10value_typeEPNSR_ISM_E10value_typeEPSN_NS1_7vsmem_tEENKUlT_SL_SM_SN_E_clIS8_S8_S9_S9_EESK_S10_SL_SM_SN_EUlS10_E_NS1_11comp_targetILNS1_3genE0ELNS1_11target_archE4294967295ELNS1_3gpuE0ELNS1_3repE0EEENS1_48merge_mergepath_partition_config_static_selectorELNS0_4arch9wavefront6targetE0EEEvSM_.kd
    .uniform_work_group_size: 1
    .uses_dynamic_stack: false
    .vgpr_count:     0
    .vgpr_spill_count: 0
    .wavefront_size: 32
    .workgroup_processor_mode: 1
  - .args:
      - .offset:         0
        .size:           56
        .value_kind:     by_value
    .group_segment_fixed_size: 0
    .kernarg_segment_align: 8
    .kernarg_segment_size: 56
    .language:       OpenCL C
    .language_version:
      - 2
      - 0
    .max_flat_workgroup_size: 128
    .name:           _ZN7rocprim17ROCPRIM_400000_NS6detail17trampoline_kernelINS0_14default_configENS1_38merge_sort_block_merge_config_selectorIlNS0_10empty_typeEEEZZNS1_27merge_sort_block_merge_implIS3_PlPS5_mZN2at6native12_GLOBAL__N_124unique_dim_cuda_templateIlEESt5tupleIJNSA_6TensorESF_SF_EERKSF_lbbbEUlllE_EE10hipError_tT0_T1_T2_jT3_P12ihipStream_tbPNSt15iterator_traitsISL_E10value_typeEPNSR_ISM_E10value_typeEPSN_NS1_7vsmem_tEENKUlT_SL_SM_SN_E_clIS8_S8_S9_S9_EESK_S10_SL_SM_SN_EUlS10_E_NS1_11comp_targetILNS1_3genE10ELNS1_11target_archE1201ELNS1_3gpuE5ELNS1_3repE0EEENS1_48merge_mergepath_partition_config_static_selectorELNS0_4arch9wavefront6targetE0EEEvSM_
    .private_segment_fixed_size: 0
    .sgpr_count:     0
    .sgpr_spill_count: 0
    .symbol:         _ZN7rocprim17ROCPRIM_400000_NS6detail17trampoline_kernelINS0_14default_configENS1_38merge_sort_block_merge_config_selectorIlNS0_10empty_typeEEEZZNS1_27merge_sort_block_merge_implIS3_PlPS5_mZN2at6native12_GLOBAL__N_124unique_dim_cuda_templateIlEESt5tupleIJNSA_6TensorESF_SF_EERKSF_lbbbEUlllE_EE10hipError_tT0_T1_T2_jT3_P12ihipStream_tbPNSt15iterator_traitsISL_E10value_typeEPNSR_ISM_E10value_typeEPSN_NS1_7vsmem_tEENKUlT_SL_SM_SN_E_clIS8_S8_S9_S9_EESK_S10_SL_SM_SN_EUlS10_E_NS1_11comp_targetILNS1_3genE10ELNS1_11target_archE1201ELNS1_3gpuE5ELNS1_3repE0EEENS1_48merge_mergepath_partition_config_static_selectorELNS0_4arch9wavefront6targetE0EEEvSM_.kd
    .uniform_work_group_size: 1
    .uses_dynamic_stack: false
    .vgpr_count:     0
    .vgpr_spill_count: 0
    .wavefront_size: 32
    .workgroup_processor_mode: 1
  - .args:
      - .offset:         0
        .size:           56
        .value_kind:     by_value
    .group_segment_fixed_size: 0
    .kernarg_segment_align: 8
    .kernarg_segment_size: 56
    .language:       OpenCL C
    .language_version:
      - 2
      - 0
    .max_flat_workgroup_size: 128
    .name:           _ZN7rocprim17ROCPRIM_400000_NS6detail17trampoline_kernelINS0_14default_configENS1_38merge_sort_block_merge_config_selectorIlNS0_10empty_typeEEEZZNS1_27merge_sort_block_merge_implIS3_PlPS5_mZN2at6native12_GLOBAL__N_124unique_dim_cuda_templateIlEESt5tupleIJNSA_6TensorESF_SF_EERKSF_lbbbEUlllE_EE10hipError_tT0_T1_T2_jT3_P12ihipStream_tbPNSt15iterator_traitsISL_E10value_typeEPNSR_ISM_E10value_typeEPSN_NS1_7vsmem_tEENKUlT_SL_SM_SN_E_clIS8_S8_S9_S9_EESK_S10_SL_SM_SN_EUlS10_E_NS1_11comp_targetILNS1_3genE5ELNS1_11target_archE942ELNS1_3gpuE9ELNS1_3repE0EEENS1_48merge_mergepath_partition_config_static_selectorELNS0_4arch9wavefront6targetE0EEEvSM_
    .private_segment_fixed_size: 0
    .sgpr_count:     0
    .sgpr_spill_count: 0
    .symbol:         _ZN7rocprim17ROCPRIM_400000_NS6detail17trampoline_kernelINS0_14default_configENS1_38merge_sort_block_merge_config_selectorIlNS0_10empty_typeEEEZZNS1_27merge_sort_block_merge_implIS3_PlPS5_mZN2at6native12_GLOBAL__N_124unique_dim_cuda_templateIlEESt5tupleIJNSA_6TensorESF_SF_EERKSF_lbbbEUlllE_EE10hipError_tT0_T1_T2_jT3_P12ihipStream_tbPNSt15iterator_traitsISL_E10value_typeEPNSR_ISM_E10value_typeEPSN_NS1_7vsmem_tEENKUlT_SL_SM_SN_E_clIS8_S8_S9_S9_EESK_S10_SL_SM_SN_EUlS10_E_NS1_11comp_targetILNS1_3genE5ELNS1_11target_archE942ELNS1_3gpuE9ELNS1_3repE0EEENS1_48merge_mergepath_partition_config_static_selectorELNS0_4arch9wavefront6targetE0EEEvSM_.kd
    .uniform_work_group_size: 1
    .uses_dynamic_stack: false
    .vgpr_count:     0
    .vgpr_spill_count: 0
    .wavefront_size: 32
    .workgroup_processor_mode: 1
  - .args:
      - .offset:         0
        .size:           56
        .value_kind:     by_value
    .group_segment_fixed_size: 0
    .kernarg_segment_align: 8
    .kernarg_segment_size: 56
    .language:       OpenCL C
    .language_version:
      - 2
      - 0
    .max_flat_workgroup_size: 128
    .name:           _ZN7rocprim17ROCPRIM_400000_NS6detail17trampoline_kernelINS0_14default_configENS1_38merge_sort_block_merge_config_selectorIlNS0_10empty_typeEEEZZNS1_27merge_sort_block_merge_implIS3_PlPS5_mZN2at6native12_GLOBAL__N_124unique_dim_cuda_templateIlEESt5tupleIJNSA_6TensorESF_SF_EERKSF_lbbbEUlllE_EE10hipError_tT0_T1_T2_jT3_P12ihipStream_tbPNSt15iterator_traitsISL_E10value_typeEPNSR_ISM_E10value_typeEPSN_NS1_7vsmem_tEENKUlT_SL_SM_SN_E_clIS8_S8_S9_S9_EESK_S10_SL_SM_SN_EUlS10_E_NS1_11comp_targetILNS1_3genE4ELNS1_11target_archE910ELNS1_3gpuE8ELNS1_3repE0EEENS1_48merge_mergepath_partition_config_static_selectorELNS0_4arch9wavefront6targetE0EEEvSM_
    .private_segment_fixed_size: 0
    .sgpr_count:     0
    .sgpr_spill_count: 0
    .symbol:         _ZN7rocprim17ROCPRIM_400000_NS6detail17trampoline_kernelINS0_14default_configENS1_38merge_sort_block_merge_config_selectorIlNS0_10empty_typeEEEZZNS1_27merge_sort_block_merge_implIS3_PlPS5_mZN2at6native12_GLOBAL__N_124unique_dim_cuda_templateIlEESt5tupleIJNSA_6TensorESF_SF_EERKSF_lbbbEUlllE_EE10hipError_tT0_T1_T2_jT3_P12ihipStream_tbPNSt15iterator_traitsISL_E10value_typeEPNSR_ISM_E10value_typeEPSN_NS1_7vsmem_tEENKUlT_SL_SM_SN_E_clIS8_S8_S9_S9_EESK_S10_SL_SM_SN_EUlS10_E_NS1_11comp_targetILNS1_3genE4ELNS1_11target_archE910ELNS1_3gpuE8ELNS1_3repE0EEENS1_48merge_mergepath_partition_config_static_selectorELNS0_4arch9wavefront6targetE0EEEvSM_.kd
    .uniform_work_group_size: 1
    .uses_dynamic_stack: false
    .vgpr_count:     0
    .vgpr_spill_count: 0
    .wavefront_size: 32
    .workgroup_processor_mode: 1
  - .args:
      - .offset:         0
        .size:           56
        .value_kind:     by_value
    .group_segment_fixed_size: 0
    .kernarg_segment_align: 8
    .kernarg_segment_size: 56
    .language:       OpenCL C
    .language_version:
      - 2
      - 0
    .max_flat_workgroup_size: 128
    .name:           _ZN7rocprim17ROCPRIM_400000_NS6detail17trampoline_kernelINS0_14default_configENS1_38merge_sort_block_merge_config_selectorIlNS0_10empty_typeEEEZZNS1_27merge_sort_block_merge_implIS3_PlPS5_mZN2at6native12_GLOBAL__N_124unique_dim_cuda_templateIlEESt5tupleIJNSA_6TensorESF_SF_EERKSF_lbbbEUlllE_EE10hipError_tT0_T1_T2_jT3_P12ihipStream_tbPNSt15iterator_traitsISL_E10value_typeEPNSR_ISM_E10value_typeEPSN_NS1_7vsmem_tEENKUlT_SL_SM_SN_E_clIS8_S8_S9_S9_EESK_S10_SL_SM_SN_EUlS10_E_NS1_11comp_targetILNS1_3genE3ELNS1_11target_archE908ELNS1_3gpuE7ELNS1_3repE0EEENS1_48merge_mergepath_partition_config_static_selectorELNS0_4arch9wavefront6targetE0EEEvSM_
    .private_segment_fixed_size: 0
    .sgpr_count:     0
    .sgpr_spill_count: 0
    .symbol:         _ZN7rocprim17ROCPRIM_400000_NS6detail17trampoline_kernelINS0_14default_configENS1_38merge_sort_block_merge_config_selectorIlNS0_10empty_typeEEEZZNS1_27merge_sort_block_merge_implIS3_PlPS5_mZN2at6native12_GLOBAL__N_124unique_dim_cuda_templateIlEESt5tupleIJNSA_6TensorESF_SF_EERKSF_lbbbEUlllE_EE10hipError_tT0_T1_T2_jT3_P12ihipStream_tbPNSt15iterator_traitsISL_E10value_typeEPNSR_ISM_E10value_typeEPSN_NS1_7vsmem_tEENKUlT_SL_SM_SN_E_clIS8_S8_S9_S9_EESK_S10_SL_SM_SN_EUlS10_E_NS1_11comp_targetILNS1_3genE3ELNS1_11target_archE908ELNS1_3gpuE7ELNS1_3repE0EEENS1_48merge_mergepath_partition_config_static_selectorELNS0_4arch9wavefront6targetE0EEEvSM_.kd
    .uniform_work_group_size: 1
    .uses_dynamic_stack: false
    .vgpr_count:     0
    .vgpr_spill_count: 0
    .wavefront_size: 32
    .workgroup_processor_mode: 1
  - .args:
      - .offset:         0
        .size:           56
        .value_kind:     by_value
    .group_segment_fixed_size: 0
    .kernarg_segment_align: 8
    .kernarg_segment_size: 56
    .language:       OpenCL C
    .language_version:
      - 2
      - 0
    .max_flat_workgroup_size: 128
    .name:           _ZN7rocprim17ROCPRIM_400000_NS6detail17trampoline_kernelINS0_14default_configENS1_38merge_sort_block_merge_config_selectorIlNS0_10empty_typeEEEZZNS1_27merge_sort_block_merge_implIS3_PlPS5_mZN2at6native12_GLOBAL__N_124unique_dim_cuda_templateIlEESt5tupleIJNSA_6TensorESF_SF_EERKSF_lbbbEUlllE_EE10hipError_tT0_T1_T2_jT3_P12ihipStream_tbPNSt15iterator_traitsISL_E10value_typeEPNSR_ISM_E10value_typeEPSN_NS1_7vsmem_tEENKUlT_SL_SM_SN_E_clIS8_S8_S9_S9_EESK_S10_SL_SM_SN_EUlS10_E_NS1_11comp_targetILNS1_3genE2ELNS1_11target_archE906ELNS1_3gpuE6ELNS1_3repE0EEENS1_48merge_mergepath_partition_config_static_selectorELNS0_4arch9wavefront6targetE0EEEvSM_
    .private_segment_fixed_size: 0
    .sgpr_count:     0
    .sgpr_spill_count: 0
    .symbol:         _ZN7rocprim17ROCPRIM_400000_NS6detail17trampoline_kernelINS0_14default_configENS1_38merge_sort_block_merge_config_selectorIlNS0_10empty_typeEEEZZNS1_27merge_sort_block_merge_implIS3_PlPS5_mZN2at6native12_GLOBAL__N_124unique_dim_cuda_templateIlEESt5tupleIJNSA_6TensorESF_SF_EERKSF_lbbbEUlllE_EE10hipError_tT0_T1_T2_jT3_P12ihipStream_tbPNSt15iterator_traitsISL_E10value_typeEPNSR_ISM_E10value_typeEPSN_NS1_7vsmem_tEENKUlT_SL_SM_SN_E_clIS8_S8_S9_S9_EESK_S10_SL_SM_SN_EUlS10_E_NS1_11comp_targetILNS1_3genE2ELNS1_11target_archE906ELNS1_3gpuE6ELNS1_3repE0EEENS1_48merge_mergepath_partition_config_static_selectorELNS0_4arch9wavefront6targetE0EEEvSM_.kd
    .uniform_work_group_size: 1
    .uses_dynamic_stack: false
    .vgpr_count:     0
    .vgpr_spill_count: 0
    .wavefront_size: 32
    .workgroup_processor_mode: 1
  - .args:
      - .offset:         0
        .size:           56
        .value_kind:     by_value
    .group_segment_fixed_size: 0
    .kernarg_segment_align: 8
    .kernarg_segment_size: 56
    .language:       OpenCL C
    .language_version:
      - 2
      - 0
    .max_flat_workgroup_size: 128
    .name:           _ZN7rocprim17ROCPRIM_400000_NS6detail17trampoline_kernelINS0_14default_configENS1_38merge_sort_block_merge_config_selectorIlNS0_10empty_typeEEEZZNS1_27merge_sort_block_merge_implIS3_PlPS5_mZN2at6native12_GLOBAL__N_124unique_dim_cuda_templateIlEESt5tupleIJNSA_6TensorESF_SF_EERKSF_lbbbEUlllE_EE10hipError_tT0_T1_T2_jT3_P12ihipStream_tbPNSt15iterator_traitsISL_E10value_typeEPNSR_ISM_E10value_typeEPSN_NS1_7vsmem_tEENKUlT_SL_SM_SN_E_clIS8_S8_S9_S9_EESK_S10_SL_SM_SN_EUlS10_E_NS1_11comp_targetILNS1_3genE9ELNS1_11target_archE1100ELNS1_3gpuE3ELNS1_3repE0EEENS1_48merge_mergepath_partition_config_static_selectorELNS0_4arch9wavefront6targetE0EEEvSM_
    .private_segment_fixed_size: 0
    .sgpr_count:     23
    .sgpr_spill_count: 0
    .symbol:         _ZN7rocprim17ROCPRIM_400000_NS6detail17trampoline_kernelINS0_14default_configENS1_38merge_sort_block_merge_config_selectorIlNS0_10empty_typeEEEZZNS1_27merge_sort_block_merge_implIS3_PlPS5_mZN2at6native12_GLOBAL__N_124unique_dim_cuda_templateIlEESt5tupleIJNSA_6TensorESF_SF_EERKSF_lbbbEUlllE_EE10hipError_tT0_T1_T2_jT3_P12ihipStream_tbPNSt15iterator_traitsISL_E10value_typeEPNSR_ISM_E10value_typeEPSN_NS1_7vsmem_tEENKUlT_SL_SM_SN_E_clIS8_S8_S9_S9_EESK_S10_SL_SM_SN_EUlS10_E_NS1_11comp_targetILNS1_3genE9ELNS1_11target_archE1100ELNS1_3gpuE3ELNS1_3repE0EEENS1_48merge_mergepath_partition_config_static_selectorELNS0_4arch9wavefront6targetE0EEEvSM_.kd
    .uniform_work_group_size: 1
    .uses_dynamic_stack: false
    .vgpr_count:     22
    .vgpr_spill_count: 0
    .wavefront_size: 32
    .workgroup_processor_mode: 1
  - .args:
      - .offset:         0
        .size:           56
        .value_kind:     by_value
    .group_segment_fixed_size: 0
    .kernarg_segment_align: 8
    .kernarg_segment_size: 56
    .language:       OpenCL C
    .language_version:
      - 2
      - 0
    .max_flat_workgroup_size: 128
    .name:           _ZN7rocprim17ROCPRIM_400000_NS6detail17trampoline_kernelINS0_14default_configENS1_38merge_sort_block_merge_config_selectorIlNS0_10empty_typeEEEZZNS1_27merge_sort_block_merge_implIS3_PlPS5_mZN2at6native12_GLOBAL__N_124unique_dim_cuda_templateIlEESt5tupleIJNSA_6TensorESF_SF_EERKSF_lbbbEUlllE_EE10hipError_tT0_T1_T2_jT3_P12ihipStream_tbPNSt15iterator_traitsISL_E10value_typeEPNSR_ISM_E10value_typeEPSN_NS1_7vsmem_tEENKUlT_SL_SM_SN_E_clIS8_S8_S9_S9_EESK_S10_SL_SM_SN_EUlS10_E_NS1_11comp_targetILNS1_3genE8ELNS1_11target_archE1030ELNS1_3gpuE2ELNS1_3repE0EEENS1_48merge_mergepath_partition_config_static_selectorELNS0_4arch9wavefront6targetE0EEEvSM_
    .private_segment_fixed_size: 0
    .sgpr_count:     0
    .sgpr_spill_count: 0
    .symbol:         _ZN7rocprim17ROCPRIM_400000_NS6detail17trampoline_kernelINS0_14default_configENS1_38merge_sort_block_merge_config_selectorIlNS0_10empty_typeEEEZZNS1_27merge_sort_block_merge_implIS3_PlPS5_mZN2at6native12_GLOBAL__N_124unique_dim_cuda_templateIlEESt5tupleIJNSA_6TensorESF_SF_EERKSF_lbbbEUlllE_EE10hipError_tT0_T1_T2_jT3_P12ihipStream_tbPNSt15iterator_traitsISL_E10value_typeEPNSR_ISM_E10value_typeEPSN_NS1_7vsmem_tEENKUlT_SL_SM_SN_E_clIS8_S8_S9_S9_EESK_S10_SL_SM_SN_EUlS10_E_NS1_11comp_targetILNS1_3genE8ELNS1_11target_archE1030ELNS1_3gpuE2ELNS1_3repE0EEENS1_48merge_mergepath_partition_config_static_selectorELNS0_4arch9wavefront6targetE0EEEvSM_.kd
    .uniform_work_group_size: 1
    .uses_dynamic_stack: false
    .vgpr_count:     0
    .vgpr_spill_count: 0
    .wavefront_size: 32
    .workgroup_processor_mode: 1
  - .args:
      - .offset:         0
        .size:           88
        .value_kind:     by_value
    .group_segment_fixed_size: 0
    .kernarg_segment_align: 8
    .kernarg_segment_size: 88
    .language:       OpenCL C
    .language_version:
      - 2
      - 0
    .max_flat_workgroup_size: 128
    .name:           _ZN7rocprim17ROCPRIM_400000_NS6detail17trampoline_kernelINS0_14default_configENS1_38merge_sort_block_merge_config_selectorIlNS0_10empty_typeEEEZZNS1_27merge_sort_block_merge_implIS3_PlPS5_mZN2at6native12_GLOBAL__N_124unique_dim_cuda_templateIlEESt5tupleIJNSA_6TensorESF_SF_EERKSF_lbbbEUlllE_EE10hipError_tT0_T1_T2_jT3_P12ihipStream_tbPNSt15iterator_traitsISL_E10value_typeEPNSR_ISM_E10value_typeEPSN_NS1_7vsmem_tEENKUlT_SL_SM_SN_E_clIS8_S8_S9_S9_EESK_S10_SL_SM_SN_EUlS10_E0_NS1_11comp_targetILNS1_3genE0ELNS1_11target_archE4294967295ELNS1_3gpuE0ELNS1_3repE0EEENS1_38merge_mergepath_config_static_selectorELNS0_4arch9wavefront6targetE0EEEvSM_
    .private_segment_fixed_size: 0
    .sgpr_count:     0
    .sgpr_spill_count: 0
    .symbol:         _ZN7rocprim17ROCPRIM_400000_NS6detail17trampoline_kernelINS0_14default_configENS1_38merge_sort_block_merge_config_selectorIlNS0_10empty_typeEEEZZNS1_27merge_sort_block_merge_implIS3_PlPS5_mZN2at6native12_GLOBAL__N_124unique_dim_cuda_templateIlEESt5tupleIJNSA_6TensorESF_SF_EERKSF_lbbbEUlllE_EE10hipError_tT0_T1_T2_jT3_P12ihipStream_tbPNSt15iterator_traitsISL_E10value_typeEPNSR_ISM_E10value_typeEPSN_NS1_7vsmem_tEENKUlT_SL_SM_SN_E_clIS8_S8_S9_S9_EESK_S10_SL_SM_SN_EUlS10_E0_NS1_11comp_targetILNS1_3genE0ELNS1_11target_archE4294967295ELNS1_3gpuE0ELNS1_3repE0EEENS1_38merge_mergepath_config_static_selectorELNS0_4arch9wavefront6targetE0EEEvSM_.kd
    .uniform_work_group_size: 1
    .uses_dynamic_stack: false
    .vgpr_count:     0
    .vgpr_spill_count: 0
    .wavefront_size: 32
    .workgroup_processor_mode: 1
  - .args:
      - .offset:         0
        .size:           88
        .value_kind:     by_value
    .group_segment_fixed_size: 0
    .kernarg_segment_align: 8
    .kernarg_segment_size: 88
    .language:       OpenCL C
    .language_version:
      - 2
      - 0
    .max_flat_workgroup_size: 512
    .name:           _ZN7rocprim17ROCPRIM_400000_NS6detail17trampoline_kernelINS0_14default_configENS1_38merge_sort_block_merge_config_selectorIlNS0_10empty_typeEEEZZNS1_27merge_sort_block_merge_implIS3_PlPS5_mZN2at6native12_GLOBAL__N_124unique_dim_cuda_templateIlEESt5tupleIJNSA_6TensorESF_SF_EERKSF_lbbbEUlllE_EE10hipError_tT0_T1_T2_jT3_P12ihipStream_tbPNSt15iterator_traitsISL_E10value_typeEPNSR_ISM_E10value_typeEPSN_NS1_7vsmem_tEENKUlT_SL_SM_SN_E_clIS8_S8_S9_S9_EESK_S10_SL_SM_SN_EUlS10_E0_NS1_11comp_targetILNS1_3genE10ELNS1_11target_archE1201ELNS1_3gpuE5ELNS1_3repE0EEENS1_38merge_mergepath_config_static_selectorELNS0_4arch9wavefront6targetE0EEEvSM_
    .private_segment_fixed_size: 0
    .sgpr_count:     0
    .sgpr_spill_count: 0
    .symbol:         _ZN7rocprim17ROCPRIM_400000_NS6detail17trampoline_kernelINS0_14default_configENS1_38merge_sort_block_merge_config_selectorIlNS0_10empty_typeEEEZZNS1_27merge_sort_block_merge_implIS3_PlPS5_mZN2at6native12_GLOBAL__N_124unique_dim_cuda_templateIlEESt5tupleIJNSA_6TensorESF_SF_EERKSF_lbbbEUlllE_EE10hipError_tT0_T1_T2_jT3_P12ihipStream_tbPNSt15iterator_traitsISL_E10value_typeEPNSR_ISM_E10value_typeEPSN_NS1_7vsmem_tEENKUlT_SL_SM_SN_E_clIS8_S8_S9_S9_EESK_S10_SL_SM_SN_EUlS10_E0_NS1_11comp_targetILNS1_3genE10ELNS1_11target_archE1201ELNS1_3gpuE5ELNS1_3repE0EEENS1_38merge_mergepath_config_static_selectorELNS0_4arch9wavefront6targetE0EEEvSM_.kd
    .uniform_work_group_size: 1
    .uses_dynamic_stack: false
    .vgpr_count:     0
    .vgpr_spill_count: 0
    .wavefront_size: 32
    .workgroup_processor_mode: 1
  - .args:
      - .offset:         0
        .size:           88
        .value_kind:     by_value
    .group_segment_fixed_size: 0
    .kernarg_segment_align: 8
    .kernarg_segment_size: 88
    .language:       OpenCL C
    .language_version:
      - 2
      - 0
    .max_flat_workgroup_size: 128
    .name:           _ZN7rocprim17ROCPRIM_400000_NS6detail17trampoline_kernelINS0_14default_configENS1_38merge_sort_block_merge_config_selectorIlNS0_10empty_typeEEEZZNS1_27merge_sort_block_merge_implIS3_PlPS5_mZN2at6native12_GLOBAL__N_124unique_dim_cuda_templateIlEESt5tupleIJNSA_6TensorESF_SF_EERKSF_lbbbEUlllE_EE10hipError_tT0_T1_T2_jT3_P12ihipStream_tbPNSt15iterator_traitsISL_E10value_typeEPNSR_ISM_E10value_typeEPSN_NS1_7vsmem_tEENKUlT_SL_SM_SN_E_clIS8_S8_S9_S9_EESK_S10_SL_SM_SN_EUlS10_E0_NS1_11comp_targetILNS1_3genE5ELNS1_11target_archE942ELNS1_3gpuE9ELNS1_3repE0EEENS1_38merge_mergepath_config_static_selectorELNS0_4arch9wavefront6targetE0EEEvSM_
    .private_segment_fixed_size: 0
    .sgpr_count:     0
    .sgpr_spill_count: 0
    .symbol:         _ZN7rocprim17ROCPRIM_400000_NS6detail17trampoline_kernelINS0_14default_configENS1_38merge_sort_block_merge_config_selectorIlNS0_10empty_typeEEEZZNS1_27merge_sort_block_merge_implIS3_PlPS5_mZN2at6native12_GLOBAL__N_124unique_dim_cuda_templateIlEESt5tupleIJNSA_6TensorESF_SF_EERKSF_lbbbEUlllE_EE10hipError_tT0_T1_T2_jT3_P12ihipStream_tbPNSt15iterator_traitsISL_E10value_typeEPNSR_ISM_E10value_typeEPSN_NS1_7vsmem_tEENKUlT_SL_SM_SN_E_clIS8_S8_S9_S9_EESK_S10_SL_SM_SN_EUlS10_E0_NS1_11comp_targetILNS1_3genE5ELNS1_11target_archE942ELNS1_3gpuE9ELNS1_3repE0EEENS1_38merge_mergepath_config_static_selectorELNS0_4arch9wavefront6targetE0EEEvSM_.kd
    .uniform_work_group_size: 1
    .uses_dynamic_stack: false
    .vgpr_count:     0
    .vgpr_spill_count: 0
    .wavefront_size: 32
    .workgroup_processor_mode: 1
  - .args:
      - .offset:         0
        .size:           88
        .value_kind:     by_value
    .group_segment_fixed_size: 0
    .kernarg_segment_align: 8
    .kernarg_segment_size: 88
    .language:       OpenCL C
    .language_version:
      - 2
      - 0
    .max_flat_workgroup_size: 256
    .name:           _ZN7rocprim17ROCPRIM_400000_NS6detail17trampoline_kernelINS0_14default_configENS1_38merge_sort_block_merge_config_selectorIlNS0_10empty_typeEEEZZNS1_27merge_sort_block_merge_implIS3_PlPS5_mZN2at6native12_GLOBAL__N_124unique_dim_cuda_templateIlEESt5tupleIJNSA_6TensorESF_SF_EERKSF_lbbbEUlllE_EE10hipError_tT0_T1_T2_jT3_P12ihipStream_tbPNSt15iterator_traitsISL_E10value_typeEPNSR_ISM_E10value_typeEPSN_NS1_7vsmem_tEENKUlT_SL_SM_SN_E_clIS8_S8_S9_S9_EESK_S10_SL_SM_SN_EUlS10_E0_NS1_11comp_targetILNS1_3genE4ELNS1_11target_archE910ELNS1_3gpuE8ELNS1_3repE0EEENS1_38merge_mergepath_config_static_selectorELNS0_4arch9wavefront6targetE0EEEvSM_
    .private_segment_fixed_size: 0
    .sgpr_count:     0
    .sgpr_spill_count: 0
    .symbol:         _ZN7rocprim17ROCPRIM_400000_NS6detail17trampoline_kernelINS0_14default_configENS1_38merge_sort_block_merge_config_selectorIlNS0_10empty_typeEEEZZNS1_27merge_sort_block_merge_implIS3_PlPS5_mZN2at6native12_GLOBAL__N_124unique_dim_cuda_templateIlEESt5tupleIJNSA_6TensorESF_SF_EERKSF_lbbbEUlllE_EE10hipError_tT0_T1_T2_jT3_P12ihipStream_tbPNSt15iterator_traitsISL_E10value_typeEPNSR_ISM_E10value_typeEPSN_NS1_7vsmem_tEENKUlT_SL_SM_SN_E_clIS8_S8_S9_S9_EESK_S10_SL_SM_SN_EUlS10_E0_NS1_11comp_targetILNS1_3genE4ELNS1_11target_archE910ELNS1_3gpuE8ELNS1_3repE0EEENS1_38merge_mergepath_config_static_selectorELNS0_4arch9wavefront6targetE0EEEvSM_.kd
    .uniform_work_group_size: 1
    .uses_dynamic_stack: false
    .vgpr_count:     0
    .vgpr_spill_count: 0
    .wavefront_size: 32
    .workgroup_processor_mode: 1
  - .args:
      - .offset:         0
        .size:           88
        .value_kind:     by_value
    .group_segment_fixed_size: 0
    .kernarg_segment_align: 8
    .kernarg_segment_size: 88
    .language:       OpenCL C
    .language_version:
      - 2
      - 0
    .max_flat_workgroup_size: 128
    .name:           _ZN7rocprim17ROCPRIM_400000_NS6detail17trampoline_kernelINS0_14default_configENS1_38merge_sort_block_merge_config_selectorIlNS0_10empty_typeEEEZZNS1_27merge_sort_block_merge_implIS3_PlPS5_mZN2at6native12_GLOBAL__N_124unique_dim_cuda_templateIlEESt5tupleIJNSA_6TensorESF_SF_EERKSF_lbbbEUlllE_EE10hipError_tT0_T1_T2_jT3_P12ihipStream_tbPNSt15iterator_traitsISL_E10value_typeEPNSR_ISM_E10value_typeEPSN_NS1_7vsmem_tEENKUlT_SL_SM_SN_E_clIS8_S8_S9_S9_EESK_S10_SL_SM_SN_EUlS10_E0_NS1_11comp_targetILNS1_3genE3ELNS1_11target_archE908ELNS1_3gpuE7ELNS1_3repE0EEENS1_38merge_mergepath_config_static_selectorELNS0_4arch9wavefront6targetE0EEEvSM_
    .private_segment_fixed_size: 0
    .sgpr_count:     0
    .sgpr_spill_count: 0
    .symbol:         _ZN7rocprim17ROCPRIM_400000_NS6detail17trampoline_kernelINS0_14default_configENS1_38merge_sort_block_merge_config_selectorIlNS0_10empty_typeEEEZZNS1_27merge_sort_block_merge_implIS3_PlPS5_mZN2at6native12_GLOBAL__N_124unique_dim_cuda_templateIlEESt5tupleIJNSA_6TensorESF_SF_EERKSF_lbbbEUlllE_EE10hipError_tT0_T1_T2_jT3_P12ihipStream_tbPNSt15iterator_traitsISL_E10value_typeEPNSR_ISM_E10value_typeEPSN_NS1_7vsmem_tEENKUlT_SL_SM_SN_E_clIS8_S8_S9_S9_EESK_S10_SL_SM_SN_EUlS10_E0_NS1_11comp_targetILNS1_3genE3ELNS1_11target_archE908ELNS1_3gpuE7ELNS1_3repE0EEENS1_38merge_mergepath_config_static_selectorELNS0_4arch9wavefront6targetE0EEEvSM_.kd
    .uniform_work_group_size: 1
    .uses_dynamic_stack: false
    .vgpr_count:     0
    .vgpr_spill_count: 0
    .wavefront_size: 32
    .workgroup_processor_mode: 1
  - .args:
      - .offset:         0
        .size:           88
        .value_kind:     by_value
    .group_segment_fixed_size: 0
    .kernarg_segment_align: 8
    .kernarg_segment_size: 88
    .language:       OpenCL C
    .language_version:
      - 2
      - 0
    .max_flat_workgroup_size: 256
    .name:           _ZN7rocprim17ROCPRIM_400000_NS6detail17trampoline_kernelINS0_14default_configENS1_38merge_sort_block_merge_config_selectorIlNS0_10empty_typeEEEZZNS1_27merge_sort_block_merge_implIS3_PlPS5_mZN2at6native12_GLOBAL__N_124unique_dim_cuda_templateIlEESt5tupleIJNSA_6TensorESF_SF_EERKSF_lbbbEUlllE_EE10hipError_tT0_T1_T2_jT3_P12ihipStream_tbPNSt15iterator_traitsISL_E10value_typeEPNSR_ISM_E10value_typeEPSN_NS1_7vsmem_tEENKUlT_SL_SM_SN_E_clIS8_S8_S9_S9_EESK_S10_SL_SM_SN_EUlS10_E0_NS1_11comp_targetILNS1_3genE2ELNS1_11target_archE906ELNS1_3gpuE6ELNS1_3repE0EEENS1_38merge_mergepath_config_static_selectorELNS0_4arch9wavefront6targetE0EEEvSM_
    .private_segment_fixed_size: 0
    .sgpr_count:     0
    .sgpr_spill_count: 0
    .symbol:         _ZN7rocprim17ROCPRIM_400000_NS6detail17trampoline_kernelINS0_14default_configENS1_38merge_sort_block_merge_config_selectorIlNS0_10empty_typeEEEZZNS1_27merge_sort_block_merge_implIS3_PlPS5_mZN2at6native12_GLOBAL__N_124unique_dim_cuda_templateIlEESt5tupleIJNSA_6TensorESF_SF_EERKSF_lbbbEUlllE_EE10hipError_tT0_T1_T2_jT3_P12ihipStream_tbPNSt15iterator_traitsISL_E10value_typeEPNSR_ISM_E10value_typeEPSN_NS1_7vsmem_tEENKUlT_SL_SM_SN_E_clIS8_S8_S9_S9_EESK_S10_SL_SM_SN_EUlS10_E0_NS1_11comp_targetILNS1_3genE2ELNS1_11target_archE906ELNS1_3gpuE6ELNS1_3repE0EEENS1_38merge_mergepath_config_static_selectorELNS0_4arch9wavefront6targetE0EEEvSM_.kd
    .uniform_work_group_size: 1
    .uses_dynamic_stack: false
    .vgpr_count:     0
    .vgpr_spill_count: 0
    .wavefront_size: 32
    .workgroup_processor_mode: 1
  - .args:
      - .offset:         0
        .size:           88
        .value_kind:     by_value
      - .offset:         88
        .size:           4
        .value_kind:     hidden_block_count_x
      - .offset:         92
        .size:           4
        .value_kind:     hidden_block_count_y
      - .offset:         96
        .size:           4
        .value_kind:     hidden_block_count_z
      - .offset:         100
        .size:           2
        .value_kind:     hidden_group_size_x
      - .offset:         102
        .size:           2
        .value_kind:     hidden_group_size_y
      - .offset:         104
        .size:           2
        .value_kind:     hidden_group_size_z
      - .offset:         106
        .size:           2
        .value_kind:     hidden_remainder_x
      - .offset:         108
        .size:           2
        .value_kind:     hidden_remainder_y
      - .offset:         110
        .size:           2
        .value_kind:     hidden_remainder_z
      - .offset:         128
        .size:           8
        .value_kind:     hidden_global_offset_x
      - .offset:         136
        .size:           8
        .value_kind:     hidden_global_offset_y
      - .offset:         144
        .size:           8
        .value_kind:     hidden_global_offset_z
      - .offset:         152
        .size:           2
        .value_kind:     hidden_grid_dims
    .group_segment_fixed_size: 8448
    .kernarg_segment_align: 8
    .kernarg_segment_size: 344
    .language:       OpenCL C
    .language_version:
      - 2
      - 0
    .max_flat_workgroup_size: 512
    .name:           _ZN7rocprim17ROCPRIM_400000_NS6detail17trampoline_kernelINS0_14default_configENS1_38merge_sort_block_merge_config_selectorIlNS0_10empty_typeEEEZZNS1_27merge_sort_block_merge_implIS3_PlPS5_mZN2at6native12_GLOBAL__N_124unique_dim_cuda_templateIlEESt5tupleIJNSA_6TensorESF_SF_EERKSF_lbbbEUlllE_EE10hipError_tT0_T1_T2_jT3_P12ihipStream_tbPNSt15iterator_traitsISL_E10value_typeEPNSR_ISM_E10value_typeEPSN_NS1_7vsmem_tEENKUlT_SL_SM_SN_E_clIS8_S8_S9_S9_EESK_S10_SL_SM_SN_EUlS10_E0_NS1_11comp_targetILNS1_3genE9ELNS1_11target_archE1100ELNS1_3gpuE3ELNS1_3repE0EEENS1_38merge_mergepath_config_static_selectorELNS0_4arch9wavefront6targetE0EEEvSM_
    .private_segment_fixed_size: 0
    .sgpr_count:     34
    .sgpr_spill_count: 0
    .symbol:         _ZN7rocprim17ROCPRIM_400000_NS6detail17trampoline_kernelINS0_14default_configENS1_38merge_sort_block_merge_config_selectorIlNS0_10empty_typeEEEZZNS1_27merge_sort_block_merge_implIS3_PlPS5_mZN2at6native12_GLOBAL__N_124unique_dim_cuda_templateIlEESt5tupleIJNSA_6TensorESF_SF_EERKSF_lbbbEUlllE_EE10hipError_tT0_T1_T2_jT3_P12ihipStream_tbPNSt15iterator_traitsISL_E10value_typeEPNSR_ISM_E10value_typeEPSN_NS1_7vsmem_tEENKUlT_SL_SM_SN_E_clIS8_S8_S9_S9_EESK_S10_SL_SM_SN_EUlS10_E0_NS1_11comp_targetILNS1_3genE9ELNS1_11target_archE1100ELNS1_3gpuE3ELNS1_3repE0EEENS1_38merge_mergepath_config_static_selectorELNS0_4arch9wavefront6targetE0EEEvSM_.kd
    .uniform_work_group_size: 1
    .uses_dynamic_stack: false
    .vgpr_count:     21
    .vgpr_spill_count: 0
    .wavefront_size: 32
    .workgroup_processor_mode: 1
  - .args:
      - .offset:         0
        .size:           88
        .value_kind:     by_value
    .group_segment_fixed_size: 0
    .kernarg_segment_align: 8
    .kernarg_segment_size: 88
    .language:       OpenCL C
    .language_version:
      - 2
      - 0
    .max_flat_workgroup_size: 1024
    .name:           _ZN7rocprim17ROCPRIM_400000_NS6detail17trampoline_kernelINS0_14default_configENS1_38merge_sort_block_merge_config_selectorIlNS0_10empty_typeEEEZZNS1_27merge_sort_block_merge_implIS3_PlPS5_mZN2at6native12_GLOBAL__N_124unique_dim_cuda_templateIlEESt5tupleIJNSA_6TensorESF_SF_EERKSF_lbbbEUlllE_EE10hipError_tT0_T1_T2_jT3_P12ihipStream_tbPNSt15iterator_traitsISL_E10value_typeEPNSR_ISM_E10value_typeEPSN_NS1_7vsmem_tEENKUlT_SL_SM_SN_E_clIS8_S8_S9_S9_EESK_S10_SL_SM_SN_EUlS10_E0_NS1_11comp_targetILNS1_3genE8ELNS1_11target_archE1030ELNS1_3gpuE2ELNS1_3repE0EEENS1_38merge_mergepath_config_static_selectorELNS0_4arch9wavefront6targetE0EEEvSM_
    .private_segment_fixed_size: 0
    .sgpr_count:     0
    .sgpr_spill_count: 0
    .symbol:         _ZN7rocprim17ROCPRIM_400000_NS6detail17trampoline_kernelINS0_14default_configENS1_38merge_sort_block_merge_config_selectorIlNS0_10empty_typeEEEZZNS1_27merge_sort_block_merge_implIS3_PlPS5_mZN2at6native12_GLOBAL__N_124unique_dim_cuda_templateIlEESt5tupleIJNSA_6TensorESF_SF_EERKSF_lbbbEUlllE_EE10hipError_tT0_T1_T2_jT3_P12ihipStream_tbPNSt15iterator_traitsISL_E10value_typeEPNSR_ISM_E10value_typeEPSN_NS1_7vsmem_tEENKUlT_SL_SM_SN_E_clIS8_S8_S9_S9_EESK_S10_SL_SM_SN_EUlS10_E0_NS1_11comp_targetILNS1_3genE8ELNS1_11target_archE1030ELNS1_3gpuE2ELNS1_3repE0EEENS1_38merge_mergepath_config_static_selectorELNS0_4arch9wavefront6targetE0EEEvSM_.kd
    .uniform_work_group_size: 1
    .uses_dynamic_stack: false
    .vgpr_count:     0
    .vgpr_spill_count: 0
    .wavefront_size: 32
    .workgroup_processor_mode: 1
  - .args:
      - .offset:         0
        .size:           64
        .value_kind:     by_value
    .group_segment_fixed_size: 0
    .kernarg_segment_align: 8
    .kernarg_segment_size: 64
    .language:       OpenCL C
    .language_version:
      - 2
      - 0
    .max_flat_workgroup_size: 256
    .name:           _ZN7rocprim17ROCPRIM_400000_NS6detail17trampoline_kernelINS0_14default_configENS1_38merge_sort_block_merge_config_selectorIlNS0_10empty_typeEEEZZNS1_27merge_sort_block_merge_implIS3_PlPS5_mZN2at6native12_GLOBAL__N_124unique_dim_cuda_templateIlEESt5tupleIJNSA_6TensorESF_SF_EERKSF_lbbbEUlllE_EE10hipError_tT0_T1_T2_jT3_P12ihipStream_tbPNSt15iterator_traitsISL_E10value_typeEPNSR_ISM_E10value_typeEPSN_NS1_7vsmem_tEENKUlT_SL_SM_SN_E_clIS8_S8_S9_S9_EESK_S10_SL_SM_SN_EUlS10_E1_NS1_11comp_targetILNS1_3genE0ELNS1_11target_archE4294967295ELNS1_3gpuE0ELNS1_3repE0EEENS1_36merge_oddeven_config_static_selectorELNS0_4arch9wavefront6targetE0EEEvSM_
    .private_segment_fixed_size: 0
    .sgpr_count:     0
    .sgpr_spill_count: 0
    .symbol:         _ZN7rocprim17ROCPRIM_400000_NS6detail17trampoline_kernelINS0_14default_configENS1_38merge_sort_block_merge_config_selectorIlNS0_10empty_typeEEEZZNS1_27merge_sort_block_merge_implIS3_PlPS5_mZN2at6native12_GLOBAL__N_124unique_dim_cuda_templateIlEESt5tupleIJNSA_6TensorESF_SF_EERKSF_lbbbEUlllE_EE10hipError_tT0_T1_T2_jT3_P12ihipStream_tbPNSt15iterator_traitsISL_E10value_typeEPNSR_ISM_E10value_typeEPSN_NS1_7vsmem_tEENKUlT_SL_SM_SN_E_clIS8_S8_S9_S9_EESK_S10_SL_SM_SN_EUlS10_E1_NS1_11comp_targetILNS1_3genE0ELNS1_11target_archE4294967295ELNS1_3gpuE0ELNS1_3repE0EEENS1_36merge_oddeven_config_static_selectorELNS0_4arch9wavefront6targetE0EEEvSM_.kd
    .uniform_work_group_size: 1
    .uses_dynamic_stack: false
    .vgpr_count:     0
    .vgpr_spill_count: 0
    .wavefront_size: 32
    .workgroup_processor_mode: 1
  - .args:
      - .offset:         0
        .size:           64
        .value_kind:     by_value
    .group_segment_fixed_size: 0
    .kernarg_segment_align: 8
    .kernarg_segment_size: 64
    .language:       OpenCL C
    .language_version:
      - 2
      - 0
    .max_flat_workgroup_size: 256
    .name:           _ZN7rocprim17ROCPRIM_400000_NS6detail17trampoline_kernelINS0_14default_configENS1_38merge_sort_block_merge_config_selectorIlNS0_10empty_typeEEEZZNS1_27merge_sort_block_merge_implIS3_PlPS5_mZN2at6native12_GLOBAL__N_124unique_dim_cuda_templateIlEESt5tupleIJNSA_6TensorESF_SF_EERKSF_lbbbEUlllE_EE10hipError_tT0_T1_T2_jT3_P12ihipStream_tbPNSt15iterator_traitsISL_E10value_typeEPNSR_ISM_E10value_typeEPSN_NS1_7vsmem_tEENKUlT_SL_SM_SN_E_clIS8_S8_S9_S9_EESK_S10_SL_SM_SN_EUlS10_E1_NS1_11comp_targetILNS1_3genE10ELNS1_11target_archE1201ELNS1_3gpuE5ELNS1_3repE0EEENS1_36merge_oddeven_config_static_selectorELNS0_4arch9wavefront6targetE0EEEvSM_
    .private_segment_fixed_size: 0
    .sgpr_count:     0
    .sgpr_spill_count: 0
    .symbol:         _ZN7rocprim17ROCPRIM_400000_NS6detail17trampoline_kernelINS0_14default_configENS1_38merge_sort_block_merge_config_selectorIlNS0_10empty_typeEEEZZNS1_27merge_sort_block_merge_implIS3_PlPS5_mZN2at6native12_GLOBAL__N_124unique_dim_cuda_templateIlEESt5tupleIJNSA_6TensorESF_SF_EERKSF_lbbbEUlllE_EE10hipError_tT0_T1_T2_jT3_P12ihipStream_tbPNSt15iterator_traitsISL_E10value_typeEPNSR_ISM_E10value_typeEPSN_NS1_7vsmem_tEENKUlT_SL_SM_SN_E_clIS8_S8_S9_S9_EESK_S10_SL_SM_SN_EUlS10_E1_NS1_11comp_targetILNS1_3genE10ELNS1_11target_archE1201ELNS1_3gpuE5ELNS1_3repE0EEENS1_36merge_oddeven_config_static_selectorELNS0_4arch9wavefront6targetE0EEEvSM_.kd
    .uniform_work_group_size: 1
    .uses_dynamic_stack: false
    .vgpr_count:     0
    .vgpr_spill_count: 0
    .wavefront_size: 32
    .workgroup_processor_mode: 1
  - .args:
      - .offset:         0
        .size:           64
        .value_kind:     by_value
    .group_segment_fixed_size: 0
    .kernarg_segment_align: 8
    .kernarg_segment_size: 64
    .language:       OpenCL C
    .language_version:
      - 2
      - 0
    .max_flat_workgroup_size: 256
    .name:           _ZN7rocprim17ROCPRIM_400000_NS6detail17trampoline_kernelINS0_14default_configENS1_38merge_sort_block_merge_config_selectorIlNS0_10empty_typeEEEZZNS1_27merge_sort_block_merge_implIS3_PlPS5_mZN2at6native12_GLOBAL__N_124unique_dim_cuda_templateIlEESt5tupleIJNSA_6TensorESF_SF_EERKSF_lbbbEUlllE_EE10hipError_tT0_T1_T2_jT3_P12ihipStream_tbPNSt15iterator_traitsISL_E10value_typeEPNSR_ISM_E10value_typeEPSN_NS1_7vsmem_tEENKUlT_SL_SM_SN_E_clIS8_S8_S9_S9_EESK_S10_SL_SM_SN_EUlS10_E1_NS1_11comp_targetILNS1_3genE5ELNS1_11target_archE942ELNS1_3gpuE9ELNS1_3repE0EEENS1_36merge_oddeven_config_static_selectorELNS0_4arch9wavefront6targetE0EEEvSM_
    .private_segment_fixed_size: 0
    .sgpr_count:     0
    .sgpr_spill_count: 0
    .symbol:         _ZN7rocprim17ROCPRIM_400000_NS6detail17trampoline_kernelINS0_14default_configENS1_38merge_sort_block_merge_config_selectorIlNS0_10empty_typeEEEZZNS1_27merge_sort_block_merge_implIS3_PlPS5_mZN2at6native12_GLOBAL__N_124unique_dim_cuda_templateIlEESt5tupleIJNSA_6TensorESF_SF_EERKSF_lbbbEUlllE_EE10hipError_tT0_T1_T2_jT3_P12ihipStream_tbPNSt15iterator_traitsISL_E10value_typeEPNSR_ISM_E10value_typeEPSN_NS1_7vsmem_tEENKUlT_SL_SM_SN_E_clIS8_S8_S9_S9_EESK_S10_SL_SM_SN_EUlS10_E1_NS1_11comp_targetILNS1_3genE5ELNS1_11target_archE942ELNS1_3gpuE9ELNS1_3repE0EEENS1_36merge_oddeven_config_static_selectorELNS0_4arch9wavefront6targetE0EEEvSM_.kd
    .uniform_work_group_size: 1
    .uses_dynamic_stack: false
    .vgpr_count:     0
    .vgpr_spill_count: 0
    .wavefront_size: 32
    .workgroup_processor_mode: 1
  - .args:
      - .offset:         0
        .size:           64
        .value_kind:     by_value
    .group_segment_fixed_size: 0
    .kernarg_segment_align: 8
    .kernarg_segment_size: 64
    .language:       OpenCL C
    .language_version:
      - 2
      - 0
    .max_flat_workgroup_size: 256
    .name:           _ZN7rocprim17ROCPRIM_400000_NS6detail17trampoline_kernelINS0_14default_configENS1_38merge_sort_block_merge_config_selectorIlNS0_10empty_typeEEEZZNS1_27merge_sort_block_merge_implIS3_PlPS5_mZN2at6native12_GLOBAL__N_124unique_dim_cuda_templateIlEESt5tupleIJNSA_6TensorESF_SF_EERKSF_lbbbEUlllE_EE10hipError_tT0_T1_T2_jT3_P12ihipStream_tbPNSt15iterator_traitsISL_E10value_typeEPNSR_ISM_E10value_typeEPSN_NS1_7vsmem_tEENKUlT_SL_SM_SN_E_clIS8_S8_S9_S9_EESK_S10_SL_SM_SN_EUlS10_E1_NS1_11comp_targetILNS1_3genE4ELNS1_11target_archE910ELNS1_3gpuE8ELNS1_3repE0EEENS1_36merge_oddeven_config_static_selectorELNS0_4arch9wavefront6targetE0EEEvSM_
    .private_segment_fixed_size: 0
    .sgpr_count:     0
    .sgpr_spill_count: 0
    .symbol:         _ZN7rocprim17ROCPRIM_400000_NS6detail17trampoline_kernelINS0_14default_configENS1_38merge_sort_block_merge_config_selectorIlNS0_10empty_typeEEEZZNS1_27merge_sort_block_merge_implIS3_PlPS5_mZN2at6native12_GLOBAL__N_124unique_dim_cuda_templateIlEESt5tupleIJNSA_6TensorESF_SF_EERKSF_lbbbEUlllE_EE10hipError_tT0_T1_T2_jT3_P12ihipStream_tbPNSt15iterator_traitsISL_E10value_typeEPNSR_ISM_E10value_typeEPSN_NS1_7vsmem_tEENKUlT_SL_SM_SN_E_clIS8_S8_S9_S9_EESK_S10_SL_SM_SN_EUlS10_E1_NS1_11comp_targetILNS1_3genE4ELNS1_11target_archE910ELNS1_3gpuE8ELNS1_3repE0EEENS1_36merge_oddeven_config_static_selectorELNS0_4arch9wavefront6targetE0EEEvSM_.kd
    .uniform_work_group_size: 1
    .uses_dynamic_stack: false
    .vgpr_count:     0
    .vgpr_spill_count: 0
    .wavefront_size: 32
    .workgroup_processor_mode: 1
  - .args:
      - .offset:         0
        .size:           64
        .value_kind:     by_value
    .group_segment_fixed_size: 0
    .kernarg_segment_align: 8
    .kernarg_segment_size: 64
    .language:       OpenCL C
    .language_version:
      - 2
      - 0
    .max_flat_workgroup_size: 256
    .name:           _ZN7rocprim17ROCPRIM_400000_NS6detail17trampoline_kernelINS0_14default_configENS1_38merge_sort_block_merge_config_selectorIlNS0_10empty_typeEEEZZNS1_27merge_sort_block_merge_implIS3_PlPS5_mZN2at6native12_GLOBAL__N_124unique_dim_cuda_templateIlEESt5tupleIJNSA_6TensorESF_SF_EERKSF_lbbbEUlllE_EE10hipError_tT0_T1_T2_jT3_P12ihipStream_tbPNSt15iterator_traitsISL_E10value_typeEPNSR_ISM_E10value_typeEPSN_NS1_7vsmem_tEENKUlT_SL_SM_SN_E_clIS8_S8_S9_S9_EESK_S10_SL_SM_SN_EUlS10_E1_NS1_11comp_targetILNS1_3genE3ELNS1_11target_archE908ELNS1_3gpuE7ELNS1_3repE0EEENS1_36merge_oddeven_config_static_selectorELNS0_4arch9wavefront6targetE0EEEvSM_
    .private_segment_fixed_size: 0
    .sgpr_count:     0
    .sgpr_spill_count: 0
    .symbol:         _ZN7rocprim17ROCPRIM_400000_NS6detail17trampoline_kernelINS0_14default_configENS1_38merge_sort_block_merge_config_selectorIlNS0_10empty_typeEEEZZNS1_27merge_sort_block_merge_implIS3_PlPS5_mZN2at6native12_GLOBAL__N_124unique_dim_cuda_templateIlEESt5tupleIJNSA_6TensorESF_SF_EERKSF_lbbbEUlllE_EE10hipError_tT0_T1_T2_jT3_P12ihipStream_tbPNSt15iterator_traitsISL_E10value_typeEPNSR_ISM_E10value_typeEPSN_NS1_7vsmem_tEENKUlT_SL_SM_SN_E_clIS8_S8_S9_S9_EESK_S10_SL_SM_SN_EUlS10_E1_NS1_11comp_targetILNS1_3genE3ELNS1_11target_archE908ELNS1_3gpuE7ELNS1_3repE0EEENS1_36merge_oddeven_config_static_selectorELNS0_4arch9wavefront6targetE0EEEvSM_.kd
    .uniform_work_group_size: 1
    .uses_dynamic_stack: false
    .vgpr_count:     0
    .vgpr_spill_count: 0
    .wavefront_size: 32
    .workgroup_processor_mode: 1
  - .args:
      - .offset:         0
        .size:           64
        .value_kind:     by_value
    .group_segment_fixed_size: 0
    .kernarg_segment_align: 8
    .kernarg_segment_size: 64
    .language:       OpenCL C
    .language_version:
      - 2
      - 0
    .max_flat_workgroup_size: 256
    .name:           _ZN7rocprim17ROCPRIM_400000_NS6detail17trampoline_kernelINS0_14default_configENS1_38merge_sort_block_merge_config_selectorIlNS0_10empty_typeEEEZZNS1_27merge_sort_block_merge_implIS3_PlPS5_mZN2at6native12_GLOBAL__N_124unique_dim_cuda_templateIlEESt5tupleIJNSA_6TensorESF_SF_EERKSF_lbbbEUlllE_EE10hipError_tT0_T1_T2_jT3_P12ihipStream_tbPNSt15iterator_traitsISL_E10value_typeEPNSR_ISM_E10value_typeEPSN_NS1_7vsmem_tEENKUlT_SL_SM_SN_E_clIS8_S8_S9_S9_EESK_S10_SL_SM_SN_EUlS10_E1_NS1_11comp_targetILNS1_3genE2ELNS1_11target_archE906ELNS1_3gpuE6ELNS1_3repE0EEENS1_36merge_oddeven_config_static_selectorELNS0_4arch9wavefront6targetE0EEEvSM_
    .private_segment_fixed_size: 0
    .sgpr_count:     0
    .sgpr_spill_count: 0
    .symbol:         _ZN7rocprim17ROCPRIM_400000_NS6detail17trampoline_kernelINS0_14default_configENS1_38merge_sort_block_merge_config_selectorIlNS0_10empty_typeEEEZZNS1_27merge_sort_block_merge_implIS3_PlPS5_mZN2at6native12_GLOBAL__N_124unique_dim_cuda_templateIlEESt5tupleIJNSA_6TensorESF_SF_EERKSF_lbbbEUlllE_EE10hipError_tT0_T1_T2_jT3_P12ihipStream_tbPNSt15iterator_traitsISL_E10value_typeEPNSR_ISM_E10value_typeEPSN_NS1_7vsmem_tEENKUlT_SL_SM_SN_E_clIS8_S8_S9_S9_EESK_S10_SL_SM_SN_EUlS10_E1_NS1_11comp_targetILNS1_3genE2ELNS1_11target_archE906ELNS1_3gpuE6ELNS1_3repE0EEENS1_36merge_oddeven_config_static_selectorELNS0_4arch9wavefront6targetE0EEEvSM_.kd
    .uniform_work_group_size: 1
    .uses_dynamic_stack: false
    .vgpr_count:     0
    .vgpr_spill_count: 0
    .wavefront_size: 32
    .workgroup_processor_mode: 1
  - .args:
      - .offset:         0
        .size:           64
        .value_kind:     by_value
    .group_segment_fixed_size: 0
    .kernarg_segment_align: 8
    .kernarg_segment_size: 64
    .language:       OpenCL C
    .language_version:
      - 2
      - 0
    .max_flat_workgroup_size: 256
    .name:           _ZN7rocprim17ROCPRIM_400000_NS6detail17trampoline_kernelINS0_14default_configENS1_38merge_sort_block_merge_config_selectorIlNS0_10empty_typeEEEZZNS1_27merge_sort_block_merge_implIS3_PlPS5_mZN2at6native12_GLOBAL__N_124unique_dim_cuda_templateIlEESt5tupleIJNSA_6TensorESF_SF_EERKSF_lbbbEUlllE_EE10hipError_tT0_T1_T2_jT3_P12ihipStream_tbPNSt15iterator_traitsISL_E10value_typeEPNSR_ISM_E10value_typeEPSN_NS1_7vsmem_tEENKUlT_SL_SM_SN_E_clIS8_S8_S9_S9_EESK_S10_SL_SM_SN_EUlS10_E1_NS1_11comp_targetILNS1_3genE9ELNS1_11target_archE1100ELNS1_3gpuE3ELNS1_3repE0EEENS1_36merge_oddeven_config_static_selectorELNS0_4arch9wavefront6targetE0EEEvSM_
    .private_segment_fixed_size: 0
    .sgpr_count:     30
    .sgpr_spill_count: 0
    .symbol:         _ZN7rocprim17ROCPRIM_400000_NS6detail17trampoline_kernelINS0_14default_configENS1_38merge_sort_block_merge_config_selectorIlNS0_10empty_typeEEEZZNS1_27merge_sort_block_merge_implIS3_PlPS5_mZN2at6native12_GLOBAL__N_124unique_dim_cuda_templateIlEESt5tupleIJNSA_6TensorESF_SF_EERKSF_lbbbEUlllE_EE10hipError_tT0_T1_T2_jT3_P12ihipStream_tbPNSt15iterator_traitsISL_E10value_typeEPNSR_ISM_E10value_typeEPSN_NS1_7vsmem_tEENKUlT_SL_SM_SN_E_clIS8_S8_S9_S9_EESK_S10_SL_SM_SN_EUlS10_E1_NS1_11comp_targetILNS1_3genE9ELNS1_11target_archE1100ELNS1_3gpuE3ELNS1_3repE0EEENS1_36merge_oddeven_config_static_selectorELNS0_4arch9wavefront6targetE0EEEvSM_.kd
    .uniform_work_group_size: 1
    .uses_dynamic_stack: false
    .vgpr_count:     20
    .vgpr_spill_count: 0
    .wavefront_size: 32
    .workgroup_processor_mode: 1
  - .args:
      - .offset:         0
        .size:           64
        .value_kind:     by_value
    .group_segment_fixed_size: 0
    .kernarg_segment_align: 8
    .kernarg_segment_size: 64
    .language:       OpenCL C
    .language_version:
      - 2
      - 0
    .max_flat_workgroup_size: 256
    .name:           _ZN7rocprim17ROCPRIM_400000_NS6detail17trampoline_kernelINS0_14default_configENS1_38merge_sort_block_merge_config_selectorIlNS0_10empty_typeEEEZZNS1_27merge_sort_block_merge_implIS3_PlPS5_mZN2at6native12_GLOBAL__N_124unique_dim_cuda_templateIlEESt5tupleIJNSA_6TensorESF_SF_EERKSF_lbbbEUlllE_EE10hipError_tT0_T1_T2_jT3_P12ihipStream_tbPNSt15iterator_traitsISL_E10value_typeEPNSR_ISM_E10value_typeEPSN_NS1_7vsmem_tEENKUlT_SL_SM_SN_E_clIS8_S8_S9_S9_EESK_S10_SL_SM_SN_EUlS10_E1_NS1_11comp_targetILNS1_3genE8ELNS1_11target_archE1030ELNS1_3gpuE2ELNS1_3repE0EEENS1_36merge_oddeven_config_static_selectorELNS0_4arch9wavefront6targetE0EEEvSM_
    .private_segment_fixed_size: 0
    .sgpr_count:     0
    .sgpr_spill_count: 0
    .symbol:         _ZN7rocprim17ROCPRIM_400000_NS6detail17trampoline_kernelINS0_14default_configENS1_38merge_sort_block_merge_config_selectorIlNS0_10empty_typeEEEZZNS1_27merge_sort_block_merge_implIS3_PlPS5_mZN2at6native12_GLOBAL__N_124unique_dim_cuda_templateIlEESt5tupleIJNSA_6TensorESF_SF_EERKSF_lbbbEUlllE_EE10hipError_tT0_T1_T2_jT3_P12ihipStream_tbPNSt15iterator_traitsISL_E10value_typeEPNSR_ISM_E10value_typeEPSN_NS1_7vsmem_tEENKUlT_SL_SM_SN_E_clIS8_S8_S9_S9_EESK_S10_SL_SM_SN_EUlS10_E1_NS1_11comp_targetILNS1_3genE8ELNS1_11target_archE1030ELNS1_3gpuE2ELNS1_3repE0EEENS1_36merge_oddeven_config_static_selectorELNS0_4arch9wavefront6targetE0EEEvSM_.kd
    .uniform_work_group_size: 1
    .uses_dynamic_stack: false
    .vgpr_count:     0
    .vgpr_spill_count: 0
    .wavefront_size: 32
    .workgroup_processor_mode: 1
  - .args:
      - .offset:         0
        .size:           64
        .value_kind:     by_value
    .group_segment_fixed_size: 0
    .kernarg_segment_align: 8
    .kernarg_segment_size: 64
    .language:       OpenCL C
    .language_version:
      - 2
      - 0
    .max_flat_workgroup_size: 128
    .name:           _ZN7rocprim17ROCPRIM_400000_NS6detail17trampoline_kernelINS0_14default_configENS1_35adjacent_difference_config_selectorILb0ElEEZNS1_24adjacent_difference_implIS3_Lb0ELb0EPlS7_ZN2at6native12_GLOBAL__N_124unique_dim_cuda_templateIlEESt5tupleIJNS8_6TensorESD_SD_EERKSD_lbbbEUlllE1_EE10hipError_tPvRmT2_T3_mT4_P12ihipStream_tbEUlT_E_NS1_11comp_targetILNS1_3genE0ELNS1_11target_archE4294967295ELNS1_3gpuE0ELNS1_3repE0EEENS1_30default_config_static_selectorELNS0_4arch9wavefront6targetE0EEEvT1_
    .private_segment_fixed_size: 0
    .sgpr_count:     0
    .sgpr_spill_count: 0
    .symbol:         _ZN7rocprim17ROCPRIM_400000_NS6detail17trampoline_kernelINS0_14default_configENS1_35adjacent_difference_config_selectorILb0ElEEZNS1_24adjacent_difference_implIS3_Lb0ELb0EPlS7_ZN2at6native12_GLOBAL__N_124unique_dim_cuda_templateIlEESt5tupleIJNS8_6TensorESD_SD_EERKSD_lbbbEUlllE1_EE10hipError_tPvRmT2_T3_mT4_P12ihipStream_tbEUlT_E_NS1_11comp_targetILNS1_3genE0ELNS1_11target_archE4294967295ELNS1_3gpuE0ELNS1_3repE0EEENS1_30default_config_static_selectorELNS0_4arch9wavefront6targetE0EEEvT1_.kd
    .uniform_work_group_size: 1
    .uses_dynamic_stack: false
    .vgpr_count:     0
    .vgpr_spill_count: 0
    .wavefront_size: 32
    .workgroup_processor_mode: 1
  - .args:
      - .offset:         0
        .size:           64
        .value_kind:     by_value
    .group_segment_fixed_size: 0
    .kernarg_segment_align: 8
    .kernarg_segment_size: 64
    .language:       OpenCL C
    .language_version:
      - 2
      - 0
    .max_flat_workgroup_size: 128
    .name:           _ZN7rocprim17ROCPRIM_400000_NS6detail17trampoline_kernelINS0_14default_configENS1_35adjacent_difference_config_selectorILb0ElEEZNS1_24adjacent_difference_implIS3_Lb0ELb0EPlS7_ZN2at6native12_GLOBAL__N_124unique_dim_cuda_templateIlEESt5tupleIJNS8_6TensorESD_SD_EERKSD_lbbbEUlllE1_EE10hipError_tPvRmT2_T3_mT4_P12ihipStream_tbEUlT_E_NS1_11comp_targetILNS1_3genE10ELNS1_11target_archE1201ELNS1_3gpuE5ELNS1_3repE0EEENS1_30default_config_static_selectorELNS0_4arch9wavefront6targetE0EEEvT1_
    .private_segment_fixed_size: 0
    .sgpr_count:     0
    .sgpr_spill_count: 0
    .symbol:         _ZN7rocprim17ROCPRIM_400000_NS6detail17trampoline_kernelINS0_14default_configENS1_35adjacent_difference_config_selectorILb0ElEEZNS1_24adjacent_difference_implIS3_Lb0ELb0EPlS7_ZN2at6native12_GLOBAL__N_124unique_dim_cuda_templateIlEESt5tupleIJNS8_6TensorESD_SD_EERKSD_lbbbEUlllE1_EE10hipError_tPvRmT2_T3_mT4_P12ihipStream_tbEUlT_E_NS1_11comp_targetILNS1_3genE10ELNS1_11target_archE1201ELNS1_3gpuE5ELNS1_3repE0EEENS1_30default_config_static_selectorELNS0_4arch9wavefront6targetE0EEEvT1_.kd
    .uniform_work_group_size: 1
    .uses_dynamic_stack: false
    .vgpr_count:     0
    .vgpr_spill_count: 0
    .wavefront_size: 32
    .workgroup_processor_mode: 1
  - .args:
      - .offset:         0
        .size:           64
        .value_kind:     by_value
    .group_segment_fixed_size: 0
    .kernarg_segment_align: 8
    .kernarg_segment_size: 64
    .language:       OpenCL C
    .language_version:
      - 2
      - 0
    .max_flat_workgroup_size: 64
    .name:           _ZN7rocprim17ROCPRIM_400000_NS6detail17trampoline_kernelINS0_14default_configENS1_35adjacent_difference_config_selectorILb0ElEEZNS1_24adjacent_difference_implIS3_Lb0ELb0EPlS7_ZN2at6native12_GLOBAL__N_124unique_dim_cuda_templateIlEESt5tupleIJNS8_6TensorESD_SD_EERKSD_lbbbEUlllE1_EE10hipError_tPvRmT2_T3_mT4_P12ihipStream_tbEUlT_E_NS1_11comp_targetILNS1_3genE5ELNS1_11target_archE942ELNS1_3gpuE9ELNS1_3repE0EEENS1_30default_config_static_selectorELNS0_4arch9wavefront6targetE0EEEvT1_
    .private_segment_fixed_size: 0
    .sgpr_count:     0
    .sgpr_spill_count: 0
    .symbol:         _ZN7rocprim17ROCPRIM_400000_NS6detail17trampoline_kernelINS0_14default_configENS1_35adjacent_difference_config_selectorILb0ElEEZNS1_24adjacent_difference_implIS3_Lb0ELb0EPlS7_ZN2at6native12_GLOBAL__N_124unique_dim_cuda_templateIlEESt5tupleIJNS8_6TensorESD_SD_EERKSD_lbbbEUlllE1_EE10hipError_tPvRmT2_T3_mT4_P12ihipStream_tbEUlT_E_NS1_11comp_targetILNS1_3genE5ELNS1_11target_archE942ELNS1_3gpuE9ELNS1_3repE0EEENS1_30default_config_static_selectorELNS0_4arch9wavefront6targetE0EEEvT1_.kd
    .uniform_work_group_size: 1
    .uses_dynamic_stack: false
    .vgpr_count:     0
    .vgpr_spill_count: 0
    .wavefront_size: 32
    .workgroup_processor_mode: 1
  - .args:
      - .offset:         0
        .size:           64
        .value_kind:     by_value
    .group_segment_fixed_size: 0
    .kernarg_segment_align: 8
    .kernarg_segment_size: 64
    .language:       OpenCL C
    .language_version:
      - 2
      - 0
    .max_flat_workgroup_size: 256
    .name:           _ZN7rocprim17ROCPRIM_400000_NS6detail17trampoline_kernelINS0_14default_configENS1_35adjacent_difference_config_selectorILb0ElEEZNS1_24adjacent_difference_implIS3_Lb0ELb0EPlS7_ZN2at6native12_GLOBAL__N_124unique_dim_cuda_templateIlEESt5tupleIJNS8_6TensorESD_SD_EERKSD_lbbbEUlllE1_EE10hipError_tPvRmT2_T3_mT4_P12ihipStream_tbEUlT_E_NS1_11comp_targetILNS1_3genE4ELNS1_11target_archE910ELNS1_3gpuE8ELNS1_3repE0EEENS1_30default_config_static_selectorELNS0_4arch9wavefront6targetE0EEEvT1_
    .private_segment_fixed_size: 0
    .sgpr_count:     0
    .sgpr_spill_count: 0
    .symbol:         _ZN7rocprim17ROCPRIM_400000_NS6detail17trampoline_kernelINS0_14default_configENS1_35adjacent_difference_config_selectorILb0ElEEZNS1_24adjacent_difference_implIS3_Lb0ELb0EPlS7_ZN2at6native12_GLOBAL__N_124unique_dim_cuda_templateIlEESt5tupleIJNS8_6TensorESD_SD_EERKSD_lbbbEUlllE1_EE10hipError_tPvRmT2_T3_mT4_P12ihipStream_tbEUlT_E_NS1_11comp_targetILNS1_3genE4ELNS1_11target_archE910ELNS1_3gpuE8ELNS1_3repE0EEENS1_30default_config_static_selectorELNS0_4arch9wavefront6targetE0EEEvT1_.kd
    .uniform_work_group_size: 1
    .uses_dynamic_stack: false
    .vgpr_count:     0
    .vgpr_spill_count: 0
    .wavefront_size: 32
    .workgroup_processor_mode: 1
  - .args:
      - .offset:         0
        .size:           64
        .value_kind:     by_value
    .group_segment_fixed_size: 0
    .kernarg_segment_align: 8
    .kernarg_segment_size: 64
    .language:       OpenCL C
    .language_version:
      - 2
      - 0
    .max_flat_workgroup_size: 128
    .name:           _ZN7rocprim17ROCPRIM_400000_NS6detail17trampoline_kernelINS0_14default_configENS1_35adjacent_difference_config_selectorILb0ElEEZNS1_24adjacent_difference_implIS3_Lb0ELb0EPlS7_ZN2at6native12_GLOBAL__N_124unique_dim_cuda_templateIlEESt5tupleIJNS8_6TensorESD_SD_EERKSD_lbbbEUlllE1_EE10hipError_tPvRmT2_T3_mT4_P12ihipStream_tbEUlT_E_NS1_11comp_targetILNS1_3genE3ELNS1_11target_archE908ELNS1_3gpuE7ELNS1_3repE0EEENS1_30default_config_static_selectorELNS0_4arch9wavefront6targetE0EEEvT1_
    .private_segment_fixed_size: 0
    .sgpr_count:     0
    .sgpr_spill_count: 0
    .symbol:         _ZN7rocprim17ROCPRIM_400000_NS6detail17trampoline_kernelINS0_14default_configENS1_35adjacent_difference_config_selectorILb0ElEEZNS1_24adjacent_difference_implIS3_Lb0ELb0EPlS7_ZN2at6native12_GLOBAL__N_124unique_dim_cuda_templateIlEESt5tupleIJNS8_6TensorESD_SD_EERKSD_lbbbEUlllE1_EE10hipError_tPvRmT2_T3_mT4_P12ihipStream_tbEUlT_E_NS1_11comp_targetILNS1_3genE3ELNS1_11target_archE908ELNS1_3gpuE7ELNS1_3repE0EEENS1_30default_config_static_selectorELNS0_4arch9wavefront6targetE0EEEvT1_.kd
    .uniform_work_group_size: 1
    .uses_dynamic_stack: false
    .vgpr_count:     0
    .vgpr_spill_count: 0
    .wavefront_size: 32
    .workgroup_processor_mode: 1
  - .args:
      - .offset:         0
        .size:           64
        .value_kind:     by_value
    .group_segment_fixed_size: 0
    .kernarg_segment_align: 8
    .kernarg_segment_size: 64
    .language:       OpenCL C
    .language_version:
      - 2
      - 0
    .max_flat_workgroup_size: 128
    .name:           _ZN7rocprim17ROCPRIM_400000_NS6detail17trampoline_kernelINS0_14default_configENS1_35adjacent_difference_config_selectorILb0ElEEZNS1_24adjacent_difference_implIS3_Lb0ELb0EPlS7_ZN2at6native12_GLOBAL__N_124unique_dim_cuda_templateIlEESt5tupleIJNS8_6TensorESD_SD_EERKSD_lbbbEUlllE1_EE10hipError_tPvRmT2_T3_mT4_P12ihipStream_tbEUlT_E_NS1_11comp_targetILNS1_3genE2ELNS1_11target_archE906ELNS1_3gpuE6ELNS1_3repE0EEENS1_30default_config_static_selectorELNS0_4arch9wavefront6targetE0EEEvT1_
    .private_segment_fixed_size: 0
    .sgpr_count:     0
    .sgpr_spill_count: 0
    .symbol:         _ZN7rocprim17ROCPRIM_400000_NS6detail17trampoline_kernelINS0_14default_configENS1_35adjacent_difference_config_selectorILb0ElEEZNS1_24adjacent_difference_implIS3_Lb0ELb0EPlS7_ZN2at6native12_GLOBAL__N_124unique_dim_cuda_templateIlEESt5tupleIJNS8_6TensorESD_SD_EERKSD_lbbbEUlllE1_EE10hipError_tPvRmT2_T3_mT4_P12ihipStream_tbEUlT_E_NS1_11comp_targetILNS1_3genE2ELNS1_11target_archE906ELNS1_3gpuE6ELNS1_3repE0EEENS1_30default_config_static_selectorELNS0_4arch9wavefront6targetE0EEEvT1_.kd
    .uniform_work_group_size: 1
    .uses_dynamic_stack: false
    .vgpr_count:     0
    .vgpr_spill_count: 0
    .wavefront_size: 32
    .workgroup_processor_mode: 1
  - .args:
      - .offset:         0
        .size:           64
        .value_kind:     by_value
    .group_segment_fixed_size: 8192
    .kernarg_segment_align: 8
    .kernarg_segment_size: 64
    .language:       OpenCL C
    .language_version:
      - 2
      - 0
    .max_flat_workgroup_size: 512
    .name:           _ZN7rocprim17ROCPRIM_400000_NS6detail17trampoline_kernelINS0_14default_configENS1_35adjacent_difference_config_selectorILb0ElEEZNS1_24adjacent_difference_implIS3_Lb0ELb0EPlS7_ZN2at6native12_GLOBAL__N_124unique_dim_cuda_templateIlEESt5tupleIJNS8_6TensorESD_SD_EERKSD_lbbbEUlllE1_EE10hipError_tPvRmT2_T3_mT4_P12ihipStream_tbEUlT_E_NS1_11comp_targetILNS1_3genE9ELNS1_11target_archE1100ELNS1_3gpuE3ELNS1_3repE0EEENS1_30default_config_static_selectorELNS0_4arch9wavefront6targetE0EEEvT1_
    .private_segment_fixed_size: 0
    .sgpr_count:     28
    .sgpr_spill_count: 0
    .symbol:         _ZN7rocprim17ROCPRIM_400000_NS6detail17trampoline_kernelINS0_14default_configENS1_35adjacent_difference_config_selectorILb0ElEEZNS1_24adjacent_difference_implIS3_Lb0ELb0EPlS7_ZN2at6native12_GLOBAL__N_124unique_dim_cuda_templateIlEESt5tupleIJNS8_6TensorESD_SD_EERKSD_lbbbEUlllE1_EE10hipError_tPvRmT2_T3_mT4_P12ihipStream_tbEUlT_E_NS1_11comp_targetILNS1_3genE9ELNS1_11target_archE1100ELNS1_3gpuE3ELNS1_3repE0EEENS1_30default_config_static_selectorELNS0_4arch9wavefront6targetE0EEEvT1_.kd
    .uniform_work_group_size: 1
    .uses_dynamic_stack: false
    .vgpr_count:     13
    .vgpr_spill_count: 0
    .wavefront_size: 32
    .workgroup_processor_mode: 1
  - .args:
      - .offset:         0
        .size:           64
        .value_kind:     by_value
    .group_segment_fixed_size: 0
    .kernarg_segment_align: 8
    .kernarg_segment_size: 64
    .language:       OpenCL C
    .language_version:
      - 2
      - 0
    .max_flat_workgroup_size: 1024
    .name:           _ZN7rocprim17ROCPRIM_400000_NS6detail17trampoline_kernelINS0_14default_configENS1_35adjacent_difference_config_selectorILb0ElEEZNS1_24adjacent_difference_implIS3_Lb0ELb0EPlS7_ZN2at6native12_GLOBAL__N_124unique_dim_cuda_templateIlEESt5tupleIJNS8_6TensorESD_SD_EERKSD_lbbbEUlllE1_EE10hipError_tPvRmT2_T3_mT4_P12ihipStream_tbEUlT_E_NS1_11comp_targetILNS1_3genE8ELNS1_11target_archE1030ELNS1_3gpuE2ELNS1_3repE0EEENS1_30default_config_static_selectorELNS0_4arch9wavefront6targetE0EEEvT1_
    .private_segment_fixed_size: 0
    .sgpr_count:     0
    .sgpr_spill_count: 0
    .symbol:         _ZN7rocprim17ROCPRIM_400000_NS6detail17trampoline_kernelINS0_14default_configENS1_35adjacent_difference_config_selectorILb0ElEEZNS1_24adjacent_difference_implIS3_Lb0ELb0EPlS7_ZN2at6native12_GLOBAL__N_124unique_dim_cuda_templateIlEESt5tupleIJNS8_6TensorESD_SD_EERKSD_lbbbEUlllE1_EE10hipError_tPvRmT2_T3_mT4_P12ihipStream_tbEUlT_E_NS1_11comp_targetILNS1_3genE8ELNS1_11target_archE1030ELNS1_3gpuE2ELNS1_3repE0EEENS1_30default_config_static_selectorELNS0_4arch9wavefront6targetE0EEEvT1_.kd
    .uniform_work_group_size: 1
    .uses_dynamic_stack: false
    .vgpr_count:     0
    .vgpr_spill_count: 0
    .wavefront_size: 32
    .workgroup_processor_mode: 1
  - .args:
      - .offset:         0
        .size:           56
        .value_kind:     by_value
    .group_segment_fixed_size: 0
    .kernarg_segment_align: 8
    .kernarg_segment_size: 56
    .language:       OpenCL C
    .language_version:
      - 2
      - 0
    .max_flat_workgroup_size: 128
    .name:           _ZN7rocprim17ROCPRIM_400000_NS6detail17trampoline_kernelINS0_14default_configENS1_25transform_config_selectorIlLb0EEEZNS1_14transform_implILb0ES3_S5_NS0_18transform_iteratorINS0_17counting_iteratorImlEEZNS1_24adjacent_difference_implIS3_Lb1ELb0EPlSB_ZN2at6native12_GLOBAL__N_124unique_dim_cuda_templateIlEESt5tupleIJNSC_6TensorESH_SH_EERKSH_lbbbEUlllE1_EE10hipError_tPvRmT2_T3_mT4_P12ihipStream_tbEUlmE_lEESB_NS0_8identityIvEEEESM_SP_SQ_mSR_ST_bEUlT_E_NS1_11comp_targetILNS1_3genE0ELNS1_11target_archE4294967295ELNS1_3gpuE0ELNS1_3repE0EEENS1_30default_config_static_selectorELNS0_4arch9wavefront6targetE0EEEvT1_
    .private_segment_fixed_size: 0
    .sgpr_count:     0
    .sgpr_spill_count: 0
    .symbol:         _ZN7rocprim17ROCPRIM_400000_NS6detail17trampoline_kernelINS0_14default_configENS1_25transform_config_selectorIlLb0EEEZNS1_14transform_implILb0ES3_S5_NS0_18transform_iteratorINS0_17counting_iteratorImlEEZNS1_24adjacent_difference_implIS3_Lb1ELb0EPlSB_ZN2at6native12_GLOBAL__N_124unique_dim_cuda_templateIlEESt5tupleIJNSC_6TensorESH_SH_EERKSH_lbbbEUlllE1_EE10hipError_tPvRmT2_T3_mT4_P12ihipStream_tbEUlmE_lEESB_NS0_8identityIvEEEESM_SP_SQ_mSR_ST_bEUlT_E_NS1_11comp_targetILNS1_3genE0ELNS1_11target_archE4294967295ELNS1_3gpuE0ELNS1_3repE0EEENS1_30default_config_static_selectorELNS0_4arch9wavefront6targetE0EEEvT1_.kd
    .uniform_work_group_size: 1
    .uses_dynamic_stack: false
    .vgpr_count:     0
    .vgpr_spill_count: 0
    .wavefront_size: 32
    .workgroup_processor_mode: 1
  - .args:
      - .offset:         0
        .size:           56
        .value_kind:     by_value
    .group_segment_fixed_size: 0
    .kernarg_segment_align: 8
    .kernarg_segment_size: 56
    .language:       OpenCL C
    .language_version:
      - 2
      - 0
    .max_flat_workgroup_size: 512
    .name:           _ZN7rocprim17ROCPRIM_400000_NS6detail17trampoline_kernelINS0_14default_configENS1_25transform_config_selectorIlLb0EEEZNS1_14transform_implILb0ES3_S5_NS0_18transform_iteratorINS0_17counting_iteratorImlEEZNS1_24adjacent_difference_implIS3_Lb1ELb0EPlSB_ZN2at6native12_GLOBAL__N_124unique_dim_cuda_templateIlEESt5tupleIJNSC_6TensorESH_SH_EERKSH_lbbbEUlllE1_EE10hipError_tPvRmT2_T3_mT4_P12ihipStream_tbEUlmE_lEESB_NS0_8identityIvEEEESM_SP_SQ_mSR_ST_bEUlT_E_NS1_11comp_targetILNS1_3genE5ELNS1_11target_archE942ELNS1_3gpuE9ELNS1_3repE0EEENS1_30default_config_static_selectorELNS0_4arch9wavefront6targetE0EEEvT1_
    .private_segment_fixed_size: 0
    .sgpr_count:     0
    .sgpr_spill_count: 0
    .symbol:         _ZN7rocprim17ROCPRIM_400000_NS6detail17trampoline_kernelINS0_14default_configENS1_25transform_config_selectorIlLb0EEEZNS1_14transform_implILb0ES3_S5_NS0_18transform_iteratorINS0_17counting_iteratorImlEEZNS1_24adjacent_difference_implIS3_Lb1ELb0EPlSB_ZN2at6native12_GLOBAL__N_124unique_dim_cuda_templateIlEESt5tupleIJNSC_6TensorESH_SH_EERKSH_lbbbEUlllE1_EE10hipError_tPvRmT2_T3_mT4_P12ihipStream_tbEUlmE_lEESB_NS0_8identityIvEEEESM_SP_SQ_mSR_ST_bEUlT_E_NS1_11comp_targetILNS1_3genE5ELNS1_11target_archE942ELNS1_3gpuE9ELNS1_3repE0EEENS1_30default_config_static_selectorELNS0_4arch9wavefront6targetE0EEEvT1_.kd
    .uniform_work_group_size: 1
    .uses_dynamic_stack: false
    .vgpr_count:     0
    .vgpr_spill_count: 0
    .wavefront_size: 32
    .workgroup_processor_mode: 1
  - .args:
      - .offset:         0
        .size:           56
        .value_kind:     by_value
    .group_segment_fixed_size: 0
    .kernarg_segment_align: 8
    .kernarg_segment_size: 56
    .language:       OpenCL C
    .language_version:
      - 2
      - 0
    .max_flat_workgroup_size: 256
    .name:           _ZN7rocprim17ROCPRIM_400000_NS6detail17trampoline_kernelINS0_14default_configENS1_25transform_config_selectorIlLb0EEEZNS1_14transform_implILb0ES3_S5_NS0_18transform_iteratorINS0_17counting_iteratorImlEEZNS1_24adjacent_difference_implIS3_Lb1ELb0EPlSB_ZN2at6native12_GLOBAL__N_124unique_dim_cuda_templateIlEESt5tupleIJNSC_6TensorESH_SH_EERKSH_lbbbEUlllE1_EE10hipError_tPvRmT2_T3_mT4_P12ihipStream_tbEUlmE_lEESB_NS0_8identityIvEEEESM_SP_SQ_mSR_ST_bEUlT_E_NS1_11comp_targetILNS1_3genE4ELNS1_11target_archE910ELNS1_3gpuE8ELNS1_3repE0EEENS1_30default_config_static_selectorELNS0_4arch9wavefront6targetE0EEEvT1_
    .private_segment_fixed_size: 0
    .sgpr_count:     0
    .sgpr_spill_count: 0
    .symbol:         _ZN7rocprim17ROCPRIM_400000_NS6detail17trampoline_kernelINS0_14default_configENS1_25transform_config_selectorIlLb0EEEZNS1_14transform_implILb0ES3_S5_NS0_18transform_iteratorINS0_17counting_iteratorImlEEZNS1_24adjacent_difference_implIS3_Lb1ELb0EPlSB_ZN2at6native12_GLOBAL__N_124unique_dim_cuda_templateIlEESt5tupleIJNSC_6TensorESH_SH_EERKSH_lbbbEUlllE1_EE10hipError_tPvRmT2_T3_mT4_P12ihipStream_tbEUlmE_lEESB_NS0_8identityIvEEEESM_SP_SQ_mSR_ST_bEUlT_E_NS1_11comp_targetILNS1_3genE4ELNS1_11target_archE910ELNS1_3gpuE8ELNS1_3repE0EEENS1_30default_config_static_selectorELNS0_4arch9wavefront6targetE0EEEvT1_.kd
    .uniform_work_group_size: 1
    .uses_dynamic_stack: false
    .vgpr_count:     0
    .vgpr_spill_count: 0
    .wavefront_size: 32
    .workgroup_processor_mode: 1
  - .args:
      - .offset:         0
        .size:           56
        .value_kind:     by_value
    .group_segment_fixed_size: 0
    .kernarg_segment_align: 8
    .kernarg_segment_size: 56
    .language:       OpenCL C
    .language_version:
      - 2
      - 0
    .max_flat_workgroup_size: 128
    .name:           _ZN7rocprim17ROCPRIM_400000_NS6detail17trampoline_kernelINS0_14default_configENS1_25transform_config_selectorIlLb0EEEZNS1_14transform_implILb0ES3_S5_NS0_18transform_iteratorINS0_17counting_iteratorImlEEZNS1_24adjacent_difference_implIS3_Lb1ELb0EPlSB_ZN2at6native12_GLOBAL__N_124unique_dim_cuda_templateIlEESt5tupleIJNSC_6TensorESH_SH_EERKSH_lbbbEUlllE1_EE10hipError_tPvRmT2_T3_mT4_P12ihipStream_tbEUlmE_lEESB_NS0_8identityIvEEEESM_SP_SQ_mSR_ST_bEUlT_E_NS1_11comp_targetILNS1_3genE3ELNS1_11target_archE908ELNS1_3gpuE7ELNS1_3repE0EEENS1_30default_config_static_selectorELNS0_4arch9wavefront6targetE0EEEvT1_
    .private_segment_fixed_size: 0
    .sgpr_count:     0
    .sgpr_spill_count: 0
    .symbol:         _ZN7rocprim17ROCPRIM_400000_NS6detail17trampoline_kernelINS0_14default_configENS1_25transform_config_selectorIlLb0EEEZNS1_14transform_implILb0ES3_S5_NS0_18transform_iteratorINS0_17counting_iteratorImlEEZNS1_24adjacent_difference_implIS3_Lb1ELb0EPlSB_ZN2at6native12_GLOBAL__N_124unique_dim_cuda_templateIlEESt5tupleIJNSC_6TensorESH_SH_EERKSH_lbbbEUlllE1_EE10hipError_tPvRmT2_T3_mT4_P12ihipStream_tbEUlmE_lEESB_NS0_8identityIvEEEESM_SP_SQ_mSR_ST_bEUlT_E_NS1_11comp_targetILNS1_3genE3ELNS1_11target_archE908ELNS1_3gpuE7ELNS1_3repE0EEENS1_30default_config_static_selectorELNS0_4arch9wavefront6targetE0EEEvT1_.kd
    .uniform_work_group_size: 1
    .uses_dynamic_stack: false
    .vgpr_count:     0
    .vgpr_spill_count: 0
    .wavefront_size: 32
    .workgroup_processor_mode: 1
  - .args:
      - .offset:         0
        .size:           56
        .value_kind:     by_value
    .group_segment_fixed_size: 0
    .kernarg_segment_align: 8
    .kernarg_segment_size: 56
    .language:       OpenCL C
    .language_version:
      - 2
      - 0
    .max_flat_workgroup_size: 512
    .name:           _ZN7rocprim17ROCPRIM_400000_NS6detail17trampoline_kernelINS0_14default_configENS1_25transform_config_selectorIlLb0EEEZNS1_14transform_implILb0ES3_S5_NS0_18transform_iteratorINS0_17counting_iteratorImlEEZNS1_24adjacent_difference_implIS3_Lb1ELb0EPlSB_ZN2at6native12_GLOBAL__N_124unique_dim_cuda_templateIlEESt5tupleIJNSC_6TensorESH_SH_EERKSH_lbbbEUlllE1_EE10hipError_tPvRmT2_T3_mT4_P12ihipStream_tbEUlmE_lEESB_NS0_8identityIvEEEESM_SP_SQ_mSR_ST_bEUlT_E_NS1_11comp_targetILNS1_3genE2ELNS1_11target_archE906ELNS1_3gpuE6ELNS1_3repE0EEENS1_30default_config_static_selectorELNS0_4arch9wavefront6targetE0EEEvT1_
    .private_segment_fixed_size: 0
    .sgpr_count:     0
    .sgpr_spill_count: 0
    .symbol:         _ZN7rocprim17ROCPRIM_400000_NS6detail17trampoline_kernelINS0_14default_configENS1_25transform_config_selectorIlLb0EEEZNS1_14transform_implILb0ES3_S5_NS0_18transform_iteratorINS0_17counting_iteratorImlEEZNS1_24adjacent_difference_implIS3_Lb1ELb0EPlSB_ZN2at6native12_GLOBAL__N_124unique_dim_cuda_templateIlEESt5tupleIJNSC_6TensorESH_SH_EERKSH_lbbbEUlllE1_EE10hipError_tPvRmT2_T3_mT4_P12ihipStream_tbEUlmE_lEESB_NS0_8identityIvEEEESM_SP_SQ_mSR_ST_bEUlT_E_NS1_11comp_targetILNS1_3genE2ELNS1_11target_archE906ELNS1_3gpuE6ELNS1_3repE0EEENS1_30default_config_static_selectorELNS0_4arch9wavefront6targetE0EEEvT1_.kd
    .uniform_work_group_size: 1
    .uses_dynamic_stack: false
    .vgpr_count:     0
    .vgpr_spill_count: 0
    .wavefront_size: 32
    .workgroup_processor_mode: 1
  - .args:
      - .offset:         0
        .size:           56
        .value_kind:     by_value
    .group_segment_fixed_size: 0
    .kernarg_segment_align: 8
    .kernarg_segment_size: 56
    .language:       OpenCL C
    .language_version:
      - 2
      - 0
    .max_flat_workgroup_size: 1024
    .name:           _ZN7rocprim17ROCPRIM_400000_NS6detail17trampoline_kernelINS0_14default_configENS1_25transform_config_selectorIlLb0EEEZNS1_14transform_implILb0ES3_S5_NS0_18transform_iteratorINS0_17counting_iteratorImlEEZNS1_24adjacent_difference_implIS3_Lb1ELb0EPlSB_ZN2at6native12_GLOBAL__N_124unique_dim_cuda_templateIlEESt5tupleIJNSC_6TensorESH_SH_EERKSH_lbbbEUlllE1_EE10hipError_tPvRmT2_T3_mT4_P12ihipStream_tbEUlmE_lEESB_NS0_8identityIvEEEESM_SP_SQ_mSR_ST_bEUlT_E_NS1_11comp_targetILNS1_3genE10ELNS1_11target_archE1201ELNS1_3gpuE5ELNS1_3repE0EEENS1_30default_config_static_selectorELNS0_4arch9wavefront6targetE0EEEvT1_
    .private_segment_fixed_size: 0
    .sgpr_count:     0
    .sgpr_spill_count: 0
    .symbol:         _ZN7rocprim17ROCPRIM_400000_NS6detail17trampoline_kernelINS0_14default_configENS1_25transform_config_selectorIlLb0EEEZNS1_14transform_implILb0ES3_S5_NS0_18transform_iteratorINS0_17counting_iteratorImlEEZNS1_24adjacent_difference_implIS3_Lb1ELb0EPlSB_ZN2at6native12_GLOBAL__N_124unique_dim_cuda_templateIlEESt5tupleIJNSC_6TensorESH_SH_EERKSH_lbbbEUlllE1_EE10hipError_tPvRmT2_T3_mT4_P12ihipStream_tbEUlmE_lEESB_NS0_8identityIvEEEESM_SP_SQ_mSR_ST_bEUlT_E_NS1_11comp_targetILNS1_3genE10ELNS1_11target_archE1201ELNS1_3gpuE5ELNS1_3repE0EEENS1_30default_config_static_selectorELNS0_4arch9wavefront6targetE0EEEvT1_.kd
    .uniform_work_group_size: 1
    .uses_dynamic_stack: false
    .vgpr_count:     0
    .vgpr_spill_count: 0
    .wavefront_size: 32
    .workgroup_processor_mode: 1
  - .args:
      - .offset:         0
        .size:           56
        .value_kind:     by_value
    .group_segment_fixed_size: 0
    .kernarg_segment_align: 8
    .kernarg_segment_size: 56
    .language:       OpenCL C
    .language_version:
      - 2
      - 0
    .max_flat_workgroup_size: 512
    .name:           _ZN7rocprim17ROCPRIM_400000_NS6detail17trampoline_kernelINS0_14default_configENS1_25transform_config_selectorIlLb0EEEZNS1_14transform_implILb0ES3_S5_NS0_18transform_iteratorINS0_17counting_iteratorImlEEZNS1_24adjacent_difference_implIS3_Lb1ELb0EPlSB_ZN2at6native12_GLOBAL__N_124unique_dim_cuda_templateIlEESt5tupleIJNSC_6TensorESH_SH_EERKSH_lbbbEUlllE1_EE10hipError_tPvRmT2_T3_mT4_P12ihipStream_tbEUlmE_lEESB_NS0_8identityIvEEEESM_SP_SQ_mSR_ST_bEUlT_E_NS1_11comp_targetILNS1_3genE10ELNS1_11target_archE1200ELNS1_3gpuE4ELNS1_3repE0EEENS1_30default_config_static_selectorELNS0_4arch9wavefront6targetE0EEEvT1_
    .private_segment_fixed_size: 0
    .sgpr_count:     0
    .sgpr_spill_count: 0
    .symbol:         _ZN7rocprim17ROCPRIM_400000_NS6detail17trampoline_kernelINS0_14default_configENS1_25transform_config_selectorIlLb0EEEZNS1_14transform_implILb0ES3_S5_NS0_18transform_iteratorINS0_17counting_iteratorImlEEZNS1_24adjacent_difference_implIS3_Lb1ELb0EPlSB_ZN2at6native12_GLOBAL__N_124unique_dim_cuda_templateIlEESt5tupleIJNSC_6TensorESH_SH_EERKSH_lbbbEUlllE1_EE10hipError_tPvRmT2_T3_mT4_P12ihipStream_tbEUlmE_lEESB_NS0_8identityIvEEEESM_SP_SQ_mSR_ST_bEUlT_E_NS1_11comp_targetILNS1_3genE10ELNS1_11target_archE1200ELNS1_3gpuE4ELNS1_3repE0EEENS1_30default_config_static_selectorELNS0_4arch9wavefront6targetE0EEEvT1_.kd
    .uniform_work_group_size: 1
    .uses_dynamic_stack: false
    .vgpr_count:     0
    .vgpr_spill_count: 0
    .wavefront_size: 32
    .workgroup_processor_mode: 1
  - .args:
      - .offset:         0
        .size:           56
        .value_kind:     by_value
      - .offset:         56
        .size:           4
        .value_kind:     hidden_block_count_x
      - .offset:         60
        .size:           4
        .value_kind:     hidden_block_count_y
      - .offset:         64
        .size:           4
        .value_kind:     hidden_block_count_z
      - .offset:         68
        .size:           2
        .value_kind:     hidden_group_size_x
      - .offset:         70
        .size:           2
        .value_kind:     hidden_group_size_y
      - .offset:         72
        .size:           2
        .value_kind:     hidden_group_size_z
      - .offset:         74
        .size:           2
        .value_kind:     hidden_remainder_x
      - .offset:         76
        .size:           2
        .value_kind:     hidden_remainder_y
      - .offset:         78
        .size:           2
        .value_kind:     hidden_remainder_z
      - .offset:         96
        .size:           8
        .value_kind:     hidden_global_offset_x
      - .offset:         104
        .size:           8
        .value_kind:     hidden_global_offset_y
      - .offset:         112
        .size:           8
        .value_kind:     hidden_global_offset_z
      - .offset:         120
        .size:           2
        .value_kind:     hidden_grid_dims
    .group_segment_fixed_size: 0
    .kernarg_segment_align: 8
    .kernarg_segment_size: 312
    .language:       OpenCL C
    .language_version:
      - 2
      - 0
    .max_flat_workgroup_size: 512
    .name:           _ZN7rocprim17ROCPRIM_400000_NS6detail17trampoline_kernelINS0_14default_configENS1_25transform_config_selectorIlLb0EEEZNS1_14transform_implILb0ES3_S5_NS0_18transform_iteratorINS0_17counting_iteratorImlEEZNS1_24adjacent_difference_implIS3_Lb1ELb0EPlSB_ZN2at6native12_GLOBAL__N_124unique_dim_cuda_templateIlEESt5tupleIJNSC_6TensorESH_SH_EERKSH_lbbbEUlllE1_EE10hipError_tPvRmT2_T3_mT4_P12ihipStream_tbEUlmE_lEESB_NS0_8identityIvEEEESM_SP_SQ_mSR_ST_bEUlT_E_NS1_11comp_targetILNS1_3genE9ELNS1_11target_archE1100ELNS1_3gpuE3ELNS1_3repE0EEENS1_30default_config_static_selectorELNS0_4arch9wavefront6targetE0EEEvT1_
    .private_segment_fixed_size: 0
    .sgpr_count:     18
    .sgpr_spill_count: 0
    .symbol:         _ZN7rocprim17ROCPRIM_400000_NS6detail17trampoline_kernelINS0_14default_configENS1_25transform_config_selectorIlLb0EEEZNS1_14transform_implILb0ES3_S5_NS0_18transform_iteratorINS0_17counting_iteratorImlEEZNS1_24adjacent_difference_implIS3_Lb1ELb0EPlSB_ZN2at6native12_GLOBAL__N_124unique_dim_cuda_templateIlEESt5tupleIJNSC_6TensorESH_SH_EERKSH_lbbbEUlllE1_EE10hipError_tPvRmT2_T3_mT4_P12ihipStream_tbEUlmE_lEESB_NS0_8identityIvEEEESM_SP_SQ_mSR_ST_bEUlT_E_NS1_11comp_targetILNS1_3genE9ELNS1_11target_archE1100ELNS1_3gpuE3ELNS1_3repE0EEENS1_30default_config_static_selectorELNS0_4arch9wavefront6targetE0EEEvT1_.kd
    .uniform_work_group_size: 1
    .uses_dynamic_stack: false
    .vgpr_count:     6
    .vgpr_spill_count: 0
    .wavefront_size: 32
    .workgroup_processor_mode: 1
  - .args:
      - .offset:         0
        .size:           56
        .value_kind:     by_value
    .group_segment_fixed_size: 0
    .kernarg_segment_align: 8
    .kernarg_segment_size: 56
    .language:       OpenCL C
    .language_version:
      - 2
      - 0
    .max_flat_workgroup_size: 512
    .name:           _ZN7rocprim17ROCPRIM_400000_NS6detail17trampoline_kernelINS0_14default_configENS1_25transform_config_selectorIlLb0EEEZNS1_14transform_implILb0ES3_S5_NS0_18transform_iteratorINS0_17counting_iteratorImlEEZNS1_24adjacent_difference_implIS3_Lb1ELb0EPlSB_ZN2at6native12_GLOBAL__N_124unique_dim_cuda_templateIlEESt5tupleIJNSC_6TensorESH_SH_EERKSH_lbbbEUlllE1_EE10hipError_tPvRmT2_T3_mT4_P12ihipStream_tbEUlmE_lEESB_NS0_8identityIvEEEESM_SP_SQ_mSR_ST_bEUlT_E_NS1_11comp_targetILNS1_3genE8ELNS1_11target_archE1030ELNS1_3gpuE2ELNS1_3repE0EEENS1_30default_config_static_selectorELNS0_4arch9wavefront6targetE0EEEvT1_
    .private_segment_fixed_size: 0
    .sgpr_count:     0
    .sgpr_spill_count: 0
    .symbol:         _ZN7rocprim17ROCPRIM_400000_NS6detail17trampoline_kernelINS0_14default_configENS1_25transform_config_selectorIlLb0EEEZNS1_14transform_implILb0ES3_S5_NS0_18transform_iteratorINS0_17counting_iteratorImlEEZNS1_24adjacent_difference_implIS3_Lb1ELb0EPlSB_ZN2at6native12_GLOBAL__N_124unique_dim_cuda_templateIlEESt5tupleIJNSC_6TensorESH_SH_EERKSH_lbbbEUlllE1_EE10hipError_tPvRmT2_T3_mT4_P12ihipStream_tbEUlmE_lEESB_NS0_8identityIvEEEESM_SP_SQ_mSR_ST_bEUlT_E_NS1_11comp_targetILNS1_3genE8ELNS1_11target_archE1030ELNS1_3gpuE2ELNS1_3repE0EEENS1_30default_config_static_selectorELNS0_4arch9wavefront6targetE0EEEvT1_.kd
    .uniform_work_group_size: 1
    .uses_dynamic_stack: false
    .vgpr_count:     0
    .vgpr_spill_count: 0
    .wavefront_size: 32
    .workgroup_processor_mode: 1
  - .args:
      - .offset:         0
        .size:           64
        .value_kind:     by_value
    .group_segment_fixed_size: 0
    .kernarg_segment_align: 8
    .kernarg_segment_size: 64
    .language:       OpenCL C
    .language_version:
      - 2
      - 0
    .max_flat_workgroup_size: 512
    .name:           _ZN7rocprim17ROCPRIM_400000_NS6detail17trampoline_kernelINS0_14default_configENS1_35adjacent_difference_config_selectorILb1ElEEZNS1_24adjacent_difference_implIS3_Lb1ELb0EPlS7_ZN2at6native12_GLOBAL__N_124unique_dim_cuda_templateIlEESt5tupleIJNS8_6TensorESD_SD_EERKSD_lbbbEUlllE1_EE10hipError_tPvRmT2_T3_mT4_P12ihipStream_tbEUlT_E_NS1_11comp_targetILNS1_3genE0ELNS1_11target_archE4294967295ELNS1_3gpuE0ELNS1_3repE0EEENS1_30default_config_static_selectorELNS0_4arch9wavefront6targetE0EEEvT1_
    .private_segment_fixed_size: 0
    .sgpr_count:     0
    .sgpr_spill_count: 0
    .symbol:         _ZN7rocprim17ROCPRIM_400000_NS6detail17trampoline_kernelINS0_14default_configENS1_35adjacent_difference_config_selectorILb1ElEEZNS1_24adjacent_difference_implIS3_Lb1ELb0EPlS7_ZN2at6native12_GLOBAL__N_124unique_dim_cuda_templateIlEESt5tupleIJNS8_6TensorESD_SD_EERKSD_lbbbEUlllE1_EE10hipError_tPvRmT2_T3_mT4_P12ihipStream_tbEUlT_E_NS1_11comp_targetILNS1_3genE0ELNS1_11target_archE4294967295ELNS1_3gpuE0ELNS1_3repE0EEENS1_30default_config_static_selectorELNS0_4arch9wavefront6targetE0EEEvT1_.kd
    .uniform_work_group_size: 1
    .uses_dynamic_stack: false
    .vgpr_count:     0
    .vgpr_spill_count: 0
    .wavefront_size: 32
    .workgroup_processor_mode: 1
  - .args:
      - .offset:         0
        .size:           64
        .value_kind:     by_value
    .group_segment_fixed_size: 0
    .kernarg_segment_align: 8
    .kernarg_segment_size: 64
    .language:       OpenCL C
    .language_version:
      - 2
      - 0
    .max_flat_workgroup_size: 32
    .name:           _ZN7rocprim17ROCPRIM_400000_NS6detail17trampoline_kernelINS0_14default_configENS1_35adjacent_difference_config_selectorILb1ElEEZNS1_24adjacent_difference_implIS3_Lb1ELb0EPlS7_ZN2at6native12_GLOBAL__N_124unique_dim_cuda_templateIlEESt5tupleIJNS8_6TensorESD_SD_EERKSD_lbbbEUlllE1_EE10hipError_tPvRmT2_T3_mT4_P12ihipStream_tbEUlT_E_NS1_11comp_targetILNS1_3genE10ELNS1_11target_archE1201ELNS1_3gpuE5ELNS1_3repE0EEENS1_30default_config_static_selectorELNS0_4arch9wavefront6targetE0EEEvT1_
    .private_segment_fixed_size: 0
    .sgpr_count:     0
    .sgpr_spill_count: 0
    .symbol:         _ZN7rocprim17ROCPRIM_400000_NS6detail17trampoline_kernelINS0_14default_configENS1_35adjacent_difference_config_selectorILb1ElEEZNS1_24adjacent_difference_implIS3_Lb1ELb0EPlS7_ZN2at6native12_GLOBAL__N_124unique_dim_cuda_templateIlEESt5tupleIJNS8_6TensorESD_SD_EERKSD_lbbbEUlllE1_EE10hipError_tPvRmT2_T3_mT4_P12ihipStream_tbEUlT_E_NS1_11comp_targetILNS1_3genE10ELNS1_11target_archE1201ELNS1_3gpuE5ELNS1_3repE0EEENS1_30default_config_static_selectorELNS0_4arch9wavefront6targetE0EEEvT1_.kd
    .uniform_work_group_size: 1
    .uses_dynamic_stack: false
    .vgpr_count:     0
    .vgpr_spill_count: 0
    .wavefront_size: 32
    .workgroup_processor_mode: 1
  - .args:
      - .offset:         0
        .size:           64
        .value_kind:     by_value
    .group_segment_fixed_size: 0
    .kernarg_segment_align: 8
    .kernarg_segment_size: 64
    .language:       OpenCL C
    .language_version:
      - 2
      - 0
    .max_flat_workgroup_size: 256
    .name:           _ZN7rocprim17ROCPRIM_400000_NS6detail17trampoline_kernelINS0_14default_configENS1_35adjacent_difference_config_selectorILb1ElEEZNS1_24adjacent_difference_implIS3_Lb1ELb0EPlS7_ZN2at6native12_GLOBAL__N_124unique_dim_cuda_templateIlEESt5tupleIJNS8_6TensorESD_SD_EERKSD_lbbbEUlllE1_EE10hipError_tPvRmT2_T3_mT4_P12ihipStream_tbEUlT_E_NS1_11comp_targetILNS1_3genE5ELNS1_11target_archE942ELNS1_3gpuE9ELNS1_3repE0EEENS1_30default_config_static_selectorELNS0_4arch9wavefront6targetE0EEEvT1_
    .private_segment_fixed_size: 0
    .sgpr_count:     0
    .sgpr_spill_count: 0
    .symbol:         _ZN7rocprim17ROCPRIM_400000_NS6detail17trampoline_kernelINS0_14default_configENS1_35adjacent_difference_config_selectorILb1ElEEZNS1_24adjacent_difference_implIS3_Lb1ELb0EPlS7_ZN2at6native12_GLOBAL__N_124unique_dim_cuda_templateIlEESt5tupleIJNS8_6TensorESD_SD_EERKSD_lbbbEUlllE1_EE10hipError_tPvRmT2_T3_mT4_P12ihipStream_tbEUlT_E_NS1_11comp_targetILNS1_3genE5ELNS1_11target_archE942ELNS1_3gpuE9ELNS1_3repE0EEENS1_30default_config_static_selectorELNS0_4arch9wavefront6targetE0EEEvT1_.kd
    .uniform_work_group_size: 1
    .uses_dynamic_stack: false
    .vgpr_count:     0
    .vgpr_spill_count: 0
    .wavefront_size: 32
    .workgroup_processor_mode: 1
  - .args:
      - .offset:         0
        .size:           64
        .value_kind:     by_value
    .group_segment_fixed_size: 0
    .kernarg_segment_align: 8
    .kernarg_segment_size: 64
    .language:       OpenCL C
    .language_version:
      - 2
      - 0
    .max_flat_workgroup_size: 512
    .name:           _ZN7rocprim17ROCPRIM_400000_NS6detail17trampoline_kernelINS0_14default_configENS1_35adjacent_difference_config_selectorILb1ElEEZNS1_24adjacent_difference_implIS3_Lb1ELb0EPlS7_ZN2at6native12_GLOBAL__N_124unique_dim_cuda_templateIlEESt5tupleIJNS8_6TensorESD_SD_EERKSD_lbbbEUlllE1_EE10hipError_tPvRmT2_T3_mT4_P12ihipStream_tbEUlT_E_NS1_11comp_targetILNS1_3genE4ELNS1_11target_archE910ELNS1_3gpuE8ELNS1_3repE0EEENS1_30default_config_static_selectorELNS0_4arch9wavefront6targetE0EEEvT1_
    .private_segment_fixed_size: 0
    .sgpr_count:     0
    .sgpr_spill_count: 0
    .symbol:         _ZN7rocprim17ROCPRIM_400000_NS6detail17trampoline_kernelINS0_14default_configENS1_35adjacent_difference_config_selectorILb1ElEEZNS1_24adjacent_difference_implIS3_Lb1ELb0EPlS7_ZN2at6native12_GLOBAL__N_124unique_dim_cuda_templateIlEESt5tupleIJNS8_6TensorESD_SD_EERKSD_lbbbEUlllE1_EE10hipError_tPvRmT2_T3_mT4_P12ihipStream_tbEUlT_E_NS1_11comp_targetILNS1_3genE4ELNS1_11target_archE910ELNS1_3gpuE8ELNS1_3repE0EEENS1_30default_config_static_selectorELNS0_4arch9wavefront6targetE0EEEvT1_.kd
    .uniform_work_group_size: 1
    .uses_dynamic_stack: false
    .vgpr_count:     0
    .vgpr_spill_count: 0
    .wavefront_size: 32
    .workgroup_processor_mode: 1
  - .args:
      - .offset:         0
        .size:           64
        .value_kind:     by_value
    .group_segment_fixed_size: 0
    .kernarg_segment_align: 8
    .kernarg_segment_size: 64
    .language:       OpenCL C
    .language_version:
      - 2
      - 0
    .max_flat_workgroup_size: 512
    .name:           _ZN7rocprim17ROCPRIM_400000_NS6detail17trampoline_kernelINS0_14default_configENS1_35adjacent_difference_config_selectorILb1ElEEZNS1_24adjacent_difference_implIS3_Lb1ELb0EPlS7_ZN2at6native12_GLOBAL__N_124unique_dim_cuda_templateIlEESt5tupleIJNS8_6TensorESD_SD_EERKSD_lbbbEUlllE1_EE10hipError_tPvRmT2_T3_mT4_P12ihipStream_tbEUlT_E_NS1_11comp_targetILNS1_3genE3ELNS1_11target_archE908ELNS1_3gpuE7ELNS1_3repE0EEENS1_30default_config_static_selectorELNS0_4arch9wavefront6targetE0EEEvT1_
    .private_segment_fixed_size: 0
    .sgpr_count:     0
    .sgpr_spill_count: 0
    .symbol:         _ZN7rocprim17ROCPRIM_400000_NS6detail17trampoline_kernelINS0_14default_configENS1_35adjacent_difference_config_selectorILb1ElEEZNS1_24adjacent_difference_implIS3_Lb1ELb0EPlS7_ZN2at6native12_GLOBAL__N_124unique_dim_cuda_templateIlEESt5tupleIJNS8_6TensorESD_SD_EERKSD_lbbbEUlllE1_EE10hipError_tPvRmT2_T3_mT4_P12ihipStream_tbEUlT_E_NS1_11comp_targetILNS1_3genE3ELNS1_11target_archE908ELNS1_3gpuE7ELNS1_3repE0EEENS1_30default_config_static_selectorELNS0_4arch9wavefront6targetE0EEEvT1_.kd
    .uniform_work_group_size: 1
    .uses_dynamic_stack: false
    .vgpr_count:     0
    .vgpr_spill_count: 0
    .wavefront_size: 32
    .workgroup_processor_mode: 1
  - .args:
      - .offset:         0
        .size:           64
        .value_kind:     by_value
    .group_segment_fixed_size: 0
    .kernarg_segment_align: 8
    .kernarg_segment_size: 64
    .language:       OpenCL C
    .language_version:
      - 2
      - 0
    .max_flat_workgroup_size: 128
    .name:           _ZN7rocprim17ROCPRIM_400000_NS6detail17trampoline_kernelINS0_14default_configENS1_35adjacent_difference_config_selectorILb1ElEEZNS1_24adjacent_difference_implIS3_Lb1ELb0EPlS7_ZN2at6native12_GLOBAL__N_124unique_dim_cuda_templateIlEESt5tupleIJNS8_6TensorESD_SD_EERKSD_lbbbEUlllE1_EE10hipError_tPvRmT2_T3_mT4_P12ihipStream_tbEUlT_E_NS1_11comp_targetILNS1_3genE2ELNS1_11target_archE906ELNS1_3gpuE6ELNS1_3repE0EEENS1_30default_config_static_selectorELNS0_4arch9wavefront6targetE0EEEvT1_
    .private_segment_fixed_size: 0
    .sgpr_count:     0
    .sgpr_spill_count: 0
    .symbol:         _ZN7rocprim17ROCPRIM_400000_NS6detail17trampoline_kernelINS0_14default_configENS1_35adjacent_difference_config_selectorILb1ElEEZNS1_24adjacent_difference_implIS3_Lb1ELb0EPlS7_ZN2at6native12_GLOBAL__N_124unique_dim_cuda_templateIlEESt5tupleIJNS8_6TensorESD_SD_EERKSD_lbbbEUlllE1_EE10hipError_tPvRmT2_T3_mT4_P12ihipStream_tbEUlT_E_NS1_11comp_targetILNS1_3genE2ELNS1_11target_archE906ELNS1_3gpuE6ELNS1_3repE0EEENS1_30default_config_static_selectorELNS0_4arch9wavefront6targetE0EEEvT1_.kd
    .uniform_work_group_size: 1
    .uses_dynamic_stack: false
    .vgpr_count:     0
    .vgpr_spill_count: 0
    .wavefront_size: 32
    .workgroup_processor_mode: 1
  - .args:
      - .offset:         0
        .size:           64
        .value_kind:     by_value
    .group_segment_fixed_size: 29696
    .kernarg_segment_align: 8
    .kernarg_segment_size: 64
    .language:       OpenCL C
    .language_version:
      - 2
      - 0
    .max_flat_workgroup_size: 128
    .name:           _ZN7rocprim17ROCPRIM_400000_NS6detail17trampoline_kernelINS0_14default_configENS1_35adjacent_difference_config_selectorILb1ElEEZNS1_24adjacent_difference_implIS3_Lb1ELb0EPlS7_ZN2at6native12_GLOBAL__N_124unique_dim_cuda_templateIlEESt5tupleIJNS8_6TensorESD_SD_EERKSD_lbbbEUlllE1_EE10hipError_tPvRmT2_T3_mT4_P12ihipStream_tbEUlT_E_NS1_11comp_targetILNS1_3genE9ELNS1_11target_archE1100ELNS1_3gpuE3ELNS1_3repE0EEENS1_30default_config_static_selectorELNS0_4arch9wavefront6targetE0EEEvT1_
    .private_segment_fixed_size: 0
    .sgpr_count:     32
    .sgpr_spill_count: 0
    .symbol:         _ZN7rocprim17ROCPRIM_400000_NS6detail17trampoline_kernelINS0_14default_configENS1_35adjacent_difference_config_selectorILb1ElEEZNS1_24adjacent_difference_implIS3_Lb1ELb0EPlS7_ZN2at6native12_GLOBAL__N_124unique_dim_cuda_templateIlEESt5tupleIJNS8_6TensorESD_SD_EERKSD_lbbbEUlllE1_EE10hipError_tPvRmT2_T3_mT4_P12ihipStream_tbEUlT_E_NS1_11comp_targetILNS1_3genE9ELNS1_11target_archE1100ELNS1_3gpuE3ELNS1_3repE0EEENS1_30default_config_static_selectorELNS0_4arch9wavefront6targetE0EEEvT1_.kd
    .uniform_work_group_size: 1
    .uses_dynamic_stack: false
    .vgpr_count:     196
    .vgpr_spill_count: 0
    .wavefront_size: 32
    .workgroup_processor_mode: 1
  - .args:
      - .offset:         0
        .size:           64
        .value_kind:     by_value
    .group_segment_fixed_size: 0
    .kernarg_segment_align: 8
    .kernarg_segment_size: 64
    .language:       OpenCL C
    .language_version:
      - 2
      - 0
    .max_flat_workgroup_size: 32
    .name:           _ZN7rocprim17ROCPRIM_400000_NS6detail17trampoline_kernelINS0_14default_configENS1_35adjacent_difference_config_selectorILb1ElEEZNS1_24adjacent_difference_implIS3_Lb1ELb0EPlS7_ZN2at6native12_GLOBAL__N_124unique_dim_cuda_templateIlEESt5tupleIJNS8_6TensorESD_SD_EERKSD_lbbbEUlllE1_EE10hipError_tPvRmT2_T3_mT4_P12ihipStream_tbEUlT_E_NS1_11comp_targetILNS1_3genE8ELNS1_11target_archE1030ELNS1_3gpuE2ELNS1_3repE0EEENS1_30default_config_static_selectorELNS0_4arch9wavefront6targetE0EEEvT1_
    .private_segment_fixed_size: 0
    .sgpr_count:     0
    .sgpr_spill_count: 0
    .symbol:         _ZN7rocprim17ROCPRIM_400000_NS6detail17trampoline_kernelINS0_14default_configENS1_35adjacent_difference_config_selectorILb1ElEEZNS1_24adjacent_difference_implIS3_Lb1ELb0EPlS7_ZN2at6native12_GLOBAL__N_124unique_dim_cuda_templateIlEESt5tupleIJNS8_6TensorESD_SD_EERKSD_lbbbEUlllE1_EE10hipError_tPvRmT2_T3_mT4_P12ihipStream_tbEUlT_E_NS1_11comp_targetILNS1_3genE8ELNS1_11target_archE1030ELNS1_3gpuE2ELNS1_3repE0EEENS1_30default_config_static_selectorELNS0_4arch9wavefront6targetE0EEEvT1_.kd
    .uniform_work_group_size: 1
    .uses_dynamic_stack: false
    .vgpr_count:     0
    .vgpr_spill_count: 0
    .wavefront_size: 32
    .workgroup_processor_mode: 1
  - .args:
      - .offset:         0
        .size:           120
        .value_kind:     by_value
    .group_segment_fixed_size: 0
    .kernarg_segment_align: 8
    .kernarg_segment_size: 120
    .language:       OpenCL C
    .language_version:
      - 2
      - 0
    .max_flat_workgroup_size: 512
    .name:           _ZN7rocprim17ROCPRIM_400000_NS6detail17trampoline_kernelINS0_14default_configENS1_25partition_config_selectorILNS1_17partition_subalgoE8ElNS0_10empty_typeEbEEZZNS1_14partition_implILS5_8ELb0ES3_jPlPS6_PKS6_NS0_5tupleIJS9_S6_EEENSD_IJSA_SA_EEENS0_18inequality_wrapperIZN2at6native12_GLOBAL__N_124unique_dim_cuda_templateIlEESt5tupleIJNSH_6TensorESM_SM_EERKSM_lbbbEUlllE0_EEPmJS6_EEE10hipError_tPvRmT3_T4_T5_T6_T7_T9_mT8_P12ihipStream_tbDpT10_ENKUlT_T0_E_clISt17integral_constantIbLb0EES1C_EEDaS17_S18_EUlS17_E_NS1_11comp_targetILNS1_3genE0ELNS1_11target_archE4294967295ELNS1_3gpuE0ELNS1_3repE0EEENS1_30default_config_static_selectorELNS0_4arch9wavefront6targetE0EEEvT1_
    .private_segment_fixed_size: 0
    .sgpr_count:     0
    .sgpr_spill_count: 0
    .symbol:         _ZN7rocprim17ROCPRIM_400000_NS6detail17trampoline_kernelINS0_14default_configENS1_25partition_config_selectorILNS1_17partition_subalgoE8ElNS0_10empty_typeEbEEZZNS1_14partition_implILS5_8ELb0ES3_jPlPS6_PKS6_NS0_5tupleIJS9_S6_EEENSD_IJSA_SA_EEENS0_18inequality_wrapperIZN2at6native12_GLOBAL__N_124unique_dim_cuda_templateIlEESt5tupleIJNSH_6TensorESM_SM_EERKSM_lbbbEUlllE0_EEPmJS6_EEE10hipError_tPvRmT3_T4_T5_T6_T7_T9_mT8_P12ihipStream_tbDpT10_ENKUlT_T0_E_clISt17integral_constantIbLb0EES1C_EEDaS17_S18_EUlS17_E_NS1_11comp_targetILNS1_3genE0ELNS1_11target_archE4294967295ELNS1_3gpuE0ELNS1_3repE0EEENS1_30default_config_static_selectorELNS0_4arch9wavefront6targetE0EEEvT1_.kd
    .uniform_work_group_size: 1
    .uses_dynamic_stack: false
    .vgpr_count:     0
    .vgpr_spill_count: 0
    .wavefront_size: 32
    .workgroup_processor_mode: 1
  - .args:
      - .offset:         0
        .size:           120
        .value_kind:     by_value
    .group_segment_fixed_size: 0
    .kernarg_segment_align: 8
    .kernarg_segment_size: 120
    .language:       OpenCL C
    .language_version:
      - 2
      - 0
    .max_flat_workgroup_size: 512
    .name:           _ZN7rocprim17ROCPRIM_400000_NS6detail17trampoline_kernelINS0_14default_configENS1_25partition_config_selectorILNS1_17partition_subalgoE8ElNS0_10empty_typeEbEEZZNS1_14partition_implILS5_8ELb0ES3_jPlPS6_PKS6_NS0_5tupleIJS9_S6_EEENSD_IJSA_SA_EEENS0_18inequality_wrapperIZN2at6native12_GLOBAL__N_124unique_dim_cuda_templateIlEESt5tupleIJNSH_6TensorESM_SM_EERKSM_lbbbEUlllE0_EEPmJS6_EEE10hipError_tPvRmT3_T4_T5_T6_T7_T9_mT8_P12ihipStream_tbDpT10_ENKUlT_T0_E_clISt17integral_constantIbLb0EES1C_EEDaS17_S18_EUlS17_E_NS1_11comp_targetILNS1_3genE5ELNS1_11target_archE942ELNS1_3gpuE9ELNS1_3repE0EEENS1_30default_config_static_selectorELNS0_4arch9wavefront6targetE0EEEvT1_
    .private_segment_fixed_size: 0
    .sgpr_count:     0
    .sgpr_spill_count: 0
    .symbol:         _ZN7rocprim17ROCPRIM_400000_NS6detail17trampoline_kernelINS0_14default_configENS1_25partition_config_selectorILNS1_17partition_subalgoE8ElNS0_10empty_typeEbEEZZNS1_14partition_implILS5_8ELb0ES3_jPlPS6_PKS6_NS0_5tupleIJS9_S6_EEENSD_IJSA_SA_EEENS0_18inequality_wrapperIZN2at6native12_GLOBAL__N_124unique_dim_cuda_templateIlEESt5tupleIJNSH_6TensorESM_SM_EERKSM_lbbbEUlllE0_EEPmJS6_EEE10hipError_tPvRmT3_T4_T5_T6_T7_T9_mT8_P12ihipStream_tbDpT10_ENKUlT_T0_E_clISt17integral_constantIbLb0EES1C_EEDaS17_S18_EUlS17_E_NS1_11comp_targetILNS1_3genE5ELNS1_11target_archE942ELNS1_3gpuE9ELNS1_3repE0EEENS1_30default_config_static_selectorELNS0_4arch9wavefront6targetE0EEEvT1_.kd
    .uniform_work_group_size: 1
    .uses_dynamic_stack: false
    .vgpr_count:     0
    .vgpr_spill_count: 0
    .wavefront_size: 32
    .workgroup_processor_mode: 1
  - .args:
      - .offset:         0
        .size:           120
        .value_kind:     by_value
    .group_segment_fixed_size: 0
    .kernarg_segment_align: 8
    .kernarg_segment_size: 120
    .language:       OpenCL C
    .language_version:
      - 2
      - 0
    .max_flat_workgroup_size: 256
    .name:           _ZN7rocprim17ROCPRIM_400000_NS6detail17trampoline_kernelINS0_14default_configENS1_25partition_config_selectorILNS1_17partition_subalgoE8ElNS0_10empty_typeEbEEZZNS1_14partition_implILS5_8ELb0ES3_jPlPS6_PKS6_NS0_5tupleIJS9_S6_EEENSD_IJSA_SA_EEENS0_18inequality_wrapperIZN2at6native12_GLOBAL__N_124unique_dim_cuda_templateIlEESt5tupleIJNSH_6TensorESM_SM_EERKSM_lbbbEUlllE0_EEPmJS6_EEE10hipError_tPvRmT3_T4_T5_T6_T7_T9_mT8_P12ihipStream_tbDpT10_ENKUlT_T0_E_clISt17integral_constantIbLb0EES1C_EEDaS17_S18_EUlS17_E_NS1_11comp_targetILNS1_3genE4ELNS1_11target_archE910ELNS1_3gpuE8ELNS1_3repE0EEENS1_30default_config_static_selectorELNS0_4arch9wavefront6targetE0EEEvT1_
    .private_segment_fixed_size: 0
    .sgpr_count:     0
    .sgpr_spill_count: 0
    .symbol:         _ZN7rocprim17ROCPRIM_400000_NS6detail17trampoline_kernelINS0_14default_configENS1_25partition_config_selectorILNS1_17partition_subalgoE8ElNS0_10empty_typeEbEEZZNS1_14partition_implILS5_8ELb0ES3_jPlPS6_PKS6_NS0_5tupleIJS9_S6_EEENSD_IJSA_SA_EEENS0_18inequality_wrapperIZN2at6native12_GLOBAL__N_124unique_dim_cuda_templateIlEESt5tupleIJNSH_6TensorESM_SM_EERKSM_lbbbEUlllE0_EEPmJS6_EEE10hipError_tPvRmT3_T4_T5_T6_T7_T9_mT8_P12ihipStream_tbDpT10_ENKUlT_T0_E_clISt17integral_constantIbLb0EES1C_EEDaS17_S18_EUlS17_E_NS1_11comp_targetILNS1_3genE4ELNS1_11target_archE910ELNS1_3gpuE8ELNS1_3repE0EEENS1_30default_config_static_selectorELNS0_4arch9wavefront6targetE0EEEvT1_.kd
    .uniform_work_group_size: 1
    .uses_dynamic_stack: false
    .vgpr_count:     0
    .vgpr_spill_count: 0
    .wavefront_size: 32
    .workgroup_processor_mode: 1
  - .args:
      - .offset:         0
        .size:           120
        .value_kind:     by_value
    .group_segment_fixed_size: 0
    .kernarg_segment_align: 8
    .kernarg_segment_size: 120
    .language:       OpenCL C
    .language_version:
      - 2
      - 0
    .max_flat_workgroup_size: 512
    .name:           _ZN7rocprim17ROCPRIM_400000_NS6detail17trampoline_kernelINS0_14default_configENS1_25partition_config_selectorILNS1_17partition_subalgoE8ElNS0_10empty_typeEbEEZZNS1_14partition_implILS5_8ELb0ES3_jPlPS6_PKS6_NS0_5tupleIJS9_S6_EEENSD_IJSA_SA_EEENS0_18inequality_wrapperIZN2at6native12_GLOBAL__N_124unique_dim_cuda_templateIlEESt5tupleIJNSH_6TensorESM_SM_EERKSM_lbbbEUlllE0_EEPmJS6_EEE10hipError_tPvRmT3_T4_T5_T6_T7_T9_mT8_P12ihipStream_tbDpT10_ENKUlT_T0_E_clISt17integral_constantIbLb0EES1C_EEDaS17_S18_EUlS17_E_NS1_11comp_targetILNS1_3genE3ELNS1_11target_archE908ELNS1_3gpuE7ELNS1_3repE0EEENS1_30default_config_static_selectorELNS0_4arch9wavefront6targetE0EEEvT1_
    .private_segment_fixed_size: 0
    .sgpr_count:     0
    .sgpr_spill_count: 0
    .symbol:         _ZN7rocprim17ROCPRIM_400000_NS6detail17trampoline_kernelINS0_14default_configENS1_25partition_config_selectorILNS1_17partition_subalgoE8ElNS0_10empty_typeEbEEZZNS1_14partition_implILS5_8ELb0ES3_jPlPS6_PKS6_NS0_5tupleIJS9_S6_EEENSD_IJSA_SA_EEENS0_18inequality_wrapperIZN2at6native12_GLOBAL__N_124unique_dim_cuda_templateIlEESt5tupleIJNSH_6TensorESM_SM_EERKSM_lbbbEUlllE0_EEPmJS6_EEE10hipError_tPvRmT3_T4_T5_T6_T7_T9_mT8_P12ihipStream_tbDpT10_ENKUlT_T0_E_clISt17integral_constantIbLb0EES1C_EEDaS17_S18_EUlS17_E_NS1_11comp_targetILNS1_3genE3ELNS1_11target_archE908ELNS1_3gpuE7ELNS1_3repE0EEENS1_30default_config_static_selectorELNS0_4arch9wavefront6targetE0EEEvT1_.kd
    .uniform_work_group_size: 1
    .uses_dynamic_stack: false
    .vgpr_count:     0
    .vgpr_spill_count: 0
    .wavefront_size: 32
    .workgroup_processor_mode: 1
  - .args:
      - .offset:         0
        .size:           120
        .value_kind:     by_value
    .group_segment_fixed_size: 0
    .kernarg_segment_align: 8
    .kernarg_segment_size: 120
    .language:       OpenCL C
    .language_version:
      - 2
      - 0
    .max_flat_workgroup_size: 256
    .name:           _ZN7rocprim17ROCPRIM_400000_NS6detail17trampoline_kernelINS0_14default_configENS1_25partition_config_selectorILNS1_17partition_subalgoE8ElNS0_10empty_typeEbEEZZNS1_14partition_implILS5_8ELb0ES3_jPlPS6_PKS6_NS0_5tupleIJS9_S6_EEENSD_IJSA_SA_EEENS0_18inequality_wrapperIZN2at6native12_GLOBAL__N_124unique_dim_cuda_templateIlEESt5tupleIJNSH_6TensorESM_SM_EERKSM_lbbbEUlllE0_EEPmJS6_EEE10hipError_tPvRmT3_T4_T5_T6_T7_T9_mT8_P12ihipStream_tbDpT10_ENKUlT_T0_E_clISt17integral_constantIbLb0EES1C_EEDaS17_S18_EUlS17_E_NS1_11comp_targetILNS1_3genE2ELNS1_11target_archE906ELNS1_3gpuE6ELNS1_3repE0EEENS1_30default_config_static_selectorELNS0_4arch9wavefront6targetE0EEEvT1_
    .private_segment_fixed_size: 0
    .sgpr_count:     0
    .sgpr_spill_count: 0
    .symbol:         _ZN7rocprim17ROCPRIM_400000_NS6detail17trampoline_kernelINS0_14default_configENS1_25partition_config_selectorILNS1_17partition_subalgoE8ElNS0_10empty_typeEbEEZZNS1_14partition_implILS5_8ELb0ES3_jPlPS6_PKS6_NS0_5tupleIJS9_S6_EEENSD_IJSA_SA_EEENS0_18inequality_wrapperIZN2at6native12_GLOBAL__N_124unique_dim_cuda_templateIlEESt5tupleIJNSH_6TensorESM_SM_EERKSM_lbbbEUlllE0_EEPmJS6_EEE10hipError_tPvRmT3_T4_T5_T6_T7_T9_mT8_P12ihipStream_tbDpT10_ENKUlT_T0_E_clISt17integral_constantIbLb0EES1C_EEDaS17_S18_EUlS17_E_NS1_11comp_targetILNS1_3genE2ELNS1_11target_archE906ELNS1_3gpuE6ELNS1_3repE0EEENS1_30default_config_static_selectorELNS0_4arch9wavefront6targetE0EEEvT1_.kd
    .uniform_work_group_size: 1
    .uses_dynamic_stack: false
    .vgpr_count:     0
    .vgpr_spill_count: 0
    .wavefront_size: 32
    .workgroup_processor_mode: 1
  - .args:
      - .offset:         0
        .size:           120
        .value_kind:     by_value
    .group_segment_fixed_size: 0
    .kernarg_segment_align: 8
    .kernarg_segment_size: 120
    .language:       OpenCL C
    .language_version:
      - 2
      - 0
    .max_flat_workgroup_size: 384
    .name:           _ZN7rocprim17ROCPRIM_400000_NS6detail17trampoline_kernelINS0_14default_configENS1_25partition_config_selectorILNS1_17partition_subalgoE8ElNS0_10empty_typeEbEEZZNS1_14partition_implILS5_8ELb0ES3_jPlPS6_PKS6_NS0_5tupleIJS9_S6_EEENSD_IJSA_SA_EEENS0_18inequality_wrapperIZN2at6native12_GLOBAL__N_124unique_dim_cuda_templateIlEESt5tupleIJNSH_6TensorESM_SM_EERKSM_lbbbEUlllE0_EEPmJS6_EEE10hipError_tPvRmT3_T4_T5_T6_T7_T9_mT8_P12ihipStream_tbDpT10_ENKUlT_T0_E_clISt17integral_constantIbLb0EES1C_EEDaS17_S18_EUlS17_E_NS1_11comp_targetILNS1_3genE10ELNS1_11target_archE1200ELNS1_3gpuE4ELNS1_3repE0EEENS1_30default_config_static_selectorELNS0_4arch9wavefront6targetE0EEEvT1_
    .private_segment_fixed_size: 0
    .sgpr_count:     0
    .sgpr_spill_count: 0
    .symbol:         _ZN7rocprim17ROCPRIM_400000_NS6detail17trampoline_kernelINS0_14default_configENS1_25partition_config_selectorILNS1_17partition_subalgoE8ElNS0_10empty_typeEbEEZZNS1_14partition_implILS5_8ELb0ES3_jPlPS6_PKS6_NS0_5tupleIJS9_S6_EEENSD_IJSA_SA_EEENS0_18inequality_wrapperIZN2at6native12_GLOBAL__N_124unique_dim_cuda_templateIlEESt5tupleIJNSH_6TensorESM_SM_EERKSM_lbbbEUlllE0_EEPmJS6_EEE10hipError_tPvRmT3_T4_T5_T6_T7_T9_mT8_P12ihipStream_tbDpT10_ENKUlT_T0_E_clISt17integral_constantIbLb0EES1C_EEDaS17_S18_EUlS17_E_NS1_11comp_targetILNS1_3genE10ELNS1_11target_archE1200ELNS1_3gpuE4ELNS1_3repE0EEENS1_30default_config_static_selectorELNS0_4arch9wavefront6targetE0EEEvT1_.kd
    .uniform_work_group_size: 1
    .uses_dynamic_stack: false
    .vgpr_count:     0
    .vgpr_spill_count: 0
    .wavefront_size: 32
    .workgroup_processor_mode: 1
  - .args:
      - .offset:         0
        .size:           120
        .value_kind:     by_value
    .group_segment_fixed_size: 33804
    .kernarg_segment_align: 8
    .kernarg_segment_size: 120
    .language:       OpenCL C
    .language_version:
      - 2
      - 0
    .max_flat_workgroup_size: 512
    .name:           _ZN7rocprim17ROCPRIM_400000_NS6detail17trampoline_kernelINS0_14default_configENS1_25partition_config_selectorILNS1_17partition_subalgoE8ElNS0_10empty_typeEbEEZZNS1_14partition_implILS5_8ELb0ES3_jPlPS6_PKS6_NS0_5tupleIJS9_S6_EEENSD_IJSA_SA_EEENS0_18inequality_wrapperIZN2at6native12_GLOBAL__N_124unique_dim_cuda_templateIlEESt5tupleIJNSH_6TensorESM_SM_EERKSM_lbbbEUlllE0_EEPmJS6_EEE10hipError_tPvRmT3_T4_T5_T6_T7_T9_mT8_P12ihipStream_tbDpT10_ENKUlT_T0_E_clISt17integral_constantIbLb0EES1C_EEDaS17_S18_EUlS17_E_NS1_11comp_targetILNS1_3genE9ELNS1_11target_archE1100ELNS1_3gpuE3ELNS1_3repE0EEENS1_30default_config_static_selectorELNS0_4arch9wavefront6targetE0EEEvT1_
    .private_segment_fixed_size: 0
    .sgpr_count:     38
    .sgpr_spill_count: 0
    .symbol:         _ZN7rocprim17ROCPRIM_400000_NS6detail17trampoline_kernelINS0_14default_configENS1_25partition_config_selectorILNS1_17partition_subalgoE8ElNS0_10empty_typeEbEEZZNS1_14partition_implILS5_8ELb0ES3_jPlPS6_PKS6_NS0_5tupleIJS9_S6_EEENSD_IJSA_SA_EEENS0_18inequality_wrapperIZN2at6native12_GLOBAL__N_124unique_dim_cuda_templateIlEESt5tupleIJNSH_6TensorESM_SM_EERKSM_lbbbEUlllE0_EEPmJS6_EEE10hipError_tPvRmT3_T4_T5_T6_T7_T9_mT8_P12ihipStream_tbDpT10_ENKUlT_T0_E_clISt17integral_constantIbLb0EES1C_EEDaS17_S18_EUlS17_E_NS1_11comp_targetILNS1_3genE9ELNS1_11target_archE1100ELNS1_3gpuE3ELNS1_3repE0EEENS1_30default_config_static_selectorELNS0_4arch9wavefront6targetE0EEEvT1_.kd
    .uniform_work_group_size: 1
    .uses_dynamic_stack: false
    .vgpr_count:     52
    .vgpr_spill_count: 0
    .wavefront_size: 32
    .workgroup_processor_mode: 1
  - .args:
      - .offset:         0
        .size:           120
        .value_kind:     by_value
    .group_segment_fixed_size: 0
    .kernarg_segment_align: 8
    .kernarg_segment_size: 120
    .language:       OpenCL C
    .language_version:
      - 2
      - 0
    .max_flat_workgroup_size: 512
    .name:           _ZN7rocprim17ROCPRIM_400000_NS6detail17trampoline_kernelINS0_14default_configENS1_25partition_config_selectorILNS1_17partition_subalgoE8ElNS0_10empty_typeEbEEZZNS1_14partition_implILS5_8ELb0ES3_jPlPS6_PKS6_NS0_5tupleIJS9_S6_EEENSD_IJSA_SA_EEENS0_18inequality_wrapperIZN2at6native12_GLOBAL__N_124unique_dim_cuda_templateIlEESt5tupleIJNSH_6TensorESM_SM_EERKSM_lbbbEUlllE0_EEPmJS6_EEE10hipError_tPvRmT3_T4_T5_T6_T7_T9_mT8_P12ihipStream_tbDpT10_ENKUlT_T0_E_clISt17integral_constantIbLb0EES1C_EEDaS17_S18_EUlS17_E_NS1_11comp_targetILNS1_3genE8ELNS1_11target_archE1030ELNS1_3gpuE2ELNS1_3repE0EEENS1_30default_config_static_selectorELNS0_4arch9wavefront6targetE0EEEvT1_
    .private_segment_fixed_size: 0
    .sgpr_count:     0
    .sgpr_spill_count: 0
    .symbol:         _ZN7rocprim17ROCPRIM_400000_NS6detail17trampoline_kernelINS0_14default_configENS1_25partition_config_selectorILNS1_17partition_subalgoE8ElNS0_10empty_typeEbEEZZNS1_14partition_implILS5_8ELb0ES3_jPlPS6_PKS6_NS0_5tupleIJS9_S6_EEENSD_IJSA_SA_EEENS0_18inequality_wrapperIZN2at6native12_GLOBAL__N_124unique_dim_cuda_templateIlEESt5tupleIJNSH_6TensorESM_SM_EERKSM_lbbbEUlllE0_EEPmJS6_EEE10hipError_tPvRmT3_T4_T5_T6_T7_T9_mT8_P12ihipStream_tbDpT10_ENKUlT_T0_E_clISt17integral_constantIbLb0EES1C_EEDaS17_S18_EUlS17_E_NS1_11comp_targetILNS1_3genE8ELNS1_11target_archE1030ELNS1_3gpuE2ELNS1_3repE0EEENS1_30default_config_static_selectorELNS0_4arch9wavefront6targetE0EEEvT1_.kd
    .uniform_work_group_size: 1
    .uses_dynamic_stack: false
    .vgpr_count:     0
    .vgpr_spill_count: 0
    .wavefront_size: 32
    .workgroup_processor_mode: 1
  - .args:
      - .offset:         0
        .size:           136
        .value_kind:     by_value
    .group_segment_fixed_size: 0
    .kernarg_segment_align: 8
    .kernarg_segment_size: 136
    .language:       OpenCL C
    .language_version:
      - 2
      - 0
    .max_flat_workgroup_size: 512
    .name:           _ZN7rocprim17ROCPRIM_400000_NS6detail17trampoline_kernelINS0_14default_configENS1_25partition_config_selectorILNS1_17partition_subalgoE8ElNS0_10empty_typeEbEEZZNS1_14partition_implILS5_8ELb0ES3_jPlPS6_PKS6_NS0_5tupleIJS9_S6_EEENSD_IJSA_SA_EEENS0_18inequality_wrapperIZN2at6native12_GLOBAL__N_124unique_dim_cuda_templateIlEESt5tupleIJNSH_6TensorESM_SM_EERKSM_lbbbEUlllE0_EEPmJS6_EEE10hipError_tPvRmT3_T4_T5_T6_T7_T9_mT8_P12ihipStream_tbDpT10_ENKUlT_T0_E_clISt17integral_constantIbLb1EES1C_EEDaS17_S18_EUlS17_E_NS1_11comp_targetILNS1_3genE0ELNS1_11target_archE4294967295ELNS1_3gpuE0ELNS1_3repE0EEENS1_30default_config_static_selectorELNS0_4arch9wavefront6targetE0EEEvT1_
    .private_segment_fixed_size: 0
    .sgpr_count:     0
    .sgpr_spill_count: 0
    .symbol:         _ZN7rocprim17ROCPRIM_400000_NS6detail17trampoline_kernelINS0_14default_configENS1_25partition_config_selectorILNS1_17partition_subalgoE8ElNS0_10empty_typeEbEEZZNS1_14partition_implILS5_8ELb0ES3_jPlPS6_PKS6_NS0_5tupleIJS9_S6_EEENSD_IJSA_SA_EEENS0_18inequality_wrapperIZN2at6native12_GLOBAL__N_124unique_dim_cuda_templateIlEESt5tupleIJNSH_6TensorESM_SM_EERKSM_lbbbEUlllE0_EEPmJS6_EEE10hipError_tPvRmT3_T4_T5_T6_T7_T9_mT8_P12ihipStream_tbDpT10_ENKUlT_T0_E_clISt17integral_constantIbLb1EES1C_EEDaS17_S18_EUlS17_E_NS1_11comp_targetILNS1_3genE0ELNS1_11target_archE4294967295ELNS1_3gpuE0ELNS1_3repE0EEENS1_30default_config_static_selectorELNS0_4arch9wavefront6targetE0EEEvT1_.kd
    .uniform_work_group_size: 1
    .uses_dynamic_stack: false
    .vgpr_count:     0
    .vgpr_spill_count: 0
    .wavefront_size: 32
    .workgroup_processor_mode: 1
  - .args:
      - .offset:         0
        .size:           136
        .value_kind:     by_value
    .group_segment_fixed_size: 0
    .kernarg_segment_align: 8
    .kernarg_segment_size: 136
    .language:       OpenCL C
    .language_version:
      - 2
      - 0
    .max_flat_workgroup_size: 512
    .name:           _ZN7rocprim17ROCPRIM_400000_NS6detail17trampoline_kernelINS0_14default_configENS1_25partition_config_selectorILNS1_17partition_subalgoE8ElNS0_10empty_typeEbEEZZNS1_14partition_implILS5_8ELb0ES3_jPlPS6_PKS6_NS0_5tupleIJS9_S6_EEENSD_IJSA_SA_EEENS0_18inequality_wrapperIZN2at6native12_GLOBAL__N_124unique_dim_cuda_templateIlEESt5tupleIJNSH_6TensorESM_SM_EERKSM_lbbbEUlllE0_EEPmJS6_EEE10hipError_tPvRmT3_T4_T5_T6_T7_T9_mT8_P12ihipStream_tbDpT10_ENKUlT_T0_E_clISt17integral_constantIbLb1EES1C_EEDaS17_S18_EUlS17_E_NS1_11comp_targetILNS1_3genE5ELNS1_11target_archE942ELNS1_3gpuE9ELNS1_3repE0EEENS1_30default_config_static_selectorELNS0_4arch9wavefront6targetE0EEEvT1_
    .private_segment_fixed_size: 0
    .sgpr_count:     0
    .sgpr_spill_count: 0
    .symbol:         _ZN7rocprim17ROCPRIM_400000_NS6detail17trampoline_kernelINS0_14default_configENS1_25partition_config_selectorILNS1_17partition_subalgoE8ElNS0_10empty_typeEbEEZZNS1_14partition_implILS5_8ELb0ES3_jPlPS6_PKS6_NS0_5tupleIJS9_S6_EEENSD_IJSA_SA_EEENS0_18inequality_wrapperIZN2at6native12_GLOBAL__N_124unique_dim_cuda_templateIlEESt5tupleIJNSH_6TensorESM_SM_EERKSM_lbbbEUlllE0_EEPmJS6_EEE10hipError_tPvRmT3_T4_T5_T6_T7_T9_mT8_P12ihipStream_tbDpT10_ENKUlT_T0_E_clISt17integral_constantIbLb1EES1C_EEDaS17_S18_EUlS17_E_NS1_11comp_targetILNS1_3genE5ELNS1_11target_archE942ELNS1_3gpuE9ELNS1_3repE0EEENS1_30default_config_static_selectorELNS0_4arch9wavefront6targetE0EEEvT1_.kd
    .uniform_work_group_size: 1
    .uses_dynamic_stack: false
    .vgpr_count:     0
    .vgpr_spill_count: 0
    .wavefront_size: 32
    .workgroup_processor_mode: 1
  - .args:
      - .offset:         0
        .size:           136
        .value_kind:     by_value
    .group_segment_fixed_size: 0
    .kernarg_segment_align: 8
    .kernarg_segment_size: 136
    .language:       OpenCL C
    .language_version:
      - 2
      - 0
    .max_flat_workgroup_size: 256
    .name:           _ZN7rocprim17ROCPRIM_400000_NS6detail17trampoline_kernelINS0_14default_configENS1_25partition_config_selectorILNS1_17partition_subalgoE8ElNS0_10empty_typeEbEEZZNS1_14partition_implILS5_8ELb0ES3_jPlPS6_PKS6_NS0_5tupleIJS9_S6_EEENSD_IJSA_SA_EEENS0_18inequality_wrapperIZN2at6native12_GLOBAL__N_124unique_dim_cuda_templateIlEESt5tupleIJNSH_6TensorESM_SM_EERKSM_lbbbEUlllE0_EEPmJS6_EEE10hipError_tPvRmT3_T4_T5_T6_T7_T9_mT8_P12ihipStream_tbDpT10_ENKUlT_T0_E_clISt17integral_constantIbLb1EES1C_EEDaS17_S18_EUlS17_E_NS1_11comp_targetILNS1_3genE4ELNS1_11target_archE910ELNS1_3gpuE8ELNS1_3repE0EEENS1_30default_config_static_selectorELNS0_4arch9wavefront6targetE0EEEvT1_
    .private_segment_fixed_size: 0
    .sgpr_count:     0
    .sgpr_spill_count: 0
    .symbol:         _ZN7rocprim17ROCPRIM_400000_NS6detail17trampoline_kernelINS0_14default_configENS1_25partition_config_selectorILNS1_17partition_subalgoE8ElNS0_10empty_typeEbEEZZNS1_14partition_implILS5_8ELb0ES3_jPlPS6_PKS6_NS0_5tupleIJS9_S6_EEENSD_IJSA_SA_EEENS0_18inequality_wrapperIZN2at6native12_GLOBAL__N_124unique_dim_cuda_templateIlEESt5tupleIJNSH_6TensorESM_SM_EERKSM_lbbbEUlllE0_EEPmJS6_EEE10hipError_tPvRmT3_T4_T5_T6_T7_T9_mT8_P12ihipStream_tbDpT10_ENKUlT_T0_E_clISt17integral_constantIbLb1EES1C_EEDaS17_S18_EUlS17_E_NS1_11comp_targetILNS1_3genE4ELNS1_11target_archE910ELNS1_3gpuE8ELNS1_3repE0EEENS1_30default_config_static_selectorELNS0_4arch9wavefront6targetE0EEEvT1_.kd
    .uniform_work_group_size: 1
    .uses_dynamic_stack: false
    .vgpr_count:     0
    .vgpr_spill_count: 0
    .wavefront_size: 32
    .workgroup_processor_mode: 1
  - .args:
      - .offset:         0
        .size:           136
        .value_kind:     by_value
    .group_segment_fixed_size: 0
    .kernarg_segment_align: 8
    .kernarg_segment_size: 136
    .language:       OpenCL C
    .language_version:
      - 2
      - 0
    .max_flat_workgroup_size: 512
    .name:           _ZN7rocprim17ROCPRIM_400000_NS6detail17trampoline_kernelINS0_14default_configENS1_25partition_config_selectorILNS1_17partition_subalgoE8ElNS0_10empty_typeEbEEZZNS1_14partition_implILS5_8ELb0ES3_jPlPS6_PKS6_NS0_5tupleIJS9_S6_EEENSD_IJSA_SA_EEENS0_18inequality_wrapperIZN2at6native12_GLOBAL__N_124unique_dim_cuda_templateIlEESt5tupleIJNSH_6TensorESM_SM_EERKSM_lbbbEUlllE0_EEPmJS6_EEE10hipError_tPvRmT3_T4_T5_T6_T7_T9_mT8_P12ihipStream_tbDpT10_ENKUlT_T0_E_clISt17integral_constantIbLb1EES1C_EEDaS17_S18_EUlS17_E_NS1_11comp_targetILNS1_3genE3ELNS1_11target_archE908ELNS1_3gpuE7ELNS1_3repE0EEENS1_30default_config_static_selectorELNS0_4arch9wavefront6targetE0EEEvT1_
    .private_segment_fixed_size: 0
    .sgpr_count:     0
    .sgpr_spill_count: 0
    .symbol:         _ZN7rocprim17ROCPRIM_400000_NS6detail17trampoline_kernelINS0_14default_configENS1_25partition_config_selectorILNS1_17partition_subalgoE8ElNS0_10empty_typeEbEEZZNS1_14partition_implILS5_8ELb0ES3_jPlPS6_PKS6_NS0_5tupleIJS9_S6_EEENSD_IJSA_SA_EEENS0_18inequality_wrapperIZN2at6native12_GLOBAL__N_124unique_dim_cuda_templateIlEESt5tupleIJNSH_6TensorESM_SM_EERKSM_lbbbEUlllE0_EEPmJS6_EEE10hipError_tPvRmT3_T4_T5_T6_T7_T9_mT8_P12ihipStream_tbDpT10_ENKUlT_T0_E_clISt17integral_constantIbLb1EES1C_EEDaS17_S18_EUlS17_E_NS1_11comp_targetILNS1_3genE3ELNS1_11target_archE908ELNS1_3gpuE7ELNS1_3repE0EEENS1_30default_config_static_selectorELNS0_4arch9wavefront6targetE0EEEvT1_.kd
    .uniform_work_group_size: 1
    .uses_dynamic_stack: false
    .vgpr_count:     0
    .vgpr_spill_count: 0
    .wavefront_size: 32
    .workgroup_processor_mode: 1
  - .args:
      - .offset:         0
        .size:           136
        .value_kind:     by_value
    .group_segment_fixed_size: 0
    .kernarg_segment_align: 8
    .kernarg_segment_size: 136
    .language:       OpenCL C
    .language_version:
      - 2
      - 0
    .max_flat_workgroup_size: 256
    .name:           _ZN7rocprim17ROCPRIM_400000_NS6detail17trampoline_kernelINS0_14default_configENS1_25partition_config_selectorILNS1_17partition_subalgoE8ElNS0_10empty_typeEbEEZZNS1_14partition_implILS5_8ELb0ES3_jPlPS6_PKS6_NS0_5tupleIJS9_S6_EEENSD_IJSA_SA_EEENS0_18inequality_wrapperIZN2at6native12_GLOBAL__N_124unique_dim_cuda_templateIlEESt5tupleIJNSH_6TensorESM_SM_EERKSM_lbbbEUlllE0_EEPmJS6_EEE10hipError_tPvRmT3_T4_T5_T6_T7_T9_mT8_P12ihipStream_tbDpT10_ENKUlT_T0_E_clISt17integral_constantIbLb1EES1C_EEDaS17_S18_EUlS17_E_NS1_11comp_targetILNS1_3genE2ELNS1_11target_archE906ELNS1_3gpuE6ELNS1_3repE0EEENS1_30default_config_static_selectorELNS0_4arch9wavefront6targetE0EEEvT1_
    .private_segment_fixed_size: 0
    .sgpr_count:     0
    .sgpr_spill_count: 0
    .symbol:         _ZN7rocprim17ROCPRIM_400000_NS6detail17trampoline_kernelINS0_14default_configENS1_25partition_config_selectorILNS1_17partition_subalgoE8ElNS0_10empty_typeEbEEZZNS1_14partition_implILS5_8ELb0ES3_jPlPS6_PKS6_NS0_5tupleIJS9_S6_EEENSD_IJSA_SA_EEENS0_18inequality_wrapperIZN2at6native12_GLOBAL__N_124unique_dim_cuda_templateIlEESt5tupleIJNSH_6TensorESM_SM_EERKSM_lbbbEUlllE0_EEPmJS6_EEE10hipError_tPvRmT3_T4_T5_T6_T7_T9_mT8_P12ihipStream_tbDpT10_ENKUlT_T0_E_clISt17integral_constantIbLb1EES1C_EEDaS17_S18_EUlS17_E_NS1_11comp_targetILNS1_3genE2ELNS1_11target_archE906ELNS1_3gpuE6ELNS1_3repE0EEENS1_30default_config_static_selectorELNS0_4arch9wavefront6targetE0EEEvT1_.kd
    .uniform_work_group_size: 1
    .uses_dynamic_stack: false
    .vgpr_count:     0
    .vgpr_spill_count: 0
    .wavefront_size: 32
    .workgroup_processor_mode: 1
  - .args:
      - .offset:         0
        .size:           136
        .value_kind:     by_value
    .group_segment_fixed_size: 0
    .kernarg_segment_align: 8
    .kernarg_segment_size: 136
    .language:       OpenCL C
    .language_version:
      - 2
      - 0
    .max_flat_workgroup_size: 384
    .name:           _ZN7rocprim17ROCPRIM_400000_NS6detail17trampoline_kernelINS0_14default_configENS1_25partition_config_selectorILNS1_17partition_subalgoE8ElNS0_10empty_typeEbEEZZNS1_14partition_implILS5_8ELb0ES3_jPlPS6_PKS6_NS0_5tupleIJS9_S6_EEENSD_IJSA_SA_EEENS0_18inequality_wrapperIZN2at6native12_GLOBAL__N_124unique_dim_cuda_templateIlEESt5tupleIJNSH_6TensorESM_SM_EERKSM_lbbbEUlllE0_EEPmJS6_EEE10hipError_tPvRmT3_T4_T5_T6_T7_T9_mT8_P12ihipStream_tbDpT10_ENKUlT_T0_E_clISt17integral_constantIbLb1EES1C_EEDaS17_S18_EUlS17_E_NS1_11comp_targetILNS1_3genE10ELNS1_11target_archE1200ELNS1_3gpuE4ELNS1_3repE0EEENS1_30default_config_static_selectorELNS0_4arch9wavefront6targetE0EEEvT1_
    .private_segment_fixed_size: 0
    .sgpr_count:     0
    .sgpr_spill_count: 0
    .symbol:         _ZN7rocprim17ROCPRIM_400000_NS6detail17trampoline_kernelINS0_14default_configENS1_25partition_config_selectorILNS1_17partition_subalgoE8ElNS0_10empty_typeEbEEZZNS1_14partition_implILS5_8ELb0ES3_jPlPS6_PKS6_NS0_5tupleIJS9_S6_EEENSD_IJSA_SA_EEENS0_18inequality_wrapperIZN2at6native12_GLOBAL__N_124unique_dim_cuda_templateIlEESt5tupleIJNSH_6TensorESM_SM_EERKSM_lbbbEUlllE0_EEPmJS6_EEE10hipError_tPvRmT3_T4_T5_T6_T7_T9_mT8_P12ihipStream_tbDpT10_ENKUlT_T0_E_clISt17integral_constantIbLb1EES1C_EEDaS17_S18_EUlS17_E_NS1_11comp_targetILNS1_3genE10ELNS1_11target_archE1200ELNS1_3gpuE4ELNS1_3repE0EEENS1_30default_config_static_selectorELNS0_4arch9wavefront6targetE0EEEvT1_.kd
    .uniform_work_group_size: 1
    .uses_dynamic_stack: false
    .vgpr_count:     0
    .vgpr_spill_count: 0
    .wavefront_size: 32
    .workgroup_processor_mode: 1
  - .args:
      - .offset:         0
        .size:           136
        .value_kind:     by_value
    .group_segment_fixed_size: 33804
    .kernarg_segment_align: 8
    .kernarg_segment_size: 136
    .language:       OpenCL C
    .language_version:
      - 2
      - 0
    .max_flat_workgroup_size: 512
    .name:           _ZN7rocprim17ROCPRIM_400000_NS6detail17trampoline_kernelINS0_14default_configENS1_25partition_config_selectorILNS1_17partition_subalgoE8ElNS0_10empty_typeEbEEZZNS1_14partition_implILS5_8ELb0ES3_jPlPS6_PKS6_NS0_5tupleIJS9_S6_EEENSD_IJSA_SA_EEENS0_18inequality_wrapperIZN2at6native12_GLOBAL__N_124unique_dim_cuda_templateIlEESt5tupleIJNSH_6TensorESM_SM_EERKSM_lbbbEUlllE0_EEPmJS6_EEE10hipError_tPvRmT3_T4_T5_T6_T7_T9_mT8_P12ihipStream_tbDpT10_ENKUlT_T0_E_clISt17integral_constantIbLb1EES1C_EEDaS17_S18_EUlS17_E_NS1_11comp_targetILNS1_3genE9ELNS1_11target_archE1100ELNS1_3gpuE3ELNS1_3repE0EEENS1_30default_config_static_selectorELNS0_4arch9wavefront6targetE0EEEvT1_
    .private_segment_fixed_size: 0
    .sgpr_count:     40
    .sgpr_spill_count: 0
    .symbol:         _ZN7rocprim17ROCPRIM_400000_NS6detail17trampoline_kernelINS0_14default_configENS1_25partition_config_selectorILNS1_17partition_subalgoE8ElNS0_10empty_typeEbEEZZNS1_14partition_implILS5_8ELb0ES3_jPlPS6_PKS6_NS0_5tupleIJS9_S6_EEENSD_IJSA_SA_EEENS0_18inequality_wrapperIZN2at6native12_GLOBAL__N_124unique_dim_cuda_templateIlEESt5tupleIJNSH_6TensorESM_SM_EERKSM_lbbbEUlllE0_EEPmJS6_EEE10hipError_tPvRmT3_T4_T5_T6_T7_T9_mT8_P12ihipStream_tbDpT10_ENKUlT_T0_E_clISt17integral_constantIbLb1EES1C_EEDaS17_S18_EUlS17_E_NS1_11comp_targetILNS1_3genE9ELNS1_11target_archE1100ELNS1_3gpuE3ELNS1_3repE0EEENS1_30default_config_static_selectorELNS0_4arch9wavefront6targetE0EEEvT1_.kd
    .uniform_work_group_size: 1
    .uses_dynamic_stack: false
    .vgpr_count:     52
    .vgpr_spill_count: 0
    .wavefront_size: 32
    .workgroup_processor_mode: 1
  - .args:
      - .offset:         0
        .size:           136
        .value_kind:     by_value
    .group_segment_fixed_size: 0
    .kernarg_segment_align: 8
    .kernarg_segment_size: 136
    .language:       OpenCL C
    .language_version:
      - 2
      - 0
    .max_flat_workgroup_size: 512
    .name:           _ZN7rocprim17ROCPRIM_400000_NS6detail17trampoline_kernelINS0_14default_configENS1_25partition_config_selectorILNS1_17partition_subalgoE8ElNS0_10empty_typeEbEEZZNS1_14partition_implILS5_8ELb0ES3_jPlPS6_PKS6_NS0_5tupleIJS9_S6_EEENSD_IJSA_SA_EEENS0_18inequality_wrapperIZN2at6native12_GLOBAL__N_124unique_dim_cuda_templateIlEESt5tupleIJNSH_6TensorESM_SM_EERKSM_lbbbEUlllE0_EEPmJS6_EEE10hipError_tPvRmT3_T4_T5_T6_T7_T9_mT8_P12ihipStream_tbDpT10_ENKUlT_T0_E_clISt17integral_constantIbLb1EES1C_EEDaS17_S18_EUlS17_E_NS1_11comp_targetILNS1_3genE8ELNS1_11target_archE1030ELNS1_3gpuE2ELNS1_3repE0EEENS1_30default_config_static_selectorELNS0_4arch9wavefront6targetE0EEEvT1_
    .private_segment_fixed_size: 0
    .sgpr_count:     0
    .sgpr_spill_count: 0
    .symbol:         _ZN7rocprim17ROCPRIM_400000_NS6detail17trampoline_kernelINS0_14default_configENS1_25partition_config_selectorILNS1_17partition_subalgoE8ElNS0_10empty_typeEbEEZZNS1_14partition_implILS5_8ELb0ES3_jPlPS6_PKS6_NS0_5tupleIJS9_S6_EEENSD_IJSA_SA_EEENS0_18inequality_wrapperIZN2at6native12_GLOBAL__N_124unique_dim_cuda_templateIlEESt5tupleIJNSH_6TensorESM_SM_EERKSM_lbbbEUlllE0_EEPmJS6_EEE10hipError_tPvRmT3_T4_T5_T6_T7_T9_mT8_P12ihipStream_tbDpT10_ENKUlT_T0_E_clISt17integral_constantIbLb1EES1C_EEDaS17_S18_EUlS17_E_NS1_11comp_targetILNS1_3genE8ELNS1_11target_archE1030ELNS1_3gpuE2ELNS1_3repE0EEENS1_30default_config_static_selectorELNS0_4arch9wavefront6targetE0EEEvT1_.kd
    .uniform_work_group_size: 1
    .uses_dynamic_stack: false
    .vgpr_count:     0
    .vgpr_spill_count: 0
    .wavefront_size: 32
    .workgroup_processor_mode: 1
  - .args:
      - .offset:         0
        .size:           120
        .value_kind:     by_value
    .group_segment_fixed_size: 0
    .kernarg_segment_align: 8
    .kernarg_segment_size: 120
    .language:       OpenCL C
    .language_version:
      - 2
      - 0
    .max_flat_workgroup_size: 512
    .name:           _ZN7rocprim17ROCPRIM_400000_NS6detail17trampoline_kernelINS0_14default_configENS1_25partition_config_selectorILNS1_17partition_subalgoE8ElNS0_10empty_typeEbEEZZNS1_14partition_implILS5_8ELb0ES3_jPlPS6_PKS6_NS0_5tupleIJS9_S6_EEENSD_IJSA_SA_EEENS0_18inequality_wrapperIZN2at6native12_GLOBAL__N_124unique_dim_cuda_templateIlEESt5tupleIJNSH_6TensorESM_SM_EERKSM_lbbbEUlllE0_EEPmJS6_EEE10hipError_tPvRmT3_T4_T5_T6_T7_T9_mT8_P12ihipStream_tbDpT10_ENKUlT_T0_E_clISt17integral_constantIbLb1EES1B_IbLb0EEEEDaS17_S18_EUlS17_E_NS1_11comp_targetILNS1_3genE0ELNS1_11target_archE4294967295ELNS1_3gpuE0ELNS1_3repE0EEENS1_30default_config_static_selectorELNS0_4arch9wavefront6targetE0EEEvT1_
    .private_segment_fixed_size: 0
    .sgpr_count:     0
    .sgpr_spill_count: 0
    .symbol:         _ZN7rocprim17ROCPRIM_400000_NS6detail17trampoline_kernelINS0_14default_configENS1_25partition_config_selectorILNS1_17partition_subalgoE8ElNS0_10empty_typeEbEEZZNS1_14partition_implILS5_8ELb0ES3_jPlPS6_PKS6_NS0_5tupleIJS9_S6_EEENSD_IJSA_SA_EEENS0_18inequality_wrapperIZN2at6native12_GLOBAL__N_124unique_dim_cuda_templateIlEESt5tupleIJNSH_6TensorESM_SM_EERKSM_lbbbEUlllE0_EEPmJS6_EEE10hipError_tPvRmT3_T4_T5_T6_T7_T9_mT8_P12ihipStream_tbDpT10_ENKUlT_T0_E_clISt17integral_constantIbLb1EES1B_IbLb0EEEEDaS17_S18_EUlS17_E_NS1_11comp_targetILNS1_3genE0ELNS1_11target_archE4294967295ELNS1_3gpuE0ELNS1_3repE0EEENS1_30default_config_static_selectorELNS0_4arch9wavefront6targetE0EEEvT1_.kd
    .uniform_work_group_size: 1
    .uses_dynamic_stack: false
    .vgpr_count:     0
    .vgpr_spill_count: 0
    .wavefront_size: 32
    .workgroup_processor_mode: 1
  - .args:
      - .offset:         0
        .size:           120
        .value_kind:     by_value
    .group_segment_fixed_size: 0
    .kernarg_segment_align: 8
    .kernarg_segment_size: 120
    .language:       OpenCL C
    .language_version:
      - 2
      - 0
    .max_flat_workgroup_size: 512
    .name:           _ZN7rocprim17ROCPRIM_400000_NS6detail17trampoline_kernelINS0_14default_configENS1_25partition_config_selectorILNS1_17partition_subalgoE8ElNS0_10empty_typeEbEEZZNS1_14partition_implILS5_8ELb0ES3_jPlPS6_PKS6_NS0_5tupleIJS9_S6_EEENSD_IJSA_SA_EEENS0_18inequality_wrapperIZN2at6native12_GLOBAL__N_124unique_dim_cuda_templateIlEESt5tupleIJNSH_6TensorESM_SM_EERKSM_lbbbEUlllE0_EEPmJS6_EEE10hipError_tPvRmT3_T4_T5_T6_T7_T9_mT8_P12ihipStream_tbDpT10_ENKUlT_T0_E_clISt17integral_constantIbLb1EES1B_IbLb0EEEEDaS17_S18_EUlS17_E_NS1_11comp_targetILNS1_3genE5ELNS1_11target_archE942ELNS1_3gpuE9ELNS1_3repE0EEENS1_30default_config_static_selectorELNS0_4arch9wavefront6targetE0EEEvT1_
    .private_segment_fixed_size: 0
    .sgpr_count:     0
    .sgpr_spill_count: 0
    .symbol:         _ZN7rocprim17ROCPRIM_400000_NS6detail17trampoline_kernelINS0_14default_configENS1_25partition_config_selectorILNS1_17partition_subalgoE8ElNS0_10empty_typeEbEEZZNS1_14partition_implILS5_8ELb0ES3_jPlPS6_PKS6_NS0_5tupleIJS9_S6_EEENSD_IJSA_SA_EEENS0_18inequality_wrapperIZN2at6native12_GLOBAL__N_124unique_dim_cuda_templateIlEESt5tupleIJNSH_6TensorESM_SM_EERKSM_lbbbEUlllE0_EEPmJS6_EEE10hipError_tPvRmT3_T4_T5_T6_T7_T9_mT8_P12ihipStream_tbDpT10_ENKUlT_T0_E_clISt17integral_constantIbLb1EES1B_IbLb0EEEEDaS17_S18_EUlS17_E_NS1_11comp_targetILNS1_3genE5ELNS1_11target_archE942ELNS1_3gpuE9ELNS1_3repE0EEENS1_30default_config_static_selectorELNS0_4arch9wavefront6targetE0EEEvT1_.kd
    .uniform_work_group_size: 1
    .uses_dynamic_stack: false
    .vgpr_count:     0
    .vgpr_spill_count: 0
    .wavefront_size: 32
    .workgroup_processor_mode: 1
  - .args:
      - .offset:         0
        .size:           120
        .value_kind:     by_value
    .group_segment_fixed_size: 0
    .kernarg_segment_align: 8
    .kernarg_segment_size: 120
    .language:       OpenCL C
    .language_version:
      - 2
      - 0
    .max_flat_workgroup_size: 256
    .name:           _ZN7rocprim17ROCPRIM_400000_NS6detail17trampoline_kernelINS0_14default_configENS1_25partition_config_selectorILNS1_17partition_subalgoE8ElNS0_10empty_typeEbEEZZNS1_14partition_implILS5_8ELb0ES3_jPlPS6_PKS6_NS0_5tupleIJS9_S6_EEENSD_IJSA_SA_EEENS0_18inequality_wrapperIZN2at6native12_GLOBAL__N_124unique_dim_cuda_templateIlEESt5tupleIJNSH_6TensorESM_SM_EERKSM_lbbbEUlllE0_EEPmJS6_EEE10hipError_tPvRmT3_T4_T5_T6_T7_T9_mT8_P12ihipStream_tbDpT10_ENKUlT_T0_E_clISt17integral_constantIbLb1EES1B_IbLb0EEEEDaS17_S18_EUlS17_E_NS1_11comp_targetILNS1_3genE4ELNS1_11target_archE910ELNS1_3gpuE8ELNS1_3repE0EEENS1_30default_config_static_selectorELNS0_4arch9wavefront6targetE0EEEvT1_
    .private_segment_fixed_size: 0
    .sgpr_count:     0
    .sgpr_spill_count: 0
    .symbol:         _ZN7rocprim17ROCPRIM_400000_NS6detail17trampoline_kernelINS0_14default_configENS1_25partition_config_selectorILNS1_17partition_subalgoE8ElNS0_10empty_typeEbEEZZNS1_14partition_implILS5_8ELb0ES3_jPlPS6_PKS6_NS0_5tupleIJS9_S6_EEENSD_IJSA_SA_EEENS0_18inequality_wrapperIZN2at6native12_GLOBAL__N_124unique_dim_cuda_templateIlEESt5tupleIJNSH_6TensorESM_SM_EERKSM_lbbbEUlllE0_EEPmJS6_EEE10hipError_tPvRmT3_T4_T5_T6_T7_T9_mT8_P12ihipStream_tbDpT10_ENKUlT_T0_E_clISt17integral_constantIbLb1EES1B_IbLb0EEEEDaS17_S18_EUlS17_E_NS1_11comp_targetILNS1_3genE4ELNS1_11target_archE910ELNS1_3gpuE8ELNS1_3repE0EEENS1_30default_config_static_selectorELNS0_4arch9wavefront6targetE0EEEvT1_.kd
    .uniform_work_group_size: 1
    .uses_dynamic_stack: false
    .vgpr_count:     0
    .vgpr_spill_count: 0
    .wavefront_size: 32
    .workgroup_processor_mode: 1
  - .args:
      - .offset:         0
        .size:           120
        .value_kind:     by_value
    .group_segment_fixed_size: 0
    .kernarg_segment_align: 8
    .kernarg_segment_size: 120
    .language:       OpenCL C
    .language_version:
      - 2
      - 0
    .max_flat_workgroup_size: 512
    .name:           _ZN7rocprim17ROCPRIM_400000_NS6detail17trampoline_kernelINS0_14default_configENS1_25partition_config_selectorILNS1_17partition_subalgoE8ElNS0_10empty_typeEbEEZZNS1_14partition_implILS5_8ELb0ES3_jPlPS6_PKS6_NS0_5tupleIJS9_S6_EEENSD_IJSA_SA_EEENS0_18inequality_wrapperIZN2at6native12_GLOBAL__N_124unique_dim_cuda_templateIlEESt5tupleIJNSH_6TensorESM_SM_EERKSM_lbbbEUlllE0_EEPmJS6_EEE10hipError_tPvRmT3_T4_T5_T6_T7_T9_mT8_P12ihipStream_tbDpT10_ENKUlT_T0_E_clISt17integral_constantIbLb1EES1B_IbLb0EEEEDaS17_S18_EUlS17_E_NS1_11comp_targetILNS1_3genE3ELNS1_11target_archE908ELNS1_3gpuE7ELNS1_3repE0EEENS1_30default_config_static_selectorELNS0_4arch9wavefront6targetE0EEEvT1_
    .private_segment_fixed_size: 0
    .sgpr_count:     0
    .sgpr_spill_count: 0
    .symbol:         _ZN7rocprim17ROCPRIM_400000_NS6detail17trampoline_kernelINS0_14default_configENS1_25partition_config_selectorILNS1_17partition_subalgoE8ElNS0_10empty_typeEbEEZZNS1_14partition_implILS5_8ELb0ES3_jPlPS6_PKS6_NS0_5tupleIJS9_S6_EEENSD_IJSA_SA_EEENS0_18inequality_wrapperIZN2at6native12_GLOBAL__N_124unique_dim_cuda_templateIlEESt5tupleIJNSH_6TensorESM_SM_EERKSM_lbbbEUlllE0_EEPmJS6_EEE10hipError_tPvRmT3_T4_T5_T6_T7_T9_mT8_P12ihipStream_tbDpT10_ENKUlT_T0_E_clISt17integral_constantIbLb1EES1B_IbLb0EEEEDaS17_S18_EUlS17_E_NS1_11comp_targetILNS1_3genE3ELNS1_11target_archE908ELNS1_3gpuE7ELNS1_3repE0EEENS1_30default_config_static_selectorELNS0_4arch9wavefront6targetE0EEEvT1_.kd
    .uniform_work_group_size: 1
    .uses_dynamic_stack: false
    .vgpr_count:     0
    .vgpr_spill_count: 0
    .wavefront_size: 32
    .workgroup_processor_mode: 1
  - .args:
      - .offset:         0
        .size:           120
        .value_kind:     by_value
    .group_segment_fixed_size: 0
    .kernarg_segment_align: 8
    .kernarg_segment_size: 120
    .language:       OpenCL C
    .language_version:
      - 2
      - 0
    .max_flat_workgroup_size: 256
    .name:           _ZN7rocprim17ROCPRIM_400000_NS6detail17trampoline_kernelINS0_14default_configENS1_25partition_config_selectorILNS1_17partition_subalgoE8ElNS0_10empty_typeEbEEZZNS1_14partition_implILS5_8ELb0ES3_jPlPS6_PKS6_NS0_5tupleIJS9_S6_EEENSD_IJSA_SA_EEENS0_18inequality_wrapperIZN2at6native12_GLOBAL__N_124unique_dim_cuda_templateIlEESt5tupleIJNSH_6TensorESM_SM_EERKSM_lbbbEUlllE0_EEPmJS6_EEE10hipError_tPvRmT3_T4_T5_T6_T7_T9_mT8_P12ihipStream_tbDpT10_ENKUlT_T0_E_clISt17integral_constantIbLb1EES1B_IbLb0EEEEDaS17_S18_EUlS17_E_NS1_11comp_targetILNS1_3genE2ELNS1_11target_archE906ELNS1_3gpuE6ELNS1_3repE0EEENS1_30default_config_static_selectorELNS0_4arch9wavefront6targetE0EEEvT1_
    .private_segment_fixed_size: 0
    .sgpr_count:     0
    .sgpr_spill_count: 0
    .symbol:         _ZN7rocprim17ROCPRIM_400000_NS6detail17trampoline_kernelINS0_14default_configENS1_25partition_config_selectorILNS1_17partition_subalgoE8ElNS0_10empty_typeEbEEZZNS1_14partition_implILS5_8ELb0ES3_jPlPS6_PKS6_NS0_5tupleIJS9_S6_EEENSD_IJSA_SA_EEENS0_18inequality_wrapperIZN2at6native12_GLOBAL__N_124unique_dim_cuda_templateIlEESt5tupleIJNSH_6TensorESM_SM_EERKSM_lbbbEUlllE0_EEPmJS6_EEE10hipError_tPvRmT3_T4_T5_T6_T7_T9_mT8_P12ihipStream_tbDpT10_ENKUlT_T0_E_clISt17integral_constantIbLb1EES1B_IbLb0EEEEDaS17_S18_EUlS17_E_NS1_11comp_targetILNS1_3genE2ELNS1_11target_archE906ELNS1_3gpuE6ELNS1_3repE0EEENS1_30default_config_static_selectorELNS0_4arch9wavefront6targetE0EEEvT1_.kd
    .uniform_work_group_size: 1
    .uses_dynamic_stack: false
    .vgpr_count:     0
    .vgpr_spill_count: 0
    .wavefront_size: 32
    .workgroup_processor_mode: 1
  - .args:
      - .offset:         0
        .size:           120
        .value_kind:     by_value
    .group_segment_fixed_size: 0
    .kernarg_segment_align: 8
    .kernarg_segment_size: 120
    .language:       OpenCL C
    .language_version:
      - 2
      - 0
    .max_flat_workgroup_size: 384
    .name:           _ZN7rocprim17ROCPRIM_400000_NS6detail17trampoline_kernelINS0_14default_configENS1_25partition_config_selectorILNS1_17partition_subalgoE8ElNS0_10empty_typeEbEEZZNS1_14partition_implILS5_8ELb0ES3_jPlPS6_PKS6_NS0_5tupleIJS9_S6_EEENSD_IJSA_SA_EEENS0_18inequality_wrapperIZN2at6native12_GLOBAL__N_124unique_dim_cuda_templateIlEESt5tupleIJNSH_6TensorESM_SM_EERKSM_lbbbEUlllE0_EEPmJS6_EEE10hipError_tPvRmT3_T4_T5_T6_T7_T9_mT8_P12ihipStream_tbDpT10_ENKUlT_T0_E_clISt17integral_constantIbLb1EES1B_IbLb0EEEEDaS17_S18_EUlS17_E_NS1_11comp_targetILNS1_3genE10ELNS1_11target_archE1200ELNS1_3gpuE4ELNS1_3repE0EEENS1_30default_config_static_selectorELNS0_4arch9wavefront6targetE0EEEvT1_
    .private_segment_fixed_size: 0
    .sgpr_count:     0
    .sgpr_spill_count: 0
    .symbol:         _ZN7rocprim17ROCPRIM_400000_NS6detail17trampoline_kernelINS0_14default_configENS1_25partition_config_selectorILNS1_17partition_subalgoE8ElNS0_10empty_typeEbEEZZNS1_14partition_implILS5_8ELb0ES3_jPlPS6_PKS6_NS0_5tupleIJS9_S6_EEENSD_IJSA_SA_EEENS0_18inequality_wrapperIZN2at6native12_GLOBAL__N_124unique_dim_cuda_templateIlEESt5tupleIJNSH_6TensorESM_SM_EERKSM_lbbbEUlllE0_EEPmJS6_EEE10hipError_tPvRmT3_T4_T5_T6_T7_T9_mT8_P12ihipStream_tbDpT10_ENKUlT_T0_E_clISt17integral_constantIbLb1EES1B_IbLb0EEEEDaS17_S18_EUlS17_E_NS1_11comp_targetILNS1_3genE10ELNS1_11target_archE1200ELNS1_3gpuE4ELNS1_3repE0EEENS1_30default_config_static_selectorELNS0_4arch9wavefront6targetE0EEEvT1_.kd
    .uniform_work_group_size: 1
    .uses_dynamic_stack: false
    .vgpr_count:     0
    .vgpr_spill_count: 0
    .wavefront_size: 32
    .workgroup_processor_mode: 1
  - .args:
      - .offset:         0
        .size:           120
        .value_kind:     by_value
    .group_segment_fixed_size: 33804
    .kernarg_segment_align: 8
    .kernarg_segment_size: 120
    .language:       OpenCL C
    .language_version:
      - 2
      - 0
    .max_flat_workgroup_size: 512
    .name:           _ZN7rocprim17ROCPRIM_400000_NS6detail17trampoline_kernelINS0_14default_configENS1_25partition_config_selectorILNS1_17partition_subalgoE8ElNS0_10empty_typeEbEEZZNS1_14partition_implILS5_8ELb0ES3_jPlPS6_PKS6_NS0_5tupleIJS9_S6_EEENSD_IJSA_SA_EEENS0_18inequality_wrapperIZN2at6native12_GLOBAL__N_124unique_dim_cuda_templateIlEESt5tupleIJNSH_6TensorESM_SM_EERKSM_lbbbEUlllE0_EEPmJS6_EEE10hipError_tPvRmT3_T4_T5_T6_T7_T9_mT8_P12ihipStream_tbDpT10_ENKUlT_T0_E_clISt17integral_constantIbLb1EES1B_IbLb0EEEEDaS17_S18_EUlS17_E_NS1_11comp_targetILNS1_3genE9ELNS1_11target_archE1100ELNS1_3gpuE3ELNS1_3repE0EEENS1_30default_config_static_selectorELNS0_4arch9wavefront6targetE0EEEvT1_
    .private_segment_fixed_size: 0
    .sgpr_count:     38
    .sgpr_spill_count: 0
    .symbol:         _ZN7rocprim17ROCPRIM_400000_NS6detail17trampoline_kernelINS0_14default_configENS1_25partition_config_selectorILNS1_17partition_subalgoE8ElNS0_10empty_typeEbEEZZNS1_14partition_implILS5_8ELb0ES3_jPlPS6_PKS6_NS0_5tupleIJS9_S6_EEENSD_IJSA_SA_EEENS0_18inequality_wrapperIZN2at6native12_GLOBAL__N_124unique_dim_cuda_templateIlEESt5tupleIJNSH_6TensorESM_SM_EERKSM_lbbbEUlllE0_EEPmJS6_EEE10hipError_tPvRmT3_T4_T5_T6_T7_T9_mT8_P12ihipStream_tbDpT10_ENKUlT_T0_E_clISt17integral_constantIbLb1EES1B_IbLb0EEEEDaS17_S18_EUlS17_E_NS1_11comp_targetILNS1_3genE9ELNS1_11target_archE1100ELNS1_3gpuE3ELNS1_3repE0EEENS1_30default_config_static_selectorELNS0_4arch9wavefront6targetE0EEEvT1_.kd
    .uniform_work_group_size: 1
    .uses_dynamic_stack: false
    .vgpr_count:     52
    .vgpr_spill_count: 0
    .wavefront_size: 32
    .workgroup_processor_mode: 1
  - .args:
      - .offset:         0
        .size:           120
        .value_kind:     by_value
    .group_segment_fixed_size: 0
    .kernarg_segment_align: 8
    .kernarg_segment_size: 120
    .language:       OpenCL C
    .language_version:
      - 2
      - 0
    .max_flat_workgroup_size: 512
    .name:           _ZN7rocprim17ROCPRIM_400000_NS6detail17trampoline_kernelINS0_14default_configENS1_25partition_config_selectorILNS1_17partition_subalgoE8ElNS0_10empty_typeEbEEZZNS1_14partition_implILS5_8ELb0ES3_jPlPS6_PKS6_NS0_5tupleIJS9_S6_EEENSD_IJSA_SA_EEENS0_18inequality_wrapperIZN2at6native12_GLOBAL__N_124unique_dim_cuda_templateIlEESt5tupleIJNSH_6TensorESM_SM_EERKSM_lbbbEUlllE0_EEPmJS6_EEE10hipError_tPvRmT3_T4_T5_T6_T7_T9_mT8_P12ihipStream_tbDpT10_ENKUlT_T0_E_clISt17integral_constantIbLb1EES1B_IbLb0EEEEDaS17_S18_EUlS17_E_NS1_11comp_targetILNS1_3genE8ELNS1_11target_archE1030ELNS1_3gpuE2ELNS1_3repE0EEENS1_30default_config_static_selectorELNS0_4arch9wavefront6targetE0EEEvT1_
    .private_segment_fixed_size: 0
    .sgpr_count:     0
    .sgpr_spill_count: 0
    .symbol:         _ZN7rocprim17ROCPRIM_400000_NS6detail17trampoline_kernelINS0_14default_configENS1_25partition_config_selectorILNS1_17partition_subalgoE8ElNS0_10empty_typeEbEEZZNS1_14partition_implILS5_8ELb0ES3_jPlPS6_PKS6_NS0_5tupleIJS9_S6_EEENSD_IJSA_SA_EEENS0_18inequality_wrapperIZN2at6native12_GLOBAL__N_124unique_dim_cuda_templateIlEESt5tupleIJNSH_6TensorESM_SM_EERKSM_lbbbEUlllE0_EEPmJS6_EEE10hipError_tPvRmT3_T4_T5_T6_T7_T9_mT8_P12ihipStream_tbDpT10_ENKUlT_T0_E_clISt17integral_constantIbLb1EES1B_IbLb0EEEEDaS17_S18_EUlS17_E_NS1_11comp_targetILNS1_3genE8ELNS1_11target_archE1030ELNS1_3gpuE2ELNS1_3repE0EEENS1_30default_config_static_selectorELNS0_4arch9wavefront6targetE0EEEvT1_.kd
    .uniform_work_group_size: 1
    .uses_dynamic_stack: false
    .vgpr_count:     0
    .vgpr_spill_count: 0
    .wavefront_size: 32
    .workgroup_processor_mode: 1
  - .args:
      - .offset:         0
        .size:           136
        .value_kind:     by_value
    .group_segment_fixed_size: 0
    .kernarg_segment_align: 8
    .kernarg_segment_size: 136
    .language:       OpenCL C
    .language_version:
      - 2
      - 0
    .max_flat_workgroup_size: 512
    .name:           _ZN7rocprim17ROCPRIM_400000_NS6detail17trampoline_kernelINS0_14default_configENS1_25partition_config_selectorILNS1_17partition_subalgoE8ElNS0_10empty_typeEbEEZZNS1_14partition_implILS5_8ELb0ES3_jPlPS6_PKS6_NS0_5tupleIJS9_S6_EEENSD_IJSA_SA_EEENS0_18inequality_wrapperIZN2at6native12_GLOBAL__N_124unique_dim_cuda_templateIlEESt5tupleIJNSH_6TensorESM_SM_EERKSM_lbbbEUlllE0_EEPmJS6_EEE10hipError_tPvRmT3_T4_T5_T6_T7_T9_mT8_P12ihipStream_tbDpT10_ENKUlT_T0_E_clISt17integral_constantIbLb0EES1B_IbLb1EEEEDaS17_S18_EUlS17_E_NS1_11comp_targetILNS1_3genE0ELNS1_11target_archE4294967295ELNS1_3gpuE0ELNS1_3repE0EEENS1_30default_config_static_selectorELNS0_4arch9wavefront6targetE0EEEvT1_
    .private_segment_fixed_size: 0
    .sgpr_count:     0
    .sgpr_spill_count: 0
    .symbol:         _ZN7rocprim17ROCPRIM_400000_NS6detail17trampoline_kernelINS0_14default_configENS1_25partition_config_selectorILNS1_17partition_subalgoE8ElNS0_10empty_typeEbEEZZNS1_14partition_implILS5_8ELb0ES3_jPlPS6_PKS6_NS0_5tupleIJS9_S6_EEENSD_IJSA_SA_EEENS0_18inequality_wrapperIZN2at6native12_GLOBAL__N_124unique_dim_cuda_templateIlEESt5tupleIJNSH_6TensorESM_SM_EERKSM_lbbbEUlllE0_EEPmJS6_EEE10hipError_tPvRmT3_T4_T5_T6_T7_T9_mT8_P12ihipStream_tbDpT10_ENKUlT_T0_E_clISt17integral_constantIbLb0EES1B_IbLb1EEEEDaS17_S18_EUlS17_E_NS1_11comp_targetILNS1_3genE0ELNS1_11target_archE4294967295ELNS1_3gpuE0ELNS1_3repE0EEENS1_30default_config_static_selectorELNS0_4arch9wavefront6targetE0EEEvT1_.kd
    .uniform_work_group_size: 1
    .uses_dynamic_stack: false
    .vgpr_count:     0
    .vgpr_spill_count: 0
    .wavefront_size: 32
    .workgroup_processor_mode: 1
  - .args:
      - .offset:         0
        .size:           136
        .value_kind:     by_value
    .group_segment_fixed_size: 0
    .kernarg_segment_align: 8
    .kernarg_segment_size: 136
    .language:       OpenCL C
    .language_version:
      - 2
      - 0
    .max_flat_workgroup_size: 512
    .name:           _ZN7rocprim17ROCPRIM_400000_NS6detail17trampoline_kernelINS0_14default_configENS1_25partition_config_selectorILNS1_17partition_subalgoE8ElNS0_10empty_typeEbEEZZNS1_14partition_implILS5_8ELb0ES3_jPlPS6_PKS6_NS0_5tupleIJS9_S6_EEENSD_IJSA_SA_EEENS0_18inequality_wrapperIZN2at6native12_GLOBAL__N_124unique_dim_cuda_templateIlEESt5tupleIJNSH_6TensorESM_SM_EERKSM_lbbbEUlllE0_EEPmJS6_EEE10hipError_tPvRmT3_T4_T5_T6_T7_T9_mT8_P12ihipStream_tbDpT10_ENKUlT_T0_E_clISt17integral_constantIbLb0EES1B_IbLb1EEEEDaS17_S18_EUlS17_E_NS1_11comp_targetILNS1_3genE5ELNS1_11target_archE942ELNS1_3gpuE9ELNS1_3repE0EEENS1_30default_config_static_selectorELNS0_4arch9wavefront6targetE0EEEvT1_
    .private_segment_fixed_size: 0
    .sgpr_count:     0
    .sgpr_spill_count: 0
    .symbol:         _ZN7rocprim17ROCPRIM_400000_NS6detail17trampoline_kernelINS0_14default_configENS1_25partition_config_selectorILNS1_17partition_subalgoE8ElNS0_10empty_typeEbEEZZNS1_14partition_implILS5_8ELb0ES3_jPlPS6_PKS6_NS0_5tupleIJS9_S6_EEENSD_IJSA_SA_EEENS0_18inequality_wrapperIZN2at6native12_GLOBAL__N_124unique_dim_cuda_templateIlEESt5tupleIJNSH_6TensorESM_SM_EERKSM_lbbbEUlllE0_EEPmJS6_EEE10hipError_tPvRmT3_T4_T5_T6_T7_T9_mT8_P12ihipStream_tbDpT10_ENKUlT_T0_E_clISt17integral_constantIbLb0EES1B_IbLb1EEEEDaS17_S18_EUlS17_E_NS1_11comp_targetILNS1_3genE5ELNS1_11target_archE942ELNS1_3gpuE9ELNS1_3repE0EEENS1_30default_config_static_selectorELNS0_4arch9wavefront6targetE0EEEvT1_.kd
    .uniform_work_group_size: 1
    .uses_dynamic_stack: false
    .vgpr_count:     0
    .vgpr_spill_count: 0
    .wavefront_size: 32
    .workgroup_processor_mode: 1
  - .args:
      - .offset:         0
        .size:           136
        .value_kind:     by_value
    .group_segment_fixed_size: 0
    .kernarg_segment_align: 8
    .kernarg_segment_size: 136
    .language:       OpenCL C
    .language_version:
      - 2
      - 0
    .max_flat_workgroup_size: 256
    .name:           _ZN7rocprim17ROCPRIM_400000_NS6detail17trampoline_kernelINS0_14default_configENS1_25partition_config_selectorILNS1_17partition_subalgoE8ElNS0_10empty_typeEbEEZZNS1_14partition_implILS5_8ELb0ES3_jPlPS6_PKS6_NS0_5tupleIJS9_S6_EEENSD_IJSA_SA_EEENS0_18inequality_wrapperIZN2at6native12_GLOBAL__N_124unique_dim_cuda_templateIlEESt5tupleIJNSH_6TensorESM_SM_EERKSM_lbbbEUlllE0_EEPmJS6_EEE10hipError_tPvRmT3_T4_T5_T6_T7_T9_mT8_P12ihipStream_tbDpT10_ENKUlT_T0_E_clISt17integral_constantIbLb0EES1B_IbLb1EEEEDaS17_S18_EUlS17_E_NS1_11comp_targetILNS1_3genE4ELNS1_11target_archE910ELNS1_3gpuE8ELNS1_3repE0EEENS1_30default_config_static_selectorELNS0_4arch9wavefront6targetE0EEEvT1_
    .private_segment_fixed_size: 0
    .sgpr_count:     0
    .sgpr_spill_count: 0
    .symbol:         _ZN7rocprim17ROCPRIM_400000_NS6detail17trampoline_kernelINS0_14default_configENS1_25partition_config_selectorILNS1_17partition_subalgoE8ElNS0_10empty_typeEbEEZZNS1_14partition_implILS5_8ELb0ES3_jPlPS6_PKS6_NS0_5tupleIJS9_S6_EEENSD_IJSA_SA_EEENS0_18inequality_wrapperIZN2at6native12_GLOBAL__N_124unique_dim_cuda_templateIlEESt5tupleIJNSH_6TensorESM_SM_EERKSM_lbbbEUlllE0_EEPmJS6_EEE10hipError_tPvRmT3_T4_T5_T6_T7_T9_mT8_P12ihipStream_tbDpT10_ENKUlT_T0_E_clISt17integral_constantIbLb0EES1B_IbLb1EEEEDaS17_S18_EUlS17_E_NS1_11comp_targetILNS1_3genE4ELNS1_11target_archE910ELNS1_3gpuE8ELNS1_3repE0EEENS1_30default_config_static_selectorELNS0_4arch9wavefront6targetE0EEEvT1_.kd
    .uniform_work_group_size: 1
    .uses_dynamic_stack: false
    .vgpr_count:     0
    .vgpr_spill_count: 0
    .wavefront_size: 32
    .workgroup_processor_mode: 1
  - .args:
      - .offset:         0
        .size:           136
        .value_kind:     by_value
    .group_segment_fixed_size: 0
    .kernarg_segment_align: 8
    .kernarg_segment_size: 136
    .language:       OpenCL C
    .language_version:
      - 2
      - 0
    .max_flat_workgroup_size: 512
    .name:           _ZN7rocprim17ROCPRIM_400000_NS6detail17trampoline_kernelINS0_14default_configENS1_25partition_config_selectorILNS1_17partition_subalgoE8ElNS0_10empty_typeEbEEZZNS1_14partition_implILS5_8ELb0ES3_jPlPS6_PKS6_NS0_5tupleIJS9_S6_EEENSD_IJSA_SA_EEENS0_18inequality_wrapperIZN2at6native12_GLOBAL__N_124unique_dim_cuda_templateIlEESt5tupleIJNSH_6TensorESM_SM_EERKSM_lbbbEUlllE0_EEPmJS6_EEE10hipError_tPvRmT3_T4_T5_T6_T7_T9_mT8_P12ihipStream_tbDpT10_ENKUlT_T0_E_clISt17integral_constantIbLb0EES1B_IbLb1EEEEDaS17_S18_EUlS17_E_NS1_11comp_targetILNS1_3genE3ELNS1_11target_archE908ELNS1_3gpuE7ELNS1_3repE0EEENS1_30default_config_static_selectorELNS0_4arch9wavefront6targetE0EEEvT1_
    .private_segment_fixed_size: 0
    .sgpr_count:     0
    .sgpr_spill_count: 0
    .symbol:         _ZN7rocprim17ROCPRIM_400000_NS6detail17trampoline_kernelINS0_14default_configENS1_25partition_config_selectorILNS1_17partition_subalgoE8ElNS0_10empty_typeEbEEZZNS1_14partition_implILS5_8ELb0ES3_jPlPS6_PKS6_NS0_5tupleIJS9_S6_EEENSD_IJSA_SA_EEENS0_18inequality_wrapperIZN2at6native12_GLOBAL__N_124unique_dim_cuda_templateIlEESt5tupleIJNSH_6TensorESM_SM_EERKSM_lbbbEUlllE0_EEPmJS6_EEE10hipError_tPvRmT3_T4_T5_T6_T7_T9_mT8_P12ihipStream_tbDpT10_ENKUlT_T0_E_clISt17integral_constantIbLb0EES1B_IbLb1EEEEDaS17_S18_EUlS17_E_NS1_11comp_targetILNS1_3genE3ELNS1_11target_archE908ELNS1_3gpuE7ELNS1_3repE0EEENS1_30default_config_static_selectorELNS0_4arch9wavefront6targetE0EEEvT1_.kd
    .uniform_work_group_size: 1
    .uses_dynamic_stack: false
    .vgpr_count:     0
    .vgpr_spill_count: 0
    .wavefront_size: 32
    .workgroup_processor_mode: 1
  - .args:
      - .offset:         0
        .size:           136
        .value_kind:     by_value
    .group_segment_fixed_size: 0
    .kernarg_segment_align: 8
    .kernarg_segment_size: 136
    .language:       OpenCL C
    .language_version:
      - 2
      - 0
    .max_flat_workgroup_size: 256
    .name:           _ZN7rocprim17ROCPRIM_400000_NS6detail17trampoline_kernelINS0_14default_configENS1_25partition_config_selectorILNS1_17partition_subalgoE8ElNS0_10empty_typeEbEEZZNS1_14partition_implILS5_8ELb0ES3_jPlPS6_PKS6_NS0_5tupleIJS9_S6_EEENSD_IJSA_SA_EEENS0_18inequality_wrapperIZN2at6native12_GLOBAL__N_124unique_dim_cuda_templateIlEESt5tupleIJNSH_6TensorESM_SM_EERKSM_lbbbEUlllE0_EEPmJS6_EEE10hipError_tPvRmT3_T4_T5_T6_T7_T9_mT8_P12ihipStream_tbDpT10_ENKUlT_T0_E_clISt17integral_constantIbLb0EES1B_IbLb1EEEEDaS17_S18_EUlS17_E_NS1_11comp_targetILNS1_3genE2ELNS1_11target_archE906ELNS1_3gpuE6ELNS1_3repE0EEENS1_30default_config_static_selectorELNS0_4arch9wavefront6targetE0EEEvT1_
    .private_segment_fixed_size: 0
    .sgpr_count:     0
    .sgpr_spill_count: 0
    .symbol:         _ZN7rocprim17ROCPRIM_400000_NS6detail17trampoline_kernelINS0_14default_configENS1_25partition_config_selectorILNS1_17partition_subalgoE8ElNS0_10empty_typeEbEEZZNS1_14partition_implILS5_8ELb0ES3_jPlPS6_PKS6_NS0_5tupleIJS9_S6_EEENSD_IJSA_SA_EEENS0_18inequality_wrapperIZN2at6native12_GLOBAL__N_124unique_dim_cuda_templateIlEESt5tupleIJNSH_6TensorESM_SM_EERKSM_lbbbEUlllE0_EEPmJS6_EEE10hipError_tPvRmT3_T4_T5_T6_T7_T9_mT8_P12ihipStream_tbDpT10_ENKUlT_T0_E_clISt17integral_constantIbLb0EES1B_IbLb1EEEEDaS17_S18_EUlS17_E_NS1_11comp_targetILNS1_3genE2ELNS1_11target_archE906ELNS1_3gpuE6ELNS1_3repE0EEENS1_30default_config_static_selectorELNS0_4arch9wavefront6targetE0EEEvT1_.kd
    .uniform_work_group_size: 1
    .uses_dynamic_stack: false
    .vgpr_count:     0
    .vgpr_spill_count: 0
    .wavefront_size: 32
    .workgroup_processor_mode: 1
  - .args:
      - .offset:         0
        .size:           136
        .value_kind:     by_value
    .group_segment_fixed_size: 0
    .kernarg_segment_align: 8
    .kernarg_segment_size: 136
    .language:       OpenCL C
    .language_version:
      - 2
      - 0
    .max_flat_workgroup_size: 384
    .name:           _ZN7rocprim17ROCPRIM_400000_NS6detail17trampoline_kernelINS0_14default_configENS1_25partition_config_selectorILNS1_17partition_subalgoE8ElNS0_10empty_typeEbEEZZNS1_14partition_implILS5_8ELb0ES3_jPlPS6_PKS6_NS0_5tupleIJS9_S6_EEENSD_IJSA_SA_EEENS0_18inequality_wrapperIZN2at6native12_GLOBAL__N_124unique_dim_cuda_templateIlEESt5tupleIJNSH_6TensorESM_SM_EERKSM_lbbbEUlllE0_EEPmJS6_EEE10hipError_tPvRmT3_T4_T5_T6_T7_T9_mT8_P12ihipStream_tbDpT10_ENKUlT_T0_E_clISt17integral_constantIbLb0EES1B_IbLb1EEEEDaS17_S18_EUlS17_E_NS1_11comp_targetILNS1_3genE10ELNS1_11target_archE1200ELNS1_3gpuE4ELNS1_3repE0EEENS1_30default_config_static_selectorELNS0_4arch9wavefront6targetE0EEEvT1_
    .private_segment_fixed_size: 0
    .sgpr_count:     0
    .sgpr_spill_count: 0
    .symbol:         _ZN7rocprim17ROCPRIM_400000_NS6detail17trampoline_kernelINS0_14default_configENS1_25partition_config_selectorILNS1_17partition_subalgoE8ElNS0_10empty_typeEbEEZZNS1_14partition_implILS5_8ELb0ES3_jPlPS6_PKS6_NS0_5tupleIJS9_S6_EEENSD_IJSA_SA_EEENS0_18inequality_wrapperIZN2at6native12_GLOBAL__N_124unique_dim_cuda_templateIlEESt5tupleIJNSH_6TensorESM_SM_EERKSM_lbbbEUlllE0_EEPmJS6_EEE10hipError_tPvRmT3_T4_T5_T6_T7_T9_mT8_P12ihipStream_tbDpT10_ENKUlT_T0_E_clISt17integral_constantIbLb0EES1B_IbLb1EEEEDaS17_S18_EUlS17_E_NS1_11comp_targetILNS1_3genE10ELNS1_11target_archE1200ELNS1_3gpuE4ELNS1_3repE0EEENS1_30default_config_static_selectorELNS0_4arch9wavefront6targetE0EEEvT1_.kd
    .uniform_work_group_size: 1
    .uses_dynamic_stack: false
    .vgpr_count:     0
    .vgpr_spill_count: 0
    .wavefront_size: 32
    .workgroup_processor_mode: 1
  - .args:
      - .offset:         0
        .size:           136
        .value_kind:     by_value
    .group_segment_fixed_size: 33804
    .kernarg_segment_align: 8
    .kernarg_segment_size: 136
    .language:       OpenCL C
    .language_version:
      - 2
      - 0
    .max_flat_workgroup_size: 512
    .name:           _ZN7rocprim17ROCPRIM_400000_NS6detail17trampoline_kernelINS0_14default_configENS1_25partition_config_selectorILNS1_17partition_subalgoE8ElNS0_10empty_typeEbEEZZNS1_14partition_implILS5_8ELb0ES3_jPlPS6_PKS6_NS0_5tupleIJS9_S6_EEENSD_IJSA_SA_EEENS0_18inequality_wrapperIZN2at6native12_GLOBAL__N_124unique_dim_cuda_templateIlEESt5tupleIJNSH_6TensorESM_SM_EERKSM_lbbbEUlllE0_EEPmJS6_EEE10hipError_tPvRmT3_T4_T5_T6_T7_T9_mT8_P12ihipStream_tbDpT10_ENKUlT_T0_E_clISt17integral_constantIbLb0EES1B_IbLb1EEEEDaS17_S18_EUlS17_E_NS1_11comp_targetILNS1_3genE9ELNS1_11target_archE1100ELNS1_3gpuE3ELNS1_3repE0EEENS1_30default_config_static_selectorELNS0_4arch9wavefront6targetE0EEEvT1_
    .private_segment_fixed_size: 0
    .sgpr_count:     40
    .sgpr_spill_count: 0
    .symbol:         _ZN7rocprim17ROCPRIM_400000_NS6detail17trampoline_kernelINS0_14default_configENS1_25partition_config_selectorILNS1_17partition_subalgoE8ElNS0_10empty_typeEbEEZZNS1_14partition_implILS5_8ELb0ES3_jPlPS6_PKS6_NS0_5tupleIJS9_S6_EEENSD_IJSA_SA_EEENS0_18inequality_wrapperIZN2at6native12_GLOBAL__N_124unique_dim_cuda_templateIlEESt5tupleIJNSH_6TensorESM_SM_EERKSM_lbbbEUlllE0_EEPmJS6_EEE10hipError_tPvRmT3_T4_T5_T6_T7_T9_mT8_P12ihipStream_tbDpT10_ENKUlT_T0_E_clISt17integral_constantIbLb0EES1B_IbLb1EEEEDaS17_S18_EUlS17_E_NS1_11comp_targetILNS1_3genE9ELNS1_11target_archE1100ELNS1_3gpuE3ELNS1_3repE0EEENS1_30default_config_static_selectorELNS0_4arch9wavefront6targetE0EEEvT1_.kd
    .uniform_work_group_size: 1
    .uses_dynamic_stack: false
    .vgpr_count:     52
    .vgpr_spill_count: 0
    .wavefront_size: 32
    .workgroup_processor_mode: 1
  - .args:
      - .offset:         0
        .size:           136
        .value_kind:     by_value
    .group_segment_fixed_size: 0
    .kernarg_segment_align: 8
    .kernarg_segment_size: 136
    .language:       OpenCL C
    .language_version:
      - 2
      - 0
    .max_flat_workgroup_size: 512
    .name:           _ZN7rocprim17ROCPRIM_400000_NS6detail17trampoline_kernelINS0_14default_configENS1_25partition_config_selectorILNS1_17partition_subalgoE8ElNS0_10empty_typeEbEEZZNS1_14partition_implILS5_8ELb0ES3_jPlPS6_PKS6_NS0_5tupleIJS9_S6_EEENSD_IJSA_SA_EEENS0_18inequality_wrapperIZN2at6native12_GLOBAL__N_124unique_dim_cuda_templateIlEESt5tupleIJNSH_6TensorESM_SM_EERKSM_lbbbEUlllE0_EEPmJS6_EEE10hipError_tPvRmT3_T4_T5_T6_T7_T9_mT8_P12ihipStream_tbDpT10_ENKUlT_T0_E_clISt17integral_constantIbLb0EES1B_IbLb1EEEEDaS17_S18_EUlS17_E_NS1_11comp_targetILNS1_3genE8ELNS1_11target_archE1030ELNS1_3gpuE2ELNS1_3repE0EEENS1_30default_config_static_selectorELNS0_4arch9wavefront6targetE0EEEvT1_
    .private_segment_fixed_size: 0
    .sgpr_count:     0
    .sgpr_spill_count: 0
    .symbol:         _ZN7rocprim17ROCPRIM_400000_NS6detail17trampoline_kernelINS0_14default_configENS1_25partition_config_selectorILNS1_17partition_subalgoE8ElNS0_10empty_typeEbEEZZNS1_14partition_implILS5_8ELb0ES3_jPlPS6_PKS6_NS0_5tupleIJS9_S6_EEENSD_IJSA_SA_EEENS0_18inequality_wrapperIZN2at6native12_GLOBAL__N_124unique_dim_cuda_templateIlEESt5tupleIJNSH_6TensorESM_SM_EERKSM_lbbbEUlllE0_EEPmJS6_EEE10hipError_tPvRmT3_T4_T5_T6_T7_T9_mT8_P12ihipStream_tbDpT10_ENKUlT_T0_E_clISt17integral_constantIbLb0EES1B_IbLb1EEEEDaS17_S18_EUlS17_E_NS1_11comp_targetILNS1_3genE8ELNS1_11target_archE1030ELNS1_3gpuE2ELNS1_3repE0EEENS1_30default_config_static_selectorELNS0_4arch9wavefront6targetE0EEEvT1_.kd
    .uniform_work_group_size: 1
    .uses_dynamic_stack: false
    .vgpr_count:     0
    .vgpr_spill_count: 0
    .wavefront_size: 32
    .workgroup_processor_mode: 1
  - .args:
      - .offset:         0
        .size:           120
        .value_kind:     by_value
    .group_segment_fixed_size: 0
    .kernarg_segment_align: 8
    .kernarg_segment_size: 120
    .language:       OpenCL C
    .language_version:
      - 2
      - 0
    .max_flat_workgroup_size: 128
    .name:           _ZN7rocprim17ROCPRIM_400000_NS6detail17trampoline_kernelINS0_14default_configENS1_25partition_config_selectorILNS1_17partition_subalgoE9EllbEEZZNS1_14partition_implILS5_9ELb0ES3_jPlS8_PNS0_10empty_typeENS0_5tupleIJS8_S9_EEENSB_IJS8_SA_EEENS0_18inequality_wrapperIZN2at6native12_GLOBAL__N_124unique_dim_cuda_templateIlEESt5tupleIJNSF_6TensorESK_SK_EERKSK_lbbbEUlllE0_EEPmJS9_EEE10hipError_tPvRmT3_T4_T5_T6_T7_T9_mT8_P12ihipStream_tbDpT10_ENKUlT_T0_E_clISt17integral_constantIbLb0EES1A_EEDaS15_S16_EUlS15_E_NS1_11comp_targetILNS1_3genE0ELNS1_11target_archE4294967295ELNS1_3gpuE0ELNS1_3repE0EEENS1_30default_config_static_selectorELNS0_4arch9wavefront6targetE0EEEvT1_
    .private_segment_fixed_size: 0
    .sgpr_count:     0
    .sgpr_spill_count: 0
    .symbol:         _ZN7rocprim17ROCPRIM_400000_NS6detail17trampoline_kernelINS0_14default_configENS1_25partition_config_selectorILNS1_17partition_subalgoE9EllbEEZZNS1_14partition_implILS5_9ELb0ES3_jPlS8_PNS0_10empty_typeENS0_5tupleIJS8_S9_EEENSB_IJS8_SA_EEENS0_18inequality_wrapperIZN2at6native12_GLOBAL__N_124unique_dim_cuda_templateIlEESt5tupleIJNSF_6TensorESK_SK_EERKSK_lbbbEUlllE0_EEPmJS9_EEE10hipError_tPvRmT3_T4_T5_T6_T7_T9_mT8_P12ihipStream_tbDpT10_ENKUlT_T0_E_clISt17integral_constantIbLb0EES1A_EEDaS15_S16_EUlS15_E_NS1_11comp_targetILNS1_3genE0ELNS1_11target_archE4294967295ELNS1_3gpuE0ELNS1_3repE0EEENS1_30default_config_static_selectorELNS0_4arch9wavefront6targetE0EEEvT1_.kd
    .uniform_work_group_size: 1
    .uses_dynamic_stack: false
    .vgpr_count:     0
    .vgpr_spill_count: 0
    .wavefront_size: 32
    .workgroup_processor_mode: 1
  - .args:
      - .offset:         0
        .size:           120
        .value_kind:     by_value
    .group_segment_fixed_size: 0
    .kernarg_segment_align: 8
    .kernarg_segment_size: 120
    .language:       OpenCL C
    .language_version:
      - 2
      - 0
    .max_flat_workgroup_size: 512
    .name:           _ZN7rocprim17ROCPRIM_400000_NS6detail17trampoline_kernelINS0_14default_configENS1_25partition_config_selectorILNS1_17partition_subalgoE9EllbEEZZNS1_14partition_implILS5_9ELb0ES3_jPlS8_PNS0_10empty_typeENS0_5tupleIJS8_S9_EEENSB_IJS8_SA_EEENS0_18inequality_wrapperIZN2at6native12_GLOBAL__N_124unique_dim_cuda_templateIlEESt5tupleIJNSF_6TensorESK_SK_EERKSK_lbbbEUlllE0_EEPmJS9_EEE10hipError_tPvRmT3_T4_T5_T6_T7_T9_mT8_P12ihipStream_tbDpT10_ENKUlT_T0_E_clISt17integral_constantIbLb0EES1A_EEDaS15_S16_EUlS15_E_NS1_11comp_targetILNS1_3genE5ELNS1_11target_archE942ELNS1_3gpuE9ELNS1_3repE0EEENS1_30default_config_static_selectorELNS0_4arch9wavefront6targetE0EEEvT1_
    .private_segment_fixed_size: 0
    .sgpr_count:     0
    .sgpr_spill_count: 0
    .symbol:         _ZN7rocprim17ROCPRIM_400000_NS6detail17trampoline_kernelINS0_14default_configENS1_25partition_config_selectorILNS1_17partition_subalgoE9EllbEEZZNS1_14partition_implILS5_9ELb0ES3_jPlS8_PNS0_10empty_typeENS0_5tupleIJS8_S9_EEENSB_IJS8_SA_EEENS0_18inequality_wrapperIZN2at6native12_GLOBAL__N_124unique_dim_cuda_templateIlEESt5tupleIJNSF_6TensorESK_SK_EERKSK_lbbbEUlllE0_EEPmJS9_EEE10hipError_tPvRmT3_T4_T5_T6_T7_T9_mT8_P12ihipStream_tbDpT10_ENKUlT_T0_E_clISt17integral_constantIbLb0EES1A_EEDaS15_S16_EUlS15_E_NS1_11comp_targetILNS1_3genE5ELNS1_11target_archE942ELNS1_3gpuE9ELNS1_3repE0EEENS1_30default_config_static_selectorELNS0_4arch9wavefront6targetE0EEEvT1_.kd
    .uniform_work_group_size: 1
    .uses_dynamic_stack: false
    .vgpr_count:     0
    .vgpr_spill_count: 0
    .wavefront_size: 32
    .workgroup_processor_mode: 1
  - .args:
      - .offset:         0
        .size:           120
        .value_kind:     by_value
    .group_segment_fixed_size: 0
    .kernarg_segment_align: 8
    .kernarg_segment_size: 120
    .language:       OpenCL C
    .language_version:
      - 2
      - 0
    .max_flat_workgroup_size: 128
    .name:           _ZN7rocprim17ROCPRIM_400000_NS6detail17trampoline_kernelINS0_14default_configENS1_25partition_config_selectorILNS1_17partition_subalgoE9EllbEEZZNS1_14partition_implILS5_9ELb0ES3_jPlS8_PNS0_10empty_typeENS0_5tupleIJS8_S9_EEENSB_IJS8_SA_EEENS0_18inequality_wrapperIZN2at6native12_GLOBAL__N_124unique_dim_cuda_templateIlEESt5tupleIJNSF_6TensorESK_SK_EERKSK_lbbbEUlllE0_EEPmJS9_EEE10hipError_tPvRmT3_T4_T5_T6_T7_T9_mT8_P12ihipStream_tbDpT10_ENKUlT_T0_E_clISt17integral_constantIbLb0EES1A_EEDaS15_S16_EUlS15_E_NS1_11comp_targetILNS1_3genE4ELNS1_11target_archE910ELNS1_3gpuE8ELNS1_3repE0EEENS1_30default_config_static_selectorELNS0_4arch9wavefront6targetE0EEEvT1_
    .private_segment_fixed_size: 0
    .sgpr_count:     0
    .sgpr_spill_count: 0
    .symbol:         _ZN7rocprim17ROCPRIM_400000_NS6detail17trampoline_kernelINS0_14default_configENS1_25partition_config_selectorILNS1_17partition_subalgoE9EllbEEZZNS1_14partition_implILS5_9ELb0ES3_jPlS8_PNS0_10empty_typeENS0_5tupleIJS8_S9_EEENSB_IJS8_SA_EEENS0_18inequality_wrapperIZN2at6native12_GLOBAL__N_124unique_dim_cuda_templateIlEESt5tupleIJNSF_6TensorESK_SK_EERKSK_lbbbEUlllE0_EEPmJS9_EEE10hipError_tPvRmT3_T4_T5_T6_T7_T9_mT8_P12ihipStream_tbDpT10_ENKUlT_T0_E_clISt17integral_constantIbLb0EES1A_EEDaS15_S16_EUlS15_E_NS1_11comp_targetILNS1_3genE4ELNS1_11target_archE910ELNS1_3gpuE8ELNS1_3repE0EEENS1_30default_config_static_selectorELNS0_4arch9wavefront6targetE0EEEvT1_.kd
    .uniform_work_group_size: 1
    .uses_dynamic_stack: false
    .vgpr_count:     0
    .vgpr_spill_count: 0
    .wavefront_size: 32
    .workgroup_processor_mode: 1
  - .args:
      - .offset:         0
        .size:           120
        .value_kind:     by_value
    .group_segment_fixed_size: 0
    .kernarg_segment_align: 8
    .kernarg_segment_size: 120
    .language:       OpenCL C
    .language_version:
      - 2
      - 0
    .max_flat_workgroup_size: 128
    .name:           _ZN7rocprim17ROCPRIM_400000_NS6detail17trampoline_kernelINS0_14default_configENS1_25partition_config_selectorILNS1_17partition_subalgoE9EllbEEZZNS1_14partition_implILS5_9ELb0ES3_jPlS8_PNS0_10empty_typeENS0_5tupleIJS8_S9_EEENSB_IJS8_SA_EEENS0_18inequality_wrapperIZN2at6native12_GLOBAL__N_124unique_dim_cuda_templateIlEESt5tupleIJNSF_6TensorESK_SK_EERKSK_lbbbEUlllE0_EEPmJS9_EEE10hipError_tPvRmT3_T4_T5_T6_T7_T9_mT8_P12ihipStream_tbDpT10_ENKUlT_T0_E_clISt17integral_constantIbLb0EES1A_EEDaS15_S16_EUlS15_E_NS1_11comp_targetILNS1_3genE3ELNS1_11target_archE908ELNS1_3gpuE7ELNS1_3repE0EEENS1_30default_config_static_selectorELNS0_4arch9wavefront6targetE0EEEvT1_
    .private_segment_fixed_size: 0
    .sgpr_count:     0
    .sgpr_spill_count: 0
    .symbol:         _ZN7rocprim17ROCPRIM_400000_NS6detail17trampoline_kernelINS0_14default_configENS1_25partition_config_selectorILNS1_17partition_subalgoE9EllbEEZZNS1_14partition_implILS5_9ELb0ES3_jPlS8_PNS0_10empty_typeENS0_5tupleIJS8_S9_EEENSB_IJS8_SA_EEENS0_18inequality_wrapperIZN2at6native12_GLOBAL__N_124unique_dim_cuda_templateIlEESt5tupleIJNSF_6TensorESK_SK_EERKSK_lbbbEUlllE0_EEPmJS9_EEE10hipError_tPvRmT3_T4_T5_T6_T7_T9_mT8_P12ihipStream_tbDpT10_ENKUlT_T0_E_clISt17integral_constantIbLb0EES1A_EEDaS15_S16_EUlS15_E_NS1_11comp_targetILNS1_3genE3ELNS1_11target_archE908ELNS1_3gpuE7ELNS1_3repE0EEENS1_30default_config_static_selectorELNS0_4arch9wavefront6targetE0EEEvT1_.kd
    .uniform_work_group_size: 1
    .uses_dynamic_stack: false
    .vgpr_count:     0
    .vgpr_spill_count: 0
    .wavefront_size: 32
    .workgroup_processor_mode: 1
  - .args:
      - .offset:         0
        .size:           120
        .value_kind:     by_value
    .group_segment_fixed_size: 0
    .kernarg_segment_align: 8
    .kernarg_segment_size: 120
    .language:       OpenCL C
    .language_version:
      - 2
      - 0
    .max_flat_workgroup_size: 192
    .name:           _ZN7rocprim17ROCPRIM_400000_NS6detail17trampoline_kernelINS0_14default_configENS1_25partition_config_selectorILNS1_17partition_subalgoE9EllbEEZZNS1_14partition_implILS5_9ELb0ES3_jPlS8_PNS0_10empty_typeENS0_5tupleIJS8_S9_EEENSB_IJS8_SA_EEENS0_18inequality_wrapperIZN2at6native12_GLOBAL__N_124unique_dim_cuda_templateIlEESt5tupleIJNSF_6TensorESK_SK_EERKSK_lbbbEUlllE0_EEPmJS9_EEE10hipError_tPvRmT3_T4_T5_T6_T7_T9_mT8_P12ihipStream_tbDpT10_ENKUlT_T0_E_clISt17integral_constantIbLb0EES1A_EEDaS15_S16_EUlS15_E_NS1_11comp_targetILNS1_3genE2ELNS1_11target_archE906ELNS1_3gpuE6ELNS1_3repE0EEENS1_30default_config_static_selectorELNS0_4arch9wavefront6targetE0EEEvT1_
    .private_segment_fixed_size: 0
    .sgpr_count:     0
    .sgpr_spill_count: 0
    .symbol:         _ZN7rocprim17ROCPRIM_400000_NS6detail17trampoline_kernelINS0_14default_configENS1_25partition_config_selectorILNS1_17partition_subalgoE9EllbEEZZNS1_14partition_implILS5_9ELb0ES3_jPlS8_PNS0_10empty_typeENS0_5tupleIJS8_S9_EEENSB_IJS8_SA_EEENS0_18inequality_wrapperIZN2at6native12_GLOBAL__N_124unique_dim_cuda_templateIlEESt5tupleIJNSF_6TensorESK_SK_EERKSK_lbbbEUlllE0_EEPmJS9_EEE10hipError_tPvRmT3_T4_T5_T6_T7_T9_mT8_P12ihipStream_tbDpT10_ENKUlT_T0_E_clISt17integral_constantIbLb0EES1A_EEDaS15_S16_EUlS15_E_NS1_11comp_targetILNS1_3genE2ELNS1_11target_archE906ELNS1_3gpuE6ELNS1_3repE0EEENS1_30default_config_static_selectorELNS0_4arch9wavefront6targetE0EEEvT1_.kd
    .uniform_work_group_size: 1
    .uses_dynamic_stack: false
    .vgpr_count:     0
    .vgpr_spill_count: 0
    .wavefront_size: 32
    .workgroup_processor_mode: 1
  - .args:
      - .offset:         0
        .size:           120
        .value_kind:     by_value
    .group_segment_fixed_size: 0
    .kernarg_segment_align: 8
    .kernarg_segment_size: 120
    .language:       OpenCL C
    .language_version:
      - 2
      - 0
    .max_flat_workgroup_size: 384
    .name:           _ZN7rocprim17ROCPRIM_400000_NS6detail17trampoline_kernelINS0_14default_configENS1_25partition_config_selectorILNS1_17partition_subalgoE9EllbEEZZNS1_14partition_implILS5_9ELb0ES3_jPlS8_PNS0_10empty_typeENS0_5tupleIJS8_S9_EEENSB_IJS8_SA_EEENS0_18inequality_wrapperIZN2at6native12_GLOBAL__N_124unique_dim_cuda_templateIlEESt5tupleIJNSF_6TensorESK_SK_EERKSK_lbbbEUlllE0_EEPmJS9_EEE10hipError_tPvRmT3_T4_T5_T6_T7_T9_mT8_P12ihipStream_tbDpT10_ENKUlT_T0_E_clISt17integral_constantIbLb0EES1A_EEDaS15_S16_EUlS15_E_NS1_11comp_targetILNS1_3genE10ELNS1_11target_archE1200ELNS1_3gpuE4ELNS1_3repE0EEENS1_30default_config_static_selectorELNS0_4arch9wavefront6targetE0EEEvT1_
    .private_segment_fixed_size: 0
    .sgpr_count:     0
    .sgpr_spill_count: 0
    .symbol:         _ZN7rocprim17ROCPRIM_400000_NS6detail17trampoline_kernelINS0_14default_configENS1_25partition_config_selectorILNS1_17partition_subalgoE9EllbEEZZNS1_14partition_implILS5_9ELb0ES3_jPlS8_PNS0_10empty_typeENS0_5tupleIJS8_S9_EEENSB_IJS8_SA_EEENS0_18inequality_wrapperIZN2at6native12_GLOBAL__N_124unique_dim_cuda_templateIlEESt5tupleIJNSF_6TensorESK_SK_EERKSK_lbbbEUlllE0_EEPmJS9_EEE10hipError_tPvRmT3_T4_T5_T6_T7_T9_mT8_P12ihipStream_tbDpT10_ENKUlT_T0_E_clISt17integral_constantIbLb0EES1A_EEDaS15_S16_EUlS15_E_NS1_11comp_targetILNS1_3genE10ELNS1_11target_archE1200ELNS1_3gpuE4ELNS1_3repE0EEENS1_30default_config_static_selectorELNS0_4arch9wavefront6targetE0EEEvT1_.kd
    .uniform_work_group_size: 1
    .uses_dynamic_stack: false
    .vgpr_count:     0
    .vgpr_spill_count: 0
    .wavefront_size: 32
    .workgroup_processor_mode: 1
  - .args:
      - .offset:         0
        .size:           120
        .value_kind:     by_value
    .group_segment_fixed_size: 33804
    .kernarg_segment_align: 8
    .kernarg_segment_size: 120
    .language:       OpenCL C
    .language_version:
      - 2
      - 0
    .max_flat_workgroup_size: 512
    .name:           _ZN7rocprim17ROCPRIM_400000_NS6detail17trampoline_kernelINS0_14default_configENS1_25partition_config_selectorILNS1_17partition_subalgoE9EllbEEZZNS1_14partition_implILS5_9ELb0ES3_jPlS8_PNS0_10empty_typeENS0_5tupleIJS8_S9_EEENSB_IJS8_SA_EEENS0_18inequality_wrapperIZN2at6native12_GLOBAL__N_124unique_dim_cuda_templateIlEESt5tupleIJNSF_6TensorESK_SK_EERKSK_lbbbEUlllE0_EEPmJS9_EEE10hipError_tPvRmT3_T4_T5_T6_T7_T9_mT8_P12ihipStream_tbDpT10_ENKUlT_T0_E_clISt17integral_constantIbLb0EES1A_EEDaS15_S16_EUlS15_E_NS1_11comp_targetILNS1_3genE9ELNS1_11target_archE1100ELNS1_3gpuE3ELNS1_3repE0EEENS1_30default_config_static_selectorELNS0_4arch9wavefront6targetE0EEEvT1_
    .private_segment_fixed_size: 0
    .sgpr_count:     38
    .sgpr_spill_count: 0
    .symbol:         _ZN7rocprim17ROCPRIM_400000_NS6detail17trampoline_kernelINS0_14default_configENS1_25partition_config_selectorILNS1_17partition_subalgoE9EllbEEZZNS1_14partition_implILS5_9ELb0ES3_jPlS8_PNS0_10empty_typeENS0_5tupleIJS8_S9_EEENSB_IJS8_SA_EEENS0_18inequality_wrapperIZN2at6native12_GLOBAL__N_124unique_dim_cuda_templateIlEESt5tupleIJNSF_6TensorESK_SK_EERKSK_lbbbEUlllE0_EEPmJS9_EEE10hipError_tPvRmT3_T4_T5_T6_T7_T9_mT8_P12ihipStream_tbDpT10_ENKUlT_T0_E_clISt17integral_constantIbLb0EES1A_EEDaS15_S16_EUlS15_E_NS1_11comp_targetILNS1_3genE9ELNS1_11target_archE1100ELNS1_3gpuE3ELNS1_3repE0EEENS1_30default_config_static_selectorELNS0_4arch9wavefront6targetE0EEEvT1_.kd
    .uniform_work_group_size: 1
    .uses_dynamic_stack: false
    .vgpr_count:     68
    .vgpr_spill_count: 0
    .wavefront_size: 32
    .workgroup_processor_mode: 1
  - .args:
      - .offset:         0
        .size:           120
        .value_kind:     by_value
    .group_segment_fixed_size: 0
    .kernarg_segment_align: 8
    .kernarg_segment_size: 120
    .language:       OpenCL C
    .language_version:
      - 2
      - 0
    .max_flat_workgroup_size: 512
    .name:           _ZN7rocprim17ROCPRIM_400000_NS6detail17trampoline_kernelINS0_14default_configENS1_25partition_config_selectorILNS1_17partition_subalgoE9EllbEEZZNS1_14partition_implILS5_9ELb0ES3_jPlS8_PNS0_10empty_typeENS0_5tupleIJS8_S9_EEENSB_IJS8_SA_EEENS0_18inequality_wrapperIZN2at6native12_GLOBAL__N_124unique_dim_cuda_templateIlEESt5tupleIJNSF_6TensorESK_SK_EERKSK_lbbbEUlllE0_EEPmJS9_EEE10hipError_tPvRmT3_T4_T5_T6_T7_T9_mT8_P12ihipStream_tbDpT10_ENKUlT_T0_E_clISt17integral_constantIbLb0EES1A_EEDaS15_S16_EUlS15_E_NS1_11comp_targetILNS1_3genE8ELNS1_11target_archE1030ELNS1_3gpuE2ELNS1_3repE0EEENS1_30default_config_static_selectorELNS0_4arch9wavefront6targetE0EEEvT1_
    .private_segment_fixed_size: 0
    .sgpr_count:     0
    .sgpr_spill_count: 0
    .symbol:         _ZN7rocprim17ROCPRIM_400000_NS6detail17trampoline_kernelINS0_14default_configENS1_25partition_config_selectorILNS1_17partition_subalgoE9EllbEEZZNS1_14partition_implILS5_9ELb0ES3_jPlS8_PNS0_10empty_typeENS0_5tupleIJS8_S9_EEENSB_IJS8_SA_EEENS0_18inequality_wrapperIZN2at6native12_GLOBAL__N_124unique_dim_cuda_templateIlEESt5tupleIJNSF_6TensorESK_SK_EERKSK_lbbbEUlllE0_EEPmJS9_EEE10hipError_tPvRmT3_T4_T5_T6_T7_T9_mT8_P12ihipStream_tbDpT10_ENKUlT_T0_E_clISt17integral_constantIbLb0EES1A_EEDaS15_S16_EUlS15_E_NS1_11comp_targetILNS1_3genE8ELNS1_11target_archE1030ELNS1_3gpuE2ELNS1_3repE0EEENS1_30default_config_static_selectorELNS0_4arch9wavefront6targetE0EEEvT1_.kd
    .uniform_work_group_size: 1
    .uses_dynamic_stack: false
    .vgpr_count:     0
    .vgpr_spill_count: 0
    .wavefront_size: 32
    .workgroup_processor_mode: 1
  - .args:
      - .offset:         0
        .size:           136
        .value_kind:     by_value
    .group_segment_fixed_size: 0
    .kernarg_segment_align: 8
    .kernarg_segment_size: 136
    .language:       OpenCL C
    .language_version:
      - 2
      - 0
    .max_flat_workgroup_size: 128
    .name:           _ZN7rocprim17ROCPRIM_400000_NS6detail17trampoline_kernelINS0_14default_configENS1_25partition_config_selectorILNS1_17partition_subalgoE9EllbEEZZNS1_14partition_implILS5_9ELb0ES3_jPlS8_PNS0_10empty_typeENS0_5tupleIJS8_S9_EEENSB_IJS8_SA_EEENS0_18inequality_wrapperIZN2at6native12_GLOBAL__N_124unique_dim_cuda_templateIlEESt5tupleIJNSF_6TensorESK_SK_EERKSK_lbbbEUlllE0_EEPmJS9_EEE10hipError_tPvRmT3_T4_T5_T6_T7_T9_mT8_P12ihipStream_tbDpT10_ENKUlT_T0_E_clISt17integral_constantIbLb1EES1A_EEDaS15_S16_EUlS15_E_NS1_11comp_targetILNS1_3genE0ELNS1_11target_archE4294967295ELNS1_3gpuE0ELNS1_3repE0EEENS1_30default_config_static_selectorELNS0_4arch9wavefront6targetE0EEEvT1_
    .private_segment_fixed_size: 0
    .sgpr_count:     0
    .sgpr_spill_count: 0
    .symbol:         _ZN7rocprim17ROCPRIM_400000_NS6detail17trampoline_kernelINS0_14default_configENS1_25partition_config_selectorILNS1_17partition_subalgoE9EllbEEZZNS1_14partition_implILS5_9ELb0ES3_jPlS8_PNS0_10empty_typeENS0_5tupleIJS8_S9_EEENSB_IJS8_SA_EEENS0_18inequality_wrapperIZN2at6native12_GLOBAL__N_124unique_dim_cuda_templateIlEESt5tupleIJNSF_6TensorESK_SK_EERKSK_lbbbEUlllE0_EEPmJS9_EEE10hipError_tPvRmT3_T4_T5_T6_T7_T9_mT8_P12ihipStream_tbDpT10_ENKUlT_T0_E_clISt17integral_constantIbLb1EES1A_EEDaS15_S16_EUlS15_E_NS1_11comp_targetILNS1_3genE0ELNS1_11target_archE4294967295ELNS1_3gpuE0ELNS1_3repE0EEENS1_30default_config_static_selectorELNS0_4arch9wavefront6targetE0EEEvT1_.kd
    .uniform_work_group_size: 1
    .uses_dynamic_stack: false
    .vgpr_count:     0
    .vgpr_spill_count: 0
    .wavefront_size: 32
    .workgroup_processor_mode: 1
  - .args:
      - .offset:         0
        .size:           136
        .value_kind:     by_value
    .group_segment_fixed_size: 0
    .kernarg_segment_align: 8
    .kernarg_segment_size: 136
    .language:       OpenCL C
    .language_version:
      - 2
      - 0
    .max_flat_workgroup_size: 512
    .name:           _ZN7rocprim17ROCPRIM_400000_NS6detail17trampoline_kernelINS0_14default_configENS1_25partition_config_selectorILNS1_17partition_subalgoE9EllbEEZZNS1_14partition_implILS5_9ELb0ES3_jPlS8_PNS0_10empty_typeENS0_5tupleIJS8_S9_EEENSB_IJS8_SA_EEENS0_18inequality_wrapperIZN2at6native12_GLOBAL__N_124unique_dim_cuda_templateIlEESt5tupleIJNSF_6TensorESK_SK_EERKSK_lbbbEUlllE0_EEPmJS9_EEE10hipError_tPvRmT3_T4_T5_T6_T7_T9_mT8_P12ihipStream_tbDpT10_ENKUlT_T0_E_clISt17integral_constantIbLb1EES1A_EEDaS15_S16_EUlS15_E_NS1_11comp_targetILNS1_3genE5ELNS1_11target_archE942ELNS1_3gpuE9ELNS1_3repE0EEENS1_30default_config_static_selectorELNS0_4arch9wavefront6targetE0EEEvT1_
    .private_segment_fixed_size: 0
    .sgpr_count:     0
    .sgpr_spill_count: 0
    .symbol:         _ZN7rocprim17ROCPRIM_400000_NS6detail17trampoline_kernelINS0_14default_configENS1_25partition_config_selectorILNS1_17partition_subalgoE9EllbEEZZNS1_14partition_implILS5_9ELb0ES3_jPlS8_PNS0_10empty_typeENS0_5tupleIJS8_S9_EEENSB_IJS8_SA_EEENS0_18inequality_wrapperIZN2at6native12_GLOBAL__N_124unique_dim_cuda_templateIlEESt5tupleIJNSF_6TensorESK_SK_EERKSK_lbbbEUlllE0_EEPmJS9_EEE10hipError_tPvRmT3_T4_T5_T6_T7_T9_mT8_P12ihipStream_tbDpT10_ENKUlT_T0_E_clISt17integral_constantIbLb1EES1A_EEDaS15_S16_EUlS15_E_NS1_11comp_targetILNS1_3genE5ELNS1_11target_archE942ELNS1_3gpuE9ELNS1_3repE0EEENS1_30default_config_static_selectorELNS0_4arch9wavefront6targetE0EEEvT1_.kd
    .uniform_work_group_size: 1
    .uses_dynamic_stack: false
    .vgpr_count:     0
    .vgpr_spill_count: 0
    .wavefront_size: 32
    .workgroup_processor_mode: 1
  - .args:
      - .offset:         0
        .size:           136
        .value_kind:     by_value
    .group_segment_fixed_size: 0
    .kernarg_segment_align: 8
    .kernarg_segment_size: 136
    .language:       OpenCL C
    .language_version:
      - 2
      - 0
    .max_flat_workgroup_size: 128
    .name:           _ZN7rocprim17ROCPRIM_400000_NS6detail17trampoline_kernelINS0_14default_configENS1_25partition_config_selectorILNS1_17partition_subalgoE9EllbEEZZNS1_14partition_implILS5_9ELb0ES3_jPlS8_PNS0_10empty_typeENS0_5tupleIJS8_S9_EEENSB_IJS8_SA_EEENS0_18inequality_wrapperIZN2at6native12_GLOBAL__N_124unique_dim_cuda_templateIlEESt5tupleIJNSF_6TensorESK_SK_EERKSK_lbbbEUlllE0_EEPmJS9_EEE10hipError_tPvRmT3_T4_T5_T6_T7_T9_mT8_P12ihipStream_tbDpT10_ENKUlT_T0_E_clISt17integral_constantIbLb1EES1A_EEDaS15_S16_EUlS15_E_NS1_11comp_targetILNS1_3genE4ELNS1_11target_archE910ELNS1_3gpuE8ELNS1_3repE0EEENS1_30default_config_static_selectorELNS0_4arch9wavefront6targetE0EEEvT1_
    .private_segment_fixed_size: 0
    .sgpr_count:     0
    .sgpr_spill_count: 0
    .symbol:         _ZN7rocprim17ROCPRIM_400000_NS6detail17trampoline_kernelINS0_14default_configENS1_25partition_config_selectorILNS1_17partition_subalgoE9EllbEEZZNS1_14partition_implILS5_9ELb0ES3_jPlS8_PNS0_10empty_typeENS0_5tupleIJS8_S9_EEENSB_IJS8_SA_EEENS0_18inequality_wrapperIZN2at6native12_GLOBAL__N_124unique_dim_cuda_templateIlEESt5tupleIJNSF_6TensorESK_SK_EERKSK_lbbbEUlllE0_EEPmJS9_EEE10hipError_tPvRmT3_T4_T5_T6_T7_T9_mT8_P12ihipStream_tbDpT10_ENKUlT_T0_E_clISt17integral_constantIbLb1EES1A_EEDaS15_S16_EUlS15_E_NS1_11comp_targetILNS1_3genE4ELNS1_11target_archE910ELNS1_3gpuE8ELNS1_3repE0EEENS1_30default_config_static_selectorELNS0_4arch9wavefront6targetE0EEEvT1_.kd
    .uniform_work_group_size: 1
    .uses_dynamic_stack: false
    .vgpr_count:     0
    .vgpr_spill_count: 0
    .wavefront_size: 32
    .workgroup_processor_mode: 1
  - .args:
      - .offset:         0
        .size:           136
        .value_kind:     by_value
    .group_segment_fixed_size: 0
    .kernarg_segment_align: 8
    .kernarg_segment_size: 136
    .language:       OpenCL C
    .language_version:
      - 2
      - 0
    .max_flat_workgroup_size: 128
    .name:           _ZN7rocprim17ROCPRIM_400000_NS6detail17trampoline_kernelINS0_14default_configENS1_25partition_config_selectorILNS1_17partition_subalgoE9EllbEEZZNS1_14partition_implILS5_9ELb0ES3_jPlS8_PNS0_10empty_typeENS0_5tupleIJS8_S9_EEENSB_IJS8_SA_EEENS0_18inequality_wrapperIZN2at6native12_GLOBAL__N_124unique_dim_cuda_templateIlEESt5tupleIJNSF_6TensorESK_SK_EERKSK_lbbbEUlllE0_EEPmJS9_EEE10hipError_tPvRmT3_T4_T5_T6_T7_T9_mT8_P12ihipStream_tbDpT10_ENKUlT_T0_E_clISt17integral_constantIbLb1EES1A_EEDaS15_S16_EUlS15_E_NS1_11comp_targetILNS1_3genE3ELNS1_11target_archE908ELNS1_3gpuE7ELNS1_3repE0EEENS1_30default_config_static_selectorELNS0_4arch9wavefront6targetE0EEEvT1_
    .private_segment_fixed_size: 0
    .sgpr_count:     0
    .sgpr_spill_count: 0
    .symbol:         _ZN7rocprim17ROCPRIM_400000_NS6detail17trampoline_kernelINS0_14default_configENS1_25partition_config_selectorILNS1_17partition_subalgoE9EllbEEZZNS1_14partition_implILS5_9ELb0ES3_jPlS8_PNS0_10empty_typeENS0_5tupleIJS8_S9_EEENSB_IJS8_SA_EEENS0_18inequality_wrapperIZN2at6native12_GLOBAL__N_124unique_dim_cuda_templateIlEESt5tupleIJNSF_6TensorESK_SK_EERKSK_lbbbEUlllE0_EEPmJS9_EEE10hipError_tPvRmT3_T4_T5_T6_T7_T9_mT8_P12ihipStream_tbDpT10_ENKUlT_T0_E_clISt17integral_constantIbLb1EES1A_EEDaS15_S16_EUlS15_E_NS1_11comp_targetILNS1_3genE3ELNS1_11target_archE908ELNS1_3gpuE7ELNS1_3repE0EEENS1_30default_config_static_selectorELNS0_4arch9wavefront6targetE0EEEvT1_.kd
    .uniform_work_group_size: 1
    .uses_dynamic_stack: false
    .vgpr_count:     0
    .vgpr_spill_count: 0
    .wavefront_size: 32
    .workgroup_processor_mode: 1
  - .args:
      - .offset:         0
        .size:           136
        .value_kind:     by_value
    .group_segment_fixed_size: 0
    .kernarg_segment_align: 8
    .kernarg_segment_size: 136
    .language:       OpenCL C
    .language_version:
      - 2
      - 0
    .max_flat_workgroup_size: 192
    .name:           _ZN7rocprim17ROCPRIM_400000_NS6detail17trampoline_kernelINS0_14default_configENS1_25partition_config_selectorILNS1_17partition_subalgoE9EllbEEZZNS1_14partition_implILS5_9ELb0ES3_jPlS8_PNS0_10empty_typeENS0_5tupleIJS8_S9_EEENSB_IJS8_SA_EEENS0_18inequality_wrapperIZN2at6native12_GLOBAL__N_124unique_dim_cuda_templateIlEESt5tupleIJNSF_6TensorESK_SK_EERKSK_lbbbEUlllE0_EEPmJS9_EEE10hipError_tPvRmT3_T4_T5_T6_T7_T9_mT8_P12ihipStream_tbDpT10_ENKUlT_T0_E_clISt17integral_constantIbLb1EES1A_EEDaS15_S16_EUlS15_E_NS1_11comp_targetILNS1_3genE2ELNS1_11target_archE906ELNS1_3gpuE6ELNS1_3repE0EEENS1_30default_config_static_selectorELNS0_4arch9wavefront6targetE0EEEvT1_
    .private_segment_fixed_size: 0
    .sgpr_count:     0
    .sgpr_spill_count: 0
    .symbol:         _ZN7rocprim17ROCPRIM_400000_NS6detail17trampoline_kernelINS0_14default_configENS1_25partition_config_selectorILNS1_17partition_subalgoE9EllbEEZZNS1_14partition_implILS5_9ELb0ES3_jPlS8_PNS0_10empty_typeENS0_5tupleIJS8_S9_EEENSB_IJS8_SA_EEENS0_18inequality_wrapperIZN2at6native12_GLOBAL__N_124unique_dim_cuda_templateIlEESt5tupleIJNSF_6TensorESK_SK_EERKSK_lbbbEUlllE0_EEPmJS9_EEE10hipError_tPvRmT3_T4_T5_T6_T7_T9_mT8_P12ihipStream_tbDpT10_ENKUlT_T0_E_clISt17integral_constantIbLb1EES1A_EEDaS15_S16_EUlS15_E_NS1_11comp_targetILNS1_3genE2ELNS1_11target_archE906ELNS1_3gpuE6ELNS1_3repE0EEENS1_30default_config_static_selectorELNS0_4arch9wavefront6targetE0EEEvT1_.kd
    .uniform_work_group_size: 1
    .uses_dynamic_stack: false
    .vgpr_count:     0
    .vgpr_spill_count: 0
    .wavefront_size: 32
    .workgroup_processor_mode: 1
  - .args:
      - .offset:         0
        .size:           136
        .value_kind:     by_value
    .group_segment_fixed_size: 0
    .kernarg_segment_align: 8
    .kernarg_segment_size: 136
    .language:       OpenCL C
    .language_version:
      - 2
      - 0
    .max_flat_workgroup_size: 384
    .name:           _ZN7rocprim17ROCPRIM_400000_NS6detail17trampoline_kernelINS0_14default_configENS1_25partition_config_selectorILNS1_17partition_subalgoE9EllbEEZZNS1_14partition_implILS5_9ELb0ES3_jPlS8_PNS0_10empty_typeENS0_5tupleIJS8_S9_EEENSB_IJS8_SA_EEENS0_18inequality_wrapperIZN2at6native12_GLOBAL__N_124unique_dim_cuda_templateIlEESt5tupleIJNSF_6TensorESK_SK_EERKSK_lbbbEUlllE0_EEPmJS9_EEE10hipError_tPvRmT3_T4_T5_T6_T7_T9_mT8_P12ihipStream_tbDpT10_ENKUlT_T0_E_clISt17integral_constantIbLb1EES1A_EEDaS15_S16_EUlS15_E_NS1_11comp_targetILNS1_3genE10ELNS1_11target_archE1200ELNS1_3gpuE4ELNS1_3repE0EEENS1_30default_config_static_selectorELNS0_4arch9wavefront6targetE0EEEvT1_
    .private_segment_fixed_size: 0
    .sgpr_count:     0
    .sgpr_spill_count: 0
    .symbol:         _ZN7rocprim17ROCPRIM_400000_NS6detail17trampoline_kernelINS0_14default_configENS1_25partition_config_selectorILNS1_17partition_subalgoE9EllbEEZZNS1_14partition_implILS5_9ELb0ES3_jPlS8_PNS0_10empty_typeENS0_5tupleIJS8_S9_EEENSB_IJS8_SA_EEENS0_18inequality_wrapperIZN2at6native12_GLOBAL__N_124unique_dim_cuda_templateIlEESt5tupleIJNSF_6TensorESK_SK_EERKSK_lbbbEUlllE0_EEPmJS9_EEE10hipError_tPvRmT3_T4_T5_T6_T7_T9_mT8_P12ihipStream_tbDpT10_ENKUlT_T0_E_clISt17integral_constantIbLb1EES1A_EEDaS15_S16_EUlS15_E_NS1_11comp_targetILNS1_3genE10ELNS1_11target_archE1200ELNS1_3gpuE4ELNS1_3repE0EEENS1_30default_config_static_selectorELNS0_4arch9wavefront6targetE0EEEvT1_.kd
    .uniform_work_group_size: 1
    .uses_dynamic_stack: false
    .vgpr_count:     0
    .vgpr_spill_count: 0
    .wavefront_size: 32
    .workgroup_processor_mode: 1
  - .args:
      - .offset:         0
        .size:           136
        .value_kind:     by_value
    .group_segment_fixed_size: 33804
    .kernarg_segment_align: 8
    .kernarg_segment_size: 136
    .language:       OpenCL C
    .language_version:
      - 2
      - 0
    .max_flat_workgroup_size: 512
    .name:           _ZN7rocprim17ROCPRIM_400000_NS6detail17trampoline_kernelINS0_14default_configENS1_25partition_config_selectorILNS1_17partition_subalgoE9EllbEEZZNS1_14partition_implILS5_9ELb0ES3_jPlS8_PNS0_10empty_typeENS0_5tupleIJS8_S9_EEENSB_IJS8_SA_EEENS0_18inequality_wrapperIZN2at6native12_GLOBAL__N_124unique_dim_cuda_templateIlEESt5tupleIJNSF_6TensorESK_SK_EERKSK_lbbbEUlllE0_EEPmJS9_EEE10hipError_tPvRmT3_T4_T5_T6_T7_T9_mT8_P12ihipStream_tbDpT10_ENKUlT_T0_E_clISt17integral_constantIbLb1EES1A_EEDaS15_S16_EUlS15_E_NS1_11comp_targetILNS1_3genE9ELNS1_11target_archE1100ELNS1_3gpuE3ELNS1_3repE0EEENS1_30default_config_static_selectorELNS0_4arch9wavefront6targetE0EEEvT1_
    .private_segment_fixed_size: 0
    .sgpr_count:     42
    .sgpr_spill_count: 0
    .symbol:         _ZN7rocprim17ROCPRIM_400000_NS6detail17trampoline_kernelINS0_14default_configENS1_25partition_config_selectorILNS1_17partition_subalgoE9EllbEEZZNS1_14partition_implILS5_9ELb0ES3_jPlS8_PNS0_10empty_typeENS0_5tupleIJS8_S9_EEENSB_IJS8_SA_EEENS0_18inequality_wrapperIZN2at6native12_GLOBAL__N_124unique_dim_cuda_templateIlEESt5tupleIJNSF_6TensorESK_SK_EERKSK_lbbbEUlllE0_EEPmJS9_EEE10hipError_tPvRmT3_T4_T5_T6_T7_T9_mT8_P12ihipStream_tbDpT10_ENKUlT_T0_E_clISt17integral_constantIbLb1EES1A_EEDaS15_S16_EUlS15_E_NS1_11comp_targetILNS1_3genE9ELNS1_11target_archE1100ELNS1_3gpuE3ELNS1_3repE0EEENS1_30default_config_static_selectorELNS0_4arch9wavefront6targetE0EEEvT1_.kd
    .uniform_work_group_size: 1
    .uses_dynamic_stack: false
    .vgpr_count:     68
    .vgpr_spill_count: 0
    .wavefront_size: 32
    .workgroup_processor_mode: 1
  - .args:
      - .offset:         0
        .size:           136
        .value_kind:     by_value
    .group_segment_fixed_size: 0
    .kernarg_segment_align: 8
    .kernarg_segment_size: 136
    .language:       OpenCL C
    .language_version:
      - 2
      - 0
    .max_flat_workgroup_size: 512
    .name:           _ZN7rocprim17ROCPRIM_400000_NS6detail17trampoline_kernelINS0_14default_configENS1_25partition_config_selectorILNS1_17partition_subalgoE9EllbEEZZNS1_14partition_implILS5_9ELb0ES3_jPlS8_PNS0_10empty_typeENS0_5tupleIJS8_S9_EEENSB_IJS8_SA_EEENS0_18inequality_wrapperIZN2at6native12_GLOBAL__N_124unique_dim_cuda_templateIlEESt5tupleIJNSF_6TensorESK_SK_EERKSK_lbbbEUlllE0_EEPmJS9_EEE10hipError_tPvRmT3_T4_T5_T6_T7_T9_mT8_P12ihipStream_tbDpT10_ENKUlT_T0_E_clISt17integral_constantIbLb1EES1A_EEDaS15_S16_EUlS15_E_NS1_11comp_targetILNS1_3genE8ELNS1_11target_archE1030ELNS1_3gpuE2ELNS1_3repE0EEENS1_30default_config_static_selectorELNS0_4arch9wavefront6targetE0EEEvT1_
    .private_segment_fixed_size: 0
    .sgpr_count:     0
    .sgpr_spill_count: 0
    .symbol:         _ZN7rocprim17ROCPRIM_400000_NS6detail17trampoline_kernelINS0_14default_configENS1_25partition_config_selectorILNS1_17partition_subalgoE9EllbEEZZNS1_14partition_implILS5_9ELb0ES3_jPlS8_PNS0_10empty_typeENS0_5tupleIJS8_S9_EEENSB_IJS8_SA_EEENS0_18inequality_wrapperIZN2at6native12_GLOBAL__N_124unique_dim_cuda_templateIlEESt5tupleIJNSF_6TensorESK_SK_EERKSK_lbbbEUlllE0_EEPmJS9_EEE10hipError_tPvRmT3_T4_T5_T6_T7_T9_mT8_P12ihipStream_tbDpT10_ENKUlT_T0_E_clISt17integral_constantIbLb1EES1A_EEDaS15_S16_EUlS15_E_NS1_11comp_targetILNS1_3genE8ELNS1_11target_archE1030ELNS1_3gpuE2ELNS1_3repE0EEENS1_30default_config_static_selectorELNS0_4arch9wavefront6targetE0EEEvT1_.kd
    .uniform_work_group_size: 1
    .uses_dynamic_stack: false
    .vgpr_count:     0
    .vgpr_spill_count: 0
    .wavefront_size: 32
    .workgroup_processor_mode: 1
  - .args:
      - .offset:         0
        .size:           120
        .value_kind:     by_value
    .group_segment_fixed_size: 0
    .kernarg_segment_align: 8
    .kernarg_segment_size: 120
    .language:       OpenCL C
    .language_version:
      - 2
      - 0
    .max_flat_workgroup_size: 128
    .name:           _ZN7rocprim17ROCPRIM_400000_NS6detail17trampoline_kernelINS0_14default_configENS1_25partition_config_selectorILNS1_17partition_subalgoE9EllbEEZZNS1_14partition_implILS5_9ELb0ES3_jPlS8_PNS0_10empty_typeENS0_5tupleIJS8_S9_EEENSB_IJS8_SA_EEENS0_18inequality_wrapperIZN2at6native12_GLOBAL__N_124unique_dim_cuda_templateIlEESt5tupleIJNSF_6TensorESK_SK_EERKSK_lbbbEUlllE0_EEPmJS9_EEE10hipError_tPvRmT3_T4_T5_T6_T7_T9_mT8_P12ihipStream_tbDpT10_ENKUlT_T0_E_clISt17integral_constantIbLb1EES19_IbLb0EEEEDaS15_S16_EUlS15_E_NS1_11comp_targetILNS1_3genE0ELNS1_11target_archE4294967295ELNS1_3gpuE0ELNS1_3repE0EEENS1_30default_config_static_selectorELNS0_4arch9wavefront6targetE0EEEvT1_
    .private_segment_fixed_size: 0
    .sgpr_count:     0
    .sgpr_spill_count: 0
    .symbol:         _ZN7rocprim17ROCPRIM_400000_NS6detail17trampoline_kernelINS0_14default_configENS1_25partition_config_selectorILNS1_17partition_subalgoE9EllbEEZZNS1_14partition_implILS5_9ELb0ES3_jPlS8_PNS0_10empty_typeENS0_5tupleIJS8_S9_EEENSB_IJS8_SA_EEENS0_18inequality_wrapperIZN2at6native12_GLOBAL__N_124unique_dim_cuda_templateIlEESt5tupleIJNSF_6TensorESK_SK_EERKSK_lbbbEUlllE0_EEPmJS9_EEE10hipError_tPvRmT3_T4_T5_T6_T7_T9_mT8_P12ihipStream_tbDpT10_ENKUlT_T0_E_clISt17integral_constantIbLb1EES19_IbLb0EEEEDaS15_S16_EUlS15_E_NS1_11comp_targetILNS1_3genE0ELNS1_11target_archE4294967295ELNS1_3gpuE0ELNS1_3repE0EEENS1_30default_config_static_selectorELNS0_4arch9wavefront6targetE0EEEvT1_.kd
    .uniform_work_group_size: 1
    .uses_dynamic_stack: false
    .vgpr_count:     0
    .vgpr_spill_count: 0
    .wavefront_size: 32
    .workgroup_processor_mode: 1
  - .args:
      - .offset:         0
        .size:           120
        .value_kind:     by_value
    .group_segment_fixed_size: 0
    .kernarg_segment_align: 8
    .kernarg_segment_size: 120
    .language:       OpenCL C
    .language_version:
      - 2
      - 0
    .max_flat_workgroup_size: 512
    .name:           _ZN7rocprim17ROCPRIM_400000_NS6detail17trampoline_kernelINS0_14default_configENS1_25partition_config_selectorILNS1_17partition_subalgoE9EllbEEZZNS1_14partition_implILS5_9ELb0ES3_jPlS8_PNS0_10empty_typeENS0_5tupleIJS8_S9_EEENSB_IJS8_SA_EEENS0_18inequality_wrapperIZN2at6native12_GLOBAL__N_124unique_dim_cuda_templateIlEESt5tupleIJNSF_6TensorESK_SK_EERKSK_lbbbEUlllE0_EEPmJS9_EEE10hipError_tPvRmT3_T4_T5_T6_T7_T9_mT8_P12ihipStream_tbDpT10_ENKUlT_T0_E_clISt17integral_constantIbLb1EES19_IbLb0EEEEDaS15_S16_EUlS15_E_NS1_11comp_targetILNS1_3genE5ELNS1_11target_archE942ELNS1_3gpuE9ELNS1_3repE0EEENS1_30default_config_static_selectorELNS0_4arch9wavefront6targetE0EEEvT1_
    .private_segment_fixed_size: 0
    .sgpr_count:     0
    .sgpr_spill_count: 0
    .symbol:         _ZN7rocprim17ROCPRIM_400000_NS6detail17trampoline_kernelINS0_14default_configENS1_25partition_config_selectorILNS1_17partition_subalgoE9EllbEEZZNS1_14partition_implILS5_9ELb0ES3_jPlS8_PNS0_10empty_typeENS0_5tupleIJS8_S9_EEENSB_IJS8_SA_EEENS0_18inequality_wrapperIZN2at6native12_GLOBAL__N_124unique_dim_cuda_templateIlEESt5tupleIJNSF_6TensorESK_SK_EERKSK_lbbbEUlllE0_EEPmJS9_EEE10hipError_tPvRmT3_T4_T5_T6_T7_T9_mT8_P12ihipStream_tbDpT10_ENKUlT_T0_E_clISt17integral_constantIbLb1EES19_IbLb0EEEEDaS15_S16_EUlS15_E_NS1_11comp_targetILNS1_3genE5ELNS1_11target_archE942ELNS1_3gpuE9ELNS1_3repE0EEENS1_30default_config_static_selectorELNS0_4arch9wavefront6targetE0EEEvT1_.kd
    .uniform_work_group_size: 1
    .uses_dynamic_stack: false
    .vgpr_count:     0
    .vgpr_spill_count: 0
    .wavefront_size: 32
    .workgroup_processor_mode: 1
  - .args:
      - .offset:         0
        .size:           120
        .value_kind:     by_value
    .group_segment_fixed_size: 0
    .kernarg_segment_align: 8
    .kernarg_segment_size: 120
    .language:       OpenCL C
    .language_version:
      - 2
      - 0
    .max_flat_workgroup_size: 128
    .name:           _ZN7rocprim17ROCPRIM_400000_NS6detail17trampoline_kernelINS0_14default_configENS1_25partition_config_selectorILNS1_17partition_subalgoE9EllbEEZZNS1_14partition_implILS5_9ELb0ES3_jPlS8_PNS0_10empty_typeENS0_5tupleIJS8_S9_EEENSB_IJS8_SA_EEENS0_18inequality_wrapperIZN2at6native12_GLOBAL__N_124unique_dim_cuda_templateIlEESt5tupleIJNSF_6TensorESK_SK_EERKSK_lbbbEUlllE0_EEPmJS9_EEE10hipError_tPvRmT3_T4_T5_T6_T7_T9_mT8_P12ihipStream_tbDpT10_ENKUlT_T0_E_clISt17integral_constantIbLb1EES19_IbLb0EEEEDaS15_S16_EUlS15_E_NS1_11comp_targetILNS1_3genE4ELNS1_11target_archE910ELNS1_3gpuE8ELNS1_3repE0EEENS1_30default_config_static_selectorELNS0_4arch9wavefront6targetE0EEEvT1_
    .private_segment_fixed_size: 0
    .sgpr_count:     0
    .sgpr_spill_count: 0
    .symbol:         _ZN7rocprim17ROCPRIM_400000_NS6detail17trampoline_kernelINS0_14default_configENS1_25partition_config_selectorILNS1_17partition_subalgoE9EllbEEZZNS1_14partition_implILS5_9ELb0ES3_jPlS8_PNS0_10empty_typeENS0_5tupleIJS8_S9_EEENSB_IJS8_SA_EEENS0_18inequality_wrapperIZN2at6native12_GLOBAL__N_124unique_dim_cuda_templateIlEESt5tupleIJNSF_6TensorESK_SK_EERKSK_lbbbEUlllE0_EEPmJS9_EEE10hipError_tPvRmT3_T4_T5_T6_T7_T9_mT8_P12ihipStream_tbDpT10_ENKUlT_T0_E_clISt17integral_constantIbLb1EES19_IbLb0EEEEDaS15_S16_EUlS15_E_NS1_11comp_targetILNS1_3genE4ELNS1_11target_archE910ELNS1_3gpuE8ELNS1_3repE0EEENS1_30default_config_static_selectorELNS0_4arch9wavefront6targetE0EEEvT1_.kd
    .uniform_work_group_size: 1
    .uses_dynamic_stack: false
    .vgpr_count:     0
    .vgpr_spill_count: 0
    .wavefront_size: 32
    .workgroup_processor_mode: 1
  - .args:
      - .offset:         0
        .size:           120
        .value_kind:     by_value
    .group_segment_fixed_size: 0
    .kernarg_segment_align: 8
    .kernarg_segment_size: 120
    .language:       OpenCL C
    .language_version:
      - 2
      - 0
    .max_flat_workgroup_size: 128
    .name:           _ZN7rocprim17ROCPRIM_400000_NS6detail17trampoline_kernelINS0_14default_configENS1_25partition_config_selectorILNS1_17partition_subalgoE9EllbEEZZNS1_14partition_implILS5_9ELb0ES3_jPlS8_PNS0_10empty_typeENS0_5tupleIJS8_S9_EEENSB_IJS8_SA_EEENS0_18inequality_wrapperIZN2at6native12_GLOBAL__N_124unique_dim_cuda_templateIlEESt5tupleIJNSF_6TensorESK_SK_EERKSK_lbbbEUlllE0_EEPmJS9_EEE10hipError_tPvRmT3_T4_T5_T6_T7_T9_mT8_P12ihipStream_tbDpT10_ENKUlT_T0_E_clISt17integral_constantIbLb1EES19_IbLb0EEEEDaS15_S16_EUlS15_E_NS1_11comp_targetILNS1_3genE3ELNS1_11target_archE908ELNS1_3gpuE7ELNS1_3repE0EEENS1_30default_config_static_selectorELNS0_4arch9wavefront6targetE0EEEvT1_
    .private_segment_fixed_size: 0
    .sgpr_count:     0
    .sgpr_spill_count: 0
    .symbol:         _ZN7rocprim17ROCPRIM_400000_NS6detail17trampoline_kernelINS0_14default_configENS1_25partition_config_selectorILNS1_17partition_subalgoE9EllbEEZZNS1_14partition_implILS5_9ELb0ES3_jPlS8_PNS0_10empty_typeENS0_5tupleIJS8_S9_EEENSB_IJS8_SA_EEENS0_18inequality_wrapperIZN2at6native12_GLOBAL__N_124unique_dim_cuda_templateIlEESt5tupleIJNSF_6TensorESK_SK_EERKSK_lbbbEUlllE0_EEPmJS9_EEE10hipError_tPvRmT3_T4_T5_T6_T7_T9_mT8_P12ihipStream_tbDpT10_ENKUlT_T0_E_clISt17integral_constantIbLb1EES19_IbLb0EEEEDaS15_S16_EUlS15_E_NS1_11comp_targetILNS1_3genE3ELNS1_11target_archE908ELNS1_3gpuE7ELNS1_3repE0EEENS1_30default_config_static_selectorELNS0_4arch9wavefront6targetE0EEEvT1_.kd
    .uniform_work_group_size: 1
    .uses_dynamic_stack: false
    .vgpr_count:     0
    .vgpr_spill_count: 0
    .wavefront_size: 32
    .workgroup_processor_mode: 1
  - .args:
      - .offset:         0
        .size:           120
        .value_kind:     by_value
    .group_segment_fixed_size: 0
    .kernarg_segment_align: 8
    .kernarg_segment_size: 120
    .language:       OpenCL C
    .language_version:
      - 2
      - 0
    .max_flat_workgroup_size: 192
    .name:           _ZN7rocprim17ROCPRIM_400000_NS6detail17trampoline_kernelINS0_14default_configENS1_25partition_config_selectorILNS1_17partition_subalgoE9EllbEEZZNS1_14partition_implILS5_9ELb0ES3_jPlS8_PNS0_10empty_typeENS0_5tupleIJS8_S9_EEENSB_IJS8_SA_EEENS0_18inequality_wrapperIZN2at6native12_GLOBAL__N_124unique_dim_cuda_templateIlEESt5tupleIJNSF_6TensorESK_SK_EERKSK_lbbbEUlllE0_EEPmJS9_EEE10hipError_tPvRmT3_T4_T5_T6_T7_T9_mT8_P12ihipStream_tbDpT10_ENKUlT_T0_E_clISt17integral_constantIbLb1EES19_IbLb0EEEEDaS15_S16_EUlS15_E_NS1_11comp_targetILNS1_3genE2ELNS1_11target_archE906ELNS1_3gpuE6ELNS1_3repE0EEENS1_30default_config_static_selectorELNS0_4arch9wavefront6targetE0EEEvT1_
    .private_segment_fixed_size: 0
    .sgpr_count:     0
    .sgpr_spill_count: 0
    .symbol:         _ZN7rocprim17ROCPRIM_400000_NS6detail17trampoline_kernelINS0_14default_configENS1_25partition_config_selectorILNS1_17partition_subalgoE9EllbEEZZNS1_14partition_implILS5_9ELb0ES3_jPlS8_PNS0_10empty_typeENS0_5tupleIJS8_S9_EEENSB_IJS8_SA_EEENS0_18inequality_wrapperIZN2at6native12_GLOBAL__N_124unique_dim_cuda_templateIlEESt5tupleIJNSF_6TensorESK_SK_EERKSK_lbbbEUlllE0_EEPmJS9_EEE10hipError_tPvRmT3_T4_T5_T6_T7_T9_mT8_P12ihipStream_tbDpT10_ENKUlT_T0_E_clISt17integral_constantIbLb1EES19_IbLb0EEEEDaS15_S16_EUlS15_E_NS1_11comp_targetILNS1_3genE2ELNS1_11target_archE906ELNS1_3gpuE6ELNS1_3repE0EEENS1_30default_config_static_selectorELNS0_4arch9wavefront6targetE0EEEvT1_.kd
    .uniform_work_group_size: 1
    .uses_dynamic_stack: false
    .vgpr_count:     0
    .vgpr_spill_count: 0
    .wavefront_size: 32
    .workgroup_processor_mode: 1
  - .args:
      - .offset:         0
        .size:           120
        .value_kind:     by_value
    .group_segment_fixed_size: 0
    .kernarg_segment_align: 8
    .kernarg_segment_size: 120
    .language:       OpenCL C
    .language_version:
      - 2
      - 0
    .max_flat_workgroup_size: 384
    .name:           _ZN7rocprim17ROCPRIM_400000_NS6detail17trampoline_kernelINS0_14default_configENS1_25partition_config_selectorILNS1_17partition_subalgoE9EllbEEZZNS1_14partition_implILS5_9ELb0ES3_jPlS8_PNS0_10empty_typeENS0_5tupleIJS8_S9_EEENSB_IJS8_SA_EEENS0_18inequality_wrapperIZN2at6native12_GLOBAL__N_124unique_dim_cuda_templateIlEESt5tupleIJNSF_6TensorESK_SK_EERKSK_lbbbEUlllE0_EEPmJS9_EEE10hipError_tPvRmT3_T4_T5_T6_T7_T9_mT8_P12ihipStream_tbDpT10_ENKUlT_T0_E_clISt17integral_constantIbLb1EES19_IbLb0EEEEDaS15_S16_EUlS15_E_NS1_11comp_targetILNS1_3genE10ELNS1_11target_archE1200ELNS1_3gpuE4ELNS1_3repE0EEENS1_30default_config_static_selectorELNS0_4arch9wavefront6targetE0EEEvT1_
    .private_segment_fixed_size: 0
    .sgpr_count:     0
    .sgpr_spill_count: 0
    .symbol:         _ZN7rocprim17ROCPRIM_400000_NS6detail17trampoline_kernelINS0_14default_configENS1_25partition_config_selectorILNS1_17partition_subalgoE9EllbEEZZNS1_14partition_implILS5_9ELb0ES3_jPlS8_PNS0_10empty_typeENS0_5tupleIJS8_S9_EEENSB_IJS8_SA_EEENS0_18inequality_wrapperIZN2at6native12_GLOBAL__N_124unique_dim_cuda_templateIlEESt5tupleIJNSF_6TensorESK_SK_EERKSK_lbbbEUlllE0_EEPmJS9_EEE10hipError_tPvRmT3_T4_T5_T6_T7_T9_mT8_P12ihipStream_tbDpT10_ENKUlT_T0_E_clISt17integral_constantIbLb1EES19_IbLb0EEEEDaS15_S16_EUlS15_E_NS1_11comp_targetILNS1_3genE10ELNS1_11target_archE1200ELNS1_3gpuE4ELNS1_3repE0EEENS1_30default_config_static_selectorELNS0_4arch9wavefront6targetE0EEEvT1_.kd
    .uniform_work_group_size: 1
    .uses_dynamic_stack: false
    .vgpr_count:     0
    .vgpr_spill_count: 0
    .wavefront_size: 32
    .workgroup_processor_mode: 1
  - .args:
      - .offset:         0
        .size:           120
        .value_kind:     by_value
    .group_segment_fixed_size: 33804
    .kernarg_segment_align: 8
    .kernarg_segment_size: 120
    .language:       OpenCL C
    .language_version:
      - 2
      - 0
    .max_flat_workgroup_size: 512
    .name:           _ZN7rocprim17ROCPRIM_400000_NS6detail17trampoline_kernelINS0_14default_configENS1_25partition_config_selectorILNS1_17partition_subalgoE9EllbEEZZNS1_14partition_implILS5_9ELb0ES3_jPlS8_PNS0_10empty_typeENS0_5tupleIJS8_S9_EEENSB_IJS8_SA_EEENS0_18inequality_wrapperIZN2at6native12_GLOBAL__N_124unique_dim_cuda_templateIlEESt5tupleIJNSF_6TensorESK_SK_EERKSK_lbbbEUlllE0_EEPmJS9_EEE10hipError_tPvRmT3_T4_T5_T6_T7_T9_mT8_P12ihipStream_tbDpT10_ENKUlT_T0_E_clISt17integral_constantIbLb1EES19_IbLb0EEEEDaS15_S16_EUlS15_E_NS1_11comp_targetILNS1_3genE9ELNS1_11target_archE1100ELNS1_3gpuE3ELNS1_3repE0EEENS1_30default_config_static_selectorELNS0_4arch9wavefront6targetE0EEEvT1_
    .private_segment_fixed_size: 0
    .sgpr_count:     38
    .sgpr_spill_count: 0
    .symbol:         _ZN7rocprim17ROCPRIM_400000_NS6detail17trampoline_kernelINS0_14default_configENS1_25partition_config_selectorILNS1_17partition_subalgoE9EllbEEZZNS1_14partition_implILS5_9ELb0ES3_jPlS8_PNS0_10empty_typeENS0_5tupleIJS8_S9_EEENSB_IJS8_SA_EEENS0_18inequality_wrapperIZN2at6native12_GLOBAL__N_124unique_dim_cuda_templateIlEESt5tupleIJNSF_6TensorESK_SK_EERKSK_lbbbEUlllE0_EEPmJS9_EEE10hipError_tPvRmT3_T4_T5_T6_T7_T9_mT8_P12ihipStream_tbDpT10_ENKUlT_T0_E_clISt17integral_constantIbLb1EES19_IbLb0EEEEDaS15_S16_EUlS15_E_NS1_11comp_targetILNS1_3genE9ELNS1_11target_archE1100ELNS1_3gpuE3ELNS1_3repE0EEENS1_30default_config_static_selectorELNS0_4arch9wavefront6targetE0EEEvT1_.kd
    .uniform_work_group_size: 1
    .uses_dynamic_stack: false
    .vgpr_count:     68
    .vgpr_spill_count: 0
    .wavefront_size: 32
    .workgroup_processor_mode: 1
  - .args:
      - .offset:         0
        .size:           120
        .value_kind:     by_value
    .group_segment_fixed_size: 0
    .kernarg_segment_align: 8
    .kernarg_segment_size: 120
    .language:       OpenCL C
    .language_version:
      - 2
      - 0
    .max_flat_workgroup_size: 512
    .name:           _ZN7rocprim17ROCPRIM_400000_NS6detail17trampoline_kernelINS0_14default_configENS1_25partition_config_selectorILNS1_17partition_subalgoE9EllbEEZZNS1_14partition_implILS5_9ELb0ES3_jPlS8_PNS0_10empty_typeENS0_5tupleIJS8_S9_EEENSB_IJS8_SA_EEENS0_18inequality_wrapperIZN2at6native12_GLOBAL__N_124unique_dim_cuda_templateIlEESt5tupleIJNSF_6TensorESK_SK_EERKSK_lbbbEUlllE0_EEPmJS9_EEE10hipError_tPvRmT3_T4_T5_T6_T7_T9_mT8_P12ihipStream_tbDpT10_ENKUlT_T0_E_clISt17integral_constantIbLb1EES19_IbLb0EEEEDaS15_S16_EUlS15_E_NS1_11comp_targetILNS1_3genE8ELNS1_11target_archE1030ELNS1_3gpuE2ELNS1_3repE0EEENS1_30default_config_static_selectorELNS0_4arch9wavefront6targetE0EEEvT1_
    .private_segment_fixed_size: 0
    .sgpr_count:     0
    .sgpr_spill_count: 0
    .symbol:         _ZN7rocprim17ROCPRIM_400000_NS6detail17trampoline_kernelINS0_14default_configENS1_25partition_config_selectorILNS1_17partition_subalgoE9EllbEEZZNS1_14partition_implILS5_9ELb0ES3_jPlS8_PNS0_10empty_typeENS0_5tupleIJS8_S9_EEENSB_IJS8_SA_EEENS0_18inequality_wrapperIZN2at6native12_GLOBAL__N_124unique_dim_cuda_templateIlEESt5tupleIJNSF_6TensorESK_SK_EERKSK_lbbbEUlllE0_EEPmJS9_EEE10hipError_tPvRmT3_T4_T5_T6_T7_T9_mT8_P12ihipStream_tbDpT10_ENKUlT_T0_E_clISt17integral_constantIbLb1EES19_IbLb0EEEEDaS15_S16_EUlS15_E_NS1_11comp_targetILNS1_3genE8ELNS1_11target_archE1030ELNS1_3gpuE2ELNS1_3repE0EEENS1_30default_config_static_selectorELNS0_4arch9wavefront6targetE0EEEvT1_.kd
    .uniform_work_group_size: 1
    .uses_dynamic_stack: false
    .vgpr_count:     0
    .vgpr_spill_count: 0
    .wavefront_size: 32
    .workgroup_processor_mode: 1
  - .args:
      - .offset:         0
        .size:           136
        .value_kind:     by_value
    .group_segment_fixed_size: 0
    .kernarg_segment_align: 8
    .kernarg_segment_size: 136
    .language:       OpenCL C
    .language_version:
      - 2
      - 0
    .max_flat_workgroup_size: 128
    .name:           _ZN7rocprim17ROCPRIM_400000_NS6detail17trampoline_kernelINS0_14default_configENS1_25partition_config_selectorILNS1_17partition_subalgoE9EllbEEZZNS1_14partition_implILS5_9ELb0ES3_jPlS8_PNS0_10empty_typeENS0_5tupleIJS8_S9_EEENSB_IJS8_SA_EEENS0_18inequality_wrapperIZN2at6native12_GLOBAL__N_124unique_dim_cuda_templateIlEESt5tupleIJNSF_6TensorESK_SK_EERKSK_lbbbEUlllE0_EEPmJS9_EEE10hipError_tPvRmT3_T4_T5_T6_T7_T9_mT8_P12ihipStream_tbDpT10_ENKUlT_T0_E_clISt17integral_constantIbLb0EES19_IbLb1EEEEDaS15_S16_EUlS15_E_NS1_11comp_targetILNS1_3genE0ELNS1_11target_archE4294967295ELNS1_3gpuE0ELNS1_3repE0EEENS1_30default_config_static_selectorELNS0_4arch9wavefront6targetE0EEEvT1_
    .private_segment_fixed_size: 0
    .sgpr_count:     0
    .sgpr_spill_count: 0
    .symbol:         _ZN7rocprim17ROCPRIM_400000_NS6detail17trampoline_kernelINS0_14default_configENS1_25partition_config_selectorILNS1_17partition_subalgoE9EllbEEZZNS1_14partition_implILS5_9ELb0ES3_jPlS8_PNS0_10empty_typeENS0_5tupleIJS8_S9_EEENSB_IJS8_SA_EEENS0_18inequality_wrapperIZN2at6native12_GLOBAL__N_124unique_dim_cuda_templateIlEESt5tupleIJNSF_6TensorESK_SK_EERKSK_lbbbEUlllE0_EEPmJS9_EEE10hipError_tPvRmT3_T4_T5_T6_T7_T9_mT8_P12ihipStream_tbDpT10_ENKUlT_T0_E_clISt17integral_constantIbLb0EES19_IbLb1EEEEDaS15_S16_EUlS15_E_NS1_11comp_targetILNS1_3genE0ELNS1_11target_archE4294967295ELNS1_3gpuE0ELNS1_3repE0EEENS1_30default_config_static_selectorELNS0_4arch9wavefront6targetE0EEEvT1_.kd
    .uniform_work_group_size: 1
    .uses_dynamic_stack: false
    .vgpr_count:     0
    .vgpr_spill_count: 0
    .wavefront_size: 32
    .workgroup_processor_mode: 1
  - .args:
      - .offset:         0
        .size:           136
        .value_kind:     by_value
    .group_segment_fixed_size: 0
    .kernarg_segment_align: 8
    .kernarg_segment_size: 136
    .language:       OpenCL C
    .language_version:
      - 2
      - 0
    .max_flat_workgroup_size: 512
    .name:           _ZN7rocprim17ROCPRIM_400000_NS6detail17trampoline_kernelINS0_14default_configENS1_25partition_config_selectorILNS1_17partition_subalgoE9EllbEEZZNS1_14partition_implILS5_9ELb0ES3_jPlS8_PNS0_10empty_typeENS0_5tupleIJS8_S9_EEENSB_IJS8_SA_EEENS0_18inequality_wrapperIZN2at6native12_GLOBAL__N_124unique_dim_cuda_templateIlEESt5tupleIJNSF_6TensorESK_SK_EERKSK_lbbbEUlllE0_EEPmJS9_EEE10hipError_tPvRmT3_T4_T5_T6_T7_T9_mT8_P12ihipStream_tbDpT10_ENKUlT_T0_E_clISt17integral_constantIbLb0EES19_IbLb1EEEEDaS15_S16_EUlS15_E_NS1_11comp_targetILNS1_3genE5ELNS1_11target_archE942ELNS1_3gpuE9ELNS1_3repE0EEENS1_30default_config_static_selectorELNS0_4arch9wavefront6targetE0EEEvT1_
    .private_segment_fixed_size: 0
    .sgpr_count:     0
    .sgpr_spill_count: 0
    .symbol:         _ZN7rocprim17ROCPRIM_400000_NS6detail17trampoline_kernelINS0_14default_configENS1_25partition_config_selectorILNS1_17partition_subalgoE9EllbEEZZNS1_14partition_implILS5_9ELb0ES3_jPlS8_PNS0_10empty_typeENS0_5tupleIJS8_S9_EEENSB_IJS8_SA_EEENS0_18inequality_wrapperIZN2at6native12_GLOBAL__N_124unique_dim_cuda_templateIlEESt5tupleIJNSF_6TensorESK_SK_EERKSK_lbbbEUlllE0_EEPmJS9_EEE10hipError_tPvRmT3_T4_T5_T6_T7_T9_mT8_P12ihipStream_tbDpT10_ENKUlT_T0_E_clISt17integral_constantIbLb0EES19_IbLb1EEEEDaS15_S16_EUlS15_E_NS1_11comp_targetILNS1_3genE5ELNS1_11target_archE942ELNS1_3gpuE9ELNS1_3repE0EEENS1_30default_config_static_selectorELNS0_4arch9wavefront6targetE0EEEvT1_.kd
    .uniform_work_group_size: 1
    .uses_dynamic_stack: false
    .vgpr_count:     0
    .vgpr_spill_count: 0
    .wavefront_size: 32
    .workgroup_processor_mode: 1
  - .args:
      - .offset:         0
        .size:           136
        .value_kind:     by_value
    .group_segment_fixed_size: 0
    .kernarg_segment_align: 8
    .kernarg_segment_size: 136
    .language:       OpenCL C
    .language_version:
      - 2
      - 0
    .max_flat_workgroup_size: 128
    .name:           _ZN7rocprim17ROCPRIM_400000_NS6detail17trampoline_kernelINS0_14default_configENS1_25partition_config_selectorILNS1_17partition_subalgoE9EllbEEZZNS1_14partition_implILS5_9ELb0ES3_jPlS8_PNS0_10empty_typeENS0_5tupleIJS8_S9_EEENSB_IJS8_SA_EEENS0_18inequality_wrapperIZN2at6native12_GLOBAL__N_124unique_dim_cuda_templateIlEESt5tupleIJNSF_6TensorESK_SK_EERKSK_lbbbEUlllE0_EEPmJS9_EEE10hipError_tPvRmT3_T4_T5_T6_T7_T9_mT8_P12ihipStream_tbDpT10_ENKUlT_T0_E_clISt17integral_constantIbLb0EES19_IbLb1EEEEDaS15_S16_EUlS15_E_NS1_11comp_targetILNS1_3genE4ELNS1_11target_archE910ELNS1_3gpuE8ELNS1_3repE0EEENS1_30default_config_static_selectorELNS0_4arch9wavefront6targetE0EEEvT1_
    .private_segment_fixed_size: 0
    .sgpr_count:     0
    .sgpr_spill_count: 0
    .symbol:         _ZN7rocprim17ROCPRIM_400000_NS6detail17trampoline_kernelINS0_14default_configENS1_25partition_config_selectorILNS1_17partition_subalgoE9EllbEEZZNS1_14partition_implILS5_9ELb0ES3_jPlS8_PNS0_10empty_typeENS0_5tupleIJS8_S9_EEENSB_IJS8_SA_EEENS0_18inequality_wrapperIZN2at6native12_GLOBAL__N_124unique_dim_cuda_templateIlEESt5tupleIJNSF_6TensorESK_SK_EERKSK_lbbbEUlllE0_EEPmJS9_EEE10hipError_tPvRmT3_T4_T5_T6_T7_T9_mT8_P12ihipStream_tbDpT10_ENKUlT_T0_E_clISt17integral_constantIbLb0EES19_IbLb1EEEEDaS15_S16_EUlS15_E_NS1_11comp_targetILNS1_3genE4ELNS1_11target_archE910ELNS1_3gpuE8ELNS1_3repE0EEENS1_30default_config_static_selectorELNS0_4arch9wavefront6targetE0EEEvT1_.kd
    .uniform_work_group_size: 1
    .uses_dynamic_stack: false
    .vgpr_count:     0
    .vgpr_spill_count: 0
    .wavefront_size: 32
    .workgroup_processor_mode: 1
  - .args:
      - .offset:         0
        .size:           136
        .value_kind:     by_value
    .group_segment_fixed_size: 0
    .kernarg_segment_align: 8
    .kernarg_segment_size: 136
    .language:       OpenCL C
    .language_version:
      - 2
      - 0
    .max_flat_workgroup_size: 128
    .name:           _ZN7rocprim17ROCPRIM_400000_NS6detail17trampoline_kernelINS0_14default_configENS1_25partition_config_selectorILNS1_17partition_subalgoE9EllbEEZZNS1_14partition_implILS5_9ELb0ES3_jPlS8_PNS0_10empty_typeENS0_5tupleIJS8_S9_EEENSB_IJS8_SA_EEENS0_18inequality_wrapperIZN2at6native12_GLOBAL__N_124unique_dim_cuda_templateIlEESt5tupleIJNSF_6TensorESK_SK_EERKSK_lbbbEUlllE0_EEPmJS9_EEE10hipError_tPvRmT3_T4_T5_T6_T7_T9_mT8_P12ihipStream_tbDpT10_ENKUlT_T0_E_clISt17integral_constantIbLb0EES19_IbLb1EEEEDaS15_S16_EUlS15_E_NS1_11comp_targetILNS1_3genE3ELNS1_11target_archE908ELNS1_3gpuE7ELNS1_3repE0EEENS1_30default_config_static_selectorELNS0_4arch9wavefront6targetE0EEEvT1_
    .private_segment_fixed_size: 0
    .sgpr_count:     0
    .sgpr_spill_count: 0
    .symbol:         _ZN7rocprim17ROCPRIM_400000_NS6detail17trampoline_kernelINS0_14default_configENS1_25partition_config_selectorILNS1_17partition_subalgoE9EllbEEZZNS1_14partition_implILS5_9ELb0ES3_jPlS8_PNS0_10empty_typeENS0_5tupleIJS8_S9_EEENSB_IJS8_SA_EEENS0_18inequality_wrapperIZN2at6native12_GLOBAL__N_124unique_dim_cuda_templateIlEESt5tupleIJNSF_6TensorESK_SK_EERKSK_lbbbEUlllE0_EEPmJS9_EEE10hipError_tPvRmT3_T4_T5_T6_T7_T9_mT8_P12ihipStream_tbDpT10_ENKUlT_T0_E_clISt17integral_constantIbLb0EES19_IbLb1EEEEDaS15_S16_EUlS15_E_NS1_11comp_targetILNS1_3genE3ELNS1_11target_archE908ELNS1_3gpuE7ELNS1_3repE0EEENS1_30default_config_static_selectorELNS0_4arch9wavefront6targetE0EEEvT1_.kd
    .uniform_work_group_size: 1
    .uses_dynamic_stack: false
    .vgpr_count:     0
    .vgpr_spill_count: 0
    .wavefront_size: 32
    .workgroup_processor_mode: 1
  - .args:
      - .offset:         0
        .size:           136
        .value_kind:     by_value
    .group_segment_fixed_size: 0
    .kernarg_segment_align: 8
    .kernarg_segment_size: 136
    .language:       OpenCL C
    .language_version:
      - 2
      - 0
    .max_flat_workgroup_size: 192
    .name:           _ZN7rocprim17ROCPRIM_400000_NS6detail17trampoline_kernelINS0_14default_configENS1_25partition_config_selectorILNS1_17partition_subalgoE9EllbEEZZNS1_14partition_implILS5_9ELb0ES3_jPlS8_PNS0_10empty_typeENS0_5tupleIJS8_S9_EEENSB_IJS8_SA_EEENS0_18inequality_wrapperIZN2at6native12_GLOBAL__N_124unique_dim_cuda_templateIlEESt5tupleIJNSF_6TensorESK_SK_EERKSK_lbbbEUlllE0_EEPmJS9_EEE10hipError_tPvRmT3_T4_T5_T6_T7_T9_mT8_P12ihipStream_tbDpT10_ENKUlT_T0_E_clISt17integral_constantIbLb0EES19_IbLb1EEEEDaS15_S16_EUlS15_E_NS1_11comp_targetILNS1_3genE2ELNS1_11target_archE906ELNS1_3gpuE6ELNS1_3repE0EEENS1_30default_config_static_selectorELNS0_4arch9wavefront6targetE0EEEvT1_
    .private_segment_fixed_size: 0
    .sgpr_count:     0
    .sgpr_spill_count: 0
    .symbol:         _ZN7rocprim17ROCPRIM_400000_NS6detail17trampoline_kernelINS0_14default_configENS1_25partition_config_selectorILNS1_17partition_subalgoE9EllbEEZZNS1_14partition_implILS5_9ELb0ES3_jPlS8_PNS0_10empty_typeENS0_5tupleIJS8_S9_EEENSB_IJS8_SA_EEENS0_18inequality_wrapperIZN2at6native12_GLOBAL__N_124unique_dim_cuda_templateIlEESt5tupleIJNSF_6TensorESK_SK_EERKSK_lbbbEUlllE0_EEPmJS9_EEE10hipError_tPvRmT3_T4_T5_T6_T7_T9_mT8_P12ihipStream_tbDpT10_ENKUlT_T0_E_clISt17integral_constantIbLb0EES19_IbLb1EEEEDaS15_S16_EUlS15_E_NS1_11comp_targetILNS1_3genE2ELNS1_11target_archE906ELNS1_3gpuE6ELNS1_3repE0EEENS1_30default_config_static_selectorELNS0_4arch9wavefront6targetE0EEEvT1_.kd
    .uniform_work_group_size: 1
    .uses_dynamic_stack: false
    .vgpr_count:     0
    .vgpr_spill_count: 0
    .wavefront_size: 32
    .workgroup_processor_mode: 1
  - .args:
      - .offset:         0
        .size:           136
        .value_kind:     by_value
    .group_segment_fixed_size: 0
    .kernarg_segment_align: 8
    .kernarg_segment_size: 136
    .language:       OpenCL C
    .language_version:
      - 2
      - 0
    .max_flat_workgroup_size: 384
    .name:           _ZN7rocprim17ROCPRIM_400000_NS6detail17trampoline_kernelINS0_14default_configENS1_25partition_config_selectorILNS1_17partition_subalgoE9EllbEEZZNS1_14partition_implILS5_9ELb0ES3_jPlS8_PNS0_10empty_typeENS0_5tupleIJS8_S9_EEENSB_IJS8_SA_EEENS0_18inequality_wrapperIZN2at6native12_GLOBAL__N_124unique_dim_cuda_templateIlEESt5tupleIJNSF_6TensorESK_SK_EERKSK_lbbbEUlllE0_EEPmJS9_EEE10hipError_tPvRmT3_T4_T5_T6_T7_T9_mT8_P12ihipStream_tbDpT10_ENKUlT_T0_E_clISt17integral_constantIbLb0EES19_IbLb1EEEEDaS15_S16_EUlS15_E_NS1_11comp_targetILNS1_3genE10ELNS1_11target_archE1200ELNS1_3gpuE4ELNS1_3repE0EEENS1_30default_config_static_selectorELNS0_4arch9wavefront6targetE0EEEvT1_
    .private_segment_fixed_size: 0
    .sgpr_count:     0
    .sgpr_spill_count: 0
    .symbol:         _ZN7rocprim17ROCPRIM_400000_NS6detail17trampoline_kernelINS0_14default_configENS1_25partition_config_selectorILNS1_17partition_subalgoE9EllbEEZZNS1_14partition_implILS5_9ELb0ES3_jPlS8_PNS0_10empty_typeENS0_5tupleIJS8_S9_EEENSB_IJS8_SA_EEENS0_18inequality_wrapperIZN2at6native12_GLOBAL__N_124unique_dim_cuda_templateIlEESt5tupleIJNSF_6TensorESK_SK_EERKSK_lbbbEUlllE0_EEPmJS9_EEE10hipError_tPvRmT3_T4_T5_T6_T7_T9_mT8_P12ihipStream_tbDpT10_ENKUlT_T0_E_clISt17integral_constantIbLb0EES19_IbLb1EEEEDaS15_S16_EUlS15_E_NS1_11comp_targetILNS1_3genE10ELNS1_11target_archE1200ELNS1_3gpuE4ELNS1_3repE0EEENS1_30default_config_static_selectorELNS0_4arch9wavefront6targetE0EEEvT1_.kd
    .uniform_work_group_size: 1
    .uses_dynamic_stack: false
    .vgpr_count:     0
    .vgpr_spill_count: 0
    .wavefront_size: 32
    .workgroup_processor_mode: 1
  - .args:
      - .offset:         0
        .size:           136
        .value_kind:     by_value
    .group_segment_fixed_size: 33804
    .kernarg_segment_align: 8
    .kernarg_segment_size: 136
    .language:       OpenCL C
    .language_version:
      - 2
      - 0
    .max_flat_workgroup_size: 512
    .name:           _ZN7rocprim17ROCPRIM_400000_NS6detail17trampoline_kernelINS0_14default_configENS1_25partition_config_selectorILNS1_17partition_subalgoE9EllbEEZZNS1_14partition_implILS5_9ELb0ES3_jPlS8_PNS0_10empty_typeENS0_5tupleIJS8_S9_EEENSB_IJS8_SA_EEENS0_18inequality_wrapperIZN2at6native12_GLOBAL__N_124unique_dim_cuda_templateIlEESt5tupleIJNSF_6TensorESK_SK_EERKSK_lbbbEUlllE0_EEPmJS9_EEE10hipError_tPvRmT3_T4_T5_T6_T7_T9_mT8_P12ihipStream_tbDpT10_ENKUlT_T0_E_clISt17integral_constantIbLb0EES19_IbLb1EEEEDaS15_S16_EUlS15_E_NS1_11comp_targetILNS1_3genE9ELNS1_11target_archE1100ELNS1_3gpuE3ELNS1_3repE0EEENS1_30default_config_static_selectorELNS0_4arch9wavefront6targetE0EEEvT1_
    .private_segment_fixed_size: 0
    .sgpr_count:     42
    .sgpr_spill_count: 0
    .symbol:         _ZN7rocprim17ROCPRIM_400000_NS6detail17trampoline_kernelINS0_14default_configENS1_25partition_config_selectorILNS1_17partition_subalgoE9EllbEEZZNS1_14partition_implILS5_9ELb0ES3_jPlS8_PNS0_10empty_typeENS0_5tupleIJS8_S9_EEENSB_IJS8_SA_EEENS0_18inequality_wrapperIZN2at6native12_GLOBAL__N_124unique_dim_cuda_templateIlEESt5tupleIJNSF_6TensorESK_SK_EERKSK_lbbbEUlllE0_EEPmJS9_EEE10hipError_tPvRmT3_T4_T5_T6_T7_T9_mT8_P12ihipStream_tbDpT10_ENKUlT_T0_E_clISt17integral_constantIbLb0EES19_IbLb1EEEEDaS15_S16_EUlS15_E_NS1_11comp_targetILNS1_3genE9ELNS1_11target_archE1100ELNS1_3gpuE3ELNS1_3repE0EEENS1_30default_config_static_selectorELNS0_4arch9wavefront6targetE0EEEvT1_.kd
    .uniform_work_group_size: 1
    .uses_dynamic_stack: false
    .vgpr_count:     68
    .vgpr_spill_count: 0
    .wavefront_size: 32
    .workgroup_processor_mode: 1
  - .args:
      - .offset:         0
        .size:           136
        .value_kind:     by_value
    .group_segment_fixed_size: 0
    .kernarg_segment_align: 8
    .kernarg_segment_size: 136
    .language:       OpenCL C
    .language_version:
      - 2
      - 0
    .max_flat_workgroup_size: 512
    .name:           _ZN7rocprim17ROCPRIM_400000_NS6detail17trampoline_kernelINS0_14default_configENS1_25partition_config_selectorILNS1_17partition_subalgoE9EllbEEZZNS1_14partition_implILS5_9ELb0ES3_jPlS8_PNS0_10empty_typeENS0_5tupleIJS8_S9_EEENSB_IJS8_SA_EEENS0_18inequality_wrapperIZN2at6native12_GLOBAL__N_124unique_dim_cuda_templateIlEESt5tupleIJNSF_6TensorESK_SK_EERKSK_lbbbEUlllE0_EEPmJS9_EEE10hipError_tPvRmT3_T4_T5_T6_T7_T9_mT8_P12ihipStream_tbDpT10_ENKUlT_T0_E_clISt17integral_constantIbLb0EES19_IbLb1EEEEDaS15_S16_EUlS15_E_NS1_11comp_targetILNS1_3genE8ELNS1_11target_archE1030ELNS1_3gpuE2ELNS1_3repE0EEENS1_30default_config_static_selectorELNS0_4arch9wavefront6targetE0EEEvT1_
    .private_segment_fixed_size: 0
    .sgpr_count:     0
    .sgpr_spill_count: 0
    .symbol:         _ZN7rocprim17ROCPRIM_400000_NS6detail17trampoline_kernelINS0_14default_configENS1_25partition_config_selectorILNS1_17partition_subalgoE9EllbEEZZNS1_14partition_implILS5_9ELb0ES3_jPlS8_PNS0_10empty_typeENS0_5tupleIJS8_S9_EEENSB_IJS8_SA_EEENS0_18inequality_wrapperIZN2at6native12_GLOBAL__N_124unique_dim_cuda_templateIlEESt5tupleIJNSF_6TensorESK_SK_EERKSK_lbbbEUlllE0_EEPmJS9_EEE10hipError_tPvRmT3_T4_T5_T6_T7_T9_mT8_P12ihipStream_tbDpT10_ENKUlT_T0_E_clISt17integral_constantIbLb0EES19_IbLb1EEEEDaS15_S16_EUlS15_E_NS1_11comp_targetILNS1_3genE8ELNS1_11target_archE1030ELNS1_3gpuE2ELNS1_3repE0EEENS1_30default_config_static_selectorELNS0_4arch9wavefront6targetE0EEEvT1_.kd
    .uniform_work_group_size: 1
    .uses_dynamic_stack: false
    .vgpr_count:     0
    .vgpr_spill_count: 0
    .wavefront_size: 32
    .workgroup_processor_mode: 1
  - .args:
      - .offset:         0
        .size:           72
        .value_kind:     by_value
    .group_segment_fixed_size: 0
    .kernarg_segment_align: 8
    .kernarg_segment_size: 72
    .language:       OpenCL C
    .language_version:
      - 2
      - 0
    .max_flat_workgroup_size: 256
    .name:           _ZN7rocprim17ROCPRIM_400000_NS6detail17trampoline_kernelINS0_14default_configENS1_37merge_sort_block_sort_config_selectorIlNS0_10empty_typeEEEZNS1_21merge_sort_block_sortIS3_PlS8_PS5_S9_ZN2at6native12_GLOBAL__N_124unique_dim_cuda_templateIsEESt5tupleIJNSA_6TensorESF_SF_EERKSF_lbbbEUlllE_EE10hipError_tT0_T1_T2_T3_mRjT4_P12ihipStream_tbNS1_7vsmem_tEEUlT_E_NS1_11comp_targetILNS1_3genE0ELNS1_11target_archE4294967295ELNS1_3gpuE0ELNS1_3repE0EEENS1_30default_config_static_selectorELNS0_4arch9wavefront6targetE0EEEvSM_
    .private_segment_fixed_size: 0
    .sgpr_count:     0
    .sgpr_spill_count: 0
    .symbol:         _ZN7rocprim17ROCPRIM_400000_NS6detail17trampoline_kernelINS0_14default_configENS1_37merge_sort_block_sort_config_selectorIlNS0_10empty_typeEEEZNS1_21merge_sort_block_sortIS3_PlS8_PS5_S9_ZN2at6native12_GLOBAL__N_124unique_dim_cuda_templateIsEESt5tupleIJNSA_6TensorESF_SF_EERKSF_lbbbEUlllE_EE10hipError_tT0_T1_T2_T3_mRjT4_P12ihipStream_tbNS1_7vsmem_tEEUlT_E_NS1_11comp_targetILNS1_3genE0ELNS1_11target_archE4294967295ELNS1_3gpuE0ELNS1_3repE0EEENS1_30default_config_static_selectorELNS0_4arch9wavefront6targetE0EEEvSM_.kd
    .uniform_work_group_size: 1
    .uses_dynamic_stack: false
    .vgpr_count:     0
    .vgpr_spill_count: 0
    .wavefront_size: 32
    .workgroup_processor_mode: 1
  - .args:
      - .offset:         0
        .size:           72
        .value_kind:     by_value
    .group_segment_fixed_size: 0
    .kernarg_segment_align: 8
    .kernarg_segment_size: 72
    .language:       OpenCL C
    .language_version:
      - 2
      - 0
    .max_flat_workgroup_size: 256
    .name:           _ZN7rocprim17ROCPRIM_400000_NS6detail17trampoline_kernelINS0_14default_configENS1_37merge_sort_block_sort_config_selectorIlNS0_10empty_typeEEEZNS1_21merge_sort_block_sortIS3_PlS8_PS5_S9_ZN2at6native12_GLOBAL__N_124unique_dim_cuda_templateIsEESt5tupleIJNSA_6TensorESF_SF_EERKSF_lbbbEUlllE_EE10hipError_tT0_T1_T2_T3_mRjT4_P12ihipStream_tbNS1_7vsmem_tEEUlT_E_NS1_11comp_targetILNS1_3genE5ELNS1_11target_archE942ELNS1_3gpuE9ELNS1_3repE0EEENS1_30default_config_static_selectorELNS0_4arch9wavefront6targetE0EEEvSM_
    .private_segment_fixed_size: 0
    .sgpr_count:     0
    .sgpr_spill_count: 0
    .symbol:         _ZN7rocprim17ROCPRIM_400000_NS6detail17trampoline_kernelINS0_14default_configENS1_37merge_sort_block_sort_config_selectorIlNS0_10empty_typeEEEZNS1_21merge_sort_block_sortIS3_PlS8_PS5_S9_ZN2at6native12_GLOBAL__N_124unique_dim_cuda_templateIsEESt5tupleIJNSA_6TensorESF_SF_EERKSF_lbbbEUlllE_EE10hipError_tT0_T1_T2_T3_mRjT4_P12ihipStream_tbNS1_7vsmem_tEEUlT_E_NS1_11comp_targetILNS1_3genE5ELNS1_11target_archE942ELNS1_3gpuE9ELNS1_3repE0EEENS1_30default_config_static_selectorELNS0_4arch9wavefront6targetE0EEEvSM_.kd
    .uniform_work_group_size: 1
    .uses_dynamic_stack: false
    .vgpr_count:     0
    .vgpr_spill_count: 0
    .wavefront_size: 32
    .workgroup_processor_mode: 1
  - .args:
      - .offset:         0
        .size:           72
        .value_kind:     by_value
    .group_segment_fixed_size: 0
    .kernarg_segment_align: 8
    .kernarg_segment_size: 72
    .language:       OpenCL C
    .language_version:
      - 2
      - 0
    .max_flat_workgroup_size: 256
    .name:           _ZN7rocprim17ROCPRIM_400000_NS6detail17trampoline_kernelINS0_14default_configENS1_37merge_sort_block_sort_config_selectorIlNS0_10empty_typeEEEZNS1_21merge_sort_block_sortIS3_PlS8_PS5_S9_ZN2at6native12_GLOBAL__N_124unique_dim_cuda_templateIsEESt5tupleIJNSA_6TensorESF_SF_EERKSF_lbbbEUlllE_EE10hipError_tT0_T1_T2_T3_mRjT4_P12ihipStream_tbNS1_7vsmem_tEEUlT_E_NS1_11comp_targetILNS1_3genE4ELNS1_11target_archE910ELNS1_3gpuE8ELNS1_3repE0EEENS1_30default_config_static_selectorELNS0_4arch9wavefront6targetE0EEEvSM_
    .private_segment_fixed_size: 0
    .sgpr_count:     0
    .sgpr_spill_count: 0
    .symbol:         _ZN7rocprim17ROCPRIM_400000_NS6detail17trampoline_kernelINS0_14default_configENS1_37merge_sort_block_sort_config_selectorIlNS0_10empty_typeEEEZNS1_21merge_sort_block_sortIS3_PlS8_PS5_S9_ZN2at6native12_GLOBAL__N_124unique_dim_cuda_templateIsEESt5tupleIJNSA_6TensorESF_SF_EERKSF_lbbbEUlllE_EE10hipError_tT0_T1_T2_T3_mRjT4_P12ihipStream_tbNS1_7vsmem_tEEUlT_E_NS1_11comp_targetILNS1_3genE4ELNS1_11target_archE910ELNS1_3gpuE8ELNS1_3repE0EEENS1_30default_config_static_selectorELNS0_4arch9wavefront6targetE0EEEvSM_.kd
    .uniform_work_group_size: 1
    .uses_dynamic_stack: false
    .vgpr_count:     0
    .vgpr_spill_count: 0
    .wavefront_size: 32
    .workgroup_processor_mode: 1
  - .args:
      - .offset:         0
        .size:           72
        .value_kind:     by_value
    .group_segment_fixed_size: 0
    .kernarg_segment_align: 8
    .kernarg_segment_size: 72
    .language:       OpenCL C
    .language_version:
      - 2
      - 0
    .max_flat_workgroup_size: 256
    .name:           _ZN7rocprim17ROCPRIM_400000_NS6detail17trampoline_kernelINS0_14default_configENS1_37merge_sort_block_sort_config_selectorIlNS0_10empty_typeEEEZNS1_21merge_sort_block_sortIS3_PlS8_PS5_S9_ZN2at6native12_GLOBAL__N_124unique_dim_cuda_templateIsEESt5tupleIJNSA_6TensorESF_SF_EERKSF_lbbbEUlllE_EE10hipError_tT0_T1_T2_T3_mRjT4_P12ihipStream_tbNS1_7vsmem_tEEUlT_E_NS1_11comp_targetILNS1_3genE3ELNS1_11target_archE908ELNS1_3gpuE7ELNS1_3repE0EEENS1_30default_config_static_selectorELNS0_4arch9wavefront6targetE0EEEvSM_
    .private_segment_fixed_size: 0
    .sgpr_count:     0
    .sgpr_spill_count: 0
    .symbol:         _ZN7rocprim17ROCPRIM_400000_NS6detail17trampoline_kernelINS0_14default_configENS1_37merge_sort_block_sort_config_selectorIlNS0_10empty_typeEEEZNS1_21merge_sort_block_sortIS3_PlS8_PS5_S9_ZN2at6native12_GLOBAL__N_124unique_dim_cuda_templateIsEESt5tupleIJNSA_6TensorESF_SF_EERKSF_lbbbEUlllE_EE10hipError_tT0_T1_T2_T3_mRjT4_P12ihipStream_tbNS1_7vsmem_tEEUlT_E_NS1_11comp_targetILNS1_3genE3ELNS1_11target_archE908ELNS1_3gpuE7ELNS1_3repE0EEENS1_30default_config_static_selectorELNS0_4arch9wavefront6targetE0EEEvSM_.kd
    .uniform_work_group_size: 1
    .uses_dynamic_stack: false
    .vgpr_count:     0
    .vgpr_spill_count: 0
    .wavefront_size: 32
    .workgroup_processor_mode: 1
  - .args:
      - .offset:         0
        .size:           72
        .value_kind:     by_value
    .group_segment_fixed_size: 0
    .kernarg_segment_align: 8
    .kernarg_segment_size: 72
    .language:       OpenCL C
    .language_version:
      - 2
      - 0
    .max_flat_workgroup_size: 256
    .name:           _ZN7rocprim17ROCPRIM_400000_NS6detail17trampoline_kernelINS0_14default_configENS1_37merge_sort_block_sort_config_selectorIlNS0_10empty_typeEEEZNS1_21merge_sort_block_sortIS3_PlS8_PS5_S9_ZN2at6native12_GLOBAL__N_124unique_dim_cuda_templateIsEESt5tupleIJNSA_6TensorESF_SF_EERKSF_lbbbEUlllE_EE10hipError_tT0_T1_T2_T3_mRjT4_P12ihipStream_tbNS1_7vsmem_tEEUlT_E_NS1_11comp_targetILNS1_3genE2ELNS1_11target_archE906ELNS1_3gpuE6ELNS1_3repE0EEENS1_30default_config_static_selectorELNS0_4arch9wavefront6targetE0EEEvSM_
    .private_segment_fixed_size: 0
    .sgpr_count:     0
    .sgpr_spill_count: 0
    .symbol:         _ZN7rocprim17ROCPRIM_400000_NS6detail17trampoline_kernelINS0_14default_configENS1_37merge_sort_block_sort_config_selectorIlNS0_10empty_typeEEEZNS1_21merge_sort_block_sortIS3_PlS8_PS5_S9_ZN2at6native12_GLOBAL__N_124unique_dim_cuda_templateIsEESt5tupleIJNSA_6TensorESF_SF_EERKSF_lbbbEUlllE_EE10hipError_tT0_T1_T2_T3_mRjT4_P12ihipStream_tbNS1_7vsmem_tEEUlT_E_NS1_11comp_targetILNS1_3genE2ELNS1_11target_archE906ELNS1_3gpuE6ELNS1_3repE0EEENS1_30default_config_static_selectorELNS0_4arch9wavefront6targetE0EEEvSM_.kd
    .uniform_work_group_size: 1
    .uses_dynamic_stack: false
    .vgpr_count:     0
    .vgpr_spill_count: 0
    .wavefront_size: 32
    .workgroup_processor_mode: 1
  - .args:
      - .offset:         0
        .size:           72
        .value_kind:     by_value
    .group_segment_fixed_size: 0
    .kernarg_segment_align: 8
    .kernarg_segment_size: 72
    .language:       OpenCL C
    .language_version:
      - 2
      - 0
    .max_flat_workgroup_size: 256
    .name:           _ZN7rocprim17ROCPRIM_400000_NS6detail17trampoline_kernelINS0_14default_configENS1_37merge_sort_block_sort_config_selectorIlNS0_10empty_typeEEEZNS1_21merge_sort_block_sortIS3_PlS8_PS5_S9_ZN2at6native12_GLOBAL__N_124unique_dim_cuda_templateIsEESt5tupleIJNSA_6TensorESF_SF_EERKSF_lbbbEUlllE_EE10hipError_tT0_T1_T2_T3_mRjT4_P12ihipStream_tbNS1_7vsmem_tEEUlT_E_NS1_11comp_targetILNS1_3genE10ELNS1_11target_archE1201ELNS1_3gpuE5ELNS1_3repE0EEENS1_30default_config_static_selectorELNS0_4arch9wavefront6targetE0EEEvSM_
    .private_segment_fixed_size: 0
    .sgpr_count:     0
    .sgpr_spill_count: 0
    .symbol:         _ZN7rocprim17ROCPRIM_400000_NS6detail17trampoline_kernelINS0_14default_configENS1_37merge_sort_block_sort_config_selectorIlNS0_10empty_typeEEEZNS1_21merge_sort_block_sortIS3_PlS8_PS5_S9_ZN2at6native12_GLOBAL__N_124unique_dim_cuda_templateIsEESt5tupleIJNSA_6TensorESF_SF_EERKSF_lbbbEUlllE_EE10hipError_tT0_T1_T2_T3_mRjT4_P12ihipStream_tbNS1_7vsmem_tEEUlT_E_NS1_11comp_targetILNS1_3genE10ELNS1_11target_archE1201ELNS1_3gpuE5ELNS1_3repE0EEENS1_30default_config_static_selectorELNS0_4arch9wavefront6targetE0EEEvSM_.kd
    .uniform_work_group_size: 1
    .uses_dynamic_stack: false
    .vgpr_count:     0
    .vgpr_spill_count: 0
    .wavefront_size: 32
    .workgroup_processor_mode: 1
  - .args:
      - .offset:         0
        .size:           72
        .value_kind:     by_value
    .group_segment_fixed_size: 0
    .kernarg_segment_align: 8
    .kernarg_segment_size: 72
    .language:       OpenCL C
    .language_version:
      - 2
      - 0
    .max_flat_workgroup_size: 512
    .name:           _ZN7rocprim17ROCPRIM_400000_NS6detail17trampoline_kernelINS0_14default_configENS1_37merge_sort_block_sort_config_selectorIlNS0_10empty_typeEEEZNS1_21merge_sort_block_sortIS3_PlS8_PS5_S9_ZN2at6native12_GLOBAL__N_124unique_dim_cuda_templateIsEESt5tupleIJNSA_6TensorESF_SF_EERKSF_lbbbEUlllE_EE10hipError_tT0_T1_T2_T3_mRjT4_P12ihipStream_tbNS1_7vsmem_tEEUlT_E_NS1_11comp_targetILNS1_3genE10ELNS1_11target_archE1200ELNS1_3gpuE4ELNS1_3repE0EEENS1_30default_config_static_selectorELNS0_4arch9wavefront6targetE0EEEvSM_
    .private_segment_fixed_size: 0
    .sgpr_count:     0
    .sgpr_spill_count: 0
    .symbol:         _ZN7rocprim17ROCPRIM_400000_NS6detail17trampoline_kernelINS0_14default_configENS1_37merge_sort_block_sort_config_selectorIlNS0_10empty_typeEEEZNS1_21merge_sort_block_sortIS3_PlS8_PS5_S9_ZN2at6native12_GLOBAL__N_124unique_dim_cuda_templateIsEESt5tupleIJNSA_6TensorESF_SF_EERKSF_lbbbEUlllE_EE10hipError_tT0_T1_T2_T3_mRjT4_P12ihipStream_tbNS1_7vsmem_tEEUlT_E_NS1_11comp_targetILNS1_3genE10ELNS1_11target_archE1200ELNS1_3gpuE4ELNS1_3repE0EEENS1_30default_config_static_selectorELNS0_4arch9wavefront6targetE0EEEvSM_.kd
    .uniform_work_group_size: 1
    .uses_dynamic_stack: false
    .vgpr_count:     0
    .vgpr_spill_count: 0
    .wavefront_size: 32
    .workgroup_processor_mode: 1
  - .args:
      - .offset:         0
        .size:           72
        .value_kind:     by_value
      - .offset:         72
        .size:           4
        .value_kind:     hidden_block_count_x
      - .offset:         76
        .size:           4
        .value_kind:     hidden_block_count_y
      - .offset:         80
        .size:           4
        .value_kind:     hidden_block_count_z
      - .offset:         84
        .size:           2
        .value_kind:     hidden_group_size_x
      - .offset:         86
        .size:           2
        .value_kind:     hidden_group_size_y
      - .offset:         88
        .size:           2
        .value_kind:     hidden_group_size_z
      - .offset:         90
        .size:           2
        .value_kind:     hidden_remainder_x
      - .offset:         92
        .size:           2
        .value_kind:     hidden_remainder_y
      - .offset:         94
        .size:           2
        .value_kind:     hidden_remainder_z
      - .offset:         112
        .size:           8
        .value_kind:     hidden_global_offset_x
      - .offset:         120
        .size:           8
        .value_kind:     hidden_global_offset_y
      - .offset:         128
        .size:           8
        .value_kind:     hidden_global_offset_z
      - .offset:         136
        .size:           2
        .value_kind:     hidden_grid_dims
    .group_segment_fixed_size: 8448
    .kernarg_segment_align: 8
    .kernarg_segment_size: 328
    .language:       OpenCL C
    .language_version:
      - 2
      - 0
    .max_flat_workgroup_size: 256
    .name:           _ZN7rocprim17ROCPRIM_400000_NS6detail17trampoline_kernelINS0_14default_configENS1_37merge_sort_block_sort_config_selectorIlNS0_10empty_typeEEEZNS1_21merge_sort_block_sortIS3_PlS8_PS5_S9_ZN2at6native12_GLOBAL__N_124unique_dim_cuda_templateIsEESt5tupleIJNSA_6TensorESF_SF_EERKSF_lbbbEUlllE_EE10hipError_tT0_T1_T2_T3_mRjT4_P12ihipStream_tbNS1_7vsmem_tEEUlT_E_NS1_11comp_targetILNS1_3genE9ELNS1_11target_archE1100ELNS1_3gpuE3ELNS1_3repE0EEENS1_30default_config_static_selectorELNS0_4arch9wavefront6targetE0EEEvSM_
    .private_segment_fixed_size: 0
    .sgpr_count:     34
    .sgpr_spill_count: 0
    .symbol:         _ZN7rocprim17ROCPRIM_400000_NS6detail17trampoline_kernelINS0_14default_configENS1_37merge_sort_block_sort_config_selectorIlNS0_10empty_typeEEEZNS1_21merge_sort_block_sortIS3_PlS8_PS5_S9_ZN2at6native12_GLOBAL__N_124unique_dim_cuda_templateIsEESt5tupleIJNSA_6TensorESF_SF_EERKSF_lbbbEUlllE_EE10hipError_tT0_T1_T2_T3_mRjT4_P12ihipStream_tbNS1_7vsmem_tEEUlT_E_NS1_11comp_targetILNS1_3genE9ELNS1_11target_archE1100ELNS1_3gpuE3ELNS1_3repE0EEENS1_30default_config_static_selectorELNS0_4arch9wavefront6targetE0EEEvSM_.kd
    .uniform_work_group_size: 1
    .uses_dynamic_stack: false
    .vgpr_count:     49
    .vgpr_spill_count: 0
    .wavefront_size: 32
    .workgroup_processor_mode: 1
  - .args:
      - .offset:         0
        .size:           72
        .value_kind:     by_value
    .group_segment_fixed_size: 0
    .kernarg_segment_align: 8
    .kernarg_segment_size: 72
    .language:       OpenCL C
    .language_version:
      - 2
      - 0
    .max_flat_workgroup_size: 256
    .name:           _ZN7rocprim17ROCPRIM_400000_NS6detail17trampoline_kernelINS0_14default_configENS1_37merge_sort_block_sort_config_selectorIlNS0_10empty_typeEEEZNS1_21merge_sort_block_sortIS3_PlS8_PS5_S9_ZN2at6native12_GLOBAL__N_124unique_dim_cuda_templateIsEESt5tupleIJNSA_6TensorESF_SF_EERKSF_lbbbEUlllE_EE10hipError_tT0_T1_T2_T3_mRjT4_P12ihipStream_tbNS1_7vsmem_tEEUlT_E_NS1_11comp_targetILNS1_3genE8ELNS1_11target_archE1030ELNS1_3gpuE2ELNS1_3repE0EEENS1_30default_config_static_selectorELNS0_4arch9wavefront6targetE0EEEvSM_
    .private_segment_fixed_size: 0
    .sgpr_count:     0
    .sgpr_spill_count: 0
    .symbol:         _ZN7rocprim17ROCPRIM_400000_NS6detail17trampoline_kernelINS0_14default_configENS1_37merge_sort_block_sort_config_selectorIlNS0_10empty_typeEEEZNS1_21merge_sort_block_sortIS3_PlS8_PS5_S9_ZN2at6native12_GLOBAL__N_124unique_dim_cuda_templateIsEESt5tupleIJNSA_6TensorESF_SF_EERKSF_lbbbEUlllE_EE10hipError_tT0_T1_T2_T3_mRjT4_P12ihipStream_tbNS1_7vsmem_tEEUlT_E_NS1_11comp_targetILNS1_3genE8ELNS1_11target_archE1030ELNS1_3gpuE2ELNS1_3repE0EEENS1_30default_config_static_selectorELNS0_4arch9wavefront6targetE0EEEvSM_.kd
    .uniform_work_group_size: 1
    .uses_dynamic_stack: false
    .vgpr_count:     0
    .vgpr_spill_count: 0
    .wavefront_size: 32
    .workgroup_processor_mode: 1
  - .args:
      - .offset:         0
        .size:           56
        .value_kind:     by_value
    .group_segment_fixed_size: 0
    .kernarg_segment_align: 8
    .kernarg_segment_size: 56
    .language:       OpenCL C
    .language_version:
      - 2
      - 0
    .max_flat_workgroup_size: 128
    .name:           _ZN7rocprim17ROCPRIM_400000_NS6detail17trampoline_kernelINS0_14default_configENS1_38merge_sort_block_merge_config_selectorIlNS0_10empty_typeEEEZZNS1_27merge_sort_block_merge_implIS3_PlPS5_mZN2at6native12_GLOBAL__N_124unique_dim_cuda_templateIsEESt5tupleIJNSA_6TensorESF_SF_EERKSF_lbbbEUlllE_EE10hipError_tT0_T1_T2_jT3_P12ihipStream_tbPNSt15iterator_traitsISL_E10value_typeEPNSR_ISM_E10value_typeEPSN_NS1_7vsmem_tEENKUlT_SL_SM_SN_E_clIS8_S8_S9_S9_EESK_S10_SL_SM_SN_EUlS10_E_NS1_11comp_targetILNS1_3genE0ELNS1_11target_archE4294967295ELNS1_3gpuE0ELNS1_3repE0EEENS1_48merge_mergepath_partition_config_static_selectorELNS0_4arch9wavefront6targetE0EEEvSM_
    .private_segment_fixed_size: 0
    .sgpr_count:     0
    .sgpr_spill_count: 0
    .symbol:         _ZN7rocprim17ROCPRIM_400000_NS6detail17trampoline_kernelINS0_14default_configENS1_38merge_sort_block_merge_config_selectorIlNS0_10empty_typeEEEZZNS1_27merge_sort_block_merge_implIS3_PlPS5_mZN2at6native12_GLOBAL__N_124unique_dim_cuda_templateIsEESt5tupleIJNSA_6TensorESF_SF_EERKSF_lbbbEUlllE_EE10hipError_tT0_T1_T2_jT3_P12ihipStream_tbPNSt15iterator_traitsISL_E10value_typeEPNSR_ISM_E10value_typeEPSN_NS1_7vsmem_tEENKUlT_SL_SM_SN_E_clIS8_S8_S9_S9_EESK_S10_SL_SM_SN_EUlS10_E_NS1_11comp_targetILNS1_3genE0ELNS1_11target_archE4294967295ELNS1_3gpuE0ELNS1_3repE0EEENS1_48merge_mergepath_partition_config_static_selectorELNS0_4arch9wavefront6targetE0EEEvSM_.kd
    .uniform_work_group_size: 1
    .uses_dynamic_stack: false
    .vgpr_count:     0
    .vgpr_spill_count: 0
    .wavefront_size: 32
    .workgroup_processor_mode: 1
  - .args:
      - .offset:         0
        .size:           56
        .value_kind:     by_value
    .group_segment_fixed_size: 0
    .kernarg_segment_align: 8
    .kernarg_segment_size: 56
    .language:       OpenCL C
    .language_version:
      - 2
      - 0
    .max_flat_workgroup_size: 128
    .name:           _ZN7rocprim17ROCPRIM_400000_NS6detail17trampoline_kernelINS0_14default_configENS1_38merge_sort_block_merge_config_selectorIlNS0_10empty_typeEEEZZNS1_27merge_sort_block_merge_implIS3_PlPS5_mZN2at6native12_GLOBAL__N_124unique_dim_cuda_templateIsEESt5tupleIJNSA_6TensorESF_SF_EERKSF_lbbbEUlllE_EE10hipError_tT0_T1_T2_jT3_P12ihipStream_tbPNSt15iterator_traitsISL_E10value_typeEPNSR_ISM_E10value_typeEPSN_NS1_7vsmem_tEENKUlT_SL_SM_SN_E_clIS8_S8_S9_S9_EESK_S10_SL_SM_SN_EUlS10_E_NS1_11comp_targetILNS1_3genE10ELNS1_11target_archE1201ELNS1_3gpuE5ELNS1_3repE0EEENS1_48merge_mergepath_partition_config_static_selectorELNS0_4arch9wavefront6targetE0EEEvSM_
    .private_segment_fixed_size: 0
    .sgpr_count:     0
    .sgpr_spill_count: 0
    .symbol:         _ZN7rocprim17ROCPRIM_400000_NS6detail17trampoline_kernelINS0_14default_configENS1_38merge_sort_block_merge_config_selectorIlNS0_10empty_typeEEEZZNS1_27merge_sort_block_merge_implIS3_PlPS5_mZN2at6native12_GLOBAL__N_124unique_dim_cuda_templateIsEESt5tupleIJNSA_6TensorESF_SF_EERKSF_lbbbEUlllE_EE10hipError_tT0_T1_T2_jT3_P12ihipStream_tbPNSt15iterator_traitsISL_E10value_typeEPNSR_ISM_E10value_typeEPSN_NS1_7vsmem_tEENKUlT_SL_SM_SN_E_clIS8_S8_S9_S9_EESK_S10_SL_SM_SN_EUlS10_E_NS1_11comp_targetILNS1_3genE10ELNS1_11target_archE1201ELNS1_3gpuE5ELNS1_3repE0EEENS1_48merge_mergepath_partition_config_static_selectorELNS0_4arch9wavefront6targetE0EEEvSM_.kd
    .uniform_work_group_size: 1
    .uses_dynamic_stack: false
    .vgpr_count:     0
    .vgpr_spill_count: 0
    .wavefront_size: 32
    .workgroup_processor_mode: 1
  - .args:
      - .offset:         0
        .size:           56
        .value_kind:     by_value
    .group_segment_fixed_size: 0
    .kernarg_segment_align: 8
    .kernarg_segment_size: 56
    .language:       OpenCL C
    .language_version:
      - 2
      - 0
    .max_flat_workgroup_size: 128
    .name:           _ZN7rocprim17ROCPRIM_400000_NS6detail17trampoline_kernelINS0_14default_configENS1_38merge_sort_block_merge_config_selectorIlNS0_10empty_typeEEEZZNS1_27merge_sort_block_merge_implIS3_PlPS5_mZN2at6native12_GLOBAL__N_124unique_dim_cuda_templateIsEESt5tupleIJNSA_6TensorESF_SF_EERKSF_lbbbEUlllE_EE10hipError_tT0_T1_T2_jT3_P12ihipStream_tbPNSt15iterator_traitsISL_E10value_typeEPNSR_ISM_E10value_typeEPSN_NS1_7vsmem_tEENKUlT_SL_SM_SN_E_clIS8_S8_S9_S9_EESK_S10_SL_SM_SN_EUlS10_E_NS1_11comp_targetILNS1_3genE5ELNS1_11target_archE942ELNS1_3gpuE9ELNS1_3repE0EEENS1_48merge_mergepath_partition_config_static_selectorELNS0_4arch9wavefront6targetE0EEEvSM_
    .private_segment_fixed_size: 0
    .sgpr_count:     0
    .sgpr_spill_count: 0
    .symbol:         _ZN7rocprim17ROCPRIM_400000_NS6detail17trampoline_kernelINS0_14default_configENS1_38merge_sort_block_merge_config_selectorIlNS0_10empty_typeEEEZZNS1_27merge_sort_block_merge_implIS3_PlPS5_mZN2at6native12_GLOBAL__N_124unique_dim_cuda_templateIsEESt5tupleIJNSA_6TensorESF_SF_EERKSF_lbbbEUlllE_EE10hipError_tT0_T1_T2_jT3_P12ihipStream_tbPNSt15iterator_traitsISL_E10value_typeEPNSR_ISM_E10value_typeEPSN_NS1_7vsmem_tEENKUlT_SL_SM_SN_E_clIS8_S8_S9_S9_EESK_S10_SL_SM_SN_EUlS10_E_NS1_11comp_targetILNS1_3genE5ELNS1_11target_archE942ELNS1_3gpuE9ELNS1_3repE0EEENS1_48merge_mergepath_partition_config_static_selectorELNS0_4arch9wavefront6targetE0EEEvSM_.kd
    .uniform_work_group_size: 1
    .uses_dynamic_stack: false
    .vgpr_count:     0
    .vgpr_spill_count: 0
    .wavefront_size: 32
    .workgroup_processor_mode: 1
  - .args:
      - .offset:         0
        .size:           56
        .value_kind:     by_value
    .group_segment_fixed_size: 0
    .kernarg_segment_align: 8
    .kernarg_segment_size: 56
    .language:       OpenCL C
    .language_version:
      - 2
      - 0
    .max_flat_workgroup_size: 128
    .name:           _ZN7rocprim17ROCPRIM_400000_NS6detail17trampoline_kernelINS0_14default_configENS1_38merge_sort_block_merge_config_selectorIlNS0_10empty_typeEEEZZNS1_27merge_sort_block_merge_implIS3_PlPS5_mZN2at6native12_GLOBAL__N_124unique_dim_cuda_templateIsEESt5tupleIJNSA_6TensorESF_SF_EERKSF_lbbbEUlllE_EE10hipError_tT0_T1_T2_jT3_P12ihipStream_tbPNSt15iterator_traitsISL_E10value_typeEPNSR_ISM_E10value_typeEPSN_NS1_7vsmem_tEENKUlT_SL_SM_SN_E_clIS8_S8_S9_S9_EESK_S10_SL_SM_SN_EUlS10_E_NS1_11comp_targetILNS1_3genE4ELNS1_11target_archE910ELNS1_3gpuE8ELNS1_3repE0EEENS1_48merge_mergepath_partition_config_static_selectorELNS0_4arch9wavefront6targetE0EEEvSM_
    .private_segment_fixed_size: 0
    .sgpr_count:     0
    .sgpr_spill_count: 0
    .symbol:         _ZN7rocprim17ROCPRIM_400000_NS6detail17trampoline_kernelINS0_14default_configENS1_38merge_sort_block_merge_config_selectorIlNS0_10empty_typeEEEZZNS1_27merge_sort_block_merge_implIS3_PlPS5_mZN2at6native12_GLOBAL__N_124unique_dim_cuda_templateIsEESt5tupleIJNSA_6TensorESF_SF_EERKSF_lbbbEUlllE_EE10hipError_tT0_T1_T2_jT3_P12ihipStream_tbPNSt15iterator_traitsISL_E10value_typeEPNSR_ISM_E10value_typeEPSN_NS1_7vsmem_tEENKUlT_SL_SM_SN_E_clIS8_S8_S9_S9_EESK_S10_SL_SM_SN_EUlS10_E_NS1_11comp_targetILNS1_3genE4ELNS1_11target_archE910ELNS1_3gpuE8ELNS1_3repE0EEENS1_48merge_mergepath_partition_config_static_selectorELNS0_4arch9wavefront6targetE0EEEvSM_.kd
    .uniform_work_group_size: 1
    .uses_dynamic_stack: false
    .vgpr_count:     0
    .vgpr_spill_count: 0
    .wavefront_size: 32
    .workgroup_processor_mode: 1
  - .args:
      - .offset:         0
        .size:           56
        .value_kind:     by_value
    .group_segment_fixed_size: 0
    .kernarg_segment_align: 8
    .kernarg_segment_size: 56
    .language:       OpenCL C
    .language_version:
      - 2
      - 0
    .max_flat_workgroup_size: 128
    .name:           _ZN7rocprim17ROCPRIM_400000_NS6detail17trampoline_kernelINS0_14default_configENS1_38merge_sort_block_merge_config_selectorIlNS0_10empty_typeEEEZZNS1_27merge_sort_block_merge_implIS3_PlPS5_mZN2at6native12_GLOBAL__N_124unique_dim_cuda_templateIsEESt5tupleIJNSA_6TensorESF_SF_EERKSF_lbbbEUlllE_EE10hipError_tT0_T1_T2_jT3_P12ihipStream_tbPNSt15iterator_traitsISL_E10value_typeEPNSR_ISM_E10value_typeEPSN_NS1_7vsmem_tEENKUlT_SL_SM_SN_E_clIS8_S8_S9_S9_EESK_S10_SL_SM_SN_EUlS10_E_NS1_11comp_targetILNS1_3genE3ELNS1_11target_archE908ELNS1_3gpuE7ELNS1_3repE0EEENS1_48merge_mergepath_partition_config_static_selectorELNS0_4arch9wavefront6targetE0EEEvSM_
    .private_segment_fixed_size: 0
    .sgpr_count:     0
    .sgpr_spill_count: 0
    .symbol:         _ZN7rocprim17ROCPRIM_400000_NS6detail17trampoline_kernelINS0_14default_configENS1_38merge_sort_block_merge_config_selectorIlNS0_10empty_typeEEEZZNS1_27merge_sort_block_merge_implIS3_PlPS5_mZN2at6native12_GLOBAL__N_124unique_dim_cuda_templateIsEESt5tupleIJNSA_6TensorESF_SF_EERKSF_lbbbEUlllE_EE10hipError_tT0_T1_T2_jT3_P12ihipStream_tbPNSt15iterator_traitsISL_E10value_typeEPNSR_ISM_E10value_typeEPSN_NS1_7vsmem_tEENKUlT_SL_SM_SN_E_clIS8_S8_S9_S9_EESK_S10_SL_SM_SN_EUlS10_E_NS1_11comp_targetILNS1_3genE3ELNS1_11target_archE908ELNS1_3gpuE7ELNS1_3repE0EEENS1_48merge_mergepath_partition_config_static_selectorELNS0_4arch9wavefront6targetE0EEEvSM_.kd
    .uniform_work_group_size: 1
    .uses_dynamic_stack: false
    .vgpr_count:     0
    .vgpr_spill_count: 0
    .wavefront_size: 32
    .workgroup_processor_mode: 1
  - .args:
      - .offset:         0
        .size:           56
        .value_kind:     by_value
    .group_segment_fixed_size: 0
    .kernarg_segment_align: 8
    .kernarg_segment_size: 56
    .language:       OpenCL C
    .language_version:
      - 2
      - 0
    .max_flat_workgroup_size: 128
    .name:           _ZN7rocprim17ROCPRIM_400000_NS6detail17trampoline_kernelINS0_14default_configENS1_38merge_sort_block_merge_config_selectorIlNS0_10empty_typeEEEZZNS1_27merge_sort_block_merge_implIS3_PlPS5_mZN2at6native12_GLOBAL__N_124unique_dim_cuda_templateIsEESt5tupleIJNSA_6TensorESF_SF_EERKSF_lbbbEUlllE_EE10hipError_tT0_T1_T2_jT3_P12ihipStream_tbPNSt15iterator_traitsISL_E10value_typeEPNSR_ISM_E10value_typeEPSN_NS1_7vsmem_tEENKUlT_SL_SM_SN_E_clIS8_S8_S9_S9_EESK_S10_SL_SM_SN_EUlS10_E_NS1_11comp_targetILNS1_3genE2ELNS1_11target_archE906ELNS1_3gpuE6ELNS1_3repE0EEENS1_48merge_mergepath_partition_config_static_selectorELNS0_4arch9wavefront6targetE0EEEvSM_
    .private_segment_fixed_size: 0
    .sgpr_count:     0
    .sgpr_spill_count: 0
    .symbol:         _ZN7rocprim17ROCPRIM_400000_NS6detail17trampoline_kernelINS0_14default_configENS1_38merge_sort_block_merge_config_selectorIlNS0_10empty_typeEEEZZNS1_27merge_sort_block_merge_implIS3_PlPS5_mZN2at6native12_GLOBAL__N_124unique_dim_cuda_templateIsEESt5tupleIJNSA_6TensorESF_SF_EERKSF_lbbbEUlllE_EE10hipError_tT0_T1_T2_jT3_P12ihipStream_tbPNSt15iterator_traitsISL_E10value_typeEPNSR_ISM_E10value_typeEPSN_NS1_7vsmem_tEENKUlT_SL_SM_SN_E_clIS8_S8_S9_S9_EESK_S10_SL_SM_SN_EUlS10_E_NS1_11comp_targetILNS1_3genE2ELNS1_11target_archE906ELNS1_3gpuE6ELNS1_3repE0EEENS1_48merge_mergepath_partition_config_static_selectorELNS0_4arch9wavefront6targetE0EEEvSM_.kd
    .uniform_work_group_size: 1
    .uses_dynamic_stack: false
    .vgpr_count:     0
    .vgpr_spill_count: 0
    .wavefront_size: 32
    .workgroup_processor_mode: 1
  - .args:
      - .offset:         0
        .size:           56
        .value_kind:     by_value
    .group_segment_fixed_size: 0
    .kernarg_segment_align: 8
    .kernarg_segment_size: 56
    .language:       OpenCL C
    .language_version:
      - 2
      - 0
    .max_flat_workgroup_size: 128
    .name:           _ZN7rocprim17ROCPRIM_400000_NS6detail17trampoline_kernelINS0_14default_configENS1_38merge_sort_block_merge_config_selectorIlNS0_10empty_typeEEEZZNS1_27merge_sort_block_merge_implIS3_PlPS5_mZN2at6native12_GLOBAL__N_124unique_dim_cuda_templateIsEESt5tupleIJNSA_6TensorESF_SF_EERKSF_lbbbEUlllE_EE10hipError_tT0_T1_T2_jT3_P12ihipStream_tbPNSt15iterator_traitsISL_E10value_typeEPNSR_ISM_E10value_typeEPSN_NS1_7vsmem_tEENKUlT_SL_SM_SN_E_clIS8_S8_S9_S9_EESK_S10_SL_SM_SN_EUlS10_E_NS1_11comp_targetILNS1_3genE9ELNS1_11target_archE1100ELNS1_3gpuE3ELNS1_3repE0EEENS1_48merge_mergepath_partition_config_static_selectorELNS0_4arch9wavefront6targetE0EEEvSM_
    .private_segment_fixed_size: 0
    .sgpr_count:     23
    .sgpr_spill_count: 0
    .symbol:         _ZN7rocprim17ROCPRIM_400000_NS6detail17trampoline_kernelINS0_14default_configENS1_38merge_sort_block_merge_config_selectorIlNS0_10empty_typeEEEZZNS1_27merge_sort_block_merge_implIS3_PlPS5_mZN2at6native12_GLOBAL__N_124unique_dim_cuda_templateIsEESt5tupleIJNSA_6TensorESF_SF_EERKSF_lbbbEUlllE_EE10hipError_tT0_T1_T2_jT3_P12ihipStream_tbPNSt15iterator_traitsISL_E10value_typeEPNSR_ISM_E10value_typeEPSN_NS1_7vsmem_tEENKUlT_SL_SM_SN_E_clIS8_S8_S9_S9_EESK_S10_SL_SM_SN_EUlS10_E_NS1_11comp_targetILNS1_3genE9ELNS1_11target_archE1100ELNS1_3gpuE3ELNS1_3repE0EEENS1_48merge_mergepath_partition_config_static_selectorELNS0_4arch9wavefront6targetE0EEEvSM_.kd
    .uniform_work_group_size: 1
    .uses_dynamic_stack: false
    .vgpr_count:     22
    .vgpr_spill_count: 0
    .wavefront_size: 32
    .workgroup_processor_mode: 1
  - .args:
      - .offset:         0
        .size:           56
        .value_kind:     by_value
    .group_segment_fixed_size: 0
    .kernarg_segment_align: 8
    .kernarg_segment_size: 56
    .language:       OpenCL C
    .language_version:
      - 2
      - 0
    .max_flat_workgroup_size: 128
    .name:           _ZN7rocprim17ROCPRIM_400000_NS6detail17trampoline_kernelINS0_14default_configENS1_38merge_sort_block_merge_config_selectorIlNS0_10empty_typeEEEZZNS1_27merge_sort_block_merge_implIS3_PlPS5_mZN2at6native12_GLOBAL__N_124unique_dim_cuda_templateIsEESt5tupleIJNSA_6TensorESF_SF_EERKSF_lbbbEUlllE_EE10hipError_tT0_T1_T2_jT3_P12ihipStream_tbPNSt15iterator_traitsISL_E10value_typeEPNSR_ISM_E10value_typeEPSN_NS1_7vsmem_tEENKUlT_SL_SM_SN_E_clIS8_S8_S9_S9_EESK_S10_SL_SM_SN_EUlS10_E_NS1_11comp_targetILNS1_3genE8ELNS1_11target_archE1030ELNS1_3gpuE2ELNS1_3repE0EEENS1_48merge_mergepath_partition_config_static_selectorELNS0_4arch9wavefront6targetE0EEEvSM_
    .private_segment_fixed_size: 0
    .sgpr_count:     0
    .sgpr_spill_count: 0
    .symbol:         _ZN7rocprim17ROCPRIM_400000_NS6detail17trampoline_kernelINS0_14default_configENS1_38merge_sort_block_merge_config_selectorIlNS0_10empty_typeEEEZZNS1_27merge_sort_block_merge_implIS3_PlPS5_mZN2at6native12_GLOBAL__N_124unique_dim_cuda_templateIsEESt5tupleIJNSA_6TensorESF_SF_EERKSF_lbbbEUlllE_EE10hipError_tT0_T1_T2_jT3_P12ihipStream_tbPNSt15iterator_traitsISL_E10value_typeEPNSR_ISM_E10value_typeEPSN_NS1_7vsmem_tEENKUlT_SL_SM_SN_E_clIS8_S8_S9_S9_EESK_S10_SL_SM_SN_EUlS10_E_NS1_11comp_targetILNS1_3genE8ELNS1_11target_archE1030ELNS1_3gpuE2ELNS1_3repE0EEENS1_48merge_mergepath_partition_config_static_selectorELNS0_4arch9wavefront6targetE0EEEvSM_.kd
    .uniform_work_group_size: 1
    .uses_dynamic_stack: false
    .vgpr_count:     0
    .vgpr_spill_count: 0
    .wavefront_size: 32
    .workgroup_processor_mode: 1
  - .args:
      - .offset:         0
        .size:           88
        .value_kind:     by_value
    .group_segment_fixed_size: 0
    .kernarg_segment_align: 8
    .kernarg_segment_size: 88
    .language:       OpenCL C
    .language_version:
      - 2
      - 0
    .max_flat_workgroup_size: 128
    .name:           _ZN7rocprim17ROCPRIM_400000_NS6detail17trampoline_kernelINS0_14default_configENS1_38merge_sort_block_merge_config_selectorIlNS0_10empty_typeEEEZZNS1_27merge_sort_block_merge_implIS3_PlPS5_mZN2at6native12_GLOBAL__N_124unique_dim_cuda_templateIsEESt5tupleIJNSA_6TensorESF_SF_EERKSF_lbbbEUlllE_EE10hipError_tT0_T1_T2_jT3_P12ihipStream_tbPNSt15iterator_traitsISL_E10value_typeEPNSR_ISM_E10value_typeEPSN_NS1_7vsmem_tEENKUlT_SL_SM_SN_E_clIS8_S8_S9_S9_EESK_S10_SL_SM_SN_EUlS10_E0_NS1_11comp_targetILNS1_3genE0ELNS1_11target_archE4294967295ELNS1_3gpuE0ELNS1_3repE0EEENS1_38merge_mergepath_config_static_selectorELNS0_4arch9wavefront6targetE0EEEvSM_
    .private_segment_fixed_size: 0
    .sgpr_count:     0
    .sgpr_spill_count: 0
    .symbol:         _ZN7rocprim17ROCPRIM_400000_NS6detail17trampoline_kernelINS0_14default_configENS1_38merge_sort_block_merge_config_selectorIlNS0_10empty_typeEEEZZNS1_27merge_sort_block_merge_implIS3_PlPS5_mZN2at6native12_GLOBAL__N_124unique_dim_cuda_templateIsEESt5tupleIJNSA_6TensorESF_SF_EERKSF_lbbbEUlllE_EE10hipError_tT0_T1_T2_jT3_P12ihipStream_tbPNSt15iterator_traitsISL_E10value_typeEPNSR_ISM_E10value_typeEPSN_NS1_7vsmem_tEENKUlT_SL_SM_SN_E_clIS8_S8_S9_S9_EESK_S10_SL_SM_SN_EUlS10_E0_NS1_11comp_targetILNS1_3genE0ELNS1_11target_archE4294967295ELNS1_3gpuE0ELNS1_3repE0EEENS1_38merge_mergepath_config_static_selectorELNS0_4arch9wavefront6targetE0EEEvSM_.kd
    .uniform_work_group_size: 1
    .uses_dynamic_stack: false
    .vgpr_count:     0
    .vgpr_spill_count: 0
    .wavefront_size: 32
    .workgroup_processor_mode: 1
  - .args:
      - .offset:         0
        .size:           88
        .value_kind:     by_value
    .group_segment_fixed_size: 0
    .kernarg_segment_align: 8
    .kernarg_segment_size: 88
    .language:       OpenCL C
    .language_version:
      - 2
      - 0
    .max_flat_workgroup_size: 512
    .name:           _ZN7rocprim17ROCPRIM_400000_NS6detail17trampoline_kernelINS0_14default_configENS1_38merge_sort_block_merge_config_selectorIlNS0_10empty_typeEEEZZNS1_27merge_sort_block_merge_implIS3_PlPS5_mZN2at6native12_GLOBAL__N_124unique_dim_cuda_templateIsEESt5tupleIJNSA_6TensorESF_SF_EERKSF_lbbbEUlllE_EE10hipError_tT0_T1_T2_jT3_P12ihipStream_tbPNSt15iterator_traitsISL_E10value_typeEPNSR_ISM_E10value_typeEPSN_NS1_7vsmem_tEENKUlT_SL_SM_SN_E_clIS8_S8_S9_S9_EESK_S10_SL_SM_SN_EUlS10_E0_NS1_11comp_targetILNS1_3genE10ELNS1_11target_archE1201ELNS1_3gpuE5ELNS1_3repE0EEENS1_38merge_mergepath_config_static_selectorELNS0_4arch9wavefront6targetE0EEEvSM_
    .private_segment_fixed_size: 0
    .sgpr_count:     0
    .sgpr_spill_count: 0
    .symbol:         _ZN7rocprim17ROCPRIM_400000_NS6detail17trampoline_kernelINS0_14default_configENS1_38merge_sort_block_merge_config_selectorIlNS0_10empty_typeEEEZZNS1_27merge_sort_block_merge_implIS3_PlPS5_mZN2at6native12_GLOBAL__N_124unique_dim_cuda_templateIsEESt5tupleIJNSA_6TensorESF_SF_EERKSF_lbbbEUlllE_EE10hipError_tT0_T1_T2_jT3_P12ihipStream_tbPNSt15iterator_traitsISL_E10value_typeEPNSR_ISM_E10value_typeEPSN_NS1_7vsmem_tEENKUlT_SL_SM_SN_E_clIS8_S8_S9_S9_EESK_S10_SL_SM_SN_EUlS10_E0_NS1_11comp_targetILNS1_3genE10ELNS1_11target_archE1201ELNS1_3gpuE5ELNS1_3repE0EEENS1_38merge_mergepath_config_static_selectorELNS0_4arch9wavefront6targetE0EEEvSM_.kd
    .uniform_work_group_size: 1
    .uses_dynamic_stack: false
    .vgpr_count:     0
    .vgpr_spill_count: 0
    .wavefront_size: 32
    .workgroup_processor_mode: 1
  - .args:
      - .offset:         0
        .size:           88
        .value_kind:     by_value
    .group_segment_fixed_size: 0
    .kernarg_segment_align: 8
    .kernarg_segment_size: 88
    .language:       OpenCL C
    .language_version:
      - 2
      - 0
    .max_flat_workgroup_size: 128
    .name:           _ZN7rocprim17ROCPRIM_400000_NS6detail17trampoline_kernelINS0_14default_configENS1_38merge_sort_block_merge_config_selectorIlNS0_10empty_typeEEEZZNS1_27merge_sort_block_merge_implIS3_PlPS5_mZN2at6native12_GLOBAL__N_124unique_dim_cuda_templateIsEESt5tupleIJNSA_6TensorESF_SF_EERKSF_lbbbEUlllE_EE10hipError_tT0_T1_T2_jT3_P12ihipStream_tbPNSt15iterator_traitsISL_E10value_typeEPNSR_ISM_E10value_typeEPSN_NS1_7vsmem_tEENKUlT_SL_SM_SN_E_clIS8_S8_S9_S9_EESK_S10_SL_SM_SN_EUlS10_E0_NS1_11comp_targetILNS1_3genE5ELNS1_11target_archE942ELNS1_3gpuE9ELNS1_3repE0EEENS1_38merge_mergepath_config_static_selectorELNS0_4arch9wavefront6targetE0EEEvSM_
    .private_segment_fixed_size: 0
    .sgpr_count:     0
    .sgpr_spill_count: 0
    .symbol:         _ZN7rocprim17ROCPRIM_400000_NS6detail17trampoline_kernelINS0_14default_configENS1_38merge_sort_block_merge_config_selectorIlNS0_10empty_typeEEEZZNS1_27merge_sort_block_merge_implIS3_PlPS5_mZN2at6native12_GLOBAL__N_124unique_dim_cuda_templateIsEESt5tupleIJNSA_6TensorESF_SF_EERKSF_lbbbEUlllE_EE10hipError_tT0_T1_T2_jT3_P12ihipStream_tbPNSt15iterator_traitsISL_E10value_typeEPNSR_ISM_E10value_typeEPSN_NS1_7vsmem_tEENKUlT_SL_SM_SN_E_clIS8_S8_S9_S9_EESK_S10_SL_SM_SN_EUlS10_E0_NS1_11comp_targetILNS1_3genE5ELNS1_11target_archE942ELNS1_3gpuE9ELNS1_3repE0EEENS1_38merge_mergepath_config_static_selectorELNS0_4arch9wavefront6targetE0EEEvSM_.kd
    .uniform_work_group_size: 1
    .uses_dynamic_stack: false
    .vgpr_count:     0
    .vgpr_spill_count: 0
    .wavefront_size: 32
    .workgroup_processor_mode: 1
  - .args:
      - .offset:         0
        .size:           88
        .value_kind:     by_value
    .group_segment_fixed_size: 0
    .kernarg_segment_align: 8
    .kernarg_segment_size: 88
    .language:       OpenCL C
    .language_version:
      - 2
      - 0
    .max_flat_workgroup_size: 256
    .name:           _ZN7rocprim17ROCPRIM_400000_NS6detail17trampoline_kernelINS0_14default_configENS1_38merge_sort_block_merge_config_selectorIlNS0_10empty_typeEEEZZNS1_27merge_sort_block_merge_implIS3_PlPS5_mZN2at6native12_GLOBAL__N_124unique_dim_cuda_templateIsEESt5tupleIJNSA_6TensorESF_SF_EERKSF_lbbbEUlllE_EE10hipError_tT0_T1_T2_jT3_P12ihipStream_tbPNSt15iterator_traitsISL_E10value_typeEPNSR_ISM_E10value_typeEPSN_NS1_7vsmem_tEENKUlT_SL_SM_SN_E_clIS8_S8_S9_S9_EESK_S10_SL_SM_SN_EUlS10_E0_NS1_11comp_targetILNS1_3genE4ELNS1_11target_archE910ELNS1_3gpuE8ELNS1_3repE0EEENS1_38merge_mergepath_config_static_selectorELNS0_4arch9wavefront6targetE0EEEvSM_
    .private_segment_fixed_size: 0
    .sgpr_count:     0
    .sgpr_spill_count: 0
    .symbol:         _ZN7rocprim17ROCPRIM_400000_NS6detail17trampoline_kernelINS0_14default_configENS1_38merge_sort_block_merge_config_selectorIlNS0_10empty_typeEEEZZNS1_27merge_sort_block_merge_implIS3_PlPS5_mZN2at6native12_GLOBAL__N_124unique_dim_cuda_templateIsEESt5tupleIJNSA_6TensorESF_SF_EERKSF_lbbbEUlllE_EE10hipError_tT0_T1_T2_jT3_P12ihipStream_tbPNSt15iterator_traitsISL_E10value_typeEPNSR_ISM_E10value_typeEPSN_NS1_7vsmem_tEENKUlT_SL_SM_SN_E_clIS8_S8_S9_S9_EESK_S10_SL_SM_SN_EUlS10_E0_NS1_11comp_targetILNS1_3genE4ELNS1_11target_archE910ELNS1_3gpuE8ELNS1_3repE0EEENS1_38merge_mergepath_config_static_selectorELNS0_4arch9wavefront6targetE0EEEvSM_.kd
    .uniform_work_group_size: 1
    .uses_dynamic_stack: false
    .vgpr_count:     0
    .vgpr_spill_count: 0
    .wavefront_size: 32
    .workgroup_processor_mode: 1
  - .args:
      - .offset:         0
        .size:           88
        .value_kind:     by_value
    .group_segment_fixed_size: 0
    .kernarg_segment_align: 8
    .kernarg_segment_size: 88
    .language:       OpenCL C
    .language_version:
      - 2
      - 0
    .max_flat_workgroup_size: 128
    .name:           _ZN7rocprim17ROCPRIM_400000_NS6detail17trampoline_kernelINS0_14default_configENS1_38merge_sort_block_merge_config_selectorIlNS0_10empty_typeEEEZZNS1_27merge_sort_block_merge_implIS3_PlPS5_mZN2at6native12_GLOBAL__N_124unique_dim_cuda_templateIsEESt5tupleIJNSA_6TensorESF_SF_EERKSF_lbbbEUlllE_EE10hipError_tT0_T1_T2_jT3_P12ihipStream_tbPNSt15iterator_traitsISL_E10value_typeEPNSR_ISM_E10value_typeEPSN_NS1_7vsmem_tEENKUlT_SL_SM_SN_E_clIS8_S8_S9_S9_EESK_S10_SL_SM_SN_EUlS10_E0_NS1_11comp_targetILNS1_3genE3ELNS1_11target_archE908ELNS1_3gpuE7ELNS1_3repE0EEENS1_38merge_mergepath_config_static_selectorELNS0_4arch9wavefront6targetE0EEEvSM_
    .private_segment_fixed_size: 0
    .sgpr_count:     0
    .sgpr_spill_count: 0
    .symbol:         _ZN7rocprim17ROCPRIM_400000_NS6detail17trampoline_kernelINS0_14default_configENS1_38merge_sort_block_merge_config_selectorIlNS0_10empty_typeEEEZZNS1_27merge_sort_block_merge_implIS3_PlPS5_mZN2at6native12_GLOBAL__N_124unique_dim_cuda_templateIsEESt5tupleIJNSA_6TensorESF_SF_EERKSF_lbbbEUlllE_EE10hipError_tT0_T1_T2_jT3_P12ihipStream_tbPNSt15iterator_traitsISL_E10value_typeEPNSR_ISM_E10value_typeEPSN_NS1_7vsmem_tEENKUlT_SL_SM_SN_E_clIS8_S8_S9_S9_EESK_S10_SL_SM_SN_EUlS10_E0_NS1_11comp_targetILNS1_3genE3ELNS1_11target_archE908ELNS1_3gpuE7ELNS1_3repE0EEENS1_38merge_mergepath_config_static_selectorELNS0_4arch9wavefront6targetE0EEEvSM_.kd
    .uniform_work_group_size: 1
    .uses_dynamic_stack: false
    .vgpr_count:     0
    .vgpr_spill_count: 0
    .wavefront_size: 32
    .workgroup_processor_mode: 1
  - .args:
      - .offset:         0
        .size:           88
        .value_kind:     by_value
    .group_segment_fixed_size: 0
    .kernarg_segment_align: 8
    .kernarg_segment_size: 88
    .language:       OpenCL C
    .language_version:
      - 2
      - 0
    .max_flat_workgroup_size: 256
    .name:           _ZN7rocprim17ROCPRIM_400000_NS6detail17trampoline_kernelINS0_14default_configENS1_38merge_sort_block_merge_config_selectorIlNS0_10empty_typeEEEZZNS1_27merge_sort_block_merge_implIS3_PlPS5_mZN2at6native12_GLOBAL__N_124unique_dim_cuda_templateIsEESt5tupleIJNSA_6TensorESF_SF_EERKSF_lbbbEUlllE_EE10hipError_tT0_T1_T2_jT3_P12ihipStream_tbPNSt15iterator_traitsISL_E10value_typeEPNSR_ISM_E10value_typeEPSN_NS1_7vsmem_tEENKUlT_SL_SM_SN_E_clIS8_S8_S9_S9_EESK_S10_SL_SM_SN_EUlS10_E0_NS1_11comp_targetILNS1_3genE2ELNS1_11target_archE906ELNS1_3gpuE6ELNS1_3repE0EEENS1_38merge_mergepath_config_static_selectorELNS0_4arch9wavefront6targetE0EEEvSM_
    .private_segment_fixed_size: 0
    .sgpr_count:     0
    .sgpr_spill_count: 0
    .symbol:         _ZN7rocprim17ROCPRIM_400000_NS6detail17trampoline_kernelINS0_14default_configENS1_38merge_sort_block_merge_config_selectorIlNS0_10empty_typeEEEZZNS1_27merge_sort_block_merge_implIS3_PlPS5_mZN2at6native12_GLOBAL__N_124unique_dim_cuda_templateIsEESt5tupleIJNSA_6TensorESF_SF_EERKSF_lbbbEUlllE_EE10hipError_tT0_T1_T2_jT3_P12ihipStream_tbPNSt15iterator_traitsISL_E10value_typeEPNSR_ISM_E10value_typeEPSN_NS1_7vsmem_tEENKUlT_SL_SM_SN_E_clIS8_S8_S9_S9_EESK_S10_SL_SM_SN_EUlS10_E0_NS1_11comp_targetILNS1_3genE2ELNS1_11target_archE906ELNS1_3gpuE6ELNS1_3repE0EEENS1_38merge_mergepath_config_static_selectorELNS0_4arch9wavefront6targetE0EEEvSM_.kd
    .uniform_work_group_size: 1
    .uses_dynamic_stack: false
    .vgpr_count:     0
    .vgpr_spill_count: 0
    .wavefront_size: 32
    .workgroup_processor_mode: 1
  - .args:
      - .offset:         0
        .size:           88
        .value_kind:     by_value
      - .offset:         88
        .size:           4
        .value_kind:     hidden_block_count_x
      - .offset:         92
        .size:           4
        .value_kind:     hidden_block_count_y
      - .offset:         96
        .size:           4
        .value_kind:     hidden_block_count_z
      - .offset:         100
        .size:           2
        .value_kind:     hidden_group_size_x
      - .offset:         102
        .size:           2
        .value_kind:     hidden_group_size_y
      - .offset:         104
        .size:           2
        .value_kind:     hidden_group_size_z
      - .offset:         106
        .size:           2
        .value_kind:     hidden_remainder_x
      - .offset:         108
        .size:           2
        .value_kind:     hidden_remainder_y
      - .offset:         110
        .size:           2
        .value_kind:     hidden_remainder_z
      - .offset:         128
        .size:           8
        .value_kind:     hidden_global_offset_x
      - .offset:         136
        .size:           8
        .value_kind:     hidden_global_offset_y
      - .offset:         144
        .size:           8
        .value_kind:     hidden_global_offset_z
      - .offset:         152
        .size:           2
        .value_kind:     hidden_grid_dims
    .group_segment_fixed_size: 8448
    .kernarg_segment_align: 8
    .kernarg_segment_size: 344
    .language:       OpenCL C
    .language_version:
      - 2
      - 0
    .max_flat_workgroup_size: 512
    .name:           _ZN7rocprim17ROCPRIM_400000_NS6detail17trampoline_kernelINS0_14default_configENS1_38merge_sort_block_merge_config_selectorIlNS0_10empty_typeEEEZZNS1_27merge_sort_block_merge_implIS3_PlPS5_mZN2at6native12_GLOBAL__N_124unique_dim_cuda_templateIsEESt5tupleIJNSA_6TensorESF_SF_EERKSF_lbbbEUlllE_EE10hipError_tT0_T1_T2_jT3_P12ihipStream_tbPNSt15iterator_traitsISL_E10value_typeEPNSR_ISM_E10value_typeEPSN_NS1_7vsmem_tEENKUlT_SL_SM_SN_E_clIS8_S8_S9_S9_EESK_S10_SL_SM_SN_EUlS10_E0_NS1_11comp_targetILNS1_3genE9ELNS1_11target_archE1100ELNS1_3gpuE3ELNS1_3repE0EEENS1_38merge_mergepath_config_static_selectorELNS0_4arch9wavefront6targetE0EEEvSM_
    .private_segment_fixed_size: 0
    .sgpr_count:     34
    .sgpr_spill_count: 0
    .symbol:         _ZN7rocprim17ROCPRIM_400000_NS6detail17trampoline_kernelINS0_14default_configENS1_38merge_sort_block_merge_config_selectorIlNS0_10empty_typeEEEZZNS1_27merge_sort_block_merge_implIS3_PlPS5_mZN2at6native12_GLOBAL__N_124unique_dim_cuda_templateIsEESt5tupleIJNSA_6TensorESF_SF_EERKSF_lbbbEUlllE_EE10hipError_tT0_T1_T2_jT3_P12ihipStream_tbPNSt15iterator_traitsISL_E10value_typeEPNSR_ISM_E10value_typeEPSN_NS1_7vsmem_tEENKUlT_SL_SM_SN_E_clIS8_S8_S9_S9_EESK_S10_SL_SM_SN_EUlS10_E0_NS1_11comp_targetILNS1_3genE9ELNS1_11target_archE1100ELNS1_3gpuE3ELNS1_3repE0EEENS1_38merge_mergepath_config_static_selectorELNS0_4arch9wavefront6targetE0EEEvSM_.kd
    .uniform_work_group_size: 1
    .uses_dynamic_stack: false
    .vgpr_count:     21
    .vgpr_spill_count: 0
    .wavefront_size: 32
    .workgroup_processor_mode: 1
  - .args:
      - .offset:         0
        .size:           88
        .value_kind:     by_value
    .group_segment_fixed_size: 0
    .kernarg_segment_align: 8
    .kernarg_segment_size: 88
    .language:       OpenCL C
    .language_version:
      - 2
      - 0
    .max_flat_workgroup_size: 1024
    .name:           _ZN7rocprim17ROCPRIM_400000_NS6detail17trampoline_kernelINS0_14default_configENS1_38merge_sort_block_merge_config_selectorIlNS0_10empty_typeEEEZZNS1_27merge_sort_block_merge_implIS3_PlPS5_mZN2at6native12_GLOBAL__N_124unique_dim_cuda_templateIsEESt5tupleIJNSA_6TensorESF_SF_EERKSF_lbbbEUlllE_EE10hipError_tT0_T1_T2_jT3_P12ihipStream_tbPNSt15iterator_traitsISL_E10value_typeEPNSR_ISM_E10value_typeEPSN_NS1_7vsmem_tEENKUlT_SL_SM_SN_E_clIS8_S8_S9_S9_EESK_S10_SL_SM_SN_EUlS10_E0_NS1_11comp_targetILNS1_3genE8ELNS1_11target_archE1030ELNS1_3gpuE2ELNS1_3repE0EEENS1_38merge_mergepath_config_static_selectorELNS0_4arch9wavefront6targetE0EEEvSM_
    .private_segment_fixed_size: 0
    .sgpr_count:     0
    .sgpr_spill_count: 0
    .symbol:         _ZN7rocprim17ROCPRIM_400000_NS6detail17trampoline_kernelINS0_14default_configENS1_38merge_sort_block_merge_config_selectorIlNS0_10empty_typeEEEZZNS1_27merge_sort_block_merge_implIS3_PlPS5_mZN2at6native12_GLOBAL__N_124unique_dim_cuda_templateIsEESt5tupleIJNSA_6TensorESF_SF_EERKSF_lbbbEUlllE_EE10hipError_tT0_T1_T2_jT3_P12ihipStream_tbPNSt15iterator_traitsISL_E10value_typeEPNSR_ISM_E10value_typeEPSN_NS1_7vsmem_tEENKUlT_SL_SM_SN_E_clIS8_S8_S9_S9_EESK_S10_SL_SM_SN_EUlS10_E0_NS1_11comp_targetILNS1_3genE8ELNS1_11target_archE1030ELNS1_3gpuE2ELNS1_3repE0EEENS1_38merge_mergepath_config_static_selectorELNS0_4arch9wavefront6targetE0EEEvSM_.kd
    .uniform_work_group_size: 1
    .uses_dynamic_stack: false
    .vgpr_count:     0
    .vgpr_spill_count: 0
    .wavefront_size: 32
    .workgroup_processor_mode: 1
  - .args:
      - .offset:         0
        .size:           64
        .value_kind:     by_value
    .group_segment_fixed_size: 0
    .kernarg_segment_align: 8
    .kernarg_segment_size: 64
    .language:       OpenCL C
    .language_version:
      - 2
      - 0
    .max_flat_workgroup_size: 256
    .name:           _ZN7rocprim17ROCPRIM_400000_NS6detail17trampoline_kernelINS0_14default_configENS1_38merge_sort_block_merge_config_selectorIlNS0_10empty_typeEEEZZNS1_27merge_sort_block_merge_implIS3_PlPS5_mZN2at6native12_GLOBAL__N_124unique_dim_cuda_templateIsEESt5tupleIJNSA_6TensorESF_SF_EERKSF_lbbbEUlllE_EE10hipError_tT0_T1_T2_jT3_P12ihipStream_tbPNSt15iterator_traitsISL_E10value_typeEPNSR_ISM_E10value_typeEPSN_NS1_7vsmem_tEENKUlT_SL_SM_SN_E_clIS8_S8_S9_S9_EESK_S10_SL_SM_SN_EUlS10_E1_NS1_11comp_targetILNS1_3genE0ELNS1_11target_archE4294967295ELNS1_3gpuE0ELNS1_3repE0EEENS1_36merge_oddeven_config_static_selectorELNS0_4arch9wavefront6targetE0EEEvSM_
    .private_segment_fixed_size: 0
    .sgpr_count:     0
    .sgpr_spill_count: 0
    .symbol:         _ZN7rocprim17ROCPRIM_400000_NS6detail17trampoline_kernelINS0_14default_configENS1_38merge_sort_block_merge_config_selectorIlNS0_10empty_typeEEEZZNS1_27merge_sort_block_merge_implIS3_PlPS5_mZN2at6native12_GLOBAL__N_124unique_dim_cuda_templateIsEESt5tupleIJNSA_6TensorESF_SF_EERKSF_lbbbEUlllE_EE10hipError_tT0_T1_T2_jT3_P12ihipStream_tbPNSt15iterator_traitsISL_E10value_typeEPNSR_ISM_E10value_typeEPSN_NS1_7vsmem_tEENKUlT_SL_SM_SN_E_clIS8_S8_S9_S9_EESK_S10_SL_SM_SN_EUlS10_E1_NS1_11comp_targetILNS1_3genE0ELNS1_11target_archE4294967295ELNS1_3gpuE0ELNS1_3repE0EEENS1_36merge_oddeven_config_static_selectorELNS0_4arch9wavefront6targetE0EEEvSM_.kd
    .uniform_work_group_size: 1
    .uses_dynamic_stack: false
    .vgpr_count:     0
    .vgpr_spill_count: 0
    .wavefront_size: 32
    .workgroup_processor_mode: 1
  - .args:
      - .offset:         0
        .size:           64
        .value_kind:     by_value
    .group_segment_fixed_size: 0
    .kernarg_segment_align: 8
    .kernarg_segment_size: 64
    .language:       OpenCL C
    .language_version:
      - 2
      - 0
    .max_flat_workgroup_size: 256
    .name:           _ZN7rocprim17ROCPRIM_400000_NS6detail17trampoline_kernelINS0_14default_configENS1_38merge_sort_block_merge_config_selectorIlNS0_10empty_typeEEEZZNS1_27merge_sort_block_merge_implIS3_PlPS5_mZN2at6native12_GLOBAL__N_124unique_dim_cuda_templateIsEESt5tupleIJNSA_6TensorESF_SF_EERKSF_lbbbEUlllE_EE10hipError_tT0_T1_T2_jT3_P12ihipStream_tbPNSt15iterator_traitsISL_E10value_typeEPNSR_ISM_E10value_typeEPSN_NS1_7vsmem_tEENKUlT_SL_SM_SN_E_clIS8_S8_S9_S9_EESK_S10_SL_SM_SN_EUlS10_E1_NS1_11comp_targetILNS1_3genE10ELNS1_11target_archE1201ELNS1_3gpuE5ELNS1_3repE0EEENS1_36merge_oddeven_config_static_selectorELNS0_4arch9wavefront6targetE0EEEvSM_
    .private_segment_fixed_size: 0
    .sgpr_count:     0
    .sgpr_spill_count: 0
    .symbol:         _ZN7rocprim17ROCPRIM_400000_NS6detail17trampoline_kernelINS0_14default_configENS1_38merge_sort_block_merge_config_selectorIlNS0_10empty_typeEEEZZNS1_27merge_sort_block_merge_implIS3_PlPS5_mZN2at6native12_GLOBAL__N_124unique_dim_cuda_templateIsEESt5tupleIJNSA_6TensorESF_SF_EERKSF_lbbbEUlllE_EE10hipError_tT0_T1_T2_jT3_P12ihipStream_tbPNSt15iterator_traitsISL_E10value_typeEPNSR_ISM_E10value_typeEPSN_NS1_7vsmem_tEENKUlT_SL_SM_SN_E_clIS8_S8_S9_S9_EESK_S10_SL_SM_SN_EUlS10_E1_NS1_11comp_targetILNS1_3genE10ELNS1_11target_archE1201ELNS1_3gpuE5ELNS1_3repE0EEENS1_36merge_oddeven_config_static_selectorELNS0_4arch9wavefront6targetE0EEEvSM_.kd
    .uniform_work_group_size: 1
    .uses_dynamic_stack: false
    .vgpr_count:     0
    .vgpr_spill_count: 0
    .wavefront_size: 32
    .workgroup_processor_mode: 1
  - .args:
      - .offset:         0
        .size:           64
        .value_kind:     by_value
    .group_segment_fixed_size: 0
    .kernarg_segment_align: 8
    .kernarg_segment_size: 64
    .language:       OpenCL C
    .language_version:
      - 2
      - 0
    .max_flat_workgroup_size: 256
    .name:           _ZN7rocprim17ROCPRIM_400000_NS6detail17trampoline_kernelINS0_14default_configENS1_38merge_sort_block_merge_config_selectorIlNS0_10empty_typeEEEZZNS1_27merge_sort_block_merge_implIS3_PlPS5_mZN2at6native12_GLOBAL__N_124unique_dim_cuda_templateIsEESt5tupleIJNSA_6TensorESF_SF_EERKSF_lbbbEUlllE_EE10hipError_tT0_T1_T2_jT3_P12ihipStream_tbPNSt15iterator_traitsISL_E10value_typeEPNSR_ISM_E10value_typeEPSN_NS1_7vsmem_tEENKUlT_SL_SM_SN_E_clIS8_S8_S9_S9_EESK_S10_SL_SM_SN_EUlS10_E1_NS1_11comp_targetILNS1_3genE5ELNS1_11target_archE942ELNS1_3gpuE9ELNS1_3repE0EEENS1_36merge_oddeven_config_static_selectorELNS0_4arch9wavefront6targetE0EEEvSM_
    .private_segment_fixed_size: 0
    .sgpr_count:     0
    .sgpr_spill_count: 0
    .symbol:         _ZN7rocprim17ROCPRIM_400000_NS6detail17trampoline_kernelINS0_14default_configENS1_38merge_sort_block_merge_config_selectorIlNS0_10empty_typeEEEZZNS1_27merge_sort_block_merge_implIS3_PlPS5_mZN2at6native12_GLOBAL__N_124unique_dim_cuda_templateIsEESt5tupleIJNSA_6TensorESF_SF_EERKSF_lbbbEUlllE_EE10hipError_tT0_T1_T2_jT3_P12ihipStream_tbPNSt15iterator_traitsISL_E10value_typeEPNSR_ISM_E10value_typeEPSN_NS1_7vsmem_tEENKUlT_SL_SM_SN_E_clIS8_S8_S9_S9_EESK_S10_SL_SM_SN_EUlS10_E1_NS1_11comp_targetILNS1_3genE5ELNS1_11target_archE942ELNS1_3gpuE9ELNS1_3repE0EEENS1_36merge_oddeven_config_static_selectorELNS0_4arch9wavefront6targetE0EEEvSM_.kd
    .uniform_work_group_size: 1
    .uses_dynamic_stack: false
    .vgpr_count:     0
    .vgpr_spill_count: 0
    .wavefront_size: 32
    .workgroup_processor_mode: 1
  - .args:
      - .offset:         0
        .size:           64
        .value_kind:     by_value
    .group_segment_fixed_size: 0
    .kernarg_segment_align: 8
    .kernarg_segment_size: 64
    .language:       OpenCL C
    .language_version:
      - 2
      - 0
    .max_flat_workgroup_size: 256
    .name:           _ZN7rocprim17ROCPRIM_400000_NS6detail17trampoline_kernelINS0_14default_configENS1_38merge_sort_block_merge_config_selectorIlNS0_10empty_typeEEEZZNS1_27merge_sort_block_merge_implIS3_PlPS5_mZN2at6native12_GLOBAL__N_124unique_dim_cuda_templateIsEESt5tupleIJNSA_6TensorESF_SF_EERKSF_lbbbEUlllE_EE10hipError_tT0_T1_T2_jT3_P12ihipStream_tbPNSt15iterator_traitsISL_E10value_typeEPNSR_ISM_E10value_typeEPSN_NS1_7vsmem_tEENKUlT_SL_SM_SN_E_clIS8_S8_S9_S9_EESK_S10_SL_SM_SN_EUlS10_E1_NS1_11comp_targetILNS1_3genE4ELNS1_11target_archE910ELNS1_3gpuE8ELNS1_3repE0EEENS1_36merge_oddeven_config_static_selectorELNS0_4arch9wavefront6targetE0EEEvSM_
    .private_segment_fixed_size: 0
    .sgpr_count:     0
    .sgpr_spill_count: 0
    .symbol:         _ZN7rocprim17ROCPRIM_400000_NS6detail17trampoline_kernelINS0_14default_configENS1_38merge_sort_block_merge_config_selectorIlNS0_10empty_typeEEEZZNS1_27merge_sort_block_merge_implIS3_PlPS5_mZN2at6native12_GLOBAL__N_124unique_dim_cuda_templateIsEESt5tupleIJNSA_6TensorESF_SF_EERKSF_lbbbEUlllE_EE10hipError_tT0_T1_T2_jT3_P12ihipStream_tbPNSt15iterator_traitsISL_E10value_typeEPNSR_ISM_E10value_typeEPSN_NS1_7vsmem_tEENKUlT_SL_SM_SN_E_clIS8_S8_S9_S9_EESK_S10_SL_SM_SN_EUlS10_E1_NS1_11comp_targetILNS1_3genE4ELNS1_11target_archE910ELNS1_3gpuE8ELNS1_3repE0EEENS1_36merge_oddeven_config_static_selectorELNS0_4arch9wavefront6targetE0EEEvSM_.kd
    .uniform_work_group_size: 1
    .uses_dynamic_stack: false
    .vgpr_count:     0
    .vgpr_spill_count: 0
    .wavefront_size: 32
    .workgroup_processor_mode: 1
  - .args:
      - .offset:         0
        .size:           64
        .value_kind:     by_value
    .group_segment_fixed_size: 0
    .kernarg_segment_align: 8
    .kernarg_segment_size: 64
    .language:       OpenCL C
    .language_version:
      - 2
      - 0
    .max_flat_workgroup_size: 256
    .name:           _ZN7rocprim17ROCPRIM_400000_NS6detail17trampoline_kernelINS0_14default_configENS1_38merge_sort_block_merge_config_selectorIlNS0_10empty_typeEEEZZNS1_27merge_sort_block_merge_implIS3_PlPS5_mZN2at6native12_GLOBAL__N_124unique_dim_cuda_templateIsEESt5tupleIJNSA_6TensorESF_SF_EERKSF_lbbbEUlllE_EE10hipError_tT0_T1_T2_jT3_P12ihipStream_tbPNSt15iterator_traitsISL_E10value_typeEPNSR_ISM_E10value_typeEPSN_NS1_7vsmem_tEENKUlT_SL_SM_SN_E_clIS8_S8_S9_S9_EESK_S10_SL_SM_SN_EUlS10_E1_NS1_11comp_targetILNS1_3genE3ELNS1_11target_archE908ELNS1_3gpuE7ELNS1_3repE0EEENS1_36merge_oddeven_config_static_selectorELNS0_4arch9wavefront6targetE0EEEvSM_
    .private_segment_fixed_size: 0
    .sgpr_count:     0
    .sgpr_spill_count: 0
    .symbol:         _ZN7rocprim17ROCPRIM_400000_NS6detail17trampoline_kernelINS0_14default_configENS1_38merge_sort_block_merge_config_selectorIlNS0_10empty_typeEEEZZNS1_27merge_sort_block_merge_implIS3_PlPS5_mZN2at6native12_GLOBAL__N_124unique_dim_cuda_templateIsEESt5tupleIJNSA_6TensorESF_SF_EERKSF_lbbbEUlllE_EE10hipError_tT0_T1_T2_jT3_P12ihipStream_tbPNSt15iterator_traitsISL_E10value_typeEPNSR_ISM_E10value_typeEPSN_NS1_7vsmem_tEENKUlT_SL_SM_SN_E_clIS8_S8_S9_S9_EESK_S10_SL_SM_SN_EUlS10_E1_NS1_11comp_targetILNS1_3genE3ELNS1_11target_archE908ELNS1_3gpuE7ELNS1_3repE0EEENS1_36merge_oddeven_config_static_selectorELNS0_4arch9wavefront6targetE0EEEvSM_.kd
    .uniform_work_group_size: 1
    .uses_dynamic_stack: false
    .vgpr_count:     0
    .vgpr_spill_count: 0
    .wavefront_size: 32
    .workgroup_processor_mode: 1
  - .args:
      - .offset:         0
        .size:           64
        .value_kind:     by_value
    .group_segment_fixed_size: 0
    .kernarg_segment_align: 8
    .kernarg_segment_size: 64
    .language:       OpenCL C
    .language_version:
      - 2
      - 0
    .max_flat_workgroup_size: 256
    .name:           _ZN7rocprim17ROCPRIM_400000_NS6detail17trampoline_kernelINS0_14default_configENS1_38merge_sort_block_merge_config_selectorIlNS0_10empty_typeEEEZZNS1_27merge_sort_block_merge_implIS3_PlPS5_mZN2at6native12_GLOBAL__N_124unique_dim_cuda_templateIsEESt5tupleIJNSA_6TensorESF_SF_EERKSF_lbbbEUlllE_EE10hipError_tT0_T1_T2_jT3_P12ihipStream_tbPNSt15iterator_traitsISL_E10value_typeEPNSR_ISM_E10value_typeEPSN_NS1_7vsmem_tEENKUlT_SL_SM_SN_E_clIS8_S8_S9_S9_EESK_S10_SL_SM_SN_EUlS10_E1_NS1_11comp_targetILNS1_3genE2ELNS1_11target_archE906ELNS1_3gpuE6ELNS1_3repE0EEENS1_36merge_oddeven_config_static_selectorELNS0_4arch9wavefront6targetE0EEEvSM_
    .private_segment_fixed_size: 0
    .sgpr_count:     0
    .sgpr_spill_count: 0
    .symbol:         _ZN7rocprim17ROCPRIM_400000_NS6detail17trampoline_kernelINS0_14default_configENS1_38merge_sort_block_merge_config_selectorIlNS0_10empty_typeEEEZZNS1_27merge_sort_block_merge_implIS3_PlPS5_mZN2at6native12_GLOBAL__N_124unique_dim_cuda_templateIsEESt5tupleIJNSA_6TensorESF_SF_EERKSF_lbbbEUlllE_EE10hipError_tT0_T1_T2_jT3_P12ihipStream_tbPNSt15iterator_traitsISL_E10value_typeEPNSR_ISM_E10value_typeEPSN_NS1_7vsmem_tEENKUlT_SL_SM_SN_E_clIS8_S8_S9_S9_EESK_S10_SL_SM_SN_EUlS10_E1_NS1_11comp_targetILNS1_3genE2ELNS1_11target_archE906ELNS1_3gpuE6ELNS1_3repE0EEENS1_36merge_oddeven_config_static_selectorELNS0_4arch9wavefront6targetE0EEEvSM_.kd
    .uniform_work_group_size: 1
    .uses_dynamic_stack: false
    .vgpr_count:     0
    .vgpr_spill_count: 0
    .wavefront_size: 32
    .workgroup_processor_mode: 1
  - .args:
      - .offset:         0
        .size:           64
        .value_kind:     by_value
    .group_segment_fixed_size: 0
    .kernarg_segment_align: 8
    .kernarg_segment_size: 64
    .language:       OpenCL C
    .language_version:
      - 2
      - 0
    .max_flat_workgroup_size: 256
    .name:           _ZN7rocprim17ROCPRIM_400000_NS6detail17trampoline_kernelINS0_14default_configENS1_38merge_sort_block_merge_config_selectorIlNS0_10empty_typeEEEZZNS1_27merge_sort_block_merge_implIS3_PlPS5_mZN2at6native12_GLOBAL__N_124unique_dim_cuda_templateIsEESt5tupleIJNSA_6TensorESF_SF_EERKSF_lbbbEUlllE_EE10hipError_tT0_T1_T2_jT3_P12ihipStream_tbPNSt15iterator_traitsISL_E10value_typeEPNSR_ISM_E10value_typeEPSN_NS1_7vsmem_tEENKUlT_SL_SM_SN_E_clIS8_S8_S9_S9_EESK_S10_SL_SM_SN_EUlS10_E1_NS1_11comp_targetILNS1_3genE9ELNS1_11target_archE1100ELNS1_3gpuE3ELNS1_3repE0EEENS1_36merge_oddeven_config_static_selectorELNS0_4arch9wavefront6targetE0EEEvSM_
    .private_segment_fixed_size: 0
    .sgpr_count:     30
    .sgpr_spill_count: 0
    .symbol:         _ZN7rocprim17ROCPRIM_400000_NS6detail17trampoline_kernelINS0_14default_configENS1_38merge_sort_block_merge_config_selectorIlNS0_10empty_typeEEEZZNS1_27merge_sort_block_merge_implIS3_PlPS5_mZN2at6native12_GLOBAL__N_124unique_dim_cuda_templateIsEESt5tupleIJNSA_6TensorESF_SF_EERKSF_lbbbEUlllE_EE10hipError_tT0_T1_T2_jT3_P12ihipStream_tbPNSt15iterator_traitsISL_E10value_typeEPNSR_ISM_E10value_typeEPSN_NS1_7vsmem_tEENKUlT_SL_SM_SN_E_clIS8_S8_S9_S9_EESK_S10_SL_SM_SN_EUlS10_E1_NS1_11comp_targetILNS1_3genE9ELNS1_11target_archE1100ELNS1_3gpuE3ELNS1_3repE0EEENS1_36merge_oddeven_config_static_selectorELNS0_4arch9wavefront6targetE0EEEvSM_.kd
    .uniform_work_group_size: 1
    .uses_dynamic_stack: false
    .vgpr_count:     18
    .vgpr_spill_count: 0
    .wavefront_size: 32
    .workgroup_processor_mode: 1
  - .args:
      - .offset:         0
        .size:           64
        .value_kind:     by_value
    .group_segment_fixed_size: 0
    .kernarg_segment_align: 8
    .kernarg_segment_size: 64
    .language:       OpenCL C
    .language_version:
      - 2
      - 0
    .max_flat_workgroup_size: 256
    .name:           _ZN7rocprim17ROCPRIM_400000_NS6detail17trampoline_kernelINS0_14default_configENS1_38merge_sort_block_merge_config_selectorIlNS0_10empty_typeEEEZZNS1_27merge_sort_block_merge_implIS3_PlPS5_mZN2at6native12_GLOBAL__N_124unique_dim_cuda_templateIsEESt5tupleIJNSA_6TensorESF_SF_EERKSF_lbbbEUlllE_EE10hipError_tT0_T1_T2_jT3_P12ihipStream_tbPNSt15iterator_traitsISL_E10value_typeEPNSR_ISM_E10value_typeEPSN_NS1_7vsmem_tEENKUlT_SL_SM_SN_E_clIS8_S8_S9_S9_EESK_S10_SL_SM_SN_EUlS10_E1_NS1_11comp_targetILNS1_3genE8ELNS1_11target_archE1030ELNS1_3gpuE2ELNS1_3repE0EEENS1_36merge_oddeven_config_static_selectorELNS0_4arch9wavefront6targetE0EEEvSM_
    .private_segment_fixed_size: 0
    .sgpr_count:     0
    .sgpr_spill_count: 0
    .symbol:         _ZN7rocprim17ROCPRIM_400000_NS6detail17trampoline_kernelINS0_14default_configENS1_38merge_sort_block_merge_config_selectorIlNS0_10empty_typeEEEZZNS1_27merge_sort_block_merge_implIS3_PlPS5_mZN2at6native12_GLOBAL__N_124unique_dim_cuda_templateIsEESt5tupleIJNSA_6TensorESF_SF_EERKSF_lbbbEUlllE_EE10hipError_tT0_T1_T2_jT3_P12ihipStream_tbPNSt15iterator_traitsISL_E10value_typeEPNSR_ISM_E10value_typeEPSN_NS1_7vsmem_tEENKUlT_SL_SM_SN_E_clIS8_S8_S9_S9_EESK_S10_SL_SM_SN_EUlS10_E1_NS1_11comp_targetILNS1_3genE8ELNS1_11target_archE1030ELNS1_3gpuE2ELNS1_3repE0EEENS1_36merge_oddeven_config_static_selectorELNS0_4arch9wavefront6targetE0EEEvSM_.kd
    .uniform_work_group_size: 1
    .uses_dynamic_stack: false
    .vgpr_count:     0
    .vgpr_spill_count: 0
    .wavefront_size: 32
    .workgroup_processor_mode: 1
  - .args:
      - .offset:         0
        .size:           64
        .value_kind:     by_value
    .group_segment_fixed_size: 0
    .kernarg_segment_align: 8
    .kernarg_segment_size: 64
    .language:       OpenCL C
    .language_version:
      - 2
      - 0
    .max_flat_workgroup_size: 128
    .name:           _ZN7rocprim17ROCPRIM_400000_NS6detail17trampoline_kernelINS0_14default_configENS1_35adjacent_difference_config_selectorILb0ElEEZNS1_24adjacent_difference_implIS3_Lb0ELb0EPlS7_ZN2at6native12_GLOBAL__N_124unique_dim_cuda_templateIsEESt5tupleIJNS8_6TensorESD_SD_EERKSD_lbbbEUlllE1_EE10hipError_tPvRmT2_T3_mT4_P12ihipStream_tbEUlT_E_NS1_11comp_targetILNS1_3genE0ELNS1_11target_archE4294967295ELNS1_3gpuE0ELNS1_3repE0EEENS1_30default_config_static_selectorELNS0_4arch9wavefront6targetE0EEEvT1_
    .private_segment_fixed_size: 0
    .sgpr_count:     0
    .sgpr_spill_count: 0
    .symbol:         _ZN7rocprim17ROCPRIM_400000_NS6detail17trampoline_kernelINS0_14default_configENS1_35adjacent_difference_config_selectorILb0ElEEZNS1_24adjacent_difference_implIS3_Lb0ELb0EPlS7_ZN2at6native12_GLOBAL__N_124unique_dim_cuda_templateIsEESt5tupleIJNS8_6TensorESD_SD_EERKSD_lbbbEUlllE1_EE10hipError_tPvRmT2_T3_mT4_P12ihipStream_tbEUlT_E_NS1_11comp_targetILNS1_3genE0ELNS1_11target_archE4294967295ELNS1_3gpuE0ELNS1_3repE0EEENS1_30default_config_static_selectorELNS0_4arch9wavefront6targetE0EEEvT1_.kd
    .uniform_work_group_size: 1
    .uses_dynamic_stack: false
    .vgpr_count:     0
    .vgpr_spill_count: 0
    .wavefront_size: 32
    .workgroup_processor_mode: 1
  - .args:
      - .offset:         0
        .size:           64
        .value_kind:     by_value
    .group_segment_fixed_size: 0
    .kernarg_segment_align: 8
    .kernarg_segment_size: 64
    .language:       OpenCL C
    .language_version:
      - 2
      - 0
    .max_flat_workgroup_size: 128
    .name:           _ZN7rocprim17ROCPRIM_400000_NS6detail17trampoline_kernelINS0_14default_configENS1_35adjacent_difference_config_selectorILb0ElEEZNS1_24adjacent_difference_implIS3_Lb0ELb0EPlS7_ZN2at6native12_GLOBAL__N_124unique_dim_cuda_templateIsEESt5tupleIJNS8_6TensorESD_SD_EERKSD_lbbbEUlllE1_EE10hipError_tPvRmT2_T3_mT4_P12ihipStream_tbEUlT_E_NS1_11comp_targetILNS1_3genE10ELNS1_11target_archE1201ELNS1_3gpuE5ELNS1_3repE0EEENS1_30default_config_static_selectorELNS0_4arch9wavefront6targetE0EEEvT1_
    .private_segment_fixed_size: 0
    .sgpr_count:     0
    .sgpr_spill_count: 0
    .symbol:         _ZN7rocprim17ROCPRIM_400000_NS6detail17trampoline_kernelINS0_14default_configENS1_35adjacent_difference_config_selectorILb0ElEEZNS1_24adjacent_difference_implIS3_Lb0ELb0EPlS7_ZN2at6native12_GLOBAL__N_124unique_dim_cuda_templateIsEESt5tupleIJNS8_6TensorESD_SD_EERKSD_lbbbEUlllE1_EE10hipError_tPvRmT2_T3_mT4_P12ihipStream_tbEUlT_E_NS1_11comp_targetILNS1_3genE10ELNS1_11target_archE1201ELNS1_3gpuE5ELNS1_3repE0EEENS1_30default_config_static_selectorELNS0_4arch9wavefront6targetE0EEEvT1_.kd
    .uniform_work_group_size: 1
    .uses_dynamic_stack: false
    .vgpr_count:     0
    .vgpr_spill_count: 0
    .wavefront_size: 32
    .workgroup_processor_mode: 1
  - .args:
      - .offset:         0
        .size:           64
        .value_kind:     by_value
    .group_segment_fixed_size: 0
    .kernarg_segment_align: 8
    .kernarg_segment_size: 64
    .language:       OpenCL C
    .language_version:
      - 2
      - 0
    .max_flat_workgroup_size: 64
    .name:           _ZN7rocprim17ROCPRIM_400000_NS6detail17trampoline_kernelINS0_14default_configENS1_35adjacent_difference_config_selectorILb0ElEEZNS1_24adjacent_difference_implIS3_Lb0ELb0EPlS7_ZN2at6native12_GLOBAL__N_124unique_dim_cuda_templateIsEESt5tupleIJNS8_6TensorESD_SD_EERKSD_lbbbEUlllE1_EE10hipError_tPvRmT2_T3_mT4_P12ihipStream_tbEUlT_E_NS1_11comp_targetILNS1_3genE5ELNS1_11target_archE942ELNS1_3gpuE9ELNS1_3repE0EEENS1_30default_config_static_selectorELNS0_4arch9wavefront6targetE0EEEvT1_
    .private_segment_fixed_size: 0
    .sgpr_count:     0
    .sgpr_spill_count: 0
    .symbol:         _ZN7rocprim17ROCPRIM_400000_NS6detail17trampoline_kernelINS0_14default_configENS1_35adjacent_difference_config_selectorILb0ElEEZNS1_24adjacent_difference_implIS3_Lb0ELb0EPlS7_ZN2at6native12_GLOBAL__N_124unique_dim_cuda_templateIsEESt5tupleIJNS8_6TensorESD_SD_EERKSD_lbbbEUlllE1_EE10hipError_tPvRmT2_T3_mT4_P12ihipStream_tbEUlT_E_NS1_11comp_targetILNS1_3genE5ELNS1_11target_archE942ELNS1_3gpuE9ELNS1_3repE0EEENS1_30default_config_static_selectorELNS0_4arch9wavefront6targetE0EEEvT1_.kd
    .uniform_work_group_size: 1
    .uses_dynamic_stack: false
    .vgpr_count:     0
    .vgpr_spill_count: 0
    .wavefront_size: 32
    .workgroup_processor_mode: 1
  - .args:
      - .offset:         0
        .size:           64
        .value_kind:     by_value
    .group_segment_fixed_size: 0
    .kernarg_segment_align: 8
    .kernarg_segment_size: 64
    .language:       OpenCL C
    .language_version:
      - 2
      - 0
    .max_flat_workgroup_size: 256
    .name:           _ZN7rocprim17ROCPRIM_400000_NS6detail17trampoline_kernelINS0_14default_configENS1_35adjacent_difference_config_selectorILb0ElEEZNS1_24adjacent_difference_implIS3_Lb0ELb0EPlS7_ZN2at6native12_GLOBAL__N_124unique_dim_cuda_templateIsEESt5tupleIJNS8_6TensorESD_SD_EERKSD_lbbbEUlllE1_EE10hipError_tPvRmT2_T3_mT4_P12ihipStream_tbEUlT_E_NS1_11comp_targetILNS1_3genE4ELNS1_11target_archE910ELNS1_3gpuE8ELNS1_3repE0EEENS1_30default_config_static_selectorELNS0_4arch9wavefront6targetE0EEEvT1_
    .private_segment_fixed_size: 0
    .sgpr_count:     0
    .sgpr_spill_count: 0
    .symbol:         _ZN7rocprim17ROCPRIM_400000_NS6detail17trampoline_kernelINS0_14default_configENS1_35adjacent_difference_config_selectorILb0ElEEZNS1_24adjacent_difference_implIS3_Lb0ELb0EPlS7_ZN2at6native12_GLOBAL__N_124unique_dim_cuda_templateIsEESt5tupleIJNS8_6TensorESD_SD_EERKSD_lbbbEUlllE1_EE10hipError_tPvRmT2_T3_mT4_P12ihipStream_tbEUlT_E_NS1_11comp_targetILNS1_3genE4ELNS1_11target_archE910ELNS1_3gpuE8ELNS1_3repE0EEENS1_30default_config_static_selectorELNS0_4arch9wavefront6targetE0EEEvT1_.kd
    .uniform_work_group_size: 1
    .uses_dynamic_stack: false
    .vgpr_count:     0
    .vgpr_spill_count: 0
    .wavefront_size: 32
    .workgroup_processor_mode: 1
  - .args:
      - .offset:         0
        .size:           64
        .value_kind:     by_value
    .group_segment_fixed_size: 0
    .kernarg_segment_align: 8
    .kernarg_segment_size: 64
    .language:       OpenCL C
    .language_version:
      - 2
      - 0
    .max_flat_workgroup_size: 128
    .name:           _ZN7rocprim17ROCPRIM_400000_NS6detail17trampoline_kernelINS0_14default_configENS1_35adjacent_difference_config_selectorILb0ElEEZNS1_24adjacent_difference_implIS3_Lb0ELb0EPlS7_ZN2at6native12_GLOBAL__N_124unique_dim_cuda_templateIsEESt5tupleIJNS8_6TensorESD_SD_EERKSD_lbbbEUlllE1_EE10hipError_tPvRmT2_T3_mT4_P12ihipStream_tbEUlT_E_NS1_11comp_targetILNS1_3genE3ELNS1_11target_archE908ELNS1_3gpuE7ELNS1_3repE0EEENS1_30default_config_static_selectorELNS0_4arch9wavefront6targetE0EEEvT1_
    .private_segment_fixed_size: 0
    .sgpr_count:     0
    .sgpr_spill_count: 0
    .symbol:         _ZN7rocprim17ROCPRIM_400000_NS6detail17trampoline_kernelINS0_14default_configENS1_35adjacent_difference_config_selectorILb0ElEEZNS1_24adjacent_difference_implIS3_Lb0ELb0EPlS7_ZN2at6native12_GLOBAL__N_124unique_dim_cuda_templateIsEESt5tupleIJNS8_6TensorESD_SD_EERKSD_lbbbEUlllE1_EE10hipError_tPvRmT2_T3_mT4_P12ihipStream_tbEUlT_E_NS1_11comp_targetILNS1_3genE3ELNS1_11target_archE908ELNS1_3gpuE7ELNS1_3repE0EEENS1_30default_config_static_selectorELNS0_4arch9wavefront6targetE0EEEvT1_.kd
    .uniform_work_group_size: 1
    .uses_dynamic_stack: false
    .vgpr_count:     0
    .vgpr_spill_count: 0
    .wavefront_size: 32
    .workgroup_processor_mode: 1
  - .args:
      - .offset:         0
        .size:           64
        .value_kind:     by_value
    .group_segment_fixed_size: 0
    .kernarg_segment_align: 8
    .kernarg_segment_size: 64
    .language:       OpenCL C
    .language_version:
      - 2
      - 0
    .max_flat_workgroup_size: 128
    .name:           _ZN7rocprim17ROCPRIM_400000_NS6detail17trampoline_kernelINS0_14default_configENS1_35adjacent_difference_config_selectorILb0ElEEZNS1_24adjacent_difference_implIS3_Lb0ELb0EPlS7_ZN2at6native12_GLOBAL__N_124unique_dim_cuda_templateIsEESt5tupleIJNS8_6TensorESD_SD_EERKSD_lbbbEUlllE1_EE10hipError_tPvRmT2_T3_mT4_P12ihipStream_tbEUlT_E_NS1_11comp_targetILNS1_3genE2ELNS1_11target_archE906ELNS1_3gpuE6ELNS1_3repE0EEENS1_30default_config_static_selectorELNS0_4arch9wavefront6targetE0EEEvT1_
    .private_segment_fixed_size: 0
    .sgpr_count:     0
    .sgpr_spill_count: 0
    .symbol:         _ZN7rocprim17ROCPRIM_400000_NS6detail17trampoline_kernelINS0_14default_configENS1_35adjacent_difference_config_selectorILb0ElEEZNS1_24adjacent_difference_implIS3_Lb0ELb0EPlS7_ZN2at6native12_GLOBAL__N_124unique_dim_cuda_templateIsEESt5tupleIJNS8_6TensorESD_SD_EERKSD_lbbbEUlllE1_EE10hipError_tPvRmT2_T3_mT4_P12ihipStream_tbEUlT_E_NS1_11comp_targetILNS1_3genE2ELNS1_11target_archE906ELNS1_3gpuE6ELNS1_3repE0EEENS1_30default_config_static_selectorELNS0_4arch9wavefront6targetE0EEEvT1_.kd
    .uniform_work_group_size: 1
    .uses_dynamic_stack: false
    .vgpr_count:     0
    .vgpr_spill_count: 0
    .wavefront_size: 32
    .workgroup_processor_mode: 1
  - .args:
      - .offset:         0
        .size:           64
        .value_kind:     by_value
    .group_segment_fixed_size: 8192
    .kernarg_segment_align: 8
    .kernarg_segment_size: 64
    .language:       OpenCL C
    .language_version:
      - 2
      - 0
    .max_flat_workgroup_size: 512
    .name:           _ZN7rocprim17ROCPRIM_400000_NS6detail17trampoline_kernelINS0_14default_configENS1_35adjacent_difference_config_selectorILb0ElEEZNS1_24adjacent_difference_implIS3_Lb0ELb0EPlS7_ZN2at6native12_GLOBAL__N_124unique_dim_cuda_templateIsEESt5tupleIJNS8_6TensorESD_SD_EERKSD_lbbbEUlllE1_EE10hipError_tPvRmT2_T3_mT4_P12ihipStream_tbEUlT_E_NS1_11comp_targetILNS1_3genE9ELNS1_11target_archE1100ELNS1_3gpuE3ELNS1_3repE0EEENS1_30default_config_static_selectorELNS0_4arch9wavefront6targetE0EEEvT1_
    .private_segment_fixed_size: 0
    .sgpr_count:     28
    .sgpr_spill_count: 0
    .symbol:         _ZN7rocprim17ROCPRIM_400000_NS6detail17trampoline_kernelINS0_14default_configENS1_35adjacent_difference_config_selectorILb0ElEEZNS1_24adjacent_difference_implIS3_Lb0ELb0EPlS7_ZN2at6native12_GLOBAL__N_124unique_dim_cuda_templateIsEESt5tupleIJNS8_6TensorESD_SD_EERKSD_lbbbEUlllE1_EE10hipError_tPvRmT2_T3_mT4_P12ihipStream_tbEUlT_E_NS1_11comp_targetILNS1_3genE9ELNS1_11target_archE1100ELNS1_3gpuE3ELNS1_3repE0EEENS1_30default_config_static_selectorELNS0_4arch9wavefront6targetE0EEEvT1_.kd
    .uniform_work_group_size: 1
    .uses_dynamic_stack: false
    .vgpr_count:     13
    .vgpr_spill_count: 0
    .wavefront_size: 32
    .workgroup_processor_mode: 1
  - .args:
      - .offset:         0
        .size:           64
        .value_kind:     by_value
    .group_segment_fixed_size: 0
    .kernarg_segment_align: 8
    .kernarg_segment_size: 64
    .language:       OpenCL C
    .language_version:
      - 2
      - 0
    .max_flat_workgroup_size: 1024
    .name:           _ZN7rocprim17ROCPRIM_400000_NS6detail17trampoline_kernelINS0_14default_configENS1_35adjacent_difference_config_selectorILb0ElEEZNS1_24adjacent_difference_implIS3_Lb0ELb0EPlS7_ZN2at6native12_GLOBAL__N_124unique_dim_cuda_templateIsEESt5tupleIJNS8_6TensorESD_SD_EERKSD_lbbbEUlllE1_EE10hipError_tPvRmT2_T3_mT4_P12ihipStream_tbEUlT_E_NS1_11comp_targetILNS1_3genE8ELNS1_11target_archE1030ELNS1_3gpuE2ELNS1_3repE0EEENS1_30default_config_static_selectorELNS0_4arch9wavefront6targetE0EEEvT1_
    .private_segment_fixed_size: 0
    .sgpr_count:     0
    .sgpr_spill_count: 0
    .symbol:         _ZN7rocprim17ROCPRIM_400000_NS6detail17trampoline_kernelINS0_14default_configENS1_35adjacent_difference_config_selectorILb0ElEEZNS1_24adjacent_difference_implIS3_Lb0ELb0EPlS7_ZN2at6native12_GLOBAL__N_124unique_dim_cuda_templateIsEESt5tupleIJNS8_6TensorESD_SD_EERKSD_lbbbEUlllE1_EE10hipError_tPvRmT2_T3_mT4_P12ihipStream_tbEUlT_E_NS1_11comp_targetILNS1_3genE8ELNS1_11target_archE1030ELNS1_3gpuE2ELNS1_3repE0EEENS1_30default_config_static_selectorELNS0_4arch9wavefront6targetE0EEEvT1_.kd
    .uniform_work_group_size: 1
    .uses_dynamic_stack: false
    .vgpr_count:     0
    .vgpr_spill_count: 0
    .wavefront_size: 32
    .workgroup_processor_mode: 1
  - .args:
      - .offset:         0
        .size:           56
        .value_kind:     by_value
    .group_segment_fixed_size: 0
    .kernarg_segment_align: 8
    .kernarg_segment_size: 56
    .language:       OpenCL C
    .language_version:
      - 2
      - 0
    .max_flat_workgroup_size: 128
    .name:           _ZN7rocprim17ROCPRIM_400000_NS6detail17trampoline_kernelINS0_14default_configENS1_25transform_config_selectorIlLb0EEEZNS1_14transform_implILb0ES3_S5_NS0_18transform_iteratorINS0_17counting_iteratorImlEEZNS1_24adjacent_difference_implIS3_Lb1ELb0EPlSB_ZN2at6native12_GLOBAL__N_124unique_dim_cuda_templateIsEESt5tupleIJNSC_6TensorESH_SH_EERKSH_lbbbEUlllE1_EE10hipError_tPvRmT2_T3_mT4_P12ihipStream_tbEUlmE_lEESB_NS0_8identityIvEEEESM_SP_SQ_mSR_ST_bEUlT_E_NS1_11comp_targetILNS1_3genE0ELNS1_11target_archE4294967295ELNS1_3gpuE0ELNS1_3repE0EEENS1_30default_config_static_selectorELNS0_4arch9wavefront6targetE0EEEvT1_
    .private_segment_fixed_size: 0
    .sgpr_count:     0
    .sgpr_spill_count: 0
    .symbol:         _ZN7rocprim17ROCPRIM_400000_NS6detail17trampoline_kernelINS0_14default_configENS1_25transform_config_selectorIlLb0EEEZNS1_14transform_implILb0ES3_S5_NS0_18transform_iteratorINS0_17counting_iteratorImlEEZNS1_24adjacent_difference_implIS3_Lb1ELb0EPlSB_ZN2at6native12_GLOBAL__N_124unique_dim_cuda_templateIsEESt5tupleIJNSC_6TensorESH_SH_EERKSH_lbbbEUlllE1_EE10hipError_tPvRmT2_T3_mT4_P12ihipStream_tbEUlmE_lEESB_NS0_8identityIvEEEESM_SP_SQ_mSR_ST_bEUlT_E_NS1_11comp_targetILNS1_3genE0ELNS1_11target_archE4294967295ELNS1_3gpuE0ELNS1_3repE0EEENS1_30default_config_static_selectorELNS0_4arch9wavefront6targetE0EEEvT1_.kd
    .uniform_work_group_size: 1
    .uses_dynamic_stack: false
    .vgpr_count:     0
    .vgpr_spill_count: 0
    .wavefront_size: 32
    .workgroup_processor_mode: 1
  - .args:
      - .offset:         0
        .size:           56
        .value_kind:     by_value
    .group_segment_fixed_size: 0
    .kernarg_segment_align: 8
    .kernarg_segment_size: 56
    .language:       OpenCL C
    .language_version:
      - 2
      - 0
    .max_flat_workgroup_size: 512
    .name:           _ZN7rocprim17ROCPRIM_400000_NS6detail17trampoline_kernelINS0_14default_configENS1_25transform_config_selectorIlLb0EEEZNS1_14transform_implILb0ES3_S5_NS0_18transform_iteratorINS0_17counting_iteratorImlEEZNS1_24adjacent_difference_implIS3_Lb1ELb0EPlSB_ZN2at6native12_GLOBAL__N_124unique_dim_cuda_templateIsEESt5tupleIJNSC_6TensorESH_SH_EERKSH_lbbbEUlllE1_EE10hipError_tPvRmT2_T3_mT4_P12ihipStream_tbEUlmE_lEESB_NS0_8identityIvEEEESM_SP_SQ_mSR_ST_bEUlT_E_NS1_11comp_targetILNS1_3genE5ELNS1_11target_archE942ELNS1_3gpuE9ELNS1_3repE0EEENS1_30default_config_static_selectorELNS0_4arch9wavefront6targetE0EEEvT1_
    .private_segment_fixed_size: 0
    .sgpr_count:     0
    .sgpr_spill_count: 0
    .symbol:         _ZN7rocprim17ROCPRIM_400000_NS6detail17trampoline_kernelINS0_14default_configENS1_25transform_config_selectorIlLb0EEEZNS1_14transform_implILb0ES3_S5_NS0_18transform_iteratorINS0_17counting_iteratorImlEEZNS1_24adjacent_difference_implIS3_Lb1ELb0EPlSB_ZN2at6native12_GLOBAL__N_124unique_dim_cuda_templateIsEESt5tupleIJNSC_6TensorESH_SH_EERKSH_lbbbEUlllE1_EE10hipError_tPvRmT2_T3_mT4_P12ihipStream_tbEUlmE_lEESB_NS0_8identityIvEEEESM_SP_SQ_mSR_ST_bEUlT_E_NS1_11comp_targetILNS1_3genE5ELNS1_11target_archE942ELNS1_3gpuE9ELNS1_3repE0EEENS1_30default_config_static_selectorELNS0_4arch9wavefront6targetE0EEEvT1_.kd
    .uniform_work_group_size: 1
    .uses_dynamic_stack: false
    .vgpr_count:     0
    .vgpr_spill_count: 0
    .wavefront_size: 32
    .workgroup_processor_mode: 1
  - .args:
      - .offset:         0
        .size:           56
        .value_kind:     by_value
    .group_segment_fixed_size: 0
    .kernarg_segment_align: 8
    .kernarg_segment_size: 56
    .language:       OpenCL C
    .language_version:
      - 2
      - 0
    .max_flat_workgroup_size: 256
    .name:           _ZN7rocprim17ROCPRIM_400000_NS6detail17trampoline_kernelINS0_14default_configENS1_25transform_config_selectorIlLb0EEEZNS1_14transform_implILb0ES3_S5_NS0_18transform_iteratorINS0_17counting_iteratorImlEEZNS1_24adjacent_difference_implIS3_Lb1ELb0EPlSB_ZN2at6native12_GLOBAL__N_124unique_dim_cuda_templateIsEESt5tupleIJNSC_6TensorESH_SH_EERKSH_lbbbEUlllE1_EE10hipError_tPvRmT2_T3_mT4_P12ihipStream_tbEUlmE_lEESB_NS0_8identityIvEEEESM_SP_SQ_mSR_ST_bEUlT_E_NS1_11comp_targetILNS1_3genE4ELNS1_11target_archE910ELNS1_3gpuE8ELNS1_3repE0EEENS1_30default_config_static_selectorELNS0_4arch9wavefront6targetE0EEEvT1_
    .private_segment_fixed_size: 0
    .sgpr_count:     0
    .sgpr_spill_count: 0
    .symbol:         _ZN7rocprim17ROCPRIM_400000_NS6detail17trampoline_kernelINS0_14default_configENS1_25transform_config_selectorIlLb0EEEZNS1_14transform_implILb0ES3_S5_NS0_18transform_iteratorINS0_17counting_iteratorImlEEZNS1_24adjacent_difference_implIS3_Lb1ELb0EPlSB_ZN2at6native12_GLOBAL__N_124unique_dim_cuda_templateIsEESt5tupleIJNSC_6TensorESH_SH_EERKSH_lbbbEUlllE1_EE10hipError_tPvRmT2_T3_mT4_P12ihipStream_tbEUlmE_lEESB_NS0_8identityIvEEEESM_SP_SQ_mSR_ST_bEUlT_E_NS1_11comp_targetILNS1_3genE4ELNS1_11target_archE910ELNS1_3gpuE8ELNS1_3repE0EEENS1_30default_config_static_selectorELNS0_4arch9wavefront6targetE0EEEvT1_.kd
    .uniform_work_group_size: 1
    .uses_dynamic_stack: false
    .vgpr_count:     0
    .vgpr_spill_count: 0
    .wavefront_size: 32
    .workgroup_processor_mode: 1
  - .args:
      - .offset:         0
        .size:           56
        .value_kind:     by_value
    .group_segment_fixed_size: 0
    .kernarg_segment_align: 8
    .kernarg_segment_size: 56
    .language:       OpenCL C
    .language_version:
      - 2
      - 0
    .max_flat_workgroup_size: 128
    .name:           _ZN7rocprim17ROCPRIM_400000_NS6detail17trampoline_kernelINS0_14default_configENS1_25transform_config_selectorIlLb0EEEZNS1_14transform_implILb0ES3_S5_NS0_18transform_iteratorINS0_17counting_iteratorImlEEZNS1_24adjacent_difference_implIS3_Lb1ELb0EPlSB_ZN2at6native12_GLOBAL__N_124unique_dim_cuda_templateIsEESt5tupleIJNSC_6TensorESH_SH_EERKSH_lbbbEUlllE1_EE10hipError_tPvRmT2_T3_mT4_P12ihipStream_tbEUlmE_lEESB_NS0_8identityIvEEEESM_SP_SQ_mSR_ST_bEUlT_E_NS1_11comp_targetILNS1_3genE3ELNS1_11target_archE908ELNS1_3gpuE7ELNS1_3repE0EEENS1_30default_config_static_selectorELNS0_4arch9wavefront6targetE0EEEvT1_
    .private_segment_fixed_size: 0
    .sgpr_count:     0
    .sgpr_spill_count: 0
    .symbol:         _ZN7rocprim17ROCPRIM_400000_NS6detail17trampoline_kernelINS0_14default_configENS1_25transform_config_selectorIlLb0EEEZNS1_14transform_implILb0ES3_S5_NS0_18transform_iteratorINS0_17counting_iteratorImlEEZNS1_24adjacent_difference_implIS3_Lb1ELb0EPlSB_ZN2at6native12_GLOBAL__N_124unique_dim_cuda_templateIsEESt5tupleIJNSC_6TensorESH_SH_EERKSH_lbbbEUlllE1_EE10hipError_tPvRmT2_T3_mT4_P12ihipStream_tbEUlmE_lEESB_NS0_8identityIvEEEESM_SP_SQ_mSR_ST_bEUlT_E_NS1_11comp_targetILNS1_3genE3ELNS1_11target_archE908ELNS1_3gpuE7ELNS1_3repE0EEENS1_30default_config_static_selectorELNS0_4arch9wavefront6targetE0EEEvT1_.kd
    .uniform_work_group_size: 1
    .uses_dynamic_stack: false
    .vgpr_count:     0
    .vgpr_spill_count: 0
    .wavefront_size: 32
    .workgroup_processor_mode: 1
  - .args:
      - .offset:         0
        .size:           56
        .value_kind:     by_value
    .group_segment_fixed_size: 0
    .kernarg_segment_align: 8
    .kernarg_segment_size: 56
    .language:       OpenCL C
    .language_version:
      - 2
      - 0
    .max_flat_workgroup_size: 512
    .name:           _ZN7rocprim17ROCPRIM_400000_NS6detail17trampoline_kernelINS0_14default_configENS1_25transform_config_selectorIlLb0EEEZNS1_14transform_implILb0ES3_S5_NS0_18transform_iteratorINS0_17counting_iteratorImlEEZNS1_24adjacent_difference_implIS3_Lb1ELb0EPlSB_ZN2at6native12_GLOBAL__N_124unique_dim_cuda_templateIsEESt5tupleIJNSC_6TensorESH_SH_EERKSH_lbbbEUlllE1_EE10hipError_tPvRmT2_T3_mT4_P12ihipStream_tbEUlmE_lEESB_NS0_8identityIvEEEESM_SP_SQ_mSR_ST_bEUlT_E_NS1_11comp_targetILNS1_3genE2ELNS1_11target_archE906ELNS1_3gpuE6ELNS1_3repE0EEENS1_30default_config_static_selectorELNS0_4arch9wavefront6targetE0EEEvT1_
    .private_segment_fixed_size: 0
    .sgpr_count:     0
    .sgpr_spill_count: 0
    .symbol:         _ZN7rocprim17ROCPRIM_400000_NS6detail17trampoline_kernelINS0_14default_configENS1_25transform_config_selectorIlLb0EEEZNS1_14transform_implILb0ES3_S5_NS0_18transform_iteratorINS0_17counting_iteratorImlEEZNS1_24adjacent_difference_implIS3_Lb1ELb0EPlSB_ZN2at6native12_GLOBAL__N_124unique_dim_cuda_templateIsEESt5tupleIJNSC_6TensorESH_SH_EERKSH_lbbbEUlllE1_EE10hipError_tPvRmT2_T3_mT4_P12ihipStream_tbEUlmE_lEESB_NS0_8identityIvEEEESM_SP_SQ_mSR_ST_bEUlT_E_NS1_11comp_targetILNS1_3genE2ELNS1_11target_archE906ELNS1_3gpuE6ELNS1_3repE0EEENS1_30default_config_static_selectorELNS0_4arch9wavefront6targetE0EEEvT1_.kd
    .uniform_work_group_size: 1
    .uses_dynamic_stack: false
    .vgpr_count:     0
    .vgpr_spill_count: 0
    .wavefront_size: 32
    .workgroup_processor_mode: 1
  - .args:
      - .offset:         0
        .size:           56
        .value_kind:     by_value
    .group_segment_fixed_size: 0
    .kernarg_segment_align: 8
    .kernarg_segment_size: 56
    .language:       OpenCL C
    .language_version:
      - 2
      - 0
    .max_flat_workgroup_size: 1024
    .name:           _ZN7rocprim17ROCPRIM_400000_NS6detail17trampoline_kernelINS0_14default_configENS1_25transform_config_selectorIlLb0EEEZNS1_14transform_implILb0ES3_S5_NS0_18transform_iteratorINS0_17counting_iteratorImlEEZNS1_24adjacent_difference_implIS3_Lb1ELb0EPlSB_ZN2at6native12_GLOBAL__N_124unique_dim_cuda_templateIsEESt5tupleIJNSC_6TensorESH_SH_EERKSH_lbbbEUlllE1_EE10hipError_tPvRmT2_T3_mT4_P12ihipStream_tbEUlmE_lEESB_NS0_8identityIvEEEESM_SP_SQ_mSR_ST_bEUlT_E_NS1_11comp_targetILNS1_3genE10ELNS1_11target_archE1201ELNS1_3gpuE5ELNS1_3repE0EEENS1_30default_config_static_selectorELNS0_4arch9wavefront6targetE0EEEvT1_
    .private_segment_fixed_size: 0
    .sgpr_count:     0
    .sgpr_spill_count: 0
    .symbol:         _ZN7rocprim17ROCPRIM_400000_NS6detail17trampoline_kernelINS0_14default_configENS1_25transform_config_selectorIlLb0EEEZNS1_14transform_implILb0ES3_S5_NS0_18transform_iteratorINS0_17counting_iteratorImlEEZNS1_24adjacent_difference_implIS3_Lb1ELb0EPlSB_ZN2at6native12_GLOBAL__N_124unique_dim_cuda_templateIsEESt5tupleIJNSC_6TensorESH_SH_EERKSH_lbbbEUlllE1_EE10hipError_tPvRmT2_T3_mT4_P12ihipStream_tbEUlmE_lEESB_NS0_8identityIvEEEESM_SP_SQ_mSR_ST_bEUlT_E_NS1_11comp_targetILNS1_3genE10ELNS1_11target_archE1201ELNS1_3gpuE5ELNS1_3repE0EEENS1_30default_config_static_selectorELNS0_4arch9wavefront6targetE0EEEvT1_.kd
    .uniform_work_group_size: 1
    .uses_dynamic_stack: false
    .vgpr_count:     0
    .vgpr_spill_count: 0
    .wavefront_size: 32
    .workgroup_processor_mode: 1
  - .args:
      - .offset:         0
        .size:           56
        .value_kind:     by_value
    .group_segment_fixed_size: 0
    .kernarg_segment_align: 8
    .kernarg_segment_size: 56
    .language:       OpenCL C
    .language_version:
      - 2
      - 0
    .max_flat_workgroup_size: 512
    .name:           _ZN7rocprim17ROCPRIM_400000_NS6detail17trampoline_kernelINS0_14default_configENS1_25transform_config_selectorIlLb0EEEZNS1_14transform_implILb0ES3_S5_NS0_18transform_iteratorINS0_17counting_iteratorImlEEZNS1_24adjacent_difference_implIS3_Lb1ELb0EPlSB_ZN2at6native12_GLOBAL__N_124unique_dim_cuda_templateIsEESt5tupleIJNSC_6TensorESH_SH_EERKSH_lbbbEUlllE1_EE10hipError_tPvRmT2_T3_mT4_P12ihipStream_tbEUlmE_lEESB_NS0_8identityIvEEEESM_SP_SQ_mSR_ST_bEUlT_E_NS1_11comp_targetILNS1_3genE10ELNS1_11target_archE1200ELNS1_3gpuE4ELNS1_3repE0EEENS1_30default_config_static_selectorELNS0_4arch9wavefront6targetE0EEEvT1_
    .private_segment_fixed_size: 0
    .sgpr_count:     0
    .sgpr_spill_count: 0
    .symbol:         _ZN7rocprim17ROCPRIM_400000_NS6detail17trampoline_kernelINS0_14default_configENS1_25transform_config_selectorIlLb0EEEZNS1_14transform_implILb0ES3_S5_NS0_18transform_iteratorINS0_17counting_iteratorImlEEZNS1_24adjacent_difference_implIS3_Lb1ELb0EPlSB_ZN2at6native12_GLOBAL__N_124unique_dim_cuda_templateIsEESt5tupleIJNSC_6TensorESH_SH_EERKSH_lbbbEUlllE1_EE10hipError_tPvRmT2_T3_mT4_P12ihipStream_tbEUlmE_lEESB_NS0_8identityIvEEEESM_SP_SQ_mSR_ST_bEUlT_E_NS1_11comp_targetILNS1_3genE10ELNS1_11target_archE1200ELNS1_3gpuE4ELNS1_3repE0EEENS1_30default_config_static_selectorELNS0_4arch9wavefront6targetE0EEEvT1_.kd
    .uniform_work_group_size: 1
    .uses_dynamic_stack: false
    .vgpr_count:     0
    .vgpr_spill_count: 0
    .wavefront_size: 32
    .workgroup_processor_mode: 1
  - .args:
      - .offset:         0
        .size:           56
        .value_kind:     by_value
      - .offset:         56
        .size:           4
        .value_kind:     hidden_block_count_x
      - .offset:         60
        .size:           4
        .value_kind:     hidden_block_count_y
      - .offset:         64
        .size:           4
        .value_kind:     hidden_block_count_z
      - .offset:         68
        .size:           2
        .value_kind:     hidden_group_size_x
      - .offset:         70
        .size:           2
        .value_kind:     hidden_group_size_y
      - .offset:         72
        .size:           2
        .value_kind:     hidden_group_size_z
      - .offset:         74
        .size:           2
        .value_kind:     hidden_remainder_x
      - .offset:         76
        .size:           2
        .value_kind:     hidden_remainder_y
      - .offset:         78
        .size:           2
        .value_kind:     hidden_remainder_z
      - .offset:         96
        .size:           8
        .value_kind:     hidden_global_offset_x
      - .offset:         104
        .size:           8
        .value_kind:     hidden_global_offset_y
      - .offset:         112
        .size:           8
        .value_kind:     hidden_global_offset_z
      - .offset:         120
        .size:           2
        .value_kind:     hidden_grid_dims
    .group_segment_fixed_size: 0
    .kernarg_segment_align: 8
    .kernarg_segment_size: 312
    .language:       OpenCL C
    .language_version:
      - 2
      - 0
    .max_flat_workgroup_size: 512
    .name:           _ZN7rocprim17ROCPRIM_400000_NS6detail17trampoline_kernelINS0_14default_configENS1_25transform_config_selectorIlLb0EEEZNS1_14transform_implILb0ES3_S5_NS0_18transform_iteratorINS0_17counting_iteratorImlEEZNS1_24adjacent_difference_implIS3_Lb1ELb0EPlSB_ZN2at6native12_GLOBAL__N_124unique_dim_cuda_templateIsEESt5tupleIJNSC_6TensorESH_SH_EERKSH_lbbbEUlllE1_EE10hipError_tPvRmT2_T3_mT4_P12ihipStream_tbEUlmE_lEESB_NS0_8identityIvEEEESM_SP_SQ_mSR_ST_bEUlT_E_NS1_11comp_targetILNS1_3genE9ELNS1_11target_archE1100ELNS1_3gpuE3ELNS1_3repE0EEENS1_30default_config_static_selectorELNS0_4arch9wavefront6targetE0EEEvT1_
    .private_segment_fixed_size: 0
    .sgpr_count:     18
    .sgpr_spill_count: 0
    .symbol:         _ZN7rocprim17ROCPRIM_400000_NS6detail17trampoline_kernelINS0_14default_configENS1_25transform_config_selectorIlLb0EEEZNS1_14transform_implILb0ES3_S5_NS0_18transform_iteratorINS0_17counting_iteratorImlEEZNS1_24adjacent_difference_implIS3_Lb1ELb0EPlSB_ZN2at6native12_GLOBAL__N_124unique_dim_cuda_templateIsEESt5tupleIJNSC_6TensorESH_SH_EERKSH_lbbbEUlllE1_EE10hipError_tPvRmT2_T3_mT4_P12ihipStream_tbEUlmE_lEESB_NS0_8identityIvEEEESM_SP_SQ_mSR_ST_bEUlT_E_NS1_11comp_targetILNS1_3genE9ELNS1_11target_archE1100ELNS1_3gpuE3ELNS1_3repE0EEENS1_30default_config_static_selectorELNS0_4arch9wavefront6targetE0EEEvT1_.kd
    .uniform_work_group_size: 1
    .uses_dynamic_stack: false
    .vgpr_count:     6
    .vgpr_spill_count: 0
    .wavefront_size: 32
    .workgroup_processor_mode: 1
  - .args:
      - .offset:         0
        .size:           56
        .value_kind:     by_value
    .group_segment_fixed_size: 0
    .kernarg_segment_align: 8
    .kernarg_segment_size: 56
    .language:       OpenCL C
    .language_version:
      - 2
      - 0
    .max_flat_workgroup_size: 512
    .name:           _ZN7rocprim17ROCPRIM_400000_NS6detail17trampoline_kernelINS0_14default_configENS1_25transform_config_selectorIlLb0EEEZNS1_14transform_implILb0ES3_S5_NS0_18transform_iteratorINS0_17counting_iteratorImlEEZNS1_24adjacent_difference_implIS3_Lb1ELb0EPlSB_ZN2at6native12_GLOBAL__N_124unique_dim_cuda_templateIsEESt5tupleIJNSC_6TensorESH_SH_EERKSH_lbbbEUlllE1_EE10hipError_tPvRmT2_T3_mT4_P12ihipStream_tbEUlmE_lEESB_NS0_8identityIvEEEESM_SP_SQ_mSR_ST_bEUlT_E_NS1_11comp_targetILNS1_3genE8ELNS1_11target_archE1030ELNS1_3gpuE2ELNS1_3repE0EEENS1_30default_config_static_selectorELNS0_4arch9wavefront6targetE0EEEvT1_
    .private_segment_fixed_size: 0
    .sgpr_count:     0
    .sgpr_spill_count: 0
    .symbol:         _ZN7rocprim17ROCPRIM_400000_NS6detail17trampoline_kernelINS0_14default_configENS1_25transform_config_selectorIlLb0EEEZNS1_14transform_implILb0ES3_S5_NS0_18transform_iteratorINS0_17counting_iteratorImlEEZNS1_24adjacent_difference_implIS3_Lb1ELb0EPlSB_ZN2at6native12_GLOBAL__N_124unique_dim_cuda_templateIsEESt5tupleIJNSC_6TensorESH_SH_EERKSH_lbbbEUlllE1_EE10hipError_tPvRmT2_T3_mT4_P12ihipStream_tbEUlmE_lEESB_NS0_8identityIvEEEESM_SP_SQ_mSR_ST_bEUlT_E_NS1_11comp_targetILNS1_3genE8ELNS1_11target_archE1030ELNS1_3gpuE2ELNS1_3repE0EEENS1_30default_config_static_selectorELNS0_4arch9wavefront6targetE0EEEvT1_.kd
    .uniform_work_group_size: 1
    .uses_dynamic_stack: false
    .vgpr_count:     0
    .vgpr_spill_count: 0
    .wavefront_size: 32
    .workgroup_processor_mode: 1
  - .args:
      - .offset:         0
        .size:           64
        .value_kind:     by_value
    .group_segment_fixed_size: 0
    .kernarg_segment_align: 8
    .kernarg_segment_size: 64
    .language:       OpenCL C
    .language_version:
      - 2
      - 0
    .max_flat_workgroup_size: 512
    .name:           _ZN7rocprim17ROCPRIM_400000_NS6detail17trampoline_kernelINS0_14default_configENS1_35adjacent_difference_config_selectorILb1ElEEZNS1_24adjacent_difference_implIS3_Lb1ELb0EPlS7_ZN2at6native12_GLOBAL__N_124unique_dim_cuda_templateIsEESt5tupleIJNS8_6TensorESD_SD_EERKSD_lbbbEUlllE1_EE10hipError_tPvRmT2_T3_mT4_P12ihipStream_tbEUlT_E_NS1_11comp_targetILNS1_3genE0ELNS1_11target_archE4294967295ELNS1_3gpuE0ELNS1_3repE0EEENS1_30default_config_static_selectorELNS0_4arch9wavefront6targetE0EEEvT1_
    .private_segment_fixed_size: 0
    .sgpr_count:     0
    .sgpr_spill_count: 0
    .symbol:         _ZN7rocprim17ROCPRIM_400000_NS6detail17trampoline_kernelINS0_14default_configENS1_35adjacent_difference_config_selectorILb1ElEEZNS1_24adjacent_difference_implIS3_Lb1ELb0EPlS7_ZN2at6native12_GLOBAL__N_124unique_dim_cuda_templateIsEESt5tupleIJNS8_6TensorESD_SD_EERKSD_lbbbEUlllE1_EE10hipError_tPvRmT2_T3_mT4_P12ihipStream_tbEUlT_E_NS1_11comp_targetILNS1_3genE0ELNS1_11target_archE4294967295ELNS1_3gpuE0ELNS1_3repE0EEENS1_30default_config_static_selectorELNS0_4arch9wavefront6targetE0EEEvT1_.kd
    .uniform_work_group_size: 1
    .uses_dynamic_stack: false
    .vgpr_count:     0
    .vgpr_spill_count: 0
    .wavefront_size: 32
    .workgroup_processor_mode: 1
  - .args:
      - .offset:         0
        .size:           64
        .value_kind:     by_value
    .group_segment_fixed_size: 0
    .kernarg_segment_align: 8
    .kernarg_segment_size: 64
    .language:       OpenCL C
    .language_version:
      - 2
      - 0
    .max_flat_workgroup_size: 32
    .name:           _ZN7rocprim17ROCPRIM_400000_NS6detail17trampoline_kernelINS0_14default_configENS1_35adjacent_difference_config_selectorILb1ElEEZNS1_24adjacent_difference_implIS3_Lb1ELb0EPlS7_ZN2at6native12_GLOBAL__N_124unique_dim_cuda_templateIsEESt5tupleIJNS8_6TensorESD_SD_EERKSD_lbbbEUlllE1_EE10hipError_tPvRmT2_T3_mT4_P12ihipStream_tbEUlT_E_NS1_11comp_targetILNS1_3genE10ELNS1_11target_archE1201ELNS1_3gpuE5ELNS1_3repE0EEENS1_30default_config_static_selectorELNS0_4arch9wavefront6targetE0EEEvT1_
    .private_segment_fixed_size: 0
    .sgpr_count:     0
    .sgpr_spill_count: 0
    .symbol:         _ZN7rocprim17ROCPRIM_400000_NS6detail17trampoline_kernelINS0_14default_configENS1_35adjacent_difference_config_selectorILb1ElEEZNS1_24adjacent_difference_implIS3_Lb1ELb0EPlS7_ZN2at6native12_GLOBAL__N_124unique_dim_cuda_templateIsEESt5tupleIJNS8_6TensorESD_SD_EERKSD_lbbbEUlllE1_EE10hipError_tPvRmT2_T3_mT4_P12ihipStream_tbEUlT_E_NS1_11comp_targetILNS1_3genE10ELNS1_11target_archE1201ELNS1_3gpuE5ELNS1_3repE0EEENS1_30default_config_static_selectorELNS0_4arch9wavefront6targetE0EEEvT1_.kd
    .uniform_work_group_size: 1
    .uses_dynamic_stack: false
    .vgpr_count:     0
    .vgpr_spill_count: 0
    .wavefront_size: 32
    .workgroup_processor_mode: 1
  - .args:
      - .offset:         0
        .size:           64
        .value_kind:     by_value
    .group_segment_fixed_size: 0
    .kernarg_segment_align: 8
    .kernarg_segment_size: 64
    .language:       OpenCL C
    .language_version:
      - 2
      - 0
    .max_flat_workgroup_size: 256
    .name:           _ZN7rocprim17ROCPRIM_400000_NS6detail17trampoline_kernelINS0_14default_configENS1_35adjacent_difference_config_selectorILb1ElEEZNS1_24adjacent_difference_implIS3_Lb1ELb0EPlS7_ZN2at6native12_GLOBAL__N_124unique_dim_cuda_templateIsEESt5tupleIJNS8_6TensorESD_SD_EERKSD_lbbbEUlllE1_EE10hipError_tPvRmT2_T3_mT4_P12ihipStream_tbEUlT_E_NS1_11comp_targetILNS1_3genE5ELNS1_11target_archE942ELNS1_3gpuE9ELNS1_3repE0EEENS1_30default_config_static_selectorELNS0_4arch9wavefront6targetE0EEEvT1_
    .private_segment_fixed_size: 0
    .sgpr_count:     0
    .sgpr_spill_count: 0
    .symbol:         _ZN7rocprim17ROCPRIM_400000_NS6detail17trampoline_kernelINS0_14default_configENS1_35adjacent_difference_config_selectorILb1ElEEZNS1_24adjacent_difference_implIS3_Lb1ELb0EPlS7_ZN2at6native12_GLOBAL__N_124unique_dim_cuda_templateIsEESt5tupleIJNS8_6TensorESD_SD_EERKSD_lbbbEUlllE1_EE10hipError_tPvRmT2_T3_mT4_P12ihipStream_tbEUlT_E_NS1_11comp_targetILNS1_3genE5ELNS1_11target_archE942ELNS1_3gpuE9ELNS1_3repE0EEENS1_30default_config_static_selectorELNS0_4arch9wavefront6targetE0EEEvT1_.kd
    .uniform_work_group_size: 1
    .uses_dynamic_stack: false
    .vgpr_count:     0
    .vgpr_spill_count: 0
    .wavefront_size: 32
    .workgroup_processor_mode: 1
  - .args:
      - .offset:         0
        .size:           64
        .value_kind:     by_value
    .group_segment_fixed_size: 0
    .kernarg_segment_align: 8
    .kernarg_segment_size: 64
    .language:       OpenCL C
    .language_version:
      - 2
      - 0
    .max_flat_workgroup_size: 512
    .name:           _ZN7rocprim17ROCPRIM_400000_NS6detail17trampoline_kernelINS0_14default_configENS1_35adjacent_difference_config_selectorILb1ElEEZNS1_24adjacent_difference_implIS3_Lb1ELb0EPlS7_ZN2at6native12_GLOBAL__N_124unique_dim_cuda_templateIsEESt5tupleIJNS8_6TensorESD_SD_EERKSD_lbbbEUlllE1_EE10hipError_tPvRmT2_T3_mT4_P12ihipStream_tbEUlT_E_NS1_11comp_targetILNS1_3genE4ELNS1_11target_archE910ELNS1_3gpuE8ELNS1_3repE0EEENS1_30default_config_static_selectorELNS0_4arch9wavefront6targetE0EEEvT1_
    .private_segment_fixed_size: 0
    .sgpr_count:     0
    .sgpr_spill_count: 0
    .symbol:         _ZN7rocprim17ROCPRIM_400000_NS6detail17trampoline_kernelINS0_14default_configENS1_35adjacent_difference_config_selectorILb1ElEEZNS1_24adjacent_difference_implIS3_Lb1ELb0EPlS7_ZN2at6native12_GLOBAL__N_124unique_dim_cuda_templateIsEESt5tupleIJNS8_6TensorESD_SD_EERKSD_lbbbEUlllE1_EE10hipError_tPvRmT2_T3_mT4_P12ihipStream_tbEUlT_E_NS1_11comp_targetILNS1_3genE4ELNS1_11target_archE910ELNS1_3gpuE8ELNS1_3repE0EEENS1_30default_config_static_selectorELNS0_4arch9wavefront6targetE0EEEvT1_.kd
    .uniform_work_group_size: 1
    .uses_dynamic_stack: false
    .vgpr_count:     0
    .vgpr_spill_count: 0
    .wavefront_size: 32
    .workgroup_processor_mode: 1
  - .args:
      - .offset:         0
        .size:           64
        .value_kind:     by_value
    .group_segment_fixed_size: 0
    .kernarg_segment_align: 8
    .kernarg_segment_size: 64
    .language:       OpenCL C
    .language_version:
      - 2
      - 0
    .max_flat_workgroup_size: 512
    .name:           _ZN7rocprim17ROCPRIM_400000_NS6detail17trampoline_kernelINS0_14default_configENS1_35adjacent_difference_config_selectorILb1ElEEZNS1_24adjacent_difference_implIS3_Lb1ELb0EPlS7_ZN2at6native12_GLOBAL__N_124unique_dim_cuda_templateIsEESt5tupleIJNS8_6TensorESD_SD_EERKSD_lbbbEUlllE1_EE10hipError_tPvRmT2_T3_mT4_P12ihipStream_tbEUlT_E_NS1_11comp_targetILNS1_3genE3ELNS1_11target_archE908ELNS1_3gpuE7ELNS1_3repE0EEENS1_30default_config_static_selectorELNS0_4arch9wavefront6targetE0EEEvT1_
    .private_segment_fixed_size: 0
    .sgpr_count:     0
    .sgpr_spill_count: 0
    .symbol:         _ZN7rocprim17ROCPRIM_400000_NS6detail17trampoline_kernelINS0_14default_configENS1_35adjacent_difference_config_selectorILb1ElEEZNS1_24adjacent_difference_implIS3_Lb1ELb0EPlS7_ZN2at6native12_GLOBAL__N_124unique_dim_cuda_templateIsEESt5tupleIJNS8_6TensorESD_SD_EERKSD_lbbbEUlllE1_EE10hipError_tPvRmT2_T3_mT4_P12ihipStream_tbEUlT_E_NS1_11comp_targetILNS1_3genE3ELNS1_11target_archE908ELNS1_3gpuE7ELNS1_3repE0EEENS1_30default_config_static_selectorELNS0_4arch9wavefront6targetE0EEEvT1_.kd
    .uniform_work_group_size: 1
    .uses_dynamic_stack: false
    .vgpr_count:     0
    .vgpr_spill_count: 0
    .wavefront_size: 32
    .workgroup_processor_mode: 1
  - .args:
      - .offset:         0
        .size:           64
        .value_kind:     by_value
    .group_segment_fixed_size: 0
    .kernarg_segment_align: 8
    .kernarg_segment_size: 64
    .language:       OpenCL C
    .language_version:
      - 2
      - 0
    .max_flat_workgroup_size: 128
    .name:           _ZN7rocprim17ROCPRIM_400000_NS6detail17trampoline_kernelINS0_14default_configENS1_35adjacent_difference_config_selectorILb1ElEEZNS1_24adjacent_difference_implIS3_Lb1ELb0EPlS7_ZN2at6native12_GLOBAL__N_124unique_dim_cuda_templateIsEESt5tupleIJNS8_6TensorESD_SD_EERKSD_lbbbEUlllE1_EE10hipError_tPvRmT2_T3_mT4_P12ihipStream_tbEUlT_E_NS1_11comp_targetILNS1_3genE2ELNS1_11target_archE906ELNS1_3gpuE6ELNS1_3repE0EEENS1_30default_config_static_selectorELNS0_4arch9wavefront6targetE0EEEvT1_
    .private_segment_fixed_size: 0
    .sgpr_count:     0
    .sgpr_spill_count: 0
    .symbol:         _ZN7rocprim17ROCPRIM_400000_NS6detail17trampoline_kernelINS0_14default_configENS1_35adjacent_difference_config_selectorILb1ElEEZNS1_24adjacent_difference_implIS3_Lb1ELb0EPlS7_ZN2at6native12_GLOBAL__N_124unique_dim_cuda_templateIsEESt5tupleIJNS8_6TensorESD_SD_EERKSD_lbbbEUlllE1_EE10hipError_tPvRmT2_T3_mT4_P12ihipStream_tbEUlT_E_NS1_11comp_targetILNS1_3genE2ELNS1_11target_archE906ELNS1_3gpuE6ELNS1_3repE0EEENS1_30default_config_static_selectorELNS0_4arch9wavefront6targetE0EEEvT1_.kd
    .uniform_work_group_size: 1
    .uses_dynamic_stack: false
    .vgpr_count:     0
    .vgpr_spill_count: 0
    .wavefront_size: 32
    .workgroup_processor_mode: 1
  - .args:
      - .offset:         0
        .size:           64
        .value_kind:     by_value
    .group_segment_fixed_size: 29696
    .kernarg_segment_align: 8
    .kernarg_segment_size: 64
    .language:       OpenCL C
    .language_version:
      - 2
      - 0
    .max_flat_workgroup_size: 128
    .name:           _ZN7rocprim17ROCPRIM_400000_NS6detail17trampoline_kernelINS0_14default_configENS1_35adjacent_difference_config_selectorILb1ElEEZNS1_24adjacent_difference_implIS3_Lb1ELb0EPlS7_ZN2at6native12_GLOBAL__N_124unique_dim_cuda_templateIsEESt5tupleIJNS8_6TensorESD_SD_EERKSD_lbbbEUlllE1_EE10hipError_tPvRmT2_T3_mT4_P12ihipStream_tbEUlT_E_NS1_11comp_targetILNS1_3genE9ELNS1_11target_archE1100ELNS1_3gpuE3ELNS1_3repE0EEENS1_30default_config_static_selectorELNS0_4arch9wavefront6targetE0EEEvT1_
    .private_segment_fixed_size: 0
    .sgpr_count:     32
    .sgpr_spill_count: 0
    .symbol:         _ZN7rocprim17ROCPRIM_400000_NS6detail17trampoline_kernelINS0_14default_configENS1_35adjacent_difference_config_selectorILb1ElEEZNS1_24adjacent_difference_implIS3_Lb1ELb0EPlS7_ZN2at6native12_GLOBAL__N_124unique_dim_cuda_templateIsEESt5tupleIJNS8_6TensorESD_SD_EERKSD_lbbbEUlllE1_EE10hipError_tPvRmT2_T3_mT4_P12ihipStream_tbEUlT_E_NS1_11comp_targetILNS1_3genE9ELNS1_11target_archE1100ELNS1_3gpuE3ELNS1_3repE0EEENS1_30default_config_static_selectorELNS0_4arch9wavefront6targetE0EEEvT1_.kd
    .uniform_work_group_size: 1
    .uses_dynamic_stack: false
    .vgpr_count:     196
    .vgpr_spill_count: 0
    .wavefront_size: 32
    .workgroup_processor_mode: 1
  - .args:
      - .offset:         0
        .size:           64
        .value_kind:     by_value
    .group_segment_fixed_size: 0
    .kernarg_segment_align: 8
    .kernarg_segment_size: 64
    .language:       OpenCL C
    .language_version:
      - 2
      - 0
    .max_flat_workgroup_size: 32
    .name:           _ZN7rocprim17ROCPRIM_400000_NS6detail17trampoline_kernelINS0_14default_configENS1_35adjacent_difference_config_selectorILb1ElEEZNS1_24adjacent_difference_implIS3_Lb1ELb0EPlS7_ZN2at6native12_GLOBAL__N_124unique_dim_cuda_templateIsEESt5tupleIJNS8_6TensorESD_SD_EERKSD_lbbbEUlllE1_EE10hipError_tPvRmT2_T3_mT4_P12ihipStream_tbEUlT_E_NS1_11comp_targetILNS1_3genE8ELNS1_11target_archE1030ELNS1_3gpuE2ELNS1_3repE0EEENS1_30default_config_static_selectorELNS0_4arch9wavefront6targetE0EEEvT1_
    .private_segment_fixed_size: 0
    .sgpr_count:     0
    .sgpr_spill_count: 0
    .symbol:         _ZN7rocprim17ROCPRIM_400000_NS6detail17trampoline_kernelINS0_14default_configENS1_35adjacent_difference_config_selectorILb1ElEEZNS1_24adjacent_difference_implIS3_Lb1ELb0EPlS7_ZN2at6native12_GLOBAL__N_124unique_dim_cuda_templateIsEESt5tupleIJNS8_6TensorESD_SD_EERKSD_lbbbEUlllE1_EE10hipError_tPvRmT2_T3_mT4_P12ihipStream_tbEUlT_E_NS1_11comp_targetILNS1_3genE8ELNS1_11target_archE1030ELNS1_3gpuE2ELNS1_3repE0EEENS1_30default_config_static_selectorELNS0_4arch9wavefront6targetE0EEEvT1_.kd
    .uniform_work_group_size: 1
    .uses_dynamic_stack: false
    .vgpr_count:     0
    .vgpr_spill_count: 0
    .wavefront_size: 32
    .workgroup_processor_mode: 1
  - .args:
      - .offset:         0
        .size:           120
        .value_kind:     by_value
    .group_segment_fixed_size: 0
    .kernarg_segment_align: 8
    .kernarg_segment_size: 120
    .language:       OpenCL C
    .language_version:
      - 2
      - 0
    .max_flat_workgroup_size: 512
    .name:           _ZN7rocprim17ROCPRIM_400000_NS6detail17trampoline_kernelINS0_14default_configENS1_25partition_config_selectorILNS1_17partition_subalgoE8ElNS0_10empty_typeEbEEZZNS1_14partition_implILS5_8ELb0ES3_jPlPS6_PKS6_NS0_5tupleIJS9_S6_EEENSD_IJSA_SA_EEENS0_18inequality_wrapperIZN2at6native12_GLOBAL__N_124unique_dim_cuda_templateIsEESt5tupleIJNSH_6TensorESM_SM_EERKSM_lbbbEUlllE0_EEPmJS6_EEE10hipError_tPvRmT3_T4_T5_T6_T7_T9_mT8_P12ihipStream_tbDpT10_ENKUlT_T0_E_clISt17integral_constantIbLb0EES1C_EEDaS17_S18_EUlS17_E_NS1_11comp_targetILNS1_3genE0ELNS1_11target_archE4294967295ELNS1_3gpuE0ELNS1_3repE0EEENS1_30default_config_static_selectorELNS0_4arch9wavefront6targetE0EEEvT1_
    .private_segment_fixed_size: 0
    .sgpr_count:     0
    .sgpr_spill_count: 0
    .symbol:         _ZN7rocprim17ROCPRIM_400000_NS6detail17trampoline_kernelINS0_14default_configENS1_25partition_config_selectorILNS1_17partition_subalgoE8ElNS0_10empty_typeEbEEZZNS1_14partition_implILS5_8ELb0ES3_jPlPS6_PKS6_NS0_5tupleIJS9_S6_EEENSD_IJSA_SA_EEENS0_18inequality_wrapperIZN2at6native12_GLOBAL__N_124unique_dim_cuda_templateIsEESt5tupleIJNSH_6TensorESM_SM_EERKSM_lbbbEUlllE0_EEPmJS6_EEE10hipError_tPvRmT3_T4_T5_T6_T7_T9_mT8_P12ihipStream_tbDpT10_ENKUlT_T0_E_clISt17integral_constantIbLb0EES1C_EEDaS17_S18_EUlS17_E_NS1_11comp_targetILNS1_3genE0ELNS1_11target_archE4294967295ELNS1_3gpuE0ELNS1_3repE0EEENS1_30default_config_static_selectorELNS0_4arch9wavefront6targetE0EEEvT1_.kd
    .uniform_work_group_size: 1
    .uses_dynamic_stack: false
    .vgpr_count:     0
    .vgpr_spill_count: 0
    .wavefront_size: 32
    .workgroup_processor_mode: 1
  - .args:
      - .offset:         0
        .size:           120
        .value_kind:     by_value
    .group_segment_fixed_size: 0
    .kernarg_segment_align: 8
    .kernarg_segment_size: 120
    .language:       OpenCL C
    .language_version:
      - 2
      - 0
    .max_flat_workgroup_size: 512
    .name:           _ZN7rocprim17ROCPRIM_400000_NS6detail17trampoline_kernelINS0_14default_configENS1_25partition_config_selectorILNS1_17partition_subalgoE8ElNS0_10empty_typeEbEEZZNS1_14partition_implILS5_8ELb0ES3_jPlPS6_PKS6_NS0_5tupleIJS9_S6_EEENSD_IJSA_SA_EEENS0_18inequality_wrapperIZN2at6native12_GLOBAL__N_124unique_dim_cuda_templateIsEESt5tupleIJNSH_6TensorESM_SM_EERKSM_lbbbEUlllE0_EEPmJS6_EEE10hipError_tPvRmT3_T4_T5_T6_T7_T9_mT8_P12ihipStream_tbDpT10_ENKUlT_T0_E_clISt17integral_constantIbLb0EES1C_EEDaS17_S18_EUlS17_E_NS1_11comp_targetILNS1_3genE5ELNS1_11target_archE942ELNS1_3gpuE9ELNS1_3repE0EEENS1_30default_config_static_selectorELNS0_4arch9wavefront6targetE0EEEvT1_
    .private_segment_fixed_size: 0
    .sgpr_count:     0
    .sgpr_spill_count: 0
    .symbol:         _ZN7rocprim17ROCPRIM_400000_NS6detail17trampoline_kernelINS0_14default_configENS1_25partition_config_selectorILNS1_17partition_subalgoE8ElNS0_10empty_typeEbEEZZNS1_14partition_implILS5_8ELb0ES3_jPlPS6_PKS6_NS0_5tupleIJS9_S6_EEENSD_IJSA_SA_EEENS0_18inequality_wrapperIZN2at6native12_GLOBAL__N_124unique_dim_cuda_templateIsEESt5tupleIJNSH_6TensorESM_SM_EERKSM_lbbbEUlllE0_EEPmJS6_EEE10hipError_tPvRmT3_T4_T5_T6_T7_T9_mT8_P12ihipStream_tbDpT10_ENKUlT_T0_E_clISt17integral_constantIbLb0EES1C_EEDaS17_S18_EUlS17_E_NS1_11comp_targetILNS1_3genE5ELNS1_11target_archE942ELNS1_3gpuE9ELNS1_3repE0EEENS1_30default_config_static_selectorELNS0_4arch9wavefront6targetE0EEEvT1_.kd
    .uniform_work_group_size: 1
    .uses_dynamic_stack: false
    .vgpr_count:     0
    .vgpr_spill_count: 0
    .wavefront_size: 32
    .workgroup_processor_mode: 1
  - .args:
      - .offset:         0
        .size:           120
        .value_kind:     by_value
    .group_segment_fixed_size: 0
    .kernarg_segment_align: 8
    .kernarg_segment_size: 120
    .language:       OpenCL C
    .language_version:
      - 2
      - 0
    .max_flat_workgroup_size: 256
    .name:           _ZN7rocprim17ROCPRIM_400000_NS6detail17trampoline_kernelINS0_14default_configENS1_25partition_config_selectorILNS1_17partition_subalgoE8ElNS0_10empty_typeEbEEZZNS1_14partition_implILS5_8ELb0ES3_jPlPS6_PKS6_NS0_5tupleIJS9_S6_EEENSD_IJSA_SA_EEENS0_18inequality_wrapperIZN2at6native12_GLOBAL__N_124unique_dim_cuda_templateIsEESt5tupleIJNSH_6TensorESM_SM_EERKSM_lbbbEUlllE0_EEPmJS6_EEE10hipError_tPvRmT3_T4_T5_T6_T7_T9_mT8_P12ihipStream_tbDpT10_ENKUlT_T0_E_clISt17integral_constantIbLb0EES1C_EEDaS17_S18_EUlS17_E_NS1_11comp_targetILNS1_3genE4ELNS1_11target_archE910ELNS1_3gpuE8ELNS1_3repE0EEENS1_30default_config_static_selectorELNS0_4arch9wavefront6targetE0EEEvT1_
    .private_segment_fixed_size: 0
    .sgpr_count:     0
    .sgpr_spill_count: 0
    .symbol:         _ZN7rocprim17ROCPRIM_400000_NS6detail17trampoline_kernelINS0_14default_configENS1_25partition_config_selectorILNS1_17partition_subalgoE8ElNS0_10empty_typeEbEEZZNS1_14partition_implILS5_8ELb0ES3_jPlPS6_PKS6_NS0_5tupleIJS9_S6_EEENSD_IJSA_SA_EEENS0_18inequality_wrapperIZN2at6native12_GLOBAL__N_124unique_dim_cuda_templateIsEESt5tupleIJNSH_6TensorESM_SM_EERKSM_lbbbEUlllE0_EEPmJS6_EEE10hipError_tPvRmT3_T4_T5_T6_T7_T9_mT8_P12ihipStream_tbDpT10_ENKUlT_T0_E_clISt17integral_constantIbLb0EES1C_EEDaS17_S18_EUlS17_E_NS1_11comp_targetILNS1_3genE4ELNS1_11target_archE910ELNS1_3gpuE8ELNS1_3repE0EEENS1_30default_config_static_selectorELNS0_4arch9wavefront6targetE0EEEvT1_.kd
    .uniform_work_group_size: 1
    .uses_dynamic_stack: false
    .vgpr_count:     0
    .vgpr_spill_count: 0
    .wavefront_size: 32
    .workgroup_processor_mode: 1
  - .args:
      - .offset:         0
        .size:           120
        .value_kind:     by_value
    .group_segment_fixed_size: 0
    .kernarg_segment_align: 8
    .kernarg_segment_size: 120
    .language:       OpenCL C
    .language_version:
      - 2
      - 0
    .max_flat_workgroup_size: 512
    .name:           _ZN7rocprim17ROCPRIM_400000_NS6detail17trampoline_kernelINS0_14default_configENS1_25partition_config_selectorILNS1_17partition_subalgoE8ElNS0_10empty_typeEbEEZZNS1_14partition_implILS5_8ELb0ES3_jPlPS6_PKS6_NS0_5tupleIJS9_S6_EEENSD_IJSA_SA_EEENS0_18inequality_wrapperIZN2at6native12_GLOBAL__N_124unique_dim_cuda_templateIsEESt5tupleIJNSH_6TensorESM_SM_EERKSM_lbbbEUlllE0_EEPmJS6_EEE10hipError_tPvRmT3_T4_T5_T6_T7_T9_mT8_P12ihipStream_tbDpT10_ENKUlT_T0_E_clISt17integral_constantIbLb0EES1C_EEDaS17_S18_EUlS17_E_NS1_11comp_targetILNS1_3genE3ELNS1_11target_archE908ELNS1_3gpuE7ELNS1_3repE0EEENS1_30default_config_static_selectorELNS0_4arch9wavefront6targetE0EEEvT1_
    .private_segment_fixed_size: 0
    .sgpr_count:     0
    .sgpr_spill_count: 0
    .symbol:         _ZN7rocprim17ROCPRIM_400000_NS6detail17trampoline_kernelINS0_14default_configENS1_25partition_config_selectorILNS1_17partition_subalgoE8ElNS0_10empty_typeEbEEZZNS1_14partition_implILS5_8ELb0ES3_jPlPS6_PKS6_NS0_5tupleIJS9_S6_EEENSD_IJSA_SA_EEENS0_18inequality_wrapperIZN2at6native12_GLOBAL__N_124unique_dim_cuda_templateIsEESt5tupleIJNSH_6TensorESM_SM_EERKSM_lbbbEUlllE0_EEPmJS6_EEE10hipError_tPvRmT3_T4_T5_T6_T7_T9_mT8_P12ihipStream_tbDpT10_ENKUlT_T0_E_clISt17integral_constantIbLb0EES1C_EEDaS17_S18_EUlS17_E_NS1_11comp_targetILNS1_3genE3ELNS1_11target_archE908ELNS1_3gpuE7ELNS1_3repE0EEENS1_30default_config_static_selectorELNS0_4arch9wavefront6targetE0EEEvT1_.kd
    .uniform_work_group_size: 1
    .uses_dynamic_stack: false
    .vgpr_count:     0
    .vgpr_spill_count: 0
    .wavefront_size: 32
    .workgroup_processor_mode: 1
  - .args:
      - .offset:         0
        .size:           120
        .value_kind:     by_value
    .group_segment_fixed_size: 0
    .kernarg_segment_align: 8
    .kernarg_segment_size: 120
    .language:       OpenCL C
    .language_version:
      - 2
      - 0
    .max_flat_workgroup_size: 256
    .name:           _ZN7rocprim17ROCPRIM_400000_NS6detail17trampoline_kernelINS0_14default_configENS1_25partition_config_selectorILNS1_17partition_subalgoE8ElNS0_10empty_typeEbEEZZNS1_14partition_implILS5_8ELb0ES3_jPlPS6_PKS6_NS0_5tupleIJS9_S6_EEENSD_IJSA_SA_EEENS0_18inequality_wrapperIZN2at6native12_GLOBAL__N_124unique_dim_cuda_templateIsEESt5tupleIJNSH_6TensorESM_SM_EERKSM_lbbbEUlllE0_EEPmJS6_EEE10hipError_tPvRmT3_T4_T5_T6_T7_T9_mT8_P12ihipStream_tbDpT10_ENKUlT_T0_E_clISt17integral_constantIbLb0EES1C_EEDaS17_S18_EUlS17_E_NS1_11comp_targetILNS1_3genE2ELNS1_11target_archE906ELNS1_3gpuE6ELNS1_3repE0EEENS1_30default_config_static_selectorELNS0_4arch9wavefront6targetE0EEEvT1_
    .private_segment_fixed_size: 0
    .sgpr_count:     0
    .sgpr_spill_count: 0
    .symbol:         _ZN7rocprim17ROCPRIM_400000_NS6detail17trampoline_kernelINS0_14default_configENS1_25partition_config_selectorILNS1_17partition_subalgoE8ElNS0_10empty_typeEbEEZZNS1_14partition_implILS5_8ELb0ES3_jPlPS6_PKS6_NS0_5tupleIJS9_S6_EEENSD_IJSA_SA_EEENS0_18inequality_wrapperIZN2at6native12_GLOBAL__N_124unique_dim_cuda_templateIsEESt5tupleIJNSH_6TensorESM_SM_EERKSM_lbbbEUlllE0_EEPmJS6_EEE10hipError_tPvRmT3_T4_T5_T6_T7_T9_mT8_P12ihipStream_tbDpT10_ENKUlT_T0_E_clISt17integral_constantIbLb0EES1C_EEDaS17_S18_EUlS17_E_NS1_11comp_targetILNS1_3genE2ELNS1_11target_archE906ELNS1_3gpuE6ELNS1_3repE0EEENS1_30default_config_static_selectorELNS0_4arch9wavefront6targetE0EEEvT1_.kd
    .uniform_work_group_size: 1
    .uses_dynamic_stack: false
    .vgpr_count:     0
    .vgpr_spill_count: 0
    .wavefront_size: 32
    .workgroup_processor_mode: 1
  - .args:
      - .offset:         0
        .size:           120
        .value_kind:     by_value
    .group_segment_fixed_size: 0
    .kernarg_segment_align: 8
    .kernarg_segment_size: 120
    .language:       OpenCL C
    .language_version:
      - 2
      - 0
    .max_flat_workgroup_size: 384
    .name:           _ZN7rocprim17ROCPRIM_400000_NS6detail17trampoline_kernelINS0_14default_configENS1_25partition_config_selectorILNS1_17partition_subalgoE8ElNS0_10empty_typeEbEEZZNS1_14partition_implILS5_8ELb0ES3_jPlPS6_PKS6_NS0_5tupleIJS9_S6_EEENSD_IJSA_SA_EEENS0_18inequality_wrapperIZN2at6native12_GLOBAL__N_124unique_dim_cuda_templateIsEESt5tupleIJNSH_6TensorESM_SM_EERKSM_lbbbEUlllE0_EEPmJS6_EEE10hipError_tPvRmT3_T4_T5_T6_T7_T9_mT8_P12ihipStream_tbDpT10_ENKUlT_T0_E_clISt17integral_constantIbLb0EES1C_EEDaS17_S18_EUlS17_E_NS1_11comp_targetILNS1_3genE10ELNS1_11target_archE1200ELNS1_3gpuE4ELNS1_3repE0EEENS1_30default_config_static_selectorELNS0_4arch9wavefront6targetE0EEEvT1_
    .private_segment_fixed_size: 0
    .sgpr_count:     0
    .sgpr_spill_count: 0
    .symbol:         _ZN7rocprim17ROCPRIM_400000_NS6detail17trampoline_kernelINS0_14default_configENS1_25partition_config_selectorILNS1_17partition_subalgoE8ElNS0_10empty_typeEbEEZZNS1_14partition_implILS5_8ELb0ES3_jPlPS6_PKS6_NS0_5tupleIJS9_S6_EEENSD_IJSA_SA_EEENS0_18inequality_wrapperIZN2at6native12_GLOBAL__N_124unique_dim_cuda_templateIsEESt5tupleIJNSH_6TensorESM_SM_EERKSM_lbbbEUlllE0_EEPmJS6_EEE10hipError_tPvRmT3_T4_T5_T6_T7_T9_mT8_P12ihipStream_tbDpT10_ENKUlT_T0_E_clISt17integral_constantIbLb0EES1C_EEDaS17_S18_EUlS17_E_NS1_11comp_targetILNS1_3genE10ELNS1_11target_archE1200ELNS1_3gpuE4ELNS1_3repE0EEENS1_30default_config_static_selectorELNS0_4arch9wavefront6targetE0EEEvT1_.kd
    .uniform_work_group_size: 1
    .uses_dynamic_stack: false
    .vgpr_count:     0
    .vgpr_spill_count: 0
    .wavefront_size: 32
    .workgroup_processor_mode: 1
  - .args:
      - .offset:         0
        .size:           120
        .value_kind:     by_value
    .group_segment_fixed_size: 33804
    .kernarg_segment_align: 8
    .kernarg_segment_size: 120
    .language:       OpenCL C
    .language_version:
      - 2
      - 0
    .max_flat_workgroup_size: 512
    .name:           _ZN7rocprim17ROCPRIM_400000_NS6detail17trampoline_kernelINS0_14default_configENS1_25partition_config_selectorILNS1_17partition_subalgoE8ElNS0_10empty_typeEbEEZZNS1_14partition_implILS5_8ELb0ES3_jPlPS6_PKS6_NS0_5tupleIJS9_S6_EEENSD_IJSA_SA_EEENS0_18inequality_wrapperIZN2at6native12_GLOBAL__N_124unique_dim_cuda_templateIsEESt5tupleIJNSH_6TensorESM_SM_EERKSM_lbbbEUlllE0_EEPmJS6_EEE10hipError_tPvRmT3_T4_T5_T6_T7_T9_mT8_P12ihipStream_tbDpT10_ENKUlT_T0_E_clISt17integral_constantIbLb0EES1C_EEDaS17_S18_EUlS17_E_NS1_11comp_targetILNS1_3genE9ELNS1_11target_archE1100ELNS1_3gpuE3ELNS1_3repE0EEENS1_30default_config_static_selectorELNS0_4arch9wavefront6targetE0EEEvT1_
    .private_segment_fixed_size: 0
    .sgpr_count:     38
    .sgpr_spill_count: 0
    .symbol:         _ZN7rocprim17ROCPRIM_400000_NS6detail17trampoline_kernelINS0_14default_configENS1_25partition_config_selectorILNS1_17partition_subalgoE8ElNS0_10empty_typeEbEEZZNS1_14partition_implILS5_8ELb0ES3_jPlPS6_PKS6_NS0_5tupleIJS9_S6_EEENSD_IJSA_SA_EEENS0_18inequality_wrapperIZN2at6native12_GLOBAL__N_124unique_dim_cuda_templateIsEESt5tupleIJNSH_6TensorESM_SM_EERKSM_lbbbEUlllE0_EEPmJS6_EEE10hipError_tPvRmT3_T4_T5_T6_T7_T9_mT8_P12ihipStream_tbDpT10_ENKUlT_T0_E_clISt17integral_constantIbLb0EES1C_EEDaS17_S18_EUlS17_E_NS1_11comp_targetILNS1_3genE9ELNS1_11target_archE1100ELNS1_3gpuE3ELNS1_3repE0EEENS1_30default_config_static_selectorELNS0_4arch9wavefront6targetE0EEEvT1_.kd
    .uniform_work_group_size: 1
    .uses_dynamic_stack: false
    .vgpr_count:     52
    .vgpr_spill_count: 0
    .wavefront_size: 32
    .workgroup_processor_mode: 1
  - .args:
      - .offset:         0
        .size:           120
        .value_kind:     by_value
    .group_segment_fixed_size: 0
    .kernarg_segment_align: 8
    .kernarg_segment_size: 120
    .language:       OpenCL C
    .language_version:
      - 2
      - 0
    .max_flat_workgroup_size: 512
    .name:           _ZN7rocprim17ROCPRIM_400000_NS6detail17trampoline_kernelINS0_14default_configENS1_25partition_config_selectorILNS1_17partition_subalgoE8ElNS0_10empty_typeEbEEZZNS1_14partition_implILS5_8ELb0ES3_jPlPS6_PKS6_NS0_5tupleIJS9_S6_EEENSD_IJSA_SA_EEENS0_18inequality_wrapperIZN2at6native12_GLOBAL__N_124unique_dim_cuda_templateIsEESt5tupleIJNSH_6TensorESM_SM_EERKSM_lbbbEUlllE0_EEPmJS6_EEE10hipError_tPvRmT3_T4_T5_T6_T7_T9_mT8_P12ihipStream_tbDpT10_ENKUlT_T0_E_clISt17integral_constantIbLb0EES1C_EEDaS17_S18_EUlS17_E_NS1_11comp_targetILNS1_3genE8ELNS1_11target_archE1030ELNS1_3gpuE2ELNS1_3repE0EEENS1_30default_config_static_selectorELNS0_4arch9wavefront6targetE0EEEvT1_
    .private_segment_fixed_size: 0
    .sgpr_count:     0
    .sgpr_spill_count: 0
    .symbol:         _ZN7rocprim17ROCPRIM_400000_NS6detail17trampoline_kernelINS0_14default_configENS1_25partition_config_selectorILNS1_17partition_subalgoE8ElNS0_10empty_typeEbEEZZNS1_14partition_implILS5_8ELb0ES3_jPlPS6_PKS6_NS0_5tupleIJS9_S6_EEENSD_IJSA_SA_EEENS0_18inequality_wrapperIZN2at6native12_GLOBAL__N_124unique_dim_cuda_templateIsEESt5tupleIJNSH_6TensorESM_SM_EERKSM_lbbbEUlllE0_EEPmJS6_EEE10hipError_tPvRmT3_T4_T5_T6_T7_T9_mT8_P12ihipStream_tbDpT10_ENKUlT_T0_E_clISt17integral_constantIbLb0EES1C_EEDaS17_S18_EUlS17_E_NS1_11comp_targetILNS1_3genE8ELNS1_11target_archE1030ELNS1_3gpuE2ELNS1_3repE0EEENS1_30default_config_static_selectorELNS0_4arch9wavefront6targetE0EEEvT1_.kd
    .uniform_work_group_size: 1
    .uses_dynamic_stack: false
    .vgpr_count:     0
    .vgpr_spill_count: 0
    .wavefront_size: 32
    .workgroup_processor_mode: 1
  - .args:
      - .offset:         0
        .size:           136
        .value_kind:     by_value
    .group_segment_fixed_size: 0
    .kernarg_segment_align: 8
    .kernarg_segment_size: 136
    .language:       OpenCL C
    .language_version:
      - 2
      - 0
    .max_flat_workgroup_size: 512
    .name:           _ZN7rocprim17ROCPRIM_400000_NS6detail17trampoline_kernelINS0_14default_configENS1_25partition_config_selectorILNS1_17partition_subalgoE8ElNS0_10empty_typeEbEEZZNS1_14partition_implILS5_8ELb0ES3_jPlPS6_PKS6_NS0_5tupleIJS9_S6_EEENSD_IJSA_SA_EEENS0_18inequality_wrapperIZN2at6native12_GLOBAL__N_124unique_dim_cuda_templateIsEESt5tupleIJNSH_6TensorESM_SM_EERKSM_lbbbEUlllE0_EEPmJS6_EEE10hipError_tPvRmT3_T4_T5_T6_T7_T9_mT8_P12ihipStream_tbDpT10_ENKUlT_T0_E_clISt17integral_constantIbLb1EES1C_EEDaS17_S18_EUlS17_E_NS1_11comp_targetILNS1_3genE0ELNS1_11target_archE4294967295ELNS1_3gpuE0ELNS1_3repE0EEENS1_30default_config_static_selectorELNS0_4arch9wavefront6targetE0EEEvT1_
    .private_segment_fixed_size: 0
    .sgpr_count:     0
    .sgpr_spill_count: 0
    .symbol:         _ZN7rocprim17ROCPRIM_400000_NS6detail17trampoline_kernelINS0_14default_configENS1_25partition_config_selectorILNS1_17partition_subalgoE8ElNS0_10empty_typeEbEEZZNS1_14partition_implILS5_8ELb0ES3_jPlPS6_PKS6_NS0_5tupleIJS9_S6_EEENSD_IJSA_SA_EEENS0_18inequality_wrapperIZN2at6native12_GLOBAL__N_124unique_dim_cuda_templateIsEESt5tupleIJNSH_6TensorESM_SM_EERKSM_lbbbEUlllE0_EEPmJS6_EEE10hipError_tPvRmT3_T4_T5_T6_T7_T9_mT8_P12ihipStream_tbDpT10_ENKUlT_T0_E_clISt17integral_constantIbLb1EES1C_EEDaS17_S18_EUlS17_E_NS1_11comp_targetILNS1_3genE0ELNS1_11target_archE4294967295ELNS1_3gpuE0ELNS1_3repE0EEENS1_30default_config_static_selectorELNS0_4arch9wavefront6targetE0EEEvT1_.kd
    .uniform_work_group_size: 1
    .uses_dynamic_stack: false
    .vgpr_count:     0
    .vgpr_spill_count: 0
    .wavefront_size: 32
    .workgroup_processor_mode: 1
  - .args:
      - .offset:         0
        .size:           136
        .value_kind:     by_value
    .group_segment_fixed_size: 0
    .kernarg_segment_align: 8
    .kernarg_segment_size: 136
    .language:       OpenCL C
    .language_version:
      - 2
      - 0
    .max_flat_workgroup_size: 512
    .name:           _ZN7rocprim17ROCPRIM_400000_NS6detail17trampoline_kernelINS0_14default_configENS1_25partition_config_selectorILNS1_17partition_subalgoE8ElNS0_10empty_typeEbEEZZNS1_14partition_implILS5_8ELb0ES3_jPlPS6_PKS6_NS0_5tupleIJS9_S6_EEENSD_IJSA_SA_EEENS0_18inequality_wrapperIZN2at6native12_GLOBAL__N_124unique_dim_cuda_templateIsEESt5tupleIJNSH_6TensorESM_SM_EERKSM_lbbbEUlllE0_EEPmJS6_EEE10hipError_tPvRmT3_T4_T5_T6_T7_T9_mT8_P12ihipStream_tbDpT10_ENKUlT_T0_E_clISt17integral_constantIbLb1EES1C_EEDaS17_S18_EUlS17_E_NS1_11comp_targetILNS1_3genE5ELNS1_11target_archE942ELNS1_3gpuE9ELNS1_3repE0EEENS1_30default_config_static_selectorELNS0_4arch9wavefront6targetE0EEEvT1_
    .private_segment_fixed_size: 0
    .sgpr_count:     0
    .sgpr_spill_count: 0
    .symbol:         _ZN7rocprim17ROCPRIM_400000_NS6detail17trampoline_kernelINS0_14default_configENS1_25partition_config_selectorILNS1_17partition_subalgoE8ElNS0_10empty_typeEbEEZZNS1_14partition_implILS5_8ELb0ES3_jPlPS6_PKS6_NS0_5tupleIJS9_S6_EEENSD_IJSA_SA_EEENS0_18inequality_wrapperIZN2at6native12_GLOBAL__N_124unique_dim_cuda_templateIsEESt5tupleIJNSH_6TensorESM_SM_EERKSM_lbbbEUlllE0_EEPmJS6_EEE10hipError_tPvRmT3_T4_T5_T6_T7_T9_mT8_P12ihipStream_tbDpT10_ENKUlT_T0_E_clISt17integral_constantIbLb1EES1C_EEDaS17_S18_EUlS17_E_NS1_11comp_targetILNS1_3genE5ELNS1_11target_archE942ELNS1_3gpuE9ELNS1_3repE0EEENS1_30default_config_static_selectorELNS0_4arch9wavefront6targetE0EEEvT1_.kd
    .uniform_work_group_size: 1
    .uses_dynamic_stack: false
    .vgpr_count:     0
    .vgpr_spill_count: 0
    .wavefront_size: 32
    .workgroup_processor_mode: 1
  - .args:
      - .offset:         0
        .size:           136
        .value_kind:     by_value
    .group_segment_fixed_size: 0
    .kernarg_segment_align: 8
    .kernarg_segment_size: 136
    .language:       OpenCL C
    .language_version:
      - 2
      - 0
    .max_flat_workgroup_size: 256
    .name:           _ZN7rocprim17ROCPRIM_400000_NS6detail17trampoline_kernelINS0_14default_configENS1_25partition_config_selectorILNS1_17partition_subalgoE8ElNS0_10empty_typeEbEEZZNS1_14partition_implILS5_8ELb0ES3_jPlPS6_PKS6_NS0_5tupleIJS9_S6_EEENSD_IJSA_SA_EEENS0_18inequality_wrapperIZN2at6native12_GLOBAL__N_124unique_dim_cuda_templateIsEESt5tupleIJNSH_6TensorESM_SM_EERKSM_lbbbEUlllE0_EEPmJS6_EEE10hipError_tPvRmT3_T4_T5_T6_T7_T9_mT8_P12ihipStream_tbDpT10_ENKUlT_T0_E_clISt17integral_constantIbLb1EES1C_EEDaS17_S18_EUlS17_E_NS1_11comp_targetILNS1_3genE4ELNS1_11target_archE910ELNS1_3gpuE8ELNS1_3repE0EEENS1_30default_config_static_selectorELNS0_4arch9wavefront6targetE0EEEvT1_
    .private_segment_fixed_size: 0
    .sgpr_count:     0
    .sgpr_spill_count: 0
    .symbol:         _ZN7rocprim17ROCPRIM_400000_NS6detail17trampoline_kernelINS0_14default_configENS1_25partition_config_selectorILNS1_17partition_subalgoE8ElNS0_10empty_typeEbEEZZNS1_14partition_implILS5_8ELb0ES3_jPlPS6_PKS6_NS0_5tupleIJS9_S6_EEENSD_IJSA_SA_EEENS0_18inequality_wrapperIZN2at6native12_GLOBAL__N_124unique_dim_cuda_templateIsEESt5tupleIJNSH_6TensorESM_SM_EERKSM_lbbbEUlllE0_EEPmJS6_EEE10hipError_tPvRmT3_T4_T5_T6_T7_T9_mT8_P12ihipStream_tbDpT10_ENKUlT_T0_E_clISt17integral_constantIbLb1EES1C_EEDaS17_S18_EUlS17_E_NS1_11comp_targetILNS1_3genE4ELNS1_11target_archE910ELNS1_3gpuE8ELNS1_3repE0EEENS1_30default_config_static_selectorELNS0_4arch9wavefront6targetE0EEEvT1_.kd
    .uniform_work_group_size: 1
    .uses_dynamic_stack: false
    .vgpr_count:     0
    .vgpr_spill_count: 0
    .wavefront_size: 32
    .workgroup_processor_mode: 1
  - .args:
      - .offset:         0
        .size:           136
        .value_kind:     by_value
    .group_segment_fixed_size: 0
    .kernarg_segment_align: 8
    .kernarg_segment_size: 136
    .language:       OpenCL C
    .language_version:
      - 2
      - 0
    .max_flat_workgroup_size: 512
    .name:           _ZN7rocprim17ROCPRIM_400000_NS6detail17trampoline_kernelINS0_14default_configENS1_25partition_config_selectorILNS1_17partition_subalgoE8ElNS0_10empty_typeEbEEZZNS1_14partition_implILS5_8ELb0ES3_jPlPS6_PKS6_NS0_5tupleIJS9_S6_EEENSD_IJSA_SA_EEENS0_18inequality_wrapperIZN2at6native12_GLOBAL__N_124unique_dim_cuda_templateIsEESt5tupleIJNSH_6TensorESM_SM_EERKSM_lbbbEUlllE0_EEPmJS6_EEE10hipError_tPvRmT3_T4_T5_T6_T7_T9_mT8_P12ihipStream_tbDpT10_ENKUlT_T0_E_clISt17integral_constantIbLb1EES1C_EEDaS17_S18_EUlS17_E_NS1_11comp_targetILNS1_3genE3ELNS1_11target_archE908ELNS1_3gpuE7ELNS1_3repE0EEENS1_30default_config_static_selectorELNS0_4arch9wavefront6targetE0EEEvT1_
    .private_segment_fixed_size: 0
    .sgpr_count:     0
    .sgpr_spill_count: 0
    .symbol:         _ZN7rocprim17ROCPRIM_400000_NS6detail17trampoline_kernelINS0_14default_configENS1_25partition_config_selectorILNS1_17partition_subalgoE8ElNS0_10empty_typeEbEEZZNS1_14partition_implILS5_8ELb0ES3_jPlPS6_PKS6_NS0_5tupleIJS9_S6_EEENSD_IJSA_SA_EEENS0_18inequality_wrapperIZN2at6native12_GLOBAL__N_124unique_dim_cuda_templateIsEESt5tupleIJNSH_6TensorESM_SM_EERKSM_lbbbEUlllE0_EEPmJS6_EEE10hipError_tPvRmT3_T4_T5_T6_T7_T9_mT8_P12ihipStream_tbDpT10_ENKUlT_T0_E_clISt17integral_constantIbLb1EES1C_EEDaS17_S18_EUlS17_E_NS1_11comp_targetILNS1_3genE3ELNS1_11target_archE908ELNS1_3gpuE7ELNS1_3repE0EEENS1_30default_config_static_selectorELNS0_4arch9wavefront6targetE0EEEvT1_.kd
    .uniform_work_group_size: 1
    .uses_dynamic_stack: false
    .vgpr_count:     0
    .vgpr_spill_count: 0
    .wavefront_size: 32
    .workgroup_processor_mode: 1
  - .args:
      - .offset:         0
        .size:           136
        .value_kind:     by_value
    .group_segment_fixed_size: 0
    .kernarg_segment_align: 8
    .kernarg_segment_size: 136
    .language:       OpenCL C
    .language_version:
      - 2
      - 0
    .max_flat_workgroup_size: 256
    .name:           _ZN7rocprim17ROCPRIM_400000_NS6detail17trampoline_kernelINS0_14default_configENS1_25partition_config_selectorILNS1_17partition_subalgoE8ElNS0_10empty_typeEbEEZZNS1_14partition_implILS5_8ELb0ES3_jPlPS6_PKS6_NS0_5tupleIJS9_S6_EEENSD_IJSA_SA_EEENS0_18inequality_wrapperIZN2at6native12_GLOBAL__N_124unique_dim_cuda_templateIsEESt5tupleIJNSH_6TensorESM_SM_EERKSM_lbbbEUlllE0_EEPmJS6_EEE10hipError_tPvRmT3_T4_T5_T6_T7_T9_mT8_P12ihipStream_tbDpT10_ENKUlT_T0_E_clISt17integral_constantIbLb1EES1C_EEDaS17_S18_EUlS17_E_NS1_11comp_targetILNS1_3genE2ELNS1_11target_archE906ELNS1_3gpuE6ELNS1_3repE0EEENS1_30default_config_static_selectorELNS0_4arch9wavefront6targetE0EEEvT1_
    .private_segment_fixed_size: 0
    .sgpr_count:     0
    .sgpr_spill_count: 0
    .symbol:         _ZN7rocprim17ROCPRIM_400000_NS6detail17trampoline_kernelINS0_14default_configENS1_25partition_config_selectorILNS1_17partition_subalgoE8ElNS0_10empty_typeEbEEZZNS1_14partition_implILS5_8ELb0ES3_jPlPS6_PKS6_NS0_5tupleIJS9_S6_EEENSD_IJSA_SA_EEENS0_18inequality_wrapperIZN2at6native12_GLOBAL__N_124unique_dim_cuda_templateIsEESt5tupleIJNSH_6TensorESM_SM_EERKSM_lbbbEUlllE0_EEPmJS6_EEE10hipError_tPvRmT3_T4_T5_T6_T7_T9_mT8_P12ihipStream_tbDpT10_ENKUlT_T0_E_clISt17integral_constantIbLb1EES1C_EEDaS17_S18_EUlS17_E_NS1_11comp_targetILNS1_3genE2ELNS1_11target_archE906ELNS1_3gpuE6ELNS1_3repE0EEENS1_30default_config_static_selectorELNS0_4arch9wavefront6targetE0EEEvT1_.kd
    .uniform_work_group_size: 1
    .uses_dynamic_stack: false
    .vgpr_count:     0
    .vgpr_spill_count: 0
    .wavefront_size: 32
    .workgroup_processor_mode: 1
  - .args:
      - .offset:         0
        .size:           136
        .value_kind:     by_value
    .group_segment_fixed_size: 0
    .kernarg_segment_align: 8
    .kernarg_segment_size: 136
    .language:       OpenCL C
    .language_version:
      - 2
      - 0
    .max_flat_workgroup_size: 384
    .name:           _ZN7rocprim17ROCPRIM_400000_NS6detail17trampoline_kernelINS0_14default_configENS1_25partition_config_selectorILNS1_17partition_subalgoE8ElNS0_10empty_typeEbEEZZNS1_14partition_implILS5_8ELb0ES3_jPlPS6_PKS6_NS0_5tupleIJS9_S6_EEENSD_IJSA_SA_EEENS0_18inequality_wrapperIZN2at6native12_GLOBAL__N_124unique_dim_cuda_templateIsEESt5tupleIJNSH_6TensorESM_SM_EERKSM_lbbbEUlllE0_EEPmJS6_EEE10hipError_tPvRmT3_T4_T5_T6_T7_T9_mT8_P12ihipStream_tbDpT10_ENKUlT_T0_E_clISt17integral_constantIbLb1EES1C_EEDaS17_S18_EUlS17_E_NS1_11comp_targetILNS1_3genE10ELNS1_11target_archE1200ELNS1_3gpuE4ELNS1_3repE0EEENS1_30default_config_static_selectorELNS0_4arch9wavefront6targetE0EEEvT1_
    .private_segment_fixed_size: 0
    .sgpr_count:     0
    .sgpr_spill_count: 0
    .symbol:         _ZN7rocprim17ROCPRIM_400000_NS6detail17trampoline_kernelINS0_14default_configENS1_25partition_config_selectorILNS1_17partition_subalgoE8ElNS0_10empty_typeEbEEZZNS1_14partition_implILS5_8ELb0ES3_jPlPS6_PKS6_NS0_5tupleIJS9_S6_EEENSD_IJSA_SA_EEENS0_18inequality_wrapperIZN2at6native12_GLOBAL__N_124unique_dim_cuda_templateIsEESt5tupleIJNSH_6TensorESM_SM_EERKSM_lbbbEUlllE0_EEPmJS6_EEE10hipError_tPvRmT3_T4_T5_T6_T7_T9_mT8_P12ihipStream_tbDpT10_ENKUlT_T0_E_clISt17integral_constantIbLb1EES1C_EEDaS17_S18_EUlS17_E_NS1_11comp_targetILNS1_3genE10ELNS1_11target_archE1200ELNS1_3gpuE4ELNS1_3repE0EEENS1_30default_config_static_selectorELNS0_4arch9wavefront6targetE0EEEvT1_.kd
    .uniform_work_group_size: 1
    .uses_dynamic_stack: false
    .vgpr_count:     0
    .vgpr_spill_count: 0
    .wavefront_size: 32
    .workgroup_processor_mode: 1
  - .args:
      - .offset:         0
        .size:           136
        .value_kind:     by_value
    .group_segment_fixed_size: 33804
    .kernarg_segment_align: 8
    .kernarg_segment_size: 136
    .language:       OpenCL C
    .language_version:
      - 2
      - 0
    .max_flat_workgroup_size: 512
    .name:           _ZN7rocprim17ROCPRIM_400000_NS6detail17trampoline_kernelINS0_14default_configENS1_25partition_config_selectorILNS1_17partition_subalgoE8ElNS0_10empty_typeEbEEZZNS1_14partition_implILS5_8ELb0ES3_jPlPS6_PKS6_NS0_5tupleIJS9_S6_EEENSD_IJSA_SA_EEENS0_18inequality_wrapperIZN2at6native12_GLOBAL__N_124unique_dim_cuda_templateIsEESt5tupleIJNSH_6TensorESM_SM_EERKSM_lbbbEUlllE0_EEPmJS6_EEE10hipError_tPvRmT3_T4_T5_T6_T7_T9_mT8_P12ihipStream_tbDpT10_ENKUlT_T0_E_clISt17integral_constantIbLb1EES1C_EEDaS17_S18_EUlS17_E_NS1_11comp_targetILNS1_3genE9ELNS1_11target_archE1100ELNS1_3gpuE3ELNS1_3repE0EEENS1_30default_config_static_selectorELNS0_4arch9wavefront6targetE0EEEvT1_
    .private_segment_fixed_size: 0
    .sgpr_count:     40
    .sgpr_spill_count: 0
    .symbol:         _ZN7rocprim17ROCPRIM_400000_NS6detail17trampoline_kernelINS0_14default_configENS1_25partition_config_selectorILNS1_17partition_subalgoE8ElNS0_10empty_typeEbEEZZNS1_14partition_implILS5_8ELb0ES3_jPlPS6_PKS6_NS0_5tupleIJS9_S6_EEENSD_IJSA_SA_EEENS0_18inequality_wrapperIZN2at6native12_GLOBAL__N_124unique_dim_cuda_templateIsEESt5tupleIJNSH_6TensorESM_SM_EERKSM_lbbbEUlllE0_EEPmJS6_EEE10hipError_tPvRmT3_T4_T5_T6_T7_T9_mT8_P12ihipStream_tbDpT10_ENKUlT_T0_E_clISt17integral_constantIbLb1EES1C_EEDaS17_S18_EUlS17_E_NS1_11comp_targetILNS1_3genE9ELNS1_11target_archE1100ELNS1_3gpuE3ELNS1_3repE0EEENS1_30default_config_static_selectorELNS0_4arch9wavefront6targetE0EEEvT1_.kd
    .uniform_work_group_size: 1
    .uses_dynamic_stack: false
    .vgpr_count:     52
    .vgpr_spill_count: 0
    .wavefront_size: 32
    .workgroup_processor_mode: 1
  - .args:
      - .offset:         0
        .size:           136
        .value_kind:     by_value
    .group_segment_fixed_size: 0
    .kernarg_segment_align: 8
    .kernarg_segment_size: 136
    .language:       OpenCL C
    .language_version:
      - 2
      - 0
    .max_flat_workgroup_size: 512
    .name:           _ZN7rocprim17ROCPRIM_400000_NS6detail17trampoline_kernelINS0_14default_configENS1_25partition_config_selectorILNS1_17partition_subalgoE8ElNS0_10empty_typeEbEEZZNS1_14partition_implILS5_8ELb0ES3_jPlPS6_PKS6_NS0_5tupleIJS9_S6_EEENSD_IJSA_SA_EEENS0_18inequality_wrapperIZN2at6native12_GLOBAL__N_124unique_dim_cuda_templateIsEESt5tupleIJNSH_6TensorESM_SM_EERKSM_lbbbEUlllE0_EEPmJS6_EEE10hipError_tPvRmT3_T4_T5_T6_T7_T9_mT8_P12ihipStream_tbDpT10_ENKUlT_T0_E_clISt17integral_constantIbLb1EES1C_EEDaS17_S18_EUlS17_E_NS1_11comp_targetILNS1_3genE8ELNS1_11target_archE1030ELNS1_3gpuE2ELNS1_3repE0EEENS1_30default_config_static_selectorELNS0_4arch9wavefront6targetE0EEEvT1_
    .private_segment_fixed_size: 0
    .sgpr_count:     0
    .sgpr_spill_count: 0
    .symbol:         _ZN7rocprim17ROCPRIM_400000_NS6detail17trampoline_kernelINS0_14default_configENS1_25partition_config_selectorILNS1_17partition_subalgoE8ElNS0_10empty_typeEbEEZZNS1_14partition_implILS5_8ELb0ES3_jPlPS6_PKS6_NS0_5tupleIJS9_S6_EEENSD_IJSA_SA_EEENS0_18inequality_wrapperIZN2at6native12_GLOBAL__N_124unique_dim_cuda_templateIsEESt5tupleIJNSH_6TensorESM_SM_EERKSM_lbbbEUlllE0_EEPmJS6_EEE10hipError_tPvRmT3_T4_T5_T6_T7_T9_mT8_P12ihipStream_tbDpT10_ENKUlT_T0_E_clISt17integral_constantIbLb1EES1C_EEDaS17_S18_EUlS17_E_NS1_11comp_targetILNS1_3genE8ELNS1_11target_archE1030ELNS1_3gpuE2ELNS1_3repE0EEENS1_30default_config_static_selectorELNS0_4arch9wavefront6targetE0EEEvT1_.kd
    .uniform_work_group_size: 1
    .uses_dynamic_stack: false
    .vgpr_count:     0
    .vgpr_spill_count: 0
    .wavefront_size: 32
    .workgroup_processor_mode: 1
  - .args:
      - .offset:         0
        .size:           120
        .value_kind:     by_value
    .group_segment_fixed_size: 0
    .kernarg_segment_align: 8
    .kernarg_segment_size: 120
    .language:       OpenCL C
    .language_version:
      - 2
      - 0
    .max_flat_workgroup_size: 512
    .name:           _ZN7rocprim17ROCPRIM_400000_NS6detail17trampoline_kernelINS0_14default_configENS1_25partition_config_selectorILNS1_17partition_subalgoE8ElNS0_10empty_typeEbEEZZNS1_14partition_implILS5_8ELb0ES3_jPlPS6_PKS6_NS0_5tupleIJS9_S6_EEENSD_IJSA_SA_EEENS0_18inequality_wrapperIZN2at6native12_GLOBAL__N_124unique_dim_cuda_templateIsEESt5tupleIJNSH_6TensorESM_SM_EERKSM_lbbbEUlllE0_EEPmJS6_EEE10hipError_tPvRmT3_T4_T5_T6_T7_T9_mT8_P12ihipStream_tbDpT10_ENKUlT_T0_E_clISt17integral_constantIbLb1EES1B_IbLb0EEEEDaS17_S18_EUlS17_E_NS1_11comp_targetILNS1_3genE0ELNS1_11target_archE4294967295ELNS1_3gpuE0ELNS1_3repE0EEENS1_30default_config_static_selectorELNS0_4arch9wavefront6targetE0EEEvT1_
    .private_segment_fixed_size: 0
    .sgpr_count:     0
    .sgpr_spill_count: 0
    .symbol:         _ZN7rocprim17ROCPRIM_400000_NS6detail17trampoline_kernelINS0_14default_configENS1_25partition_config_selectorILNS1_17partition_subalgoE8ElNS0_10empty_typeEbEEZZNS1_14partition_implILS5_8ELb0ES3_jPlPS6_PKS6_NS0_5tupleIJS9_S6_EEENSD_IJSA_SA_EEENS0_18inequality_wrapperIZN2at6native12_GLOBAL__N_124unique_dim_cuda_templateIsEESt5tupleIJNSH_6TensorESM_SM_EERKSM_lbbbEUlllE0_EEPmJS6_EEE10hipError_tPvRmT3_T4_T5_T6_T7_T9_mT8_P12ihipStream_tbDpT10_ENKUlT_T0_E_clISt17integral_constantIbLb1EES1B_IbLb0EEEEDaS17_S18_EUlS17_E_NS1_11comp_targetILNS1_3genE0ELNS1_11target_archE4294967295ELNS1_3gpuE0ELNS1_3repE0EEENS1_30default_config_static_selectorELNS0_4arch9wavefront6targetE0EEEvT1_.kd
    .uniform_work_group_size: 1
    .uses_dynamic_stack: false
    .vgpr_count:     0
    .vgpr_spill_count: 0
    .wavefront_size: 32
    .workgroup_processor_mode: 1
  - .args:
      - .offset:         0
        .size:           120
        .value_kind:     by_value
    .group_segment_fixed_size: 0
    .kernarg_segment_align: 8
    .kernarg_segment_size: 120
    .language:       OpenCL C
    .language_version:
      - 2
      - 0
    .max_flat_workgroup_size: 512
    .name:           _ZN7rocprim17ROCPRIM_400000_NS6detail17trampoline_kernelINS0_14default_configENS1_25partition_config_selectorILNS1_17partition_subalgoE8ElNS0_10empty_typeEbEEZZNS1_14partition_implILS5_8ELb0ES3_jPlPS6_PKS6_NS0_5tupleIJS9_S6_EEENSD_IJSA_SA_EEENS0_18inequality_wrapperIZN2at6native12_GLOBAL__N_124unique_dim_cuda_templateIsEESt5tupleIJNSH_6TensorESM_SM_EERKSM_lbbbEUlllE0_EEPmJS6_EEE10hipError_tPvRmT3_T4_T5_T6_T7_T9_mT8_P12ihipStream_tbDpT10_ENKUlT_T0_E_clISt17integral_constantIbLb1EES1B_IbLb0EEEEDaS17_S18_EUlS17_E_NS1_11comp_targetILNS1_3genE5ELNS1_11target_archE942ELNS1_3gpuE9ELNS1_3repE0EEENS1_30default_config_static_selectorELNS0_4arch9wavefront6targetE0EEEvT1_
    .private_segment_fixed_size: 0
    .sgpr_count:     0
    .sgpr_spill_count: 0
    .symbol:         _ZN7rocprim17ROCPRIM_400000_NS6detail17trampoline_kernelINS0_14default_configENS1_25partition_config_selectorILNS1_17partition_subalgoE8ElNS0_10empty_typeEbEEZZNS1_14partition_implILS5_8ELb0ES3_jPlPS6_PKS6_NS0_5tupleIJS9_S6_EEENSD_IJSA_SA_EEENS0_18inequality_wrapperIZN2at6native12_GLOBAL__N_124unique_dim_cuda_templateIsEESt5tupleIJNSH_6TensorESM_SM_EERKSM_lbbbEUlllE0_EEPmJS6_EEE10hipError_tPvRmT3_T4_T5_T6_T7_T9_mT8_P12ihipStream_tbDpT10_ENKUlT_T0_E_clISt17integral_constantIbLb1EES1B_IbLb0EEEEDaS17_S18_EUlS17_E_NS1_11comp_targetILNS1_3genE5ELNS1_11target_archE942ELNS1_3gpuE9ELNS1_3repE0EEENS1_30default_config_static_selectorELNS0_4arch9wavefront6targetE0EEEvT1_.kd
    .uniform_work_group_size: 1
    .uses_dynamic_stack: false
    .vgpr_count:     0
    .vgpr_spill_count: 0
    .wavefront_size: 32
    .workgroup_processor_mode: 1
  - .args:
      - .offset:         0
        .size:           120
        .value_kind:     by_value
    .group_segment_fixed_size: 0
    .kernarg_segment_align: 8
    .kernarg_segment_size: 120
    .language:       OpenCL C
    .language_version:
      - 2
      - 0
    .max_flat_workgroup_size: 256
    .name:           _ZN7rocprim17ROCPRIM_400000_NS6detail17trampoline_kernelINS0_14default_configENS1_25partition_config_selectorILNS1_17partition_subalgoE8ElNS0_10empty_typeEbEEZZNS1_14partition_implILS5_8ELb0ES3_jPlPS6_PKS6_NS0_5tupleIJS9_S6_EEENSD_IJSA_SA_EEENS0_18inequality_wrapperIZN2at6native12_GLOBAL__N_124unique_dim_cuda_templateIsEESt5tupleIJNSH_6TensorESM_SM_EERKSM_lbbbEUlllE0_EEPmJS6_EEE10hipError_tPvRmT3_T4_T5_T6_T7_T9_mT8_P12ihipStream_tbDpT10_ENKUlT_T0_E_clISt17integral_constantIbLb1EES1B_IbLb0EEEEDaS17_S18_EUlS17_E_NS1_11comp_targetILNS1_3genE4ELNS1_11target_archE910ELNS1_3gpuE8ELNS1_3repE0EEENS1_30default_config_static_selectorELNS0_4arch9wavefront6targetE0EEEvT1_
    .private_segment_fixed_size: 0
    .sgpr_count:     0
    .sgpr_spill_count: 0
    .symbol:         _ZN7rocprim17ROCPRIM_400000_NS6detail17trampoline_kernelINS0_14default_configENS1_25partition_config_selectorILNS1_17partition_subalgoE8ElNS0_10empty_typeEbEEZZNS1_14partition_implILS5_8ELb0ES3_jPlPS6_PKS6_NS0_5tupleIJS9_S6_EEENSD_IJSA_SA_EEENS0_18inequality_wrapperIZN2at6native12_GLOBAL__N_124unique_dim_cuda_templateIsEESt5tupleIJNSH_6TensorESM_SM_EERKSM_lbbbEUlllE0_EEPmJS6_EEE10hipError_tPvRmT3_T4_T5_T6_T7_T9_mT8_P12ihipStream_tbDpT10_ENKUlT_T0_E_clISt17integral_constantIbLb1EES1B_IbLb0EEEEDaS17_S18_EUlS17_E_NS1_11comp_targetILNS1_3genE4ELNS1_11target_archE910ELNS1_3gpuE8ELNS1_3repE0EEENS1_30default_config_static_selectorELNS0_4arch9wavefront6targetE0EEEvT1_.kd
    .uniform_work_group_size: 1
    .uses_dynamic_stack: false
    .vgpr_count:     0
    .vgpr_spill_count: 0
    .wavefront_size: 32
    .workgroup_processor_mode: 1
  - .args:
      - .offset:         0
        .size:           120
        .value_kind:     by_value
    .group_segment_fixed_size: 0
    .kernarg_segment_align: 8
    .kernarg_segment_size: 120
    .language:       OpenCL C
    .language_version:
      - 2
      - 0
    .max_flat_workgroup_size: 512
    .name:           _ZN7rocprim17ROCPRIM_400000_NS6detail17trampoline_kernelINS0_14default_configENS1_25partition_config_selectorILNS1_17partition_subalgoE8ElNS0_10empty_typeEbEEZZNS1_14partition_implILS5_8ELb0ES3_jPlPS6_PKS6_NS0_5tupleIJS9_S6_EEENSD_IJSA_SA_EEENS0_18inequality_wrapperIZN2at6native12_GLOBAL__N_124unique_dim_cuda_templateIsEESt5tupleIJNSH_6TensorESM_SM_EERKSM_lbbbEUlllE0_EEPmJS6_EEE10hipError_tPvRmT3_T4_T5_T6_T7_T9_mT8_P12ihipStream_tbDpT10_ENKUlT_T0_E_clISt17integral_constantIbLb1EES1B_IbLb0EEEEDaS17_S18_EUlS17_E_NS1_11comp_targetILNS1_3genE3ELNS1_11target_archE908ELNS1_3gpuE7ELNS1_3repE0EEENS1_30default_config_static_selectorELNS0_4arch9wavefront6targetE0EEEvT1_
    .private_segment_fixed_size: 0
    .sgpr_count:     0
    .sgpr_spill_count: 0
    .symbol:         _ZN7rocprim17ROCPRIM_400000_NS6detail17trampoline_kernelINS0_14default_configENS1_25partition_config_selectorILNS1_17partition_subalgoE8ElNS0_10empty_typeEbEEZZNS1_14partition_implILS5_8ELb0ES3_jPlPS6_PKS6_NS0_5tupleIJS9_S6_EEENSD_IJSA_SA_EEENS0_18inequality_wrapperIZN2at6native12_GLOBAL__N_124unique_dim_cuda_templateIsEESt5tupleIJNSH_6TensorESM_SM_EERKSM_lbbbEUlllE0_EEPmJS6_EEE10hipError_tPvRmT3_T4_T5_T6_T7_T9_mT8_P12ihipStream_tbDpT10_ENKUlT_T0_E_clISt17integral_constantIbLb1EES1B_IbLb0EEEEDaS17_S18_EUlS17_E_NS1_11comp_targetILNS1_3genE3ELNS1_11target_archE908ELNS1_3gpuE7ELNS1_3repE0EEENS1_30default_config_static_selectorELNS0_4arch9wavefront6targetE0EEEvT1_.kd
    .uniform_work_group_size: 1
    .uses_dynamic_stack: false
    .vgpr_count:     0
    .vgpr_spill_count: 0
    .wavefront_size: 32
    .workgroup_processor_mode: 1
  - .args:
      - .offset:         0
        .size:           120
        .value_kind:     by_value
    .group_segment_fixed_size: 0
    .kernarg_segment_align: 8
    .kernarg_segment_size: 120
    .language:       OpenCL C
    .language_version:
      - 2
      - 0
    .max_flat_workgroup_size: 256
    .name:           _ZN7rocprim17ROCPRIM_400000_NS6detail17trampoline_kernelINS0_14default_configENS1_25partition_config_selectorILNS1_17partition_subalgoE8ElNS0_10empty_typeEbEEZZNS1_14partition_implILS5_8ELb0ES3_jPlPS6_PKS6_NS0_5tupleIJS9_S6_EEENSD_IJSA_SA_EEENS0_18inequality_wrapperIZN2at6native12_GLOBAL__N_124unique_dim_cuda_templateIsEESt5tupleIJNSH_6TensorESM_SM_EERKSM_lbbbEUlllE0_EEPmJS6_EEE10hipError_tPvRmT3_T4_T5_T6_T7_T9_mT8_P12ihipStream_tbDpT10_ENKUlT_T0_E_clISt17integral_constantIbLb1EES1B_IbLb0EEEEDaS17_S18_EUlS17_E_NS1_11comp_targetILNS1_3genE2ELNS1_11target_archE906ELNS1_3gpuE6ELNS1_3repE0EEENS1_30default_config_static_selectorELNS0_4arch9wavefront6targetE0EEEvT1_
    .private_segment_fixed_size: 0
    .sgpr_count:     0
    .sgpr_spill_count: 0
    .symbol:         _ZN7rocprim17ROCPRIM_400000_NS6detail17trampoline_kernelINS0_14default_configENS1_25partition_config_selectorILNS1_17partition_subalgoE8ElNS0_10empty_typeEbEEZZNS1_14partition_implILS5_8ELb0ES3_jPlPS6_PKS6_NS0_5tupleIJS9_S6_EEENSD_IJSA_SA_EEENS0_18inequality_wrapperIZN2at6native12_GLOBAL__N_124unique_dim_cuda_templateIsEESt5tupleIJNSH_6TensorESM_SM_EERKSM_lbbbEUlllE0_EEPmJS6_EEE10hipError_tPvRmT3_T4_T5_T6_T7_T9_mT8_P12ihipStream_tbDpT10_ENKUlT_T0_E_clISt17integral_constantIbLb1EES1B_IbLb0EEEEDaS17_S18_EUlS17_E_NS1_11comp_targetILNS1_3genE2ELNS1_11target_archE906ELNS1_3gpuE6ELNS1_3repE0EEENS1_30default_config_static_selectorELNS0_4arch9wavefront6targetE0EEEvT1_.kd
    .uniform_work_group_size: 1
    .uses_dynamic_stack: false
    .vgpr_count:     0
    .vgpr_spill_count: 0
    .wavefront_size: 32
    .workgroup_processor_mode: 1
  - .args:
      - .offset:         0
        .size:           120
        .value_kind:     by_value
    .group_segment_fixed_size: 0
    .kernarg_segment_align: 8
    .kernarg_segment_size: 120
    .language:       OpenCL C
    .language_version:
      - 2
      - 0
    .max_flat_workgroup_size: 384
    .name:           _ZN7rocprim17ROCPRIM_400000_NS6detail17trampoline_kernelINS0_14default_configENS1_25partition_config_selectorILNS1_17partition_subalgoE8ElNS0_10empty_typeEbEEZZNS1_14partition_implILS5_8ELb0ES3_jPlPS6_PKS6_NS0_5tupleIJS9_S6_EEENSD_IJSA_SA_EEENS0_18inequality_wrapperIZN2at6native12_GLOBAL__N_124unique_dim_cuda_templateIsEESt5tupleIJNSH_6TensorESM_SM_EERKSM_lbbbEUlllE0_EEPmJS6_EEE10hipError_tPvRmT3_T4_T5_T6_T7_T9_mT8_P12ihipStream_tbDpT10_ENKUlT_T0_E_clISt17integral_constantIbLb1EES1B_IbLb0EEEEDaS17_S18_EUlS17_E_NS1_11comp_targetILNS1_3genE10ELNS1_11target_archE1200ELNS1_3gpuE4ELNS1_3repE0EEENS1_30default_config_static_selectorELNS0_4arch9wavefront6targetE0EEEvT1_
    .private_segment_fixed_size: 0
    .sgpr_count:     0
    .sgpr_spill_count: 0
    .symbol:         _ZN7rocprim17ROCPRIM_400000_NS6detail17trampoline_kernelINS0_14default_configENS1_25partition_config_selectorILNS1_17partition_subalgoE8ElNS0_10empty_typeEbEEZZNS1_14partition_implILS5_8ELb0ES3_jPlPS6_PKS6_NS0_5tupleIJS9_S6_EEENSD_IJSA_SA_EEENS0_18inequality_wrapperIZN2at6native12_GLOBAL__N_124unique_dim_cuda_templateIsEESt5tupleIJNSH_6TensorESM_SM_EERKSM_lbbbEUlllE0_EEPmJS6_EEE10hipError_tPvRmT3_T4_T5_T6_T7_T9_mT8_P12ihipStream_tbDpT10_ENKUlT_T0_E_clISt17integral_constantIbLb1EES1B_IbLb0EEEEDaS17_S18_EUlS17_E_NS1_11comp_targetILNS1_3genE10ELNS1_11target_archE1200ELNS1_3gpuE4ELNS1_3repE0EEENS1_30default_config_static_selectorELNS0_4arch9wavefront6targetE0EEEvT1_.kd
    .uniform_work_group_size: 1
    .uses_dynamic_stack: false
    .vgpr_count:     0
    .vgpr_spill_count: 0
    .wavefront_size: 32
    .workgroup_processor_mode: 1
  - .args:
      - .offset:         0
        .size:           120
        .value_kind:     by_value
    .group_segment_fixed_size: 33804
    .kernarg_segment_align: 8
    .kernarg_segment_size: 120
    .language:       OpenCL C
    .language_version:
      - 2
      - 0
    .max_flat_workgroup_size: 512
    .name:           _ZN7rocprim17ROCPRIM_400000_NS6detail17trampoline_kernelINS0_14default_configENS1_25partition_config_selectorILNS1_17partition_subalgoE8ElNS0_10empty_typeEbEEZZNS1_14partition_implILS5_8ELb0ES3_jPlPS6_PKS6_NS0_5tupleIJS9_S6_EEENSD_IJSA_SA_EEENS0_18inequality_wrapperIZN2at6native12_GLOBAL__N_124unique_dim_cuda_templateIsEESt5tupleIJNSH_6TensorESM_SM_EERKSM_lbbbEUlllE0_EEPmJS6_EEE10hipError_tPvRmT3_T4_T5_T6_T7_T9_mT8_P12ihipStream_tbDpT10_ENKUlT_T0_E_clISt17integral_constantIbLb1EES1B_IbLb0EEEEDaS17_S18_EUlS17_E_NS1_11comp_targetILNS1_3genE9ELNS1_11target_archE1100ELNS1_3gpuE3ELNS1_3repE0EEENS1_30default_config_static_selectorELNS0_4arch9wavefront6targetE0EEEvT1_
    .private_segment_fixed_size: 0
    .sgpr_count:     38
    .sgpr_spill_count: 0
    .symbol:         _ZN7rocprim17ROCPRIM_400000_NS6detail17trampoline_kernelINS0_14default_configENS1_25partition_config_selectorILNS1_17partition_subalgoE8ElNS0_10empty_typeEbEEZZNS1_14partition_implILS5_8ELb0ES3_jPlPS6_PKS6_NS0_5tupleIJS9_S6_EEENSD_IJSA_SA_EEENS0_18inequality_wrapperIZN2at6native12_GLOBAL__N_124unique_dim_cuda_templateIsEESt5tupleIJNSH_6TensorESM_SM_EERKSM_lbbbEUlllE0_EEPmJS6_EEE10hipError_tPvRmT3_T4_T5_T6_T7_T9_mT8_P12ihipStream_tbDpT10_ENKUlT_T0_E_clISt17integral_constantIbLb1EES1B_IbLb0EEEEDaS17_S18_EUlS17_E_NS1_11comp_targetILNS1_3genE9ELNS1_11target_archE1100ELNS1_3gpuE3ELNS1_3repE0EEENS1_30default_config_static_selectorELNS0_4arch9wavefront6targetE0EEEvT1_.kd
    .uniform_work_group_size: 1
    .uses_dynamic_stack: false
    .vgpr_count:     52
    .vgpr_spill_count: 0
    .wavefront_size: 32
    .workgroup_processor_mode: 1
  - .args:
      - .offset:         0
        .size:           120
        .value_kind:     by_value
    .group_segment_fixed_size: 0
    .kernarg_segment_align: 8
    .kernarg_segment_size: 120
    .language:       OpenCL C
    .language_version:
      - 2
      - 0
    .max_flat_workgroup_size: 512
    .name:           _ZN7rocprim17ROCPRIM_400000_NS6detail17trampoline_kernelINS0_14default_configENS1_25partition_config_selectorILNS1_17partition_subalgoE8ElNS0_10empty_typeEbEEZZNS1_14partition_implILS5_8ELb0ES3_jPlPS6_PKS6_NS0_5tupleIJS9_S6_EEENSD_IJSA_SA_EEENS0_18inequality_wrapperIZN2at6native12_GLOBAL__N_124unique_dim_cuda_templateIsEESt5tupleIJNSH_6TensorESM_SM_EERKSM_lbbbEUlllE0_EEPmJS6_EEE10hipError_tPvRmT3_T4_T5_T6_T7_T9_mT8_P12ihipStream_tbDpT10_ENKUlT_T0_E_clISt17integral_constantIbLb1EES1B_IbLb0EEEEDaS17_S18_EUlS17_E_NS1_11comp_targetILNS1_3genE8ELNS1_11target_archE1030ELNS1_3gpuE2ELNS1_3repE0EEENS1_30default_config_static_selectorELNS0_4arch9wavefront6targetE0EEEvT1_
    .private_segment_fixed_size: 0
    .sgpr_count:     0
    .sgpr_spill_count: 0
    .symbol:         _ZN7rocprim17ROCPRIM_400000_NS6detail17trampoline_kernelINS0_14default_configENS1_25partition_config_selectorILNS1_17partition_subalgoE8ElNS0_10empty_typeEbEEZZNS1_14partition_implILS5_8ELb0ES3_jPlPS6_PKS6_NS0_5tupleIJS9_S6_EEENSD_IJSA_SA_EEENS0_18inequality_wrapperIZN2at6native12_GLOBAL__N_124unique_dim_cuda_templateIsEESt5tupleIJNSH_6TensorESM_SM_EERKSM_lbbbEUlllE0_EEPmJS6_EEE10hipError_tPvRmT3_T4_T5_T6_T7_T9_mT8_P12ihipStream_tbDpT10_ENKUlT_T0_E_clISt17integral_constantIbLb1EES1B_IbLb0EEEEDaS17_S18_EUlS17_E_NS1_11comp_targetILNS1_3genE8ELNS1_11target_archE1030ELNS1_3gpuE2ELNS1_3repE0EEENS1_30default_config_static_selectorELNS0_4arch9wavefront6targetE0EEEvT1_.kd
    .uniform_work_group_size: 1
    .uses_dynamic_stack: false
    .vgpr_count:     0
    .vgpr_spill_count: 0
    .wavefront_size: 32
    .workgroup_processor_mode: 1
  - .args:
      - .offset:         0
        .size:           136
        .value_kind:     by_value
    .group_segment_fixed_size: 0
    .kernarg_segment_align: 8
    .kernarg_segment_size: 136
    .language:       OpenCL C
    .language_version:
      - 2
      - 0
    .max_flat_workgroup_size: 512
    .name:           _ZN7rocprim17ROCPRIM_400000_NS6detail17trampoline_kernelINS0_14default_configENS1_25partition_config_selectorILNS1_17partition_subalgoE8ElNS0_10empty_typeEbEEZZNS1_14partition_implILS5_8ELb0ES3_jPlPS6_PKS6_NS0_5tupleIJS9_S6_EEENSD_IJSA_SA_EEENS0_18inequality_wrapperIZN2at6native12_GLOBAL__N_124unique_dim_cuda_templateIsEESt5tupleIJNSH_6TensorESM_SM_EERKSM_lbbbEUlllE0_EEPmJS6_EEE10hipError_tPvRmT3_T4_T5_T6_T7_T9_mT8_P12ihipStream_tbDpT10_ENKUlT_T0_E_clISt17integral_constantIbLb0EES1B_IbLb1EEEEDaS17_S18_EUlS17_E_NS1_11comp_targetILNS1_3genE0ELNS1_11target_archE4294967295ELNS1_3gpuE0ELNS1_3repE0EEENS1_30default_config_static_selectorELNS0_4arch9wavefront6targetE0EEEvT1_
    .private_segment_fixed_size: 0
    .sgpr_count:     0
    .sgpr_spill_count: 0
    .symbol:         _ZN7rocprim17ROCPRIM_400000_NS6detail17trampoline_kernelINS0_14default_configENS1_25partition_config_selectorILNS1_17partition_subalgoE8ElNS0_10empty_typeEbEEZZNS1_14partition_implILS5_8ELb0ES3_jPlPS6_PKS6_NS0_5tupleIJS9_S6_EEENSD_IJSA_SA_EEENS0_18inequality_wrapperIZN2at6native12_GLOBAL__N_124unique_dim_cuda_templateIsEESt5tupleIJNSH_6TensorESM_SM_EERKSM_lbbbEUlllE0_EEPmJS6_EEE10hipError_tPvRmT3_T4_T5_T6_T7_T9_mT8_P12ihipStream_tbDpT10_ENKUlT_T0_E_clISt17integral_constantIbLb0EES1B_IbLb1EEEEDaS17_S18_EUlS17_E_NS1_11comp_targetILNS1_3genE0ELNS1_11target_archE4294967295ELNS1_3gpuE0ELNS1_3repE0EEENS1_30default_config_static_selectorELNS0_4arch9wavefront6targetE0EEEvT1_.kd
    .uniform_work_group_size: 1
    .uses_dynamic_stack: false
    .vgpr_count:     0
    .vgpr_spill_count: 0
    .wavefront_size: 32
    .workgroup_processor_mode: 1
  - .args:
      - .offset:         0
        .size:           136
        .value_kind:     by_value
    .group_segment_fixed_size: 0
    .kernarg_segment_align: 8
    .kernarg_segment_size: 136
    .language:       OpenCL C
    .language_version:
      - 2
      - 0
    .max_flat_workgroup_size: 512
    .name:           _ZN7rocprim17ROCPRIM_400000_NS6detail17trampoline_kernelINS0_14default_configENS1_25partition_config_selectorILNS1_17partition_subalgoE8ElNS0_10empty_typeEbEEZZNS1_14partition_implILS5_8ELb0ES3_jPlPS6_PKS6_NS0_5tupleIJS9_S6_EEENSD_IJSA_SA_EEENS0_18inequality_wrapperIZN2at6native12_GLOBAL__N_124unique_dim_cuda_templateIsEESt5tupleIJNSH_6TensorESM_SM_EERKSM_lbbbEUlllE0_EEPmJS6_EEE10hipError_tPvRmT3_T4_T5_T6_T7_T9_mT8_P12ihipStream_tbDpT10_ENKUlT_T0_E_clISt17integral_constantIbLb0EES1B_IbLb1EEEEDaS17_S18_EUlS17_E_NS1_11comp_targetILNS1_3genE5ELNS1_11target_archE942ELNS1_3gpuE9ELNS1_3repE0EEENS1_30default_config_static_selectorELNS0_4arch9wavefront6targetE0EEEvT1_
    .private_segment_fixed_size: 0
    .sgpr_count:     0
    .sgpr_spill_count: 0
    .symbol:         _ZN7rocprim17ROCPRIM_400000_NS6detail17trampoline_kernelINS0_14default_configENS1_25partition_config_selectorILNS1_17partition_subalgoE8ElNS0_10empty_typeEbEEZZNS1_14partition_implILS5_8ELb0ES3_jPlPS6_PKS6_NS0_5tupleIJS9_S6_EEENSD_IJSA_SA_EEENS0_18inequality_wrapperIZN2at6native12_GLOBAL__N_124unique_dim_cuda_templateIsEESt5tupleIJNSH_6TensorESM_SM_EERKSM_lbbbEUlllE0_EEPmJS6_EEE10hipError_tPvRmT3_T4_T5_T6_T7_T9_mT8_P12ihipStream_tbDpT10_ENKUlT_T0_E_clISt17integral_constantIbLb0EES1B_IbLb1EEEEDaS17_S18_EUlS17_E_NS1_11comp_targetILNS1_3genE5ELNS1_11target_archE942ELNS1_3gpuE9ELNS1_3repE0EEENS1_30default_config_static_selectorELNS0_4arch9wavefront6targetE0EEEvT1_.kd
    .uniform_work_group_size: 1
    .uses_dynamic_stack: false
    .vgpr_count:     0
    .vgpr_spill_count: 0
    .wavefront_size: 32
    .workgroup_processor_mode: 1
  - .args:
      - .offset:         0
        .size:           136
        .value_kind:     by_value
    .group_segment_fixed_size: 0
    .kernarg_segment_align: 8
    .kernarg_segment_size: 136
    .language:       OpenCL C
    .language_version:
      - 2
      - 0
    .max_flat_workgroup_size: 256
    .name:           _ZN7rocprim17ROCPRIM_400000_NS6detail17trampoline_kernelINS0_14default_configENS1_25partition_config_selectorILNS1_17partition_subalgoE8ElNS0_10empty_typeEbEEZZNS1_14partition_implILS5_8ELb0ES3_jPlPS6_PKS6_NS0_5tupleIJS9_S6_EEENSD_IJSA_SA_EEENS0_18inequality_wrapperIZN2at6native12_GLOBAL__N_124unique_dim_cuda_templateIsEESt5tupleIJNSH_6TensorESM_SM_EERKSM_lbbbEUlllE0_EEPmJS6_EEE10hipError_tPvRmT3_T4_T5_T6_T7_T9_mT8_P12ihipStream_tbDpT10_ENKUlT_T0_E_clISt17integral_constantIbLb0EES1B_IbLb1EEEEDaS17_S18_EUlS17_E_NS1_11comp_targetILNS1_3genE4ELNS1_11target_archE910ELNS1_3gpuE8ELNS1_3repE0EEENS1_30default_config_static_selectorELNS0_4arch9wavefront6targetE0EEEvT1_
    .private_segment_fixed_size: 0
    .sgpr_count:     0
    .sgpr_spill_count: 0
    .symbol:         _ZN7rocprim17ROCPRIM_400000_NS6detail17trampoline_kernelINS0_14default_configENS1_25partition_config_selectorILNS1_17partition_subalgoE8ElNS0_10empty_typeEbEEZZNS1_14partition_implILS5_8ELb0ES3_jPlPS6_PKS6_NS0_5tupleIJS9_S6_EEENSD_IJSA_SA_EEENS0_18inequality_wrapperIZN2at6native12_GLOBAL__N_124unique_dim_cuda_templateIsEESt5tupleIJNSH_6TensorESM_SM_EERKSM_lbbbEUlllE0_EEPmJS6_EEE10hipError_tPvRmT3_T4_T5_T6_T7_T9_mT8_P12ihipStream_tbDpT10_ENKUlT_T0_E_clISt17integral_constantIbLb0EES1B_IbLb1EEEEDaS17_S18_EUlS17_E_NS1_11comp_targetILNS1_3genE4ELNS1_11target_archE910ELNS1_3gpuE8ELNS1_3repE0EEENS1_30default_config_static_selectorELNS0_4arch9wavefront6targetE0EEEvT1_.kd
    .uniform_work_group_size: 1
    .uses_dynamic_stack: false
    .vgpr_count:     0
    .vgpr_spill_count: 0
    .wavefront_size: 32
    .workgroup_processor_mode: 1
  - .args:
      - .offset:         0
        .size:           136
        .value_kind:     by_value
    .group_segment_fixed_size: 0
    .kernarg_segment_align: 8
    .kernarg_segment_size: 136
    .language:       OpenCL C
    .language_version:
      - 2
      - 0
    .max_flat_workgroup_size: 512
    .name:           _ZN7rocprim17ROCPRIM_400000_NS6detail17trampoline_kernelINS0_14default_configENS1_25partition_config_selectorILNS1_17partition_subalgoE8ElNS0_10empty_typeEbEEZZNS1_14partition_implILS5_8ELb0ES3_jPlPS6_PKS6_NS0_5tupleIJS9_S6_EEENSD_IJSA_SA_EEENS0_18inequality_wrapperIZN2at6native12_GLOBAL__N_124unique_dim_cuda_templateIsEESt5tupleIJNSH_6TensorESM_SM_EERKSM_lbbbEUlllE0_EEPmJS6_EEE10hipError_tPvRmT3_T4_T5_T6_T7_T9_mT8_P12ihipStream_tbDpT10_ENKUlT_T0_E_clISt17integral_constantIbLb0EES1B_IbLb1EEEEDaS17_S18_EUlS17_E_NS1_11comp_targetILNS1_3genE3ELNS1_11target_archE908ELNS1_3gpuE7ELNS1_3repE0EEENS1_30default_config_static_selectorELNS0_4arch9wavefront6targetE0EEEvT1_
    .private_segment_fixed_size: 0
    .sgpr_count:     0
    .sgpr_spill_count: 0
    .symbol:         _ZN7rocprim17ROCPRIM_400000_NS6detail17trampoline_kernelINS0_14default_configENS1_25partition_config_selectorILNS1_17partition_subalgoE8ElNS0_10empty_typeEbEEZZNS1_14partition_implILS5_8ELb0ES3_jPlPS6_PKS6_NS0_5tupleIJS9_S6_EEENSD_IJSA_SA_EEENS0_18inequality_wrapperIZN2at6native12_GLOBAL__N_124unique_dim_cuda_templateIsEESt5tupleIJNSH_6TensorESM_SM_EERKSM_lbbbEUlllE0_EEPmJS6_EEE10hipError_tPvRmT3_T4_T5_T6_T7_T9_mT8_P12ihipStream_tbDpT10_ENKUlT_T0_E_clISt17integral_constantIbLb0EES1B_IbLb1EEEEDaS17_S18_EUlS17_E_NS1_11comp_targetILNS1_3genE3ELNS1_11target_archE908ELNS1_3gpuE7ELNS1_3repE0EEENS1_30default_config_static_selectorELNS0_4arch9wavefront6targetE0EEEvT1_.kd
    .uniform_work_group_size: 1
    .uses_dynamic_stack: false
    .vgpr_count:     0
    .vgpr_spill_count: 0
    .wavefront_size: 32
    .workgroup_processor_mode: 1
  - .args:
      - .offset:         0
        .size:           136
        .value_kind:     by_value
    .group_segment_fixed_size: 0
    .kernarg_segment_align: 8
    .kernarg_segment_size: 136
    .language:       OpenCL C
    .language_version:
      - 2
      - 0
    .max_flat_workgroup_size: 256
    .name:           _ZN7rocprim17ROCPRIM_400000_NS6detail17trampoline_kernelINS0_14default_configENS1_25partition_config_selectorILNS1_17partition_subalgoE8ElNS0_10empty_typeEbEEZZNS1_14partition_implILS5_8ELb0ES3_jPlPS6_PKS6_NS0_5tupleIJS9_S6_EEENSD_IJSA_SA_EEENS0_18inequality_wrapperIZN2at6native12_GLOBAL__N_124unique_dim_cuda_templateIsEESt5tupleIJNSH_6TensorESM_SM_EERKSM_lbbbEUlllE0_EEPmJS6_EEE10hipError_tPvRmT3_T4_T5_T6_T7_T9_mT8_P12ihipStream_tbDpT10_ENKUlT_T0_E_clISt17integral_constantIbLb0EES1B_IbLb1EEEEDaS17_S18_EUlS17_E_NS1_11comp_targetILNS1_3genE2ELNS1_11target_archE906ELNS1_3gpuE6ELNS1_3repE0EEENS1_30default_config_static_selectorELNS0_4arch9wavefront6targetE0EEEvT1_
    .private_segment_fixed_size: 0
    .sgpr_count:     0
    .sgpr_spill_count: 0
    .symbol:         _ZN7rocprim17ROCPRIM_400000_NS6detail17trampoline_kernelINS0_14default_configENS1_25partition_config_selectorILNS1_17partition_subalgoE8ElNS0_10empty_typeEbEEZZNS1_14partition_implILS5_8ELb0ES3_jPlPS6_PKS6_NS0_5tupleIJS9_S6_EEENSD_IJSA_SA_EEENS0_18inequality_wrapperIZN2at6native12_GLOBAL__N_124unique_dim_cuda_templateIsEESt5tupleIJNSH_6TensorESM_SM_EERKSM_lbbbEUlllE0_EEPmJS6_EEE10hipError_tPvRmT3_T4_T5_T6_T7_T9_mT8_P12ihipStream_tbDpT10_ENKUlT_T0_E_clISt17integral_constantIbLb0EES1B_IbLb1EEEEDaS17_S18_EUlS17_E_NS1_11comp_targetILNS1_3genE2ELNS1_11target_archE906ELNS1_3gpuE6ELNS1_3repE0EEENS1_30default_config_static_selectorELNS0_4arch9wavefront6targetE0EEEvT1_.kd
    .uniform_work_group_size: 1
    .uses_dynamic_stack: false
    .vgpr_count:     0
    .vgpr_spill_count: 0
    .wavefront_size: 32
    .workgroup_processor_mode: 1
  - .args:
      - .offset:         0
        .size:           136
        .value_kind:     by_value
    .group_segment_fixed_size: 0
    .kernarg_segment_align: 8
    .kernarg_segment_size: 136
    .language:       OpenCL C
    .language_version:
      - 2
      - 0
    .max_flat_workgroup_size: 384
    .name:           _ZN7rocprim17ROCPRIM_400000_NS6detail17trampoline_kernelINS0_14default_configENS1_25partition_config_selectorILNS1_17partition_subalgoE8ElNS0_10empty_typeEbEEZZNS1_14partition_implILS5_8ELb0ES3_jPlPS6_PKS6_NS0_5tupleIJS9_S6_EEENSD_IJSA_SA_EEENS0_18inequality_wrapperIZN2at6native12_GLOBAL__N_124unique_dim_cuda_templateIsEESt5tupleIJNSH_6TensorESM_SM_EERKSM_lbbbEUlllE0_EEPmJS6_EEE10hipError_tPvRmT3_T4_T5_T6_T7_T9_mT8_P12ihipStream_tbDpT10_ENKUlT_T0_E_clISt17integral_constantIbLb0EES1B_IbLb1EEEEDaS17_S18_EUlS17_E_NS1_11comp_targetILNS1_3genE10ELNS1_11target_archE1200ELNS1_3gpuE4ELNS1_3repE0EEENS1_30default_config_static_selectorELNS0_4arch9wavefront6targetE0EEEvT1_
    .private_segment_fixed_size: 0
    .sgpr_count:     0
    .sgpr_spill_count: 0
    .symbol:         _ZN7rocprim17ROCPRIM_400000_NS6detail17trampoline_kernelINS0_14default_configENS1_25partition_config_selectorILNS1_17partition_subalgoE8ElNS0_10empty_typeEbEEZZNS1_14partition_implILS5_8ELb0ES3_jPlPS6_PKS6_NS0_5tupleIJS9_S6_EEENSD_IJSA_SA_EEENS0_18inequality_wrapperIZN2at6native12_GLOBAL__N_124unique_dim_cuda_templateIsEESt5tupleIJNSH_6TensorESM_SM_EERKSM_lbbbEUlllE0_EEPmJS6_EEE10hipError_tPvRmT3_T4_T5_T6_T7_T9_mT8_P12ihipStream_tbDpT10_ENKUlT_T0_E_clISt17integral_constantIbLb0EES1B_IbLb1EEEEDaS17_S18_EUlS17_E_NS1_11comp_targetILNS1_3genE10ELNS1_11target_archE1200ELNS1_3gpuE4ELNS1_3repE0EEENS1_30default_config_static_selectorELNS0_4arch9wavefront6targetE0EEEvT1_.kd
    .uniform_work_group_size: 1
    .uses_dynamic_stack: false
    .vgpr_count:     0
    .vgpr_spill_count: 0
    .wavefront_size: 32
    .workgroup_processor_mode: 1
  - .args:
      - .offset:         0
        .size:           136
        .value_kind:     by_value
    .group_segment_fixed_size: 33804
    .kernarg_segment_align: 8
    .kernarg_segment_size: 136
    .language:       OpenCL C
    .language_version:
      - 2
      - 0
    .max_flat_workgroup_size: 512
    .name:           _ZN7rocprim17ROCPRIM_400000_NS6detail17trampoline_kernelINS0_14default_configENS1_25partition_config_selectorILNS1_17partition_subalgoE8ElNS0_10empty_typeEbEEZZNS1_14partition_implILS5_8ELb0ES3_jPlPS6_PKS6_NS0_5tupleIJS9_S6_EEENSD_IJSA_SA_EEENS0_18inequality_wrapperIZN2at6native12_GLOBAL__N_124unique_dim_cuda_templateIsEESt5tupleIJNSH_6TensorESM_SM_EERKSM_lbbbEUlllE0_EEPmJS6_EEE10hipError_tPvRmT3_T4_T5_T6_T7_T9_mT8_P12ihipStream_tbDpT10_ENKUlT_T0_E_clISt17integral_constantIbLb0EES1B_IbLb1EEEEDaS17_S18_EUlS17_E_NS1_11comp_targetILNS1_3genE9ELNS1_11target_archE1100ELNS1_3gpuE3ELNS1_3repE0EEENS1_30default_config_static_selectorELNS0_4arch9wavefront6targetE0EEEvT1_
    .private_segment_fixed_size: 0
    .sgpr_count:     40
    .sgpr_spill_count: 0
    .symbol:         _ZN7rocprim17ROCPRIM_400000_NS6detail17trampoline_kernelINS0_14default_configENS1_25partition_config_selectorILNS1_17partition_subalgoE8ElNS0_10empty_typeEbEEZZNS1_14partition_implILS5_8ELb0ES3_jPlPS6_PKS6_NS0_5tupleIJS9_S6_EEENSD_IJSA_SA_EEENS0_18inequality_wrapperIZN2at6native12_GLOBAL__N_124unique_dim_cuda_templateIsEESt5tupleIJNSH_6TensorESM_SM_EERKSM_lbbbEUlllE0_EEPmJS6_EEE10hipError_tPvRmT3_T4_T5_T6_T7_T9_mT8_P12ihipStream_tbDpT10_ENKUlT_T0_E_clISt17integral_constantIbLb0EES1B_IbLb1EEEEDaS17_S18_EUlS17_E_NS1_11comp_targetILNS1_3genE9ELNS1_11target_archE1100ELNS1_3gpuE3ELNS1_3repE0EEENS1_30default_config_static_selectorELNS0_4arch9wavefront6targetE0EEEvT1_.kd
    .uniform_work_group_size: 1
    .uses_dynamic_stack: false
    .vgpr_count:     52
    .vgpr_spill_count: 0
    .wavefront_size: 32
    .workgroup_processor_mode: 1
  - .args:
      - .offset:         0
        .size:           136
        .value_kind:     by_value
    .group_segment_fixed_size: 0
    .kernarg_segment_align: 8
    .kernarg_segment_size: 136
    .language:       OpenCL C
    .language_version:
      - 2
      - 0
    .max_flat_workgroup_size: 512
    .name:           _ZN7rocprim17ROCPRIM_400000_NS6detail17trampoline_kernelINS0_14default_configENS1_25partition_config_selectorILNS1_17partition_subalgoE8ElNS0_10empty_typeEbEEZZNS1_14partition_implILS5_8ELb0ES3_jPlPS6_PKS6_NS0_5tupleIJS9_S6_EEENSD_IJSA_SA_EEENS0_18inequality_wrapperIZN2at6native12_GLOBAL__N_124unique_dim_cuda_templateIsEESt5tupleIJNSH_6TensorESM_SM_EERKSM_lbbbEUlllE0_EEPmJS6_EEE10hipError_tPvRmT3_T4_T5_T6_T7_T9_mT8_P12ihipStream_tbDpT10_ENKUlT_T0_E_clISt17integral_constantIbLb0EES1B_IbLb1EEEEDaS17_S18_EUlS17_E_NS1_11comp_targetILNS1_3genE8ELNS1_11target_archE1030ELNS1_3gpuE2ELNS1_3repE0EEENS1_30default_config_static_selectorELNS0_4arch9wavefront6targetE0EEEvT1_
    .private_segment_fixed_size: 0
    .sgpr_count:     0
    .sgpr_spill_count: 0
    .symbol:         _ZN7rocprim17ROCPRIM_400000_NS6detail17trampoline_kernelINS0_14default_configENS1_25partition_config_selectorILNS1_17partition_subalgoE8ElNS0_10empty_typeEbEEZZNS1_14partition_implILS5_8ELb0ES3_jPlPS6_PKS6_NS0_5tupleIJS9_S6_EEENSD_IJSA_SA_EEENS0_18inequality_wrapperIZN2at6native12_GLOBAL__N_124unique_dim_cuda_templateIsEESt5tupleIJNSH_6TensorESM_SM_EERKSM_lbbbEUlllE0_EEPmJS6_EEE10hipError_tPvRmT3_T4_T5_T6_T7_T9_mT8_P12ihipStream_tbDpT10_ENKUlT_T0_E_clISt17integral_constantIbLb0EES1B_IbLb1EEEEDaS17_S18_EUlS17_E_NS1_11comp_targetILNS1_3genE8ELNS1_11target_archE1030ELNS1_3gpuE2ELNS1_3repE0EEENS1_30default_config_static_selectorELNS0_4arch9wavefront6targetE0EEEvT1_.kd
    .uniform_work_group_size: 1
    .uses_dynamic_stack: false
    .vgpr_count:     0
    .vgpr_spill_count: 0
    .wavefront_size: 32
    .workgroup_processor_mode: 1
  - .args:
      - .offset:         0
        .size:           120
        .value_kind:     by_value
    .group_segment_fixed_size: 0
    .kernarg_segment_align: 8
    .kernarg_segment_size: 120
    .language:       OpenCL C
    .language_version:
      - 2
      - 0
    .max_flat_workgroup_size: 128
    .name:           _ZN7rocprim17ROCPRIM_400000_NS6detail17trampoline_kernelINS0_14default_configENS1_25partition_config_selectorILNS1_17partition_subalgoE9EllbEEZZNS1_14partition_implILS5_9ELb0ES3_jPlS8_PNS0_10empty_typeENS0_5tupleIJS8_S9_EEENSB_IJS8_SA_EEENS0_18inequality_wrapperIZN2at6native12_GLOBAL__N_124unique_dim_cuda_templateIsEESt5tupleIJNSF_6TensorESK_SK_EERKSK_lbbbEUlllE0_EEPmJS9_EEE10hipError_tPvRmT3_T4_T5_T6_T7_T9_mT8_P12ihipStream_tbDpT10_ENKUlT_T0_E_clISt17integral_constantIbLb0EES1A_EEDaS15_S16_EUlS15_E_NS1_11comp_targetILNS1_3genE0ELNS1_11target_archE4294967295ELNS1_3gpuE0ELNS1_3repE0EEENS1_30default_config_static_selectorELNS0_4arch9wavefront6targetE0EEEvT1_
    .private_segment_fixed_size: 0
    .sgpr_count:     0
    .sgpr_spill_count: 0
    .symbol:         _ZN7rocprim17ROCPRIM_400000_NS6detail17trampoline_kernelINS0_14default_configENS1_25partition_config_selectorILNS1_17partition_subalgoE9EllbEEZZNS1_14partition_implILS5_9ELb0ES3_jPlS8_PNS0_10empty_typeENS0_5tupleIJS8_S9_EEENSB_IJS8_SA_EEENS0_18inequality_wrapperIZN2at6native12_GLOBAL__N_124unique_dim_cuda_templateIsEESt5tupleIJNSF_6TensorESK_SK_EERKSK_lbbbEUlllE0_EEPmJS9_EEE10hipError_tPvRmT3_T4_T5_T6_T7_T9_mT8_P12ihipStream_tbDpT10_ENKUlT_T0_E_clISt17integral_constantIbLb0EES1A_EEDaS15_S16_EUlS15_E_NS1_11comp_targetILNS1_3genE0ELNS1_11target_archE4294967295ELNS1_3gpuE0ELNS1_3repE0EEENS1_30default_config_static_selectorELNS0_4arch9wavefront6targetE0EEEvT1_.kd
    .uniform_work_group_size: 1
    .uses_dynamic_stack: false
    .vgpr_count:     0
    .vgpr_spill_count: 0
    .wavefront_size: 32
    .workgroup_processor_mode: 1
  - .args:
      - .offset:         0
        .size:           120
        .value_kind:     by_value
    .group_segment_fixed_size: 0
    .kernarg_segment_align: 8
    .kernarg_segment_size: 120
    .language:       OpenCL C
    .language_version:
      - 2
      - 0
    .max_flat_workgroup_size: 512
    .name:           _ZN7rocprim17ROCPRIM_400000_NS6detail17trampoline_kernelINS0_14default_configENS1_25partition_config_selectorILNS1_17partition_subalgoE9EllbEEZZNS1_14partition_implILS5_9ELb0ES3_jPlS8_PNS0_10empty_typeENS0_5tupleIJS8_S9_EEENSB_IJS8_SA_EEENS0_18inequality_wrapperIZN2at6native12_GLOBAL__N_124unique_dim_cuda_templateIsEESt5tupleIJNSF_6TensorESK_SK_EERKSK_lbbbEUlllE0_EEPmJS9_EEE10hipError_tPvRmT3_T4_T5_T6_T7_T9_mT8_P12ihipStream_tbDpT10_ENKUlT_T0_E_clISt17integral_constantIbLb0EES1A_EEDaS15_S16_EUlS15_E_NS1_11comp_targetILNS1_3genE5ELNS1_11target_archE942ELNS1_3gpuE9ELNS1_3repE0EEENS1_30default_config_static_selectorELNS0_4arch9wavefront6targetE0EEEvT1_
    .private_segment_fixed_size: 0
    .sgpr_count:     0
    .sgpr_spill_count: 0
    .symbol:         _ZN7rocprim17ROCPRIM_400000_NS6detail17trampoline_kernelINS0_14default_configENS1_25partition_config_selectorILNS1_17partition_subalgoE9EllbEEZZNS1_14partition_implILS5_9ELb0ES3_jPlS8_PNS0_10empty_typeENS0_5tupleIJS8_S9_EEENSB_IJS8_SA_EEENS0_18inequality_wrapperIZN2at6native12_GLOBAL__N_124unique_dim_cuda_templateIsEESt5tupleIJNSF_6TensorESK_SK_EERKSK_lbbbEUlllE0_EEPmJS9_EEE10hipError_tPvRmT3_T4_T5_T6_T7_T9_mT8_P12ihipStream_tbDpT10_ENKUlT_T0_E_clISt17integral_constantIbLb0EES1A_EEDaS15_S16_EUlS15_E_NS1_11comp_targetILNS1_3genE5ELNS1_11target_archE942ELNS1_3gpuE9ELNS1_3repE0EEENS1_30default_config_static_selectorELNS0_4arch9wavefront6targetE0EEEvT1_.kd
    .uniform_work_group_size: 1
    .uses_dynamic_stack: false
    .vgpr_count:     0
    .vgpr_spill_count: 0
    .wavefront_size: 32
    .workgroup_processor_mode: 1
  - .args:
      - .offset:         0
        .size:           120
        .value_kind:     by_value
    .group_segment_fixed_size: 0
    .kernarg_segment_align: 8
    .kernarg_segment_size: 120
    .language:       OpenCL C
    .language_version:
      - 2
      - 0
    .max_flat_workgroup_size: 128
    .name:           _ZN7rocprim17ROCPRIM_400000_NS6detail17trampoline_kernelINS0_14default_configENS1_25partition_config_selectorILNS1_17partition_subalgoE9EllbEEZZNS1_14partition_implILS5_9ELb0ES3_jPlS8_PNS0_10empty_typeENS0_5tupleIJS8_S9_EEENSB_IJS8_SA_EEENS0_18inequality_wrapperIZN2at6native12_GLOBAL__N_124unique_dim_cuda_templateIsEESt5tupleIJNSF_6TensorESK_SK_EERKSK_lbbbEUlllE0_EEPmJS9_EEE10hipError_tPvRmT3_T4_T5_T6_T7_T9_mT8_P12ihipStream_tbDpT10_ENKUlT_T0_E_clISt17integral_constantIbLb0EES1A_EEDaS15_S16_EUlS15_E_NS1_11comp_targetILNS1_3genE4ELNS1_11target_archE910ELNS1_3gpuE8ELNS1_3repE0EEENS1_30default_config_static_selectorELNS0_4arch9wavefront6targetE0EEEvT1_
    .private_segment_fixed_size: 0
    .sgpr_count:     0
    .sgpr_spill_count: 0
    .symbol:         _ZN7rocprim17ROCPRIM_400000_NS6detail17trampoline_kernelINS0_14default_configENS1_25partition_config_selectorILNS1_17partition_subalgoE9EllbEEZZNS1_14partition_implILS5_9ELb0ES3_jPlS8_PNS0_10empty_typeENS0_5tupleIJS8_S9_EEENSB_IJS8_SA_EEENS0_18inequality_wrapperIZN2at6native12_GLOBAL__N_124unique_dim_cuda_templateIsEESt5tupleIJNSF_6TensorESK_SK_EERKSK_lbbbEUlllE0_EEPmJS9_EEE10hipError_tPvRmT3_T4_T5_T6_T7_T9_mT8_P12ihipStream_tbDpT10_ENKUlT_T0_E_clISt17integral_constantIbLb0EES1A_EEDaS15_S16_EUlS15_E_NS1_11comp_targetILNS1_3genE4ELNS1_11target_archE910ELNS1_3gpuE8ELNS1_3repE0EEENS1_30default_config_static_selectorELNS0_4arch9wavefront6targetE0EEEvT1_.kd
    .uniform_work_group_size: 1
    .uses_dynamic_stack: false
    .vgpr_count:     0
    .vgpr_spill_count: 0
    .wavefront_size: 32
    .workgroup_processor_mode: 1
  - .args:
      - .offset:         0
        .size:           120
        .value_kind:     by_value
    .group_segment_fixed_size: 0
    .kernarg_segment_align: 8
    .kernarg_segment_size: 120
    .language:       OpenCL C
    .language_version:
      - 2
      - 0
    .max_flat_workgroup_size: 128
    .name:           _ZN7rocprim17ROCPRIM_400000_NS6detail17trampoline_kernelINS0_14default_configENS1_25partition_config_selectorILNS1_17partition_subalgoE9EllbEEZZNS1_14partition_implILS5_9ELb0ES3_jPlS8_PNS0_10empty_typeENS0_5tupleIJS8_S9_EEENSB_IJS8_SA_EEENS0_18inequality_wrapperIZN2at6native12_GLOBAL__N_124unique_dim_cuda_templateIsEESt5tupleIJNSF_6TensorESK_SK_EERKSK_lbbbEUlllE0_EEPmJS9_EEE10hipError_tPvRmT3_T4_T5_T6_T7_T9_mT8_P12ihipStream_tbDpT10_ENKUlT_T0_E_clISt17integral_constantIbLb0EES1A_EEDaS15_S16_EUlS15_E_NS1_11comp_targetILNS1_3genE3ELNS1_11target_archE908ELNS1_3gpuE7ELNS1_3repE0EEENS1_30default_config_static_selectorELNS0_4arch9wavefront6targetE0EEEvT1_
    .private_segment_fixed_size: 0
    .sgpr_count:     0
    .sgpr_spill_count: 0
    .symbol:         _ZN7rocprim17ROCPRIM_400000_NS6detail17trampoline_kernelINS0_14default_configENS1_25partition_config_selectorILNS1_17partition_subalgoE9EllbEEZZNS1_14partition_implILS5_9ELb0ES3_jPlS8_PNS0_10empty_typeENS0_5tupleIJS8_S9_EEENSB_IJS8_SA_EEENS0_18inequality_wrapperIZN2at6native12_GLOBAL__N_124unique_dim_cuda_templateIsEESt5tupleIJNSF_6TensorESK_SK_EERKSK_lbbbEUlllE0_EEPmJS9_EEE10hipError_tPvRmT3_T4_T5_T6_T7_T9_mT8_P12ihipStream_tbDpT10_ENKUlT_T0_E_clISt17integral_constantIbLb0EES1A_EEDaS15_S16_EUlS15_E_NS1_11comp_targetILNS1_3genE3ELNS1_11target_archE908ELNS1_3gpuE7ELNS1_3repE0EEENS1_30default_config_static_selectorELNS0_4arch9wavefront6targetE0EEEvT1_.kd
    .uniform_work_group_size: 1
    .uses_dynamic_stack: false
    .vgpr_count:     0
    .vgpr_spill_count: 0
    .wavefront_size: 32
    .workgroup_processor_mode: 1
  - .args:
      - .offset:         0
        .size:           120
        .value_kind:     by_value
    .group_segment_fixed_size: 0
    .kernarg_segment_align: 8
    .kernarg_segment_size: 120
    .language:       OpenCL C
    .language_version:
      - 2
      - 0
    .max_flat_workgroup_size: 192
    .name:           _ZN7rocprim17ROCPRIM_400000_NS6detail17trampoline_kernelINS0_14default_configENS1_25partition_config_selectorILNS1_17partition_subalgoE9EllbEEZZNS1_14partition_implILS5_9ELb0ES3_jPlS8_PNS0_10empty_typeENS0_5tupleIJS8_S9_EEENSB_IJS8_SA_EEENS0_18inequality_wrapperIZN2at6native12_GLOBAL__N_124unique_dim_cuda_templateIsEESt5tupleIJNSF_6TensorESK_SK_EERKSK_lbbbEUlllE0_EEPmJS9_EEE10hipError_tPvRmT3_T4_T5_T6_T7_T9_mT8_P12ihipStream_tbDpT10_ENKUlT_T0_E_clISt17integral_constantIbLb0EES1A_EEDaS15_S16_EUlS15_E_NS1_11comp_targetILNS1_3genE2ELNS1_11target_archE906ELNS1_3gpuE6ELNS1_3repE0EEENS1_30default_config_static_selectorELNS0_4arch9wavefront6targetE0EEEvT1_
    .private_segment_fixed_size: 0
    .sgpr_count:     0
    .sgpr_spill_count: 0
    .symbol:         _ZN7rocprim17ROCPRIM_400000_NS6detail17trampoline_kernelINS0_14default_configENS1_25partition_config_selectorILNS1_17partition_subalgoE9EllbEEZZNS1_14partition_implILS5_9ELb0ES3_jPlS8_PNS0_10empty_typeENS0_5tupleIJS8_S9_EEENSB_IJS8_SA_EEENS0_18inequality_wrapperIZN2at6native12_GLOBAL__N_124unique_dim_cuda_templateIsEESt5tupleIJNSF_6TensorESK_SK_EERKSK_lbbbEUlllE0_EEPmJS9_EEE10hipError_tPvRmT3_T4_T5_T6_T7_T9_mT8_P12ihipStream_tbDpT10_ENKUlT_T0_E_clISt17integral_constantIbLb0EES1A_EEDaS15_S16_EUlS15_E_NS1_11comp_targetILNS1_3genE2ELNS1_11target_archE906ELNS1_3gpuE6ELNS1_3repE0EEENS1_30default_config_static_selectorELNS0_4arch9wavefront6targetE0EEEvT1_.kd
    .uniform_work_group_size: 1
    .uses_dynamic_stack: false
    .vgpr_count:     0
    .vgpr_spill_count: 0
    .wavefront_size: 32
    .workgroup_processor_mode: 1
  - .args:
      - .offset:         0
        .size:           120
        .value_kind:     by_value
    .group_segment_fixed_size: 0
    .kernarg_segment_align: 8
    .kernarg_segment_size: 120
    .language:       OpenCL C
    .language_version:
      - 2
      - 0
    .max_flat_workgroup_size: 384
    .name:           _ZN7rocprim17ROCPRIM_400000_NS6detail17trampoline_kernelINS0_14default_configENS1_25partition_config_selectorILNS1_17partition_subalgoE9EllbEEZZNS1_14partition_implILS5_9ELb0ES3_jPlS8_PNS0_10empty_typeENS0_5tupleIJS8_S9_EEENSB_IJS8_SA_EEENS0_18inequality_wrapperIZN2at6native12_GLOBAL__N_124unique_dim_cuda_templateIsEESt5tupleIJNSF_6TensorESK_SK_EERKSK_lbbbEUlllE0_EEPmJS9_EEE10hipError_tPvRmT3_T4_T5_T6_T7_T9_mT8_P12ihipStream_tbDpT10_ENKUlT_T0_E_clISt17integral_constantIbLb0EES1A_EEDaS15_S16_EUlS15_E_NS1_11comp_targetILNS1_3genE10ELNS1_11target_archE1200ELNS1_3gpuE4ELNS1_3repE0EEENS1_30default_config_static_selectorELNS0_4arch9wavefront6targetE0EEEvT1_
    .private_segment_fixed_size: 0
    .sgpr_count:     0
    .sgpr_spill_count: 0
    .symbol:         _ZN7rocprim17ROCPRIM_400000_NS6detail17trampoline_kernelINS0_14default_configENS1_25partition_config_selectorILNS1_17partition_subalgoE9EllbEEZZNS1_14partition_implILS5_9ELb0ES3_jPlS8_PNS0_10empty_typeENS0_5tupleIJS8_S9_EEENSB_IJS8_SA_EEENS0_18inequality_wrapperIZN2at6native12_GLOBAL__N_124unique_dim_cuda_templateIsEESt5tupleIJNSF_6TensorESK_SK_EERKSK_lbbbEUlllE0_EEPmJS9_EEE10hipError_tPvRmT3_T4_T5_T6_T7_T9_mT8_P12ihipStream_tbDpT10_ENKUlT_T0_E_clISt17integral_constantIbLb0EES1A_EEDaS15_S16_EUlS15_E_NS1_11comp_targetILNS1_3genE10ELNS1_11target_archE1200ELNS1_3gpuE4ELNS1_3repE0EEENS1_30default_config_static_selectorELNS0_4arch9wavefront6targetE0EEEvT1_.kd
    .uniform_work_group_size: 1
    .uses_dynamic_stack: false
    .vgpr_count:     0
    .vgpr_spill_count: 0
    .wavefront_size: 32
    .workgroup_processor_mode: 1
  - .args:
      - .offset:         0
        .size:           120
        .value_kind:     by_value
    .group_segment_fixed_size: 33804
    .kernarg_segment_align: 8
    .kernarg_segment_size: 120
    .language:       OpenCL C
    .language_version:
      - 2
      - 0
    .max_flat_workgroup_size: 512
    .name:           _ZN7rocprim17ROCPRIM_400000_NS6detail17trampoline_kernelINS0_14default_configENS1_25partition_config_selectorILNS1_17partition_subalgoE9EllbEEZZNS1_14partition_implILS5_9ELb0ES3_jPlS8_PNS0_10empty_typeENS0_5tupleIJS8_S9_EEENSB_IJS8_SA_EEENS0_18inequality_wrapperIZN2at6native12_GLOBAL__N_124unique_dim_cuda_templateIsEESt5tupleIJNSF_6TensorESK_SK_EERKSK_lbbbEUlllE0_EEPmJS9_EEE10hipError_tPvRmT3_T4_T5_T6_T7_T9_mT8_P12ihipStream_tbDpT10_ENKUlT_T0_E_clISt17integral_constantIbLb0EES1A_EEDaS15_S16_EUlS15_E_NS1_11comp_targetILNS1_3genE9ELNS1_11target_archE1100ELNS1_3gpuE3ELNS1_3repE0EEENS1_30default_config_static_selectorELNS0_4arch9wavefront6targetE0EEEvT1_
    .private_segment_fixed_size: 0
    .sgpr_count:     38
    .sgpr_spill_count: 0
    .symbol:         _ZN7rocprim17ROCPRIM_400000_NS6detail17trampoline_kernelINS0_14default_configENS1_25partition_config_selectorILNS1_17partition_subalgoE9EllbEEZZNS1_14partition_implILS5_9ELb0ES3_jPlS8_PNS0_10empty_typeENS0_5tupleIJS8_S9_EEENSB_IJS8_SA_EEENS0_18inequality_wrapperIZN2at6native12_GLOBAL__N_124unique_dim_cuda_templateIsEESt5tupleIJNSF_6TensorESK_SK_EERKSK_lbbbEUlllE0_EEPmJS9_EEE10hipError_tPvRmT3_T4_T5_T6_T7_T9_mT8_P12ihipStream_tbDpT10_ENKUlT_T0_E_clISt17integral_constantIbLb0EES1A_EEDaS15_S16_EUlS15_E_NS1_11comp_targetILNS1_3genE9ELNS1_11target_archE1100ELNS1_3gpuE3ELNS1_3repE0EEENS1_30default_config_static_selectorELNS0_4arch9wavefront6targetE0EEEvT1_.kd
    .uniform_work_group_size: 1
    .uses_dynamic_stack: false
    .vgpr_count:     68
    .vgpr_spill_count: 0
    .wavefront_size: 32
    .workgroup_processor_mode: 1
  - .args:
      - .offset:         0
        .size:           120
        .value_kind:     by_value
    .group_segment_fixed_size: 0
    .kernarg_segment_align: 8
    .kernarg_segment_size: 120
    .language:       OpenCL C
    .language_version:
      - 2
      - 0
    .max_flat_workgroup_size: 512
    .name:           _ZN7rocprim17ROCPRIM_400000_NS6detail17trampoline_kernelINS0_14default_configENS1_25partition_config_selectorILNS1_17partition_subalgoE9EllbEEZZNS1_14partition_implILS5_9ELb0ES3_jPlS8_PNS0_10empty_typeENS0_5tupleIJS8_S9_EEENSB_IJS8_SA_EEENS0_18inequality_wrapperIZN2at6native12_GLOBAL__N_124unique_dim_cuda_templateIsEESt5tupleIJNSF_6TensorESK_SK_EERKSK_lbbbEUlllE0_EEPmJS9_EEE10hipError_tPvRmT3_T4_T5_T6_T7_T9_mT8_P12ihipStream_tbDpT10_ENKUlT_T0_E_clISt17integral_constantIbLb0EES1A_EEDaS15_S16_EUlS15_E_NS1_11comp_targetILNS1_3genE8ELNS1_11target_archE1030ELNS1_3gpuE2ELNS1_3repE0EEENS1_30default_config_static_selectorELNS0_4arch9wavefront6targetE0EEEvT1_
    .private_segment_fixed_size: 0
    .sgpr_count:     0
    .sgpr_spill_count: 0
    .symbol:         _ZN7rocprim17ROCPRIM_400000_NS6detail17trampoline_kernelINS0_14default_configENS1_25partition_config_selectorILNS1_17partition_subalgoE9EllbEEZZNS1_14partition_implILS5_9ELb0ES3_jPlS8_PNS0_10empty_typeENS0_5tupleIJS8_S9_EEENSB_IJS8_SA_EEENS0_18inequality_wrapperIZN2at6native12_GLOBAL__N_124unique_dim_cuda_templateIsEESt5tupleIJNSF_6TensorESK_SK_EERKSK_lbbbEUlllE0_EEPmJS9_EEE10hipError_tPvRmT3_T4_T5_T6_T7_T9_mT8_P12ihipStream_tbDpT10_ENKUlT_T0_E_clISt17integral_constantIbLb0EES1A_EEDaS15_S16_EUlS15_E_NS1_11comp_targetILNS1_3genE8ELNS1_11target_archE1030ELNS1_3gpuE2ELNS1_3repE0EEENS1_30default_config_static_selectorELNS0_4arch9wavefront6targetE0EEEvT1_.kd
    .uniform_work_group_size: 1
    .uses_dynamic_stack: false
    .vgpr_count:     0
    .vgpr_spill_count: 0
    .wavefront_size: 32
    .workgroup_processor_mode: 1
  - .args:
      - .offset:         0
        .size:           136
        .value_kind:     by_value
    .group_segment_fixed_size: 0
    .kernarg_segment_align: 8
    .kernarg_segment_size: 136
    .language:       OpenCL C
    .language_version:
      - 2
      - 0
    .max_flat_workgroup_size: 128
    .name:           _ZN7rocprim17ROCPRIM_400000_NS6detail17trampoline_kernelINS0_14default_configENS1_25partition_config_selectorILNS1_17partition_subalgoE9EllbEEZZNS1_14partition_implILS5_9ELb0ES3_jPlS8_PNS0_10empty_typeENS0_5tupleIJS8_S9_EEENSB_IJS8_SA_EEENS0_18inequality_wrapperIZN2at6native12_GLOBAL__N_124unique_dim_cuda_templateIsEESt5tupleIJNSF_6TensorESK_SK_EERKSK_lbbbEUlllE0_EEPmJS9_EEE10hipError_tPvRmT3_T4_T5_T6_T7_T9_mT8_P12ihipStream_tbDpT10_ENKUlT_T0_E_clISt17integral_constantIbLb1EES1A_EEDaS15_S16_EUlS15_E_NS1_11comp_targetILNS1_3genE0ELNS1_11target_archE4294967295ELNS1_3gpuE0ELNS1_3repE0EEENS1_30default_config_static_selectorELNS0_4arch9wavefront6targetE0EEEvT1_
    .private_segment_fixed_size: 0
    .sgpr_count:     0
    .sgpr_spill_count: 0
    .symbol:         _ZN7rocprim17ROCPRIM_400000_NS6detail17trampoline_kernelINS0_14default_configENS1_25partition_config_selectorILNS1_17partition_subalgoE9EllbEEZZNS1_14partition_implILS5_9ELb0ES3_jPlS8_PNS0_10empty_typeENS0_5tupleIJS8_S9_EEENSB_IJS8_SA_EEENS0_18inequality_wrapperIZN2at6native12_GLOBAL__N_124unique_dim_cuda_templateIsEESt5tupleIJNSF_6TensorESK_SK_EERKSK_lbbbEUlllE0_EEPmJS9_EEE10hipError_tPvRmT3_T4_T5_T6_T7_T9_mT8_P12ihipStream_tbDpT10_ENKUlT_T0_E_clISt17integral_constantIbLb1EES1A_EEDaS15_S16_EUlS15_E_NS1_11comp_targetILNS1_3genE0ELNS1_11target_archE4294967295ELNS1_3gpuE0ELNS1_3repE0EEENS1_30default_config_static_selectorELNS0_4arch9wavefront6targetE0EEEvT1_.kd
    .uniform_work_group_size: 1
    .uses_dynamic_stack: false
    .vgpr_count:     0
    .vgpr_spill_count: 0
    .wavefront_size: 32
    .workgroup_processor_mode: 1
  - .args:
      - .offset:         0
        .size:           136
        .value_kind:     by_value
    .group_segment_fixed_size: 0
    .kernarg_segment_align: 8
    .kernarg_segment_size: 136
    .language:       OpenCL C
    .language_version:
      - 2
      - 0
    .max_flat_workgroup_size: 512
    .name:           _ZN7rocprim17ROCPRIM_400000_NS6detail17trampoline_kernelINS0_14default_configENS1_25partition_config_selectorILNS1_17partition_subalgoE9EllbEEZZNS1_14partition_implILS5_9ELb0ES3_jPlS8_PNS0_10empty_typeENS0_5tupleIJS8_S9_EEENSB_IJS8_SA_EEENS0_18inequality_wrapperIZN2at6native12_GLOBAL__N_124unique_dim_cuda_templateIsEESt5tupleIJNSF_6TensorESK_SK_EERKSK_lbbbEUlllE0_EEPmJS9_EEE10hipError_tPvRmT3_T4_T5_T6_T7_T9_mT8_P12ihipStream_tbDpT10_ENKUlT_T0_E_clISt17integral_constantIbLb1EES1A_EEDaS15_S16_EUlS15_E_NS1_11comp_targetILNS1_3genE5ELNS1_11target_archE942ELNS1_3gpuE9ELNS1_3repE0EEENS1_30default_config_static_selectorELNS0_4arch9wavefront6targetE0EEEvT1_
    .private_segment_fixed_size: 0
    .sgpr_count:     0
    .sgpr_spill_count: 0
    .symbol:         _ZN7rocprim17ROCPRIM_400000_NS6detail17trampoline_kernelINS0_14default_configENS1_25partition_config_selectorILNS1_17partition_subalgoE9EllbEEZZNS1_14partition_implILS5_9ELb0ES3_jPlS8_PNS0_10empty_typeENS0_5tupleIJS8_S9_EEENSB_IJS8_SA_EEENS0_18inequality_wrapperIZN2at6native12_GLOBAL__N_124unique_dim_cuda_templateIsEESt5tupleIJNSF_6TensorESK_SK_EERKSK_lbbbEUlllE0_EEPmJS9_EEE10hipError_tPvRmT3_T4_T5_T6_T7_T9_mT8_P12ihipStream_tbDpT10_ENKUlT_T0_E_clISt17integral_constantIbLb1EES1A_EEDaS15_S16_EUlS15_E_NS1_11comp_targetILNS1_3genE5ELNS1_11target_archE942ELNS1_3gpuE9ELNS1_3repE0EEENS1_30default_config_static_selectorELNS0_4arch9wavefront6targetE0EEEvT1_.kd
    .uniform_work_group_size: 1
    .uses_dynamic_stack: false
    .vgpr_count:     0
    .vgpr_spill_count: 0
    .wavefront_size: 32
    .workgroup_processor_mode: 1
  - .args:
      - .offset:         0
        .size:           136
        .value_kind:     by_value
    .group_segment_fixed_size: 0
    .kernarg_segment_align: 8
    .kernarg_segment_size: 136
    .language:       OpenCL C
    .language_version:
      - 2
      - 0
    .max_flat_workgroup_size: 128
    .name:           _ZN7rocprim17ROCPRIM_400000_NS6detail17trampoline_kernelINS0_14default_configENS1_25partition_config_selectorILNS1_17partition_subalgoE9EllbEEZZNS1_14partition_implILS5_9ELb0ES3_jPlS8_PNS0_10empty_typeENS0_5tupleIJS8_S9_EEENSB_IJS8_SA_EEENS0_18inequality_wrapperIZN2at6native12_GLOBAL__N_124unique_dim_cuda_templateIsEESt5tupleIJNSF_6TensorESK_SK_EERKSK_lbbbEUlllE0_EEPmJS9_EEE10hipError_tPvRmT3_T4_T5_T6_T7_T9_mT8_P12ihipStream_tbDpT10_ENKUlT_T0_E_clISt17integral_constantIbLb1EES1A_EEDaS15_S16_EUlS15_E_NS1_11comp_targetILNS1_3genE4ELNS1_11target_archE910ELNS1_3gpuE8ELNS1_3repE0EEENS1_30default_config_static_selectorELNS0_4arch9wavefront6targetE0EEEvT1_
    .private_segment_fixed_size: 0
    .sgpr_count:     0
    .sgpr_spill_count: 0
    .symbol:         _ZN7rocprim17ROCPRIM_400000_NS6detail17trampoline_kernelINS0_14default_configENS1_25partition_config_selectorILNS1_17partition_subalgoE9EllbEEZZNS1_14partition_implILS5_9ELb0ES3_jPlS8_PNS0_10empty_typeENS0_5tupleIJS8_S9_EEENSB_IJS8_SA_EEENS0_18inequality_wrapperIZN2at6native12_GLOBAL__N_124unique_dim_cuda_templateIsEESt5tupleIJNSF_6TensorESK_SK_EERKSK_lbbbEUlllE0_EEPmJS9_EEE10hipError_tPvRmT3_T4_T5_T6_T7_T9_mT8_P12ihipStream_tbDpT10_ENKUlT_T0_E_clISt17integral_constantIbLb1EES1A_EEDaS15_S16_EUlS15_E_NS1_11comp_targetILNS1_3genE4ELNS1_11target_archE910ELNS1_3gpuE8ELNS1_3repE0EEENS1_30default_config_static_selectorELNS0_4arch9wavefront6targetE0EEEvT1_.kd
    .uniform_work_group_size: 1
    .uses_dynamic_stack: false
    .vgpr_count:     0
    .vgpr_spill_count: 0
    .wavefront_size: 32
    .workgroup_processor_mode: 1
  - .args:
      - .offset:         0
        .size:           136
        .value_kind:     by_value
    .group_segment_fixed_size: 0
    .kernarg_segment_align: 8
    .kernarg_segment_size: 136
    .language:       OpenCL C
    .language_version:
      - 2
      - 0
    .max_flat_workgroup_size: 128
    .name:           _ZN7rocprim17ROCPRIM_400000_NS6detail17trampoline_kernelINS0_14default_configENS1_25partition_config_selectorILNS1_17partition_subalgoE9EllbEEZZNS1_14partition_implILS5_9ELb0ES3_jPlS8_PNS0_10empty_typeENS0_5tupleIJS8_S9_EEENSB_IJS8_SA_EEENS0_18inequality_wrapperIZN2at6native12_GLOBAL__N_124unique_dim_cuda_templateIsEESt5tupleIJNSF_6TensorESK_SK_EERKSK_lbbbEUlllE0_EEPmJS9_EEE10hipError_tPvRmT3_T4_T5_T6_T7_T9_mT8_P12ihipStream_tbDpT10_ENKUlT_T0_E_clISt17integral_constantIbLb1EES1A_EEDaS15_S16_EUlS15_E_NS1_11comp_targetILNS1_3genE3ELNS1_11target_archE908ELNS1_3gpuE7ELNS1_3repE0EEENS1_30default_config_static_selectorELNS0_4arch9wavefront6targetE0EEEvT1_
    .private_segment_fixed_size: 0
    .sgpr_count:     0
    .sgpr_spill_count: 0
    .symbol:         _ZN7rocprim17ROCPRIM_400000_NS6detail17trampoline_kernelINS0_14default_configENS1_25partition_config_selectorILNS1_17partition_subalgoE9EllbEEZZNS1_14partition_implILS5_9ELb0ES3_jPlS8_PNS0_10empty_typeENS0_5tupleIJS8_S9_EEENSB_IJS8_SA_EEENS0_18inequality_wrapperIZN2at6native12_GLOBAL__N_124unique_dim_cuda_templateIsEESt5tupleIJNSF_6TensorESK_SK_EERKSK_lbbbEUlllE0_EEPmJS9_EEE10hipError_tPvRmT3_T4_T5_T6_T7_T9_mT8_P12ihipStream_tbDpT10_ENKUlT_T0_E_clISt17integral_constantIbLb1EES1A_EEDaS15_S16_EUlS15_E_NS1_11comp_targetILNS1_3genE3ELNS1_11target_archE908ELNS1_3gpuE7ELNS1_3repE0EEENS1_30default_config_static_selectorELNS0_4arch9wavefront6targetE0EEEvT1_.kd
    .uniform_work_group_size: 1
    .uses_dynamic_stack: false
    .vgpr_count:     0
    .vgpr_spill_count: 0
    .wavefront_size: 32
    .workgroup_processor_mode: 1
  - .args:
      - .offset:         0
        .size:           136
        .value_kind:     by_value
    .group_segment_fixed_size: 0
    .kernarg_segment_align: 8
    .kernarg_segment_size: 136
    .language:       OpenCL C
    .language_version:
      - 2
      - 0
    .max_flat_workgroup_size: 192
    .name:           _ZN7rocprim17ROCPRIM_400000_NS6detail17trampoline_kernelINS0_14default_configENS1_25partition_config_selectorILNS1_17partition_subalgoE9EllbEEZZNS1_14partition_implILS5_9ELb0ES3_jPlS8_PNS0_10empty_typeENS0_5tupleIJS8_S9_EEENSB_IJS8_SA_EEENS0_18inequality_wrapperIZN2at6native12_GLOBAL__N_124unique_dim_cuda_templateIsEESt5tupleIJNSF_6TensorESK_SK_EERKSK_lbbbEUlllE0_EEPmJS9_EEE10hipError_tPvRmT3_T4_T5_T6_T7_T9_mT8_P12ihipStream_tbDpT10_ENKUlT_T0_E_clISt17integral_constantIbLb1EES1A_EEDaS15_S16_EUlS15_E_NS1_11comp_targetILNS1_3genE2ELNS1_11target_archE906ELNS1_3gpuE6ELNS1_3repE0EEENS1_30default_config_static_selectorELNS0_4arch9wavefront6targetE0EEEvT1_
    .private_segment_fixed_size: 0
    .sgpr_count:     0
    .sgpr_spill_count: 0
    .symbol:         _ZN7rocprim17ROCPRIM_400000_NS6detail17trampoline_kernelINS0_14default_configENS1_25partition_config_selectorILNS1_17partition_subalgoE9EllbEEZZNS1_14partition_implILS5_9ELb0ES3_jPlS8_PNS0_10empty_typeENS0_5tupleIJS8_S9_EEENSB_IJS8_SA_EEENS0_18inequality_wrapperIZN2at6native12_GLOBAL__N_124unique_dim_cuda_templateIsEESt5tupleIJNSF_6TensorESK_SK_EERKSK_lbbbEUlllE0_EEPmJS9_EEE10hipError_tPvRmT3_T4_T5_T6_T7_T9_mT8_P12ihipStream_tbDpT10_ENKUlT_T0_E_clISt17integral_constantIbLb1EES1A_EEDaS15_S16_EUlS15_E_NS1_11comp_targetILNS1_3genE2ELNS1_11target_archE906ELNS1_3gpuE6ELNS1_3repE0EEENS1_30default_config_static_selectorELNS0_4arch9wavefront6targetE0EEEvT1_.kd
    .uniform_work_group_size: 1
    .uses_dynamic_stack: false
    .vgpr_count:     0
    .vgpr_spill_count: 0
    .wavefront_size: 32
    .workgroup_processor_mode: 1
  - .args:
      - .offset:         0
        .size:           136
        .value_kind:     by_value
    .group_segment_fixed_size: 0
    .kernarg_segment_align: 8
    .kernarg_segment_size: 136
    .language:       OpenCL C
    .language_version:
      - 2
      - 0
    .max_flat_workgroup_size: 384
    .name:           _ZN7rocprim17ROCPRIM_400000_NS6detail17trampoline_kernelINS0_14default_configENS1_25partition_config_selectorILNS1_17partition_subalgoE9EllbEEZZNS1_14partition_implILS5_9ELb0ES3_jPlS8_PNS0_10empty_typeENS0_5tupleIJS8_S9_EEENSB_IJS8_SA_EEENS0_18inequality_wrapperIZN2at6native12_GLOBAL__N_124unique_dim_cuda_templateIsEESt5tupleIJNSF_6TensorESK_SK_EERKSK_lbbbEUlllE0_EEPmJS9_EEE10hipError_tPvRmT3_T4_T5_T6_T7_T9_mT8_P12ihipStream_tbDpT10_ENKUlT_T0_E_clISt17integral_constantIbLb1EES1A_EEDaS15_S16_EUlS15_E_NS1_11comp_targetILNS1_3genE10ELNS1_11target_archE1200ELNS1_3gpuE4ELNS1_3repE0EEENS1_30default_config_static_selectorELNS0_4arch9wavefront6targetE0EEEvT1_
    .private_segment_fixed_size: 0
    .sgpr_count:     0
    .sgpr_spill_count: 0
    .symbol:         _ZN7rocprim17ROCPRIM_400000_NS6detail17trampoline_kernelINS0_14default_configENS1_25partition_config_selectorILNS1_17partition_subalgoE9EllbEEZZNS1_14partition_implILS5_9ELb0ES3_jPlS8_PNS0_10empty_typeENS0_5tupleIJS8_S9_EEENSB_IJS8_SA_EEENS0_18inequality_wrapperIZN2at6native12_GLOBAL__N_124unique_dim_cuda_templateIsEESt5tupleIJNSF_6TensorESK_SK_EERKSK_lbbbEUlllE0_EEPmJS9_EEE10hipError_tPvRmT3_T4_T5_T6_T7_T9_mT8_P12ihipStream_tbDpT10_ENKUlT_T0_E_clISt17integral_constantIbLb1EES1A_EEDaS15_S16_EUlS15_E_NS1_11comp_targetILNS1_3genE10ELNS1_11target_archE1200ELNS1_3gpuE4ELNS1_3repE0EEENS1_30default_config_static_selectorELNS0_4arch9wavefront6targetE0EEEvT1_.kd
    .uniform_work_group_size: 1
    .uses_dynamic_stack: false
    .vgpr_count:     0
    .vgpr_spill_count: 0
    .wavefront_size: 32
    .workgroup_processor_mode: 1
  - .args:
      - .offset:         0
        .size:           136
        .value_kind:     by_value
    .group_segment_fixed_size: 33804
    .kernarg_segment_align: 8
    .kernarg_segment_size: 136
    .language:       OpenCL C
    .language_version:
      - 2
      - 0
    .max_flat_workgroup_size: 512
    .name:           _ZN7rocprim17ROCPRIM_400000_NS6detail17trampoline_kernelINS0_14default_configENS1_25partition_config_selectorILNS1_17partition_subalgoE9EllbEEZZNS1_14partition_implILS5_9ELb0ES3_jPlS8_PNS0_10empty_typeENS0_5tupleIJS8_S9_EEENSB_IJS8_SA_EEENS0_18inequality_wrapperIZN2at6native12_GLOBAL__N_124unique_dim_cuda_templateIsEESt5tupleIJNSF_6TensorESK_SK_EERKSK_lbbbEUlllE0_EEPmJS9_EEE10hipError_tPvRmT3_T4_T5_T6_T7_T9_mT8_P12ihipStream_tbDpT10_ENKUlT_T0_E_clISt17integral_constantIbLb1EES1A_EEDaS15_S16_EUlS15_E_NS1_11comp_targetILNS1_3genE9ELNS1_11target_archE1100ELNS1_3gpuE3ELNS1_3repE0EEENS1_30default_config_static_selectorELNS0_4arch9wavefront6targetE0EEEvT1_
    .private_segment_fixed_size: 0
    .sgpr_count:     42
    .sgpr_spill_count: 0
    .symbol:         _ZN7rocprim17ROCPRIM_400000_NS6detail17trampoline_kernelINS0_14default_configENS1_25partition_config_selectorILNS1_17partition_subalgoE9EllbEEZZNS1_14partition_implILS5_9ELb0ES3_jPlS8_PNS0_10empty_typeENS0_5tupleIJS8_S9_EEENSB_IJS8_SA_EEENS0_18inequality_wrapperIZN2at6native12_GLOBAL__N_124unique_dim_cuda_templateIsEESt5tupleIJNSF_6TensorESK_SK_EERKSK_lbbbEUlllE0_EEPmJS9_EEE10hipError_tPvRmT3_T4_T5_T6_T7_T9_mT8_P12ihipStream_tbDpT10_ENKUlT_T0_E_clISt17integral_constantIbLb1EES1A_EEDaS15_S16_EUlS15_E_NS1_11comp_targetILNS1_3genE9ELNS1_11target_archE1100ELNS1_3gpuE3ELNS1_3repE0EEENS1_30default_config_static_selectorELNS0_4arch9wavefront6targetE0EEEvT1_.kd
    .uniform_work_group_size: 1
    .uses_dynamic_stack: false
    .vgpr_count:     68
    .vgpr_spill_count: 0
    .wavefront_size: 32
    .workgroup_processor_mode: 1
  - .args:
      - .offset:         0
        .size:           136
        .value_kind:     by_value
    .group_segment_fixed_size: 0
    .kernarg_segment_align: 8
    .kernarg_segment_size: 136
    .language:       OpenCL C
    .language_version:
      - 2
      - 0
    .max_flat_workgroup_size: 512
    .name:           _ZN7rocprim17ROCPRIM_400000_NS6detail17trampoline_kernelINS0_14default_configENS1_25partition_config_selectorILNS1_17partition_subalgoE9EllbEEZZNS1_14partition_implILS5_9ELb0ES3_jPlS8_PNS0_10empty_typeENS0_5tupleIJS8_S9_EEENSB_IJS8_SA_EEENS0_18inequality_wrapperIZN2at6native12_GLOBAL__N_124unique_dim_cuda_templateIsEESt5tupleIJNSF_6TensorESK_SK_EERKSK_lbbbEUlllE0_EEPmJS9_EEE10hipError_tPvRmT3_T4_T5_T6_T7_T9_mT8_P12ihipStream_tbDpT10_ENKUlT_T0_E_clISt17integral_constantIbLb1EES1A_EEDaS15_S16_EUlS15_E_NS1_11comp_targetILNS1_3genE8ELNS1_11target_archE1030ELNS1_3gpuE2ELNS1_3repE0EEENS1_30default_config_static_selectorELNS0_4arch9wavefront6targetE0EEEvT1_
    .private_segment_fixed_size: 0
    .sgpr_count:     0
    .sgpr_spill_count: 0
    .symbol:         _ZN7rocprim17ROCPRIM_400000_NS6detail17trampoline_kernelINS0_14default_configENS1_25partition_config_selectorILNS1_17partition_subalgoE9EllbEEZZNS1_14partition_implILS5_9ELb0ES3_jPlS8_PNS0_10empty_typeENS0_5tupleIJS8_S9_EEENSB_IJS8_SA_EEENS0_18inequality_wrapperIZN2at6native12_GLOBAL__N_124unique_dim_cuda_templateIsEESt5tupleIJNSF_6TensorESK_SK_EERKSK_lbbbEUlllE0_EEPmJS9_EEE10hipError_tPvRmT3_T4_T5_T6_T7_T9_mT8_P12ihipStream_tbDpT10_ENKUlT_T0_E_clISt17integral_constantIbLb1EES1A_EEDaS15_S16_EUlS15_E_NS1_11comp_targetILNS1_3genE8ELNS1_11target_archE1030ELNS1_3gpuE2ELNS1_3repE0EEENS1_30default_config_static_selectorELNS0_4arch9wavefront6targetE0EEEvT1_.kd
    .uniform_work_group_size: 1
    .uses_dynamic_stack: false
    .vgpr_count:     0
    .vgpr_spill_count: 0
    .wavefront_size: 32
    .workgroup_processor_mode: 1
  - .args:
      - .offset:         0
        .size:           120
        .value_kind:     by_value
    .group_segment_fixed_size: 0
    .kernarg_segment_align: 8
    .kernarg_segment_size: 120
    .language:       OpenCL C
    .language_version:
      - 2
      - 0
    .max_flat_workgroup_size: 128
    .name:           _ZN7rocprim17ROCPRIM_400000_NS6detail17trampoline_kernelINS0_14default_configENS1_25partition_config_selectorILNS1_17partition_subalgoE9EllbEEZZNS1_14partition_implILS5_9ELb0ES3_jPlS8_PNS0_10empty_typeENS0_5tupleIJS8_S9_EEENSB_IJS8_SA_EEENS0_18inequality_wrapperIZN2at6native12_GLOBAL__N_124unique_dim_cuda_templateIsEESt5tupleIJNSF_6TensorESK_SK_EERKSK_lbbbEUlllE0_EEPmJS9_EEE10hipError_tPvRmT3_T4_T5_T6_T7_T9_mT8_P12ihipStream_tbDpT10_ENKUlT_T0_E_clISt17integral_constantIbLb1EES19_IbLb0EEEEDaS15_S16_EUlS15_E_NS1_11comp_targetILNS1_3genE0ELNS1_11target_archE4294967295ELNS1_3gpuE0ELNS1_3repE0EEENS1_30default_config_static_selectorELNS0_4arch9wavefront6targetE0EEEvT1_
    .private_segment_fixed_size: 0
    .sgpr_count:     0
    .sgpr_spill_count: 0
    .symbol:         _ZN7rocprim17ROCPRIM_400000_NS6detail17trampoline_kernelINS0_14default_configENS1_25partition_config_selectorILNS1_17partition_subalgoE9EllbEEZZNS1_14partition_implILS5_9ELb0ES3_jPlS8_PNS0_10empty_typeENS0_5tupleIJS8_S9_EEENSB_IJS8_SA_EEENS0_18inequality_wrapperIZN2at6native12_GLOBAL__N_124unique_dim_cuda_templateIsEESt5tupleIJNSF_6TensorESK_SK_EERKSK_lbbbEUlllE0_EEPmJS9_EEE10hipError_tPvRmT3_T4_T5_T6_T7_T9_mT8_P12ihipStream_tbDpT10_ENKUlT_T0_E_clISt17integral_constantIbLb1EES19_IbLb0EEEEDaS15_S16_EUlS15_E_NS1_11comp_targetILNS1_3genE0ELNS1_11target_archE4294967295ELNS1_3gpuE0ELNS1_3repE0EEENS1_30default_config_static_selectorELNS0_4arch9wavefront6targetE0EEEvT1_.kd
    .uniform_work_group_size: 1
    .uses_dynamic_stack: false
    .vgpr_count:     0
    .vgpr_spill_count: 0
    .wavefront_size: 32
    .workgroup_processor_mode: 1
  - .args:
      - .offset:         0
        .size:           120
        .value_kind:     by_value
    .group_segment_fixed_size: 0
    .kernarg_segment_align: 8
    .kernarg_segment_size: 120
    .language:       OpenCL C
    .language_version:
      - 2
      - 0
    .max_flat_workgroup_size: 512
    .name:           _ZN7rocprim17ROCPRIM_400000_NS6detail17trampoline_kernelINS0_14default_configENS1_25partition_config_selectorILNS1_17partition_subalgoE9EllbEEZZNS1_14partition_implILS5_9ELb0ES3_jPlS8_PNS0_10empty_typeENS0_5tupleIJS8_S9_EEENSB_IJS8_SA_EEENS0_18inequality_wrapperIZN2at6native12_GLOBAL__N_124unique_dim_cuda_templateIsEESt5tupleIJNSF_6TensorESK_SK_EERKSK_lbbbEUlllE0_EEPmJS9_EEE10hipError_tPvRmT3_T4_T5_T6_T7_T9_mT8_P12ihipStream_tbDpT10_ENKUlT_T0_E_clISt17integral_constantIbLb1EES19_IbLb0EEEEDaS15_S16_EUlS15_E_NS1_11comp_targetILNS1_3genE5ELNS1_11target_archE942ELNS1_3gpuE9ELNS1_3repE0EEENS1_30default_config_static_selectorELNS0_4arch9wavefront6targetE0EEEvT1_
    .private_segment_fixed_size: 0
    .sgpr_count:     0
    .sgpr_spill_count: 0
    .symbol:         _ZN7rocprim17ROCPRIM_400000_NS6detail17trampoline_kernelINS0_14default_configENS1_25partition_config_selectorILNS1_17partition_subalgoE9EllbEEZZNS1_14partition_implILS5_9ELb0ES3_jPlS8_PNS0_10empty_typeENS0_5tupleIJS8_S9_EEENSB_IJS8_SA_EEENS0_18inequality_wrapperIZN2at6native12_GLOBAL__N_124unique_dim_cuda_templateIsEESt5tupleIJNSF_6TensorESK_SK_EERKSK_lbbbEUlllE0_EEPmJS9_EEE10hipError_tPvRmT3_T4_T5_T6_T7_T9_mT8_P12ihipStream_tbDpT10_ENKUlT_T0_E_clISt17integral_constantIbLb1EES19_IbLb0EEEEDaS15_S16_EUlS15_E_NS1_11comp_targetILNS1_3genE5ELNS1_11target_archE942ELNS1_3gpuE9ELNS1_3repE0EEENS1_30default_config_static_selectorELNS0_4arch9wavefront6targetE0EEEvT1_.kd
    .uniform_work_group_size: 1
    .uses_dynamic_stack: false
    .vgpr_count:     0
    .vgpr_spill_count: 0
    .wavefront_size: 32
    .workgroup_processor_mode: 1
  - .args:
      - .offset:         0
        .size:           120
        .value_kind:     by_value
    .group_segment_fixed_size: 0
    .kernarg_segment_align: 8
    .kernarg_segment_size: 120
    .language:       OpenCL C
    .language_version:
      - 2
      - 0
    .max_flat_workgroup_size: 128
    .name:           _ZN7rocprim17ROCPRIM_400000_NS6detail17trampoline_kernelINS0_14default_configENS1_25partition_config_selectorILNS1_17partition_subalgoE9EllbEEZZNS1_14partition_implILS5_9ELb0ES3_jPlS8_PNS0_10empty_typeENS0_5tupleIJS8_S9_EEENSB_IJS8_SA_EEENS0_18inequality_wrapperIZN2at6native12_GLOBAL__N_124unique_dim_cuda_templateIsEESt5tupleIJNSF_6TensorESK_SK_EERKSK_lbbbEUlllE0_EEPmJS9_EEE10hipError_tPvRmT3_T4_T5_T6_T7_T9_mT8_P12ihipStream_tbDpT10_ENKUlT_T0_E_clISt17integral_constantIbLb1EES19_IbLb0EEEEDaS15_S16_EUlS15_E_NS1_11comp_targetILNS1_3genE4ELNS1_11target_archE910ELNS1_3gpuE8ELNS1_3repE0EEENS1_30default_config_static_selectorELNS0_4arch9wavefront6targetE0EEEvT1_
    .private_segment_fixed_size: 0
    .sgpr_count:     0
    .sgpr_spill_count: 0
    .symbol:         _ZN7rocprim17ROCPRIM_400000_NS6detail17trampoline_kernelINS0_14default_configENS1_25partition_config_selectorILNS1_17partition_subalgoE9EllbEEZZNS1_14partition_implILS5_9ELb0ES3_jPlS8_PNS0_10empty_typeENS0_5tupleIJS8_S9_EEENSB_IJS8_SA_EEENS0_18inequality_wrapperIZN2at6native12_GLOBAL__N_124unique_dim_cuda_templateIsEESt5tupleIJNSF_6TensorESK_SK_EERKSK_lbbbEUlllE0_EEPmJS9_EEE10hipError_tPvRmT3_T4_T5_T6_T7_T9_mT8_P12ihipStream_tbDpT10_ENKUlT_T0_E_clISt17integral_constantIbLb1EES19_IbLb0EEEEDaS15_S16_EUlS15_E_NS1_11comp_targetILNS1_3genE4ELNS1_11target_archE910ELNS1_3gpuE8ELNS1_3repE0EEENS1_30default_config_static_selectorELNS0_4arch9wavefront6targetE0EEEvT1_.kd
    .uniform_work_group_size: 1
    .uses_dynamic_stack: false
    .vgpr_count:     0
    .vgpr_spill_count: 0
    .wavefront_size: 32
    .workgroup_processor_mode: 1
  - .args:
      - .offset:         0
        .size:           120
        .value_kind:     by_value
    .group_segment_fixed_size: 0
    .kernarg_segment_align: 8
    .kernarg_segment_size: 120
    .language:       OpenCL C
    .language_version:
      - 2
      - 0
    .max_flat_workgroup_size: 128
    .name:           _ZN7rocprim17ROCPRIM_400000_NS6detail17trampoline_kernelINS0_14default_configENS1_25partition_config_selectorILNS1_17partition_subalgoE9EllbEEZZNS1_14partition_implILS5_9ELb0ES3_jPlS8_PNS0_10empty_typeENS0_5tupleIJS8_S9_EEENSB_IJS8_SA_EEENS0_18inequality_wrapperIZN2at6native12_GLOBAL__N_124unique_dim_cuda_templateIsEESt5tupleIJNSF_6TensorESK_SK_EERKSK_lbbbEUlllE0_EEPmJS9_EEE10hipError_tPvRmT3_T4_T5_T6_T7_T9_mT8_P12ihipStream_tbDpT10_ENKUlT_T0_E_clISt17integral_constantIbLb1EES19_IbLb0EEEEDaS15_S16_EUlS15_E_NS1_11comp_targetILNS1_3genE3ELNS1_11target_archE908ELNS1_3gpuE7ELNS1_3repE0EEENS1_30default_config_static_selectorELNS0_4arch9wavefront6targetE0EEEvT1_
    .private_segment_fixed_size: 0
    .sgpr_count:     0
    .sgpr_spill_count: 0
    .symbol:         _ZN7rocprim17ROCPRIM_400000_NS6detail17trampoline_kernelINS0_14default_configENS1_25partition_config_selectorILNS1_17partition_subalgoE9EllbEEZZNS1_14partition_implILS5_9ELb0ES3_jPlS8_PNS0_10empty_typeENS0_5tupleIJS8_S9_EEENSB_IJS8_SA_EEENS0_18inequality_wrapperIZN2at6native12_GLOBAL__N_124unique_dim_cuda_templateIsEESt5tupleIJNSF_6TensorESK_SK_EERKSK_lbbbEUlllE0_EEPmJS9_EEE10hipError_tPvRmT3_T4_T5_T6_T7_T9_mT8_P12ihipStream_tbDpT10_ENKUlT_T0_E_clISt17integral_constantIbLb1EES19_IbLb0EEEEDaS15_S16_EUlS15_E_NS1_11comp_targetILNS1_3genE3ELNS1_11target_archE908ELNS1_3gpuE7ELNS1_3repE0EEENS1_30default_config_static_selectorELNS0_4arch9wavefront6targetE0EEEvT1_.kd
    .uniform_work_group_size: 1
    .uses_dynamic_stack: false
    .vgpr_count:     0
    .vgpr_spill_count: 0
    .wavefront_size: 32
    .workgroup_processor_mode: 1
  - .args:
      - .offset:         0
        .size:           120
        .value_kind:     by_value
    .group_segment_fixed_size: 0
    .kernarg_segment_align: 8
    .kernarg_segment_size: 120
    .language:       OpenCL C
    .language_version:
      - 2
      - 0
    .max_flat_workgroup_size: 192
    .name:           _ZN7rocprim17ROCPRIM_400000_NS6detail17trampoline_kernelINS0_14default_configENS1_25partition_config_selectorILNS1_17partition_subalgoE9EllbEEZZNS1_14partition_implILS5_9ELb0ES3_jPlS8_PNS0_10empty_typeENS0_5tupleIJS8_S9_EEENSB_IJS8_SA_EEENS0_18inequality_wrapperIZN2at6native12_GLOBAL__N_124unique_dim_cuda_templateIsEESt5tupleIJNSF_6TensorESK_SK_EERKSK_lbbbEUlllE0_EEPmJS9_EEE10hipError_tPvRmT3_T4_T5_T6_T7_T9_mT8_P12ihipStream_tbDpT10_ENKUlT_T0_E_clISt17integral_constantIbLb1EES19_IbLb0EEEEDaS15_S16_EUlS15_E_NS1_11comp_targetILNS1_3genE2ELNS1_11target_archE906ELNS1_3gpuE6ELNS1_3repE0EEENS1_30default_config_static_selectorELNS0_4arch9wavefront6targetE0EEEvT1_
    .private_segment_fixed_size: 0
    .sgpr_count:     0
    .sgpr_spill_count: 0
    .symbol:         _ZN7rocprim17ROCPRIM_400000_NS6detail17trampoline_kernelINS0_14default_configENS1_25partition_config_selectorILNS1_17partition_subalgoE9EllbEEZZNS1_14partition_implILS5_9ELb0ES3_jPlS8_PNS0_10empty_typeENS0_5tupleIJS8_S9_EEENSB_IJS8_SA_EEENS0_18inequality_wrapperIZN2at6native12_GLOBAL__N_124unique_dim_cuda_templateIsEESt5tupleIJNSF_6TensorESK_SK_EERKSK_lbbbEUlllE0_EEPmJS9_EEE10hipError_tPvRmT3_T4_T5_T6_T7_T9_mT8_P12ihipStream_tbDpT10_ENKUlT_T0_E_clISt17integral_constantIbLb1EES19_IbLb0EEEEDaS15_S16_EUlS15_E_NS1_11comp_targetILNS1_3genE2ELNS1_11target_archE906ELNS1_3gpuE6ELNS1_3repE0EEENS1_30default_config_static_selectorELNS0_4arch9wavefront6targetE0EEEvT1_.kd
    .uniform_work_group_size: 1
    .uses_dynamic_stack: false
    .vgpr_count:     0
    .vgpr_spill_count: 0
    .wavefront_size: 32
    .workgroup_processor_mode: 1
  - .args:
      - .offset:         0
        .size:           120
        .value_kind:     by_value
    .group_segment_fixed_size: 0
    .kernarg_segment_align: 8
    .kernarg_segment_size: 120
    .language:       OpenCL C
    .language_version:
      - 2
      - 0
    .max_flat_workgroup_size: 384
    .name:           _ZN7rocprim17ROCPRIM_400000_NS6detail17trampoline_kernelINS0_14default_configENS1_25partition_config_selectorILNS1_17partition_subalgoE9EllbEEZZNS1_14partition_implILS5_9ELb0ES3_jPlS8_PNS0_10empty_typeENS0_5tupleIJS8_S9_EEENSB_IJS8_SA_EEENS0_18inequality_wrapperIZN2at6native12_GLOBAL__N_124unique_dim_cuda_templateIsEESt5tupleIJNSF_6TensorESK_SK_EERKSK_lbbbEUlllE0_EEPmJS9_EEE10hipError_tPvRmT3_T4_T5_T6_T7_T9_mT8_P12ihipStream_tbDpT10_ENKUlT_T0_E_clISt17integral_constantIbLb1EES19_IbLb0EEEEDaS15_S16_EUlS15_E_NS1_11comp_targetILNS1_3genE10ELNS1_11target_archE1200ELNS1_3gpuE4ELNS1_3repE0EEENS1_30default_config_static_selectorELNS0_4arch9wavefront6targetE0EEEvT1_
    .private_segment_fixed_size: 0
    .sgpr_count:     0
    .sgpr_spill_count: 0
    .symbol:         _ZN7rocprim17ROCPRIM_400000_NS6detail17trampoline_kernelINS0_14default_configENS1_25partition_config_selectorILNS1_17partition_subalgoE9EllbEEZZNS1_14partition_implILS5_9ELb0ES3_jPlS8_PNS0_10empty_typeENS0_5tupleIJS8_S9_EEENSB_IJS8_SA_EEENS0_18inequality_wrapperIZN2at6native12_GLOBAL__N_124unique_dim_cuda_templateIsEESt5tupleIJNSF_6TensorESK_SK_EERKSK_lbbbEUlllE0_EEPmJS9_EEE10hipError_tPvRmT3_T4_T5_T6_T7_T9_mT8_P12ihipStream_tbDpT10_ENKUlT_T0_E_clISt17integral_constantIbLb1EES19_IbLb0EEEEDaS15_S16_EUlS15_E_NS1_11comp_targetILNS1_3genE10ELNS1_11target_archE1200ELNS1_3gpuE4ELNS1_3repE0EEENS1_30default_config_static_selectorELNS0_4arch9wavefront6targetE0EEEvT1_.kd
    .uniform_work_group_size: 1
    .uses_dynamic_stack: false
    .vgpr_count:     0
    .vgpr_spill_count: 0
    .wavefront_size: 32
    .workgroup_processor_mode: 1
  - .args:
      - .offset:         0
        .size:           120
        .value_kind:     by_value
    .group_segment_fixed_size: 33804
    .kernarg_segment_align: 8
    .kernarg_segment_size: 120
    .language:       OpenCL C
    .language_version:
      - 2
      - 0
    .max_flat_workgroup_size: 512
    .name:           _ZN7rocprim17ROCPRIM_400000_NS6detail17trampoline_kernelINS0_14default_configENS1_25partition_config_selectorILNS1_17partition_subalgoE9EllbEEZZNS1_14partition_implILS5_9ELb0ES3_jPlS8_PNS0_10empty_typeENS0_5tupleIJS8_S9_EEENSB_IJS8_SA_EEENS0_18inequality_wrapperIZN2at6native12_GLOBAL__N_124unique_dim_cuda_templateIsEESt5tupleIJNSF_6TensorESK_SK_EERKSK_lbbbEUlllE0_EEPmJS9_EEE10hipError_tPvRmT3_T4_T5_T6_T7_T9_mT8_P12ihipStream_tbDpT10_ENKUlT_T0_E_clISt17integral_constantIbLb1EES19_IbLb0EEEEDaS15_S16_EUlS15_E_NS1_11comp_targetILNS1_3genE9ELNS1_11target_archE1100ELNS1_3gpuE3ELNS1_3repE0EEENS1_30default_config_static_selectorELNS0_4arch9wavefront6targetE0EEEvT1_
    .private_segment_fixed_size: 0
    .sgpr_count:     38
    .sgpr_spill_count: 0
    .symbol:         _ZN7rocprim17ROCPRIM_400000_NS6detail17trampoline_kernelINS0_14default_configENS1_25partition_config_selectorILNS1_17partition_subalgoE9EllbEEZZNS1_14partition_implILS5_9ELb0ES3_jPlS8_PNS0_10empty_typeENS0_5tupleIJS8_S9_EEENSB_IJS8_SA_EEENS0_18inequality_wrapperIZN2at6native12_GLOBAL__N_124unique_dim_cuda_templateIsEESt5tupleIJNSF_6TensorESK_SK_EERKSK_lbbbEUlllE0_EEPmJS9_EEE10hipError_tPvRmT3_T4_T5_T6_T7_T9_mT8_P12ihipStream_tbDpT10_ENKUlT_T0_E_clISt17integral_constantIbLb1EES19_IbLb0EEEEDaS15_S16_EUlS15_E_NS1_11comp_targetILNS1_3genE9ELNS1_11target_archE1100ELNS1_3gpuE3ELNS1_3repE0EEENS1_30default_config_static_selectorELNS0_4arch9wavefront6targetE0EEEvT1_.kd
    .uniform_work_group_size: 1
    .uses_dynamic_stack: false
    .vgpr_count:     68
    .vgpr_spill_count: 0
    .wavefront_size: 32
    .workgroup_processor_mode: 1
  - .args:
      - .offset:         0
        .size:           120
        .value_kind:     by_value
    .group_segment_fixed_size: 0
    .kernarg_segment_align: 8
    .kernarg_segment_size: 120
    .language:       OpenCL C
    .language_version:
      - 2
      - 0
    .max_flat_workgroup_size: 512
    .name:           _ZN7rocprim17ROCPRIM_400000_NS6detail17trampoline_kernelINS0_14default_configENS1_25partition_config_selectorILNS1_17partition_subalgoE9EllbEEZZNS1_14partition_implILS5_9ELb0ES3_jPlS8_PNS0_10empty_typeENS0_5tupleIJS8_S9_EEENSB_IJS8_SA_EEENS0_18inequality_wrapperIZN2at6native12_GLOBAL__N_124unique_dim_cuda_templateIsEESt5tupleIJNSF_6TensorESK_SK_EERKSK_lbbbEUlllE0_EEPmJS9_EEE10hipError_tPvRmT3_T4_T5_T6_T7_T9_mT8_P12ihipStream_tbDpT10_ENKUlT_T0_E_clISt17integral_constantIbLb1EES19_IbLb0EEEEDaS15_S16_EUlS15_E_NS1_11comp_targetILNS1_3genE8ELNS1_11target_archE1030ELNS1_3gpuE2ELNS1_3repE0EEENS1_30default_config_static_selectorELNS0_4arch9wavefront6targetE0EEEvT1_
    .private_segment_fixed_size: 0
    .sgpr_count:     0
    .sgpr_spill_count: 0
    .symbol:         _ZN7rocprim17ROCPRIM_400000_NS6detail17trampoline_kernelINS0_14default_configENS1_25partition_config_selectorILNS1_17partition_subalgoE9EllbEEZZNS1_14partition_implILS5_9ELb0ES3_jPlS8_PNS0_10empty_typeENS0_5tupleIJS8_S9_EEENSB_IJS8_SA_EEENS0_18inequality_wrapperIZN2at6native12_GLOBAL__N_124unique_dim_cuda_templateIsEESt5tupleIJNSF_6TensorESK_SK_EERKSK_lbbbEUlllE0_EEPmJS9_EEE10hipError_tPvRmT3_T4_T5_T6_T7_T9_mT8_P12ihipStream_tbDpT10_ENKUlT_T0_E_clISt17integral_constantIbLb1EES19_IbLb0EEEEDaS15_S16_EUlS15_E_NS1_11comp_targetILNS1_3genE8ELNS1_11target_archE1030ELNS1_3gpuE2ELNS1_3repE0EEENS1_30default_config_static_selectorELNS0_4arch9wavefront6targetE0EEEvT1_.kd
    .uniform_work_group_size: 1
    .uses_dynamic_stack: false
    .vgpr_count:     0
    .vgpr_spill_count: 0
    .wavefront_size: 32
    .workgroup_processor_mode: 1
  - .args:
      - .offset:         0
        .size:           136
        .value_kind:     by_value
    .group_segment_fixed_size: 0
    .kernarg_segment_align: 8
    .kernarg_segment_size: 136
    .language:       OpenCL C
    .language_version:
      - 2
      - 0
    .max_flat_workgroup_size: 128
    .name:           _ZN7rocprim17ROCPRIM_400000_NS6detail17trampoline_kernelINS0_14default_configENS1_25partition_config_selectorILNS1_17partition_subalgoE9EllbEEZZNS1_14partition_implILS5_9ELb0ES3_jPlS8_PNS0_10empty_typeENS0_5tupleIJS8_S9_EEENSB_IJS8_SA_EEENS0_18inequality_wrapperIZN2at6native12_GLOBAL__N_124unique_dim_cuda_templateIsEESt5tupleIJNSF_6TensorESK_SK_EERKSK_lbbbEUlllE0_EEPmJS9_EEE10hipError_tPvRmT3_T4_T5_T6_T7_T9_mT8_P12ihipStream_tbDpT10_ENKUlT_T0_E_clISt17integral_constantIbLb0EES19_IbLb1EEEEDaS15_S16_EUlS15_E_NS1_11comp_targetILNS1_3genE0ELNS1_11target_archE4294967295ELNS1_3gpuE0ELNS1_3repE0EEENS1_30default_config_static_selectorELNS0_4arch9wavefront6targetE0EEEvT1_
    .private_segment_fixed_size: 0
    .sgpr_count:     0
    .sgpr_spill_count: 0
    .symbol:         _ZN7rocprim17ROCPRIM_400000_NS6detail17trampoline_kernelINS0_14default_configENS1_25partition_config_selectorILNS1_17partition_subalgoE9EllbEEZZNS1_14partition_implILS5_9ELb0ES3_jPlS8_PNS0_10empty_typeENS0_5tupleIJS8_S9_EEENSB_IJS8_SA_EEENS0_18inequality_wrapperIZN2at6native12_GLOBAL__N_124unique_dim_cuda_templateIsEESt5tupleIJNSF_6TensorESK_SK_EERKSK_lbbbEUlllE0_EEPmJS9_EEE10hipError_tPvRmT3_T4_T5_T6_T7_T9_mT8_P12ihipStream_tbDpT10_ENKUlT_T0_E_clISt17integral_constantIbLb0EES19_IbLb1EEEEDaS15_S16_EUlS15_E_NS1_11comp_targetILNS1_3genE0ELNS1_11target_archE4294967295ELNS1_3gpuE0ELNS1_3repE0EEENS1_30default_config_static_selectorELNS0_4arch9wavefront6targetE0EEEvT1_.kd
    .uniform_work_group_size: 1
    .uses_dynamic_stack: false
    .vgpr_count:     0
    .vgpr_spill_count: 0
    .wavefront_size: 32
    .workgroup_processor_mode: 1
  - .args:
      - .offset:         0
        .size:           136
        .value_kind:     by_value
    .group_segment_fixed_size: 0
    .kernarg_segment_align: 8
    .kernarg_segment_size: 136
    .language:       OpenCL C
    .language_version:
      - 2
      - 0
    .max_flat_workgroup_size: 512
    .name:           _ZN7rocprim17ROCPRIM_400000_NS6detail17trampoline_kernelINS0_14default_configENS1_25partition_config_selectorILNS1_17partition_subalgoE9EllbEEZZNS1_14partition_implILS5_9ELb0ES3_jPlS8_PNS0_10empty_typeENS0_5tupleIJS8_S9_EEENSB_IJS8_SA_EEENS0_18inequality_wrapperIZN2at6native12_GLOBAL__N_124unique_dim_cuda_templateIsEESt5tupleIJNSF_6TensorESK_SK_EERKSK_lbbbEUlllE0_EEPmJS9_EEE10hipError_tPvRmT3_T4_T5_T6_T7_T9_mT8_P12ihipStream_tbDpT10_ENKUlT_T0_E_clISt17integral_constantIbLb0EES19_IbLb1EEEEDaS15_S16_EUlS15_E_NS1_11comp_targetILNS1_3genE5ELNS1_11target_archE942ELNS1_3gpuE9ELNS1_3repE0EEENS1_30default_config_static_selectorELNS0_4arch9wavefront6targetE0EEEvT1_
    .private_segment_fixed_size: 0
    .sgpr_count:     0
    .sgpr_spill_count: 0
    .symbol:         _ZN7rocprim17ROCPRIM_400000_NS6detail17trampoline_kernelINS0_14default_configENS1_25partition_config_selectorILNS1_17partition_subalgoE9EllbEEZZNS1_14partition_implILS5_9ELb0ES3_jPlS8_PNS0_10empty_typeENS0_5tupleIJS8_S9_EEENSB_IJS8_SA_EEENS0_18inequality_wrapperIZN2at6native12_GLOBAL__N_124unique_dim_cuda_templateIsEESt5tupleIJNSF_6TensorESK_SK_EERKSK_lbbbEUlllE0_EEPmJS9_EEE10hipError_tPvRmT3_T4_T5_T6_T7_T9_mT8_P12ihipStream_tbDpT10_ENKUlT_T0_E_clISt17integral_constantIbLb0EES19_IbLb1EEEEDaS15_S16_EUlS15_E_NS1_11comp_targetILNS1_3genE5ELNS1_11target_archE942ELNS1_3gpuE9ELNS1_3repE0EEENS1_30default_config_static_selectorELNS0_4arch9wavefront6targetE0EEEvT1_.kd
    .uniform_work_group_size: 1
    .uses_dynamic_stack: false
    .vgpr_count:     0
    .vgpr_spill_count: 0
    .wavefront_size: 32
    .workgroup_processor_mode: 1
  - .args:
      - .offset:         0
        .size:           136
        .value_kind:     by_value
    .group_segment_fixed_size: 0
    .kernarg_segment_align: 8
    .kernarg_segment_size: 136
    .language:       OpenCL C
    .language_version:
      - 2
      - 0
    .max_flat_workgroup_size: 128
    .name:           _ZN7rocprim17ROCPRIM_400000_NS6detail17trampoline_kernelINS0_14default_configENS1_25partition_config_selectorILNS1_17partition_subalgoE9EllbEEZZNS1_14partition_implILS5_9ELb0ES3_jPlS8_PNS0_10empty_typeENS0_5tupleIJS8_S9_EEENSB_IJS8_SA_EEENS0_18inequality_wrapperIZN2at6native12_GLOBAL__N_124unique_dim_cuda_templateIsEESt5tupleIJNSF_6TensorESK_SK_EERKSK_lbbbEUlllE0_EEPmJS9_EEE10hipError_tPvRmT3_T4_T5_T6_T7_T9_mT8_P12ihipStream_tbDpT10_ENKUlT_T0_E_clISt17integral_constantIbLb0EES19_IbLb1EEEEDaS15_S16_EUlS15_E_NS1_11comp_targetILNS1_3genE4ELNS1_11target_archE910ELNS1_3gpuE8ELNS1_3repE0EEENS1_30default_config_static_selectorELNS0_4arch9wavefront6targetE0EEEvT1_
    .private_segment_fixed_size: 0
    .sgpr_count:     0
    .sgpr_spill_count: 0
    .symbol:         _ZN7rocprim17ROCPRIM_400000_NS6detail17trampoline_kernelINS0_14default_configENS1_25partition_config_selectorILNS1_17partition_subalgoE9EllbEEZZNS1_14partition_implILS5_9ELb0ES3_jPlS8_PNS0_10empty_typeENS0_5tupleIJS8_S9_EEENSB_IJS8_SA_EEENS0_18inequality_wrapperIZN2at6native12_GLOBAL__N_124unique_dim_cuda_templateIsEESt5tupleIJNSF_6TensorESK_SK_EERKSK_lbbbEUlllE0_EEPmJS9_EEE10hipError_tPvRmT3_T4_T5_T6_T7_T9_mT8_P12ihipStream_tbDpT10_ENKUlT_T0_E_clISt17integral_constantIbLb0EES19_IbLb1EEEEDaS15_S16_EUlS15_E_NS1_11comp_targetILNS1_3genE4ELNS1_11target_archE910ELNS1_3gpuE8ELNS1_3repE0EEENS1_30default_config_static_selectorELNS0_4arch9wavefront6targetE0EEEvT1_.kd
    .uniform_work_group_size: 1
    .uses_dynamic_stack: false
    .vgpr_count:     0
    .vgpr_spill_count: 0
    .wavefront_size: 32
    .workgroup_processor_mode: 1
  - .args:
      - .offset:         0
        .size:           136
        .value_kind:     by_value
    .group_segment_fixed_size: 0
    .kernarg_segment_align: 8
    .kernarg_segment_size: 136
    .language:       OpenCL C
    .language_version:
      - 2
      - 0
    .max_flat_workgroup_size: 128
    .name:           _ZN7rocprim17ROCPRIM_400000_NS6detail17trampoline_kernelINS0_14default_configENS1_25partition_config_selectorILNS1_17partition_subalgoE9EllbEEZZNS1_14partition_implILS5_9ELb0ES3_jPlS8_PNS0_10empty_typeENS0_5tupleIJS8_S9_EEENSB_IJS8_SA_EEENS0_18inequality_wrapperIZN2at6native12_GLOBAL__N_124unique_dim_cuda_templateIsEESt5tupleIJNSF_6TensorESK_SK_EERKSK_lbbbEUlllE0_EEPmJS9_EEE10hipError_tPvRmT3_T4_T5_T6_T7_T9_mT8_P12ihipStream_tbDpT10_ENKUlT_T0_E_clISt17integral_constantIbLb0EES19_IbLb1EEEEDaS15_S16_EUlS15_E_NS1_11comp_targetILNS1_3genE3ELNS1_11target_archE908ELNS1_3gpuE7ELNS1_3repE0EEENS1_30default_config_static_selectorELNS0_4arch9wavefront6targetE0EEEvT1_
    .private_segment_fixed_size: 0
    .sgpr_count:     0
    .sgpr_spill_count: 0
    .symbol:         _ZN7rocprim17ROCPRIM_400000_NS6detail17trampoline_kernelINS0_14default_configENS1_25partition_config_selectorILNS1_17partition_subalgoE9EllbEEZZNS1_14partition_implILS5_9ELb0ES3_jPlS8_PNS0_10empty_typeENS0_5tupleIJS8_S9_EEENSB_IJS8_SA_EEENS0_18inequality_wrapperIZN2at6native12_GLOBAL__N_124unique_dim_cuda_templateIsEESt5tupleIJNSF_6TensorESK_SK_EERKSK_lbbbEUlllE0_EEPmJS9_EEE10hipError_tPvRmT3_T4_T5_T6_T7_T9_mT8_P12ihipStream_tbDpT10_ENKUlT_T0_E_clISt17integral_constantIbLb0EES19_IbLb1EEEEDaS15_S16_EUlS15_E_NS1_11comp_targetILNS1_3genE3ELNS1_11target_archE908ELNS1_3gpuE7ELNS1_3repE0EEENS1_30default_config_static_selectorELNS0_4arch9wavefront6targetE0EEEvT1_.kd
    .uniform_work_group_size: 1
    .uses_dynamic_stack: false
    .vgpr_count:     0
    .vgpr_spill_count: 0
    .wavefront_size: 32
    .workgroup_processor_mode: 1
  - .args:
      - .offset:         0
        .size:           136
        .value_kind:     by_value
    .group_segment_fixed_size: 0
    .kernarg_segment_align: 8
    .kernarg_segment_size: 136
    .language:       OpenCL C
    .language_version:
      - 2
      - 0
    .max_flat_workgroup_size: 192
    .name:           _ZN7rocprim17ROCPRIM_400000_NS6detail17trampoline_kernelINS0_14default_configENS1_25partition_config_selectorILNS1_17partition_subalgoE9EllbEEZZNS1_14partition_implILS5_9ELb0ES3_jPlS8_PNS0_10empty_typeENS0_5tupleIJS8_S9_EEENSB_IJS8_SA_EEENS0_18inequality_wrapperIZN2at6native12_GLOBAL__N_124unique_dim_cuda_templateIsEESt5tupleIJNSF_6TensorESK_SK_EERKSK_lbbbEUlllE0_EEPmJS9_EEE10hipError_tPvRmT3_T4_T5_T6_T7_T9_mT8_P12ihipStream_tbDpT10_ENKUlT_T0_E_clISt17integral_constantIbLb0EES19_IbLb1EEEEDaS15_S16_EUlS15_E_NS1_11comp_targetILNS1_3genE2ELNS1_11target_archE906ELNS1_3gpuE6ELNS1_3repE0EEENS1_30default_config_static_selectorELNS0_4arch9wavefront6targetE0EEEvT1_
    .private_segment_fixed_size: 0
    .sgpr_count:     0
    .sgpr_spill_count: 0
    .symbol:         _ZN7rocprim17ROCPRIM_400000_NS6detail17trampoline_kernelINS0_14default_configENS1_25partition_config_selectorILNS1_17partition_subalgoE9EllbEEZZNS1_14partition_implILS5_9ELb0ES3_jPlS8_PNS0_10empty_typeENS0_5tupleIJS8_S9_EEENSB_IJS8_SA_EEENS0_18inequality_wrapperIZN2at6native12_GLOBAL__N_124unique_dim_cuda_templateIsEESt5tupleIJNSF_6TensorESK_SK_EERKSK_lbbbEUlllE0_EEPmJS9_EEE10hipError_tPvRmT3_T4_T5_T6_T7_T9_mT8_P12ihipStream_tbDpT10_ENKUlT_T0_E_clISt17integral_constantIbLb0EES19_IbLb1EEEEDaS15_S16_EUlS15_E_NS1_11comp_targetILNS1_3genE2ELNS1_11target_archE906ELNS1_3gpuE6ELNS1_3repE0EEENS1_30default_config_static_selectorELNS0_4arch9wavefront6targetE0EEEvT1_.kd
    .uniform_work_group_size: 1
    .uses_dynamic_stack: false
    .vgpr_count:     0
    .vgpr_spill_count: 0
    .wavefront_size: 32
    .workgroup_processor_mode: 1
  - .args:
      - .offset:         0
        .size:           136
        .value_kind:     by_value
    .group_segment_fixed_size: 0
    .kernarg_segment_align: 8
    .kernarg_segment_size: 136
    .language:       OpenCL C
    .language_version:
      - 2
      - 0
    .max_flat_workgroup_size: 384
    .name:           _ZN7rocprim17ROCPRIM_400000_NS6detail17trampoline_kernelINS0_14default_configENS1_25partition_config_selectorILNS1_17partition_subalgoE9EllbEEZZNS1_14partition_implILS5_9ELb0ES3_jPlS8_PNS0_10empty_typeENS0_5tupleIJS8_S9_EEENSB_IJS8_SA_EEENS0_18inequality_wrapperIZN2at6native12_GLOBAL__N_124unique_dim_cuda_templateIsEESt5tupleIJNSF_6TensorESK_SK_EERKSK_lbbbEUlllE0_EEPmJS9_EEE10hipError_tPvRmT3_T4_T5_T6_T7_T9_mT8_P12ihipStream_tbDpT10_ENKUlT_T0_E_clISt17integral_constantIbLb0EES19_IbLb1EEEEDaS15_S16_EUlS15_E_NS1_11comp_targetILNS1_3genE10ELNS1_11target_archE1200ELNS1_3gpuE4ELNS1_3repE0EEENS1_30default_config_static_selectorELNS0_4arch9wavefront6targetE0EEEvT1_
    .private_segment_fixed_size: 0
    .sgpr_count:     0
    .sgpr_spill_count: 0
    .symbol:         _ZN7rocprim17ROCPRIM_400000_NS6detail17trampoline_kernelINS0_14default_configENS1_25partition_config_selectorILNS1_17partition_subalgoE9EllbEEZZNS1_14partition_implILS5_9ELb0ES3_jPlS8_PNS0_10empty_typeENS0_5tupleIJS8_S9_EEENSB_IJS8_SA_EEENS0_18inequality_wrapperIZN2at6native12_GLOBAL__N_124unique_dim_cuda_templateIsEESt5tupleIJNSF_6TensorESK_SK_EERKSK_lbbbEUlllE0_EEPmJS9_EEE10hipError_tPvRmT3_T4_T5_T6_T7_T9_mT8_P12ihipStream_tbDpT10_ENKUlT_T0_E_clISt17integral_constantIbLb0EES19_IbLb1EEEEDaS15_S16_EUlS15_E_NS1_11comp_targetILNS1_3genE10ELNS1_11target_archE1200ELNS1_3gpuE4ELNS1_3repE0EEENS1_30default_config_static_selectorELNS0_4arch9wavefront6targetE0EEEvT1_.kd
    .uniform_work_group_size: 1
    .uses_dynamic_stack: false
    .vgpr_count:     0
    .vgpr_spill_count: 0
    .wavefront_size: 32
    .workgroup_processor_mode: 1
  - .args:
      - .offset:         0
        .size:           136
        .value_kind:     by_value
    .group_segment_fixed_size: 33804
    .kernarg_segment_align: 8
    .kernarg_segment_size: 136
    .language:       OpenCL C
    .language_version:
      - 2
      - 0
    .max_flat_workgroup_size: 512
    .name:           _ZN7rocprim17ROCPRIM_400000_NS6detail17trampoline_kernelINS0_14default_configENS1_25partition_config_selectorILNS1_17partition_subalgoE9EllbEEZZNS1_14partition_implILS5_9ELb0ES3_jPlS8_PNS0_10empty_typeENS0_5tupleIJS8_S9_EEENSB_IJS8_SA_EEENS0_18inequality_wrapperIZN2at6native12_GLOBAL__N_124unique_dim_cuda_templateIsEESt5tupleIJNSF_6TensorESK_SK_EERKSK_lbbbEUlllE0_EEPmJS9_EEE10hipError_tPvRmT3_T4_T5_T6_T7_T9_mT8_P12ihipStream_tbDpT10_ENKUlT_T0_E_clISt17integral_constantIbLb0EES19_IbLb1EEEEDaS15_S16_EUlS15_E_NS1_11comp_targetILNS1_3genE9ELNS1_11target_archE1100ELNS1_3gpuE3ELNS1_3repE0EEENS1_30default_config_static_selectorELNS0_4arch9wavefront6targetE0EEEvT1_
    .private_segment_fixed_size: 0
    .sgpr_count:     42
    .sgpr_spill_count: 0
    .symbol:         _ZN7rocprim17ROCPRIM_400000_NS6detail17trampoline_kernelINS0_14default_configENS1_25partition_config_selectorILNS1_17partition_subalgoE9EllbEEZZNS1_14partition_implILS5_9ELb0ES3_jPlS8_PNS0_10empty_typeENS0_5tupleIJS8_S9_EEENSB_IJS8_SA_EEENS0_18inequality_wrapperIZN2at6native12_GLOBAL__N_124unique_dim_cuda_templateIsEESt5tupleIJNSF_6TensorESK_SK_EERKSK_lbbbEUlllE0_EEPmJS9_EEE10hipError_tPvRmT3_T4_T5_T6_T7_T9_mT8_P12ihipStream_tbDpT10_ENKUlT_T0_E_clISt17integral_constantIbLb0EES19_IbLb1EEEEDaS15_S16_EUlS15_E_NS1_11comp_targetILNS1_3genE9ELNS1_11target_archE1100ELNS1_3gpuE3ELNS1_3repE0EEENS1_30default_config_static_selectorELNS0_4arch9wavefront6targetE0EEEvT1_.kd
    .uniform_work_group_size: 1
    .uses_dynamic_stack: false
    .vgpr_count:     68
    .vgpr_spill_count: 0
    .wavefront_size: 32
    .workgroup_processor_mode: 1
  - .args:
      - .offset:         0
        .size:           136
        .value_kind:     by_value
    .group_segment_fixed_size: 0
    .kernarg_segment_align: 8
    .kernarg_segment_size: 136
    .language:       OpenCL C
    .language_version:
      - 2
      - 0
    .max_flat_workgroup_size: 512
    .name:           _ZN7rocprim17ROCPRIM_400000_NS6detail17trampoline_kernelINS0_14default_configENS1_25partition_config_selectorILNS1_17partition_subalgoE9EllbEEZZNS1_14partition_implILS5_9ELb0ES3_jPlS8_PNS0_10empty_typeENS0_5tupleIJS8_S9_EEENSB_IJS8_SA_EEENS0_18inequality_wrapperIZN2at6native12_GLOBAL__N_124unique_dim_cuda_templateIsEESt5tupleIJNSF_6TensorESK_SK_EERKSK_lbbbEUlllE0_EEPmJS9_EEE10hipError_tPvRmT3_T4_T5_T6_T7_T9_mT8_P12ihipStream_tbDpT10_ENKUlT_T0_E_clISt17integral_constantIbLb0EES19_IbLb1EEEEDaS15_S16_EUlS15_E_NS1_11comp_targetILNS1_3genE8ELNS1_11target_archE1030ELNS1_3gpuE2ELNS1_3repE0EEENS1_30default_config_static_selectorELNS0_4arch9wavefront6targetE0EEEvT1_
    .private_segment_fixed_size: 0
    .sgpr_count:     0
    .sgpr_spill_count: 0
    .symbol:         _ZN7rocprim17ROCPRIM_400000_NS6detail17trampoline_kernelINS0_14default_configENS1_25partition_config_selectorILNS1_17partition_subalgoE9EllbEEZZNS1_14partition_implILS5_9ELb0ES3_jPlS8_PNS0_10empty_typeENS0_5tupleIJS8_S9_EEENSB_IJS8_SA_EEENS0_18inequality_wrapperIZN2at6native12_GLOBAL__N_124unique_dim_cuda_templateIsEESt5tupleIJNSF_6TensorESK_SK_EERKSK_lbbbEUlllE0_EEPmJS9_EEE10hipError_tPvRmT3_T4_T5_T6_T7_T9_mT8_P12ihipStream_tbDpT10_ENKUlT_T0_E_clISt17integral_constantIbLb0EES19_IbLb1EEEEDaS15_S16_EUlS15_E_NS1_11comp_targetILNS1_3genE8ELNS1_11target_archE1030ELNS1_3gpuE2ELNS1_3repE0EEENS1_30default_config_static_selectorELNS0_4arch9wavefront6targetE0EEEvT1_.kd
    .uniform_work_group_size: 1
    .uses_dynamic_stack: false
    .vgpr_count:     0
    .vgpr_spill_count: 0
    .wavefront_size: 32
    .workgroup_processor_mode: 1
  - .args:
      - .offset:         0
        .size:           72
        .value_kind:     by_value
    .group_segment_fixed_size: 0
    .kernarg_segment_align: 8
    .kernarg_segment_size: 72
    .language:       OpenCL C
    .language_version:
      - 2
      - 0
    .max_flat_workgroup_size: 256
    .name:           _ZN7rocprim17ROCPRIM_400000_NS6detail17trampoline_kernelINS0_14default_configENS1_37merge_sort_block_sort_config_selectorIlNS0_10empty_typeEEEZNS1_21merge_sort_block_sortIS3_PlS8_PS5_S9_ZN2at6native12_GLOBAL__N_124unique_dim_cuda_templateIdEESt5tupleIJNSA_6TensorESF_SF_EERKSF_lbbbEUlllE_EE10hipError_tT0_T1_T2_T3_mRjT4_P12ihipStream_tbNS1_7vsmem_tEEUlT_E_NS1_11comp_targetILNS1_3genE0ELNS1_11target_archE4294967295ELNS1_3gpuE0ELNS1_3repE0EEENS1_30default_config_static_selectorELNS0_4arch9wavefront6targetE0EEEvSM_
    .private_segment_fixed_size: 0
    .sgpr_count:     0
    .sgpr_spill_count: 0
    .symbol:         _ZN7rocprim17ROCPRIM_400000_NS6detail17trampoline_kernelINS0_14default_configENS1_37merge_sort_block_sort_config_selectorIlNS0_10empty_typeEEEZNS1_21merge_sort_block_sortIS3_PlS8_PS5_S9_ZN2at6native12_GLOBAL__N_124unique_dim_cuda_templateIdEESt5tupleIJNSA_6TensorESF_SF_EERKSF_lbbbEUlllE_EE10hipError_tT0_T1_T2_T3_mRjT4_P12ihipStream_tbNS1_7vsmem_tEEUlT_E_NS1_11comp_targetILNS1_3genE0ELNS1_11target_archE4294967295ELNS1_3gpuE0ELNS1_3repE0EEENS1_30default_config_static_selectorELNS0_4arch9wavefront6targetE0EEEvSM_.kd
    .uniform_work_group_size: 1
    .uses_dynamic_stack: false
    .vgpr_count:     0
    .vgpr_spill_count: 0
    .wavefront_size: 32
    .workgroup_processor_mode: 1
  - .args:
      - .offset:         0
        .size:           72
        .value_kind:     by_value
    .group_segment_fixed_size: 0
    .kernarg_segment_align: 8
    .kernarg_segment_size: 72
    .language:       OpenCL C
    .language_version:
      - 2
      - 0
    .max_flat_workgroup_size: 256
    .name:           _ZN7rocprim17ROCPRIM_400000_NS6detail17trampoline_kernelINS0_14default_configENS1_37merge_sort_block_sort_config_selectorIlNS0_10empty_typeEEEZNS1_21merge_sort_block_sortIS3_PlS8_PS5_S9_ZN2at6native12_GLOBAL__N_124unique_dim_cuda_templateIdEESt5tupleIJNSA_6TensorESF_SF_EERKSF_lbbbEUlllE_EE10hipError_tT0_T1_T2_T3_mRjT4_P12ihipStream_tbNS1_7vsmem_tEEUlT_E_NS1_11comp_targetILNS1_3genE5ELNS1_11target_archE942ELNS1_3gpuE9ELNS1_3repE0EEENS1_30default_config_static_selectorELNS0_4arch9wavefront6targetE0EEEvSM_
    .private_segment_fixed_size: 0
    .sgpr_count:     0
    .sgpr_spill_count: 0
    .symbol:         _ZN7rocprim17ROCPRIM_400000_NS6detail17trampoline_kernelINS0_14default_configENS1_37merge_sort_block_sort_config_selectorIlNS0_10empty_typeEEEZNS1_21merge_sort_block_sortIS3_PlS8_PS5_S9_ZN2at6native12_GLOBAL__N_124unique_dim_cuda_templateIdEESt5tupleIJNSA_6TensorESF_SF_EERKSF_lbbbEUlllE_EE10hipError_tT0_T1_T2_T3_mRjT4_P12ihipStream_tbNS1_7vsmem_tEEUlT_E_NS1_11comp_targetILNS1_3genE5ELNS1_11target_archE942ELNS1_3gpuE9ELNS1_3repE0EEENS1_30default_config_static_selectorELNS0_4arch9wavefront6targetE0EEEvSM_.kd
    .uniform_work_group_size: 1
    .uses_dynamic_stack: false
    .vgpr_count:     0
    .vgpr_spill_count: 0
    .wavefront_size: 32
    .workgroup_processor_mode: 1
  - .args:
      - .offset:         0
        .size:           72
        .value_kind:     by_value
    .group_segment_fixed_size: 0
    .kernarg_segment_align: 8
    .kernarg_segment_size: 72
    .language:       OpenCL C
    .language_version:
      - 2
      - 0
    .max_flat_workgroup_size: 256
    .name:           _ZN7rocprim17ROCPRIM_400000_NS6detail17trampoline_kernelINS0_14default_configENS1_37merge_sort_block_sort_config_selectorIlNS0_10empty_typeEEEZNS1_21merge_sort_block_sortIS3_PlS8_PS5_S9_ZN2at6native12_GLOBAL__N_124unique_dim_cuda_templateIdEESt5tupleIJNSA_6TensorESF_SF_EERKSF_lbbbEUlllE_EE10hipError_tT0_T1_T2_T3_mRjT4_P12ihipStream_tbNS1_7vsmem_tEEUlT_E_NS1_11comp_targetILNS1_3genE4ELNS1_11target_archE910ELNS1_3gpuE8ELNS1_3repE0EEENS1_30default_config_static_selectorELNS0_4arch9wavefront6targetE0EEEvSM_
    .private_segment_fixed_size: 0
    .sgpr_count:     0
    .sgpr_spill_count: 0
    .symbol:         _ZN7rocprim17ROCPRIM_400000_NS6detail17trampoline_kernelINS0_14default_configENS1_37merge_sort_block_sort_config_selectorIlNS0_10empty_typeEEEZNS1_21merge_sort_block_sortIS3_PlS8_PS5_S9_ZN2at6native12_GLOBAL__N_124unique_dim_cuda_templateIdEESt5tupleIJNSA_6TensorESF_SF_EERKSF_lbbbEUlllE_EE10hipError_tT0_T1_T2_T3_mRjT4_P12ihipStream_tbNS1_7vsmem_tEEUlT_E_NS1_11comp_targetILNS1_3genE4ELNS1_11target_archE910ELNS1_3gpuE8ELNS1_3repE0EEENS1_30default_config_static_selectorELNS0_4arch9wavefront6targetE0EEEvSM_.kd
    .uniform_work_group_size: 1
    .uses_dynamic_stack: false
    .vgpr_count:     0
    .vgpr_spill_count: 0
    .wavefront_size: 32
    .workgroup_processor_mode: 1
  - .args:
      - .offset:         0
        .size:           72
        .value_kind:     by_value
    .group_segment_fixed_size: 0
    .kernarg_segment_align: 8
    .kernarg_segment_size: 72
    .language:       OpenCL C
    .language_version:
      - 2
      - 0
    .max_flat_workgroup_size: 256
    .name:           _ZN7rocprim17ROCPRIM_400000_NS6detail17trampoline_kernelINS0_14default_configENS1_37merge_sort_block_sort_config_selectorIlNS0_10empty_typeEEEZNS1_21merge_sort_block_sortIS3_PlS8_PS5_S9_ZN2at6native12_GLOBAL__N_124unique_dim_cuda_templateIdEESt5tupleIJNSA_6TensorESF_SF_EERKSF_lbbbEUlllE_EE10hipError_tT0_T1_T2_T3_mRjT4_P12ihipStream_tbNS1_7vsmem_tEEUlT_E_NS1_11comp_targetILNS1_3genE3ELNS1_11target_archE908ELNS1_3gpuE7ELNS1_3repE0EEENS1_30default_config_static_selectorELNS0_4arch9wavefront6targetE0EEEvSM_
    .private_segment_fixed_size: 0
    .sgpr_count:     0
    .sgpr_spill_count: 0
    .symbol:         _ZN7rocprim17ROCPRIM_400000_NS6detail17trampoline_kernelINS0_14default_configENS1_37merge_sort_block_sort_config_selectorIlNS0_10empty_typeEEEZNS1_21merge_sort_block_sortIS3_PlS8_PS5_S9_ZN2at6native12_GLOBAL__N_124unique_dim_cuda_templateIdEESt5tupleIJNSA_6TensorESF_SF_EERKSF_lbbbEUlllE_EE10hipError_tT0_T1_T2_T3_mRjT4_P12ihipStream_tbNS1_7vsmem_tEEUlT_E_NS1_11comp_targetILNS1_3genE3ELNS1_11target_archE908ELNS1_3gpuE7ELNS1_3repE0EEENS1_30default_config_static_selectorELNS0_4arch9wavefront6targetE0EEEvSM_.kd
    .uniform_work_group_size: 1
    .uses_dynamic_stack: false
    .vgpr_count:     0
    .vgpr_spill_count: 0
    .wavefront_size: 32
    .workgroup_processor_mode: 1
  - .args:
      - .offset:         0
        .size:           72
        .value_kind:     by_value
    .group_segment_fixed_size: 0
    .kernarg_segment_align: 8
    .kernarg_segment_size: 72
    .language:       OpenCL C
    .language_version:
      - 2
      - 0
    .max_flat_workgroup_size: 256
    .name:           _ZN7rocprim17ROCPRIM_400000_NS6detail17trampoline_kernelINS0_14default_configENS1_37merge_sort_block_sort_config_selectorIlNS0_10empty_typeEEEZNS1_21merge_sort_block_sortIS3_PlS8_PS5_S9_ZN2at6native12_GLOBAL__N_124unique_dim_cuda_templateIdEESt5tupleIJNSA_6TensorESF_SF_EERKSF_lbbbEUlllE_EE10hipError_tT0_T1_T2_T3_mRjT4_P12ihipStream_tbNS1_7vsmem_tEEUlT_E_NS1_11comp_targetILNS1_3genE2ELNS1_11target_archE906ELNS1_3gpuE6ELNS1_3repE0EEENS1_30default_config_static_selectorELNS0_4arch9wavefront6targetE0EEEvSM_
    .private_segment_fixed_size: 0
    .sgpr_count:     0
    .sgpr_spill_count: 0
    .symbol:         _ZN7rocprim17ROCPRIM_400000_NS6detail17trampoline_kernelINS0_14default_configENS1_37merge_sort_block_sort_config_selectorIlNS0_10empty_typeEEEZNS1_21merge_sort_block_sortIS3_PlS8_PS5_S9_ZN2at6native12_GLOBAL__N_124unique_dim_cuda_templateIdEESt5tupleIJNSA_6TensorESF_SF_EERKSF_lbbbEUlllE_EE10hipError_tT0_T1_T2_T3_mRjT4_P12ihipStream_tbNS1_7vsmem_tEEUlT_E_NS1_11comp_targetILNS1_3genE2ELNS1_11target_archE906ELNS1_3gpuE6ELNS1_3repE0EEENS1_30default_config_static_selectorELNS0_4arch9wavefront6targetE0EEEvSM_.kd
    .uniform_work_group_size: 1
    .uses_dynamic_stack: false
    .vgpr_count:     0
    .vgpr_spill_count: 0
    .wavefront_size: 32
    .workgroup_processor_mode: 1
  - .args:
      - .offset:         0
        .size:           72
        .value_kind:     by_value
    .group_segment_fixed_size: 0
    .kernarg_segment_align: 8
    .kernarg_segment_size: 72
    .language:       OpenCL C
    .language_version:
      - 2
      - 0
    .max_flat_workgroup_size: 256
    .name:           _ZN7rocprim17ROCPRIM_400000_NS6detail17trampoline_kernelINS0_14default_configENS1_37merge_sort_block_sort_config_selectorIlNS0_10empty_typeEEEZNS1_21merge_sort_block_sortIS3_PlS8_PS5_S9_ZN2at6native12_GLOBAL__N_124unique_dim_cuda_templateIdEESt5tupleIJNSA_6TensorESF_SF_EERKSF_lbbbEUlllE_EE10hipError_tT0_T1_T2_T3_mRjT4_P12ihipStream_tbNS1_7vsmem_tEEUlT_E_NS1_11comp_targetILNS1_3genE10ELNS1_11target_archE1201ELNS1_3gpuE5ELNS1_3repE0EEENS1_30default_config_static_selectorELNS0_4arch9wavefront6targetE0EEEvSM_
    .private_segment_fixed_size: 0
    .sgpr_count:     0
    .sgpr_spill_count: 0
    .symbol:         _ZN7rocprim17ROCPRIM_400000_NS6detail17trampoline_kernelINS0_14default_configENS1_37merge_sort_block_sort_config_selectorIlNS0_10empty_typeEEEZNS1_21merge_sort_block_sortIS3_PlS8_PS5_S9_ZN2at6native12_GLOBAL__N_124unique_dim_cuda_templateIdEESt5tupleIJNSA_6TensorESF_SF_EERKSF_lbbbEUlllE_EE10hipError_tT0_T1_T2_T3_mRjT4_P12ihipStream_tbNS1_7vsmem_tEEUlT_E_NS1_11comp_targetILNS1_3genE10ELNS1_11target_archE1201ELNS1_3gpuE5ELNS1_3repE0EEENS1_30default_config_static_selectorELNS0_4arch9wavefront6targetE0EEEvSM_.kd
    .uniform_work_group_size: 1
    .uses_dynamic_stack: false
    .vgpr_count:     0
    .vgpr_spill_count: 0
    .wavefront_size: 32
    .workgroup_processor_mode: 1
  - .args:
      - .offset:         0
        .size:           72
        .value_kind:     by_value
    .group_segment_fixed_size: 0
    .kernarg_segment_align: 8
    .kernarg_segment_size: 72
    .language:       OpenCL C
    .language_version:
      - 2
      - 0
    .max_flat_workgroup_size: 512
    .name:           _ZN7rocprim17ROCPRIM_400000_NS6detail17trampoline_kernelINS0_14default_configENS1_37merge_sort_block_sort_config_selectorIlNS0_10empty_typeEEEZNS1_21merge_sort_block_sortIS3_PlS8_PS5_S9_ZN2at6native12_GLOBAL__N_124unique_dim_cuda_templateIdEESt5tupleIJNSA_6TensorESF_SF_EERKSF_lbbbEUlllE_EE10hipError_tT0_T1_T2_T3_mRjT4_P12ihipStream_tbNS1_7vsmem_tEEUlT_E_NS1_11comp_targetILNS1_3genE10ELNS1_11target_archE1200ELNS1_3gpuE4ELNS1_3repE0EEENS1_30default_config_static_selectorELNS0_4arch9wavefront6targetE0EEEvSM_
    .private_segment_fixed_size: 0
    .sgpr_count:     0
    .sgpr_spill_count: 0
    .symbol:         _ZN7rocprim17ROCPRIM_400000_NS6detail17trampoline_kernelINS0_14default_configENS1_37merge_sort_block_sort_config_selectorIlNS0_10empty_typeEEEZNS1_21merge_sort_block_sortIS3_PlS8_PS5_S9_ZN2at6native12_GLOBAL__N_124unique_dim_cuda_templateIdEESt5tupleIJNSA_6TensorESF_SF_EERKSF_lbbbEUlllE_EE10hipError_tT0_T1_T2_T3_mRjT4_P12ihipStream_tbNS1_7vsmem_tEEUlT_E_NS1_11comp_targetILNS1_3genE10ELNS1_11target_archE1200ELNS1_3gpuE4ELNS1_3repE0EEENS1_30default_config_static_selectorELNS0_4arch9wavefront6targetE0EEEvSM_.kd
    .uniform_work_group_size: 1
    .uses_dynamic_stack: false
    .vgpr_count:     0
    .vgpr_spill_count: 0
    .wavefront_size: 32
    .workgroup_processor_mode: 1
  - .args:
      - .offset:         0
        .size:           72
        .value_kind:     by_value
      - .offset:         72
        .size:           4
        .value_kind:     hidden_block_count_x
      - .offset:         76
        .size:           4
        .value_kind:     hidden_block_count_y
      - .offset:         80
        .size:           4
        .value_kind:     hidden_block_count_z
      - .offset:         84
        .size:           2
        .value_kind:     hidden_group_size_x
      - .offset:         86
        .size:           2
        .value_kind:     hidden_group_size_y
      - .offset:         88
        .size:           2
        .value_kind:     hidden_group_size_z
      - .offset:         90
        .size:           2
        .value_kind:     hidden_remainder_x
      - .offset:         92
        .size:           2
        .value_kind:     hidden_remainder_y
      - .offset:         94
        .size:           2
        .value_kind:     hidden_remainder_z
      - .offset:         112
        .size:           8
        .value_kind:     hidden_global_offset_x
      - .offset:         120
        .size:           8
        .value_kind:     hidden_global_offset_y
      - .offset:         128
        .size:           8
        .value_kind:     hidden_global_offset_z
      - .offset:         136
        .size:           2
        .value_kind:     hidden_grid_dims
    .group_segment_fixed_size: 8448
    .kernarg_segment_align: 8
    .kernarg_segment_size: 328
    .language:       OpenCL C
    .language_version:
      - 2
      - 0
    .max_flat_workgroup_size: 256
    .name:           _ZN7rocprim17ROCPRIM_400000_NS6detail17trampoline_kernelINS0_14default_configENS1_37merge_sort_block_sort_config_selectorIlNS0_10empty_typeEEEZNS1_21merge_sort_block_sortIS3_PlS8_PS5_S9_ZN2at6native12_GLOBAL__N_124unique_dim_cuda_templateIdEESt5tupleIJNSA_6TensorESF_SF_EERKSF_lbbbEUlllE_EE10hipError_tT0_T1_T2_T3_mRjT4_P12ihipStream_tbNS1_7vsmem_tEEUlT_E_NS1_11comp_targetILNS1_3genE9ELNS1_11target_archE1100ELNS1_3gpuE3ELNS1_3repE0EEENS1_30default_config_static_selectorELNS0_4arch9wavefront6targetE0EEEvSM_
    .private_segment_fixed_size: 0
    .sgpr_count:     36
    .sgpr_spill_count: 0
    .symbol:         _ZN7rocprim17ROCPRIM_400000_NS6detail17trampoline_kernelINS0_14default_configENS1_37merge_sort_block_sort_config_selectorIlNS0_10empty_typeEEEZNS1_21merge_sort_block_sortIS3_PlS8_PS5_S9_ZN2at6native12_GLOBAL__N_124unique_dim_cuda_templateIdEESt5tupleIJNSA_6TensorESF_SF_EERKSF_lbbbEUlllE_EE10hipError_tT0_T1_T2_T3_mRjT4_P12ihipStream_tbNS1_7vsmem_tEEUlT_E_NS1_11comp_targetILNS1_3genE9ELNS1_11target_archE1100ELNS1_3gpuE3ELNS1_3repE0EEENS1_30default_config_static_selectorELNS0_4arch9wavefront6targetE0EEEvSM_.kd
    .uniform_work_group_size: 1
    .uses_dynamic_stack: false
    .vgpr_count:     47
    .vgpr_spill_count: 0
    .wavefront_size: 32
    .workgroup_processor_mode: 1
  - .args:
      - .offset:         0
        .size:           72
        .value_kind:     by_value
    .group_segment_fixed_size: 0
    .kernarg_segment_align: 8
    .kernarg_segment_size: 72
    .language:       OpenCL C
    .language_version:
      - 2
      - 0
    .max_flat_workgroup_size: 256
    .name:           _ZN7rocprim17ROCPRIM_400000_NS6detail17trampoline_kernelINS0_14default_configENS1_37merge_sort_block_sort_config_selectorIlNS0_10empty_typeEEEZNS1_21merge_sort_block_sortIS3_PlS8_PS5_S9_ZN2at6native12_GLOBAL__N_124unique_dim_cuda_templateIdEESt5tupleIJNSA_6TensorESF_SF_EERKSF_lbbbEUlllE_EE10hipError_tT0_T1_T2_T3_mRjT4_P12ihipStream_tbNS1_7vsmem_tEEUlT_E_NS1_11comp_targetILNS1_3genE8ELNS1_11target_archE1030ELNS1_3gpuE2ELNS1_3repE0EEENS1_30default_config_static_selectorELNS0_4arch9wavefront6targetE0EEEvSM_
    .private_segment_fixed_size: 0
    .sgpr_count:     0
    .sgpr_spill_count: 0
    .symbol:         _ZN7rocprim17ROCPRIM_400000_NS6detail17trampoline_kernelINS0_14default_configENS1_37merge_sort_block_sort_config_selectorIlNS0_10empty_typeEEEZNS1_21merge_sort_block_sortIS3_PlS8_PS5_S9_ZN2at6native12_GLOBAL__N_124unique_dim_cuda_templateIdEESt5tupleIJNSA_6TensorESF_SF_EERKSF_lbbbEUlllE_EE10hipError_tT0_T1_T2_T3_mRjT4_P12ihipStream_tbNS1_7vsmem_tEEUlT_E_NS1_11comp_targetILNS1_3genE8ELNS1_11target_archE1030ELNS1_3gpuE2ELNS1_3repE0EEENS1_30default_config_static_selectorELNS0_4arch9wavefront6targetE0EEEvSM_.kd
    .uniform_work_group_size: 1
    .uses_dynamic_stack: false
    .vgpr_count:     0
    .vgpr_spill_count: 0
    .wavefront_size: 32
    .workgroup_processor_mode: 1
  - .args:
      - .offset:         0
        .size:           56
        .value_kind:     by_value
    .group_segment_fixed_size: 0
    .kernarg_segment_align: 8
    .kernarg_segment_size: 56
    .language:       OpenCL C
    .language_version:
      - 2
      - 0
    .max_flat_workgroup_size: 128
    .name:           _ZN7rocprim17ROCPRIM_400000_NS6detail17trampoline_kernelINS0_14default_configENS1_38merge_sort_block_merge_config_selectorIlNS0_10empty_typeEEEZZNS1_27merge_sort_block_merge_implIS3_PlPS5_mZN2at6native12_GLOBAL__N_124unique_dim_cuda_templateIdEESt5tupleIJNSA_6TensorESF_SF_EERKSF_lbbbEUlllE_EE10hipError_tT0_T1_T2_jT3_P12ihipStream_tbPNSt15iterator_traitsISL_E10value_typeEPNSR_ISM_E10value_typeEPSN_NS1_7vsmem_tEENKUlT_SL_SM_SN_E_clIS8_S8_S9_S9_EESK_S10_SL_SM_SN_EUlS10_E_NS1_11comp_targetILNS1_3genE0ELNS1_11target_archE4294967295ELNS1_3gpuE0ELNS1_3repE0EEENS1_48merge_mergepath_partition_config_static_selectorELNS0_4arch9wavefront6targetE0EEEvSM_
    .private_segment_fixed_size: 0
    .sgpr_count:     0
    .sgpr_spill_count: 0
    .symbol:         _ZN7rocprim17ROCPRIM_400000_NS6detail17trampoline_kernelINS0_14default_configENS1_38merge_sort_block_merge_config_selectorIlNS0_10empty_typeEEEZZNS1_27merge_sort_block_merge_implIS3_PlPS5_mZN2at6native12_GLOBAL__N_124unique_dim_cuda_templateIdEESt5tupleIJNSA_6TensorESF_SF_EERKSF_lbbbEUlllE_EE10hipError_tT0_T1_T2_jT3_P12ihipStream_tbPNSt15iterator_traitsISL_E10value_typeEPNSR_ISM_E10value_typeEPSN_NS1_7vsmem_tEENKUlT_SL_SM_SN_E_clIS8_S8_S9_S9_EESK_S10_SL_SM_SN_EUlS10_E_NS1_11comp_targetILNS1_3genE0ELNS1_11target_archE4294967295ELNS1_3gpuE0ELNS1_3repE0EEENS1_48merge_mergepath_partition_config_static_selectorELNS0_4arch9wavefront6targetE0EEEvSM_.kd
    .uniform_work_group_size: 1
    .uses_dynamic_stack: false
    .vgpr_count:     0
    .vgpr_spill_count: 0
    .wavefront_size: 32
    .workgroup_processor_mode: 1
  - .args:
      - .offset:         0
        .size:           56
        .value_kind:     by_value
    .group_segment_fixed_size: 0
    .kernarg_segment_align: 8
    .kernarg_segment_size: 56
    .language:       OpenCL C
    .language_version:
      - 2
      - 0
    .max_flat_workgroup_size: 128
    .name:           _ZN7rocprim17ROCPRIM_400000_NS6detail17trampoline_kernelINS0_14default_configENS1_38merge_sort_block_merge_config_selectorIlNS0_10empty_typeEEEZZNS1_27merge_sort_block_merge_implIS3_PlPS5_mZN2at6native12_GLOBAL__N_124unique_dim_cuda_templateIdEESt5tupleIJNSA_6TensorESF_SF_EERKSF_lbbbEUlllE_EE10hipError_tT0_T1_T2_jT3_P12ihipStream_tbPNSt15iterator_traitsISL_E10value_typeEPNSR_ISM_E10value_typeEPSN_NS1_7vsmem_tEENKUlT_SL_SM_SN_E_clIS8_S8_S9_S9_EESK_S10_SL_SM_SN_EUlS10_E_NS1_11comp_targetILNS1_3genE10ELNS1_11target_archE1201ELNS1_3gpuE5ELNS1_3repE0EEENS1_48merge_mergepath_partition_config_static_selectorELNS0_4arch9wavefront6targetE0EEEvSM_
    .private_segment_fixed_size: 0
    .sgpr_count:     0
    .sgpr_spill_count: 0
    .symbol:         _ZN7rocprim17ROCPRIM_400000_NS6detail17trampoline_kernelINS0_14default_configENS1_38merge_sort_block_merge_config_selectorIlNS0_10empty_typeEEEZZNS1_27merge_sort_block_merge_implIS3_PlPS5_mZN2at6native12_GLOBAL__N_124unique_dim_cuda_templateIdEESt5tupleIJNSA_6TensorESF_SF_EERKSF_lbbbEUlllE_EE10hipError_tT0_T1_T2_jT3_P12ihipStream_tbPNSt15iterator_traitsISL_E10value_typeEPNSR_ISM_E10value_typeEPSN_NS1_7vsmem_tEENKUlT_SL_SM_SN_E_clIS8_S8_S9_S9_EESK_S10_SL_SM_SN_EUlS10_E_NS1_11comp_targetILNS1_3genE10ELNS1_11target_archE1201ELNS1_3gpuE5ELNS1_3repE0EEENS1_48merge_mergepath_partition_config_static_selectorELNS0_4arch9wavefront6targetE0EEEvSM_.kd
    .uniform_work_group_size: 1
    .uses_dynamic_stack: false
    .vgpr_count:     0
    .vgpr_spill_count: 0
    .wavefront_size: 32
    .workgroup_processor_mode: 1
  - .args:
      - .offset:         0
        .size:           56
        .value_kind:     by_value
    .group_segment_fixed_size: 0
    .kernarg_segment_align: 8
    .kernarg_segment_size: 56
    .language:       OpenCL C
    .language_version:
      - 2
      - 0
    .max_flat_workgroup_size: 128
    .name:           _ZN7rocprim17ROCPRIM_400000_NS6detail17trampoline_kernelINS0_14default_configENS1_38merge_sort_block_merge_config_selectorIlNS0_10empty_typeEEEZZNS1_27merge_sort_block_merge_implIS3_PlPS5_mZN2at6native12_GLOBAL__N_124unique_dim_cuda_templateIdEESt5tupleIJNSA_6TensorESF_SF_EERKSF_lbbbEUlllE_EE10hipError_tT0_T1_T2_jT3_P12ihipStream_tbPNSt15iterator_traitsISL_E10value_typeEPNSR_ISM_E10value_typeEPSN_NS1_7vsmem_tEENKUlT_SL_SM_SN_E_clIS8_S8_S9_S9_EESK_S10_SL_SM_SN_EUlS10_E_NS1_11comp_targetILNS1_3genE5ELNS1_11target_archE942ELNS1_3gpuE9ELNS1_3repE0EEENS1_48merge_mergepath_partition_config_static_selectorELNS0_4arch9wavefront6targetE0EEEvSM_
    .private_segment_fixed_size: 0
    .sgpr_count:     0
    .sgpr_spill_count: 0
    .symbol:         _ZN7rocprim17ROCPRIM_400000_NS6detail17trampoline_kernelINS0_14default_configENS1_38merge_sort_block_merge_config_selectorIlNS0_10empty_typeEEEZZNS1_27merge_sort_block_merge_implIS3_PlPS5_mZN2at6native12_GLOBAL__N_124unique_dim_cuda_templateIdEESt5tupleIJNSA_6TensorESF_SF_EERKSF_lbbbEUlllE_EE10hipError_tT0_T1_T2_jT3_P12ihipStream_tbPNSt15iterator_traitsISL_E10value_typeEPNSR_ISM_E10value_typeEPSN_NS1_7vsmem_tEENKUlT_SL_SM_SN_E_clIS8_S8_S9_S9_EESK_S10_SL_SM_SN_EUlS10_E_NS1_11comp_targetILNS1_3genE5ELNS1_11target_archE942ELNS1_3gpuE9ELNS1_3repE0EEENS1_48merge_mergepath_partition_config_static_selectorELNS0_4arch9wavefront6targetE0EEEvSM_.kd
    .uniform_work_group_size: 1
    .uses_dynamic_stack: false
    .vgpr_count:     0
    .vgpr_spill_count: 0
    .wavefront_size: 32
    .workgroup_processor_mode: 1
  - .args:
      - .offset:         0
        .size:           56
        .value_kind:     by_value
    .group_segment_fixed_size: 0
    .kernarg_segment_align: 8
    .kernarg_segment_size: 56
    .language:       OpenCL C
    .language_version:
      - 2
      - 0
    .max_flat_workgroup_size: 128
    .name:           _ZN7rocprim17ROCPRIM_400000_NS6detail17trampoline_kernelINS0_14default_configENS1_38merge_sort_block_merge_config_selectorIlNS0_10empty_typeEEEZZNS1_27merge_sort_block_merge_implIS3_PlPS5_mZN2at6native12_GLOBAL__N_124unique_dim_cuda_templateIdEESt5tupleIJNSA_6TensorESF_SF_EERKSF_lbbbEUlllE_EE10hipError_tT0_T1_T2_jT3_P12ihipStream_tbPNSt15iterator_traitsISL_E10value_typeEPNSR_ISM_E10value_typeEPSN_NS1_7vsmem_tEENKUlT_SL_SM_SN_E_clIS8_S8_S9_S9_EESK_S10_SL_SM_SN_EUlS10_E_NS1_11comp_targetILNS1_3genE4ELNS1_11target_archE910ELNS1_3gpuE8ELNS1_3repE0EEENS1_48merge_mergepath_partition_config_static_selectorELNS0_4arch9wavefront6targetE0EEEvSM_
    .private_segment_fixed_size: 0
    .sgpr_count:     0
    .sgpr_spill_count: 0
    .symbol:         _ZN7rocprim17ROCPRIM_400000_NS6detail17trampoline_kernelINS0_14default_configENS1_38merge_sort_block_merge_config_selectorIlNS0_10empty_typeEEEZZNS1_27merge_sort_block_merge_implIS3_PlPS5_mZN2at6native12_GLOBAL__N_124unique_dim_cuda_templateIdEESt5tupleIJNSA_6TensorESF_SF_EERKSF_lbbbEUlllE_EE10hipError_tT0_T1_T2_jT3_P12ihipStream_tbPNSt15iterator_traitsISL_E10value_typeEPNSR_ISM_E10value_typeEPSN_NS1_7vsmem_tEENKUlT_SL_SM_SN_E_clIS8_S8_S9_S9_EESK_S10_SL_SM_SN_EUlS10_E_NS1_11comp_targetILNS1_3genE4ELNS1_11target_archE910ELNS1_3gpuE8ELNS1_3repE0EEENS1_48merge_mergepath_partition_config_static_selectorELNS0_4arch9wavefront6targetE0EEEvSM_.kd
    .uniform_work_group_size: 1
    .uses_dynamic_stack: false
    .vgpr_count:     0
    .vgpr_spill_count: 0
    .wavefront_size: 32
    .workgroup_processor_mode: 1
  - .args:
      - .offset:         0
        .size:           56
        .value_kind:     by_value
    .group_segment_fixed_size: 0
    .kernarg_segment_align: 8
    .kernarg_segment_size: 56
    .language:       OpenCL C
    .language_version:
      - 2
      - 0
    .max_flat_workgroup_size: 128
    .name:           _ZN7rocprim17ROCPRIM_400000_NS6detail17trampoline_kernelINS0_14default_configENS1_38merge_sort_block_merge_config_selectorIlNS0_10empty_typeEEEZZNS1_27merge_sort_block_merge_implIS3_PlPS5_mZN2at6native12_GLOBAL__N_124unique_dim_cuda_templateIdEESt5tupleIJNSA_6TensorESF_SF_EERKSF_lbbbEUlllE_EE10hipError_tT0_T1_T2_jT3_P12ihipStream_tbPNSt15iterator_traitsISL_E10value_typeEPNSR_ISM_E10value_typeEPSN_NS1_7vsmem_tEENKUlT_SL_SM_SN_E_clIS8_S8_S9_S9_EESK_S10_SL_SM_SN_EUlS10_E_NS1_11comp_targetILNS1_3genE3ELNS1_11target_archE908ELNS1_3gpuE7ELNS1_3repE0EEENS1_48merge_mergepath_partition_config_static_selectorELNS0_4arch9wavefront6targetE0EEEvSM_
    .private_segment_fixed_size: 0
    .sgpr_count:     0
    .sgpr_spill_count: 0
    .symbol:         _ZN7rocprim17ROCPRIM_400000_NS6detail17trampoline_kernelINS0_14default_configENS1_38merge_sort_block_merge_config_selectorIlNS0_10empty_typeEEEZZNS1_27merge_sort_block_merge_implIS3_PlPS5_mZN2at6native12_GLOBAL__N_124unique_dim_cuda_templateIdEESt5tupleIJNSA_6TensorESF_SF_EERKSF_lbbbEUlllE_EE10hipError_tT0_T1_T2_jT3_P12ihipStream_tbPNSt15iterator_traitsISL_E10value_typeEPNSR_ISM_E10value_typeEPSN_NS1_7vsmem_tEENKUlT_SL_SM_SN_E_clIS8_S8_S9_S9_EESK_S10_SL_SM_SN_EUlS10_E_NS1_11comp_targetILNS1_3genE3ELNS1_11target_archE908ELNS1_3gpuE7ELNS1_3repE0EEENS1_48merge_mergepath_partition_config_static_selectorELNS0_4arch9wavefront6targetE0EEEvSM_.kd
    .uniform_work_group_size: 1
    .uses_dynamic_stack: false
    .vgpr_count:     0
    .vgpr_spill_count: 0
    .wavefront_size: 32
    .workgroup_processor_mode: 1
  - .args:
      - .offset:         0
        .size:           56
        .value_kind:     by_value
    .group_segment_fixed_size: 0
    .kernarg_segment_align: 8
    .kernarg_segment_size: 56
    .language:       OpenCL C
    .language_version:
      - 2
      - 0
    .max_flat_workgroup_size: 128
    .name:           _ZN7rocprim17ROCPRIM_400000_NS6detail17trampoline_kernelINS0_14default_configENS1_38merge_sort_block_merge_config_selectorIlNS0_10empty_typeEEEZZNS1_27merge_sort_block_merge_implIS3_PlPS5_mZN2at6native12_GLOBAL__N_124unique_dim_cuda_templateIdEESt5tupleIJNSA_6TensorESF_SF_EERKSF_lbbbEUlllE_EE10hipError_tT0_T1_T2_jT3_P12ihipStream_tbPNSt15iterator_traitsISL_E10value_typeEPNSR_ISM_E10value_typeEPSN_NS1_7vsmem_tEENKUlT_SL_SM_SN_E_clIS8_S8_S9_S9_EESK_S10_SL_SM_SN_EUlS10_E_NS1_11comp_targetILNS1_3genE2ELNS1_11target_archE906ELNS1_3gpuE6ELNS1_3repE0EEENS1_48merge_mergepath_partition_config_static_selectorELNS0_4arch9wavefront6targetE0EEEvSM_
    .private_segment_fixed_size: 0
    .sgpr_count:     0
    .sgpr_spill_count: 0
    .symbol:         _ZN7rocprim17ROCPRIM_400000_NS6detail17trampoline_kernelINS0_14default_configENS1_38merge_sort_block_merge_config_selectorIlNS0_10empty_typeEEEZZNS1_27merge_sort_block_merge_implIS3_PlPS5_mZN2at6native12_GLOBAL__N_124unique_dim_cuda_templateIdEESt5tupleIJNSA_6TensorESF_SF_EERKSF_lbbbEUlllE_EE10hipError_tT0_T1_T2_jT3_P12ihipStream_tbPNSt15iterator_traitsISL_E10value_typeEPNSR_ISM_E10value_typeEPSN_NS1_7vsmem_tEENKUlT_SL_SM_SN_E_clIS8_S8_S9_S9_EESK_S10_SL_SM_SN_EUlS10_E_NS1_11comp_targetILNS1_3genE2ELNS1_11target_archE906ELNS1_3gpuE6ELNS1_3repE0EEENS1_48merge_mergepath_partition_config_static_selectorELNS0_4arch9wavefront6targetE0EEEvSM_.kd
    .uniform_work_group_size: 1
    .uses_dynamic_stack: false
    .vgpr_count:     0
    .vgpr_spill_count: 0
    .wavefront_size: 32
    .workgroup_processor_mode: 1
  - .args:
      - .offset:         0
        .size:           56
        .value_kind:     by_value
    .group_segment_fixed_size: 0
    .kernarg_segment_align: 8
    .kernarg_segment_size: 56
    .language:       OpenCL C
    .language_version:
      - 2
      - 0
    .max_flat_workgroup_size: 128
    .name:           _ZN7rocprim17ROCPRIM_400000_NS6detail17trampoline_kernelINS0_14default_configENS1_38merge_sort_block_merge_config_selectorIlNS0_10empty_typeEEEZZNS1_27merge_sort_block_merge_implIS3_PlPS5_mZN2at6native12_GLOBAL__N_124unique_dim_cuda_templateIdEESt5tupleIJNSA_6TensorESF_SF_EERKSF_lbbbEUlllE_EE10hipError_tT0_T1_T2_jT3_P12ihipStream_tbPNSt15iterator_traitsISL_E10value_typeEPNSR_ISM_E10value_typeEPSN_NS1_7vsmem_tEENKUlT_SL_SM_SN_E_clIS8_S8_S9_S9_EESK_S10_SL_SM_SN_EUlS10_E_NS1_11comp_targetILNS1_3genE9ELNS1_11target_archE1100ELNS1_3gpuE3ELNS1_3repE0EEENS1_48merge_mergepath_partition_config_static_selectorELNS0_4arch9wavefront6targetE0EEEvSM_
    .private_segment_fixed_size: 0
    .sgpr_count:     24
    .sgpr_spill_count: 0
    .symbol:         _ZN7rocprim17ROCPRIM_400000_NS6detail17trampoline_kernelINS0_14default_configENS1_38merge_sort_block_merge_config_selectorIlNS0_10empty_typeEEEZZNS1_27merge_sort_block_merge_implIS3_PlPS5_mZN2at6native12_GLOBAL__N_124unique_dim_cuda_templateIdEESt5tupleIJNSA_6TensorESF_SF_EERKSF_lbbbEUlllE_EE10hipError_tT0_T1_T2_jT3_P12ihipStream_tbPNSt15iterator_traitsISL_E10value_typeEPNSR_ISM_E10value_typeEPSN_NS1_7vsmem_tEENKUlT_SL_SM_SN_E_clIS8_S8_S9_S9_EESK_S10_SL_SM_SN_EUlS10_E_NS1_11comp_targetILNS1_3genE9ELNS1_11target_archE1100ELNS1_3gpuE3ELNS1_3repE0EEENS1_48merge_mergepath_partition_config_static_selectorELNS0_4arch9wavefront6targetE0EEEvSM_.kd
    .uniform_work_group_size: 1
    .uses_dynamic_stack: false
    .vgpr_count:     22
    .vgpr_spill_count: 0
    .wavefront_size: 32
    .workgroup_processor_mode: 1
  - .args:
      - .offset:         0
        .size:           56
        .value_kind:     by_value
    .group_segment_fixed_size: 0
    .kernarg_segment_align: 8
    .kernarg_segment_size: 56
    .language:       OpenCL C
    .language_version:
      - 2
      - 0
    .max_flat_workgroup_size: 128
    .name:           _ZN7rocprim17ROCPRIM_400000_NS6detail17trampoline_kernelINS0_14default_configENS1_38merge_sort_block_merge_config_selectorIlNS0_10empty_typeEEEZZNS1_27merge_sort_block_merge_implIS3_PlPS5_mZN2at6native12_GLOBAL__N_124unique_dim_cuda_templateIdEESt5tupleIJNSA_6TensorESF_SF_EERKSF_lbbbEUlllE_EE10hipError_tT0_T1_T2_jT3_P12ihipStream_tbPNSt15iterator_traitsISL_E10value_typeEPNSR_ISM_E10value_typeEPSN_NS1_7vsmem_tEENKUlT_SL_SM_SN_E_clIS8_S8_S9_S9_EESK_S10_SL_SM_SN_EUlS10_E_NS1_11comp_targetILNS1_3genE8ELNS1_11target_archE1030ELNS1_3gpuE2ELNS1_3repE0EEENS1_48merge_mergepath_partition_config_static_selectorELNS0_4arch9wavefront6targetE0EEEvSM_
    .private_segment_fixed_size: 0
    .sgpr_count:     0
    .sgpr_spill_count: 0
    .symbol:         _ZN7rocprim17ROCPRIM_400000_NS6detail17trampoline_kernelINS0_14default_configENS1_38merge_sort_block_merge_config_selectorIlNS0_10empty_typeEEEZZNS1_27merge_sort_block_merge_implIS3_PlPS5_mZN2at6native12_GLOBAL__N_124unique_dim_cuda_templateIdEESt5tupleIJNSA_6TensorESF_SF_EERKSF_lbbbEUlllE_EE10hipError_tT0_T1_T2_jT3_P12ihipStream_tbPNSt15iterator_traitsISL_E10value_typeEPNSR_ISM_E10value_typeEPSN_NS1_7vsmem_tEENKUlT_SL_SM_SN_E_clIS8_S8_S9_S9_EESK_S10_SL_SM_SN_EUlS10_E_NS1_11comp_targetILNS1_3genE8ELNS1_11target_archE1030ELNS1_3gpuE2ELNS1_3repE0EEENS1_48merge_mergepath_partition_config_static_selectorELNS0_4arch9wavefront6targetE0EEEvSM_.kd
    .uniform_work_group_size: 1
    .uses_dynamic_stack: false
    .vgpr_count:     0
    .vgpr_spill_count: 0
    .wavefront_size: 32
    .workgroup_processor_mode: 1
  - .args:
      - .offset:         0
        .size:           88
        .value_kind:     by_value
    .group_segment_fixed_size: 0
    .kernarg_segment_align: 8
    .kernarg_segment_size: 88
    .language:       OpenCL C
    .language_version:
      - 2
      - 0
    .max_flat_workgroup_size: 128
    .name:           _ZN7rocprim17ROCPRIM_400000_NS6detail17trampoline_kernelINS0_14default_configENS1_38merge_sort_block_merge_config_selectorIlNS0_10empty_typeEEEZZNS1_27merge_sort_block_merge_implIS3_PlPS5_mZN2at6native12_GLOBAL__N_124unique_dim_cuda_templateIdEESt5tupleIJNSA_6TensorESF_SF_EERKSF_lbbbEUlllE_EE10hipError_tT0_T1_T2_jT3_P12ihipStream_tbPNSt15iterator_traitsISL_E10value_typeEPNSR_ISM_E10value_typeEPSN_NS1_7vsmem_tEENKUlT_SL_SM_SN_E_clIS8_S8_S9_S9_EESK_S10_SL_SM_SN_EUlS10_E0_NS1_11comp_targetILNS1_3genE0ELNS1_11target_archE4294967295ELNS1_3gpuE0ELNS1_3repE0EEENS1_38merge_mergepath_config_static_selectorELNS0_4arch9wavefront6targetE0EEEvSM_
    .private_segment_fixed_size: 0
    .sgpr_count:     0
    .sgpr_spill_count: 0
    .symbol:         _ZN7rocprim17ROCPRIM_400000_NS6detail17trampoline_kernelINS0_14default_configENS1_38merge_sort_block_merge_config_selectorIlNS0_10empty_typeEEEZZNS1_27merge_sort_block_merge_implIS3_PlPS5_mZN2at6native12_GLOBAL__N_124unique_dim_cuda_templateIdEESt5tupleIJNSA_6TensorESF_SF_EERKSF_lbbbEUlllE_EE10hipError_tT0_T1_T2_jT3_P12ihipStream_tbPNSt15iterator_traitsISL_E10value_typeEPNSR_ISM_E10value_typeEPSN_NS1_7vsmem_tEENKUlT_SL_SM_SN_E_clIS8_S8_S9_S9_EESK_S10_SL_SM_SN_EUlS10_E0_NS1_11comp_targetILNS1_3genE0ELNS1_11target_archE4294967295ELNS1_3gpuE0ELNS1_3repE0EEENS1_38merge_mergepath_config_static_selectorELNS0_4arch9wavefront6targetE0EEEvSM_.kd
    .uniform_work_group_size: 1
    .uses_dynamic_stack: false
    .vgpr_count:     0
    .vgpr_spill_count: 0
    .wavefront_size: 32
    .workgroup_processor_mode: 1
  - .args:
      - .offset:         0
        .size:           88
        .value_kind:     by_value
    .group_segment_fixed_size: 0
    .kernarg_segment_align: 8
    .kernarg_segment_size: 88
    .language:       OpenCL C
    .language_version:
      - 2
      - 0
    .max_flat_workgroup_size: 512
    .name:           _ZN7rocprim17ROCPRIM_400000_NS6detail17trampoline_kernelINS0_14default_configENS1_38merge_sort_block_merge_config_selectorIlNS0_10empty_typeEEEZZNS1_27merge_sort_block_merge_implIS3_PlPS5_mZN2at6native12_GLOBAL__N_124unique_dim_cuda_templateIdEESt5tupleIJNSA_6TensorESF_SF_EERKSF_lbbbEUlllE_EE10hipError_tT0_T1_T2_jT3_P12ihipStream_tbPNSt15iterator_traitsISL_E10value_typeEPNSR_ISM_E10value_typeEPSN_NS1_7vsmem_tEENKUlT_SL_SM_SN_E_clIS8_S8_S9_S9_EESK_S10_SL_SM_SN_EUlS10_E0_NS1_11comp_targetILNS1_3genE10ELNS1_11target_archE1201ELNS1_3gpuE5ELNS1_3repE0EEENS1_38merge_mergepath_config_static_selectorELNS0_4arch9wavefront6targetE0EEEvSM_
    .private_segment_fixed_size: 0
    .sgpr_count:     0
    .sgpr_spill_count: 0
    .symbol:         _ZN7rocprim17ROCPRIM_400000_NS6detail17trampoline_kernelINS0_14default_configENS1_38merge_sort_block_merge_config_selectorIlNS0_10empty_typeEEEZZNS1_27merge_sort_block_merge_implIS3_PlPS5_mZN2at6native12_GLOBAL__N_124unique_dim_cuda_templateIdEESt5tupleIJNSA_6TensorESF_SF_EERKSF_lbbbEUlllE_EE10hipError_tT0_T1_T2_jT3_P12ihipStream_tbPNSt15iterator_traitsISL_E10value_typeEPNSR_ISM_E10value_typeEPSN_NS1_7vsmem_tEENKUlT_SL_SM_SN_E_clIS8_S8_S9_S9_EESK_S10_SL_SM_SN_EUlS10_E0_NS1_11comp_targetILNS1_3genE10ELNS1_11target_archE1201ELNS1_3gpuE5ELNS1_3repE0EEENS1_38merge_mergepath_config_static_selectorELNS0_4arch9wavefront6targetE0EEEvSM_.kd
    .uniform_work_group_size: 1
    .uses_dynamic_stack: false
    .vgpr_count:     0
    .vgpr_spill_count: 0
    .wavefront_size: 32
    .workgroup_processor_mode: 1
  - .args:
      - .offset:         0
        .size:           88
        .value_kind:     by_value
    .group_segment_fixed_size: 0
    .kernarg_segment_align: 8
    .kernarg_segment_size: 88
    .language:       OpenCL C
    .language_version:
      - 2
      - 0
    .max_flat_workgroup_size: 128
    .name:           _ZN7rocprim17ROCPRIM_400000_NS6detail17trampoline_kernelINS0_14default_configENS1_38merge_sort_block_merge_config_selectorIlNS0_10empty_typeEEEZZNS1_27merge_sort_block_merge_implIS3_PlPS5_mZN2at6native12_GLOBAL__N_124unique_dim_cuda_templateIdEESt5tupleIJNSA_6TensorESF_SF_EERKSF_lbbbEUlllE_EE10hipError_tT0_T1_T2_jT3_P12ihipStream_tbPNSt15iterator_traitsISL_E10value_typeEPNSR_ISM_E10value_typeEPSN_NS1_7vsmem_tEENKUlT_SL_SM_SN_E_clIS8_S8_S9_S9_EESK_S10_SL_SM_SN_EUlS10_E0_NS1_11comp_targetILNS1_3genE5ELNS1_11target_archE942ELNS1_3gpuE9ELNS1_3repE0EEENS1_38merge_mergepath_config_static_selectorELNS0_4arch9wavefront6targetE0EEEvSM_
    .private_segment_fixed_size: 0
    .sgpr_count:     0
    .sgpr_spill_count: 0
    .symbol:         _ZN7rocprim17ROCPRIM_400000_NS6detail17trampoline_kernelINS0_14default_configENS1_38merge_sort_block_merge_config_selectorIlNS0_10empty_typeEEEZZNS1_27merge_sort_block_merge_implIS3_PlPS5_mZN2at6native12_GLOBAL__N_124unique_dim_cuda_templateIdEESt5tupleIJNSA_6TensorESF_SF_EERKSF_lbbbEUlllE_EE10hipError_tT0_T1_T2_jT3_P12ihipStream_tbPNSt15iterator_traitsISL_E10value_typeEPNSR_ISM_E10value_typeEPSN_NS1_7vsmem_tEENKUlT_SL_SM_SN_E_clIS8_S8_S9_S9_EESK_S10_SL_SM_SN_EUlS10_E0_NS1_11comp_targetILNS1_3genE5ELNS1_11target_archE942ELNS1_3gpuE9ELNS1_3repE0EEENS1_38merge_mergepath_config_static_selectorELNS0_4arch9wavefront6targetE0EEEvSM_.kd
    .uniform_work_group_size: 1
    .uses_dynamic_stack: false
    .vgpr_count:     0
    .vgpr_spill_count: 0
    .wavefront_size: 32
    .workgroup_processor_mode: 1
  - .args:
      - .offset:         0
        .size:           88
        .value_kind:     by_value
    .group_segment_fixed_size: 0
    .kernarg_segment_align: 8
    .kernarg_segment_size: 88
    .language:       OpenCL C
    .language_version:
      - 2
      - 0
    .max_flat_workgroup_size: 256
    .name:           _ZN7rocprim17ROCPRIM_400000_NS6detail17trampoline_kernelINS0_14default_configENS1_38merge_sort_block_merge_config_selectorIlNS0_10empty_typeEEEZZNS1_27merge_sort_block_merge_implIS3_PlPS5_mZN2at6native12_GLOBAL__N_124unique_dim_cuda_templateIdEESt5tupleIJNSA_6TensorESF_SF_EERKSF_lbbbEUlllE_EE10hipError_tT0_T1_T2_jT3_P12ihipStream_tbPNSt15iterator_traitsISL_E10value_typeEPNSR_ISM_E10value_typeEPSN_NS1_7vsmem_tEENKUlT_SL_SM_SN_E_clIS8_S8_S9_S9_EESK_S10_SL_SM_SN_EUlS10_E0_NS1_11comp_targetILNS1_3genE4ELNS1_11target_archE910ELNS1_3gpuE8ELNS1_3repE0EEENS1_38merge_mergepath_config_static_selectorELNS0_4arch9wavefront6targetE0EEEvSM_
    .private_segment_fixed_size: 0
    .sgpr_count:     0
    .sgpr_spill_count: 0
    .symbol:         _ZN7rocprim17ROCPRIM_400000_NS6detail17trampoline_kernelINS0_14default_configENS1_38merge_sort_block_merge_config_selectorIlNS0_10empty_typeEEEZZNS1_27merge_sort_block_merge_implIS3_PlPS5_mZN2at6native12_GLOBAL__N_124unique_dim_cuda_templateIdEESt5tupleIJNSA_6TensorESF_SF_EERKSF_lbbbEUlllE_EE10hipError_tT0_T1_T2_jT3_P12ihipStream_tbPNSt15iterator_traitsISL_E10value_typeEPNSR_ISM_E10value_typeEPSN_NS1_7vsmem_tEENKUlT_SL_SM_SN_E_clIS8_S8_S9_S9_EESK_S10_SL_SM_SN_EUlS10_E0_NS1_11comp_targetILNS1_3genE4ELNS1_11target_archE910ELNS1_3gpuE8ELNS1_3repE0EEENS1_38merge_mergepath_config_static_selectorELNS0_4arch9wavefront6targetE0EEEvSM_.kd
    .uniform_work_group_size: 1
    .uses_dynamic_stack: false
    .vgpr_count:     0
    .vgpr_spill_count: 0
    .wavefront_size: 32
    .workgroup_processor_mode: 1
  - .args:
      - .offset:         0
        .size:           88
        .value_kind:     by_value
    .group_segment_fixed_size: 0
    .kernarg_segment_align: 8
    .kernarg_segment_size: 88
    .language:       OpenCL C
    .language_version:
      - 2
      - 0
    .max_flat_workgroup_size: 128
    .name:           _ZN7rocprim17ROCPRIM_400000_NS6detail17trampoline_kernelINS0_14default_configENS1_38merge_sort_block_merge_config_selectorIlNS0_10empty_typeEEEZZNS1_27merge_sort_block_merge_implIS3_PlPS5_mZN2at6native12_GLOBAL__N_124unique_dim_cuda_templateIdEESt5tupleIJNSA_6TensorESF_SF_EERKSF_lbbbEUlllE_EE10hipError_tT0_T1_T2_jT3_P12ihipStream_tbPNSt15iterator_traitsISL_E10value_typeEPNSR_ISM_E10value_typeEPSN_NS1_7vsmem_tEENKUlT_SL_SM_SN_E_clIS8_S8_S9_S9_EESK_S10_SL_SM_SN_EUlS10_E0_NS1_11comp_targetILNS1_3genE3ELNS1_11target_archE908ELNS1_3gpuE7ELNS1_3repE0EEENS1_38merge_mergepath_config_static_selectorELNS0_4arch9wavefront6targetE0EEEvSM_
    .private_segment_fixed_size: 0
    .sgpr_count:     0
    .sgpr_spill_count: 0
    .symbol:         _ZN7rocprim17ROCPRIM_400000_NS6detail17trampoline_kernelINS0_14default_configENS1_38merge_sort_block_merge_config_selectorIlNS0_10empty_typeEEEZZNS1_27merge_sort_block_merge_implIS3_PlPS5_mZN2at6native12_GLOBAL__N_124unique_dim_cuda_templateIdEESt5tupleIJNSA_6TensorESF_SF_EERKSF_lbbbEUlllE_EE10hipError_tT0_T1_T2_jT3_P12ihipStream_tbPNSt15iterator_traitsISL_E10value_typeEPNSR_ISM_E10value_typeEPSN_NS1_7vsmem_tEENKUlT_SL_SM_SN_E_clIS8_S8_S9_S9_EESK_S10_SL_SM_SN_EUlS10_E0_NS1_11comp_targetILNS1_3genE3ELNS1_11target_archE908ELNS1_3gpuE7ELNS1_3repE0EEENS1_38merge_mergepath_config_static_selectorELNS0_4arch9wavefront6targetE0EEEvSM_.kd
    .uniform_work_group_size: 1
    .uses_dynamic_stack: false
    .vgpr_count:     0
    .vgpr_spill_count: 0
    .wavefront_size: 32
    .workgroup_processor_mode: 1
  - .args:
      - .offset:         0
        .size:           88
        .value_kind:     by_value
    .group_segment_fixed_size: 0
    .kernarg_segment_align: 8
    .kernarg_segment_size: 88
    .language:       OpenCL C
    .language_version:
      - 2
      - 0
    .max_flat_workgroup_size: 256
    .name:           _ZN7rocprim17ROCPRIM_400000_NS6detail17trampoline_kernelINS0_14default_configENS1_38merge_sort_block_merge_config_selectorIlNS0_10empty_typeEEEZZNS1_27merge_sort_block_merge_implIS3_PlPS5_mZN2at6native12_GLOBAL__N_124unique_dim_cuda_templateIdEESt5tupleIJNSA_6TensorESF_SF_EERKSF_lbbbEUlllE_EE10hipError_tT0_T1_T2_jT3_P12ihipStream_tbPNSt15iterator_traitsISL_E10value_typeEPNSR_ISM_E10value_typeEPSN_NS1_7vsmem_tEENKUlT_SL_SM_SN_E_clIS8_S8_S9_S9_EESK_S10_SL_SM_SN_EUlS10_E0_NS1_11comp_targetILNS1_3genE2ELNS1_11target_archE906ELNS1_3gpuE6ELNS1_3repE0EEENS1_38merge_mergepath_config_static_selectorELNS0_4arch9wavefront6targetE0EEEvSM_
    .private_segment_fixed_size: 0
    .sgpr_count:     0
    .sgpr_spill_count: 0
    .symbol:         _ZN7rocprim17ROCPRIM_400000_NS6detail17trampoline_kernelINS0_14default_configENS1_38merge_sort_block_merge_config_selectorIlNS0_10empty_typeEEEZZNS1_27merge_sort_block_merge_implIS3_PlPS5_mZN2at6native12_GLOBAL__N_124unique_dim_cuda_templateIdEESt5tupleIJNSA_6TensorESF_SF_EERKSF_lbbbEUlllE_EE10hipError_tT0_T1_T2_jT3_P12ihipStream_tbPNSt15iterator_traitsISL_E10value_typeEPNSR_ISM_E10value_typeEPSN_NS1_7vsmem_tEENKUlT_SL_SM_SN_E_clIS8_S8_S9_S9_EESK_S10_SL_SM_SN_EUlS10_E0_NS1_11comp_targetILNS1_3genE2ELNS1_11target_archE906ELNS1_3gpuE6ELNS1_3repE0EEENS1_38merge_mergepath_config_static_selectorELNS0_4arch9wavefront6targetE0EEEvSM_.kd
    .uniform_work_group_size: 1
    .uses_dynamic_stack: false
    .vgpr_count:     0
    .vgpr_spill_count: 0
    .wavefront_size: 32
    .workgroup_processor_mode: 1
  - .args:
      - .offset:         0
        .size:           88
        .value_kind:     by_value
      - .offset:         88
        .size:           4
        .value_kind:     hidden_block_count_x
      - .offset:         92
        .size:           4
        .value_kind:     hidden_block_count_y
      - .offset:         96
        .size:           4
        .value_kind:     hidden_block_count_z
      - .offset:         100
        .size:           2
        .value_kind:     hidden_group_size_x
      - .offset:         102
        .size:           2
        .value_kind:     hidden_group_size_y
      - .offset:         104
        .size:           2
        .value_kind:     hidden_group_size_z
      - .offset:         106
        .size:           2
        .value_kind:     hidden_remainder_x
      - .offset:         108
        .size:           2
        .value_kind:     hidden_remainder_y
      - .offset:         110
        .size:           2
        .value_kind:     hidden_remainder_z
      - .offset:         128
        .size:           8
        .value_kind:     hidden_global_offset_x
      - .offset:         136
        .size:           8
        .value_kind:     hidden_global_offset_y
      - .offset:         144
        .size:           8
        .value_kind:     hidden_global_offset_z
      - .offset:         152
        .size:           2
        .value_kind:     hidden_grid_dims
    .group_segment_fixed_size: 8448
    .kernarg_segment_align: 8
    .kernarg_segment_size: 344
    .language:       OpenCL C
    .language_version:
      - 2
      - 0
    .max_flat_workgroup_size: 512
    .name:           _ZN7rocprim17ROCPRIM_400000_NS6detail17trampoline_kernelINS0_14default_configENS1_38merge_sort_block_merge_config_selectorIlNS0_10empty_typeEEEZZNS1_27merge_sort_block_merge_implIS3_PlPS5_mZN2at6native12_GLOBAL__N_124unique_dim_cuda_templateIdEESt5tupleIJNSA_6TensorESF_SF_EERKSF_lbbbEUlllE_EE10hipError_tT0_T1_T2_jT3_P12ihipStream_tbPNSt15iterator_traitsISL_E10value_typeEPNSR_ISM_E10value_typeEPSN_NS1_7vsmem_tEENKUlT_SL_SM_SN_E_clIS8_S8_S9_S9_EESK_S10_SL_SM_SN_EUlS10_E0_NS1_11comp_targetILNS1_3genE9ELNS1_11target_archE1100ELNS1_3gpuE3ELNS1_3repE0EEENS1_38merge_mergepath_config_static_selectorELNS0_4arch9wavefront6targetE0EEEvSM_
    .private_segment_fixed_size: 0
    .sgpr_count:     34
    .sgpr_spill_count: 0
    .symbol:         _ZN7rocprim17ROCPRIM_400000_NS6detail17trampoline_kernelINS0_14default_configENS1_38merge_sort_block_merge_config_selectorIlNS0_10empty_typeEEEZZNS1_27merge_sort_block_merge_implIS3_PlPS5_mZN2at6native12_GLOBAL__N_124unique_dim_cuda_templateIdEESt5tupleIJNSA_6TensorESF_SF_EERKSF_lbbbEUlllE_EE10hipError_tT0_T1_T2_jT3_P12ihipStream_tbPNSt15iterator_traitsISL_E10value_typeEPNSR_ISM_E10value_typeEPSN_NS1_7vsmem_tEENKUlT_SL_SM_SN_E_clIS8_S8_S9_S9_EESK_S10_SL_SM_SN_EUlS10_E0_NS1_11comp_targetILNS1_3genE9ELNS1_11target_archE1100ELNS1_3gpuE3ELNS1_3repE0EEENS1_38merge_mergepath_config_static_selectorELNS0_4arch9wavefront6targetE0EEEvSM_.kd
    .uniform_work_group_size: 1
    .uses_dynamic_stack: false
    .vgpr_count:     21
    .vgpr_spill_count: 0
    .wavefront_size: 32
    .workgroup_processor_mode: 1
  - .args:
      - .offset:         0
        .size:           88
        .value_kind:     by_value
    .group_segment_fixed_size: 0
    .kernarg_segment_align: 8
    .kernarg_segment_size: 88
    .language:       OpenCL C
    .language_version:
      - 2
      - 0
    .max_flat_workgroup_size: 1024
    .name:           _ZN7rocprim17ROCPRIM_400000_NS6detail17trampoline_kernelINS0_14default_configENS1_38merge_sort_block_merge_config_selectorIlNS0_10empty_typeEEEZZNS1_27merge_sort_block_merge_implIS3_PlPS5_mZN2at6native12_GLOBAL__N_124unique_dim_cuda_templateIdEESt5tupleIJNSA_6TensorESF_SF_EERKSF_lbbbEUlllE_EE10hipError_tT0_T1_T2_jT3_P12ihipStream_tbPNSt15iterator_traitsISL_E10value_typeEPNSR_ISM_E10value_typeEPSN_NS1_7vsmem_tEENKUlT_SL_SM_SN_E_clIS8_S8_S9_S9_EESK_S10_SL_SM_SN_EUlS10_E0_NS1_11comp_targetILNS1_3genE8ELNS1_11target_archE1030ELNS1_3gpuE2ELNS1_3repE0EEENS1_38merge_mergepath_config_static_selectorELNS0_4arch9wavefront6targetE0EEEvSM_
    .private_segment_fixed_size: 0
    .sgpr_count:     0
    .sgpr_spill_count: 0
    .symbol:         _ZN7rocprim17ROCPRIM_400000_NS6detail17trampoline_kernelINS0_14default_configENS1_38merge_sort_block_merge_config_selectorIlNS0_10empty_typeEEEZZNS1_27merge_sort_block_merge_implIS3_PlPS5_mZN2at6native12_GLOBAL__N_124unique_dim_cuda_templateIdEESt5tupleIJNSA_6TensorESF_SF_EERKSF_lbbbEUlllE_EE10hipError_tT0_T1_T2_jT3_P12ihipStream_tbPNSt15iterator_traitsISL_E10value_typeEPNSR_ISM_E10value_typeEPSN_NS1_7vsmem_tEENKUlT_SL_SM_SN_E_clIS8_S8_S9_S9_EESK_S10_SL_SM_SN_EUlS10_E0_NS1_11comp_targetILNS1_3genE8ELNS1_11target_archE1030ELNS1_3gpuE2ELNS1_3repE0EEENS1_38merge_mergepath_config_static_selectorELNS0_4arch9wavefront6targetE0EEEvSM_.kd
    .uniform_work_group_size: 1
    .uses_dynamic_stack: false
    .vgpr_count:     0
    .vgpr_spill_count: 0
    .wavefront_size: 32
    .workgroup_processor_mode: 1
  - .args:
      - .offset:         0
        .size:           64
        .value_kind:     by_value
    .group_segment_fixed_size: 0
    .kernarg_segment_align: 8
    .kernarg_segment_size: 64
    .language:       OpenCL C
    .language_version:
      - 2
      - 0
    .max_flat_workgroup_size: 256
    .name:           _ZN7rocprim17ROCPRIM_400000_NS6detail17trampoline_kernelINS0_14default_configENS1_38merge_sort_block_merge_config_selectorIlNS0_10empty_typeEEEZZNS1_27merge_sort_block_merge_implIS3_PlPS5_mZN2at6native12_GLOBAL__N_124unique_dim_cuda_templateIdEESt5tupleIJNSA_6TensorESF_SF_EERKSF_lbbbEUlllE_EE10hipError_tT0_T1_T2_jT3_P12ihipStream_tbPNSt15iterator_traitsISL_E10value_typeEPNSR_ISM_E10value_typeEPSN_NS1_7vsmem_tEENKUlT_SL_SM_SN_E_clIS8_S8_S9_S9_EESK_S10_SL_SM_SN_EUlS10_E1_NS1_11comp_targetILNS1_3genE0ELNS1_11target_archE4294967295ELNS1_3gpuE0ELNS1_3repE0EEENS1_36merge_oddeven_config_static_selectorELNS0_4arch9wavefront6targetE0EEEvSM_
    .private_segment_fixed_size: 0
    .sgpr_count:     0
    .sgpr_spill_count: 0
    .symbol:         _ZN7rocprim17ROCPRIM_400000_NS6detail17trampoline_kernelINS0_14default_configENS1_38merge_sort_block_merge_config_selectorIlNS0_10empty_typeEEEZZNS1_27merge_sort_block_merge_implIS3_PlPS5_mZN2at6native12_GLOBAL__N_124unique_dim_cuda_templateIdEESt5tupleIJNSA_6TensorESF_SF_EERKSF_lbbbEUlllE_EE10hipError_tT0_T1_T2_jT3_P12ihipStream_tbPNSt15iterator_traitsISL_E10value_typeEPNSR_ISM_E10value_typeEPSN_NS1_7vsmem_tEENKUlT_SL_SM_SN_E_clIS8_S8_S9_S9_EESK_S10_SL_SM_SN_EUlS10_E1_NS1_11comp_targetILNS1_3genE0ELNS1_11target_archE4294967295ELNS1_3gpuE0ELNS1_3repE0EEENS1_36merge_oddeven_config_static_selectorELNS0_4arch9wavefront6targetE0EEEvSM_.kd
    .uniform_work_group_size: 1
    .uses_dynamic_stack: false
    .vgpr_count:     0
    .vgpr_spill_count: 0
    .wavefront_size: 32
    .workgroup_processor_mode: 1
  - .args:
      - .offset:         0
        .size:           64
        .value_kind:     by_value
    .group_segment_fixed_size: 0
    .kernarg_segment_align: 8
    .kernarg_segment_size: 64
    .language:       OpenCL C
    .language_version:
      - 2
      - 0
    .max_flat_workgroup_size: 256
    .name:           _ZN7rocprim17ROCPRIM_400000_NS6detail17trampoline_kernelINS0_14default_configENS1_38merge_sort_block_merge_config_selectorIlNS0_10empty_typeEEEZZNS1_27merge_sort_block_merge_implIS3_PlPS5_mZN2at6native12_GLOBAL__N_124unique_dim_cuda_templateIdEESt5tupleIJNSA_6TensorESF_SF_EERKSF_lbbbEUlllE_EE10hipError_tT0_T1_T2_jT3_P12ihipStream_tbPNSt15iterator_traitsISL_E10value_typeEPNSR_ISM_E10value_typeEPSN_NS1_7vsmem_tEENKUlT_SL_SM_SN_E_clIS8_S8_S9_S9_EESK_S10_SL_SM_SN_EUlS10_E1_NS1_11comp_targetILNS1_3genE10ELNS1_11target_archE1201ELNS1_3gpuE5ELNS1_3repE0EEENS1_36merge_oddeven_config_static_selectorELNS0_4arch9wavefront6targetE0EEEvSM_
    .private_segment_fixed_size: 0
    .sgpr_count:     0
    .sgpr_spill_count: 0
    .symbol:         _ZN7rocprim17ROCPRIM_400000_NS6detail17trampoline_kernelINS0_14default_configENS1_38merge_sort_block_merge_config_selectorIlNS0_10empty_typeEEEZZNS1_27merge_sort_block_merge_implIS3_PlPS5_mZN2at6native12_GLOBAL__N_124unique_dim_cuda_templateIdEESt5tupleIJNSA_6TensorESF_SF_EERKSF_lbbbEUlllE_EE10hipError_tT0_T1_T2_jT3_P12ihipStream_tbPNSt15iterator_traitsISL_E10value_typeEPNSR_ISM_E10value_typeEPSN_NS1_7vsmem_tEENKUlT_SL_SM_SN_E_clIS8_S8_S9_S9_EESK_S10_SL_SM_SN_EUlS10_E1_NS1_11comp_targetILNS1_3genE10ELNS1_11target_archE1201ELNS1_3gpuE5ELNS1_3repE0EEENS1_36merge_oddeven_config_static_selectorELNS0_4arch9wavefront6targetE0EEEvSM_.kd
    .uniform_work_group_size: 1
    .uses_dynamic_stack: false
    .vgpr_count:     0
    .vgpr_spill_count: 0
    .wavefront_size: 32
    .workgroup_processor_mode: 1
  - .args:
      - .offset:         0
        .size:           64
        .value_kind:     by_value
    .group_segment_fixed_size: 0
    .kernarg_segment_align: 8
    .kernarg_segment_size: 64
    .language:       OpenCL C
    .language_version:
      - 2
      - 0
    .max_flat_workgroup_size: 256
    .name:           _ZN7rocprim17ROCPRIM_400000_NS6detail17trampoline_kernelINS0_14default_configENS1_38merge_sort_block_merge_config_selectorIlNS0_10empty_typeEEEZZNS1_27merge_sort_block_merge_implIS3_PlPS5_mZN2at6native12_GLOBAL__N_124unique_dim_cuda_templateIdEESt5tupleIJNSA_6TensorESF_SF_EERKSF_lbbbEUlllE_EE10hipError_tT0_T1_T2_jT3_P12ihipStream_tbPNSt15iterator_traitsISL_E10value_typeEPNSR_ISM_E10value_typeEPSN_NS1_7vsmem_tEENKUlT_SL_SM_SN_E_clIS8_S8_S9_S9_EESK_S10_SL_SM_SN_EUlS10_E1_NS1_11comp_targetILNS1_3genE5ELNS1_11target_archE942ELNS1_3gpuE9ELNS1_3repE0EEENS1_36merge_oddeven_config_static_selectorELNS0_4arch9wavefront6targetE0EEEvSM_
    .private_segment_fixed_size: 0
    .sgpr_count:     0
    .sgpr_spill_count: 0
    .symbol:         _ZN7rocprim17ROCPRIM_400000_NS6detail17trampoline_kernelINS0_14default_configENS1_38merge_sort_block_merge_config_selectorIlNS0_10empty_typeEEEZZNS1_27merge_sort_block_merge_implIS3_PlPS5_mZN2at6native12_GLOBAL__N_124unique_dim_cuda_templateIdEESt5tupleIJNSA_6TensorESF_SF_EERKSF_lbbbEUlllE_EE10hipError_tT0_T1_T2_jT3_P12ihipStream_tbPNSt15iterator_traitsISL_E10value_typeEPNSR_ISM_E10value_typeEPSN_NS1_7vsmem_tEENKUlT_SL_SM_SN_E_clIS8_S8_S9_S9_EESK_S10_SL_SM_SN_EUlS10_E1_NS1_11comp_targetILNS1_3genE5ELNS1_11target_archE942ELNS1_3gpuE9ELNS1_3repE0EEENS1_36merge_oddeven_config_static_selectorELNS0_4arch9wavefront6targetE0EEEvSM_.kd
    .uniform_work_group_size: 1
    .uses_dynamic_stack: false
    .vgpr_count:     0
    .vgpr_spill_count: 0
    .wavefront_size: 32
    .workgroup_processor_mode: 1
  - .args:
      - .offset:         0
        .size:           64
        .value_kind:     by_value
    .group_segment_fixed_size: 0
    .kernarg_segment_align: 8
    .kernarg_segment_size: 64
    .language:       OpenCL C
    .language_version:
      - 2
      - 0
    .max_flat_workgroup_size: 256
    .name:           _ZN7rocprim17ROCPRIM_400000_NS6detail17trampoline_kernelINS0_14default_configENS1_38merge_sort_block_merge_config_selectorIlNS0_10empty_typeEEEZZNS1_27merge_sort_block_merge_implIS3_PlPS5_mZN2at6native12_GLOBAL__N_124unique_dim_cuda_templateIdEESt5tupleIJNSA_6TensorESF_SF_EERKSF_lbbbEUlllE_EE10hipError_tT0_T1_T2_jT3_P12ihipStream_tbPNSt15iterator_traitsISL_E10value_typeEPNSR_ISM_E10value_typeEPSN_NS1_7vsmem_tEENKUlT_SL_SM_SN_E_clIS8_S8_S9_S9_EESK_S10_SL_SM_SN_EUlS10_E1_NS1_11comp_targetILNS1_3genE4ELNS1_11target_archE910ELNS1_3gpuE8ELNS1_3repE0EEENS1_36merge_oddeven_config_static_selectorELNS0_4arch9wavefront6targetE0EEEvSM_
    .private_segment_fixed_size: 0
    .sgpr_count:     0
    .sgpr_spill_count: 0
    .symbol:         _ZN7rocprim17ROCPRIM_400000_NS6detail17trampoline_kernelINS0_14default_configENS1_38merge_sort_block_merge_config_selectorIlNS0_10empty_typeEEEZZNS1_27merge_sort_block_merge_implIS3_PlPS5_mZN2at6native12_GLOBAL__N_124unique_dim_cuda_templateIdEESt5tupleIJNSA_6TensorESF_SF_EERKSF_lbbbEUlllE_EE10hipError_tT0_T1_T2_jT3_P12ihipStream_tbPNSt15iterator_traitsISL_E10value_typeEPNSR_ISM_E10value_typeEPSN_NS1_7vsmem_tEENKUlT_SL_SM_SN_E_clIS8_S8_S9_S9_EESK_S10_SL_SM_SN_EUlS10_E1_NS1_11comp_targetILNS1_3genE4ELNS1_11target_archE910ELNS1_3gpuE8ELNS1_3repE0EEENS1_36merge_oddeven_config_static_selectorELNS0_4arch9wavefront6targetE0EEEvSM_.kd
    .uniform_work_group_size: 1
    .uses_dynamic_stack: false
    .vgpr_count:     0
    .vgpr_spill_count: 0
    .wavefront_size: 32
    .workgroup_processor_mode: 1
  - .args:
      - .offset:         0
        .size:           64
        .value_kind:     by_value
    .group_segment_fixed_size: 0
    .kernarg_segment_align: 8
    .kernarg_segment_size: 64
    .language:       OpenCL C
    .language_version:
      - 2
      - 0
    .max_flat_workgroup_size: 256
    .name:           _ZN7rocprim17ROCPRIM_400000_NS6detail17trampoline_kernelINS0_14default_configENS1_38merge_sort_block_merge_config_selectorIlNS0_10empty_typeEEEZZNS1_27merge_sort_block_merge_implIS3_PlPS5_mZN2at6native12_GLOBAL__N_124unique_dim_cuda_templateIdEESt5tupleIJNSA_6TensorESF_SF_EERKSF_lbbbEUlllE_EE10hipError_tT0_T1_T2_jT3_P12ihipStream_tbPNSt15iterator_traitsISL_E10value_typeEPNSR_ISM_E10value_typeEPSN_NS1_7vsmem_tEENKUlT_SL_SM_SN_E_clIS8_S8_S9_S9_EESK_S10_SL_SM_SN_EUlS10_E1_NS1_11comp_targetILNS1_3genE3ELNS1_11target_archE908ELNS1_3gpuE7ELNS1_3repE0EEENS1_36merge_oddeven_config_static_selectorELNS0_4arch9wavefront6targetE0EEEvSM_
    .private_segment_fixed_size: 0
    .sgpr_count:     0
    .sgpr_spill_count: 0
    .symbol:         _ZN7rocprim17ROCPRIM_400000_NS6detail17trampoline_kernelINS0_14default_configENS1_38merge_sort_block_merge_config_selectorIlNS0_10empty_typeEEEZZNS1_27merge_sort_block_merge_implIS3_PlPS5_mZN2at6native12_GLOBAL__N_124unique_dim_cuda_templateIdEESt5tupleIJNSA_6TensorESF_SF_EERKSF_lbbbEUlllE_EE10hipError_tT0_T1_T2_jT3_P12ihipStream_tbPNSt15iterator_traitsISL_E10value_typeEPNSR_ISM_E10value_typeEPSN_NS1_7vsmem_tEENKUlT_SL_SM_SN_E_clIS8_S8_S9_S9_EESK_S10_SL_SM_SN_EUlS10_E1_NS1_11comp_targetILNS1_3genE3ELNS1_11target_archE908ELNS1_3gpuE7ELNS1_3repE0EEENS1_36merge_oddeven_config_static_selectorELNS0_4arch9wavefront6targetE0EEEvSM_.kd
    .uniform_work_group_size: 1
    .uses_dynamic_stack: false
    .vgpr_count:     0
    .vgpr_spill_count: 0
    .wavefront_size: 32
    .workgroup_processor_mode: 1
  - .args:
      - .offset:         0
        .size:           64
        .value_kind:     by_value
    .group_segment_fixed_size: 0
    .kernarg_segment_align: 8
    .kernarg_segment_size: 64
    .language:       OpenCL C
    .language_version:
      - 2
      - 0
    .max_flat_workgroup_size: 256
    .name:           _ZN7rocprim17ROCPRIM_400000_NS6detail17trampoline_kernelINS0_14default_configENS1_38merge_sort_block_merge_config_selectorIlNS0_10empty_typeEEEZZNS1_27merge_sort_block_merge_implIS3_PlPS5_mZN2at6native12_GLOBAL__N_124unique_dim_cuda_templateIdEESt5tupleIJNSA_6TensorESF_SF_EERKSF_lbbbEUlllE_EE10hipError_tT0_T1_T2_jT3_P12ihipStream_tbPNSt15iterator_traitsISL_E10value_typeEPNSR_ISM_E10value_typeEPSN_NS1_7vsmem_tEENKUlT_SL_SM_SN_E_clIS8_S8_S9_S9_EESK_S10_SL_SM_SN_EUlS10_E1_NS1_11comp_targetILNS1_3genE2ELNS1_11target_archE906ELNS1_3gpuE6ELNS1_3repE0EEENS1_36merge_oddeven_config_static_selectorELNS0_4arch9wavefront6targetE0EEEvSM_
    .private_segment_fixed_size: 0
    .sgpr_count:     0
    .sgpr_spill_count: 0
    .symbol:         _ZN7rocprim17ROCPRIM_400000_NS6detail17trampoline_kernelINS0_14default_configENS1_38merge_sort_block_merge_config_selectorIlNS0_10empty_typeEEEZZNS1_27merge_sort_block_merge_implIS3_PlPS5_mZN2at6native12_GLOBAL__N_124unique_dim_cuda_templateIdEESt5tupleIJNSA_6TensorESF_SF_EERKSF_lbbbEUlllE_EE10hipError_tT0_T1_T2_jT3_P12ihipStream_tbPNSt15iterator_traitsISL_E10value_typeEPNSR_ISM_E10value_typeEPSN_NS1_7vsmem_tEENKUlT_SL_SM_SN_E_clIS8_S8_S9_S9_EESK_S10_SL_SM_SN_EUlS10_E1_NS1_11comp_targetILNS1_3genE2ELNS1_11target_archE906ELNS1_3gpuE6ELNS1_3repE0EEENS1_36merge_oddeven_config_static_selectorELNS0_4arch9wavefront6targetE0EEEvSM_.kd
    .uniform_work_group_size: 1
    .uses_dynamic_stack: false
    .vgpr_count:     0
    .vgpr_spill_count: 0
    .wavefront_size: 32
    .workgroup_processor_mode: 1
  - .args:
      - .offset:         0
        .size:           64
        .value_kind:     by_value
    .group_segment_fixed_size: 0
    .kernarg_segment_align: 8
    .kernarg_segment_size: 64
    .language:       OpenCL C
    .language_version:
      - 2
      - 0
    .max_flat_workgroup_size: 256
    .name:           _ZN7rocprim17ROCPRIM_400000_NS6detail17trampoline_kernelINS0_14default_configENS1_38merge_sort_block_merge_config_selectorIlNS0_10empty_typeEEEZZNS1_27merge_sort_block_merge_implIS3_PlPS5_mZN2at6native12_GLOBAL__N_124unique_dim_cuda_templateIdEESt5tupleIJNSA_6TensorESF_SF_EERKSF_lbbbEUlllE_EE10hipError_tT0_T1_T2_jT3_P12ihipStream_tbPNSt15iterator_traitsISL_E10value_typeEPNSR_ISM_E10value_typeEPSN_NS1_7vsmem_tEENKUlT_SL_SM_SN_E_clIS8_S8_S9_S9_EESK_S10_SL_SM_SN_EUlS10_E1_NS1_11comp_targetILNS1_3genE9ELNS1_11target_archE1100ELNS1_3gpuE3ELNS1_3repE0EEENS1_36merge_oddeven_config_static_selectorELNS0_4arch9wavefront6targetE0EEEvSM_
    .private_segment_fixed_size: 0
    .sgpr_count:     31
    .sgpr_spill_count: 0
    .symbol:         _ZN7rocprim17ROCPRIM_400000_NS6detail17trampoline_kernelINS0_14default_configENS1_38merge_sort_block_merge_config_selectorIlNS0_10empty_typeEEEZZNS1_27merge_sort_block_merge_implIS3_PlPS5_mZN2at6native12_GLOBAL__N_124unique_dim_cuda_templateIdEESt5tupleIJNSA_6TensorESF_SF_EERKSF_lbbbEUlllE_EE10hipError_tT0_T1_T2_jT3_P12ihipStream_tbPNSt15iterator_traitsISL_E10value_typeEPNSR_ISM_E10value_typeEPSN_NS1_7vsmem_tEENKUlT_SL_SM_SN_E_clIS8_S8_S9_S9_EESK_S10_SL_SM_SN_EUlS10_E1_NS1_11comp_targetILNS1_3genE9ELNS1_11target_archE1100ELNS1_3gpuE3ELNS1_3repE0EEENS1_36merge_oddeven_config_static_selectorELNS0_4arch9wavefront6targetE0EEEvSM_.kd
    .uniform_work_group_size: 1
    .uses_dynamic_stack: false
    .vgpr_count:     20
    .vgpr_spill_count: 0
    .wavefront_size: 32
    .workgroup_processor_mode: 1
  - .args:
      - .offset:         0
        .size:           64
        .value_kind:     by_value
    .group_segment_fixed_size: 0
    .kernarg_segment_align: 8
    .kernarg_segment_size: 64
    .language:       OpenCL C
    .language_version:
      - 2
      - 0
    .max_flat_workgroup_size: 256
    .name:           _ZN7rocprim17ROCPRIM_400000_NS6detail17trampoline_kernelINS0_14default_configENS1_38merge_sort_block_merge_config_selectorIlNS0_10empty_typeEEEZZNS1_27merge_sort_block_merge_implIS3_PlPS5_mZN2at6native12_GLOBAL__N_124unique_dim_cuda_templateIdEESt5tupleIJNSA_6TensorESF_SF_EERKSF_lbbbEUlllE_EE10hipError_tT0_T1_T2_jT3_P12ihipStream_tbPNSt15iterator_traitsISL_E10value_typeEPNSR_ISM_E10value_typeEPSN_NS1_7vsmem_tEENKUlT_SL_SM_SN_E_clIS8_S8_S9_S9_EESK_S10_SL_SM_SN_EUlS10_E1_NS1_11comp_targetILNS1_3genE8ELNS1_11target_archE1030ELNS1_3gpuE2ELNS1_3repE0EEENS1_36merge_oddeven_config_static_selectorELNS0_4arch9wavefront6targetE0EEEvSM_
    .private_segment_fixed_size: 0
    .sgpr_count:     0
    .sgpr_spill_count: 0
    .symbol:         _ZN7rocprim17ROCPRIM_400000_NS6detail17trampoline_kernelINS0_14default_configENS1_38merge_sort_block_merge_config_selectorIlNS0_10empty_typeEEEZZNS1_27merge_sort_block_merge_implIS3_PlPS5_mZN2at6native12_GLOBAL__N_124unique_dim_cuda_templateIdEESt5tupleIJNSA_6TensorESF_SF_EERKSF_lbbbEUlllE_EE10hipError_tT0_T1_T2_jT3_P12ihipStream_tbPNSt15iterator_traitsISL_E10value_typeEPNSR_ISM_E10value_typeEPSN_NS1_7vsmem_tEENKUlT_SL_SM_SN_E_clIS8_S8_S9_S9_EESK_S10_SL_SM_SN_EUlS10_E1_NS1_11comp_targetILNS1_3genE8ELNS1_11target_archE1030ELNS1_3gpuE2ELNS1_3repE0EEENS1_36merge_oddeven_config_static_selectorELNS0_4arch9wavefront6targetE0EEEvSM_.kd
    .uniform_work_group_size: 1
    .uses_dynamic_stack: false
    .vgpr_count:     0
    .vgpr_spill_count: 0
    .wavefront_size: 32
    .workgroup_processor_mode: 1
  - .args:
      - .offset:         0
        .size:           64
        .value_kind:     by_value
    .group_segment_fixed_size: 0
    .kernarg_segment_align: 8
    .kernarg_segment_size: 64
    .language:       OpenCL C
    .language_version:
      - 2
      - 0
    .max_flat_workgroup_size: 128
    .name:           _ZN7rocprim17ROCPRIM_400000_NS6detail17trampoline_kernelINS0_14default_configENS1_35adjacent_difference_config_selectorILb0ElEEZNS1_24adjacent_difference_implIS3_Lb0ELb0EPlS7_ZN2at6native12_GLOBAL__N_124unique_dim_cuda_templateIdEESt5tupleIJNS8_6TensorESD_SD_EERKSD_lbbbEUlllE1_EE10hipError_tPvRmT2_T3_mT4_P12ihipStream_tbEUlT_E_NS1_11comp_targetILNS1_3genE0ELNS1_11target_archE4294967295ELNS1_3gpuE0ELNS1_3repE0EEENS1_30default_config_static_selectorELNS0_4arch9wavefront6targetE0EEEvT1_
    .private_segment_fixed_size: 0
    .sgpr_count:     0
    .sgpr_spill_count: 0
    .symbol:         _ZN7rocprim17ROCPRIM_400000_NS6detail17trampoline_kernelINS0_14default_configENS1_35adjacent_difference_config_selectorILb0ElEEZNS1_24adjacent_difference_implIS3_Lb0ELb0EPlS7_ZN2at6native12_GLOBAL__N_124unique_dim_cuda_templateIdEESt5tupleIJNS8_6TensorESD_SD_EERKSD_lbbbEUlllE1_EE10hipError_tPvRmT2_T3_mT4_P12ihipStream_tbEUlT_E_NS1_11comp_targetILNS1_3genE0ELNS1_11target_archE4294967295ELNS1_3gpuE0ELNS1_3repE0EEENS1_30default_config_static_selectorELNS0_4arch9wavefront6targetE0EEEvT1_.kd
    .uniform_work_group_size: 1
    .uses_dynamic_stack: false
    .vgpr_count:     0
    .vgpr_spill_count: 0
    .wavefront_size: 32
    .workgroup_processor_mode: 1
  - .args:
      - .offset:         0
        .size:           64
        .value_kind:     by_value
    .group_segment_fixed_size: 0
    .kernarg_segment_align: 8
    .kernarg_segment_size: 64
    .language:       OpenCL C
    .language_version:
      - 2
      - 0
    .max_flat_workgroup_size: 128
    .name:           _ZN7rocprim17ROCPRIM_400000_NS6detail17trampoline_kernelINS0_14default_configENS1_35adjacent_difference_config_selectorILb0ElEEZNS1_24adjacent_difference_implIS3_Lb0ELb0EPlS7_ZN2at6native12_GLOBAL__N_124unique_dim_cuda_templateIdEESt5tupleIJNS8_6TensorESD_SD_EERKSD_lbbbEUlllE1_EE10hipError_tPvRmT2_T3_mT4_P12ihipStream_tbEUlT_E_NS1_11comp_targetILNS1_3genE10ELNS1_11target_archE1201ELNS1_3gpuE5ELNS1_3repE0EEENS1_30default_config_static_selectorELNS0_4arch9wavefront6targetE0EEEvT1_
    .private_segment_fixed_size: 0
    .sgpr_count:     0
    .sgpr_spill_count: 0
    .symbol:         _ZN7rocprim17ROCPRIM_400000_NS6detail17trampoline_kernelINS0_14default_configENS1_35adjacent_difference_config_selectorILb0ElEEZNS1_24adjacent_difference_implIS3_Lb0ELb0EPlS7_ZN2at6native12_GLOBAL__N_124unique_dim_cuda_templateIdEESt5tupleIJNS8_6TensorESD_SD_EERKSD_lbbbEUlllE1_EE10hipError_tPvRmT2_T3_mT4_P12ihipStream_tbEUlT_E_NS1_11comp_targetILNS1_3genE10ELNS1_11target_archE1201ELNS1_3gpuE5ELNS1_3repE0EEENS1_30default_config_static_selectorELNS0_4arch9wavefront6targetE0EEEvT1_.kd
    .uniform_work_group_size: 1
    .uses_dynamic_stack: false
    .vgpr_count:     0
    .vgpr_spill_count: 0
    .wavefront_size: 32
    .workgroup_processor_mode: 1
  - .args:
      - .offset:         0
        .size:           64
        .value_kind:     by_value
    .group_segment_fixed_size: 0
    .kernarg_segment_align: 8
    .kernarg_segment_size: 64
    .language:       OpenCL C
    .language_version:
      - 2
      - 0
    .max_flat_workgroup_size: 64
    .name:           _ZN7rocprim17ROCPRIM_400000_NS6detail17trampoline_kernelINS0_14default_configENS1_35adjacent_difference_config_selectorILb0ElEEZNS1_24adjacent_difference_implIS3_Lb0ELb0EPlS7_ZN2at6native12_GLOBAL__N_124unique_dim_cuda_templateIdEESt5tupleIJNS8_6TensorESD_SD_EERKSD_lbbbEUlllE1_EE10hipError_tPvRmT2_T3_mT4_P12ihipStream_tbEUlT_E_NS1_11comp_targetILNS1_3genE5ELNS1_11target_archE942ELNS1_3gpuE9ELNS1_3repE0EEENS1_30default_config_static_selectorELNS0_4arch9wavefront6targetE0EEEvT1_
    .private_segment_fixed_size: 0
    .sgpr_count:     0
    .sgpr_spill_count: 0
    .symbol:         _ZN7rocprim17ROCPRIM_400000_NS6detail17trampoline_kernelINS0_14default_configENS1_35adjacent_difference_config_selectorILb0ElEEZNS1_24adjacent_difference_implIS3_Lb0ELb0EPlS7_ZN2at6native12_GLOBAL__N_124unique_dim_cuda_templateIdEESt5tupleIJNS8_6TensorESD_SD_EERKSD_lbbbEUlllE1_EE10hipError_tPvRmT2_T3_mT4_P12ihipStream_tbEUlT_E_NS1_11comp_targetILNS1_3genE5ELNS1_11target_archE942ELNS1_3gpuE9ELNS1_3repE0EEENS1_30default_config_static_selectorELNS0_4arch9wavefront6targetE0EEEvT1_.kd
    .uniform_work_group_size: 1
    .uses_dynamic_stack: false
    .vgpr_count:     0
    .vgpr_spill_count: 0
    .wavefront_size: 32
    .workgroup_processor_mode: 1
  - .args:
      - .offset:         0
        .size:           64
        .value_kind:     by_value
    .group_segment_fixed_size: 0
    .kernarg_segment_align: 8
    .kernarg_segment_size: 64
    .language:       OpenCL C
    .language_version:
      - 2
      - 0
    .max_flat_workgroup_size: 256
    .name:           _ZN7rocprim17ROCPRIM_400000_NS6detail17trampoline_kernelINS0_14default_configENS1_35adjacent_difference_config_selectorILb0ElEEZNS1_24adjacent_difference_implIS3_Lb0ELb0EPlS7_ZN2at6native12_GLOBAL__N_124unique_dim_cuda_templateIdEESt5tupleIJNS8_6TensorESD_SD_EERKSD_lbbbEUlllE1_EE10hipError_tPvRmT2_T3_mT4_P12ihipStream_tbEUlT_E_NS1_11comp_targetILNS1_3genE4ELNS1_11target_archE910ELNS1_3gpuE8ELNS1_3repE0EEENS1_30default_config_static_selectorELNS0_4arch9wavefront6targetE0EEEvT1_
    .private_segment_fixed_size: 0
    .sgpr_count:     0
    .sgpr_spill_count: 0
    .symbol:         _ZN7rocprim17ROCPRIM_400000_NS6detail17trampoline_kernelINS0_14default_configENS1_35adjacent_difference_config_selectorILb0ElEEZNS1_24adjacent_difference_implIS3_Lb0ELb0EPlS7_ZN2at6native12_GLOBAL__N_124unique_dim_cuda_templateIdEESt5tupleIJNS8_6TensorESD_SD_EERKSD_lbbbEUlllE1_EE10hipError_tPvRmT2_T3_mT4_P12ihipStream_tbEUlT_E_NS1_11comp_targetILNS1_3genE4ELNS1_11target_archE910ELNS1_3gpuE8ELNS1_3repE0EEENS1_30default_config_static_selectorELNS0_4arch9wavefront6targetE0EEEvT1_.kd
    .uniform_work_group_size: 1
    .uses_dynamic_stack: false
    .vgpr_count:     0
    .vgpr_spill_count: 0
    .wavefront_size: 32
    .workgroup_processor_mode: 1
  - .args:
      - .offset:         0
        .size:           64
        .value_kind:     by_value
    .group_segment_fixed_size: 0
    .kernarg_segment_align: 8
    .kernarg_segment_size: 64
    .language:       OpenCL C
    .language_version:
      - 2
      - 0
    .max_flat_workgroup_size: 128
    .name:           _ZN7rocprim17ROCPRIM_400000_NS6detail17trampoline_kernelINS0_14default_configENS1_35adjacent_difference_config_selectorILb0ElEEZNS1_24adjacent_difference_implIS3_Lb0ELb0EPlS7_ZN2at6native12_GLOBAL__N_124unique_dim_cuda_templateIdEESt5tupleIJNS8_6TensorESD_SD_EERKSD_lbbbEUlllE1_EE10hipError_tPvRmT2_T3_mT4_P12ihipStream_tbEUlT_E_NS1_11comp_targetILNS1_3genE3ELNS1_11target_archE908ELNS1_3gpuE7ELNS1_3repE0EEENS1_30default_config_static_selectorELNS0_4arch9wavefront6targetE0EEEvT1_
    .private_segment_fixed_size: 0
    .sgpr_count:     0
    .sgpr_spill_count: 0
    .symbol:         _ZN7rocprim17ROCPRIM_400000_NS6detail17trampoline_kernelINS0_14default_configENS1_35adjacent_difference_config_selectorILb0ElEEZNS1_24adjacent_difference_implIS3_Lb0ELb0EPlS7_ZN2at6native12_GLOBAL__N_124unique_dim_cuda_templateIdEESt5tupleIJNS8_6TensorESD_SD_EERKSD_lbbbEUlllE1_EE10hipError_tPvRmT2_T3_mT4_P12ihipStream_tbEUlT_E_NS1_11comp_targetILNS1_3genE3ELNS1_11target_archE908ELNS1_3gpuE7ELNS1_3repE0EEENS1_30default_config_static_selectorELNS0_4arch9wavefront6targetE0EEEvT1_.kd
    .uniform_work_group_size: 1
    .uses_dynamic_stack: false
    .vgpr_count:     0
    .vgpr_spill_count: 0
    .wavefront_size: 32
    .workgroup_processor_mode: 1
  - .args:
      - .offset:         0
        .size:           64
        .value_kind:     by_value
    .group_segment_fixed_size: 0
    .kernarg_segment_align: 8
    .kernarg_segment_size: 64
    .language:       OpenCL C
    .language_version:
      - 2
      - 0
    .max_flat_workgroup_size: 128
    .name:           _ZN7rocprim17ROCPRIM_400000_NS6detail17trampoline_kernelINS0_14default_configENS1_35adjacent_difference_config_selectorILb0ElEEZNS1_24adjacent_difference_implIS3_Lb0ELb0EPlS7_ZN2at6native12_GLOBAL__N_124unique_dim_cuda_templateIdEESt5tupleIJNS8_6TensorESD_SD_EERKSD_lbbbEUlllE1_EE10hipError_tPvRmT2_T3_mT4_P12ihipStream_tbEUlT_E_NS1_11comp_targetILNS1_3genE2ELNS1_11target_archE906ELNS1_3gpuE6ELNS1_3repE0EEENS1_30default_config_static_selectorELNS0_4arch9wavefront6targetE0EEEvT1_
    .private_segment_fixed_size: 0
    .sgpr_count:     0
    .sgpr_spill_count: 0
    .symbol:         _ZN7rocprim17ROCPRIM_400000_NS6detail17trampoline_kernelINS0_14default_configENS1_35adjacent_difference_config_selectorILb0ElEEZNS1_24adjacent_difference_implIS3_Lb0ELb0EPlS7_ZN2at6native12_GLOBAL__N_124unique_dim_cuda_templateIdEESt5tupleIJNS8_6TensorESD_SD_EERKSD_lbbbEUlllE1_EE10hipError_tPvRmT2_T3_mT4_P12ihipStream_tbEUlT_E_NS1_11comp_targetILNS1_3genE2ELNS1_11target_archE906ELNS1_3gpuE6ELNS1_3repE0EEENS1_30default_config_static_selectorELNS0_4arch9wavefront6targetE0EEEvT1_.kd
    .uniform_work_group_size: 1
    .uses_dynamic_stack: false
    .vgpr_count:     0
    .vgpr_spill_count: 0
    .wavefront_size: 32
    .workgroup_processor_mode: 1
  - .args:
      - .offset:         0
        .size:           64
        .value_kind:     by_value
    .group_segment_fixed_size: 8192
    .kernarg_segment_align: 8
    .kernarg_segment_size: 64
    .language:       OpenCL C
    .language_version:
      - 2
      - 0
    .max_flat_workgroup_size: 512
    .name:           _ZN7rocprim17ROCPRIM_400000_NS6detail17trampoline_kernelINS0_14default_configENS1_35adjacent_difference_config_selectorILb0ElEEZNS1_24adjacent_difference_implIS3_Lb0ELb0EPlS7_ZN2at6native12_GLOBAL__N_124unique_dim_cuda_templateIdEESt5tupleIJNS8_6TensorESD_SD_EERKSD_lbbbEUlllE1_EE10hipError_tPvRmT2_T3_mT4_P12ihipStream_tbEUlT_E_NS1_11comp_targetILNS1_3genE9ELNS1_11target_archE1100ELNS1_3gpuE3ELNS1_3repE0EEENS1_30default_config_static_selectorELNS0_4arch9wavefront6targetE0EEEvT1_
    .private_segment_fixed_size: 0
    .sgpr_count:     28
    .sgpr_spill_count: 0
    .symbol:         _ZN7rocprim17ROCPRIM_400000_NS6detail17trampoline_kernelINS0_14default_configENS1_35adjacent_difference_config_selectorILb0ElEEZNS1_24adjacent_difference_implIS3_Lb0ELb0EPlS7_ZN2at6native12_GLOBAL__N_124unique_dim_cuda_templateIdEESt5tupleIJNS8_6TensorESD_SD_EERKSD_lbbbEUlllE1_EE10hipError_tPvRmT2_T3_mT4_P12ihipStream_tbEUlT_E_NS1_11comp_targetILNS1_3genE9ELNS1_11target_archE1100ELNS1_3gpuE3ELNS1_3repE0EEENS1_30default_config_static_selectorELNS0_4arch9wavefront6targetE0EEEvT1_.kd
    .uniform_work_group_size: 1
    .uses_dynamic_stack: false
    .vgpr_count:     13
    .vgpr_spill_count: 0
    .wavefront_size: 32
    .workgroup_processor_mode: 1
  - .args:
      - .offset:         0
        .size:           64
        .value_kind:     by_value
    .group_segment_fixed_size: 0
    .kernarg_segment_align: 8
    .kernarg_segment_size: 64
    .language:       OpenCL C
    .language_version:
      - 2
      - 0
    .max_flat_workgroup_size: 1024
    .name:           _ZN7rocprim17ROCPRIM_400000_NS6detail17trampoline_kernelINS0_14default_configENS1_35adjacent_difference_config_selectorILb0ElEEZNS1_24adjacent_difference_implIS3_Lb0ELb0EPlS7_ZN2at6native12_GLOBAL__N_124unique_dim_cuda_templateIdEESt5tupleIJNS8_6TensorESD_SD_EERKSD_lbbbEUlllE1_EE10hipError_tPvRmT2_T3_mT4_P12ihipStream_tbEUlT_E_NS1_11comp_targetILNS1_3genE8ELNS1_11target_archE1030ELNS1_3gpuE2ELNS1_3repE0EEENS1_30default_config_static_selectorELNS0_4arch9wavefront6targetE0EEEvT1_
    .private_segment_fixed_size: 0
    .sgpr_count:     0
    .sgpr_spill_count: 0
    .symbol:         _ZN7rocprim17ROCPRIM_400000_NS6detail17trampoline_kernelINS0_14default_configENS1_35adjacent_difference_config_selectorILb0ElEEZNS1_24adjacent_difference_implIS3_Lb0ELb0EPlS7_ZN2at6native12_GLOBAL__N_124unique_dim_cuda_templateIdEESt5tupleIJNS8_6TensorESD_SD_EERKSD_lbbbEUlllE1_EE10hipError_tPvRmT2_T3_mT4_P12ihipStream_tbEUlT_E_NS1_11comp_targetILNS1_3genE8ELNS1_11target_archE1030ELNS1_3gpuE2ELNS1_3repE0EEENS1_30default_config_static_selectorELNS0_4arch9wavefront6targetE0EEEvT1_.kd
    .uniform_work_group_size: 1
    .uses_dynamic_stack: false
    .vgpr_count:     0
    .vgpr_spill_count: 0
    .wavefront_size: 32
    .workgroup_processor_mode: 1
  - .args:
      - .offset:         0
        .size:           56
        .value_kind:     by_value
    .group_segment_fixed_size: 0
    .kernarg_segment_align: 8
    .kernarg_segment_size: 56
    .language:       OpenCL C
    .language_version:
      - 2
      - 0
    .max_flat_workgroup_size: 128
    .name:           _ZN7rocprim17ROCPRIM_400000_NS6detail17trampoline_kernelINS0_14default_configENS1_25transform_config_selectorIlLb0EEEZNS1_14transform_implILb0ES3_S5_NS0_18transform_iteratorINS0_17counting_iteratorImlEEZNS1_24adjacent_difference_implIS3_Lb1ELb0EPlSB_ZN2at6native12_GLOBAL__N_124unique_dim_cuda_templateIdEESt5tupleIJNSC_6TensorESH_SH_EERKSH_lbbbEUlllE1_EE10hipError_tPvRmT2_T3_mT4_P12ihipStream_tbEUlmE_lEESB_NS0_8identityIvEEEESM_SP_SQ_mSR_ST_bEUlT_E_NS1_11comp_targetILNS1_3genE0ELNS1_11target_archE4294967295ELNS1_3gpuE0ELNS1_3repE0EEENS1_30default_config_static_selectorELNS0_4arch9wavefront6targetE0EEEvT1_
    .private_segment_fixed_size: 0
    .sgpr_count:     0
    .sgpr_spill_count: 0
    .symbol:         _ZN7rocprim17ROCPRIM_400000_NS6detail17trampoline_kernelINS0_14default_configENS1_25transform_config_selectorIlLb0EEEZNS1_14transform_implILb0ES3_S5_NS0_18transform_iteratorINS0_17counting_iteratorImlEEZNS1_24adjacent_difference_implIS3_Lb1ELb0EPlSB_ZN2at6native12_GLOBAL__N_124unique_dim_cuda_templateIdEESt5tupleIJNSC_6TensorESH_SH_EERKSH_lbbbEUlllE1_EE10hipError_tPvRmT2_T3_mT4_P12ihipStream_tbEUlmE_lEESB_NS0_8identityIvEEEESM_SP_SQ_mSR_ST_bEUlT_E_NS1_11comp_targetILNS1_3genE0ELNS1_11target_archE4294967295ELNS1_3gpuE0ELNS1_3repE0EEENS1_30default_config_static_selectorELNS0_4arch9wavefront6targetE0EEEvT1_.kd
    .uniform_work_group_size: 1
    .uses_dynamic_stack: false
    .vgpr_count:     0
    .vgpr_spill_count: 0
    .wavefront_size: 32
    .workgroup_processor_mode: 1
  - .args:
      - .offset:         0
        .size:           56
        .value_kind:     by_value
    .group_segment_fixed_size: 0
    .kernarg_segment_align: 8
    .kernarg_segment_size: 56
    .language:       OpenCL C
    .language_version:
      - 2
      - 0
    .max_flat_workgroup_size: 512
    .name:           _ZN7rocprim17ROCPRIM_400000_NS6detail17trampoline_kernelINS0_14default_configENS1_25transform_config_selectorIlLb0EEEZNS1_14transform_implILb0ES3_S5_NS0_18transform_iteratorINS0_17counting_iteratorImlEEZNS1_24adjacent_difference_implIS3_Lb1ELb0EPlSB_ZN2at6native12_GLOBAL__N_124unique_dim_cuda_templateIdEESt5tupleIJNSC_6TensorESH_SH_EERKSH_lbbbEUlllE1_EE10hipError_tPvRmT2_T3_mT4_P12ihipStream_tbEUlmE_lEESB_NS0_8identityIvEEEESM_SP_SQ_mSR_ST_bEUlT_E_NS1_11comp_targetILNS1_3genE5ELNS1_11target_archE942ELNS1_3gpuE9ELNS1_3repE0EEENS1_30default_config_static_selectorELNS0_4arch9wavefront6targetE0EEEvT1_
    .private_segment_fixed_size: 0
    .sgpr_count:     0
    .sgpr_spill_count: 0
    .symbol:         _ZN7rocprim17ROCPRIM_400000_NS6detail17trampoline_kernelINS0_14default_configENS1_25transform_config_selectorIlLb0EEEZNS1_14transform_implILb0ES3_S5_NS0_18transform_iteratorINS0_17counting_iteratorImlEEZNS1_24adjacent_difference_implIS3_Lb1ELb0EPlSB_ZN2at6native12_GLOBAL__N_124unique_dim_cuda_templateIdEESt5tupleIJNSC_6TensorESH_SH_EERKSH_lbbbEUlllE1_EE10hipError_tPvRmT2_T3_mT4_P12ihipStream_tbEUlmE_lEESB_NS0_8identityIvEEEESM_SP_SQ_mSR_ST_bEUlT_E_NS1_11comp_targetILNS1_3genE5ELNS1_11target_archE942ELNS1_3gpuE9ELNS1_3repE0EEENS1_30default_config_static_selectorELNS0_4arch9wavefront6targetE0EEEvT1_.kd
    .uniform_work_group_size: 1
    .uses_dynamic_stack: false
    .vgpr_count:     0
    .vgpr_spill_count: 0
    .wavefront_size: 32
    .workgroup_processor_mode: 1
  - .args:
      - .offset:         0
        .size:           56
        .value_kind:     by_value
    .group_segment_fixed_size: 0
    .kernarg_segment_align: 8
    .kernarg_segment_size: 56
    .language:       OpenCL C
    .language_version:
      - 2
      - 0
    .max_flat_workgroup_size: 256
    .name:           _ZN7rocprim17ROCPRIM_400000_NS6detail17trampoline_kernelINS0_14default_configENS1_25transform_config_selectorIlLb0EEEZNS1_14transform_implILb0ES3_S5_NS0_18transform_iteratorINS0_17counting_iteratorImlEEZNS1_24adjacent_difference_implIS3_Lb1ELb0EPlSB_ZN2at6native12_GLOBAL__N_124unique_dim_cuda_templateIdEESt5tupleIJNSC_6TensorESH_SH_EERKSH_lbbbEUlllE1_EE10hipError_tPvRmT2_T3_mT4_P12ihipStream_tbEUlmE_lEESB_NS0_8identityIvEEEESM_SP_SQ_mSR_ST_bEUlT_E_NS1_11comp_targetILNS1_3genE4ELNS1_11target_archE910ELNS1_3gpuE8ELNS1_3repE0EEENS1_30default_config_static_selectorELNS0_4arch9wavefront6targetE0EEEvT1_
    .private_segment_fixed_size: 0
    .sgpr_count:     0
    .sgpr_spill_count: 0
    .symbol:         _ZN7rocprim17ROCPRIM_400000_NS6detail17trampoline_kernelINS0_14default_configENS1_25transform_config_selectorIlLb0EEEZNS1_14transform_implILb0ES3_S5_NS0_18transform_iteratorINS0_17counting_iteratorImlEEZNS1_24adjacent_difference_implIS3_Lb1ELb0EPlSB_ZN2at6native12_GLOBAL__N_124unique_dim_cuda_templateIdEESt5tupleIJNSC_6TensorESH_SH_EERKSH_lbbbEUlllE1_EE10hipError_tPvRmT2_T3_mT4_P12ihipStream_tbEUlmE_lEESB_NS0_8identityIvEEEESM_SP_SQ_mSR_ST_bEUlT_E_NS1_11comp_targetILNS1_3genE4ELNS1_11target_archE910ELNS1_3gpuE8ELNS1_3repE0EEENS1_30default_config_static_selectorELNS0_4arch9wavefront6targetE0EEEvT1_.kd
    .uniform_work_group_size: 1
    .uses_dynamic_stack: false
    .vgpr_count:     0
    .vgpr_spill_count: 0
    .wavefront_size: 32
    .workgroup_processor_mode: 1
  - .args:
      - .offset:         0
        .size:           56
        .value_kind:     by_value
    .group_segment_fixed_size: 0
    .kernarg_segment_align: 8
    .kernarg_segment_size: 56
    .language:       OpenCL C
    .language_version:
      - 2
      - 0
    .max_flat_workgroup_size: 128
    .name:           _ZN7rocprim17ROCPRIM_400000_NS6detail17trampoline_kernelINS0_14default_configENS1_25transform_config_selectorIlLb0EEEZNS1_14transform_implILb0ES3_S5_NS0_18transform_iteratorINS0_17counting_iteratorImlEEZNS1_24adjacent_difference_implIS3_Lb1ELb0EPlSB_ZN2at6native12_GLOBAL__N_124unique_dim_cuda_templateIdEESt5tupleIJNSC_6TensorESH_SH_EERKSH_lbbbEUlllE1_EE10hipError_tPvRmT2_T3_mT4_P12ihipStream_tbEUlmE_lEESB_NS0_8identityIvEEEESM_SP_SQ_mSR_ST_bEUlT_E_NS1_11comp_targetILNS1_3genE3ELNS1_11target_archE908ELNS1_3gpuE7ELNS1_3repE0EEENS1_30default_config_static_selectorELNS0_4arch9wavefront6targetE0EEEvT1_
    .private_segment_fixed_size: 0
    .sgpr_count:     0
    .sgpr_spill_count: 0
    .symbol:         _ZN7rocprim17ROCPRIM_400000_NS6detail17trampoline_kernelINS0_14default_configENS1_25transform_config_selectorIlLb0EEEZNS1_14transform_implILb0ES3_S5_NS0_18transform_iteratorINS0_17counting_iteratorImlEEZNS1_24adjacent_difference_implIS3_Lb1ELb0EPlSB_ZN2at6native12_GLOBAL__N_124unique_dim_cuda_templateIdEESt5tupleIJNSC_6TensorESH_SH_EERKSH_lbbbEUlllE1_EE10hipError_tPvRmT2_T3_mT4_P12ihipStream_tbEUlmE_lEESB_NS0_8identityIvEEEESM_SP_SQ_mSR_ST_bEUlT_E_NS1_11comp_targetILNS1_3genE3ELNS1_11target_archE908ELNS1_3gpuE7ELNS1_3repE0EEENS1_30default_config_static_selectorELNS0_4arch9wavefront6targetE0EEEvT1_.kd
    .uniform_work_group_size: 1
    .uses_dynamic_stack: false
    .vgpr_count:     0
    .vgpr_spill_count: 0
    .wavefront_size: 32
    .workgroup_processor_mode: 1
  - .args:
      - .offset:         0
        .size:           56
        .value_kind:     by_value
    .group_segment_fixed_size: 0
    .kernarg_segment_align: 8
    .kernarg_segment_size: 56
    .language:       OpenCL C
    .language_version:
      - 2
      - 0
    .max_flat_workgroup_size: 512
    .name:           _ZN7rocprim17ROCPRIM_400000_NS6detail17trampoline_kernelINS0_14default_configENS1_25transform_config_selectorIlLb0EEEZNS1_14transform_implILb0ES3_S5_NS0_18transform_iteratorINS0_17counting_iteratorImlEEZNS1_24adjacent_difference_implIS3_Lb1ELb0EPlSB_ZN2at6native12_GLOBAL__N_124unique_dim_cuda_templateIdEESt5tupleIJNSC_6TensorESH_SH_EERKSH_lbbbEUlllE1_EE10hipError_tPvRmT2_T3_mT4_P12ihipStream_tbEUlmE_lEESB_NS0_8identityIvEEEESM_SP_SQ_mSR_ST_bEUlT_E_NS1_11comp_targetILNS1_3genE2ELNS1_11target_archE906ELNS1_3gpuE6ELNS1_3repE0EEENS1_30default_config_static_selectorELNS0_4arch9wavefront6targetE0EEEvT1_
    .private_segment_fixed_size: 0
    .sgpr_count:     0
    .sgpr_spill_count: 0
    .symbol:         _ZN7rocprim17ROCPRIM_400000_NS6detail17trampoline_kernelINS0_14default_configENS1_25transform_config_selectorIlLb0EEEZNS1_14transform_implILb0ES3_S5_NS0_18transform_iteratorINS0_17counting_iteratorImlEEZNS1_24adjacent_difference_implIS3_Lb1ELb0EPlSB_ZN2at6native12_GLOBAL__N_124unique_dim_cuda_templateIdEESt5tupleIJNSC_6TensorESH_SH_EERKSH_lbbbEUlllE1_EE10hipError_tPvRmT2_T3_mT4_P12ihipStream_tbEUlmE_lEESB_NS0_8identityIvEEEESM_SP_SQ_mSR_ST_bEUlT_E_NS1_11comp_targetILNS1_3genE2ELNS1_11target_archE906ELNS1_3gpuE6ELNS1_3repE0EEENS1_30default_config_static_selectorELNS0_4arch9wavefront6targetE0EEEvT1_.kd
    .uniform_work_group_size: 1
    .uses_dynamic_stack: false
    .vgpr_count:     0
    .vgpr_spill_count: 0
    .wavefront_size: 32
    .workgroup_processor_mode: 1
  - .args:
      - .offset:         0
        .size:           56
        .value_kind:     by_value
    .group_segment_fixed_size: 0
    .kernarg_segment_align: 8
    .kernarg_segment_size: 56
    .language:       OpenCL C
    .language_version:
      - 2
      - 0
    .max_flat_workgroup_size: 1024
    .name:           _ZN7rocprim17ROCPRIM_400000_NS6detail17trampoline_kernelINS0_14default_configENS1_25transform_config_selectorIlLb0EEEZNS1_14transform_implILb0ES3_S5_NS0_18transform_iteratorINS0_17counting_iteratorImlEEZNS1_24adjacent_difference_implIS3_Lb1ELb0EPlSB_ZN2at6native12_GLOBAL__N_124unique_dim_cuda_templateIdEESt5tupleIJNSC_6TensorESH_SH_EERKSH_lbbbEUlllE1_EE10hipError_tPvRmT2_T3_mT4_P12ihipStream_tbEUlmE_lEESB_NS0_8identityIvEEEESM_SP_SQ_mSR_ST_bEUlT_E_NS1_11comp_targetILNS1_3genE10ELNS1_11target_archE1201ELNS1_3gpuE5ELNS1_3repE0EEENS1_30default_config_static_selectorELNS0_4arch9wavefront6targetE0EEEvT1_
    .private_segment_fixed_size: 0
    .sgpr_count:     0
    .sgpr_spill_count: 0
    .symbol:         _ZN7rocprim17ROCPRIM_400000_NS6detail17trampoline_kernelINS0_14default_configENS1_25transform_config_selectorIlLb0EEEZNS1_14transform_implILb0ES3_S5_NS0_18transform_iteratorINS0_17counting_iteratorImlEEZNS1_24adjacent_difference_implIS3_Lb1ELb0EPlSB_ZN2at6native12_GLOBAL__N_124unique_dim_cuda_templateIdEESt5tupleIJNSC_6TensorESH_SH_EERKSH_lbbbEUlllE1_EE10hipError_tPvRmT2_T3_mT4_P12ihipStream_tbEUlmE_lEESB_NS0_8identityIvEEEESM_SP_SQ_mSR_ST_bEUlT_E_NS1_11comp_targetILNS1_3genE10ELNS1_11target_archE1201ELNS1_3gpuE5ELNS1_3repE0EEENS1_30default_config_static_selectorELNS0_4arch9wavefront6targetE0EEEvT1_.kd
    .uniform_work_group_size: 1
    .uses_dynamic_stack: false
    .vgpr_count:     0
    .vgpr_spill_count: 0
    .wavefront_size: 32
    .workgroup_processor_mode: 1
  - .args:
      - .offset:         0
        .size:           56
        .value_kind:     by_value
    .group_segment_fixed_size: 0
    .kernarg_segment_align: 8
    .kernarg_segment_size: 56
    .language:       OpenCL C
    .language_version:
      - 2
      - 0
    .max_flat_workgroup_size: 512
    .name:           _ZN7rocprim17ROCPRIM_400000_NS6detail17trampoline_kernelINS0_14default_configENS1_25transform_config_selectorIlLb0EEEZNS1_14transform_implILb0ES3_S5_NS0_18transform_iteratorINS0_17counting_iteratorImlEEZNS1_24adjacent_difference_implIS3_Lb1ELb0EPlSB_ZN2at6native12_GLOBAL__N_124unique_dim_cuda_templateIdEESt5tupleIJNSC_6TensorESH_SH_EERKSH_lbbbEUlllE1_EE10hipError_tPvRmT2_T3_mT4_P12ihipStream_tbEUlmE_lEESB_NS0_8identityIvEEEESM_SP_SQ_mSR_ST_bEUlT_E_NS1_11comp_targetILNS1_3genE10ELNS1_11target_archE1200ELNS1_3gpuE4ELNS1_3repE0EEENS1_30default_config_static_selectorELNS0_4arch9wavefront6targetE0EEEvT1_
    .private_segment_fixed_size: 0
    .sgpr_count:     0
    .sgpr_spill_count: 0
    .symbol:         _ZN7rocprim17ROCPRIM_400000_NS6detail17trampoline_kernelINS0_14default_configENS1_25transform_config_selectorIlLb0EEEZNS1_14transform_implILb0ES3_S5_NS0_18transform_iteratorINS0_17counting_iteratorImlEEZNS1_24adjacent_difference_implIS3_Lb1ELb0EPlSB_ZN2at6native12_GLOBAL__N_124unique_dim_cuda_templateIdEESt5tupleIJNSC_6TensorESH_SH_EERKSH_lbbbEUlllE1_EE10hipError_tPvRmT2_T3_mT4_P12ihipStream_tbEUlmE_lEESB_NS0_8identityIvEEEESM_SP_SQ_mSR_ST_bEUlT_E_NS1_11comp_targetILNS1_3genE10ELNS1_11target_archE1200ELNS1_3gpuE4ELNS1_3repE0EEENS1_30default_config_static_selectorELNS0_4arch9wavefront6targetE0EEEvT1_.kd
    .uniform_work_group_size: 1
    .uses_dynamic_stack: false
    .vgpr_count:     0
    .vgpr_spill_count: 0
    .wavefront_size: 32
    .workgroup_processor_mode: 1
  - .args:
      - .offset:         0
        .size:           56
        .value_kind:     by_value
      - .offset:         56
        .size:           4
        .value_kind:     hidden_block_count_x
      - .offset:         60
        .size:           4
        .value_kind:     hidden_block_count_y
      - .offset:         64
        .size:           4
        .value_kind:     hidden_block_count_z
      - .offset:         68
        .size:           2
        .value_kind:     hidden_group_size_x
      - .offset:         70
        .size:           2
        .value_kind:     hidden_group_size_y
      - .offset:         72
        .size:           2
        .value_kind:     hidden_group_size_z
      - .offset:         74
        .size:           2
        .value_kind:     hidden_remainder_x
      - .offset:         76
        .size:           2
        .value_kind:     hidden_remainder_y
      - .offset:         78
        .size:           2
        .value_kind:     hidden_remainder_z
      - .offset:         96
        .size:           8
        .value_kind:     hidden_global_offset_x
      - .offset:         104
        .size:           8
        .value_kind:     hidden_global_offset_y
      - .offset:         112
        .size:           8
        .value_kind:     hidden_global_offset_z
      - .offset:         120
        .size:           2
        .value_kind:     hidden_grid_dims
    .group_segment_fixed_size: 0
    .kernarg_segment_align: 8
    .kernarg_segment_size: 312
    .language:       OpenCL C
    .language_version:
      - 2
      - 0
    .max_flat_workgroup_size: 512
    .name:           _ZN7rocprim17ROCPRIM_400000_NS6detail17trampoline_kernelINS0_14default_configENS1_25transform_config_selectorIlLb0EEEZNS1_14transform_implILb0ES3_S5_NS0_18transform_iteratorINS0_17counting_iteratorImlEEZNS1_24adjacent_difference_implIS3_Lb1ELb0EPlSB_ZN2at6native12_GLOBAL__N_124unique_dim_cuda_templateIdEESt5tupleIJNSC_6TensorESH_SH_EERKSH_lbbbEUlllE1_EE10hipError_tPvRmT2_T3_mT4_P12ihipStream_tbEUlmE_lEESB_NS0_8identityIvEEEESM_SP_SQ_mSR_ST_bEUlT_E_NS1_11comp_targetILNS1_3genE9ELNS1_11target_archE1100ELNS1_3gpuE3ELNS1_3repE0EEENS1_30default_config_static_selectorELNS0_4arch9wavefront6targetE0EEEvT1_
    .private_segment_fixed_size: 0
    .sgpr_count:     18
    .sgpr_spill_count: 0
    .symbol:         _ZN7rocprim17ROCPRIM_400000_NS6detail17trampoline_kernelINS0_14default_configENS1_25transform_config_selectorIlLb0EEEZNS1_14transform_implILb0ES3_S5_NS0_18transform_iteratorINS0_17counting_iteratorImlEEZNS1_24adjacent_difference_implIS3_Lb1ELb0EPlSB_ZN2at6native12_GLOBAL__N_124unique_dim_cuda_templateIdEESt5tupleIJNSC_6TensorESH_SH_EERKSH_lbbbEUlllE1_EE10hipError_tPvRmT2_T3_mT4_P12ihipStream_tbEUlmE_lEESB_NS0_8identityIvEEEESM_SP_SQ_mSR_ST_bEUlT_E_NS1_11comp_targetILNS1_3genE9ELNS1_11target_archE1100ELNS1_3gpuE3ELNS1_3repE0EEENS1_30default_config_static_selectorELNS0_4arch9wavefront6targetE0EEEvT1_.kd
    .uniform_work_group_size: 1
    .uses_dynamic_stack: false
    .vgpr_count:     6
    .vgpr_spill_count: 0
    .wavefront_size: 32
    .workgroup_processor_mode: 1
  - .args:
      - .offset:         0
        .size:           56
        .value_kind:     by_value
    .group_segment_fixed_size: 0
    .kernarg_segment_align: 8
    .kernarg_segment_size: 56
    .language:       OpenCL C
    .language_version:
      - 2
      - 0
    .max_flat_workgroup_size: 512
    .name:           _ZN7rocprim17ROCPRIM_400000_NS6detail17trampoline_kernelINS0_14default_configENS1_25transform_config_selectorIlLb0EEEZNS1_14transform_implILb0ES3_S5_NS0_18transform_iteratorINS0_17counting_iteratorImlEEZNS1_24adjacent_difference_implIS3_Lb1ELb0EPlSB_ZN2at6native12_GLOBAL__N_124unique_dim_cuda_templateIdEESt5tupleIJNSC_6TensorESH_SH_EERKSH_lbbbEUlllE1_EE10hipError_tPvRmT2_T3_mT4_P12ihipStream_tbEUlmE_lEESB_NS0_8identityIvEEEESM_SP_SQ_mSR_ST_bEUlT_E_NS1_11comp_targetILNS1_3genE8ELNS1_11target_archE1030ELNS1_3gpuE2ELNS1_3repE0EEENS1_30default_config_static_selectorELNS0_4arch9wavefront6targetE0EEEvT1_
    .private_segment_fixed_size: 0
    .sgpr_count:     0
    .sgpr_spill_count: 0
    .symbol:         _ZN7rocprim17ROCPRIM_400000_NS6detail17trampoline_kernelINS0_14default_configENS1_25transform_config_selectorIlLb0EEEZNS1_14transform_implILb0ES3_S5_NS0_18transform_iteratorINS0_17counting_iteratorImlEEZNS1_24adjacent_difference_implIS3_Lb1ELb0EPlSB_ZN2at6native12_GLOBAL__N_124unique_dim_cuda_templateIdEESt5tupleIJNSC_6TensorESH_SH_EERKSH_lbbbEUlllE1_EE10hipError_tPvRmT2_T3_mT4_P12ihipStream_tbEUlmE_lEESB_NS0_8identityIvEEEESM_SP_SQ_mSR_ST_bEUlT_E_NS1_11comp_targetILNS1_3genE8ELNS1_11target_archE1030ELNS1_3gpuE2ELNS1_3repE0EEENS1_30default_config_static_selectorELNS0_4arch9wavefront6targetE0EEEvT1_.kd
    .uniform_work_group_size: 1
    .uses_dynamic_stack: false
    .vgpr_count:     0
    .vgpr_spill_count: 0
    .wavefront_size: 32
    .workgroup_processor_mode: 1
  - .args:
      - .offset:         0
        .size:           64
        .value_kind:     by_value
    .group_segment_fixed_size: 0
    .kernarg_segment_align: 8
    .kernarg_segment_size: 64
    .language:       OpenCL C
    .language_version:
      - 2
      - 0
    .max_flat_workgroup_size: 512
    .name:           _ZN7rocprim17ROCPRIM_400000_NS6detail17trampoline_kernelINS0_14default_configENS1_35adjacent_difference_config_selectorILb1ElEEZNS1_24adjacent_difference_implIS3_Lb1ELb0EPlS7_ZN2at6native12_GLOBAL__N_124unique_dim_cuda_templateIdEESt5tupleIJNS8_6TensorESD_SD_EERKSD_lbbbEUlllE1_EE10hipError_tPvRmT2_T3_mT4_P12ihipStream_tbEUlT_E_NS1_11comp_targetILNS1_3genE0ELNS1_11target_archE4294967295ELNS1_3gpuE0ELNS1_3repE0EEENS1_30default_config_static_selectorELNS0_4arch9wavefront6targetE0EEEvT1_
    .private_segment_fixed_size: 0
    .sgpr_count:     0
    .sgpr_spill_count: 0
    .symbol:         _ZN7rocprim17ROCPRIM_400000_NS6detail17trampoline_kernelINS0_14default_configENS1_35adjacent_difference_config_selectorILb1ElEEZNS1_24adjacent_difference_implIS3_Lb1ELb0EPlS7_ZN2at6native12_GLOBAL__N_124unique_dim_cuda_templateIdEESt5tupleIJNS8_6TensorESD_SD_EERKSD_lbbbEUlllE1_EE10hipError_tPvRmT2_T3_mT4_P12ihipStream_tbEUlT_E_NS1_11comp_targetILNS1_3genE0ELNS1_11target_archE4294967295ELNS1_3gpuE0ELNS1_3repE0EEENS1_30default_config_static_selectorELNS0_4arch9wavefront6targetE0EEEvT1_.kd
    .uniform_work_group_size: 1
    .uses_dynamic_stack: false
    .vgpr_count:     0
    .vgpr_spill_count: 0
    .wavefront_size: 32
    .workgroup_processor_mode: 1
  - .args:
      - .offset:         0
        .size:           64
        .value_kind:     by_value
    .group_segment_fixed_size: 0
    .kernarg_segment_align: 8
    .kernarg_segment_size: 64
    .language:       OpenCL C
    .language_version:
      - 2
      - 0
    .max_flat_workgroup_size: 32
    .name:           _ZN7rocprim17ROCPRIM_400000_NS6detail17trampoline_kernelINS0_14default_configENS1_35adjacent_difference_config_selectorILb1ElEEZNS1_24adjacent_difference_implIS3_Lb1ELb0EPlS7_ZN2at6native12_GLOBAL__N_124unique_dim_cuda_templateIdEESt5tupleIJNS8_6TensorESD_SD_EERKSD_lbbbEUlllE1_EE10hipError_tPvRmT2_T3_mT4_P12ihipStream_tbEUlT_E_NS1_11comp_targetILNS1_3genE10ELNS1_11target_archE1201ELNS1_3gpuE5ELNS1_3repE0EEENS1_30default_config_static_selectorELNS0_4arch9wavefront6targetE0EEEvT1_
    .private_segment_fixed_size: 0
    .sgpr_count:     0
    .sgpr_spill_count: 0
    .symbol:         _ZN7rocprim17ROCPRIM_400000_NS6detail17trampoline_kernelINS0_14default_configENS1_35adjacent_difference_config_selectorILb1ElEEZNS1_24adjacent_difference_implIS3_Lb1ELb0EPlS7_ZN2at6native12_GLOBAL__N_124unique_dim_cuda_templateIdEESt5tupleIJNS8_6TensorESD_SD_EERKSD_lbbbEUlllE1_EE10hipError_tPvRmT2_T3_mT4_P12ihipStream_tbEUlT_E_NS1_11comp_targetILNS1_3genE10ELNS1_11target_archE1201ELNS1_3gpuE5ELNS1_3repE0EEENS1_30default_config_static_selectorELNS0_4arch9wavefront6targetE0EEEvT1_.kd
    .uniform_work_group_size: 1
    .uses_dynamic_stack: false
    .vgpr_count:     0
    .vgpr_spill_count: 0
    .wavefront_size: 32
    .workgroup_processor_mode: 1
  - .args:
      - .offset:         0
        .size:           64
        .value_kind:     by_value
    .group_segment_fixed_size: 0
    .kernarg_segment_align: 8
    .kernarg_segment_size: 64
    .language:       OpenCL C
    .language_version:
      - 2
      - 0
    .max_flat_workgroup_size: 256
    .name:           _ZN7rocprim17ROCPRIM_400000_NS6detail17trampoline_kernelINS0_14default_configENS1_35adjacent_difference_config_selectorILb1ElEEZNS1_24adjacent_difference_implIS3_Lb1ELb0EPlS7_ZN2at6native12_GLOBAL__N_124unique_dim_cuda_templateIdEESt5tupleIJNS8_6TensorESD_SD_EERKSD_lbbbEUlllE1_EE10hipError_tPvRmT2_T3_mT4_P12ihipStream_tbEUlT_E_NS1_11comp_targetILNS1_3genE5ELNS1_11target_archE942ELNS1_3gpuE9ELNS1_3repE0EEENS1_30default_config_static_selectorELNS0_4arch9wavefront6targetE0EEEvT1_
    .private_segment_fixed_size: 0
    .sgpr_count:     0
    .sgpr_spill_count: 0
    .symbol:         _ZN7rocprim17ROCPRIM_400000_NS6detail17trampoline_kernelINS0_14default_configENS1_35adjacent_difference_config_selectorILb1ElEEZNS1_24adjacent_difference_implIS3_Lb1ELb0EPlS7_ZN2at6native12_GLOBAL__N_124unique_dim_cuda_templateIdEESt5tupleIJNS8_6TensorESD_SD_EERKSD_lbbbEUlllE1_EE10hipError_tPvRmT2_T3_mT4_P12ihipStream_tbEUlT_E_NS1_11comp_targetILNS1_3genE5ELNS1_11target_archE942ELNS1_3gpuE9ELNS1_3repE0EEENS1_30default_config_static_selectorELNS0_4arch9wavefront6targetE0EEEvT1_.kd
    .uniform_work_group_size: 1
    .uses_dynamic_stack: false
    .vgpr_count:     0
    .vgpr_spill_count: 0
    .wavefront_size: 32
    .workgroup_processor_mode: 1
  - .args:
      - .offset:         0
        .size:           64
        .value_kind:     by_value
    .group_segment_fixed_size: 0
    .kernarg_segment_align: 8
    .kernarg_segment_size: 64
    .language:       OpenCL C
    .language_version:
      - 2
      - 0
    .max_flat_workgroup_size: 512
    .name:           _ZN7rocprim17ROCPRIM_400000_NS6detail17trampoline_kernelINS0_14default_configENS1_35adjacent_difference_config_selectorILb1ElEEZNS1_24adjacent_difference_implIS3_Lb1ELb0EPlS7_ZN2at6native12_GLOBAL__N_124unique_dim_cuda_templateIdEESt5tupleIJNS8_6TensorESD_SD_EERKSD_lbbbEUlllE1_EE10hipError_tPvRmT2_T3_mT4_P12ihipStream_tbEUlT_E_NS1_11comp_targetILNS1_3genE4ELNS1_11target_archE910ELNS1_3gpuE8ELNS1_3repE0EEENS1_30default_config_static_selectorELNS0_4arch9wavefront6targetE0EEEvT1_
    .private_segment_fixed_size: 0
    .sgpr_count:     0
    .sgpr_spill_count: 0
    .symbol:         _ZN7rocprim17ROCPRIM_400000_NS6detail17trampoline_kernelINS0_14default_configENS1_35adjacent_difference_config_selectorILb1ElEEZNS1_24adjacent_difference_implIS3_Lb1ELb0EPlS7_ZN2at6native12_GLOBAL__N_124unique_dim_cuda_templateIdEESt5tupleIJNS8_6TensorESD_SD_EERKSD_lbbbEUlllE1_EE10hipError_tPvRmT2_T3_mT4_P12ihipStream_tbEUlT_E_NS1_11comp_targetILNS1_3genE4ELNS1_11target_archE910ELNS1_3gpuE8ELNS1_3repE0EEENS1_30default_config_static_selectorELNS0_4arch9wavefront6targetE0EEEvT1_.kd
    .uniform_work_group_size: 1
    .uses_dynamic_stack: false
    .vgpr_count:     0
    .vgpr_spill_count: 0
    .wavefront_size: 32
    .workgroup_processor_mode: 1
  - .args:
      - .offset:         0
        .size:           64
        .value_kind:     by_value
    .group_segment_fixed_size: 0
    .kernarg_segment_align: 8
    .kernarg_segment_size: 64
    .language:       OpenCL C
    .language_version:
      - 2
      - 0
    .max_flat_workgroup_size: 512
    .name:           _ZN7rocprim17ROCPRIM_400000_NS6detail17trampoline_kernelINS0_14default_configENS1_35adjacent_difference_config_selectorILb1ElEEZNS1_24adjacent_difference_implIS3_Lb1ELb0EPlS7_ZN2at6native12_GLOBAL__N_124unique_dim_cuda_templateIdEESt5tupleIJNS8_6TensorESD_SD_EERKSD_lbbbEUlllE1_EE10hipError_tPvRmT2_T3_mT4_P12ihipStream_tbEUlT_E_NS1_11comp_targetILNS1_3genE3ELNS1_11target_archE908ELNS1_3gpuE7ELNS1_3repE0EEENS1_30default_config_static_selectorELNS0_4arch9wavefront6targetE0EEEvT1_
    .private_segment_fixed_size: 0
    .sgpr_count:     0
    .sgpr_spill_count: 0
    .symbol:         _ZN7rocprim17ROCPRIM_400000_NS6detail17trampoline_kernelINS0_14default_configENS1_35adjacent_difference_config_selectorILb1ElEEZNS1_24adjacent_difference_implIS3_Lb1ELb0EPlS7_ZN2at6native12_GLOBAL__N_124unique_dim_cuda_templateIdEESt5tupleIJNS8_6TensorESD_SD_EERKSD_lbbbEUlllE1_EE10hipError_tPvRmT2_T3_mT4_P12ihipStream_tbEUlT_E_NS1_11comp_targetILNS1_3genE3ELNS1_11target_archE908ELNS1_3gpuE7ELNS1_3repE0EEENS1_30default_config_static_selectorELNS0_4arch9wavefront6targetE0EEEvT1_.kd
    .uniform_work_group_size: 1
    .uses_dynamic_stack: false
    .vgpr_count:     0
    .vgpr_spill_count: 0
    .wavefront_size: 32
    .workgroup_processor_mode: 1
  - .args:
      - .offset:         0
        .size:           64
        .value_kind:     by_value
    .group_segment_fixed_size: 0
    .kernarg_segment_align: 8
    .kernarg_segment_size: 64
    .language:       OpenCL C
    .language_version:
      - 2
      - 0
    .max_flat_workgroup_size: 128
    .name:           _ZN7rocprim17ROCPRIM_400000_NS6detail17trampoline_kernelINS0_14default_configENS1_35adjacent_difference_config_selectorILb1ElEEZNS1_24adjacent_difference_implIS3_Lb1ELb0EPlS7_ZN2at6native12_GLOBAL__N_124unique_dim_cuda_templateIdEESt5tupleIJNS8_6TensorESD_SD_EERKSD_lbbbEUlllE1_EE10hipError_tPvRmT2_T3_mT4_P12ihipStream_tbEUlT_E_NS1_11comp_targetILNS1_3genE2ELNS1_11target_archE906ELNS1_3gpuE6ELNS1_3repE0EEENS1_30default_config_static_selectorELNS0_4arch9wavefront6targetE0EEEvT1_
    .private_segment_fixed_size: 0
    .sgpr_count:     0
    .sgpr_spill_count: 0
    .symbol:         _ZN7rocprim17ROCPRIM_400000_NS6detail17trampoline_kernelINS0_14default_configENS1_35adjacent_difference_config_selectorILb1ElEEZNS1_24adjacent_difference_implIS3_Lb1ELb0EPlS7_ZN2at6native12_GLOBAL__N_124unique_dim_cuda_templateIdEESt5tupleIJNS8_6TensorESD_SD_EERKSD_lbbbEUlllE1_EE10hipError_tPvRmT2_T3_mT4_P12ihipStream_tbEUlT_E_NS1_11comp_targetILNS1_3genE2ELNS1_11target_archE906ELNS1_3gpuE6ELNS1_3repE0EEENS1_30default_config_static_selectorELNS0_4arch9wavefront6targetE0EEEvT1_.kd
    .uniform_work_group_size: 1
    .uses_dynamic_stack: false
    .vgpr_count:     0
    .vgpr_spill_count: 0
    .wavefront_size: 32
    .workgroup_processor_mode: 1
  - .args:
      - .offset:         0
        .size:           64
        .value_kind:     by_value
    .group_segment_fixed_size: 29696
    .kernarg_segment_align: 8
    .kernarg_segment_size: 64
    .language:       OpenCL C
    .language_version:
      - 2
      - 0
    .max_flat_workgroup_size: 128
    .name:           _ZN7rocprim17ROCPRIM_400000_NS6detail17trampoline_kernelINS0_14default_configENS1_35adjacent_difference_config_selectorILb1ElEEZNS1_24adjacent_difference_implIS3_Lb1ELb0EPlS7_ZN2at6native12_GLOBAL__N_124unique_dim_cuda_templateIdEESt5tupleIJNS8_6TensorESD_SD_EERKSD_lbbbEUlllE1_EE10hipError_tPvRmT2_T3_mT4_P12ihipStream_tbEUlT_E_NS1_11comp_targetILNS1_3genE9ELNS1_11target_archE1100ELNS1_3gpuE3ELNS1_3repE0EEENS1_30default_config_static_selectorELNS0_4arch9wavefront6targetE0EEEvT1_
    .private_segment_fixed_size: 0
    .sgpr_count:     32
    .sgpr_spill_count: 0
    .symbol:         _ZN7rocprim17ROCPRIM_400000_NS6detail17trampoline_kernelINS0_14default_configENS1_35adjacent_difference_config_selectorILb1ElEEZNS1_24adjacent_difference_implIS3_Lb1ELb0EPlS7_ZN2at6native12_GLOBAL__N_124unique_dim_cuda_templateIdEESt5tupleIJNS8_6TensorESD_SD_EERKSD_lbbbEUlllE1_EE10hipError_tPvRmT2_T3_mT4_P12ihipStream_tbEUlT_E_NS1_11comp_targetILNS1_3genE9ELNS1_11target_archE1100ELNS1_3gpuE3ELNS1_3repE0EEENS1_30default_config_static_selectorELNS0_4arch9wavefront6targetE0EEEvT1_.kd
    .uniform_work_group_size: 1
    .uses_dynamic_stack: false
    .vgpr_count:     196
    .vgpr_spill_count: 0
    .wavefront_size: 32
    .workgroup_processor_mode: 1
  - .args:
      - .offset:         0
        .size:           64
        .value_kind:     by_value
    .group_segment_fixed_size: 0
    .kernarg_segment_align: 8
    .kernarg_segment_size: 64
    .language:       OpenCL C
    .language_version:
      - 2
      - 0
    .max_flat_workgroup_size: 32
    .name:           _ZN7rocprim17ROCPRIM_400000_NS6detail17trampoline_kernelINS0_14default_configENS1_35adjacent_difference_config_selectorILb1ElEEZNS1_24adjacent_difference_implIS3_Lb1ELb0EPlS7_ZN2at6native12_GLOBAL__N_124unique_dim_cuda_templateIdEESt5tupleIJNS8_6TensorESD_SD_EERKSD_lbbbEUlllE1_EE10hipError_tPvRmT2_T3_mT4_P12ihipStream_tbEUlT_E_NS1_11comp_targetILNS1_3genE8ELNS1_11target_archE1030ELNS1_3gpuE2ELNS1_3repE0EEENS1_30default_config_static_selectorELNS0_4arch9wavefront6targetE0EEEvT1_
    .private_segment_fixed_size: 0
    .sgpr_count:     0
    .sgpr_spill_count: 0
    .symbol:         _ZN7rocprim17ROCPRIM_400000_NS6detail17trampoline_kernelINS0_14default_configENS1_35adjacent_difference_config_selectorILb1ElEEZNS1_24adjacent_difference_implIS3_Lb1ELb0EPlS7_ZN2at6native12_GLOBAL__N_124unique_dim_cuda_templateIdEESt5tupleIJNS8_6TensorESD_SD_EERKSD_lbbbEUlllE1_EE10hipError_tPvRmT2_T3_mT4_P12ihipStream_tbEUlT_E_NS1_11comp_targetILNS1_3genE8ELNS1_11target_archE1030ELNS1_3gpuE2ELNS1_3repE0EEENS1_30default_config_static_selectorELNS0_4arch9wavefront6targetE0EEEvT1_.kd
    .uniform_work_group_size: 1
    .uses_dynamic_stack: false
    .vgpr_count:     0
    .vgpr_spill_count: 0
    .wavefront_size: 32
    .workgroup_processor_mode: 1
  - .args:
      - .offset:         0
        .size:           120
        .value_kind:     by_value
    .group_segment_fixed_size: 0
    .kernarg_segment_align: 8
    .kernarg_segment_size: 120
    .language:       OpenCL C
    .language_version:
      - 2
      - 0
    .max_flat_workgroup_size: 512
    .name:           _ZN7rocprim17ROCPRIM_400000_NS6detail17trampoline_kernelINS0_14default_configENS1_25partition_config_selectorILNS1_17partition_subalgoE8ElNS0_10empty_typeEbEEZZNS1_14partition_implILS5_8ELb0ES3_jPlPS6_PKS6_NS0_5tupleIJS9_S6_EEENSD_IJSA_SA_EEENS0_18inequality_wrapperIZN2at6native12_GLOBAL__N_124unique_dim_cuda_templateIdEESt5tupleIJNSH_6TensorESM_SM_EERKSM_lbbbEUlllE0_EEPmJS6_EEE10hipError_tPvRmT3_T4_T5_T6_T7_T9_mT8_P12ihipStream_tbDpT10_ENKUlT_T0_E_clISt17integral_constantIbLb0EES1C_EEDaS17_S18_EUlS17_E_NS1_11comp_targetILNS1_3genE0ELNS1_11target_archE4294967295ELNS1_3gpuE0ELNS1_3repE0EEENS1_30default_config_static_selectorELNS0_4arch9wavefront6targetE0EEEvT1_
    .private_segment_fixed_size: 0
    .sgpr_count:     0
    .sgpr_spill_count: 0
    .symbol:         _ZN7rocprim17ROCPRIM_400000_NS6detail17trampoline_kernelINS0_14default_configENS1_25partition_config_selectorILNS1_17partition_subalgoE8ElNS0_10empty_typeEbEEZZNS1_14partition_implILS5_8ELb0ES3_jPlPS6_PKS6_NS0_5tupleIJS9_S6_EEENSD_IJSA_SA_EEENS0_18inequality_wrapperIZN2at6native12_GLOBAL__N_124unique_dim_cuda_templateIdEESt5tupleIJNSH_6TensorESM_SM_EERKSM_lbbbEUlllE0_EEPmJS6_EEE10hipError_tPvRmT3_T4_T5_T6_T7_T9_mT8_P12ihipStream_tbDpT10_ENKUlT_T0_E_clISt17integral_constantIbLb0EES1C_EEDaS17_S18_EUlS17_E_NS1_11comp_targetILNS1_3genE0ELNS1_11target_archE4294967295ELNS1_3gpuE0ELNS1_3repE0EEENS1_30default_config_static_selectorELNS0_4arch9wavefront6targetE0EEEvT1_.kd
    .uniform_work_group_size: 1
    .uses_dynamic_stack: false
    .vgpr_count:     0
    .vgpr_spill_count: 0
    .wavefront_size: 32
    .workgroup_processor_mode: 1
  - .args:
      - .offset:         0
        .size:           120
        .value_kind:     by_value
    .group_segment_fixed_size: 0
    .kernarg_segment_align: 8
    .kernarg_segment_size: 120
    .language:       OpenCL C
    .language_version:
      - 2
      - 0
    .max_flat_workgroup_size: 512
    .name:           _ZN7rocprim17ROCPRIM_400000_NS6detail17trampoline_kernelINS0_14default_configENS1_25partition_config_selectorILNS1_17partition_subalgoE8ElNS0_10empty_typeEbEEZZNS1_14partition_implILS5_8ELb0ES3_jPlPS6_PKS6_NS0_5tupleIJS9_S6_EEENSD_IJSA_SA_EEENS0_18inequality_wrapperIZN2at6native12_GLOBAL__N_124unique_dim_cuda_templateIdEESt5tupleIJNSH_6TensorESM_SM_EERKSM_lbbbEUlllE0_EEPmJS6_EEE10hipError_tPvRmT3_T4_T5_T6_T7_T9_mT8_P12ihipStream_tbDpT10_ENKUlT_T0_E_clISt17integral_constantIbLb0EES1C_EEDaS17_S18_EUlS17_E_NS1_11comp_targetILNS1_3genE5ELNS1_11target_archE942ELNS1_3gpuE9ELNS1_3repE0EEENS1_30default_config_static_selectorELNS0_4arch9wavefront6targetE0EEEvT1_
    .private_segment_fixed_size: 0
    .sgpr_count:     0
    .sgpr_spill_count: 0
    .symbol:         _ZN7rocprim17ROCPRIM_400000_NS6detail17trampoline_kernelINS0_14default_configENS1_25partition_config_selectorILNS1_17partition_subalgoE8ElNS0_10empty_typeEbEEZZNS1_14partition_implILS5_8ELb0ES3_jPlPS6_PKS6_NS0_5tupleIJS9_S6_EEENSD_IJSA_SA_EEENS0_18inequality_wrapperIZN2at6native12_GLOBAL__N_124unique_dim_cuda_templateIdEESt5tupleIJNSH_6TensorESM_SM_EERKSM_lbbbEUlllE0_EEPmJS6_EEE10hipError_tPvRmT3_T4_T5_T6_T7_T9_mT8_P12ihipStream_tbDpT10_ENKUlT_T0_E_clISt17integral_constantIbLb0EES1C_EEDaS17_S18_EUlS17_E_NS1_11comp_targetILNS1_3genE5ELNS1_11target_archE942ELNS1_3gpuE9ELNS1_3repE0EEENS1_30default_config_static_selectorELNS0_4arch9wavefront6targetE0EEEvT1_.kd
    .uniform_work_group_size: 1
    .uses_dynamic_stack: false
    .vgpr_count:     0
    .vgpr_spill_count: 0
    .wavefront_size: 32
    .workgroup_processor_mode: 1
  - .args:
      - .offset:         0
        .size:           120
        .value_kind:     by_value
    .group_segment_fixed_size: 0
    .kernarg_segment_align: 8
    .kernarg_segment_size: 120
    .language:       OpenCL C
    .language_version:
      - 2
      - 0
    .max_flat_workgroup_size: 256
    .name:           _ZN7rocprim17ROCPRIM_400000_NS6detail17trampoline_kernelINS0_14default_configENS1_25partition_config_selectorILNS1_17partition_subalgoE8ElNS0_10empty_typeEbEEZZNS1_14partition_implILS5_8ELb0ES3_jPlPS6_PKS6_NS0_5tupleIJS9_S6_EEENSD_IJSA_SA_EEENS0_18inequality_wrapperIZN2at6native12_GLOBAL__N_124unique_dim_cuda_templateIdEESt5tupleIJNSH_6TensorESM_SM_EERKSM_lbbbEUlllE0_EEPmJS6_EEE10hipError_tPvRmT3_T4_T5_T6_T7_T9_mT8_P12ihipStream_tbDpT10_ENKUlT_T0_E_clISt17integral_constantIbLb0EES1C_EEDaS17_S18_EUlS17_E_NS1_11comp_targetILNS1_3genE4ELNS1_11target_archE910ELNS1_3gpuE8ELNS1_3repE0EEENS1_30default_config_static_selectorELNS0_4arch9wavefront6targetE0EEEvT1_
    .private_segment_fixed_size: 0
    .sgpr_count:     0
    .sgpr_spill_count: 0
    .symbol:         _ZN7rocprim17ROCPRIM_400000_NS6detail17trampoline_kernelINS0_14default_configENS1_25partition_config_selectorILNS1_17partition_subalgoE8ElNS0_10empty_typeEbEEZZNS1_14partition_implILS5_8ELb0ES3_jPlPS6_PKS6_NS0_5tupleIJS9_S6_EEENSD_IJSA_SA_EEENS0_18inequality_wrapperIZN2at6native12_GLOBAL__N_124unique_dim_cuda_templateIdEESt5tupleIJNSH_6TensorESM_SM_EERKSM_lbbbEUlllE0_EEPmJS6_EEE10hipError_tPvRmT3_T4_T5_T6_T7_T9_mT8_P12ihipStream_tbDpT10_ENKUlT_T0_E_clISt17integral_constantIbLb0EES1C_EEDaS17_S18_EUlS17_E_NS1_11comp_targetILNS1_3genE4ELNS1_11target_archE910ELNS1_3gpuE8ELNS1_3repE0EEENS1_30default_config_static_selectorELNS0_4arch9wavefront6targetE0EEEvT1_.kd
    .uniform_work_group_size: 1
    .uses_dynamic_stack: false
    .vgpr_count:     0
    .vgpr_spill_count: 0
    .wavefront_size: 32
    .workgroup_processor_mode: 1
  - .args:
      - .offset:         0
        .size:           120
        .value_kind:     by_value
    .group_segment_fixed_size: 0
    .kernarg_segment_align: 8
    .kernarg_segment_size: 120
    .language:       OpenCL C
    .language_version:
      - 2
      - 0
    .max_flat_workgroup_size: 512
    .name:           _ZN7rocprim17ROCPRIM_400000_NS6detail17trampoline_kernelINS0_14default_configENS1_25partition_config_selectorILNS1_17partition_subalgoE8ElNS0_10empty_typeEbEEZZNS1_14partition_implILS5_8ELb0ES3_jPlPS6_PKS6_NS0_5tupleIJS9_S6_EEENSD_IJSA_SA_EEENS0_18inequality_wrapperIZN2at6native12_GLOBAL__N_124unique_dim_cuda_templateIdEESt5tupleIJNSH_6TensorESM_SM_EERKSM_lbbbEUlllE0_EEPmJS6_EEE10hipError_tPvRmT3_T4_T5_T6_T7_T9_mT8_P12ihipStream_tbDpT10_ENKUlT_T0_E_clISt17integral_constantIbLb0EES1C_EEDaS17_S18_EUlS17_E_NS1_11comp_targetILNS1_3genE3ELNS1_11target_archE908ELNS1_3gpuE7ELNS1_3repE0EEENS1_30default_config_static_selectorELNS0_4arch9wavefront6targetE0EEEvT1_
    .private_segment_fixed_size: 0
    .sgpr_count:     0
    .sgpr_spill_count: 0
    .symbol:         _ZN7rocprim17ROCPRIM_400000_NS6detail17trampoline_kernelINS0_14default_configENS1_25partition_config_selectorILNS1_17partition_subalgoE8ElNS0_10empty_typeEbEEZZNS1_14partition_implILS5_8ELb0ES3_jPlPS6_PKS6_NS0_5tupleIJS9_S6_EEENSD_IJSA_SA_EEENS0_18inequality_wrapperIZN2at6native12_GLOBAL__N_124unique_dim_cuda_templateIdEESt5tupleIJNSH_6TensorESM_SM_EERKSM_lbbbEUlllE0_EEPmJS6_EEE10hipError_tPvRmT3_T4_T5_T6_T7_T9_mT8_P12ihipStream_tbDpT10_ENKUlT_T0_E_clISt17integral_constantIbLb0EES1C_EEDaS17_S18_EUlS17_E_NS1_11comp_targetILNS1_3genE3ELNS1_11target_archE908ELNS1_3gpuE7ELNS1_3repE0EEENS1_30default_config_static_selectorELNS0_4arch9wavefront6targetE0EEEvT1_.kd
    .uniform_work_group_size: 1
    .uses_dynamic_stack: false
    .vgpr_count:     0
    .vgpr_spill_count: 0
    .wavefront_size: 32
    .workgroup_processor_mode: 1
  - .args:
      - .offset:         0
        .size:           120
        .value_kind:     by_value
    .group_segment_fixed_size: 0
    .kernarg_segment_align: 8
    .kernarg_segment_size: 120
    .language:       OpenCL C
    .language_version:
      - 2
      - 0
    .max_flat_workgroup_size: 256
    .name:           _ZN7rocprim17ROCPRIM_400000_NS6detail17trampoline_kernelINS0_14default_configENS1_25partition_config_selectorILNS1_17partition_subalgoE8ElNS0_10empty_typeEbEEZZNS1_14partition_implILS5_8ELb0ES3_jPlPS6_PKS6_NS0_5tupleIJS9_S6_EEENSD_IJSA_SA_EEENS0_18inequality_wrapperIZN2at6native12_GLOBAL__N_124unique_dim_cuda_templateIdEESt5tupleIJNSH_6TensorESM_SM_EERKSM_lbbbEUlllE0_EEPmJS6_EEE10hipError_tPvRmT3_T4_T5_T6_T7_T9_mT8_P12ihipStream_tbDpT10_ENKUlT_T0_E_clISt17integral_constantIbLb0EES1C_EEDaS17_S18_EUlS17_E_NS1_11comp_targetILNS1_3genE2ELNS1_11target_archE906ELNS1_3gpuE6ELNS1_3repE0EEENS1_30default_config_static_selectorELNS0_4arch9wavefront6targetE0EEEvT1_
    .private_segment_fixed_size: 0
    .sgpr_count:     0
    .sgpr_spill_count: 0
    .symbol:         _ZN7rocprim17ROCPRIM_400000_NS6detail17trampoline_kernelINS0_14default_configENS1_25partition_config_selectorILNS1_17partition_subalgoE8ElNS0_10empty_typeEbEEZZNS1_14partition_implILS5_8ELb0ES3_jPlPS6_PKS6_NS0_5tupleIJS9_S6_EEENSD_IJSA_SA_EEENS0_18inequality_wrapperIZN2at6native12_GLOBAL__N_124unique_dim_cuda_templateIdEESt5tupleIJNSH_6TensorESM_SM_EERKSM_lbbbEUlllE0_EEPmJS6_EEE10hipError_tPvRmT3_T4_T5_T6_T7_T9_mT8_P12ihipStream_tbDpT10_ENKUlT_T0_E_clISt17integral_constantIbLb0EES1C_EEDaS17_S18_EUlS17_E_NS1_11comp_targetILNS1_3genE2ELNS1_11target_archE906ELNS1_3gpuE6ELNS1_3repE0EEENS1_30default_config_static_selectorELNS0_4arch9wavefront6targetE0EEEvT1_.kd
    .uniform_work_group_size: 1
    .uses_dynamic_stack: false
    .vgpr_count:     0
    .vgpr_spill_count: 0
    .wavefront_size: 32
    .workgroup_processor_mode: 1
  - .args:
      - .offset:         0
        .size:           120
        .value_kind:     by_value
    .group_segment_fixed_size: 0
    .kernarg_segment_align: 8
    .kernarg_segment_size: 120
    .language:       OpenCL C
    .language_version:
      - 2
      - 0
    .max_flat_workgroup_size: 384
    .name:           _ZN7rocprim17ROCPRIM_400000_NS6detail17trampoline_kernelINS0_14default_configENS1_25partition_config_selectorILNS1_17partition_subalgoE8ElNS0_10empty_typeEbEEZZNS1_14partition_implILS5_8ELb0ES3_jPlPS6_PKS6_NS0_5tupleIJS9_S6_EEENSD_IJSA_SA_EEENS0_18inequality_wrapperIZN2at6native12_GLOBAL__N_124unique_dim_cuda_templateIdEESt5tupleIJNSH_6TensorESM_SM_EERKSM_lbbbEUlllE0_EEPmJS6_EEE10hipError_tPvRmT3_T4_T5_T6_T7_T9_mT8_P12ihipStream_tbDpT10_ENKUlT_T0_E_clISt17integral_constantIbLb0EES1C_EEDaS17_S18_EUlS17_E_NS1_11comp_targetILNS1_3genE10ELNS1_11target_archE1200ELNS1_3gpuE4ELNS1_3repE0EEENS1_30default_config_static_selectorELNS0_4arch9wavefront6targetE0EEEvT1_
    .private_segment_fixed_size: 0
    .sgpr_count:     0
    .sgpr_spill_count: 0
    .symbol:         _ZN7rocprim17ROCPRIM_400000_NS6detail17trampoline_kernelINS0_14default_configENS1_25partition_config_selectorILNS1_17partition_subalgoE8ElNS0_10empty_typeEbEEZZNS1_14partition_implILS5_8ELb0ES3_jPlPS6_PKS6_NS0_5tupleIJS9_S6_EEENSD_IJSA_SA_EEENS0_18inequality_wrapperIZN2at6native12_GLOBAL__N_124unique_dim_cuda_templateIdEESt5tupleIJNSH_6TensorESM_SM_EERKSM_lbbbEUlllE0_EEPmJS6_EEE10hipError_tPvRmT3_T4_T5_T6_T7_T9_mT8_P12ihipStream_tbDpT10_ENKUlT_T0_E_clISt17integral_constantIbLb0EES1C_EEDaS17_S18_EUlS17_E_NS1_11comp_targetILNS1_3genE10ELNS1_11target_archE1200ELNS1_3gpuE4ELNS1_3repE0EEENS1_30default_config_static_selectorELNS0_4arch9wavefront6targetE0EEEvT1_.kd
    .uniform_work_group_size: 1
    .uses_dynamic_stack: false
    .vgpr_count:     0
    .vgpr_spill_count: 0
    .wavefront_size: 32
    .workgroup_processor_mode: 1
  - .args:
      - .offset:         0
        .size:           120
        .value_kind:     by_value
    .group_segment_fixed_size: 33804
    .kernarg_segment_align: 8
    .kernarg_segment_size: 120
    .language:       OpenCL C
    .language_version:
      - 2
      - 0
    .max_flat_workgroup_size: 512
    .name:           _ZN7rocprim17ROCPRIM_400000_NS6detail17trampoline_kernelINS0_14default_configENS1_25partition_config_selectorILNS1_17partition_subalgoE8ElNS0_10empty_typeEbEEZZNS1_14partition_implILS5_8ELb0ES3_jPlPS6_PKS6_NS0_5tupleIJS9_S6_EEENSD_IJSA_SA_EEENS0_18inequality_wrapperIZN2at6native12_GLOBAL__N_124unique_dim_cuda_templateIdEESt5tupleIJNSH_6TensorESM_SM_EERKSM_lbbbEUlllE0_EEPmJS6_EEE10hipError_tPvRmT3_T4_T5_T6_T7_T9_mT8_P12ihipStream_tbDpT10_ENKUlT_T0_E_clISt17integral_constantIbLb0EES1C_EEDaS17_S18_EUlS17_E_NS1_11comp_targetILNS1_3genE9ELNS1_11target_archE1100ELNS1_3gpuE3ELNS1_3repE0EEENS1_30default_config_static_selectorELNS0_4arch9wavefront6targetE0EEEvT1_
    .private_segment_fixed_size: 0
    .sgpr_count:     38
    .sgpr_spill_count: 0
    .symbol:         _ZN7rocprim17ROCPRIM_400000_NS6detail17trampoline_kernelINS0_14default_configENS1_25partition_config_selectorILNS1_17partition_subalgoE8ElNS0_10empty_typeEbEEZZNS1_14partition_implILS5_8ELb0ES3_jPlPS6_PKS6_NS0_5tupleIJS9_S6_EEENSD_IJSA_SA_EEENS0_18inequality_wrapperIZN2at6native12_GLOBAL__N_124unique_dim_cuda_templateIdEESt5tupleIJNSH_6TensorESM_SM_EERKSM_lbbbEUlllE0_EEPmJS6_EEE10hipError_tPvRmT3_T4_T5_T6_T7_T9_mT8_P12ihipStream_tbDpT10_ENKUlT_T0_E_clISt17integral_constantIbLb0EES1C_EEDaS17_S18_EUlS17_E_NS1_11comp_targetILNS1_3genE9ELNS1_11target_archE1100ELNS1_3gpuE3ELNS1_3repE0EEENS1_30default_config_static_selectorELNS0_4arch9wavefront6targetE0EEEvT1_.kd
    .uniform_work_group_size: 1
    .uses_dynamic_stack: false
    .vgpr_count:     52
    .vgpr_spill_count: 0
    .wavefront_size: 32
    .workgroup_processor_mode: 1
  - .args:
      - .offset:         0
        .size:           120
        .value_kind:     by_value
    .group_segment_fixed_size: 0
    .kernarg_segment_align: 8
    .kernarg_segment_size: 120
    .language:       OpenCL C
    .language_version:
      - 2
      - 0
    .max_flat_workgroup_size: 512
    .name:           _ZN7rocprim17ROCPRIM_400000_NS6detail17trampoline_kernelINS0_14default_configENS1_25partition_config_selectorILNS1_17partition_subalgoE8ElNS0_10empty_typeEbEEZZNS1_14partition_implILS5_8ELb0ES3_jPlPS6_PKS6_NS0_5tupleIJS9_S6_EEENSD_IJSA_SA_EEENS0_18inequality_wrapperIZN2at6native12_GLOBAL__N_124unique_dim_cuda_templateIdEESt5tupleIJNSH_6TensorESM_SM_EERKSM_lbbbEUlllE0_EEPmJS6_EEE10hipError_tPvRmT3_T4_T5_T6_T7_T9_mT8_P12ihipStream_tbDpT10_ENKUlT_T0_E_clISt17integral_constantIbLb0EES1C_EEDaS17_S18_EUlS17_E_NS1_11comp_targetILNS1_3genE8ELNS1_11target_archE1030ELNS1_3gpuE2ELNS1_3repE0EEENS1_30default_config_static_selectorELNS0_4arch9wavefront6targetE0EEEvT1_
    .private_segment_fixed_size: 0
    .sgpr_count:     0
    .sgpr_spill_count: 0
    .symbol:         _ZN7rocprim17ROCPRIM_400000_NS6detail17trampoline_kernelINS0_14default_configENS1_25partition_config_selectorILNS1_17partition_subalgoE8ElNS0_10empty_typeEbEEZZNS1_14partition_implILS5_8ELb0ES3_jPlPS6_PKS6_NS0_5tupleIJS9_S6_EEENSD_IJSA_SA_EEENS0_18inequality_wrapperIZN2at6native12_GLOBAL__N_124unique_dim_cuda_templateIdEESt5tupleIJNSH_6TensorESM_SM_EERKSM_lbbbEUlllE0_EEPmJS6_EEE10hipError_tPvRmT3_T4_T5_T6_T7_T9_mT8_P12ihipStream_tbDpT10_ENKUlT_T0_E_clISt17integral_constantIbLb0EES1C_EEDaS17_S18_EUlS17_E_NS1_11comp_targetILNS1_3genE8ELNS1_11target_archE1030ELNS1_3gpuE2ELNS1_3repE0EEENS1_30default_config_static_selectorELNS0_4arch9wavefront6targetE0EEEvT1_.kd
    .uniform_work_group_size: 1
    .uses_dynamic_stack: false
    .vgpr_count:     0
    .vgpr_spill_count: 0
    .wavefront_size: 32
    .workgroup_processor_mode: 1
  - .args:
      - .offset:         0
        .size:           136
        .value_kind:     by_value
    .group_segment_fixed_size: 0
    .kernarg_segment_align: 8
    .kernarg_segment_size: 136
    .language:       OpenCL C
    .language_version:
      - 2
      - 0
    .max_flat_workgroup_size: 512
    .name:           _ZN7rocprim17ROCPRIM_400000_NS6detail17trampoline_kernelINS0_14default_configENS1_25partition_config_selectorILNS1_17partition_subalgoE8ElNS0_10empty_typeEbEEZZNS1_14partition_implILS5_8ELb0ES3_jPlPS6_PKS6_NS0_5tupleIJS9_S6_EEENSD_IJSA_SA_EEENS0_18inequality_wrapperIZN2at6native12_GLOBAL__N_124unique_dim_cuda_templateIdEESt5tupleIJNSH_6TensorESM_SM_EERKSM_lbbbEUlllE0_EEPmJS6_EEE10hipError_tPvRmT3_T4_T5_T6_T7_T9_mT8_P12ihipStream_tbDpT10_ENKUlT_T0_E_clISt17integral_constantIbLb1EES1C_EEDaS17_S18_EUlS17_E_NS1_11comp_targetILNS1_3genE0ELNS1_11target_archE4294967295ELNS1_3gpuE0ELNS1_3repE0EEENS1_30default_config_static_selectorELNS0_4arch9wavefront6targetE0EEEvT1_
    .private_segment_fixed_size: 0
    .sgpr_count:     0
    .sgpr_spill_count: 0
    .symbol:         _ZN7rocprim17ROCPRIM_400000_NS6detail17trampoline_kernelINS0_14default_configENS1_25partition_config_selectorILNS1_17partition_subalgoE8ElNS0_10empty_typeEbEEZZNS1_14partition_implILS5_8ELb0ES3_jPlPS6_PKS6_NS0_5tupleIJS9_S6_EEENSD_IJSA_SA_EEENS0_18inequality_wrapperIZN2at6native12_GLOBAL__N_124unique_dim_cuda_templateIdEESt5tupleIJNSH_6TensorESM_SM_EERKSM_lbbbEUlllE0_EEPmJS6_EEE10hipError_tPvRmT3_T4_T5_T6_T7_T9_mT8_P12ihipStream_tbDpT10_ENKUlT_T0_E_clISt17integral_constantIbLb1EES1C_EEDaS17_S18_EUlS17_E_NS1_11comp_targetILNS1_3genE0ELNS1_11target_archE4294967295ELNS1_3gpuE0ELNS1_3repE0EEENS1_30default_config_static_selectorELNS0_4arch9wavefront6targetE0EEEvT1_.kd
    .uniform_work_group_size: 1
    .uses_dynamic_stack: false
    .vgpr_count:     0
    .vgpr_spill_count: 0
    .wavefront_size: 32
    .workgroup_processor_mode: 1
  - .args:
      - .offset:         0
        .size:           136
        .value_kind:     by_value
    .group_segment_fixed_size: 0
    .kernarg_segment_align: 8
    .kernarg_segment_size: 136
    .language:       OpenCL C
    .language_version:
      - 2
      - 0
    .max_flat_workgroup_size: 512
    .name:           _ZN7rocprim17ROCPRIM_400000_NS6detail17trampoline_kernelINS0_14default_configENS1_25partition_config_selectorILNS1_17partition_subalgoE8ElNS0_10empty_typeEbEEZZNS1_14partition_implILS5_8ELb0ES3_jPlPS6_PKS6_NS0_5tupleIJS9_S6_EEENSD_IJSA_SA_EEENS0_18inequality_wrapperIZN2at6native12_GLOBAL__N_124unique_dim_cuda_templateIdEESt5tupleIJNSH_6TensorESM_SM_EERKSM_lbbbEUlllE0_EEPmJS6_EEE10hipError_tPvRmT3_T4_T5_T6_T7_T9_mT8_P12ihipStream_tbDpT10_ENKUlT_T0_E_clISt17integral_constantIbLb1EES1C_EEDaS17_S18_EUlS17_E_NS1_11comp_targetILNS1_3genE5ELNS1_11target_archE942ELNS1_3gpuE9ELNS1_3repE0EEENS1_30default_config_static_selectorELNS0_4arch9wavefront6targetE0EEEvT1_
    .private_segment_fixed_size: 0
    .sgpr_count:     0
    .sgpr_spill_count: 0
    .symbol:         _ZN7rocprim17ROCPRIM_400000_NS6detail17trampoline_kernelINS0_14default_configENS1_25partition_config_selectorILNS1_17partition_subalgoE8ElNS0_10empty_typeEbEEZZNS1_14partition_implILS5_8ELb0ES3_jPlPS6_PKS6_NS0_5tupleIJS9_S6_EEENSD_IJSA_SA_EEENS0_18inequality_wrapperIZN2at6native12_GLOBAL__N_124unique_dim_cuda_templateIdEESt5tupleIJNSH_6TensorESM_SM_EERKSM_lbbbEUlllE0_EEPmJS6_EEE10hipError_tPvRmT3_T4_T5_T6_T7_T9_mT8_P12ihipStream_tbDpT10_ENKUlT_T0_E_clISt17integral_constantIbLb1EES1C_EEDaS17_S18_EUlS17_E_NS1_11comp_targetILNS1_3genE5ELNS1_11target_archE942ELNS1_3gpuE9ELNS1_3repE0EEENS1_30default_config_static_selectorELNS0_4arch9wavefront6targetE0EEEvT1_.kd
    .uniform_work_group_size: 1
    .uses_dynamic_stack: false
    .vgpr_count:     0
    .vgpr_spill_count: 0
    .wavefront_size: 32
    .workgroup_processor_mode: 1
  - .args:
      - .offset:         0
        .size:           136
        .value_kind:     by_value
    .group_segment_fixed_size: 0
    .kernarg_segment_align: 8
    .kernarg_segment_size: 136
    .language:       OpenCL C
    .language_version:
      - 2
      - 0
    .max_flat_workgroup_size: 256
    .name:           _ZN7rocprim17ROCPRIM_400000_NS6detail17trampoline_kernelINS0_14default_configENS1_25partition_config_selectorILNS1_17partition_subalgoE8ElNS0_10empty_typeEbEEZZNS1_14partition_implILS5_8ELb0ES3_jPlPS6_PKS6_NS0_5tupleIJS9_S6_EEENSD_IJSA_SA_EEENS0_18inequality_wrapperIZN2at6native12_GLOBAL__N_124unique_dim_cuda_templateIdEESt5tupleIJNSH_6TensorESM_SM_EERKSM_lbbbEUlllE0_EEPmJS6_EEE10hipError_tPvRmT3_T4_T5_T6_T7_T9_mT8_P12ihipStream_tbDpT10_ENKUlT_T0_E_clISt17integral_constantIbLb1EES1C_EEDaS17_S18_EUlS17_E_NS1_11comp_targetILNS1_3genE4ELNS1_11target_archE910ELNS1_3gpuE8ELNS1_3repE0EEENS1_30default_config_static_selectorELNS0_4arch9wavefront6targetE0EEEvT1_
    .private_segment_fixed_size: 0
    .sgpr_count:     0
    .sgpr_spill_count: 0
    .symbol:         _ZN7rocprim17ROCPRIM_400000_NS6detail17trampoline_kernelINS0_14default_configENS1_25partition_config_selectorILNS1_17partition_subalgoE8ElNS0_10empty_typeEbEEZZNS1_14partition_implILS5_8ELb0ES3_jPlPS6_PKS6_NS0_5tupleIJS9_S6_EEENSD_IJSA_SA_EEENS0_18inequality_wrapperIZN2at6native12_GLOBAL__N_124unique_dim_cuda_templateIdEESt5tupleIJNSH_6TensorESM_SM_EERKSM_lbbbEUlllE0_EEPmJS6_EEE10hipError_tPvRmT3_T4_T5_T6_T7_T9_mT8_P12ihipStream_tbDpT10_ENKUlT_T0_E_clISt17integral_constantIbLb1EES1C_EEDaS17_S18_EUlS17_E_NS1_11comp_targetILNS1_3genE4ELNS1_11target_archE910ELNS1_3gpuE8ELNS1_3repE0EEENS1_30default_config_static_selectorELNS0_4arch9wavefront6targetE0EEEvT1_.kd
    .uniform_work_group_size: 1
    .uses_dynamic_stack: false
    .vgpr_count:     0
    .vgpr_spill_count: 0
    .wavefront_size: 32
    .workgroup_processor_mode: 1
  - .args:
      - .offset:         0
        .size:           136
        .value_kind:     by_value
    .group_segment_fixed_size: 0
    .kernarg_segment_align: 8
    .kernarg_segment_size: 136
    .language:       OpenCL C
    .language_version:
      - 2
      - 0
    .max_flat_workgroup_size: 512
    .name:           _ZN7rocprim17ROCPRIM_400000_NS6detail17trampoline_kernelINS0_14default_configENS1_25partition_config_selectorILNS1_17partition_subalgoE8ElNS0_10empty_typeEbEEZZNS1_14partition_implILS5_8ELb0ES3_jPlPS6_PKS6_NS0_5tupleIJS9_S6_EEENSD_IJSA_SA_EEENS0_18inequality_wrapperIZN2at6native12_GLOBAL__N_124unique_dim_cuda_templateIdEESt5tupleIJNSH_6TensorESM_SM_EERKSM_lbbbEUlllE0_EEPmJS6_EEE10hipError_tPvRmT3_T4_T5_T6_T7_T9_mT8_P12ihipStream_tbDpT10_ENKUlT_T0_E_clISt17integral_constantIbLb1EES1C_EEDaS17_S18_EUlS17_E_NS1_11comp_targetILNS1_3genE3ELNS1_11target_archE908ELNS1_3gpuE7ELNS1_3repE0EEENS1_30default_config_static_selectorELNS0_4arch9wavefront6targetE0EEEvT1_
    .private_segment_fixed_size: 0
    .sgpr_count:     0
    .sgpr_spill_count: 0
    .symbol:         _ZN7rocprim17ROCPRIM_400000_NS6detail17trampoline_kernelINS0_14default_configENS1_25partition_config_selectorILNS1_17partition_subalgoE8ElNS0_10empty_typeEbEEZZNS1_14partition_implILS5_8ELb0ES3_jPlPS6_PKS6_NS0_5tupleIJS9_S6_EEENSD_IJSA_SA_EEENS0_18inequality_wrapperIZN2at6native12_GLOBAL__N_124unique_dim_cuda_templateIdEESt5tupleIJNSH_6TensorESM_SM_EERKSM_lbbbEUlllE0_EEPmJS6_EEE10hipError_tPvRmT3_T4_T5_T6_T7_T9_mT8_P12ihipStream_tbDpT10_ENKUlT_T0_E_clISt17integral_constantIbLb1EES1C_EEDaS17_S18_EUlS17_E_NS1_11comp_targetILNS1_3genE3ELNS1_11target_archE908ELNS1_3gpuE7ELNS1_3repE0EEENS1_30default_config_static_selectorELNS0_4arch9wavefront6targetE0EEEvT1_.kd
    .uniform_work_group_size: 1
    .uses_dynamic_stack: false
    .vgpr_count:     0
    .vgpr_spill_count: 0
    .wavefront_size: 32
    .workgroup_processor_mode: 1
  - .args:
      - .offset:         0
        .size:           136
        .value_kind:     by_value
    .group_segment_fixed_size: 0
    .kernarg_segment_align: 8
    .kernarg_segment_size: 136
    .language:       OpenCL C
    .language_version:
      - 2
      - 0
    .max_flat_workgroup_size: 256
    .name:           _ZN7rocprim17ROCPRIM_400000_NS6detail17trampoline_kernelINS0_14default_configENS1_25partition_config_selectorILNS1_17partition_subalgoE8ElNS0_10empty_typeEbEEZZNS1_14partition_implILS5_8ELb0ES3_jPlPS6_PKS6_NS0_5tupleIJS9_S6_EEENSD_IJSA_SA_EEENS0_18inequality_wrapperIZN2at6native12_GLOBAL__N_124unique_dim_cuda_templateIdEESt5tupleIJNSH_6TensorESM_SM_EERKSM_lbbbEUlllE0_EEPmJS6_EEE10hipError_tPvRmT3_T4_T5_T6_T7_T9_mT8_P12ihipStream_tbDpT10_ENKUlT_T0_E_clISt17integral_constantIbLb1EES1C_EEDaS17_S18_EUlS17_E_NS1_11comp_targetILNS1_3genE2ELNS1_11target_archE906ELNS1_3gpuE6ELNS1_3repE0EEENS1_30default_config_static_selectorELNS0_4arch9wavefront6targetE0EEEvT1_
    .private_segment_fixed_size: 0
    .sgpr_count:     0
    .sgpr_spill_count: 0
    .symbol:         _ZN7rocprim17ROCPRIM_400000_NS6detail17trampoline_kernelINS0_14default_configENS1_25partition_config_selectorILNS1_17partition_subalgoE8ElNS0_10empty_typeEbEEZZNS1_14partition_implILS5_8ELb0ES3_jPlPS6_PKS6_NS0_5tupleIJS9_S6_EEENSD_IJSA_SA_EEENS0_18inequality_wrapperIZN2at6native12_GLOBAL__N_124unique_dim_cuda_templateIdEESt5tupleIJNSH_6TensorESM_SM_EERKSM_lbbbEUlllE0_EEPmJS6_EEE10hipError_tPvRmT3_T4_T5_T6_T7_T9_mT8_P12ihipStream_tbDpT10_ENKUlT_T0_E_clISt17integral_constantIbLb1EES1C_EEDaS17_S18_EUlS17_E_NS1_11comp_targetILNS1_3genE2ELNS1_11target_archE906ELNS1_3gpuE6ELNS1_3repE0EEENS1_30default_config_static_selectorELNS0_4arch9wavefront6targetE0EEEvT1_.kd
    .uniform_work_group_size: 1
    .uses_dynamic_stack: false
    .vgpr_count:     0
    .vgpr_spill_count: 0
    .wavefront_size: 32
    .workgroup_processor_mode: 1
  - .args:
      - .offset:         0
        .size:           136
        .value_kind:     by_value
    .group_segment_fixed_size: 0
    .kernarg_segment_align: 8
    .kernarg_segment_size: 136
    .language:       OpenCL C
    .language_version:
      - 2
      - 0
    .max_flat_workgroup_size: 384
    .name:           _ZN7rocprim17ROCPRIM_400000_NS6detail17trampoline_kernelINS0_14default_configENS1_25partition_config_selectorILNS1_17partition_subalgoE8ElNS0_10empty_typeEbEEZZNS1_14partition_implILS5_8ELb0ES3_jPlPS6_PKS6_NS0_5tupleIJS9_S6_EEENSD_IJSA_SA_EEENS0_18inequality_wrapperIZN2at6native12_GLOBAL__N_124unique_dim_cuda_templateIdEESt5tupleIJNSH_6TensorESM_SM_EERKSM_lbbbEUlllE0_EEPmJS6_EEE10hipError_tPvRmT3_T4_T5_T6_T7_T9_mT8_P12ihipStream_tbDpT10_ENKUlT_T0_E_clISt17integral_constantIbLb1EES1C_EEDaS17_S18_EUlS17_E_NS1_11comp_targetILNS1_3genE10ELNS1_11target_archE1200ELNS1_3gpuE4ELNS1_3repE0EEENS1_30default_config_static_selectorELNS0_4arch9wavefront6targetE0EEEvT1_
    .private_segment_fixed_size: 0
    .sgpr_count:     0
    .sgpr_spill_count: 0
    .symbol:         _ZN7rocprim17ROCPRIM_400000_NS6detail17trampoline_kernelINS0_14default_configENS1_25partition_config_selectorILNS1_17partition_subalgoE8ElNS0_10empty_typeEbEEZZNS1_14partition_implILS5_8ELb0ES3_jPlPS6_PKS6_NS0_5tupleIJS9_S6_EEENSD_IJSA_SA_EEENS0_18inequality_wrapperIZN2at6native12_GLOBAL__N_124unique_dim_cuda_templateIdEESt5tupleIJNSH_6TensorESM_SM_EERKSM_lbbbEUlllE0_EEPmJS6_EEE10hipError_tPvRmT3_T4_T5_T6_T7_T9_mT8_P12ihipStream_tbDpT10_ENKUlT_T0_E_clISt17integral_constantIbLb1EES1C_EEDaS17_S18_EUlS17_E_NS1_11comp_targetILNS1_3genE10ELNS1_11target_archE1200ELNS1_3gpuE4ELNS1_3repE0EEENS1_30default_config_static_selectorELNS0_4arch9wavefront6targetE0EEEvT1_.kd
    .uniform_work_group_size: 1
    .uses_dynamic_stack: false
    .vgpr_count:     0
    .vgpr_spill_count: 0
    .wavefront_size: 32
    .workgroup_processor_mode: 1
  - .args:
      - .offset:         0
        .size:           136
        .value_kind:     by_value
    .group_segment_fixed_size: 33804
    .kernarg_segment_align: 8
    .kernarg_segment_size: 136
    .language:       OpenCL C
    .language_version:
      - 2
      - 0
    .max_flat_workgroup_size: 512
    .name:           _ZN7rocprim17ROCPRIM_400000_NS6detail17trampoline_kernelINS0_14default_configENS1_25partition_config_selectorILNS1_17partition_subalgoE8ElNS0_10empty_typeEbEEZZNS1_14partition_implILS5_8ELb0ES3_jPlPS6_PKS6_NS0_5tupleIJS9_S6_EEENSD_IJSA_SA_EEENS0_18inequality_wrapperIZN2at6native12_GLOBAL__N_124unique_dim_cuda_templateIdEESt5tupleIJNSH_6TensorESM_SM_EERKSM_lbbbEUlllE0_EEPmJS6_EEE10hipError_tPvRmT3_T4_T5_T6_T7_T9_mT8_P12ihipStream_tbDpT10_ENKUlT_T0_E_clISt17integral_constantIbLb1EES1C_EEDaS17_S18_EUlS17_E_NS1_11comp_targetILNS1_3genE9ELNS1_11target_archE1100ELNS1_3gpuE3ELNS1_3repE0EEENS1_30default_config_static_selectorELNS0_4arch9wavefront6targetE0EEEvT1_
    .private_segment_fixed_size: 0
    .sgpr_count:     40
    .sgpr_spill_count: 0
    .symbol:         _ZN7rocprim17ROCPRIM_400000_NS6detail17trampoline_kernelINS0_14default_configENS1_25partition_config_selectorILNS1_17partition_subalgoE8ElNS0_10empty_typeEbEEZZNS1_14partition_implILS5_8ELb0ES3_jPlPS6_PKS6_NS0_5tupleIJS9_S6_EEENSD_IJSA_SA_EEENS0_18inequality_wrapperIZN2at6native12_GLOBAL__N_124unique_dim_cuda_templateIdEESt5tupleIJNSH_6TensorESM_SM_EERKSM_lbbbEUlllE0_EEPmJS6_EEE10hipError_tPvRmT3_T4_T5_T6_T7_T9_mT8_P12ihipStream_tbDpT10_ENKUlT_T0_E_clISt17integral_constantIbLb1EES1C_EEDaS17_S18_EUlS17_E_NS1_11comp_targetILNS1_3genE9ELNS1_11target_archE1100ELNS1_3gpuE3ELNS1_3repE0EEENS1_30default_config_static_selectorELNS0_4arch9wavefront6targetE0EEEvT1_.kd
    .uniform_work_group_size: 1
    .uses_dynamic_stack: false
    .vgpr_count:     52
    .vgpr_spill_count: 0
    .wavefront_size: 32
    .workgroup_processor_mode: 1
  - .args:
      - .offset:         0
        .size:           136
        .value_kind:     by_value
    .group_segment_fixed_size: 0
    .kernarg_segment_align: 8
    .kernarg_segment_size: 136
    .language:       OpenCL C
    .language_version:
      - 2
      - 0
    .max_flat_workgroup_size: 512
    .name:           _ZN7rocprim17ROCPRIM_400000_NS6detail17trampoline_kernelINS0_14default_configENS1_25partition_config_selectorILNS1_17partition_subalgoE8ElNS0_10empty_typeEbEEZZNS1_14partition_implILS5_8ELb0ES3_jPlPS6_PKS6_NS0_5tupleIJS9_S6_EEENSD_IJSA_SA_EEENS0_18inequality_wrapperIZN2at6native12_GLOBAL__N_124unique_dim_cuda_templateIdEESt5tupleIJNSH_6TensorESM_SM_EERKSM_lbbbEUlllE0_EEPmJS6_EEE10hipError_tPvRmT3_T4_T5_T6_T7_T9_mT8_P12ihipStream_tbDpT10_ENKUlT_T0_E_clISt17integral_constantIbLb1EES1C_EEDaS17_S18_EUlS17_E_NS1_11comp_targetILNS1_3genE8ELNS1_11target_archE1030ELNS1_3gpuE2ELNS1_3repE0EEENS1_30default_config_static_selectorELNS0_4arch9wavefront6targetE0EEEvT1_
    .private_segment_fixed_size: 0
    .sgpr_count:     0
    .sgpr_spill_count: 0
    .symbol:         _ZN7rocprim17ROCPRIM_400000_NS6detail17trampoline_kernelINS0_14default_configENS1_25partition_config_selectorILNS1_17partition_subalgoE8ElNS0_10empty_typeEbEEZZNS1_14partition_implILS5_8ELb0ES3_jPlPS6_PKS6_NS0_5tupleIJS9_S6_EEENSD_IJSA_SA_EEENS0_18inequality_wrapperIZN2at6native12_GLOBAL__N_124unique_dim_cuda_templateIdEESt5tupleIJNSH_6TensorESM_SM_EERKSM_lbbbEUlllE0_EEPmJS6_EEE10hipError_tPvRmT3_T4_T5_T6_T7_T9_mT8_P12ihipStream_tbDpT10_ENKUlT_T0_E_clISt17integral_constantIbLb1EES1C_EEDaS17_S18_EUlS17_E_NS1_11comp_targetILNS1_3genE8ELNS1_11target_archE1030ELNS1_3gpuE2ELNS1_3repE0EEENS1_30default_config_static_selectorELNS0_4arch9wavefront6targetE0EEEvT1_.kd
    .uniform_work_group_size: 1
    .uses_dynamic_stack: false
    .vgpr_count:     0
    .vgpr_spill_count: 0
    .wavefront_size: 32
    .workgroup_processor_mode: 1
  - .args:
      - .offset:         0
        .size:           120
        .value_kind:     by_value
    .group_segment_fixed_size: 0
    .kernarg_segment_align: 8
    .kernarg_segment_size: 120
    .language:       OpenCL C
    .language_version:
      - 2
      - 0
    .max_flat_workgroup_size: 512
    .name:           _ZN7rocprim17ROCPRIM_400000_NS6detail17trampoline_kernelINS0_14default_configENS1_25partition_config_selectorILNS1_17partition_subalgoE8ElNS0_10empty_typeEbEEZZNS1_14partition_implILS5_8ELb0ES3_jPlPS6_PKS6_NS0_5tupleIJS9_S6_EEENSD_IJSA_SA_EEENS0_18inequality_wrapperIZN2at6native12_GLOBAL__N_124unique_dim_cuda_templateIdEESt5tupleIJNSH_6TensorESM_SM_EERKSM_lbbbEUlllE0_EEPmJS6_EEE10hipError_tPvRmT3_T4_T5_T6_T7_T9_mT8_P12ihipStream_tbDpT10_ENKUlT_T0_E_clISt17integral_constantIbLb1EES1B_IbLb0EEEEDaS17_S18_EUlS17_E_NS1_11comp_targetILNS1_3genE0ELNS1_11target_archE4294967295ELNS1_3gpuE0ELNS1_3repE0EEENS1_30default_config_static_selectorELNS0_4arch9wavefront6targetE0EEEvT1_
    .private_segment_fixed_size: 0
    .sgpr_count:     0
    .sgpr_spill_count: 0
    .symbol:         _ZN7rocprim17ROCPRIM_400000_NS6detail17trampoline_kernelINS0_14default_configENS1_25partition_config_selectorILNS1_17partition_subalgoE8ElNS0_10empty_typeEbEEZZNS1_14partition_implILS5_8ELb0ES3_jPlPS6_PKS6_NS0_5tupleIJS9_S6_EEENSD_IJSA_SA_EEENS0_18inequality_wrapperIZN2at6native12_GLOBAL__N_124unique_dim_cuda_templateIdEESt5tupleIJNSH_6TensorESM_SM_EERKSM_lbbbEUlllE0_EEPmJS6_EEE10hipError_tPvRmT3_T4_T5_T6_T7_T9_mT8_P12ihipStream_tbDpT10_ENKUlT_T0_E_clISt17integral_constantIbLb1EES1B_IbLb0EEEEDaS17_S18_EUlS17_E_NS1_11comp_targetILNS1_3genE0ELNS1_11target_archE4294967295ELNS1_3gpuE0ELNS1_3repE0EEENS1_30default_config_static_selectorELNS0_4arch9wavefront6targetE0EEEvT1_.kd
    .uniform_work_group_size: 1
    .uses_dynamic_stack: false
    .vgpr_count:     0
    .vgpr_spill_count: 0
    .wavefront_size: 32
    .workgroup_processor_mode: 1
  - .args:
      - .offset:         0
        .size:           120
        .value_kind:     by_value
    .group_segment_fixed_size: 0
    .kernarg_segment_align: 8
    .kernarg_segment_size: 120
    .language:       OpenCL C
    .language_version:
      - 2
      - 0
    .max_flat_workgroup_size: 512
    .name:           _ZN7rocprim17ROCPRIM_400000_NS6detail17trampoline_kernelINS0_14default_configENS1_25partition_config_selectorILNS1_17partition_subalgoE8ElNS0_10empty_typeEbEEZZNS1_14partition_implILS5_8ELb0ES3_jPlPS6_PKS6_NS0_5tupleIJS9_S6_EEENSD_IJSA_SA_EEENS0_18inequality_wrapperIZN2at6native12_GLOBAL__N_124unique_dim_cuda_templateIdEESt5tupleIJNSH_6TensorESM_SM_EERKSM_lbbbEUlllE0_EEPmJS6_EEE10hipError_tPvRmT3_T4_T5_T6_T7_T9_mT8_P12ihipStream_tbDpT10_ENKUlT_T0_E_clISt17integral_constantIbLb1EES1B_IbLb0EEEEDaS17_S18_EUlS17_E_NS1_11comp_targetILNS1_3genE5ELNS1_11target_archE942ELNS1_3gpuE9ELNS1_3repE0EEENS1_30default_config_static_selectorELNS0_4arch9wavefront6targetE0EEEvT1_
    .private_segment_fixed_size: 0
    .sgpr_count:     0
    .sgpr_spill_count: 0
    .symbol:         _ZN7rocprim17ROCPRIM_400000_NS6detail17trampoline_kernelINS0_14default_configENS1_25partition_config_selectorILNS1_17partition_subalgoE8ElNS0_10empty_typeEbEEZZNS1_14partition_implILS5_8ELb0ES3_jPlPS6_PKS6_NS0_5tupleIJS9_S6_EEENSD_IJSA_SA_EEENS0_18inequality_wrapperIZN2at6native12_GLOBAL__N_124unique_dim_cuda_templateIdEESt5tupleIJNSH_6TensorESM_SM_EERKSM_lbbbEUlllE0_EEPmJS6_EEE10hipError_tPvRmT3_T4_T5_T6_T7_T9_mT8_P12ihipStream_tbDpT10_ENKUlT_T0_E_clISt17integral_constantIbLb1EES1B_IbLb0EEEEDaS17_S18_EUlS17_E_NS1_11comp_targetILNS1_3genE5ELNS1_11target_archE942ELNS1_3gpuE9ELNS1_3repE0EEENS1_30default_config_static_selectorELNS0_4arch9wavefront6targetE0EEEvT1_.kd
    .uniform_work_group_size: 1
    .uses_dynamic_stack: false
    .vgpr_count:     0
    .vgpr_spill_count: 0
    .wavefront_size: 32
    .workgroup_processor_mode: 1
  - .args:
      - .offset:         0
        .size:           120
        .value_kind:     by_value
    .group_segment_fixed_size: 0
    .kernarg_segment_align: 8
    .kernarg_segment_size: 120
    .language:       OpenCL C
    .language_version:
      - 2
      - 0
    .max_flat_workgroup_size: 256
    .name:           _ZN7rocprim17ROCPRIM_400000_NS6detail17trampoline_kernelINS0_14default_configENS1_25partition_config_selectorILNS1_17partition_subalgoE8ElNS0_10empty_typeEbEEZZNS1_14partition_implILS5_8ELb0ES3_jPlPS6_PKS6_NS0_5tupleIJS9_S6_EEENSD_IJSA_SA_EEENS0_18inequality_wrapperIZN2at6native12_GLOBAL__N_124unique_dim_cuda_templateIdEESt5tupleIJNSH_6TensorESM_SM_EERKSM_lbbbEUlllE0_EEPmJS6_EEE10hipError_tPvRmT3_T4_T5_T6_T7_T9_mT8_P12ihipStream_tbDpT10_ENKUlT_T0_E_clISt17integral_constantIbLb1EES1B_IbLb0EEEEDaS17_S18_EUlS17_E_NS1_11comp_targetILNS1_3genE4ELNS1_11target_archE910ELNS1_3gpuE8ELNS1_3repE0EEENS1_30default_config_static_selectorELNS0_4arch9wavefront6targetE0EEEvT1_
    .private_segment_fixed_size: 0
    .sgpr_count:     0
    .sgpr_spill_count: 0
    .symbol:         _ZN7rocprim17ROCPRIM_400000_NS6detail17trampoline_kernelINS0_14default_configENS1_25partition_config_selectorILNS1_17partition_subalgoE8ElNS0_10empty_typeEbEEZZNS1_14partition_implILS5_8ELb0ES3_jPlPS6_PKS6_NS0_5tupleIJS9_S6_EEENSD_IJSA_SA_EEENS0_18inequality_wrapperIZN2at6native12_GLOBAL__N_124unique_dim_cuda_templateIdEESt5tupleIJNSH_6TensorESM_SM_EERKSM_lbbbEUlllE0_EEPmJS6_EEE10hipError_tPvRmT3_T4_T5_T6_T7_T9_mT8_P12ihipStream_tbDpT10_ENKUlT_T0_E_clISt17integral_constantIbLb1EES1B_IbLb0EEEEDaS17_S18_EUlS17_E_NS1_11comp_targetILNS1_3genE4ELNS1_11target_archE910ELNS1_3gpuE8ELNS1_3repE0EEENS1_30default_config_static_selectorELNS0_4arch9wavefront6targetE0EEEvT1_.kd
    .uniform_work_group_size: 1
    .uses_dynamic_stack: false
    .vgpr_count:     0
    .vgpr_spill_count: 0
    .wavefront_size: 32
    .workgroup_processor_mode: 1
  - .args:
      - .offset:         0
        .size:           120
        .value_kind:     by_value
    .group_segment_fixed_size: 0
    .kernarg_segment_align: 8
    .kernarg_segment_size: 120
    .language:       OpenCL C
    .language_version:
      - 2
      - 0
    .max_flat_workgroup_size: 512
    .name:           _ZN7rocprim17ROCPRIM_400000_NS6detail17trampoline_kernelINS0_14default_configENS1_25partition_config_selectorILNS1_17partition_subalgoE8ElNS0_10empty_typeEbEEZZNS1_14partition_implILS5_8ELb0ES3_jPlPS6_PKS6_NS0_5tupleIJS9_S6_EEENSD_IJSA_SA_EEENS0_18inequality_wrapperIZN2at6native12_GLOBAL__N_124unique_dim_cuda_templateIdEESt5tupleIJNSH_6TensorESM_SM_EERKSM_lbbbEUlllE0_EEPmJS6_EEE10hipError_tPvRmT3_T4_T5_T6_T7_T9_mT8_P12ihipStream_tbDpT10_ENKUlT_T0_E_clISt17integral_constantIbLb1EES1B_IbLb0EEEEDaS17_S18_EUlS17_E_NS1_11comp_targetILNS1_3genE3ELNS1_11target_archE908ELNS1_3gpuE7ELNS1_3repE0EEENS1_30default_config_static_selectorELNS0_4arch9wavefront6targetE0EEEvT1_
    .private_segment_fixed_size: 0
    .sgpr_count:     0
    .sgpr_spill_count: 0
    .symbol:         _ZN7rocprim17ROCPRIM_400000_NS6detail17trampoline_kernelINS0_14default_configENS1_25partition_config_selectorILNS1_17partition_subalgoE8ElNS0_10empty_typeEbEEZZNS1_14partition_implILS5_8ELb0ES3_jPlPS6_PKS6_NS0_5tupleIJS9_S6_EEENSD_IJSA_SA_EEENS0_18inequality_wrapperIZN2at6native12_GLOBAL__N_124unique_dim_cuda_templateIdEESt5tupleIJNSH_6TensorESM_SM_EERKSM_lbbbEUlllE0_EEPmJS6_EEE10hipError_tPvRmT3_T4_T5_T6_T7_T9_mT8_P12ihipStream_tbDpT10_ENKUlT_T0_E_clISt17integral_constantIbLb1EES1B_IbLb0EEEEDaS17_S18_EUlS17_E_NS1_11comp_targetILNS1_3genE3ELNS1_11target_archE908ELNS1_3gpuE7ELNS1_3repE0EEENS1_30default_config_static_selectorELNS0_4arch9wavefront6targetE0EEEvT1_.kd
    .uniform_work_group_size: 1
    .uses_dynamic_stack: false
    .vgpr_count:     0
    .vgpr_spill_count: 0
    .wavefront_size: 32
    .workgroup_processor_mode: 1
  - .args:
      - .offset:         0
        .size:           120
        .value_kind:     by_value
    .group_segment_fixed_size: 0
    .kernarg_segment_align: 8
    .kernarg_segment_size: 120
    .language:       OpenCL C
    .language_version:
      - 2
      - 0
    .max_flat_workgroup_size: 256
    .name:           _ZN7rocprim17ROCPRIM_400000_NS6detail17trampoline_kernelINS0_14default_configENS1_25partition_config_selectorILNS1_17partition_subalgoE8ElNS0_10empty_typeEbEEZZNS1_14partition_implILS5_8ELb0ES3_jPlPS6_PKS6_NS0_5tupleIJS9_S6_EEENSD_IJSA_SA_EEENS0_18inequality_wrapperIZN2at6native12_GLOBAL__N_124unique_dim_cuda_templateIdEESt5tupleIJNSH_6TensorESM_SM_EERKSM_lbbbEUlllE0_EEPmJS6_EEE10hipError_tPvRmT3_T4_T5_T6_T7_T9_mT8_P12ihipStream_tbDpT10_ENKUlT_T0_E_clISt17integral_constantIbLb1EES1B_IbLb0EEEEDaS17_S18_EUlS17_E_NS1_11comp_targetILNS1_3genE2ELNS1_11target_archE906ELNS1_3gpuE6ELNS1_3repE0EEENS1_30default_config_static_selectorELNS0_4arch9wavefront6targetE0EEEvT1_
    .private_segment_fixed_size: 0
    .sgpr_count:     0
    .sgpr_spill_count: 0
    .symbol:         _ZN7rocprim17ROCPRIM_400000_NS6detail17trampoline_kernelINS0_14default_configENS1_25partition_config_selectorILNS1_17partition_subalgoE8ElNS0_10empty_typeEbEEZZNS1_14partition_implILS5_8ELb0ES3_jPlPS6_PKS6_NS0_5tupleIJS9_S6_EEENSD_IJSA_SA_EEENS0_18inequality_wrapperIZN2at6native12_GLOBAL__N_124unique_dim_cuda_templateIdEESt5tupleIJNSH_6TensorESM_SM_EERKSM_lbbbEUlllE0_EEPmJS6_EEE10hipError_tPvRmT3_T4_T5_T6_T7_T9_mT8_P12ihipStream_tbDpT10_ENKUlT_T0_E_clISt17integral_constantIbLb1EES1B_IbLb0EEEEDaS17_S18_EUlS17_E_NS1_11comp_targetILNS1_3genE2ELNS1_11target_archE906ELNS1_3gpuE6ELNS1_3repE0EEENS1_30default_config_static_selectorELNS0_4arch9wavefront6targetE0EEEvT1_.kd
    .uniform_work_group_size: 1
    .uses_dynamic_stack: false
    .vgpr_count:     0
    .vgpr_spill_count: 0
    .wavefront_size: 32
    .workgroup_processor_mode: 1
  - .args:
      - .offset:         0
        .size:           120
        .value_kind:     by_value
    .group_segment_fixed_size: 0
    .kernarg_segment_align: 8
    .kernarg_segment_size: 120
    .language:       OpenCL C
    .language_version:
      - 2
      - 0
    .max_flat_workgroup_size: 384
    .name:           _ZN7rocprim17ROCPRIM_400000_NS6detail17trampoline_kernelINS0_14default_configENS1_25partition_config_selectorILNS1_17partition_subalgoE8ElNS0_10empty_typeEbEEZZNS1_14partition_implILS5_8ELb0ES3_jPlPS6_PKS6_NS0_5tupleIJS9_S6_EEENSD_IJSA_SA_EEENS0_18inequality_wrapperIZN2at6native12_GLOBAL__N_124unique_dim_cuda_templateIdEESt5tupleIJNSH_6TensorESM_SM_EERKSM_lbbbEUlllE0_EEPmJS6_EEE10hipError_tPvRmT3_T4_T5_T6_T7_T9_mT8_P12ihipStream_tbDpT10_ENKUlT_T0_E_clISt17integral_constantIbLb1EES1B_IbLb0EEEEDaS17_S18_EUlS17_E_NS1_11comp_targetILNS1_3genE10ELNS1_11target_archE1200ELNS1_3gpuE4ELNS1_3repE0EEENS1_30default_config_static_selectorELNS0_4arch9wavefront6targetE0EEEvT1_
    .private_segment_fixed_size: 0
    .sgpr_count:     0
    .sgpr_spill_count: 0
    .symbol:         _ZN7rocprim17ROCPRIM_400000_NS6detail17trampoline_kernelINS0_14default_configENS1_25partition_config_selectorILNS1_17partition_subalgoE8ElNS0_10empty_typeEbEEZZNS1_14partition_implILS5_8ELb0ES3_jPlPS6_PKS6_NS0_5tupleIJS9_S6_EEENSD_IJSA_SA_EEENS0_18inequality_wrapperIZN2at6native12_GLOBAL__N_124unique_dim_cuda_templateIdEESt5tupleIJNSH_6TensorESM_SM_EERKSM_lbbbEUlllE0_EEPmJS6_EEE10hipError_tPvRmT3_T4_T5_T6_T7_T9_mT8_P12ihipStream_tbDpT10_ENKUlT_T0_E_clISt17integral_constantIbLb1EES1B_IbLb0EEEEDaS17_S18_EUlS17_E_NS1_11comp_targetILNS1_3genE10ELNS1_11target_archE1200ELNS1_3gpuE4ELNS1_3repE0EEENS1_30default_config_static_selectorELNS0_4arch9wavefront6targetE0EEEvT1_.kd
    .uniform_work_group_size: 1
    .uses_dynamic_stack: false
    .vgpr_count:     0
    .vgpr_spill_count: 0
    .wavefront_size: 32
    .workgroup_processor_mode: 1
  - .args:
      - .offset:         0
        .size:           120
        .value_kind:     by_value
    .group_segment_fixed_size: 33804
    .kernarg_segment_align: 8
    .kernarg_segment_size: 120
    .language:       OpenCL C
    .language_version:
      - 2
      - 0
    .max_flat_workgroup_size: 512
    .name:           _ZN7rocprim17ROCPRIM_400000_NS6detail17trampoline_kernelINS0_14default_configENS1_25partition_config_selectorILNS1_17partition_subalgoE8ElNS0_10empty_typeEbEEZZNS1_14partition_implILS5_8ELb0ES3_jPlPS6_PKS6_NS0_5tupleIJS9_S6_EEENSD_IJSA_SA_EEENS0_18inequality_wrapperIZN2at6native12_GLOBAL__N_124unique_dim_cuda_templateIdEESt5tupleIJNSH_6TensorESM_SM_EERKSM_lbbbEUlllE0_EEPmJS6_EEE10hipError_tPvRmT3_T4_T5_T6_T7_T9_mT8_P12ihipStream_tbDpT10_ENKUlT_T0_E_clISt17integral_constantIbLb1EES1B_IbLb0EEEEDaS17_S18_EUlS17_E_NS1_11comp_targetILNS1_3genE9ELNS1_11target_archE1100ELNS1_3gpuE3ELNS1_3repE0EEENS1_30default_config_static_selectorELNS0_4arch9wavefront6targetE0EEEvT1_
    .private_segment_fixed_size: 0
    .sgpr_count:     38
    .sgpr_spill_count: 0
    .symbol:         _ZN7rocprim17ROCPRIM_400000_NS6detail17trampoline_kernelINS0_14default_configENS1_25partition_config_selectorILNS1_17partition_subalgoE8ElNS0_10empty_typeEbEEZZNS1_14partition_implILS5_8ELb0ES3_jPlPS6_PKS6_NS0_5tupleIJS9_S6_EEENSD_IJSA_SA_EEENS0_18inequality_wrapperIZN2at6native12_GLOBAL__N_124unique_dim_cuda_templateIdEESt5tupleIJNSH_6TensorESM_SM_EERKSM_lbbbEUlllE0_EEPmJS6_EEE10hipError_tPvRmT3_T4_T5_T6_T7_T9_mT8_P12ihipStream_tbDpT10_ENKUlT_T0_E_clISt17integral_constantIbLb1EES1B_IbLb0EEEEDaS17_S18_EUlS17_E_NS1_11comp_targetILNS1_3genE9ELNS1_11target_archE1100ELNS1_3gpuE3ELNS1_3repE0EEENS1_30default_config_static_selectorELNS0_4arch9wavefront6targetE0EEEvT1_.kd
    .uniform_work_group_size: 1
    .uses_dynamic_stack: false
    .vgpr_count:     52
    .vgpr_spill_count: 0
    .wavefront_size: 32
    .workgroup_processor_mode: 1
  - .args:
      - .offset:         0
        .size:           120
        .value_kind:     by_value
    .group_segment_fixed_size: 0
    .kernarg_segment_align: 8
    .kernarg_segment_size: 120
    .language:       OpenCL C
    .language_version:
      - 2
      - 0
    .max_flat_workgroup_size: 512
    .name:           _ZN7rocprim17ROCPRIM_400000_NS6detail17trampoline_kernelINS0_14default_configENS1_25partition_config_selectorILNS1_17partition_subalgoE8ElNS0_10empty_typeEbEEZZNS1_14partition_implILS5_8ELb0ES3_jPlPS6_PKS6_NS0_5tupleIJS9_S6_EEENSD_IJSA_SA_EEENS0_18inequality_wrapperIZN2at6native12_GLOBAL__N_124unique_dim_cuda_templateIdEESt5tupleIJNSH_6TensorESM_SM_EERKSM_lbbbEUlllE0_EEPmJS6_EEE10hipError_tPvRmT3_T4_T5_T6_T7_T9_mT8_P12ihipStream_tbDpT10_ENKUlT_T0_E_clISt17integral_constantIbLb1EES1B_IbLb0EEEEDaS17_S18_EUlS17_E_NS1_11comp_targetILNS1_3genE8ELNS1_11target_archE1030ELNS1_3gpuE2ELNS1_3repE0EEENS1_30default_config_static_selectorELNS0_4arch9wavefront6targetE0EEEvT1_
    .private_segment_fixed_size: 0
    .sgpr_count:     0
    .sgpr_spill_count: 0
    .symbol:         _ZN7rocprim17ROCPRIM_400000_NS6detail17trampoline_kernelINS0_14default_configENS1_25partition_config_selectorILNS1_17partition_subalgoE8ElNS0_10empty_typeEbEEZZNS1_14partition_implILS5_8ELb0ES3_jPlPS6_PKS6_NS0_5tupleIJS9_S6_EEENSD_IJSA_SA_EEENS0_18inequality_wrapperIZN2at6native12_GLOBAL__N_124unique_dim_cuda_templateIdEESt5tupleIJNSH_6TensorESM_SM_EERKSM_lbbbEUlllE0_EEPmJS6_EEE10hipError_tPvRmT3_T4_T5_T6_T7_T9_mT8_P12ihipStream_tbDpT10_ENKUlT_T0_E_clISt17integral_constantIbLb1EES1B_IbLb0EEEEDaS17_S18_EUlS17_E_NS1_11comp_targetILNS1_3genE8ELNS1_11target_archE1030ELNS1_3gpuE2ELNS1_3repE0EEENS1_30default_config_static_selectorELNS0_4arch9wavefront6targetE0EEEvT1_.kd
    .uniform_work_group_size: 1
    .uses_dynamic_stack: false
    .vgpr_count:     0
    .vgpr_spill_count: 0
    .wavefront_size: 32
    .workgroup_processor_mode: 1
  - .args:
      - .offset:         0
        .size:           136
        .value_kind:     by_value
    .group_segment_fixed_size: 0
    .kernarg_segment_align: 8
    .kernarg_segment_size: 136
    .language:       OpenCL C
    .language_version:
      - 2
      - 0
    .max_flat_workgroup_size: 512
    .name:           _ZN7rocprim17ROCPRIM_400000_NS6detail17trampoline_kernelINS0_14default_configENS1_25partition_config_selectorILNS1_17partition_subalgoE8ElNS0_10empty_typeEbEEZZNS1_14partition_implILS5_8ELb0ES3_jPlPS6_PKS6_NS0_5tupleIJS9_S6_EEENSD_IJSA_SA_EEENS0_18inequality_wrapperIZN2at6native12_GLOBAL__N_124unique_dim_cuda_templateIdEESt5tupleIJNSH_6TensorESM_SM_EERKSM_lbbbEUlllE0_EEPmJS6_EEE10hipError_tPvRmT3_T4_T5_T6_T7_T9_mT8_P12ihipStream_tbDpT10_ENKUlT_T0_E_clISt17integral_constantIbLb0EES1B_IbLb1EEEEDaS17_S18_EUlS17_E_NS1_11comp_targetILNS1_3genE0ELNS1_11target_archE4294967295ELNS1_3gpuE0ELNS1_3repE0EEENS1_30default_config_static_selectorELNS0_4arch9wavefront6targetE0EEEvT1_
    .private_segment_fixed_size: 0
    .sgpr_count:     0
    .sgpr_spill_count: 0
    .symbol:         _ZN7rocprim17ROCPRIM_400000_NS6detail17trampoline_kernelINS0_14default_configENS1_25partition_config_selectorILNS1_17partition_subalgoE8ElNS0_10empty_typeEbEEZZNS1_14partition_implILS5_8ELb0ES3_jPlPS6_PKS6_NS0_5tupleIJS9_S6_EEENSD_IJSA_SA_EEENS0_18inequality_wrapperIZN2at6native12_GLOBAL__N_124unique_dim_cuda_templateIdEESt5tupleIJNSH_6TensorESM_SM_EERKSM_lbbbEUlllE0_EEPmJS6_EEE10hipError_tPvRmT3_T4_T5_T6_T7_T9_mT8_P12ihipStream_tbDpT10_ENKUlT_T0_E_clISt17integral_constantIbLb0EES1B_IbLb1EEEEDaS17_S18_EUlS17_E_NS1_11comp_targetILNS1_3genE0ELNS1_11target_archE4294967295ELNS1_3gpuE0ELNS1_3repE0EEENS1_30default_config_static_selectorELNS0_4arch9wavefront6targetE0EEEvT1_.kd
    .uniform_work_group_size: 1
    .uses_dynamic_stack: false
    .vgpr_count:     0
    .vgpr_spill_count: 0
    .wavefront_size: 32
    .workgroup_processor_mode: 1
  - .args:
      - .offset:         0
        .size:           136
        .value_kind:     by_value
    .group_segment_fixed_size: 0
    .kernarg_segment_align: 8
    .kernarg_segment_size: 136
    .language:       OpenCL C
    .language_version:
      - 2
      - 0
    .max_flat_workgroup_size: 512
    .name:           _ZN7rocprim17ROCPRIM_400000_NS6detail17trampoline_kernelINS0_14default_configENS1_25partition_config_selectorILNS1_17partition_subalgoE8ElNS0_10empty_typeEbEEZZNS1_14partition_implILS5_8ELb0ES3_jPlPS6_PKS6_NS0_5tupleIJS9_S6_EEENSD_IJSA_SA_EEENS0_18inequality_wrapperIZN2at6native12_GLOBAL__N_124unique_dim_cuda_templateIdEESt5tupleIJNSH_6TensorESM_SM_EERKSM_lbbbEUlllE0_EEPmJS6_EEE10hipError_tPvRmT3_T4_T5_T6_T7_T9_mT8_P12ihipStream_tbDpT10_ENKUlT_T0_E_clISt17integral_constantIbLb0EES1B_IbLb1EEEEDaS17_S18_EUlS17_E_NS1_11comp_targetILNS1_3genE5ELNS1_11target_archE942ELNS1_3gpuE9ELNS1_3repE0EEENS1_30default_config_static_selectorELNS0_4arch9wavefront6targetE0EEEvT1_
    .private_segment_fixed_size: 0
    .sgpr_count:     0
    .sgpr_spill_count: 0
    .symbol:         _ZN7rocprim17ROCPRIM_400000_NS6detail17trampoline_kernelINS0_14default_configENS1_25partition_config_selectorILNS1_17partition_subalgoE8ElNS0_10empty_typeEbEEZZNS1_14partition_implILS5_8ELb0ES3_jPlPS6_PKS6_NS0_5tupleIJS9_S6_EEENSD_IJSA_SA_EEENS0_18inequality_wrapperIZN2at6native12_GLOBAL__N_124unique_dim_cuda_templateIdEESt5tupleIJNSH_6TensorESM_SM_EERKSM_lbbbEUlllE0_EEPmJS6_EEE10hipError_tPvRmT3_T4_T5_T6_T7_T9_mT8_P12ihipStream_tbDpT10_ENKUlT_T0_E_clISt17integral_constantIbLb0EES1B_IbLb1EEEEDaS17_S18_EUlS17_E_NS1_11comp_targetILNS1_3genE5ELNS1_11target_archE942ELNS1_3gpuE9ELNS1_3repE0EEENS1_30default_config_static_selectorELNS0_4arch9wavefront6targetE0EEEvT1_.kd
    .uniform_work_group_size: 1
    .uses_dynamic_stack: false
    .vgpr_count:     0
    .vgpr_spill_count: 0
    .wavefront_size: 32
    .workgroup_processor_mode: 1
  - .args:
      - .offset:         0
        .size:           136
        .value_kind:     by_value
    .group_segment_fixed_size: 0
    .kernarg_segment_align: 8
    .kernarg_segment_size: 136
    .language:       OpenCL C
    .language_version:
      - 2
      - 0
    .max_flat_workgroup_size: 256
    .name:           _ZN7rocprim17ROCPRIM_400000_NS6detail17trampoline_kernelINS0_14default_configENS1_25partition_config_selectorILNS1_17partition_subalgoE8ElNS0_10empty_typeEbEEZZNS1_14partition_implILS5_8ELb0ES3_jPlPS6_PKS6_NS0_5tupleIJS9_S6_EEENSD_IJSA_SA_EEENS0_18inequality_wrapperIZN2at6native12_GLOBAL__N_124unique_dim_cuda_templateIdEESt5tupleIJNSH_6TensorESM_SM_EERKSM_lbbbEUlllE0_EEPmJS6_EEE10hipError_tPvRmT3_T4_T5_T6_T7_T9_mT8_P12ihipStream_tbDpT10_ENKUlT_T0_E_clISt17integral_constantIbLb0EES1B_IbLb1EEEEDaS17_S18_EUlS17_E_NS1_11comp_targetILNS1_3genE4ELNS1_11target_archE910ELNS1_3gpuE8ELNS1_3repE0EEENS1_30default_config_static_selectorELNS0_4arch9wavefront6targetE0EEEvT1_
    .private_segment_fixed_size: 0
    .sgpr_count:     0
    .sgpr_spill_count: 0
    .symbol:         _ZN7rocprim17ROCPRIM_400000_NS6detail17trampoline_kernelINS0_14default_configENS1_25partition_config_selectorILNS1_17partition_subalgoE8ElNS0_10empty_typeEbEEZZNS1_14partition_implILS5_8ELb0ES3_jPlPS6_PKS6_NS0_5tupleIJS9_S6_EEENSD_IJSA_SA_EEENS0_18inequality_wrapperIZN2at6native12_GLOBAL__N_124unique_dim_cuda_templateIdEESt5tupleIJNSH_6TensorESM_SM_EERKSM_lbbbEUlllE0_EEPmJS6_EEE10hipError_tPvRmT3_T4_T5_T6_T7_T9_mT8_P12ihipStream_tbDpT10_ENKUlT_T0_E_clISt17integral_constantIbLb0EES1B_IbLb1EEEEDaS17_S18_EUlS17_E_NS1_11comp_targetILNS1_3genE4ELNS1_11target_archE910ELNS1_3gpuE8ELNS1_3repE0EEENS1_30default_config_static_selectorELNS0_4arch9wavefront6targetE0EEEvT1_.kd
    .uniform_work_group_size: 1
    .uses_dynamic_stack: false
    .vgpr_count:     0
    .vgpr_spill_count: 0
    .wavefront_size: 32
    .workgroup_processor_mode: 1
  - .args:
      - .offset:         0
        .size:           136
        .value_kind:     by_value
    .group_segment_fixed_size: 0
    .kernarg_segment_align: 8
    .kernarg_segment_size: 136
    .language:       OpenCL C
    .language_version:
      - 2
      - 0
    .max_flat_workgroup_size: 512
    .name:           _ZN7rocprim17ROCPRIM_400000_NS6detail17trampoline_kernelINS0_14default_configENS1_25partition_config_selectorILNS1_17partition_subalgoE8ElNS0_10empty_typeEbEEZZNS1_14partition_implILS5_8ELb0ES3_jPlPS6_PKS6_NS0_5tupleIJS9_S6_EEENSD_IJSA_SA_EEENS0_18inequality_wrapperIZN2at6native12_GLOBAL__N_124unique_dim_cuda_templateIdEESt5tupleIJNSH_6TensorESM_SM_EERKSM_lbbbEUlllE0_EEPmJS6_EEE10hipError_tPvRmT3_T4_T5_T6_T7_T9_mT8_P12ihipStream_tbDpT10_ENKUlT_T0_E_clISt17integral_constantIbLb0EES1B_IbLb1EEEEDaS17_S18_EUlS17_E_NS1_11comp_targetILNS1_3genE3ELNS1_11target_archE908ELNS1_3gpuE7ELNS1_3repE0EEENS1_30default_config_static_selectorELNS0_4arch9wavefront6targetE0EEEvT1_
    .private_segment_fixed_size: 0
    .sgpr_count:     0
    .sgpr_spill_count: 0
    .symbol:         _ZN7rocprim17ROCPRIM_400000_NS6detail17trampoline_kernelINS0_14default_configENS1_25partition_config_selectorILNS1_17partition_subalgoE8ElNS0_10empty_typeEbEEZZNS1_14partition_implILS5_8ELb0ES3_jPlPS6_PKS6_NS0_5tupleIJS9_S6_EEENSD_IJSA_SA_EEENS0_18inequality_wrapperIZN2at6native12_GLOBAL__N_124unique_dim_cuda_templateIdEESt5tupleIJNSH_6TensorESM_SM_EERKSM_lbbbEUlllE0_EEPmJS6_EEE10hipError_tPvRmT3_T4_T5_T6_T7_T9_mT8_P12ihipStream_tbDpT10_ENKUlT_T0_E_clISt17integral_constantIbLb0EES1B_IbLb1EEEEDaS17_S18_EUlS17_E_NS1_11comp_targetILNS1_3genE3ELNS1_11target_archE908ELNS1_3gpuE7ELNS1_3repE0EEENS1_30default_config_static_selectorELNS0_4arch9wavefront6targetE0EEEvT1_.kd
    .uniform_work_group_size: 1
    .uses_dynamic_stack: false
    .vgpr_count:     0
    .vgpr_spill_count: 0
    .wavefront_size: 32
    .workgroup_processor_mode: 1
  - .args:
      - .offset:         0
        .size:           136
        .value_kind:     by_value
    .group_segment_fixed_size: 0
    .kernarg_segment_align: 8
    .kernarg_segment_size: 136
    .language:       OpenCL C
    .language_version:
      - 2
      - 0
    .max_flat_workgroup_size: 256
    .name:           _ZN7rocprim17ROCPRIM_400000_NS6detail17trampoline_kernelINS0_14default_configENS1_25partition_config_selectorILNS1_17partition_subalgoE8ElNS0_10empty_typeEbEEZZNS1_14partition_implILS5_8ELb0ES3_jPlPS6_PKS6_NS0_5tupleIJS9_S6_EEENSD_IJSA_SA_EEENS0_18inequality_wrapperIZN2at6native12_GLOBAL__N_124unique_dim_cuda_templateIdEESt5tupleIJNSH_6TensorESM_SM_EERKSM_lbbbEUlllE0_EEPmJS6_EEE10hipError_tPvRmT3_T4_T5_T6_T7_T9_mT8_P12ihipStream_tbDpT10_ENKUlT_T0_E_clISt17integral_constantIbLb0EES1B_IbLb1EEEEDaS17_S18_EUlS17_E_NS1_11comp_targetILNS1_3genE2ELNS1_11target_archE906ELNS1_3gpuE6ELNS1_3repE0EEENS1_30default_config_static_selectorELNS0_4arch9wavefront6targetE0EEEvT1_
    .private_segment_fixed_size: 0
    .sgpr_count:     0
    .sgpr_spill_count: 0
    .symbol:         _ZN7rocprim17ROCPRIM_400000_NS6detail17trampoline_kernelINS0_14default_configENS1_25partition_config_selectorILNS1_17partition_subalgoE8ElNS0_10empty_typeEbEEZZNS1_14partition_implILS5_8ELb0ES3_jPlPS6_PKS6_NS0_5tupleIJS9_S6_EEENSD_IJSA_SA_EEENS0_18inequality_wrapperIZN2at6native12_GLOBAL__N_124unique_dim_cuda_templateIdEESt5tupleIJNSH_6TensorESM_SM_EERKSM_lbbbEUlllE0_EEPmJS6_EEE10hipError_tPvRmT3_T4_T5_T6_T7_T9_mT8_P12ihipStream_tbDpT10_ENKUlT_T0_E_clISt17integral_constantIbLb0EES1B_IbLb1EEEEDaS17_S18_EUlS17_E_NS1_11comp_targetILNS1_3genE2ELNS1_11target_archE906ELNS1_3gpuE6ELNS1_3repE0EEENS1_30default_config_static_selectorELNS0_4arch9wavefront6targetE0EEEvT1_.kd
    .uniform_work_group_size: 1
    .uses_dynamic_stack: false
    .vgpr_count:     0
    .vgpr_spill_count: 0
    .wavefront_size: 32
    .workgroup_processor_mode: 1
  - .args:
      - .offset:         0
        .size:           136
        .value_kind:     by_value
    .group_segment_fixed_size: 0
    .kernarg_segment_align: 8
    .kernarg_segment_size: 136
    .language:       OpenCL C
    .language_version:
      - 2
      - 0
    .max_flat_workgroup_size: 384
    .name:           _ZN7rocprim17ROCPRIM_400000_NS6detail17trampoline_kernelINS0_14default_configENS1_25partition_config_selectorILNS1_17partition_subalgoE8ElNS0_10empty_typeEbEEZZNS1_14partition_implILS5_8ELb0ES3_jPlPS6_PKS6_NS0_5tupleIJS9_S6_EEENSD_IJSA_SA_EEENS0_18inequality_wrapperIZN2at6native12_GLOBAL__N_124unique_dim_cuda_templateIdEESt5tupleIJNSH_6TensorESM_SM_EERKSM_lbbbEUlllE0_EEPmJS6_EEE10hipError_tPvRmT3_T4_T5_T6_T7_T9_mT8_P12ihipStream_tbDpT10_ENKUlT_T0_E_clISt17integral_constantIbLb0EES1B_IbLb1EEEEDaS17_S18_EUlS17_E_NS1_11comp_targetILNS1_3genE10ELNS1_11target_archE1200ELNS1_3gpuE4ELNS1_3repE0EEENS1_30default_config_static_selectorELNS0_4arch9wavefront6targetE0EEEvT1_
    .private_segment_fixed_size: 0
    .sgpr_count:     0
    .sgpr_spill_count: 0
    .symbol:         _ZN7rocprim17ROCPRIM_400000_NS6detail17trampoline_kernelINS0_14default_configENS1_25partition_config_selectorILNS1_17partition_subalgoE8ElNS0_10empty_typeEbEEZZNS1_14partition_implILS5_8ELb0ES3_jPlPS6_PKS6_NS0_5tupleIJS9_S6_EEENSD_IJSA_SA_EEENS0_18inequality_wrapperIZN2at6native12_GLOBAL__N_124unique_dim_cuda_templateIdEESt5tupleIJNSH_6TensorESM_SM_EERKSM_lbbbEUlllE0_EEPmJS6_EEE10hipError_tPvRmT3_T4_T5_T6_T7_T9_mT8_P12ihipStream_tbDpT10_ENKUlT_T0_E_clISt17integral_constantIbLb0EES1B_IbLb1EEEEDaS17_S18_EUlS17_E_NS1_11comp_targetILNS1_3genE10ELNS1_11target_archE1200ELNS1_3gpuE4ELNS1_3repE0EEENS1_30default_config_static_selectorELNS0_4arch9wavefront6targetE0EEEvT1_.kd
    .uniform_work_group_size: 1
    .uses_dynamic_stack: false
    .vgpr_count:     0
    .vgpr_spill_count: 0
    .wavefront_size: 32
    .workgroup_processor_mode: 1
  - .args:
      - .offset:         0
        .size:           136
        .value_kind:     by_value
    .group_segment_fixed_size: 33804
    .kernarg_segment_align: 8
    .kernarg_segment_size: 136
    .language:       OpenCL C
    .language_version:
      - 2
      - 0
    .max_flat_workgroup_size: 512
    .name:           _ZN7rocprim17ROCPRIM_400000_NS6detail17trampoline_kernelINS0_14default_configENS1_25partition_config_selectorILNS1_17partition_subalgoE8ElNS0_10empty_typeEbEEZZNS1_14partition_implILS5_8ELb0ES3_jPlPS6_PKS6_NS0_5tupleIJS9_S6_EEENSD_IJSA_SA_EEENS0_18inequality_wrapperIZN2at6native12_GLOBAL__N_124unique_dim_cuda_templateIdEESt5tupleIJNSH_6TensorESM_SM_EERKSM_lbbbEUlllE0_EEPmJS6_EEE10hipError_tPvRmT3_T4_T5_T6_T7_T9_mT8_P12ihipStream_tbDpT10_ENKUlT_T0_E_clISt17integral_constantIbLb0EES1B_IbLb1EEEEDaS17_S18_EUlS17_E_NS1_11comp_targetILNS1_3genE9ELNS1_11target_archE1100ELNS1_3gpuE3ELNS1_3repE0EEENS1_30default_config_static_selectorELNS0_4arch9wavefront6targetE0EEEvT1_
    .private_segment_fixed_size: 0
    .sgpr_count:     40
    .sgpr_spill_count: 0
    .symbol:         _ZN7rocprim17ROCPRIM_400000_NS6detail17trampoline_kernelINS0_14default_configENS1_25partition_config_selectorILNS1_17partition_subalgoE8ElNS0_10empty_typeEbEEZZNS1_14partition_implILS5_8ELb0ES3_jPlPS6_PKS6_NS0_5tupleIJS9_S6_EEENSD_IJSA_SA_EEENS0_18inequality_wrapperIZN2at6native12_GLOBAL__N_124unique_dim_cuda_templateIdEESt5tupleIJNSH_6TensorESM_SM_EERKSM_lbbbEUlllE0_EEPmJS6_EEE10hipError_tPvRmT3_T4_T5_T6_T7_T9_mT8_P12ihipStream_tbDpT10_ENKUlT_T0_E_clISt17integral_constantIbLb0EES1B_IbLb1EEEEDaS17_S18_EUlS17_E_NS1_11comp_targetILNS1_3genE9ELNS1_11target_archE1100ELNS1_3gpuE3ELNS1_3repE0EEENS1_30default_config_static_selectorELNS0_4arch9wavefront6targetE0EEEvT1_.kd
    .uniform_work_group_size: 1
    .uses_dynamic_stack: false
    .vgpr_count:     52
    .vgpr_spill_count: 0
    .wavefront_size: 32
    .workgroup_processor_mode: 1
  - .args:
      - .offset:         0
        .size:           136
        .value_kind:     by_value
    .group_segment_fixed_size: 0
    .kernarg_segment_align: 8
    .kernarg_segment_size: 136
    .language:       OpenCL C
    .language_version:
      - 2
      - 0
    .max_flat_workgroup_size: 512
    .name:           _ZN7rocprim17ROCPRIM_400000_NS6detail17trampoline_kernelINS0_14default_configENS1_25partition_config_selectorILNS1_17partition_subalgoE8ElNS0_10empty_typeEbEEZZNS1_14partition_implILS5_8ELb0ES3_jPlPS6_PKS6_NS0_5tupleIJS9_S6_EEENSD_IJSA_SA_EEENS0_18inequality_wrapperIZN2at6native12_GLOBAL__N_124unique_dim_cuda_templateIdEESt5tupleIJNSH_6TensorESM_SM_EERKSM_lbbbEUlllE0_EEPmJS6_EEE10hipError_tPvRmT3_T4_T5_T6_T7_T9_mT8_P12ihipStream_tbDpT10_ENKUlT_T0_E_clISt17integral_constantIbLb0EES1B_IbLb1EEEEDaS17_S18_EUlS17_E_NS1_11comp_targetILNS1_3genE8ELNS1_11target_archE1030ELNS1_3gpuE2ELNS1_3repE0EEENS1_30default_config_static_selectorELNS0_4arch9wavefront6targetE0EEEvT1_
    .private_segment_fixed_size: 0
    .sgpr_count:     0
    .sgpr_spill_count: 0
    .symbol:         _ZN7rocprim17ROCPRIM_400000_NS6detail17trampoline_kernelINS0_14default_configENS1_25partition_config_selectorILNS1_17partition_subalgoE8ElNS0_10empty_typeEbEEZZNS1_14partition_implILS5_8ELb0ES3_jPlPS6_PKS6_NS0_5tupleIJS9_S6_EEENSD_IJSA_SA_EEENS0_18inequality_wrapperIZN2at6native12_GLOBAL__N_124unique_dim_cuda_templateIdEESt5tupleIJNSH_6TensorESM_SM_EERKSM_lbbbEUlllE0_EEPmJS6_EEE10hipError_tPvRmT3_T4_T5_T6_T7_T9_mT8_P12ihipStream_tbDpT10_ENKUlT_T0_E_clISt17integral_constantIbLb0EES1B_IbLb1EEEEDaS17_S18_EUlS17_E_NS1_11comp_targetILNS1_3genE8ELNS1_11target_archE1030ELNS1_3gpuE2ELNS1_3repE0EEENS1_30default_config_static_selectorELNS0_4arch9wavefront6targetE0EEEvT1_.kd
    .uniform_work_group_size: 1
    .uses_dynamic_stack: false
    .vgpr_count:     0
    .vgpr_spill_count: 0
    .wavefront_size: 32
    .workgroup_processor_mode: 1
  - .args:
      - .offset:         0
        .size:           120
        .value_kind:     by_value
    .group_segment_fixed_size: 0
    .kernarg_segment_align: 8
    .kernarg_segment_size: 120
    .language:       OpenCL C
    .language_version:
      - 2
      - 0
    .max_flat_workgroup_size: 128
    .name:           _ZN7rocprim17ROCPRIM_400000_NS6detail17trampoline_kernelINS0_14default_configENS1_25partition_config_selectorILNS1_17partition_subalgoE9EllbEEZZNS1_14partition_implILS5_9ELb0ES3_jPlS8_PNS0_10empty_typeENS0_5tupleIJS8_S9_EEENSB_IJS8_SA_EEENS0_18inequality_wrapperIZN2at6native12_GLOBAL__N_124unique_dim_cuda_templateIdEESt5tupleIJNSF_6TensorESK_SK_EERKSK_lbbbEUlllE0_EEPmJS9_EEE10hipError_tPvRmT3_T4_T5_T6_T7_T9_mT8_P12ihipStream_tbDpT10_ENKUlT_T0_E_clISt17integral_constantIbLb0EES1A_EEDaS15_S16_EUlS15_E_NS1_11comp_targetILNS1_3genE0ELNS1_11target_archE4294967295ELNS1_3gpuE0ELNS1_3repE0EEENS1_30default_config_static_selectorELNS0_4arch9wavefront6targetE0EEEvT1_
    .private_segment_fixed_size: 0
    .sgpr_count:     0
    .sgpr_spill_count: 0
    .symbol:         _ZN7rocprim17ROCPRIM_400000_NS6detail17trampoline_kernelINS0_14default_configENS1_25partition_config_selectorILNS1_17partition_subalgoE9EllbEEZZNS1_14partition_implILS5_9ELb0ES3_jPlS8_PNS0_10empty_typeENS0_5tupleIJS8_S9_EEENSB_IJS8_SA_EEENS0_18inequality_wrapperIZN2at6native12_GLOBAL__N_124unique_dim_cuda_templateIdEESt5tupleIJNSF_6TensorESK_SK_EERKSK_lbbbEUlllE0_EEPmJS9_EEE10hipError_tPvRmT3_T4_T5_T6_T7_T9_mT8_P12ihipStream_tbDpT10_ENKUlT_T0_E_clISt17integral_constantIbLb0EES1A_EEDaS15_S16_EUlS15_E_NS1_11comp_targetILNS1_3genE0ELNS1_11target_archE4294967295ELNS1_3gpuE0ELNS1_3repE0EEENS1_30default_config_static_selectorELNS0_4arch9wavefront6targetE0EEEvT1_.kd
    .uniform_work_group_size: 1
    .uses_dynamic_stack: false
    .vgpr_count:     0
    .vgpr_spill_count: 0
    .wavefront_size: 32
    .workgroup_processor_mode: 1
  - .args:
      - .offset:         0
        .size:           120
        .value_kind:     by_value
    .group_segment_fixed_size: 0
    .kernarg_segment_align: 8
    .kernarg_segment_size: 120
    .language:       OpenCL C
    .language_version:
      - 2
      - 0
    .max_flat_workgroup_size: 512
    .name:           _ZN7rocprim17ROCPRIM_400000_NS6detail17trampoline_kernelINS0_14default_configENS1_25partition_config_selectorILNS1_17partition_subalgoE9EllbEEZZNS1_14partition_implILS5_9ELb0ES3_jPlS8_PNS0_10empty_typeENS0_5tupleIJS8_S9_EEENSB_IJS8_SA_EEENS0_18inequality_wrapperIZN2at6native12_GLOBAL__N_124unique_dim_cuda_templateIdEESt5tupleIJNSF_6TensorESK_SK_EERKSK_lbbbEUlllE0_EEPmJS9_EEE10hipError_tPvRmT3_T4_T5_T6_T7_T9_mT8_P12ihipStream_tbDpT10_ENKUlT_T0_E_clISt17integral_constantIbLb0EES1A_EEDaS15_S16_EUlS15_E_NS1_11comp_targetILNS1_3genE5ELNS1_11target_archE942ELNS1_3gpuE9ELNS1_3repE0EEENS1_30default_config_static_selectorELNS0_4arch9wavefront6targetE0EEEvT1_
    .private_segment_fixed_size: 0
    .sgpr_count:     0
    .sgpr_spill_count: 0
    .symbol:         _ZN7rocprim17ROCPRIM_400000_NS6detail17trampoline_kernelINS0_14default_configENS1_25partition_config_selectorILNS1_17partition_subalgoE9EllbEEZZNS1_14partition_implILS5_9ELb0ES3_jPlS8_PNS0_10empty_typeENS0_5tupleIJS8_S9_EEENSB_IJS8_SA_EEENS0_18inequality_wrapperIZN2at6native12_GLOBAL__N_124unique_dim_cuda_templateIdEESt5tupleIJNSF_6TensorESK_SK_EERKSK_lbbbEUlllE0_EEPmJS9_EEE10hipError_tPvRmT3_T4_T5_T6_T7_T9_mT8_P12ihipStream_tbDpT10_ENKUlT_T0_E_clISt17integral_constantIbLb0EES1A_EEDaS15_S16_EUlS15_E_NS1_11comp_targetILNS1_3genE5ELNS1_11target_archE942ELNS1_3gpuE9ELNS1_3repE0EEENS1_30default_config_static_selectorELNS0_4arch9wavefront6targetE0EEEvT1_.kd
    .uniform_work_group_size: 1
    .uses_dynamic_stack: false
    .vgpr_count:     0
    .vgpr_spill_count: 0
    .wavefront_size: 32
    .workgroup_processor_mode: 1
  - .args:
      - .offset:         0
        .size:           120
        .value_kind:     by_value
    .group_segment_fixed_size: 0
    .kernarg_segment_align: 8
    .kernarg_segment_size: 120
    .language:       OpenCL C
    .language_version:
      - 2
      - 0
    .max_flat_workgroup_size: 128
    .name:           _ZN7rocprim17ROCPRIM_400000_NS6detail17trampoline_kernelINS0_14default_configENS1_25partition_config_selectorILNS1_17partition_subalgoE9EllbEEZZNS1_14partition_implILS5_9ELb0ES3_jPlS8_PNS0_10empty_typeENS0_5tupleIJS8_S9_EEENSB_IJS8_SA_EEENS0_18inequality_wrapperIZN2at6native12_GLOBAL__N_124unique_dim_cuda_templateIdEESt5tupleIJNSF_6TensorESK_SK_EERKSK_lbbbEUlllE0_EEPmJS9_EEE10hipError_tPvRmT3_T4_T5_T6_T7_T9_mT8_P12ihipStream_tbDpT10_ENKUlT_T0_E_clISt17integral_constantIbLb0EES1A_EEDaS15_S16_EUlS15_E_NS1_11comp_targetILNS1_3genE4ELNS1_11target_archE910ELNS1_3gpuE8ELNS1_3repE0EEENS1_30default_config_static_selectorELNS0_4arch9wavefront6targetE0EEEvT1_
    .private_segment_fixed_size: 0
    .sgpr_count:     0
    .sgpr_spill_count: 0
    .symbol:         _ZN7rocprim17ROCPRIM_400000_NS6detail17trampoline_kernelINS0_14default_configENS1_25partition_config_selectorILNS1_17partition_subalgoE9EllbEEZZNS1_14partition_implILS5_9ELb0ES3_jPlS8_PNS0_10empty_typeENS0_5tupleIJS8_S9_EEENSB_IJS8_SA_EEENS0_18inequality_wrapperIZN2at6native12_GLOBAL__N_124unique_dim_cuda_templateIdEESt5tupleIJNSF_6TensorESK_SK_EERKSK_lbbbEUlllE0_EEPmJS9_EEE10hipError_tPvRmT3_T4_T5_T6_T7_T9_mT8_P12ihipStream_tbDpT10_ENKUlT_T0_E_clISt17integral_constantIbLb0EES1A_EEDaS15_S16_EUlS15_E_NS1_11comp_targetILNS1_3genE4ELNS1_11target_archE910ELNS1_3gpuE8ELNS1_3repE0EEENS1_30default_config_static_selectorELNS0_4arch9wavefront6targetE0EEEvT1_.kd
    .uniform_work_group_size: 1
    .uses_dynamic_stack: false
    .vgpr_count:     0
    .vgpr_spill_count: 0
    .wavefront_size: 32
    .workgroup_processor_mode: 1
  - .args:
      - .offset:         0
        .size:           120
        .value_kind:     by_value
    .group_segment_fixed_size: 0
    .kernarg_segment_align: 8
    .kernarg_segment_size: 120
    .language:       OpenCL C
    .language_version:
      - 2
      - 0
    .max_flat_workgroup_size: 128
    .name:           _ZN7rocprim17ROCPRIM_400000_NS6detail17trampoline_kernelINS0_14default_configENS1_25partition_config_selectorILNS1_17partition_subalgoE9EllbEEZZNS1_14partition_implILS5_9ELb0ES3_jPlS8_PNS0_10empty_typeENS0_5tupleIJS8_S9_EEENSB_IJS8_SA_EEENS0_18inequality_wrapperIZN2at6native12_GLOBAL__N_124unique_dim_cuda_templateIdEESt5tupleIJNSF_6TensorESK_SK_EERKSK_lbbbEUlllE0_EEPmJS9_EEE10hipError_tPvRmT3_T4_T5_T6_T7_T9_mT8_P12ihipStream_tbDpT10_ENKUlT_T0_E_clISt17integral_constantIbLb0EES1A_EEDaS15_S16_EUlS15_E_NS1_11comp_targetILNS1_3genE3ELNS1_11target_archE908ELNS1_3gpuE7ELNS1_3repE0EEENS1_30default_config_static_selectorELNS0_4arch9wavefront6targetE0EEEvT1_
    .private_segment_fixed_size: 0
    .sgpr_count:     0
    .sgpr_spill_count: 0
    .symbol:         _ZN7rocprim17ROCPRIM_400000_NS6detail17trampoline_kernelINS0_14default_configENS1_25partition_config_selectorILNS1_17partition_subalgoE9EllbEEZZNS1_14partition_implILS5_9ELb0ES3_jPlS8_PNS0_10empty_typeENS0_5tupleIJS8_S9_EEENSB_IJS8_SA_EEENS0_18inequality_wrapperIZN2at6native12_GLOBAL__N_124unique_dim_cuda_templateIdEESt5tupleIJNSF_6TensorESK_SK_EERKSK_lbbbEUlllE0_EEPmJS9_EEE10hipError_tPvRmT3_T4_T5_T6_T7_T9_mT8_P12ihipStream_tbDpT10_ENKUlT_T0_E_clISt17integral_constantIbLb0EES1A_EEDaS15_S16_EUlS15_E_NS1_11comp_targetILNS1_3genE3ELNS1_11target_archE908ELNS1_3gpuE7ELNS1_3repE0EEENS1_30default_config_static_selectorELNS0_4arch9wavefront6targetE0EEEvT1_.kd
    .uniform_work_group_size: 1
    .uses_dynamic_stack: false
    .vgpr_count:     0
    .vgpr_spill_count: 0
    .wavefront_size: 32
    .workgroup_processor_mode: 1
  - .args:
      - .offset:         0
        .size:           120
        .value_kind:     by_value
    .group_segment_fixed_size: 0
    .kernarg_segment_align: 8
    .kernarg_segment_size: 120
    .language:       OpenCL C
    .language_version:
      - 2
      - 0
    .max_flat_workgroup_size: 192
    .name:           _ZN7rocprim17ROCPRIM_400000_NS6detail17trampoline_kernelINS0_14default_configENS1_25partition_config_selectorILNS1_17partition_subalgoE9EllbEEZZNS1_14partition_implILS5_9ELb0ES3_jPlS8_PNS0_10empty_typeENS0_5tupleIJS8_S9_EEENSB_IJS8_SA_EEENS0_18inequality_wrapperIZN2at6native12_GLOBAL__N_124unique_dim_cuda_templateIdEESt5tupleIJNSF_6TensorESK_SK_EERKSK_lbbbEUlllE0_EEPmJS9_EEE10hipError_tPvRmT3_T4_T5_T6_T7_T9_mT8_P12ihipStream_tbDpT10_ENKUlT_T0_E_clISt17integral_constantIbLb0EES1A_EEDaS15_S16_EUlS15_E_NS1_11comp_targetILNS1_3genE2ELNS1_11target_archE906ELNS1_3gpuE6ELNS1_3repE0EEENS1_30default_config_static_selectorELNS0_4arch9wavefront6targetE0EEEvT1_
    .private_segment_fixed_size: 0
    .sgpr_count:     0
    .sgpr_spill_count: 0
    .symbol:         _ZN7rocprim17ROCPRIM_400000_NS6detail17trampoline_kernelINS0_14default_configENS1_25partition_config_selectorILNS1_17partition_subalgoE9EllbEEZZNS1_14partition_implILS5_9ELb0ES3_jPlS8_PNS0_10empty_typeENS0_5tupleIJS8_S9_EEENSB_IJS8_SA_EEENS0_18inequality_wrapperIZN2at6native12_GLOBAL__N_124unique_dim_cuda_templateIdEESt5tupleIJNSF_6TensorESK_SK_EERKSK_lbbbEUlllE0_EEPmJS9_EEE10hipError_tPvRmT3_T4_T5_T6_T7_T9_mT8_P12ihipStream_tbDpT10_ENKUlT_T0_E_clISt17integral_constantIbLb0EES1A_EEDaS15_S16_EUlS15_E_NS1_11comp_targetILNS1_3genE2ELNS1_11target_archE906ELNS1_3gpuE6ELNS1_3repE0EEENS1_30default_config_static_selectorELNS0_4arch9wavefront6targetE0EEEvT1_.kd
    .uniform_work_group_size: 1
    .uses_dynamic_stack: false
    .vgpr_count:     0
    .vgpr_spill_count: 0
    .wavefront_size: 32
    .workgroup_processor_mode: 1
  - .args:
      - .offset:         0
        .size:           120
        .value_kind:     by_value
    .group_segment_fixed_size: 0
    .kernarg_segment_align: 8
    .kernarg_segment_size: 120
    .language:       OpenCL C
    .language_version:
      - 2
      - 0
    .max_flat_workgroup_size: 384
    .name:           _ZN7rocprim17ROCPRIM_400000_NS6detail17trampoline_kernelINS0_14default_configENS1_25partition_config_selectorILNS1_17partition_subalgoE9EllbEEZZNS1_14partition_implILS5_9ELb0ES3_jPlS8_PNS0_10empty_typeENS0_5tupleIJS8_S9_EEENSB_IJS8_SA_EEENS0_18inequality_wrapperIZN2at6native12_GLOBAL__N_124unique_dim_cuda_templateIdEESt5tupleIJNSF_6TensorESK_SK_EERKSK_lbbbEUlllE0_EEPmJS9_EEE10hipError_tPvRmT3_T4_T5_T6_T7_T9_mT8_P12ihipStream_tbDpT10_ENKUlT_T0_E_clISt17integral_constantIbLb0EES1A_EEDaS15_S16_EUlS15_E_NS1_11comp_targetILNS1_3genE10ELNS1_11target_archE1200ELNS1_3gpuE4ELNS1_3repE0EEENS1_30default_config_static_selectorELNS0_4arch9wavefront6targetE0EEEvT1_
    .private_segment_fixed_size: 0
    .sgpr_count:     0
    .sgpr_spill_count: 0
    .symbol:         _ZN7rocprim17ROCPRIM_400000_NS6detail17trampoline_kernelINS0_14default_configENS1_25partition_config_selectorILNS1_17partition_subalgoE9EllbEEZZNS1_14partition_implILS5_9ELb0ES3_jPlS8_PNS0_10empty_typeENS0_5tupleIJS8_S9_EEENSB_IJS8_SA_EEENS0_18inequality_wrapperIZN2at6native12_GLOBAL__N_124unique_dim_cuda_templateIdEESt5tupleIJNSF_6TensorESK_SK_EERKSK_lbbbEUlllE0_EEPmJS9_EEE10hipError_tPvRmT3_T4_T5_T6_T7_T9_mT8_P12ihipStream_tbDpT10_ENKUlT_T0_E_clISt17integral_constantIbLb0EES1A_EEDaS15_S16_EUlS15_E_NS1_11comp_targetILNS1_3genE10ELNS1_11target_archE1200ELNS1_3gpuE4ELNS1_3repE0EEENS1_30default_config_static_selectorELNS0_4arch9wavefront6targetE0EEEvT1_.kd
    .uniform_work_group_size: 1
    .uses_dynamic_stack: false
    .vgpr_count:     0
    .vgpr_spill_count: 0
    .wavefront_size: 32
    .workgroup_processor_mode: 1
  - .args:
      - .offset:         0
        .size:           120
        .value_kind:     by_value
    .group_segment_fixed_size: 33804
    .kernarg_segment_align: 8
    .kernarg_segment_size: 120
    .language:       OpenCL C
    .language_version:
      - 2
      - 0
    .max_flat_workgroup_size: 512
    .name:           _ZN7rocprim17ROCPRIM_400000_NS6detail17trampoline_kernelINS0_14default_configENS1_25partition_config_selectorILNS1_17partition_subalgoE9EllbEEZZNS1_14partition_implILS5_9ELb0ES3_jPlS8_PNS0_10empty_typeENS0_5tupleIJS8_S9_EEENSB_IJS8_SA_EEENS0_18inequality_wrapperIZN2at6native12_GLOBAL__N_124unique_dim_cuda_templateIdEESt5tupleIJNSF_6TensorESK_SK_EERKSK_lbbbEUlllE0_EEPmJS9_EEE10hipError_tPvRmT3_T4_T5_T6_T7_T9_mT8_P12ihipStream_tbDpT10_ENKUlT_T0_E_clISt17integral_constantIbLb0EES1A_EEDaS15_S16_EUlS15_E_NS1_11comp_targetILNS1_3genE9ELNS1_11target_archE1100ELNS1_3gpuE3ELNS1_3repE0EEENS1_30default_config_static_selectorELNS0_4arch9wavefront6targetE0EEEvT1_
    .private_segment_fixed_size: 0
    .sgpr_count:     38
    .sgpr_spill_count: 0
    .symbol:         _ZN7rocprim17ROCPRIM_400000_NS6detail17trampoline_kernelINS0_14default_configENS1_25partition_config_selectorILNS1_17partition_subalgoE9EllbEEZZNS1_14partition_implILS5_9ELb0ES3_jPlS8_PNS0_10empty_typeENS0_5tupleIJS8_S9_EEENSB_IJS8_SA_EEENS0_18inequality_wrapperIZN2at6native12_GLOBAL__N_124unique_dim_cuda_templateIdEESt5tupleIJNSF_6TensorESK_SK_EERKSK_lbbbEUlllE0_EEPmJS9_EEE10hipError_tPvRmT3_T4_T5_T6_T7_T9_mT8_P12ihipStream_tbDpT10_ENKUlT_T0_E_clISt17integral_constantIbLb0EES1A_EEDaS15_S16_EUlS15_E_NS1_11comp_targetILNS1_3genE9ELNS1_11target_archE1100ELNS1_3gpuE3ELNS1_3repE0EEENS1_30default_config_static_selectorELNS0_4arch9wavefront6targetE0EEEvT1_.kd
    .uniform_work_group_size: 1
    .uses_dynamic_stack: false
    .vgpr_count:     68
    .vgpr_spill_count: 0
    .wavefront_size: 32
    .workgroup_processor_mode: 1
  - .args:
      - .offset:         0
        .size:           120
        .value_kind:     by_value
    .group_segment_fixed_size: 0
    .kernarg_segment_align: 8
    .kernarg_segment_size: 120
    .language:       OpenCL C
    .language_version:
      - 2
      - 0
    .max_flat_workgroup_size: 512
    .name:           _ZN7rocprim17ROCPRIM_400000_NS6detail17trampoline_kernelINS0_14default_configENS1_25partition_config_selectorILNS1_17partition_subalgoE9EllbEEZZNS1_14partition_implILS5_9ELb0ES3_jPlS8_PNS0_10empty_typeENS0_5tupleIJS8_S9_EEENSB_IJS8_SA_EEENS0_18inequality_wrapperIZN2at6native12_GLOBAL__N_124unique_dim_cuda_templateIdEESt5tupleIJNSF_6TensorESK_SK_EERKSK_lbbbEUlllE0_EEPmJS9_EEE10hipError_tPvRmT3_T4_T5_T6_T7_T9_mT8_P12ihipStream_tbDpT10_ENKUlT_T0_E_clISt17integral_constantIbLb0EES1A_EEDaS15_S16_EUlS15_E_NS1_11comp_targetILNS1_3genE8ELNS1_11target_archE1030ELNS1_3gpuE2ELNS1_3repE0EEENS1_30default_config_static_selectorELNS0_4arch9wavefront6targetE0EEEvT1_
    .private_segment_fixed_size: 0
    .sgpr_count:     0
    .sgpr_spill_count: 0
    .symbol:         _ZN7rocprim17ROCPRIM_400000_NS6detail17trampoline_kernelINS0_14default_configENS1_25partition_config_selectorILNS1_17partition_subalgoE9EllbEEZZNS1_14partition_implILS5_9ELb0ES3_jPlS8_PNS0_10empty_typeENS0_5tupleIJS8_S9_EEENSB_IJS8_SA_EEENS0_18inequality_wrapperIZN2at6native12_GLOBAL__N_124unique_dim_cuda_templateIdEESt5tupleIJNSF_6TensorESK_SK_EERKSK_lbbbEUlllE0_EEPmJS9_EEE10hipError_tPvRmT3_T4_T5_T6_T7_T9_mT8_P12ihipStream_tbDpT10_ENKUlT_T0_E_clISt17integral_constantIbLb0EES1A_EEDaS15_S16_EUlS15_E_NS1_11comp_targetILNS1_3genE8ELNS1_11target_archE1030ELNS1_3gpuE2ELNS1_3repE0EEENS1_30default_config_static_selectorELNS0_4arch9wavefront6targetE0EEEvT1_.kd
    .uniform_work_group_size: 1
    .uses_dynamic_stack: false
    .vgpr_count:     0
    .vgpr_spill_count: 0
    .wavefront_size: 32
    .workgroup_processor_mode: 1
  - .args:
      - .offset:         0
        .size:           136
        .value_kind:     by_value
    .group_segment_fixed_size: 0
    .kernarg_segment_align: 8
    .kernarg_segment_size: 136
    .language:       OpenCL C
    .language_version:
      - 2
      - 0
    .max_flat_workgroup_size: 128
    .name:           _ZN7rocprim17ROCPRIM_400000_NS6detail17trampoline_kernelINS0_14default_configENS1_25partition_config_selectorILNS1_17partition_subalgoE9EllbEEZZNS1_14partition_implILS5_9ELb0ES3_jPlS8_PNS0_10empty_typeENS0_5tupleIJS8_S9_EEENSB_IJS8_SA_EEENS0_18inequality_wrapperIZN2at6native12_GLOBAL__N_124unique_dim_cuda_templateIdEESt5tupleIJNSF_6TensorESK_SK_EERKSK_lbbbEUlllE0_EEPmJS9_EEE10hipError_tPvRmT3_T4_T5_T6_T7_T9_mT8_P12ihipStream_tbDpT10_ENKUlT_T0_E_clISt17integral_constantIbLb1EES1A_EEDaS15_S16_EUlS15_E_NS1_11comp_targetILNS1_3genE0ELNS1_11target_archE4294967295ELNS1_3gpuE0ELNS1_3repE0EEENS1_30default_config_static_selectorELNS0_4arch9wavefront6targetE0EEEvT1_
    .private_segment_fixed_size: 0
    .sgpr_count:     0
    .sgpr_spill_count: 0
    .symbol:         _ZN7rocprim17ROCPRIM_400000_NS6detail17trampoline_kernelINS0_14default_configENS1_25partition_config_selectorILNS1_17partition_subalgoE9EllbEEZZNS1_14partition_implILS5_9ELb0ES3_jPlS8_PNS0_10empty_typeENS0_5tupleIJS8_S9_EEENSB_IJS8_SA_EEENS0_18inequality_wrapperIZN2at6native12_GLOBAL__N_124unique_dim_cuda_templateIdEESt5tupleIJNSF_6TensorESK_SK_EERKSK_lbbbEUlllE0_EEPmJS9_EEE10hipError_tPvRmT3_T4_T5_T6_T7_T9_mT8_P12ihipStream_tbDpT10_ENKUlT_T0_E_clISt17integral_constantIbLb1EES1A_EEDaS15_S16_EUlS15_E_NS1_11comp_targetILNS1_3genE0ELNS1_11target_archE4294967295ELNS1_3gpuE0ELNS1_3repE0EEENS1_30default_config_static_selectorELNS0_4arch9wavefront6targetE0EEEvT1_.kd
    .uniform_work_group_size: 1
    .uses_dynamic_stack: false
    .vgpr_count:     0
    .vgpr_spill_count: 0
    .wavefront_size: 32
    .workgroup_processor_mode: 1
  - .args:
      - .offset:         0
        .size:           136
        .value_kind:     by_value
    .group_segment_fixed_size: 0
    .kernarg_segment_align: 8
    .kernarg_segment_size: 136
    .language:       OpenCL C
    .language_version:
      - 2
      - 0
    .max_flat_workgroup_size: 512
    .name:           _ZN7rocprim17ROCPRIM_400000_NS6detail17trampoline_kernelINS0_14default_configENS1_25partition_config_selectorILNS1_17partition_subalgoE9EllbEEZZNS1_14partition_implILS5_9ELb0ES3_jPlS8_PNS0_10empty_typeENS0_5tupleIJS8_S9_EEENSB_IJS8_SA_EEENS0_18inequality_wrapperIZN2at6native12_GLOBAL__N_124unique_dim_cuda_templateIdEESt5tupleIJNSF_6TensorESK_SK_EERKSK_lbbbEUlllE0_EEPmJS9_EEE10hipError_tPvRmT3_T4_T5_T6_T7_T9_mT8_P12ihipStream_tbDpT10_ENKUlT_T0_E_clISt17integral_constantIbLb1EES1A_EEDaS15_S16_EUlS15_E_NS1_11comp_targetILNS1_3genE5ELNS1_11target_archE942ELNS1_3gpuE9ELNS1_3repE0EEENS1_30default_config_static_selectorELNS0_4arch9wavefront6targetE0EEEvT1_
    .private_segment_fixed_size: 0
    .sgpr_count:     0
    .sgpr_spill_count: 0
    .symbol:         _ZN7rocprim17ROCPRIM_400000_NS6detail17trampoline_kernelINS0_14default_configENS1_25partition_config_selectorILNS1_17partition_subalgoE9EllbEEZZNS1_14partition_implILS5_9ELb0ES3_jPlS8_PNS0_10empty_typeENS0_5tupleIJS8_S9_EEENSB_IJS8_SA_EEENS0_18inequality_wrapperIZN2at6native12_GLOBAL__N_124unique_dim_cuda_templateIdEESt5tupleIJNSF_6TensorESK_SK_EERKSK_lbbbEUlllE0_EEPmJS9_EEE10hipError_tPvRmT3_T4_T5_T6_T7_T9_mT8_P12ihipStream_tbDpT10_ENKUlT_T0_E_clISt17integral_constantIbLb1EES1A_EEDaS15_S16_EUlS15_E_NS1_11comp_targetILNS1_3genE5ELNS1_11target_archE942ELNS1_3gpuE9ELNS1_3repE0EEENS1_30default_config_static_selectorELNS0_4arch9wavefront6targetE0EEEvT1_.kd
    .uniform_work_group_size: 1
    .uses_dynamic_stack: false
    .vgpr_count:     0
    .vgpr_spill_count: 0
    .wavefront_size: 32
    .workgroup_processor_mode: 1
  - .args:
      - .offset:         0
        .size:           136
        .value_kind:     by_value
    .group_segment_fixed_size: 0
    .kernarg_segment_align: 8
    .kernarg_segment_size: 136
    .language:       OpenCL C
    .language_version:
      - 2
      - 0
    .max_flat_workgroup_size: 128
    .name:           _ZN7rocprim17ROCPRIM_400000_NS6detail17trampoline_kernelINS0_14default_configENS1_25partition_config_selectorILNS1_17partition_subalgoE9EllbEEZZNS1_14partition_implILS5_9ELb0ES3_jPlS8_PNS0_10empty_typeENS0_5tupleIJS8_S9_EEENSB_IJS8_SA_EEENS0_18inequality_wrapperIZN2at6native12_GLOBAL__N_124unique_dim_cuda_templateIdEESt5tupleIJNSF_6TensorESK_SK_EERKSK_lbbbEUlllE0_EEPmJS9_EEE10hipError_tPvRmT3_T4_T5_T6_T7_T9_mT8_P12ihipStream_tbDpT10_ENKUlT_T0_E_clISt17integral_constantIbLb1EES1A_EEDaS15_S16_EUlS15_E_NS1_11comp_targetILNS1_3genE4ELNS1_11target_archE910ELNS1_3gpuE8ELNS1_3repE0EEENS1_30default_config_static_selectorELNS0_4arch9wavefront6targetE0EEEvT1_
    .private_segment_fixed_size: 0
    .sgpr_count:     0
    .sgpr_spill_count: 0
    .symbol:         _ZN7rocprim17ROCPRIM_400000_NS6detail17trampoline_kernelINS0_14default_configENS1_25partition_config_selectorILNS1_17partition_subalgoE9EllbEEZZNS1_14partition_implILS5_9ELb0ES3_jPlS8_PNS0_10empty_typeENS0_5tupleIJS8_S9_EEENSB_IJS8_SA_EEENS0_18inequality_wrapperIZN2at6native12_GLOBAL__N_124unique_dim_cuda_templateIdEESt5tupleIJNSF_6TensorESK_SK_EERKSK_lbbbEUlllE0_EEPmJS9_EEE10hipError_tPvRmT3_T4_T5_T6_T7_T9_mT8_P12ihipStream_tbDpT10_ENKUlT_T0_E_clISt17integral_constantIbLb1EES1A_EEDaS15_S16_EUlS15_E_NS1_11comp_targetILNS1_3genE4ELNS1_11target_archE910ELNS1_3gpuE8ELNS1_3repE0EEENS1_30default_config_static_selectorELNS0_4arch9wavefront6targetE0EEEvT1_.kd
    .uniform_work_group_size: 1
    .uses_dynamic_stack: false
    .vgpr_count:     0
    .vgpr_spill_count: 0
    .wavefront_size: 32
    .workgroup_processor_mode: 1
  - .args:
      - .offset:         0
        .size:           136
        .value_kind:     by_value
    .group_segment_fixed_size: 0
    .kernarg_segment_align: 8
    .kernarg_segment_size: 136
    .language:       OpenCL C
    .language_version:
      - 2
      - 0
    .max_flat_workgroup_size: 128
    .name:           _ZN7rocprim17ROCPRIM_400000_NS6detail17trampoline_kernelINS0_14default_configENS1_25partition_config_selectorILNS1_17partition_subalgoE9EllbEEZZNS1_14partition_implILS5_9ELb0ES3_jPlS8_PNS0_10empty_typeENS0_5tupleIJS8_S9_EEENSB_IJS8_SA_EEENS0_18inequality_wrapperIZN2at6native12_GLOBAL__N_124unique_dim_cuda_templateIdEESt5tupleIJNSF_6TensorESK_SK_EERKSK_lbbbEUlllE0_EEPmJS9_EEE10hipError_tPvRmT3_T4_T5_T6_T7_T9_mT8_P12ihipStream_tbDpT10_ENKUlT_T0_E_clISt17integral_constantIbLb1EES1A_EEDaS15_S16_EUlS15_E_NS1_11comp_targetILNS1_3genE3ELNS1_11target_archE908ELNS1_3gpuE7ELNS1_3repE0EEENS1_30default_config_static_selectorELNS0_4arch9wavefront6targetE0EEEvT1_
    .private_segment_fixed_size: 0
    .sgpr_count:     0
    .sgpr_spill_count: 0
    .symbol:         _ZN7rocprim17ROCPRIM_400000_NS6detail17trampoline_kernelINS0_14default_configENS1_25partition_config_selectorILNS1_17partition_subalgoE9EllbEEZZNS1_14partition_implILS5_9ELb0ES3_jPlS8_PNS0_10empty_typeENS0_5tupleIJS8_S9_EEENSB_IJS8_SA_EEENS0_18inequality_wrapperIZN2at6native12_GLOBAL__N_124unique_dim_cuda_templateIdEESt5tupleIJNSF_6TensorESK_SK_EERKSK_lbbbEUlllE0_EEPmJS9_EEE10hipError_tPvRmT3_T4_T5_T6_T7_T9_mT8_P12ihipStream_tbDpT10_ENKUlT_T0_E_clISt17integral_constantIbLb1EES1A_EEDaS15_S16_EUlS15_E_NS1_11comp_targetILNS1_3genE3ELNS1_11target_archE908ELNS1_3gpuE7ELNS1_3repE0EEENS1_30default_config_static_selectorELNS0_4arch9wavefront6targetE0EEEvT1_.kd
    .uniform_work_group_size: 1
    .uses_dynamic_stack: false
    .vgpr_count:     0
    .vgpr_spill_count: 0
    .wavefront_size: 32
    .workgroup_processor_mode: 1
  - .args:
      - .offset:         0
        .size:           136
        .value_kind:     by_value
    .group_segment_fixed_size: 0
    .kernarg_segment_align: 8
    .kernarg_segment_size: 136
    .language:       OpenCL C
    .language_version:
      - 2
      - 0
    .max_flat_workgroup_size: 192
    .name:           _ZN7rocprim17ROCPRIM_400000_NS6detail17trampoline_kernelINS0_14default_configENS1_25partition_config_selectorILNS1_17partition_subalgoE9EllbEEZZNS1_14partition_implILS5_9ELb0ES3_jPlS8_PNS0_10empty_typeENS0_5tupleIJS8_S9_EEENSB_IJS8_SA_EEENS0_18inequality_wrapperIZN2at6native12_GLOBAL__N_124unique_dim_cuda_templateIdEESt5tupleIJNSF_6TensorESK_SK_EERKSK_lbbbEUlllE0_EEPmJS9_EEE10hipError_tPvRmT3_T4_T5_T6_T7_T9_mT8_P12ihipStream_tbDpT10_ENKUlT_T0_E_clISt17integral_constantIbLb1EES1A_EEDaS15_S16_EUlS15_E_NS1_11comp_targetILNS1_3genE2ELNS1_11target_archE906ELNS1_3gpuE6ELNS1_3repE0EEENS1_30default_config_static_selectorELNS0_4arch9wavefront6targetE0EEEvT1_
    .private_segment_fixed_size: 0
    .sgpr_count:     0
    .sgpr_spill_count: 0
    .symbol:         _ZN7rocprim17ROCPRIM_400000_NS6detail17trampoline_kernelINS0_14default_configENS1_25partition_config_selectorILNS1_17partition_subalgoE9EllbEEZZNS1_14partition_implILS5_9ELb0ES3_jPlS8_PNS0_10empty_typeENS0_5tupleIJS8_S9_EEENSB_IJS8_SA_EEENS0_18inequality_wrapperIZN2at6native12_GLOBAL__N_124unique_dim_cuda_templateIdEESt5tupleIJNSF_6TensorESK_SK_EERKSK_lbbbEUlllE0_EEPmJS9_EEE10hipError_tPvRmT3_T4_T5_T6_T7_T9_mT8_P12ihipStream_tbDpT10_ENKUlT_T0_E_clISt17integral_constantIbLb1EES1A_EEDaS15_S16_EUlS15_E_NS1_11comp_targetILNS1_3genE2ELNS1_11target_archE906ELNS1_3gpuE6ELNS1_3repE0EEENS1_30default_config_static_selectorELNS0_4arch9wavefront6targetE0EEEvT1_.kd
    .uniform_work_group_size: 1
    .uses_dynamic_stack: false
    .vgpr_count:     0
    .vgpr_spill_count: 0
    .wavefront_size: 32
    .workgroup_processor_mode: 1
  - .args:
      - .offset:         0
        .size:           136
        .value_kind:     by_value
    .group_segment_fixed_size: 0
    .kernarg_segment_align: 8
    .kernarg_segment_size: 136
    .language:       OpenCL C
    .language_version:
      - 2
      - 0
    .max_flat_workgroup_size: 384
    .name:           _ZN7rocprim17ROCPRIM_400000_NS6detail17trampoline_kernelINS0_14default_configENS1_25partition_config_selectorILNS1_17partition_subalgoE9EllbEEZZNS1_14partition_implILS5_9ELb0ES3_jPlS8_PNS0_10empty_typeENS0_5tupleIJS8_S9_EEENSB_IJS8_SA_EEENS0_18inequality_wrapperIZN2at6native12_GLOBAL__N_124unique_dim_cuda_templateIdEESt5tupleIJNSF_6TensorESK_SK_EERKSK_lbbbEUlllE0_EEPmJS9_EEE10hipError_tPvRmT3_T4_T5_T6_T7_T9_mT8_P12ihipStream_tbDpT10_ENKUlT_T0_E_clISt17integral_constantIbLb1EES1A_EEDaS15_S16_EUlS15_E_NS1_11comp_targetILNS1_3genE10ELNS1_11target_archE1200ELNS1_3gpuE4ELNS1_3repE0EEENS1_30default_config_static_selectorELNS0_4arch9wavefront6targetE0EEEvT1_
    .private_segment_fixed_size: 0
    .sgpr_count:     0
    .sgpr_spill_count: 0
    .symbol:         _ZN7rocprim17ROCPRIM_400000_NS6detail17trampoline_kernelINS0_14default_configENS1_25partition_config_selectorILNS1_17partition_subalgoE9EllbEEZZNS1_14partition_implILS5_9ELb0ES3_jPlS8_PNS0_10empty_typeENS0_5tupleIJS8_S9_EEENSB_IJS8_SA_EEENS0_18inequality_wrapperIZN2at6native12_GLOBAL__N_124unique_dim_cuda_templateIdEESt5tupleIJNSF_6TensorESK_SK_EERKSK_lbbbEUlllE0_EEPmJS9_EEE10hipError_tPvRmT3_T4_T5_T6_T7_T9_mT8_P12ihipStream_tbDpT10_ENKUlT_T0_E_clISt17integral_constantIbLb1EES1A_EEDaS15_S16_EUlS15_E_NS1_11comp_targetILNS1_3genE10ELNS1_11target_archE1200ELNS1_3gpuE4ELNS1_3repE0EEENS1_30default_config_static_selectorELNS0_4arch9wavefront6targetE0EEEvT1_.kd
    .uniform_work_group_size: 1
    .uses_dynamic_stack: false
    .vgpr_count:     0
    .vgpr_spill_count: 0
    .wavefront_size: 32
    .workgroup_processor_mode: 1
  - .args:
      - .offset:         0
        .size:           136
        .value_kind:     by_value
    .group_segment_fixed_size: 33804
    .kernarg_segment_align: 8
    .kernarg_segment_size: 136
    .language:       OpenCL C
    .language_version:
      - 2
      - 0
    .max_flat_workgroup_size: 512
    .name:           _ZN7rocprim17ROCPRIM_400000_NS6detail17trampoline_kernelINS0_14default_configENS1_25partition_config_selectorILNS1_17partition_subalgoE9EllbEEZZNS1_14partition_implILS5_9ELb0ES3_jPlS8_PNS0_10empty_typeENS0_5tupleIJS8_S9_EEENSB_IJS8_SA_EEENS0_18inequality_wrapperIZN2at6native12_GLOBAL__N_124unique_dim_cuda_templateIdEESt5tupleIJNSF_6TensorESK_SK_EERKSK_lbbbEUlllE0_EEPmJS9_EEE10hipError_tPvRmT3_T4_T5_T6_T7_T9_mT8_P12ihipStream_tbDpT10_ENKUlT_T0_E_clISt17integral_constantIbLb1EES1A_EEDaS15_S16_EUlS15_E_NS1_11comp_targetILNS1_3genE9ELNS1_11target_archE1100ELNS1_3gpuE3ELNS1_3repE0EEENS1_30default_config_static_selectorELNS0_4arch9wavefront6targetE0EEEvT1_
    .private_segment_fixed_size: 0
    .sgpr_count:     42
    .sgpr_spill_count: 0
    .symbol:         _ZN7rocprim17ROCPRIM_400000_NS6detail17trampoline_kernelINS0_14default_configENS1_25partition_config_selectorILNS1_17partition_subalgoE9EllbEEZZNS1_14partition_implILS5_9ELb0ES3_jPlS8_PNS0_10empty_typeENS0_5tupleIJS8_S9_EEENSB_IJS8_SA_EEENS0_18inequality_wrapperIZN2at6native12_GLOBAL__N_124unique_dim_cuda_templateIdEESt5tupleIJNSF_6TensorESK_SK_EERKSK_lbbbEUlllE0_EEPmJS9_EEE10hipError_tPvRmT3_T4_T5_T6_T7_T9_mT8_P12ihipStream_tbDpT10_ENKUlT_T0_E_clISt17integral_constantIbLb1EES1A_EEDaS15_S16_EUlS15_E_NS1_11comp_targetILNS1_3genE9ELNS1_11target_archE1100ELNS1_3gpuE3ELNS1_3repE0EEENS1_30default_config_static_selectorELNS0_4arch9wavefront6targetE0EEEvT1_.kd
    .uniform_work_group_size: 1
    .uses_dynamic_stack: false
    .vgpr_count:     68
    .vgpr_spill_count: 0
    .wavefront_size: 32
    .workgroup_processor_mode: 1
  - .args:
      - .offset:         0
        .size:           136
        .value_kind:     by_value
    .group_segment_fixed_size: 0
    .kernarg_segment_align: 8
    .kernarg_segment_size: 136
    .language:       OpenCL C
    .language_version:
      - 2
      - 0
    .max_flat_workgroup_size: 512
    .name:           _ZN7rocprim17ROCPRIM_400000_NS6detail17trampoline_kernelINS0_14default_configENS1_25partition_config_selectorILNS1_17partition_subalgoE9EllbEEZZNS1_14partition_implILS5_9ELb0ES3_jPlS8_PNS0_10empty_typeENS0_5tupleIJS8_S9_EEENSB_IJS8_SA_EEENS0_18inequality_wrapperIZN2at6native12_GLOBAL__N_124unique_dim_cuda_templateIdEESt5tupleIJNSF_6TensorESK_SK_EERKSK_lbbbEUlllE0_EEPmJS9_EEE10hipError_tPvRmT3_T4_T5_T6_T7_T9_mT8_P12ihipStream_tbDpT10_ENKUlT_T0_E_clISt17integral_constantIbLb1EES1A_EEDaS15_S16_EUlS15_E_NS1_11comp_targetILNS1_3genE8ELNS1_11target_archE1030ELNS1_3gpuE2ELNS1_3repE0EEENS1_30default_config_static_selectorELNS0_4arch9wavefront6targetE0EEEvT1_
    .private_segment_fixed_size: 0
    .sgpr_count:     0
    .sgpr_spill_count: 0
    .symbol:         _ZN7rocprim17ROCPRIM_400000_NS6detail17trampoline_kernelINS0_14default_configENS1_25partition_config_selectorILNS1_17partition_subalgoE9EllbEEZZNS1_14partition_implILS5_9ELb0ES3_jPlS8_PNS0_10empty_typeENS0_5tupleIJS8_S9_EEENSB_IJS8_SA_EEENS0_18inequality_wrapperIZN2at6native12_GLOBAL__N_124unique_dim_cuda_templateIdEESt5tupleIJNSF_6TensorESK_SK_EERKSK_lbbbEUlllE0_EEPmJS9_EEE10hipError_tPvRmT3_T4_T5_T6_T7_T9_mT8_P12ihipStream_tbDpT10_ENKUlT_T0_E_clISt17integral_constantIbLb1EES1A_EEDaS15_S16_EUlS15_E_NS1_11comp_targetILNS1_3genE8ELNS1_11target_archE1030ELNS1_3gpuE2ELNS1_3repE0EEENS1_30default_config_static_selectorELNS0_4arch9wavefront6targetE0EEEvT1_.kd
    .uniform_work_group_size: 1
    .uses_dynamic_stack: false
    .vgpr_count:     0
    .vgpr_spill_count: 0
    .wavefront_size: 32
    .workgroup_processor_mode: 1
  - .args:
      - .offset:         0
        .size:           120
        .value_kind:     by_value
    .group_segment_fixed_size: 0
    .kernarg_segment_align: 8
    .kernarg_segment_size: 120
    .language:       OpenCL C
    .language_version:
      - 2
      - 0
    .max_flat_workgroup_size: 128
    .name:           _ZN7rocprim17ROCPRIM_400000_NS6detail17trampoline_kernelINS0_14default_configENS1_25partition_config_selectorILNS1_17partition_subalgoE9EllbEEZZNS1_14partition_implILS5_9ELb0ES3_jPlS8_PNS0_10empty_typeENS0_5tupleIJS8_S9_EEENSB_IJS8_SA_EEENS0_18inequality_wrapperIZN2at6native12_GLOBAL__N_124unique_dim_cuda_templateIdEESt5tupleIJNSF_6TensorESK_SK_EERKSK_lbbbEUlllE0_EEPmJS9_EEE10hipError_tPvRmT3_T4_T5_T6_T7_T9_mT8_P12ihipStream_tbDpT10_ENKUlT_T0_E_clISt17integral_constantIbLb1EES19_IbLb0EEEEDaS15_S16_EUlS15_E_NS1_11comp_targetILNS1_3genE0ELNS1_11target_archE4294967295ELNS1_3gpuE0ELNS1_3repE0EEENS1_30default_config_static_selectorELNS0_4arch9wavefront6targetE0EEEvT1_
    .private_segment_fixed_size: 0
    .sgpr_count:     0
    .sgpr_spill_count: 0
    .symbol:         _ZN7rocprim17ROCPRIM_400000_NS6detail17trampoline_kernelINS0_14default_configENS1_25partition_config_selectorILNS1_17partition_subalgoE9EllbEEZZNS1_14partition_implILS5_9ELb0ES3_jPlS8_PNS0_10empty_typeENS0_5tupleIJS8_S9_EEENSB_IJS8_SA_EEENS0_18inequality_wrapperIZN2at6native12_GLOBAL__N_124unique_dim_cuda_templateIdEESt5tupleIJNSF_6TensorESK_SK_EERKSK_lbbbEUlllE0_EEPmJS9_EEE10hipError_tPvRmT3_T4_T5_T6_T7_T9_mT8_P12ihipStream_tbDpT10_ENKUlT_T0_E_clISt17integral_constantIbLb1EES19_IbLb0EEEEDaS15_S16_EUlS15_E_NS1_11comp_targetILNS1_3genE0ELNS1_11target_archE4294967295ELNS1_3gpuE0ELNS1_3repE0EEENS1_30default_config_static_selectorELNS0_4arch9wavefront6targetE0EEEvT1_.kd
    .uniform_work_group_size: 1
    .uses_dynamic_stack: false
    .vgpr_count:     0
    .vgpr_spill_count: 0
    .wavefront_size: 32
    .workgroup_processor_mode: 1
  - .args:
      - .offset:         0
        .size:           120
        .value_kind:     by_value
    .group_segment_fixed_size: 0
    .kernarg_segment_align: 8
    .kernarg_segment_size: 120
    .language:       OpenCL C
    .language_version:
      - 2
      - 0
    .max_flat_workgroup_size: 512
    .name:           _ZN7rocprim17ROCPRIM_400000_NS6detail17trampoline_kernelINS0_14default_configENS1_25partition_config_selectorILNS1_17partition_subalgoE9EllbEEZZNS1_14partition_implILS5_9ELb0ES3_jPlS8_PNS0_10empty_typeENS0_5tupleIJS8_S9_EEENSB_IJS8_SA_EEENS0_18inequality_wrapperIZN2at6native12_GLOBAL__N_124unique_dim_cuda_templateIdEESt5tupleIJNSF_6TensorESK_SK_EERKSK_lbbbEUlllE0_EEPmJS9_EEE10hipError_tPvRmT3_T4_T5_T6_T7_T9_mT8_P12ihipStream_tbDpT10_ENKUlT_T0_E_clISt17integral_constantIbLb1EES19_IbLb0EEEEDaS15_S16_EUlS15_E_NS1_11comp_targetILNS1_3genE5ELNS1_11target_archE942ELNS1_3gpuE9ELNS1_3repE0EEENS1_30default_config_static_selectorELNS0_4arch9wavefront6targetE0EEEvT1_
    .private_segment_fixed_size: 0
    .sgpr_count:     0
    .sgpr_spill_count: 0
    .symbol:         _ZN7rocprim17ROCPRIM_400000_NS6detail17trampoline_kernelINS0_14default_configENS1_25partition_config_selectorILNS1_17partition_subalgoE9EllbEEZZNS1_14partition_implILS5_9ELb0ES3_jPlS8_PNS0_10empty_typeENS0_5tupleIJS8_S9_EEENSB_IJS8_SA_EEENS0_18inequality_wrapperIZN2at6native12_GLOBAL__N_124unique_dim_cuda_templateIdEESt5tupleIJNSF_6TensorESK_SK_EERKSK_lbbbEUlllE0_EEPmJS9_EEE10hipError_tPvRmT3_T4_T5_T6_T7_T9_mT8_P12ihipStream_tbDpT10_ENKUlT_T0_E_clISt17integral_constantIbLb1EES19_IbLb0EEEEDaS15_S16_EUlS15_E_NS1_11comp_targetILNS1_3genE5ELNS1_11target_archE942ELNS1_3gpuE9ELNS1_3repE0EEENS1_30default_config_static_selectorELNS0_4arch9wavefront6targetE0EEEvT1_.kd
    .uniform_work_group_size: 1
    .uses_dynamic_stack: false
    .vgpr_count:     0
    .vgpr_spill_count: 0
    .wavefront_size: 32
    .workgroup_processor_mode: 1
  - .args:
      - .offset:         0
        .size:           120
        .value_kind:     by_value
    .group_segment_fixed_size: 0
    .kernarg_segment_align: 8
    .kernarg_segment_size: 120
    .language:       OpenCL C
    .language_version:
      - 2
      - 0
    .max_flat_workgroup_size: 128
    .name:           _ZN7rocprim17ROCPRIM_400000_NS6detail17trampoline_kernelINS0_14default_configENS1_25partition_config_selectorILNS1_17partition_subalgoE9EllbEEZZNS1_14partition_implILS5_9ELb0ES3_jPlS8_PNS0_10empty_typeENS0_5tupleIJS8_S9_EEENSB_IJS8_SA_EEENS0_18inequality_wrapperIZN2at6native12_GLOBAL__N_124unique_dim_cuda_templateIdEESt5tupleIJNSF_6TensorESK_SK_EERKSK_lbbbEUlllE0_EEPmJS9_EEE10hipError_tPvRmT3_T4_T5_T6_T7_T9_mT8_P12ihipStream_tbDpT10_ENKUlT_T0_E_clISt17integral_constantIbLb1EES19_IbLb0EEEEDaS15_S16_EUlS15_E_NS1_11comp_targetILNS1_3genE4ELNS1_11target_archE910ELNS1_3gpuE8ELNS1_3repE0EEENS1_30default_config_static_selectorELNS0_4arch9wavefront6targetE0EEEvT1_
    .private_segment_fixed_size: 0
    .sgpr_count:     0
    .sgpr_spill_count: 0
    .symbol:         _ZN7rocprim17ROCPRIM_400000_NS6detail17trampoline_kernelINS0_14default_configENS1_25partition_config_selectorILNS1_17partition_subalgoE9EllbEEZZNS1_14partition_implILS5_9ELb0ES3_jPlS8_PNS0_10empty_typeENS0_5tupleIJS8_S9_EEENSB_IJS8_SA_EEENS0_18inequality_wrapperIZN2at6native12_GLOBAL__N_124unique_dim_cuda_templateIdEESt5tupleIJNSF_6TensorESK_SK_EERKSK_lbbbEUlllE0_EEPmJS9_EEE10hipError_tPvRmT3_T4_T5_T6_T7_T9_mT8_P12ihipStream_tbDpT10_ENKUlT_T0_E_clISt17integral_constantIbLb1EES19_IbLb0EEEEDaS15_S16_EUlS15_E_NS1_11comp_targetILNS1_3genE4ELNS1_11target_archE910ELNS1_3gpuE8ELNS1_3repE0EEENS1_30default_config_static_selectorELNS0_4arch9wavefront6targetE0EEEvT1_.kd
    .uniform_work_group_size: 1
    .uses_dynamic_stack: false
    .vgpr_count:     0
    .vgpr_spill_count: 0
    .wavefront_size: 32
    .workgroup_processor_mode: 1
  - .args:
      - .offset:         0
        .size:           120
        .value_kind:     by_value
    .group_segment_fixed_size: 0
    .kernarg_segment_align: 8
    .kernarg_segment_size: 120
    .language:       OpenCL C
    .language_version:
      - 2
      - 0
    .max_flat_workgroup_size: 128
    .name:           _ZN7rocprim17ROCPRIM_400000_NS6detail17trampoline_kernelINS0_14default_configENS1_25partition_config_selectorILNS1_17partition_subalgoE9EllbEEZZNS1_14partition_implILS5_9ELb0ES3_jPlS8_PNS0_10empty_typeENS0_5tupleIJS8_S9_EEENSB_IJS8_SA_EEENS0_18inequality_wrapperIZN2at6native12_GLOBAL__N_124unique_dim_cuda_templateIdEESt5tupleIJNSF_6TensorESK_SK_EERKSK_lbbbEUlllE0_EEPmJS9_EEE10hipError_tPvRmT3_T4_T5_T6_T7_T9_mT8_P12ihipStream_tbDpT10_ENKUlT_T0_E_clISt17integral_constantIbLb1EES19_IbLb0EEEEDaS15_S16_EUlS15_E_NS1_11comp_targetILNS1_3genE3ELNS1_11target_archE908ELNS1_3gpuE7ELNS1_3repE0EEENS1_30default_config_static_selectorELNS0_4arch9wavefront6targetE0EEEvT1_
    .private_segment_fixed_size: 0
    .sgpr_count:     0
    .sgpr_spill_count: 0
    .symbol:         _ZN7rocprim17ROCPRIM_400000_NS6detail17trampoline_kernelINS0_14default_configENS1_25partition_config_selectorILNS1_17partition_subalgoE9EllbEEZZNS1_14partition_implILS5_9ELb0ES3_jPlS8_PNS0_10empty_typeENS0_5tupleIJS8_S9_EEENSB_IJS8_SA_EEENS0_18inequality_wrapperIZN2at6native12_GLOBAL__N_124unique_dim_cuda_templateIdEESt5tupleIJNSF_6TensorESK_SK_EERKSK_lbbbEUlllE0_EEPmJS9_EEE10hipError_tPvRmT3_T4_T5_T6_T7_T9_mT8_P12ihipStream_tbDpT10_ENKUlT_T0_E_clISt17integral_constantIbLb1EES19_IbLb0EEEEDaS15_S16_EUlS15_E_NS1_11comp_targetILNS1_3genE3ELNS1_11target_archE908ELNS1_3gpuE7ELNS1_3repE0EEENS1_30default_config_static_selectorELNS0_4arch9wavefront6targetE0EEEvT1_.kd
    .uniform_work_group_size: 1
    .uses_dynamic_stack: false
    .vgpr_count:     0
    .vgpr_spill_count: 0
    .wavefront_size: 32
    .workgroup_processor_mode: 1
  - .args:
      - .offset:         0
        .size:           120
        .value_kind:     by_value
    .group_segment_fixed_size: 0
    .kernarg_segment_align: 8
    .kernarg_segment_size: 120
    .language:       OpenCL C
    .language_version:
      - 2
      - 0
    .max_flat_workgroup_size: 192
    .name:           _ZN7rocprim17ROCPRIM_400000_NS6detail17trampoline_kernelINS0_14default_configENS1_25partition_config_selectorILNS1_17partition_subalgoE9EllbEEZZNS1_14partition_implILS5_9ELb0ES3_jPlS8_PNS0_10empty_typeENS0_5tupleIJS8_S9_EEENSB_IJS8_SA_EEENS0_18inequality_wrapperIZN2at6native12_GLOBAL__N_124unique_dim_cuda_templateIdEESt5tupleIJNSF_6TensorESK_SK_EERKSK_lbbbEUlllE0_EEPmJS9_EEE10hipError_tPvRmT3_T4_T5_T6_T7_T9_mT8_P12ihipStream_tbDpT10_ENKUlT_T0_E_clISt17integral_constantIbLb1EES19_IbLb0EEEEDaS15_S16_EUlS15_E_NS1_11comp_targetILNS1_3genE2ELNS1_11target_archE906ELNS1_3gpuE6ELNS1_3repE0EEENS1_30default_config_static_selectorELNS0_4arch9wavefront6targetE0EEEvT1_
    .private_segment_fixed_size: 0
    .sgpr_count:     0
    .sgpr_spill_count: 0
    .symbol:         _ZN7rocprim17ROCPRIM_400000_NS6detail17trampoline_kernelINS0_14default_configENS1_25partition_config_selectorILNS1_17partition_subalgoE9EllbEEZZNS1_14partition_implILS5_9ELb0ES3_jPlS8_PNS0_10empty_typeENS0_5tupleIJS8_S9_EEENSB_IJS8_SA_EEENS0_18inequality_wrapperIZN2at6native12_GLOBAL__N_124unique_dim_cuda_templateIdEESt5tupleIJNSF_6TensorESK_SK_EERKSK_lbbbEUlllE0_EEPmJS9_EEE10hipError_tPvRmT3_T4_T5_T6_T7_T9_mT8_P12ihipStream_tbDpT10_ENKUlT_T0_E_clISt17integral_constantIbLb1EES19_IbLb0EEEEDaS15_S16_EUlS15_E_NS1_11comp_targetILNS1_3genE2ELNS1_11target_archE906ELNS1_3gpuE6ELNS1_3repE0EEENS1_30default_config_static_selectorELNS0_4arch9wavefront6targetE0EEEvT1_.kd
    .uniform_work_group_size: 1
    .uses_dynamic_stack: false
    .vgpr_count:     0
    .vgpr_spill_count: 0
    .wavefront_size: 32
    .workgroup_processor_mode: 1
  - .args:
      - .offset:         0
        .size:           120
        .value_kind:     by_value
    .group_segment_fixed_size: 0
    .kernarg_segment_align: 8
    .kernarg_segment_size: 120
    .language:       OpenCL C
    .language_version:
      - 2
      - 0
    .max_flat_workgroup_size: 384
    .name:           _ZN7rocprim17ROCPRIM_400000_NS6detail17trampoline_kernelINS0_14default_configENS1_25partition_config_selectorILNS1_17partition_subalgoE9EllbEEZZNS1_14partition_implILS5_9ELb0ES3_jPlS8_PNS0_10empty_typeENS0_5tupleIJS8_S9_EEENSB_IJS8_SA_EEENS0_18inequality_wrapperIZN2at6native12_GLOBAL__N_124unique_dim_cuda_templateIdEESt5tupleIJNSF_6TensorESK_SK_EERKSK_lbbbEUlllE0_EEPmJS9_EEE10hipError_tPvRmT3_T4_T5_T6_T7_T9_mT8_P12ihipStream_tbDpT10_ENKUlT_T0_E_clISt17integral_constantIbLb1EES19_IbLb0EEEEDaS15_S16_EUlS15_E_NS1_11comp_targetILNS1_3genE10ELNS1_11target_archE1200ELNS1_3gpuE4ELNS1_3repE0EEENS1_30default_config_static_selectorELNS0_4arch9wavefront6targetE0EEEvT1_
    .private_segment_fixed_size: 0
    .sgpr_count:     0
    .sgpr_spill_count: 0
    .symbol:         _ZN7rocprim17ROCPRIM_400000_NS6detail17trampoline_kernelINS0_14default_configENS1_25partition_config_selectorILNS1_17partition_subalgoE9EllbEEZZNS1_14partition_implILS5_9ELb0ES3_jPlS8_PNS0_10empty_typeENS0_5tupleIJS8_S9_EEENSB_IJS8_SA_EEENS0_18inequality_wrapperIZN2at6native12_GLOBAL__N_124unique_dim_cuda_templateIdEESt5tupleIJNSF_6TensorESK_SK_EERKSK_lbbbEUlllE0_EEPmJS9_EEE10hipError_tPvRmT3_T4_T5_T6_T7_T9_mT8_P12ihipStream_tbDpT10_ENKUlT_T0_E_clISt17integral_constantIbLb1EES19_IbLb0EEEEDaS15_S16_EUlS15_E_NS1_11comp_targetILNS1_3genE10ELNS1_11target_archE1200ELNS1_3gpuE4ELNS1_3repE0EEENS1_30default_config_static_selectorELNS0_4arch9wavefront6targetE0EEEvT1_.kd
    .uniform_work_group_size: 1
    .uses_dynamic_stack: false
    .vgpr_count:     0
    .vgpr_spill_count: 0
    .wavefront_size: 32
    .workgroup_processor_mode: 1
  - .args:
      - .offset:         0
        .size:           120
        .value_kind:     by_value
    .group_segment_fixed_size: 33804
    .kernarg_segment_align: 8
    .kernarg_segment_size: 120
    .language:       OpenCL C
    .language_version:
      - 2
      - 0
    .max_flat_workgroup_size: 512
    .name:           _ZN7rocprim17ROCPRIM_400000_NS6detail17trampoline_kernelINS0_14default_configENS1_25partition_config_selectorILNS1_17partition_subalgoE9EllbEEZZNS1_14partition_implILS5_9ELb0ES3_jPlS8_PNS0_10empty_typeENS0_5tupleIJS8_S9_EEENSB_IJS8_SA_EEENS0_18inequality_wrapperIZN2at6native12_GLOBAL__N_124unique_dim_cuda_templateIdEESt5tupleIJNSF_6TensorESK_SK_EERKSK_lbbbEUlllE0_EEPmJS9_EEE10hipError_tPvRmT3_T4_T5_T6_T7_T9_mT8_P12ihipStream_tbDpT10_ENKUlT_T0_E_clISt17integral_constantIbLb1EES19_IbLb0EEEEDaS15_S16_EUlS15_E_NS1_11comp_targetILNS1_3genE9ELNS1_11target_archE1100ELNS1_3gpuE3ELNS1_3repE0EEENS1_30default_config_static_selectorELNS0_4arch9wavefront6targetE0EEEvT1_
    .private_segment_fixed_size: 0
    .sgpr_count:     38
    .sgpr_spill_count: 0
    .symbol:         _ZN7rocprim17ROCPRIM_400000_NS6detail17trampoline_kernelINS0_14default_configENS1_25partition_config_selectorILNS1_17partition_subalgoE9EllbEEZZNS1_14partition_implILS5_9ELb0ES3_jPlS8_PNS0_10empty_typeENS0_5tupleIJS8_S9_EEENSB_IJS8_SA_EEENS0_18inequality_wrapperIZN2at6native12_GLOBAL__N_124unique_dim_cuda_templateIdEESt5tupleIJNSF_6TensorESK_SK_EERKSK_lbbbEUlllE0_EEPmJS9_EEE10hipError_tPvRmT3_T4_T5_T6_T7_T9_mT8_P12ihipStream_tbDpT10_ENKUlT_T0_E_clISt17integral_constantIbLb1EES19_IbLb0EEEEDaS15_S16_EUlS15_E_NS1_11comp_targetILNS1_3genE9ELNS1_11target_archE1100ELNS1_3gpuE3ELNS1_3repE0EEENS1_30default_config_static_selectorELNS0_4arch9wavefront6targetE0EEEvT1_.kd
    .uniform_work_group_size: 1
    .uses_dynamic_stack: false
    .vgpr_count:     68
    .vgpr_spill_count: 0
    .wavefront_size: 32
    .workgroup_processor_mode: 1
  - .args:
      - .offset:         0
        .size:           120
        .value_kind:     by_value
    .group_segment_fixed_size: 0
    .kernarg_segment_align: 8
    .kernarg_segment_size: 120
    .language:       OpenCL C
    .language_version:
      - 2
      - 0
    .max_flat_workgroup_size: 512
    .name:           _ZN7rocprim17ROCPRIM_400000_NS6detail17trampoline_kernelINS0_14default_configENS1_25partition_config_selectorILNS1_17partition_subalgoE9EllbEEZZNS1_14partition_implILS5_9ELb0ES3_jPlS8_PNS0_10empty_typeENS0_5tupleIJS8_S9_EEENSB_IJS8_SA_EEENS0_18inequality_wrapperIZN2at6native12_GLOBAL__N_124unique_dim_cuda_templateIdEESt5tupleIJNSF_6TensorESK_SK_EERKSK_lbbbEUlllE0_EEPmJS9_EEE10hipError_tPvRmT3_T4_T5_T6_T7_T9_mT8_P12ihipStream_tbDpT10_ENKUlT_T0_E_clISt17integral_constantIbLb1EES19_IbLb0EEEEDaS15_S16_EUlS15_E_NS1_11comp_targetILNS1_3genE8ELNS1_11target_archE1030ELNS1_3gpuE2ELNS1_3repE0EEENS1_30default_config_static_selectorELNS0_4arch9wavefront6targetE0EEEvT1_
    .private_segment_fixed_size: 0
    .sgpr_count:     0
    .sgpr_spill_count: 0
    .symbol:         _ZN7rocprim17ROCPRIM_400000_NS6detail17trampoline_kernelINS0_14default_configENS1_25partition_config_selectorILNS1_17partition_subalgoE9EllbEEZZNS1_14partition_implILS5_9ELb0ES3_jPlS8_PNS0_10empty_typeENS0_5tupleIJS8_S9_EEENSB_IJS8_SA_EEENS0_18inequality_wrapperIZN2at6native12_GLOBAL__N_124unique_dim_cuda_templateIdEESt5tupleIJNSF_6TensorESK_SK_EERKSK_lbbbEUlllE0_EEPmJS9_EEE10hipError_tPvRmT3_T4_T5_T6_T7_T9_mT8_P12ihipStream_tbDpT10_ENKUlT_T0_E_clISt17integral_constantIbLb1EES19_IbLb0EEEEDaS15_S16_EUlS15_E_NS1_11comp_targetILNS1_3genE8ELNS1_11target_archE1030ELNS1_3gpuE2ELNS1_3repE0EEENS1_30default_config_static_selectorELNS0_4arch9wavefront6targetE0EEEvT1_.kd
    .uniform_work_group_size: 1
    .uses_dynamic_stack: false
    .vgpr_count:     0
    .vgpr_spill_count: 0
    .wavefront_size: 32
    .workgroup_processor_mode: 1
  - .args:
      - .offset:         0
        .size:           136
        .value_kind:     by_value
    .group_segment_fixed_size: 0
    .kernarg_segment_align: 8
    .kernarg_segment_size: 136
    .language:       OpenCL C
    .language_version:
      - 2
      - 0
    .max_flat_workgroup_size: 128
    .name:           _ZN7rocprim17ROCPRIM_400000_NS6detail17trampoline_kernelINS0_14default_configENS1_25partition_config_selectorILNS1_17partition_subalgoE9EllbEEZZNS1_14partition_implILS5_9ELb0ES3_jPlS8_PNS0_10empty_typeENS0_5tupleIJS8_S9_EEENSB_IJS8_SA_EEENS0_18inequality_wrapperIZN2at6native12_GLOBAL__N_124unique_dim_cuda_templateIdEESt5tupleIJNSF_6TensorESK_SK_EERKSK_lbbbEUlllE0_EEPmJS9_EEE10hipError_tPvRmT3_T4_T5_T6_T7_T9_mT8_P12ihipStream_tbDpT10_ENKUlT_T0_E_clISt17integral_constantIbLb0EES19_IbLb1EEEEDaS15_S16_EUlS15_E_NS1_11comp_targetILNS1_3genE0ELNS1_11target_archE4294967295ELNS1_3gpuE0ELNS1_3repE0EEENS1_30default_config_static_selectorELNS0_4arch9wavefront6targetE0EEEvT1_
    .private_segment_fixed_size: 0
    .sgpr_count:     0
    .sgpr_spill_count: 0
    .symbol:         _ZN7rocprim17ROCPRIM_400000_NS6detail17trampoline_kernelINS0_14default_configENS1_25partition_config_selectorILNS1_17partition_subalgoE9EllbEEZZNS1_14partition_implILS5_9ELb0ES3_jPlS8_PNS0_10empty_typeENS0_5tupleIJS8_S9_EEENSB_IJS8_SA_EEENS0_18inequality_wrapperIZN2at6native12_GLOBAL__N_124unique_dim_cuda_templateIdEESt5tupleIJNSF_6TensorESK_SK_EERKSK_lbbbEUlllE0_EEPmJS9_EEE10hipError_tPvRmT3_T4_T5_T6_T7_T9_mT8_P12ihipStream_tbDpT10_ENKUlT_T0_E_clISt17integral_constantIbLb0EES19_IbLb1EEEEDaS15_S16_EUlS15_E_NS1_11comp_targetILNS1_3genE0ELNS1_11target_archE4294967295ELNS1_3gpuE0ELNS1_3repE0EEENS1_30default_config_static_selectorELNS0_4arch9wavefront6targetE0EEEvT1_.kd
    .uniform_work_group_size: 1
    .uses_dynamic_stack: false
    .vgpr_count:     0
    .vgpr_spill_count: 0
    .wavefront_size: 32
    .workgroup_processor_mode: 1
  - .args:
      - .offset:         0
        .size:           136
        .value_kind:     by_value
    .group_segment_fixed_size: 0
    .kernarg_segment_align: 8
    .kernarg_segment_size: 136
    .language:       OpenCL C
    .language_version:
      - 2
      - 0
    .max_flat_workgroup_size: 512
    .name:           _ZN7rocprim17ROCPRIM_400000_NS6detail17trampoline_kernelINS0_14default_configENS1_25partition_config_selectorILNS1_17partition_subalgoE9EllbEEZZNS1_14partition_implILS5_9ELb0ES3_jPlS8_PNS0_10empty_typeENS0_5tupleIJS8_S9_EEENSB_IJS8_SA_EEENS0_18inequality_wrapperIZN2at6native12_GLOBAL__N_124unique_dim_cuda_templateIdEESt5tupleIJNSF_6TensorESK_SK_EERKSK_lbbbEUlllE0_EEPmJS9_EEE10hipError_tPvRmT3_T4_T5_T6_T7_T9_mT8_P12ihipStream_tbDpT10_ENKUlT_T0_E_clISt17integral_constantIbLb0EES19_IbLb1EEEEDaS15_S16_EUlS15_E_NS1_11comp_targetILNS1_3genE5ELNS1_11target_archE942ELNS1_3gpuE9ELNS1_3repE0EEENS1_30default_config_static_selectorELNS0_4arch9wavefront6targetE0EEEvT1_
    .private_segment_fixed_size: 0
    .sgpr_count:     0
    .sgpr_spill_count: 0
    .symbol:         _ZN7rocprim17ROCPRIM_400000_NS6detail17trampoline_kernelINS0_14default_configENS1_25partition_config_selectorILNS1_17partition_subalgoE9EllbEEZZNS1_14partition_implILS5_9ELb0ES3_jPlS8_PNS0_10empty_typeENS0_5tupleIJS8_S9_EEENSB_IJS8_SA_EEENS0_18inequality_wrapperIZN2at6native12_GLOBAL__N_124unique_dim_cuda_templateIdEESt5tupleIJNSF_6TensorESK_SK_EERKSK_lbbbEUlllE0_EEPmJS9_EEE10hipError_tPvRmT3_T4_T5_T6_T7_T9_mT8_P12ihipStream_tbDpT10_ENKUlT_T0_E_clISt17integral_constantIbLb0EES19_IbLb1EEEEDaS15_S16_EUlS15_E_NS1_11comp_targetILNS1_3genE5ELNS1_11target_archE942ELNS1_3gpuE9ELNS1_3repE0EEENS1_30default_config_static_selectorELNS0_4arch9wavefront6targetE0EEEvT1_.kd
    .uniform_work_group_size: 1
    .uses_dynamic_stack: false
    .vgpr_count:     0
    .vgpr_spill_count: 0
    .wavefront_size: 32
    .workgroup_processor_mode: 1
  - .args:
      - .offset:         0
        .size:           136
        .value_kind:     by_value
    .group_segment_fixed_size: 0
    .kernarg_segment_align: 8
    .kernarg_segment_size: 136
    .language:       OpenCL C
    .language_version:
      - 2
      - 0
    .max_flat_workgroup_size: 128
    .name:           _ZN7rocprim17ROCPRIM_400000_NS6detail17trampoline_kernelINS0_14default_configENS1_25partition_config_selectorILNS1_17partition_subalgoE9EllbEEZZNS1_14partition_implILS5_9ELb0ES3_jPlS8_PNS0_10empty_typeENS0_5tupleIJS8_S9_EEENSB_IJS8_SA_EEENS0_18inequality_wrapperIZN2at6native12_GLOBAL__N_124unique_dim_cuda_templateIdEESt5tupleIJNSF_6TensorESK_SK_EERKSK_lbbbEUlllE0_EEPmJS9_EEE10hipError_tPvRmT3_T4_T5_T6_T7_T9_mT8_P12ihipStream_tbDpT10_ENKUlT_T0_E_clISt17integral_constantIbLb0EES19_IbLb1EEEEDaS15_S16_EUlS15_E_NS1_11comp_targetILNS1_3genE4ELNS1_11target_archE910ELNS1_3gpuE8ELNS1_3repE0EEENS1_30default_config_static_selectorELNS0_4arch9wavefront6targetE0EEEvT1_
    .private_segment_fixed_size: 0
    .sgpr_count:     0
    .sgpr_spill_count: 0
    .symbol:         _ZN7rocprim17ROCPRIM_400000_NS6detail17trampoline_kernelINS0_14default_configENS1_25partition_config_selectorILNS1_17partition_subalgoE9EllbEEZZNS1_14partition_implILS5_9ELb0ES3_jPlS8_PNS0_10empty_typeENS0_5tupleIJS8_S9_EEENSB_IJS8_SA_EEENS0_18inequality_wrapperIZN2at6native12_GLOBAL__N_124unique_dim_cuda_templateIdEESt5tupleIJNSF_6TensorESK_SK_EERKSK_lbbbEUlllE0_EEPmJS9_EEE10hipError_tPvRmT3_T4_T5_T6_T7_T9_mT8_P12ihipStream_tbDpT10_ENKUlT_T0_E_clISt17integral_constantIbLb0EES19_IbLb1EEEEDaS15_S16_EUlS15_E_NS1_11comp_targetILNS1_3genE4ELNS1_11target_archE910ELNS1_3gpuE8ELNS1_3repE0EEENS1_30default_config_static_selectorELNS0_4arch9wavefront6targetE0EEEvT1_.kd
    .uniform_work_group_size: 1
    .uses_dynamic_stack: false
    .vgpr_count:     0
    .vgpr_spill_count: 0
    .wavefront_size: 32
    .workgroup_processor_mode: 1
  - .args:
      - .offset:         0
        .size:           136
        .value_kind:     by_value
    .group_segment_fixed_size: 0
    .kernarg_segment_align: 8
    .kernarg_segment_size: 136
    .language:       OpenCL C
    .language_version:
      - 2
      - 0
    .max_flat_workgroup_size: 128
    .name:           _ZN7rocprim17ROCPRIM_400000_NS6detail17trampoline_kernelINS0_14default_configENS1_25partition_config_selectorILNS1_17partition_subalgoE9EllbEEZZNS1_14partition_implILS5_9ELb0ES3_jPlS8_PNS0_10empty_typeENS0_5tupleIJS8_S9_EEENSB_IJS8_SA_EEENS0_18inequality_wrapperIZN2at6native12_GLOBAL__N_124unique_dim_cuda_templateIdEESt5tupleIJNSF_6TensorESK_SK_EERKSK_lbbbEUlllE0_EEPmJS9_EEE10hipError_tPvRmT3_T4_T5_T6_T7_T9_mT8_P12ihipStream_tbDpT10_ENKUlT_T0_E_clISt17integral_constantIbLb0EES19_IbLb1EEEEDaS15_S16_EUlS15_E_NS1_11comp_targetILNS1_3genE3ELNS1_11target_archE908ELNS1_3gpuE7ELNS1_3repE0EEENS1_30default_config_static_selectorELNS0_4arch9wavefront6targetE0EEEvT1_
    .private_segment_fixed_size: 0
    .sgpr_count:     0
    .sgpr_spill_count: 0
    .symbol:         _ZN7rocprim17ROCPRIM_400000_NS6detail17trampoline_kernelINS0_14default_configENS1_25partition_config_selectorILNS1_17partition_subalgoE9EllbEEZZNS1_14partition_implILS5_9ELb0ES3_jPlS8_PNS0_10empty_typeENS0_5tupleIJS8_S9_EEENSB_IJS8_SA_EEENS0_18inequality_wrapperIZN2at6native12_GLOBAL__N_124unique_dim_cuda_templateIdEESt5tupleIJNSF_6TensorESK_SK_EERKSK_lbbbEUlllE0_EEPmJS9_EEE10hipError_tPvRmT3_T4_T5_T6_T7_T9_mT8_P12ihipStream_tbDpT10_ENKUlT_T0_E_clISt17integral_constantIbLb0EES19_IbLb1EEEEDaS15_S16_EUlS15_E_NS1_11comp_targetILNS1_3genE3ELNS1_11target_archE908ELNS1_3gpuE7ELNS1_3repE0EEENS1_30default_config_static_selectorELNS0_4arch9wavefront6targetE0EEEvT1_.kd
    .uniform_work_group_size: 1
    .uses_dynamic_stack: false
    .vgpr_count:     0
    .vgpr_spill_count: 0
    .wavefront_size: 32
    .workgroup_processor_mode: 1
  - .args:
      - .offset:         0
        .size:           136
        .value_kind:     by_value
    .group_segment_fixed_size: 0
    .kernarg_segment_align: 8
    .kernarg_segment_size: 136
    .language:       OpenCL C
    .language_version:
      - 2
      - 0
    .max_flat_workgroup_size: 192
    .name:           _ZN7rocprim17ROCPRIM_400000_NS6detail17trampoline_kernelINS0_14default_configENS1_25partition_config_selectorILNS1_17partition_subalgoE9EllbEEZZNS1_14partition_implILS5_9ELb0ES3_jPlS8_PNS0_10empty_typeENS0_5tupleIJS8_S9_EEENSB_IJS8_SA_EEENS0_18inequality_wrapperIZN2at6native12_GLOBAL__N_124unique_dim_cuda_templateIdEESt5tupleIJNSF_6TensorESK_SK_EERKSK_lbbbEUlllE0_EEPmJS9_EEE10hipError_tPvRmT3_T4_T5_T6_T7_T9_mT8_P12ihipStream_tbDpT10_ENKUlT_T0_E_clISt17integral_constantIbLb0EES19_IbLb1EEEEDaS15_S16_EUlS15_E_NS1_11comp_targetILNS1_3genE2ELNS1_11target_archE906ELNS1_3gpuE6ELNS1_3repE0EEENS1_30default_config_static_selectorELNS0_4arch9wavefront6targetE0EEEvT1_
    .private_segment_fixed_size: 0
    .sgpr_count:     0
    .sgpr_spill_count: 0
    .symbol:         _ZN7rocprim17ROCPRIM_400000_NS6detail17trampoline_kernelINS0_14default_configENS1_25partition_config_selectorILNS1_17partition_subalgoE9EllbEEZZNS1_14partition_implILS5_9ELb0ES3_jPlS8_PNS0_10empty_typeENS0_5tupleIJS8_S9_EEENSB_IJS8_SA_EEENS0_18inequality_wrapperIZN2at6native12_GLOBAL__N_124unique_dim_cuda_templateIdEESt5tupleIJNSF_6TensorESK_SK_EERKSK_lbbbEUlllE0_EEPmJS9_EEE10hipError_tPvRmT3_T4_T5_T6_T7_T9_mT8_P12ihipStream_tbDpT10_ENKUlT_T0_E_clISt17integral_constantIbLb0EES19_IbLb1EEEEDaS15_S16_EUlS15_E_NS1_11comp_targetILNS1_3genE2ELNS1_11target_archE906ELNS1_3gpuE6ELNS1_3repE0EEENS1_30default_config_static_selectorELNS0_4arch9wavefront6targetE0EEEvT1_.kd
    .uniform_work_group_size: 1
    .uses_dynamic_stack: false
    .vgpr_count:     0
    .vgpr_spill_count: 0
    .wavefront_size: 32
    .workgroup_processor_mode: 1
  - .args:
      - .offset:         0
        .size:           136
        .value_kind:     by_value
    .group_segment_fixed_size: 0
    .kernarg_segment_align: 8
    .kernarg_segment_size: 136
    .language:       OpenCL C
    .language_version:
      - 2
      - 0
    .max_flat_workgroup_size: 384
    .name:           _ZN7rocprim17ROCPRIM_400000_NS6detail17trampoline_kernelINS0_14default_configENS1_25partition_config_selectorILNS1_17partition_subalgoE9EllbEEZZNS1_14partition_implILS5_9ELb0ES3_jPlS8_PNS0_10empty_typeENS0_5tupleIJS8_S9_EEENSB_IJS8_SA_EEENS0_18inequality_wrapperIZN2at6native12_GLOBAL__N_124unique_dim_cuda_templateIdEESt5tupleIJNSF_6TensorESK_SK_EERKSK_lbbbEUlllE0_EEPmJS9_EEE10hipError_tPvRmT3_T4_T5_T6_T7_T9_mT8_P12ihipStream_tbDpT10_ENKUlT_T0_E_clISt17integral_constantIbLb0EES19_IbLb1EEEEDaS15_S16_EUlS15_E_NS1_11comp_targetILNS1_3genE10ELNS1_11target_archE1200ELNS1_3gpuE4ELNS1_3repE0EEENS1_30default_config_static_selectorELNS0_4arch9wavefront6targetE0EEEvT1_
    .private_segment_fixed_size: 0
    .sgpr_count:     0
    .sgpr_spill_count: 0
    .symbol:         _ZN7rocprim17ROCPRIM_400000_NS6detail17trampoline_kernelINS0_14default_configENS1_25partition_config_selectorILNS1_17partition_subalgoE9EllbEEZZNS1_14partition_implILS5_9ELb0ES3_jPlS8_PNS0_10empty_typeENS0_5tupleIJS8_S9_EEENSB_IJS8_SA_EEENS0_18inequality_wrapperIZN2at6native12_GLOBAL__N_124unique_dim_cuda_templateIdEESt5tupleIJNSF_6TensorESK_SK_EERKSK_lbbbEUlllE0_EEPmJS9_EEE10hipError_tPvRmT3_T4_T5_T6_T7_T9_mT8_P12ihipStream_tbDpT10_ENKUlT_T0_E_clISt17integral_constantIbLb0EES19_IbLb1EEEEDaS15_S16_EUlS15_E_NS1_11comp_targetILNS1_3genE10ELNS1_11target_archE1200ELNS1_3gpuE4ELNS1_3repE0EEENS1_30default_config_static_selectorELNS0_4arch9wavefront6targetE0EEEvT1_.kd
    .uniform_work_group_size: 1
    .uses_dynamic_stack: false
    .vgpr_count:     0
    .vgpr_spill_count: 0
    .wavefront_size: 32
    .workgroup_processor_mode: 1
  - .args:
      - .offset:         0
        .size:           136
        .value_kind:     by_value
    .group_segment_fixed_size: 33804
    .kernarg_segment_align: 8
    .kernarg_segment_size: 136
    .language:       OpenCL C
    .language_version:
      - 2
      - 0
    .max_flat_workgroup_size: 512
    .name:           _ZN7rocprim17ROCPRIM_400000_NS6detail17trampoline_kernelINS0_14default_configENS1_25partition_config_selectorILNS1_17partition_subalgoE9EllbEEZZNS1_14partition_implILS5_9ELb0ES3_jPlS8_PNS0_10empty_typeENS0_5tupleIJS8_S9_EEENSB_IJS8_SA_EEENS0_18inequality_wrapperIZN2at6native12_GLOBAL__N_124unique_dim_cuda_templateIdEESt5tupleIJNSF_6TensorESK_SK_EERKSK_lbbbEUlllE0_EEPmJS9_EEE10hipError_tPvRmT3_T4_T5_T6_T7_T9_mT8_P12ihipStream_tbDpT10_ENKUlT_T0_E_clISt17integral_constantIbLb0EES19_IbLb1EEEEDaS15_S16_EUlS15_E_NS1_11comp_targetILNS1_3genE9ELNS1_11target_archE1100ELNS1_3gpuE3ELNS1_3repE0EEENS1_30default_config_static_selectorELNS0_4arch9wavefront6targetE0EEEvT1_
    .private_segment_fixed_size: 0
    .sgpr_count:     42
    .sgpr_spill_count: 0
    .symbol:         _ZN7rocprim17ROCPRIM_400000_NS6detail17trampoline_kernelINS0_14default_configENS1_25partition_config_selectorILNS1_17partition_subalgoE9EllbEEZZNS1_14partition_implILS5_9ELb0ES3_jPlS8_PNS0_10empty_typeENS0_5tupleIJS8_S9_EEENSB_IJS8_SA_EEENS0_18inequality_wrapperIZN2at6native12_GLOBAL__N_124unique_dim_cuda_templateIdEESt5tupleIJNSF_6TensorESK_SK_EERKSK_lbbbEUlllE0_EEPmJS9_EEE10hipError_tPvRmT3_T4_T5_T6_T7_T9_mT8_P12ihipStream_tbDpT10_ENKUlT_T0_E_clISt17integral_constantIbLb0EES19_IbLb1EEEEDaS15_S16_EUlS15_E_NS1_11comp_targetILNS1_3genE9ELNS1_11target_archE1100ELNS1_3gpuE3ELNS1_3repE0EEENS1_30default_config_static_selectorELNS0_4arch9wavefront6targetE0EEEvT1_.kd
    .uniform_work_group_size: 1
    .uses_dynamic_stack: false
    .vgpr_count:     68
    .vgpr_spill_count: 0
    .wavefront_size: 32
    .workgroup_processor_mode: 1
  - .args:
      - .offset:         0
        .size:           136
        .value_kind:     by_value
    .group_segment_fixed_size: 0
    .kernarg_segment_align: 8
    .kernarg_segment_size: 136
    .language:       OpenCL C
    .language_version:
      - 2
      - 0
    .max_flat_workgroup_size: 512
    .name:           _ZN7rocprim17ROCPRIM_400000_NS6detail17trampoline_kernelINS0_14default_configENS1_25partition_config_selectorILNS1_17partition_subalgoE9EllbEEZZNS1_14partition_implILS5_9ELb0ES3_jPlS8_PNS0_10empty_typeENS0_5tupleIJS8_S9_EEENSB_IJS8_SA_EEENS0_18inequality_wrapperIZN2at6native12_GLOBAL__N_124unique_dim_cuda_templateIdEESt5tupleIJNSF_6TensorESK_SK_EERKSK_lbbbEUlllE0_EEPmJS9_EEE10hipError_tPvRmT3_T4_T5_T6_T7_T9_mT8_P12ihipStream_tbDpT10_ENKUlT_T0_E_clISt17integral_constantIbLb0EES19_IbLb1EEEEDaS15_S16_EUlS15_E_NS1_11comp_targetILNS1_3genE8ELNS1_11target_archE1030ELNS1_3gpuE2ELNS1_3repE0EEENS1_30default_config_static_selectorELNS0_4arch9wavefront6targetE0EEEvT1_
    .private_segment_fixed_size: 0
    .sgpr_count:     0
    .sgpr_spill_count: 0
    .symbol:         _ZN7rocprim17ROCPRIM_400000_NS6detail17trampoline_kernelINS0_14default_configENS1_25partition_config_selectorILNS1_17partition_subalgoE9EllbEEZZNS1_14partition_implILS5_9ELb0ES3_jPlS8_PNS0_10empty_typeENS0_5tupleIJS8_S9_EEENSB_IJS8_SA_EEENS0_18inequality_wrapperIZN2at6native12_GLOBAL__N_124unique_dim_cuda_templateIdEESt5tupleIJNSF_6TensorESK_SK_EERKSK_lbbbEUlllE0_EEPmJS9_EEE10hipError_tPvRmT3_T4_T5_T6_T7_T9_mT8_P12ihipStream_tbDpT10_ENKUlT_T0_E_clISt17integral_constantIbLb0EES19_IbLb1EEEEDaS15_S16_EUlS15_E_NS1_11comp_targetILNS1_3genE8ELNS1_11target_archE1030ELNS1_3gpuE2ELNS1_3repE0EEENS1_30default_config_static_selectorELNS0_4arch9wavefront6targetE0EEEvT1_.kd
    .uniform_work_group_size: 1
    .uses_dynamic_stack: false
    .vgpr_count:     0
    .vgpr_spill_count: 0
    .wavefront_size: 32
    .workgroup_processor_mode: 1
  - .args:
      - .offset:         0
        .size:           72
        .value_kind:     by_value
    .group_segment_fixed_size: 0
    .kernarg_segment_align: 8
    .kernarg_segment_size: 72
    .language:       OpenCL C
    .language_version:
      - 2
      - 0
    .max_flat_workgroup_size: 256
    .name:           _ZN7rocprim17ROCPRIM_400000_NS6detail17trampoline_kernelINS0_14default_configENS1_37merge_sort_block_sort_config_selectorIlNS0_10empty_typeEEEZNS1_21merge_sort_block_sortIS3_PlS8_PS5_S9_ZN2at6native12_GLOBAL__N_124unique_dim_cuda_templateIfEESt5tupleIJNSA_6TensorESF_SF_EERKSF_lbbbEUlllE_EE10hipError_tT0_T1_T2_T3_mRjT4_P12ihipStream_tbNS1_7vsmem_tEEUlT_E_NS1_11comp_targetILNS1_3genE0ELNS1_11target_archE4294967295ELNS1_3gpuE0ELNS1_3repE0EEENS1_30default_config_static_selectorELNS0_4arch9wavefront6targetE0EEEvSM_
    .private_segment_fixed_size: 0
    .sgpr_count:     0
    .sgpr_spill_count: 0
    .symbol:         _ZN7rocprim17ROCPRIM_400000_NS6detail17trampoline_kernelINS0_14default_configENS1_37merge_sort_block_sort_config_selectorIlNS0_10empty_typeEEEZNS1_21merge_sort_block_sortIS3_PlS8_PS5_S9_ZN2at6native12_GLOBAL__N_124unique_dim_cuda_templateIfEESt5tupleIJNSA_6TensorESF_SF_EERKSF_lbbbEUlllE_EE10hipError_tT0_T1_T2_T3_mRjT4_P12ihipStream_tbNS1_7vsmem_tEEUlT_E_NS1_11comp_targetILNS1_3genE0ELNS1_11target_archE4294967295ELNS1_3gpuE0ELNS1_3repE0EEENS1_30default_config_static_selectorELNS0_4arch9wavefront6targetE0EEEvSM_.kd
    .uniform_work_group_size: 1
    .uses_dynamic_stack: false
    .vgpr_count:     0
    .vgpr_spill_count: 0
    .wavefront_size: 32
    .workgroup_processor_mode: 1
  - .args:
      - .offset:         0
        .size:           72
        .value_kind:     by_value
    .group_segment_fixed_size: 0
    .kernarg_segment_align: 8
    .kernarg_segment_size: 72
    .language:       OpenCL C
    .language_version:
      - 2
      - 0
    .max_flat_workgroup_size: 256
    .name:           _ZN7rocprim17ROCPRIM_400000_NS6detail17trampoline_kernelINS0_14default_configENS1_37merge_sort_block_sort_config_selectorIlNS0_10empty_typeEEEZNS1_21merge_sort_block_sortIS3_PlS8_PS5_S9_ZN2at6native12_GLOBAL__N_124unique_dim_cuda_templateIfEESt5tupleIJNSA_6TensorESF_SF_EERKSF_lbbbEUlllE_EE10hipError_tT0_T1_T2_T3_mRjT4_P12ihipStream_tbNS1_7vsmem_tEEUlT_E_NS1_11comp_targetILNS1_3genE5ELNS1_11target_archE942ELNS1_3gpuE9ELNS1_3repE0EEENS1_30default_config_static_selectorELNS0_4arch9wavefront6targetE0EEEvSM_
    .private_segment_fixed_size: 0
    .sgpr_count:     0
    .sgpr_spill_count: 0
    .symbol:         _ZN7rocprim17ROCPRIM_400000_NS6detail17trampoline_kernelINS0_14default_configENS1_37merge_sort_block_sort_config_selectorIlNS0_10empty_typeEEEZNS1_21merge_sort_block_sortIS3_PlS8_PS5_S9_ZN2at6native12_GLOBAL__N_124unique_dim_cuda_templateIfEESt5tupleIJNSA_6TensorESF_SF_EERKSF_lbbbEUlllE_EE10hipError_tT0_T1_T2_T3_mRjT4_P12ihipStream_tbNS1_7vsmem_tEEUlT_E_NS1_11comp_targetILNS1_3genE5ELNS1_11target_archE942ELNS1_3gpuE9ELNS1_3repE0EEENS1_30default_config_static_selectorELNS0_4arch9wavefront6targetE0EEEvSM_.kd
    .uniform_work_group_size: 1
    .uses_dynamic_stack: false
    .vgpr_count:     0
    .vgpr_spill_count: 0
    .wavefront_size: 32
    .workgroup_processor_mode: 1
  - .args:
      - .offset:         0
        .size:           72
        .value_kind:     by_value
    .group_segment_fixed_size: 0
    .kernarg_segment_align: 8
    .kernarg_segment_size: 72
    .language:       OpenCL C
    .language_version:
      - 2
      - 0
    .max_flat_workgroup_size: 256
    .name:           _ZN7rocprim17ROCPRIM_400000_NS6detail17trampoline_kernelINS0_14default_configENS1_37merge_sort_block_sort_config_selectorIlNS0_10empty_typeEEEZNS1_21merge_sort_block_sortIS3_PlS8_PS5_S9_ZN2at6native12_GLOBAL__N_124unique_dim_cuda_templateIfEESt5tupleIJNSA_6TensorESF_SF_EERKSF_lbbbEUlllE_EE10hipError_tT0_T1_T2_T3_mRjT4_P12ihipStream_tbNS1_7vsmem_tEEUlT_E_NS1_11comp_targetILNS1_3genE4ELNS1_11target_archE910ELNS1_3gpuE8ELNS1_3repE0EEENS1_30default_config_static_selectorELNS0_4arch9wavefront6targetE0EEEvSM_
    .private_segment_fixed_size: 0
    .sgpr_count:     0
    .sgpr_spill_count: 0
    .symbol:         _ZN7rocprim17ROCPRIM_400000_NS6detail17trampoline_kernelINS0_14default_configENS1_37merge_sort_block_sort_config_selectorIlNS0_10empty_typeEEEZNS1_21merge_sort_block_sortIS3_PlS8_PS5_S9_ZN2at6native12_GLOBAL__N_124unique_dim_cuda_templateIfEESt5tupleIJNSA_6TensorESF_SF_EERKSF_lbbbEUlllE_EE10hipError_tT0_T1_T2_T3_mRjT4_P12ihipStream_tbNS1_7vsmem_tEEUlT_E_NS1_11comp_targetILNS1_3genE4ELNS1_11target_archE910ELNS1_3gpuE8ELNS1_3repE0EEENS1_30default_config_static_selectorELNS0_4arch9wavefront6targetE0EEEvSM_.kd
    .uniform_work_group_size: 1
    .uses_dynamic_stack: false
    .vgpr_count:     0
    .vgpr_spill_count: 0
    .wavefront_size: 32
    .workgroup_processor_mode: 1
  - .args:
      - .offset:         0
        .size:           72
        .value_kind:     by_value
    .group_segment_fixed_size: 0
    .kernarg_segment_align: 8
    .kernarg_segment_size: 72
    .language:       OpenCL C
    .language_version:
      - 2
      - 0
    .max_flat_workgroup_size: 256
    .name:           _ZN7rocprim17ROCPRIM_400000_NS6detail17trampoline_kernelINS0_14default_configENS1_37merge_sort_block_sort_config_selectorIlNS0_10empty_typeEEEZNS1_21merge_sort_block_sortIS3_PlS8_PS5_S9_ZN2at6native12_GLOBAL__N_124unique_dim_cuda_templateIfEESt5tupleIJNSA_6TensorESF_SF_EERKSF_lbbbEUlllE_EE10hipError_tT0_T1_T2_T3_mRjT4_P12ihipStream_tbNS1_7vsmem_tEEUlT_E_NS1_11comp_targetILNS1_3genE3ELNS1_11target_archE908ELNS1_3gpuE7ELNS1_3repE0EEENS1_30default_config_static_selectorELNS0_4arch9wavefront6targetE0EEEvSM_
    .private_segment_fixed_size: 0
    .sgpr_count:     0
    .sgpr_spill_count: 0
    .symbol:         _ZN7rocprim17ROCPRIM_400000_NS6detail17trampoline_kernelINS0_14default_configENS1_37merge_sort_block_sort_config_selectorIlNS0_10empty_typeEEEZNS1_21merge_sort_block_sortIS3_PlS8_PS5_S9_ZN2at6native12_GLOBAL__N_124unique_dim_cuda_templateIfEESt5tupleIJNSA_6TensorESF_SF_EERKSF_lbbbEUlllE_EE10hipError_tT0_T1_T2_T3_mRjT4_P12ihipStream_tbNS1_7vsmem_tEEUlT_E_NS1_11comp_targetILNS1_3genE3ELNS1_11target_archE908ELNS1_3gpuE7ELNS1_3repE0EEENS1_30default_config_static_selectorELNS0_4arch9wavefront6targetE0EEEvSM_.kd
    .uniform_work_group_size: 1
    .uses_dynamic_stack: false
    .vgpr_count:     0
    .vgpr_spill_count: 0
    .wavefront_size: 32
    .workgroup_processor_mode: 1
  - .args:
      - .offset:         0
        .size:           72
        .value_kind:     by_value
    .group_segment_fixed_size: 0
    .kernarg_segment_align: 8
    .kernarg_segment_size: 72
    .language:       OpenCL C
    .language_version:
      - 2
      - 0
    .max_flat_workgroup_size: 256
    .name:           _ZN7rocprim17ROCPRIM_400000_NS6detail17trampoline_kernelINS0_14default_configENS1_37merge_sort_block_sort_config_selectorIlNS0_10empty_typeEEEZNS1_21merge_sort_block_sortIS3_PlS8_PS5_S9_ZN2at6native12_GLOBAL__N_124unique_dim_cuda_templateIfEESt5tupleIJNSA_6TensorESF_SF_EERKSF_lbbbEUlllE_EE10hipError_tT0_T1_T2_T3_mRjT4_P12ihipStream_tbNS1_7vsmem_tEEUlT_E_NS1_11comp_targetILNS1_3genE2ELNS1_11target_archE906ELNS1_3gpuE6ELNS1_3repE0EEENS1_30default_config_static_selectorELNS0_4arch9wavefront6targetE0EEEvSM_
    .private_segment_fixed_size: 0
    .sgpr_count:     0
    .sgpr_spill_count: 0
    .symbol:         _ZN7rocprim17ROCPRIM_400000_NS6detail17trampoline_kernelINS0_14default_configENS1_37merge_sort_block_sort_config_selectorIlNS0_10empty_typeEEEZNS1_21merge_sort_block_sortIS3_PlS8_PS5_S9_ZN2at6native12_GLOBAL__N_124unique_dim_cuda_templateIfEESt5tupleIJNSA_6TensorESF_SF_EERKSF_lbbbEUlllE_EE10hipError_tT0_T1_T2_T3_mRjT4_P12ihipStream_tbNS1_7vsmem_tEEUlT_E_NS1_11comp_targetILNS1_3genE2ELNS1_11target_archE906ELNS1_3gpuE6ELNS1_3repE0EEENS1_30default_config_static_selectorELNS0_4arch9wavefront6targetE0EEEvSM_.kd
    .uniform_work_group_size: 1
    .uses_dynamic_stack: false
    .vgpr_count:     0
    .vgpr_spill_count: 0
    .wavefront_size: 32
    .workgroup_processor_mode: 1
  - .args:
      - .offset:         0
        .size:           72
        .value_kind:     by_value
    .group_segment_fixed_size: 0
    .kernarg_segment_align: 8
    .kernarg_segment_size: 72
    .language:       OpenCL C
    .language_version:
      - 2
      - 0
    .max_flat_workgroup_size: 256
    .name:           _ZN7rocprim17ROCPRIM_400000_NS6detail17trampoline_kernelINS0_14default_configENS1_37merge_sort_block_sort_config_selectorIlNS0_10empty_typeEEEZNS1_21merge_sort_block_sortIS3_PlS8_PS5_S9_ZN2at6native12_GLOBAL__N_124unique_dim_cuda_templateIfEESt5tupleIJNSA_6TensorESF_SF_EERKSF_lbbbEUlllE_EE10hipError_tT0_T1_T2_T3_mRjT4_P12ihipStream_tbNS1_7vsmem_tEEUlT_E_NS1_11comp_targetILNS1_3genE10ELNS1_11target_archE1201ELNS1_3gpuE5ELNS1_3repE0EEENS1_30default_config_static_selectorELNS0_4arch9wavefront6targetE0EEEvSM_
    .private_segment_fixed_size: 0
    .sgpr_count:     0
    .sgpr_spill_count: 0
    .symbol:         _ZN7rocprim17ROCPRIM_400000_NS6detail17trampoline_kernelINS0_14default_configENS1_37merge_sort_block_sort_config_selectorIlNS0_10empty_typeEEEZNS1_21merge_sort_block_sortIS3_PlS8_PS5_S9_ZN2at6native12_GLOBAL__N_124unique_dim_cuda_templateIfEESt5tupleIJNSA_6TensorESF_SF_EERKSF_lbbbEUlllE_EE10hipError_tT0_T1_T2_T3_mRjT4_P12ihipStream_tbNS1_7vsmem_tEEUlT_E_NS1_11comp_targetILNS1_3genE10ELNS1_11target_archE1201ELNS1_3gpuE5ELNS1_3repE0EEENS1_30default_config_static_selectorELNS0_4arch9wavefront6targetE0EEEvSM_.kd
    .uniform_work_group_size: 1
    .uses_dynamic_stack: false
    .vgpr_count:     0
    .vgpr_spill_count: 0
    .wavefront_size: 32
    .workgroup_processor_mode: 1
  - .args:
      - .offset:         0
        .size:           72
        .value_kind:     by_value
    .group_segment_fixed_size: 0
    .kernarg_segment_align: 8
    .kernarg_segment_size: 72
    .language:       OpenCL C
    .language_version:
      - 2
      - 0
    .max_flat_workgroup_size: 512
    .name:           _ZN7rocprim17ROCPRIM_400000_NS6detail17trampoline_kernelINS0_14default_configENS1_37merge_sort_block_sort_config_selectorIlNS0_10empty_typeEEEZNS1_21merge_sort_block_sortIS3_PlS8_PS5_S9_ZN2at6native12_GLOBAL__N_124unique_dim_cuda_templateIfEESt5tupleIJNSA_6TensorESF_SF_EERKSF_lbbbEUlllE_EE10hipError_tT0_T1_T2_T3_mRjT4_P12ihipStream_tbNS1_7vsmem_tEEUlT_E_NS1_11comp_targetILNS1_3genE10ELNS1_11target_archE1200ELNS1_3gpuE4ELNS1_3repE0EEENS1_30default_config_static_selectorELNS0_4arch9wavefront6targetE0EEEvSM_
    .private_segment_fixed_size: 0
    .sgpr_count:     0
    .sgpr_spill_count: 0
    .symbol:         _ZN7rocprim17ROCPRIM_400000_NS6detail17trampoline_kernelINS0_14default_configENS1_37merge_sort_block_sort_config_selectorIlNS0_10empty_typeEEEZNS1_21merge_sort_block_sortIS3_PlS8_PS5_S9_ZN2at6native12_GLOBAL__N_124unique_dim_cuda_templateIfEESt5tupleIJNSA_6TensorESF_SF_EERKSF_lbbbEUlllE_EE10hipError_tT0_T1_T2_T3_mRjT4_P12ihipStream_tbNS1_7vsmem_tEEUlT_E_NS1_11comp_targetILNS1_3genE10ELNS1_11target_archE1200ELNS1_3gpuE4ELNS1_3repE0EEENS1_30default_config_static_selectorELNS0_4arch9wavefront6targetE0EEEvSM_.kd
    .uniform_work_group_size: 1
    .uses_dynamic_stack: false
    .vgpr_count:     0
    .vgpr_spill_count: 0
    .wavefront_size: 32
    .workgroup_processor_mode: 1
  - .args:
      - .offset:         0
        .size:           72
        .value_kind:     by_value
      - .offset:         72
        .size:           4
        .value_kind:     hidden_block_count_x
      - .offset:         76
        .size:           4
        .value_kind:     hidden_block_count_y
      - .offset:         80
        .size:           4
        .value_kind:     hidden_block_count_z
      - .offset:         84
        .size:           2
        .value_kind:     hidden_group_size_x
      - .offset:         86
        .size:           2
        .value_kind:     hidden_group_size_y
      - .offset:         88
        .size:           2
        .value_kind:     hidden_group_size_z
      - .offset:         90
        .size:           2
        .value_kind:     hidden_remainder_x
      - .offset:         92
        .size:           2
        .value_kind:     hidden_remainder_y
      - .offset:         94
        .size:           2
        .value_kind:     hidden_remainder_z
      - .offset:         112
        .size:           8
        .value_kind:     hidden_global_offset_x
      - .offset:         120
        .size:           8
        .value_kind:     hidden_global_offset_y
      - .offset:         128
        .size:           8
        .value_kind:     hidden_global_offset_z
      - .offset:         136
        .size:           2
        .value_kind:     hidden_grid_dims
    .group_segment_fixed_size: 8448
    .kernarg_segment_align: 8
    .kernarg_segment_size: 328
    .language:       OpenCL C
    .language_version:
      - 2
      - 0
    .max_flat_workgroup_size: 256
    .name:           _ZN7rocprim17ROCPRIM_400000_NS6detail17trampoline_kernelINS0_14default_configENS1_37merge_sort_block_sort_config_selectorIlNS0_10empty_typeEEEZNS1_21merge_sort_block_sortIS3_PlS8_PS5_S9_ZN2at6native12_GLOBAL__N_124unique_dim_cuda_templateIfEESt5tupleIJNSA_6TensorESF_SF_EERKSF_lbbbEUlllE_EE10hipError_tT0_T1_T2_T3_mRjT4_P12ihipStream_tbNS1_7vsmem_tEEUlT_E_NS1_11comp_targetILNS1_3genE9ELNS1_11target_archE1100ELNS1_3gpuE3ELNS1_3repE0EEENS1_30default_config_static_selectorELNS0_4arch9wavefront6targetE0EEEvSM_
    .private_segment_fixed_size: 0
    .sgpr_count:     34
    .sgpr_spill_count: 0
    .symbol:         _ZN7rocprim17ROCPRIM_400000_NS6detail17trampoline_kernelINS0_14default_configENS1_37merge_sort_block_sort_config_selectorIlNS0_10empty_typeEEEZNS1_21merge_sort_block_sortIS3_PlS8_PS5_S9_ZN2at6native12_GLOBAL__N_124unique_dim_cuda_templateIfEESt5tupleIJNSA_6TensorESF_SF_EERKSF_lbbbEUlllE_EE10hipError_tT0_T1_T2_T3_mRjT4_P12ihipStream_tbNS1_7vsmem_tEEUlT_E_NS1_11comp_targetILNS1_3genE9ELNS1_11target_archE1100ELNS1_3gpuE3ELNS1_3repE0EEENS1_30default_config_static_selectorELNS0_4arch9wavefront6targetE0EEEvSM_.kd
    .uniform_work_group_size: 1
    .uses_dynamic_stack: false
    .vgpr_count:     47
    .vgpr_spill_count: 0
    .wavefront_size: 32
    .workgroup_processor_mode: 1
  - .args:
      - .offset:         0
        .size:           72
        .value_kind:     by_value
    .group_segment_fixed_size: 0
    .kernarg_segment_align: 8
    .kernarg_segment_size: 72
    .language:       OpenCL C
    .language_version:
      - 2
      - 0
    .max_flat_workgroup_size: 256
    .name:           _ZN7rocprim17ROCPRIM_400000_NS6detail17trampoline_kernelINS0_14default_configENS1_37merge_sort_block_sort_config_selectorIlNS0_10empty_typeEEEZNS1_21merge_sort_block_sortIS3_PlS8_PS5_S9_ZN2at6native12_GLOBAL__N_124unique_dim_cuda_templateIfEESt5tupleIJNSA_6TensorESF_SF_EERKSF_lbbbEUlllE_EE10hipError_tT0_T1_T2_T3_mRjT4_P12ihipStream_tbNS1_7vsmem_tEEUlT_E_NS1_11comp_targetILNS1_3genE8ELNS1_11target_archE1030ELNS1_3gpuE2ELNS1_3repE0EEENS1_30default_config_static_selectorELNS0_4arch9wavefront6targetE0EEEvSM_
    .private_segment_fixed_size: 0
    .sgpr_count:     0
    .sgpr_spill_count: 0
    .symbol:         _ZN7rocprim17ROCPRIM_400000_NS6detail17trampoline_kernelINS0_14default_configENS1_37merge_sort_block_sort_config_selectorIlNS0_10empty_typeEEEZNS1_21merge_sort_block_sortIS3_PlS8_PS5_S9_ZN2at6native12_GLOBAL__N_124unique_dim_cuda_templateIfEESt5tupleIJNSA_6TensorESF_SF_EERKSF_lbbbEUlllE_EE10hipError_tT0_T1_T2_T3_mRjT4_P12ihipStream_tbNS1_7vsmem_tEEUlT_E_NS1_11comp_targetILNS1_3genE8ELNS1_11target_archE1030ELNS1_3gpuE2ELNS1_3repE0EEENS1_30default_config_static_selectorELNS0_4arch9wavefront6targetE0EEEvSM_.kd
    .uniform_work_group_size: 1
    .uses_dynamic_stack: false
    .vgpr_count:     0
    .vgpr_spill_count: 0
    .wavefront_size: 32
    .workgroup_processor_mode: 1
  - .args:
      - .offset:         0
        .size:           56
        .value_kind:     by_value
    .group_segment_fixed_size: 0
    .kernarg_segment_align: 8
    .kernarg_segment_size: 56
    .language:       OpenCL C
    .language_version:
      - 2
      - 0
    .max_flat_workgroup_size: 128
    .name:           _ZN7rocprim17ROCPRIM_400000_NS6detail17trampoline_kernelINS0_14default_configENS1_38merge_sort_block_merge_config_selectorIlNS0_10empty_typeEEEZZNS1_27merge_sort_block_merge_implIS3_PlPS5_mZN2at6native12_GLOBAL__N_124unique_dim_cuda_templateIfEESt5tupleIJNSA_6TensorESF_SF_EERKSF_lbbbEUlllE_EE10hipError_tT0_T1_T2_jT3_P12ihipStream_tbPNSt15iterator_traitsISL_E10value_typeEPNSR_ISM_E10value_typeEPSN_NS1_7vsmem_tEENKUlT_SL_SM_SN_E_clIS8_S8_S9_S9_EESK_S10_SL_SM_SN_EUlS10_E_NS1_11comp_targetILNS1_3genE0ELNS1_11target_archE4294967295ELNS1_3gpuE0ELNS1_3repE0EEENS1_48merge_mergepath_partition_config_static_selectorELNS0_4arch9wavefront6targetE0EEEvSM_
    .private_segment_fixed_size: 0
    .sgpr_count:     0
    .sgpr_spill_count: 0
    .symbol:         _ZN7rocprim17ROCPRIM_400000_NS6detail17trampoline_kernelINS0_14default_configENS1_38merge_sort_block_merge_config_selectorIlNS0_10empty_typeEEEZZNS1_27merge_sort_block_merge_implIS3_PlPS5_mZN2at6native12_GLOBAL__N_124unique_dim_cuda_templateIfEESt5tupleIJNSA_6TensorESF_SF_EERKSF_lbbbEUlllE_EE10hipError_tT0_T1_T2_jT3_P12ihipStream_tbPNSt15iterator_traitsISL_E10value_typeEPNSR_ISM_E10value_typeEPSN_NS1_7vsmem_tEENKUlT_SL_SM_SN_E_clIS8_S8_S9_S9_EESK_S10_SL_SM_SN_EUlS10_E_NS1_11comp_targetILNS1_3genE0ELNS1_11target_archE4294967295ELNS1_3gpuE0ELNS1_3repE0EEENS1_48merge_mergepath_partition_config_static_selectorELNS0_4arch9wavefront6targetE0EEEvSM_.kd
    .uniform_work_group_size: 1
    .uses_dynamic_stack: false
    .vgpr_count:     0
    .vgpr_spill_count: 0
    .wavefront_size: 32
    .workgroup_processor_mode: 1
  - .args:
      - .offset:         0
        .size:           56
        .value_kind:     by_value
    .group_segment_fixed_size: 0
    .kernarg_segment_align: 8
    .kernarg_segment_size: 56
    .language:       OpenCL C
    .language_version:
      - 2
      - 0
    .max_flat_workgroup_size: 128
    .name:           _ZN7rocprim17ROCPRIM_400000_NS6detail17trampoline_kernelINS0_14default_configENS1_38merge_sort_block_merge_config_selectorIlNS0_10empty_typeEEEZZNS1_27merge_sort_block_merge_implIS3_PlPS5_mZN2at6native12_GLOBAL__N_124unique_dim_cuda_templateIfEESt5tupleIJNSA_6TensorESF_SF_EERKSF_lbbbEUlllE_EE10hipError_tT0_T1_T2_jT3_P12ihipStream_tbPNSt15iterator_traitsISL_E10value_typeEPNSR_ISM_E10value_typeEPSN_NS1_7vsmem_tEENKUlT_SL_SM_SN_E_clIS8_S8_S9_S9_EESK_S10_SL_SM_SN_EUlS10_E_NS1_11comp_targetILNS1_3genE10ELNS1_11target_archE1201ELNS1_3gpuE5ELNS1_3repE0EEENS1_48merge_mergepath_partition_config_static_selectorELNS0_4arch9wavefront6targetE0EEEvSM_
    .private_segment_fixed_size: 0
    .sgpr_count:     0
    .sgpr_spill_count: 0
    .symbol:         _ZN7rocprim17ROCPRIM_400000_NS6detail17trampoline_kernelINS0_14default_configENS1_38merge_sort_block_merge_config_selectorIlNS0_10empty_typeEEEZZNS1_27merge_sort_block_merge_implIS3_PlPS5_mZN2at6native12_GLOBAL__N_124unique_dim_cuda_templateIfEESt5tupleIJNSA_6TensorESF_SF_EERKSF_lbbbEUlllE_EE10hipError_tT0_T1_T2_jT3_P12ihipStream_tbPNSt15iterator_traitsISL_E10value_typeEPNSR_ISM_E10value_typeEPSN_NS1_7vsmem_tEENKUlT_SL_SM_SN_E_clIS8_S8_S9_S9_EESK_S10_SL_SM_SN_EUlS10_E_NS1_11comp_targetILNS1_3genE10ELNS1_11target_archE1201ELNS1_3gpuE5ELNS1_3repE0EEENS1_48merge_mergepath_partition_config_static_selectorELNS0_4arch9wavefront6targetE0EEEvSM_.kd
    .uniform_work_group_size: 1
    .uses_dynamic_stack: false
    .vgpr_count:     0
    .vgpr_spill_count: 0
    .wavefront_size: 32
    .workgroup_processor_mode: 1
  - .args:
      - .offset:         0
        .size:           56
        .value_kind:     by_value
    .group_segment_fixed_size: 0
    .kernarg_segment_align: 8
    .kernarg_segment_size: 56
    .language:       OpenCL C
    .language_version:
      - 2
      - 0
    .max_flat_workgroup_size: 128
    .name:           _ZN7rocprim17ROCPRIM_400000_NS6detail17trampoline_kernelINS0_14default_configENS1_38merge_sort_block_merge_config_selectorIlNS0_10empty_typeEEEZZNS1_27merge_sort_block_merge_implIS3_PlPS5_mZN2at6native12_GLOBAL__N_124unique_dim_cuda_templateIfEESt5tupleIJNSA_6TensorESF_SF_EERKSF_lbbbEUlllE_EE10hipError_tT0_T1_T2_jT3_P12ihipStream_tbPNSt15iterator_traitsISL_E10value_typeEPNSR_ISM_E10value_typeEPSN_NS1_7vsmem_tEENKUlT_SL_SM_SN_E_clIS8_S8_S9_S9_EESK_S10_SL_SM_SN_EUlS10_E_NS1_11comp_targetILNS1_3genE5ELNS1_11target_archE942ELNS1_3gpuE9ELNS1_3repE0EEENS1_48merge_mergepath_partition_config_static_selectorELNS0_4arch9wavefront6targetE0EEEvSM_
    .private_segment_fixed_size: 0
    .sgpr_count:     0
    .sgpr_spill_count: 0
    .symbol:         _ZN7rocprim17ROCPRIM_400000_NS6detail17trampoline_kernelINS0_14default_configENS1_38merge_sort_block_merge_config_selectorIlNS0_10empty_typeEEEZZNS1_27merge_sort_block_merge_implIS3_PlPS5_mZN2at6native12_GLOBAL__N_124unique_dim_cuda_templateIfEESt5tupleIJNSA_6TensorESF_SF_EERKSF_lbbbEUlllE_EE10hipError_tT0_T1_T2_jT3_P12ihipStream_tbPNSt15iterator_traitsISL_E10value_typeEPNSR_ISM_E10value_typeEPSN_NS1_7vsmem_tEENKUlT_SL_SM_SN_E_clIS8_S8_S9_S9_EESK_S10_SL_SM_SN_EUlS10_E_NS1_11comp_targetILNS1_3genE5ELNS1_11target_archE942ELNS1_3gpuE9ELNS1_3repE0EEENS1_48merge_mergepath_partition_config_static_selectorELNS0_4arch9wavefront6targetE0EEEvSM_.kd
    .uniform_work_group_size: 1
    .uses_dynamic_stack: false
    .vgpr_count:     0
    .vgpr_spill_count: 0
    .wavefront_size: 32
    .workgroup_processor_mode: 1
  - .args:
      - .offset:         0
        .size:           56
        .value_kind:     by_value
    .group_segment_fixed_size: 0
    .kernarg_segment_align: 8
    .kernarg_segment_size: 56
    .language:       OpenCL C
    .language_version:
      - 2
      - 0
    .max_flat_workgroup_size: 128
    .name:           _ZN7rocprim17ROCPRIM_400000_NS6detail17trampoline_kernelINS0_14default_configENS1_38merge_sort_block_merge_config_selectorIlNS0_10empty_typeEEEZZNS1_27merge_sort_block_merge_implIS3_PlPS5_mZN2at6native12_GLOBAL__N_124unique_dim_cuda_templateIfEESt5tupleIJNSA_6TensorESF_SF_EERKSF_lbbbEUlllE_EE10hipError_tT0_T1_T2_jT3_P12ihipStream_tbPNSt15iterator_traitsISL_E10value_typeEPNSR_ISM_E10value_typeEPSN_NS1_7vsmem_tEENKUlT_SL_SM_SN_E_clIS8_S8_S9_S9_EESK_S10_SL_SM_SN_EUlS10_E_NS1_11comp_targetILNS1_3genE4ELNS1_11target_archE910ELNS1_3gpuE8ELNS1_3repE0EEENS1_48merge_mergepath_partition_config_static_selectorELNS0_4arch9wavefront6targetE0EEEvSM_
    .private_segment_fixed_size: 0
    .sgpr_count:     0
    .sgpr_spill_count: 0
    .symbol:         _ZN7rocprim17ROCPRIM_400000_NS6detail17trampoline_kernelINS0_14default_configENS1_38merge_sort_block_merge_config_selectorIlNS0_10empty_typeEEEZZNS1_27merge_sort_block_merge_implIS3_PlPS5_mZN2at6native12_GLOBAL__N_124unique_dim_cuda_templateIfEESt5tupleIJNSA_6TensorESF_SF_EERKSF_lbbbEUlllE_EE10hipError_tT0_T1_T2_jT3_P12ihipStream_tbPNSt15iterator_traitsISL_E10value_typeEPNSR_ISM_E10value_typeEPSN_NS1_7vsmem_tEENKUlT_SL_SM_SN_E_clIS8_S8_S9_S9_EESK_S10_SL_SM_SN_EUlS10_E_NS1_11comp_targetILNS1_3genE4ELNS1_11target_archE910ELNS1_3gpuE8ELNS1_3repE0EEENS1_48merge_mergepath_partition_config_static_selectorELNS0_4arch9wavefront6targetE0EEEvSM_.kd
    .uniform_work_group_size: 1
    .uses_dynamic_stack: false
    .vgpr_count:     0
    .vgpr_spill_count: 0
    .wavefront_size: 32
    .workgroup_processor_mode: 1
  - .args:
      - .offset:         0
        .size:           56
        .value_kind:     by_value
    .group_segment_fixed_size: 0
    .kernarg_segment_align: 8
    .kernarg_segment_size: 56
    .language:       OpenCL C
    .language_version:
      - 2
      - 0
    .max_flat_workgroup_size: 128
    .name:           _ZN7rocprim17ROCPRIM_400000_NS6detail17trampoline_kernelINS0_14default_configENS1_38merge_sort_block_merge_config_selectorIlNS0_10empty_typeEEEZZNS1_27merge_sort_block_merge_implIS3_PlPS5_mZN2at6native12_GLOBAL__N_124unique_dim_cuda_templateIfEESt5tupleIJNSA_6TensorESF_SF_EERKSF_lbbbEUlllE_EE10hipError_tT0_T1_T2_jT3_P12ihipStream_tbPNSt15iterator_traitsISL_E10value_typeEPNSR_ISM_E10value_typeEPSN_NS1_7vsmem_tEENKUlT_SL_SM_SN_E_clIS8_S8_S9_S9_EESK_S10_SL_SM_SN_EUlS10_E_NS1_11comp_targetILNS1_3genE3ELNS1_11target_archE908ELNS1_3gpuE7ELNS1_3repE0EEENS1_48merge_mergepath_partition_config_static_selectorELNS0_4arch9wavefront6targetE0EEEvSM_
    .private_segment_fixed_size: 0
    .sgpr_count:     0
    .sgpr_spill_count: 0
    .symbol:         _ZN7rocprim17ROCPRIM_400000_NS6detail17trampoline_kernelINS0_14default_configENS1_38merge_sort_block_merge_config_selectorIlNS0_10empty_typeEEEZZNS1_27merge_sort_block_merge_implIS3_PlPS5_mZN2at6native12_GLOBAL__N_124unique_dim_cuda_templateIfEESt5tupleIJNSA_6TensorESF_SF_EERKSF_lbbbEUlllE_EE10hipError_tT0_T1_T2_jT3_P12ihipStream_tbPNSt15iterator_traitsISL_E10value_typeEPNSR_ISM_E10value_typeEPSN_NS1_7vsmem_tEENKUlT_SL_SM_SN_E_clIS8_S8_S9_S9_EESK_S10_SL_SM_SN_EUlS10_E_NS1_11comp_targetILNS1_3genE3ELNS1_11target_archE908ELNS1_3gpuE7ELNS1_3repE0EEENS1_48merge_mergepath_partition_config_static_selectorELNS0_4arch9wavefront6targetE0EEEvSM_.kd
    .uniform_work_group_size: 1
    .uses_dynamic_stack: false
    .vgpr_count:     0
    .vgpr_spill_count: 0
    .wavefront_size: 32
    .workgroup_processor_mode: 1
  - .args:
      - .offset:         0
        .size:           56
        .value_kind:     by_value
    .group_segment_fixed_size: 0
    .kernarg_segment_align: 8
    .kernarg_segment_size: 56
    .language:       OpenCL C
    .language_version:
      - 2
      - 0
    .max_flat_workgroup_size: 128
    .name:           _ZN7rocprim17ROCPRIM_400000_NS6detail17trampoline_kernelINS0_14default_configENS1_38merge_sort_block_merge_config_selectorIlNS0_10empty_typeEEEZZNS1_27merge_sort_block_merge_implIS3_PlPS5_mZN2at6native12_GLOBAL__N_124unique_dim_cuda_templateIfEESt5tupleIJNSA_6TensorESF_SF_EERKSF_lbbbEUlllE_EE10hipError_tT0_T1_T2_jT3_P12ihipStream_tbPNSt15iterator_traitsISL_E10value_typeEPNSR_ISM_E10value_typeEPSN_NS1_7vsmem_tEENKUlT_SL_SM_SN_E_clIS8_S8_S9_S9_EESK_S10_SL_SM_SN_EUlS10_E_NS1_11comp_targetILNS1_3genE2ELNS1_11target_archE906ELNS1_3gpuE6ELNS1_3repE0EEENS1_48merge_mergepath_partition_config_static_selectorELNS0_4arch9wavefront6targetE0EEEvSM_
    .private_segment_fixed_size: 0
    .sgpr_count:     0
    .sgpr_spill_count: 0
    .symbol:         _ZN7rocprim17ROCPRIM_400000_NS6detail17trampoline_kernelINS0_14default_configENS1_38merge_sort_block_merge_config_selectorIlNS0_10empty_typeEEEZZNS1_27merge_sort_block_merge_implIS3_PlPS5_mZN2at6native12_GLOBAL__N_124unique_dim_cuda_templateIfEESt5tupleIJNSA_6TensorESF_SF_EERKSF_lbbbEUlllE_EE10hipError_tT0_T1_T2_jT3_P12ihipStream_tbPNSt15iterator_traitsISL_E10value_typeEPNSR_ISM_E10value_typeEPSN_NS1_7vsmem_tEENKUlT_SL_SM_SN_E_clIS8_S8_S9_S9_EESK_S10_SL_SM_SN_EUlS10_E_NS1_11comp_targetILNS1_3genE2ELNS1_11target_archE906ELNS1_3gpuE6ELNS1_3repE0EEENS1_48merge_mergepath_partition_config_static_selectorELNS0_4arch9wavefront6targetE0EEEvSM_.kd
    .uniform_work_group_size: 1
    .uses_dynamic_stack: false
    .vgpr_count:     0
    .vgpr_spill_count: 0
    .wavefront_size: 32
    .workgroup_processor_mode: 1
  - .args:
      - .offset:         0
        .size:           56
        .value_kind:     by_value
    .group_segment_fixed_size: 0
    .kernarg_segment_align: 8
    .kernarg_segment_size: 56
    .language:       OpenCL C
    .language_version:
      - 2
      - 0
    .max_flat_workgroup_size: 128
    .name:           _ZN7rocprim17ROCPRIM_400000_NS6detail17trampoline_kernelINS0_14default_configENS1_38merge_sort_block_merge_config_selectorIlNS0_10empty_typeEEEZZNS1_27merge_sort_block_merge_implIS3_PlPS5_mZN2at6native12_GLOBAL__N_124unique_dim_cuda_templateIfEESt5tupleIJNSA_6TensorESF_SF_EERKSF_lbbbEUlllE_EE10hipError_tT0_T1_T2_jT3_P12ihipStream_tbPNSt15iterator_traitsISL_E10value_typeEPNSR_ISM_E10value_typeEPSN_NS1_7vsmem_tEENKUlT_SL_SM_SN_E_clIS8_S8_S9_S9_EESK_S10_SL_SM_SN_EUlS10_E_NS1_11comp_targetILNS1_3genE9ELNS1_11target_archE1100ELNS1_3gpuE3ELNS1_3repE0EEENS1_48merge_mergepath_partition_config_static_selectorELNS0_4arch9wavefront6targetE0EEEvSM_
    .private_segment_fixed_size: 0
    .sgpr_count:     23
    .sgpr_spill_count: 0
    .symbol:         _ZN7rocprim17ROCPRIM_400000_NS6detail17trampoline_kernelINS0_14default_configENS1_38merge_sort_block_merge_config_selectorIlNS0_10empty_typeEEEZZNS1_27merge_sort_block_merge_implIS3_PlPS5_mZN2at6native12_GLOBAL__N_124unique_dim_cuda_templateIfEESt5tupleIJNSA_6TensorESF_SF_EERKSF_lbbbEUlllE_EE10hipError_tT0_T1_T2_jT3_P12ihipStream_tbPNSt15iterator_traitsISL_E10value_typeEPNSR_ISM_E10value_typeEPSN_NS1_7vsmem_tEENKUlT_SL_SM_SN_E_clIS8_S8_S9_S9_EESK_S10_SL_SM_SN_EUlS10_E_NS1_11comp_targetILNS1_3genE9ELNS1_11target_archE1100ELNS1_3gpuE3ELNS1_3repE0EEENS1_48merge_mergepath_partition_config_static_selectorELNS0_4arch9wavefront6targetE0EEEvSM_.kd
    .uniform_work_group_size: 1
    .uses_dynamic_stack: false
    .vgpr_count:     22
    .vgpr_spill_count: 0
    .wavefront_size: 32
    .workgroup_processor_mode: 1
  - .args:
      - .offset:         0
        .size:           56
        .value_kind:     by_value
    .group_segment_fixed_size: 0
    .kernarg_segment_align: 8
    .kernarg_segment_size: 56
    .language:       OpenCL C
    .language_version:
      - 2
      - 0
    .max_flat_workgroup_size: 128
    .name:           _ZN7rocprim17ROCPRIM_400000_NS6detail17trampoline_kernelINS0_14default_configENS1_38merge_sort_block_merge_config_selectorIlNS0_10empty_typeEEEZZNS1_27merge_sort_block_merge_implIS3_PlPS5_mZN2at6native12_GLOBAL__N_124unique_dim_cuda_templateIfEESt5tupleIJNSA_6TensorESF_SF_EERKSF_lbbbEUlllE_EE10hipError_tT0_T1_T2_jT3_P12ihipStream_tbPNSt15iterator_traitsISL_E10value_typeEPNSR_ISM_E10value_typeEPSN_NS1_7vsmem_tEENKUlT_SL_SM_SN_E_clIS8_S8_S9_S9_EESK_S10_SL_SM_SN_EUlS10_E_NS1_11comp_targetILNS1_3genE8ELNS1_11target_archE1030ELNS1_3gpuE2ELNS1_3repE0EEENS1_48merge_mergepath_partition_config_static_selectorELNS0_4arch9wavefront6targetE0EEEvSM_
    .private_segment_fixed_size: 0
    .sgpr_count:     0
    .sgpr_spill_count: 0
    .symbol:         _ZN7rocprim17ROCPRIM_400000_NS6detail17trampoline_kernelINS0_14default_configENS1_38merge_sort_block_merge_config_selectorIlNS0_10empty_typeEEEZZNS1_27merge_sort_block_merge_implIS3_PlPS5_mZN2at6native12_GLOBAL__N_124unique_dim_cuda_templateIfEESt5tupleIJNSA_6TensorESF_SF_EERKSF_lbbbEUlllE_EE10hipError_tT0_T1_T2_jT3_P12ihipStream_tbPNSt15iterator_traitsISL_E10value_typeEPNSR_ISM_E10value_typeEPSN_NS1_7vsmem_tEENKUlT_SL_SM_SN_E_clIS8_S8_S9_S9_EESK_S10_SL_SM_SN_EUlS10_E_NS1_11comp_targetILNS1_3genE8ELNS1_11target_archE1030ELNS1_3gpuE2ELNS1_3repE0EEENS1_48merge_mergepath_partition_config_static_selectorELNS0_4arch9wavefront6targetE0EEEvSM_.kd
    .uniform_work_group_size: 1
    .uses_dynamic_stack: false
    .vgpr_count:     0
    .vgpr_spill_count: 0
    .wavefront_size: 32
    .workgroup_processor_mode: 1
  - .args:
      - .offset:         0
        .size:           88
        .value_kind:     by_value
    .group_segment_fixed_size: 0
    .kernarg_segment_align: 8
    .kernarg_segment_size: 88
    .language:       OpenCL C
    .language_version:
      - 2
      - 0
    .max_flat_workgroup_size: 128
    .name:           _ZN7rocprim17ROCPRIM_400000_NS6detail17trampoline_kernelINS0_14default_configENS1_38merge_sort_block_merge_config_selectorIlNS0_10empty_typeEEEZZNS1_27merge_sort_block_merge_implIS3_PlPS5_mZN2at6native12_GLOBAL__N_124unique_dim_cuda_templateIfEESt5tupleIJNSA_6TensorESF_SF_EERKSF_lbbbEUlllE_EE10hipError_tT0_T1_T2_jT3_P12ihipStream_tbPNSt15iterator_traitsISL_E10value_typeEPNSR_ISM_E10value_typeEPSN_NS1_7vsmem_tEENKUlT_SL_SM_SN_E_clIS8_S8_S9_S9_EESK_S10_SL_SM_SN_EUlS10_E0_NS1_11comp_targetILNS1_3genE0ELNS1_11target_archE4294967295ELNS1_3gpuE0ELNS1_3repE0EEENS1_38merge_mergepath_config_static_selectorELNS0_4arch9wavefront6targetE0EEEvSM_
    .private_segment_fixed_size: 0
    .sgpr_count:     0
    .sgpr_spill_count: 0
    .symbol:         _ZN7rocprim17ROCPRIM_400000_NS6detail17trampoline_kernelINS0_14default_configENS1_38merge_sort_block_merge_config_selectorIlNS0_10empty_typeEEEZZNS1_27merge_sort_block_merge_implIS3_PlPS5_mZN2at6native12_GLOBAL__N_124unique_dim_cuda_templateIfEESt5tupleIJNSA_6TensorESF_SF_EERKSF_lbbbEUlllE_EE10hipError_tT0_T1_T2_jT3_P12ihipStream_tbPNSt15iterator_traitsISL_E10value_typeEPNSR_ISM_E10value_typeEPSN_NS1_7vsmem_tEENKUlT_SL_SM_SN_E_clIS8_S8_S9_S9_EESK_S10_SL_SM_SN_EUlS10_E0_NS1_11comp_targetILNS1_3genE0ELNS1_11target_archE4294967295ELNS1_3gpuE0ELNS1_3repE0EEENS1_38merge_mergepath_config_static_selectorELNS0_4arch9wavefront6targetE0EEEvSM_.kd
    .uniform_work_group_size: 1
    .uses_dynamic_stack: false
    .vgpr_count:     0
    .vgpr_spill_count: 0
    .wavefront_size: 32
    .workgroup_processor_mode: 1
  - .args:
      - .offset:         0
        .size:           88
        .value_kind:     by_value
    .group_segment_fixed_size: 0
    .kernarg_segment_align: 8
    .kernarg_segment_size: 88
    .language:       OpenCL C
    .language_version:
      - 2
      - 0
    .max_flat_workgroup_size: 512
    .name:           _ZN7rocprim17ROCPRIM_400000_NS6detail17trampoline_kernelINS0_14default_configENS1_38merge_sort_block_merge_config_selectorIlNS0_10empty_typeEEEZZNS1_27merge_sort_block_merge_implIS3_PlPS5_mZN2at6native12_GLOBAL__N_124unique_dim_cuda_templateIfEESt5tupleIJNSA_6TensorESF_SF_EERKSF_lbbbEUlllE_EE10hipError_tT0_T1_T2_jT3_P12ihipStream_tbPNSt15iterator_traitsISL_E10value_typeEPNSR_ISM_E10value_typeEPSN_NS1_7vsmem_tEENKUlT_SL_SM_SN_E_clIS8_S8_S9_S9_EESK_S10_SL_SM_SN_EUlS10_E0_NS1_11comp_targetILNS1_3genE10ELNS1_11target_archE1201ELNS1_3gpuE5ELNS1_3repE0EEENS1_38merge_mergepath_config_static_selectorELNS0_4arch9wavefront6targetE0EEEvSM_
    .private_segment_fixed_size: 0
    .sgpr_count:     0
    .sgpr_spill_count: 0
    .symbol:         _ZN7rocprim17ROCPRIM_400000_NS6detail17trampoline_kernelINS0_14default_configENS1_38merge_sort_block_merge_config_selectorIlNS0_10empty_typeEEEZZNS1_27merge_sort_block_merge_implIS3_PlPS5_mZN2at6native12_GLOBAL__N_124unique_dim_cuda_templateIfEESt5tupleIJNSA_6TensorESF_SF_EERKSF_lbbbEUlllE_EE10hipError_tT0_T1_T2_jT3_P12ihipStream_tbPNSt15iterator_traitsISL_E10value_typeEPNSR_ISM_E10value_typeEPSN_NS1_7vsmem_tEENKUlT_SL_SM_SN_E_clIS8_S8_S9_S9_EESK_S10_SL_SM_SN_EUlS10_E0_NS1_11comp_targetILNS1_3genE10ELNS1_11target_archE1201ELNS1_3gpuE5ELNS1_3repE0EEENS1_38merge_mergepath_config_static_selectorELNS0_4arch9wavefront6targetE0EEEvSM_.kd
    .uniform_work_group_size: 1
    .uses_dynamic_stack: false
    .vgpr_count:     0
    .vgpr_spill_count: 0
    .wavefront_size: 32
    .workgroup_processor_mode: 1
  - .args:
      - .offset:         0
        .size:           88
        .value_kind:     by_value
    .group_segment_fixed_size: 0
    .kernarg_segment_align: 8
    .kernarg_segment_size: 88
    .language:       OpenCL C
    .language_version:
      - 2
      - 0
    .max_flat_workgroup_size: 128
    .name:           _ZN7rocprim17ROCPRIM_400000_NS6detail17trampoline_kernelINS0_14default_configENS1_38merge_sort_block_merge_config_selectorIlNS0_10empty_typeEEEZZNS1_27merge_sort_block_merge_implIS3_PlPS5_mZN2at6native12_GLOBAL__N_124unique_dim_cuda_templateIfEESt5tupleIJNSA_6TensorESF_SF_EERKSF_lbbbEUlllE_EE10hipError_tT0_T1_T2_jT3_P12ihipStream_tbPNSt15iterator_traitsISL_E10value_typeEPNSR_ISM_E10value_typeEPSN_NS1_7vsmem_tEENKUlT_SL_SM_SN_E_clIS8_S8_S9_S9_EESK_S10_SL_SM_SN_EUlS10_E0_NS1_11comp_targetILNS1_3genE5ELNS1_11target_archE942ELNS1_3gpuE9ELNS1_3repE0EEENS1_38merge_mergepath_config_static_selectorELNS0_4arch9wavefront6targetE0EEEvSM_
    .private_segment_fixed_size: 0
    .sgpr_count:     0
    .sgpr_spill_count: 0
    .symbol:         _ZN7rocprim17ROCPRIM_400000_NS6detail17trampoline_kernelINS0_14default_configENS1_38merge_sort_block_merge_config_selectorIlNS0_10empty_typeEEEZZNS1_27merge_sort_block_merge_implIS3_PlPS5_mZN2at6native12_GLOBAL__N_124unique_dim_cuda_templateIfEESt5tupleIJNSA_6TensorESF_SF_EERKSF_lbbbEUlllE_EE10hipError_tT0_T1_T2_jT3_P12ihipStream_tbPNSt15iterator_traitsISL_E10value_typeEPNSR_ISM_E10value_typeEPSN_NS1_7vsmem_tEENKUlT_SL_SM_SN_E_clIS8_S8_S9_S9_EESK_S10_SL_SM_SN_EUlS10_E0_NS1_11comp_targetILNS1_3genE5ELNS1_11target_archE942ELNS1_3gpuE9ELNS1_3repE0EEENS1_38merge_mergepath_config_static_selectorELNS0_4arch9wavefront6targetE0EEEvSM_.kd
    .uniform_work_group_size: 1
    .uses_dynamic_stack: false
    .vgpr_count:     0
    .vgpr_spill_count: 0
    .wavefront_size: 32
    .workgroup_processor_mode: 1
  - .args:
      - .offset:         0
        .size:           88
        .value_kind:     by_value
    .group_segment_fixed_size: 0
    .kernarg_segment_align: 8
    .kernarg_segment_size: 88
    .language:       OpenCL C
    .language_version:
      - 2
      - 0
    .max_flat_workgroup_size: 256
    .name:           _ZN7rocprim17ROCPRIM_400000_NS6detail17trampoline_kernelINS0_14default_configENS1_38merge_sort_block_merge_config_selectorIlNS0_10empty_typeEEEZZNS1_27merge_sort_block_merge_implIS3_PlPS5_mZN2at6native12_GLOBAL__N_124unique_dim_cuda_templateIfEESt5tupleIJNSA_6TensorESF_SF_EERKSF_lbbbEUlllE_EE10hipError_tT0_T1_T2_jT3_P12ihipStream_tbPNSt15iterator_traitsISL_E10value_typeEPNSR_ISM_E10value_typeEPSN_NS1_7vsmem_tEENKUlT_SL_SM_SN_E_clIS8_S8_S9_S9_EESK_S10_SL_SM_SN_EUlS10_E0_NS1_11comp_targetILNS1_3genE4ELNS1_11target_archE910ELNS1_3gpuE8ELNS1_3repE0EEENS1_38merge_mergepath_config_static_selectorELNS0_4arch9wavefront6targetE0EEEvSM_
    .private_segment_fixed_size: 0
    .sgpr_count:     0
    .sgpr_spill_count: 0
    .symbol:         _ZN7rocprim17ROCPRIM_400000_NS6detail17trampoline_kernelINS0_14default_configENS1_38merge_sort_block_merge_config_selectorIlNS0_10empty_typeEEEZZNS1_27merge_sort_block_merge_implIS3_PlPS5_mZN2at6native12_GLOBAL__N_124unique_dim_cuda_templateIfEESt5tupleIJNSA_6TensorESF_SF_EERKSF_lbbbEUlllE_EE10hipError_tT0_T1_T2_jT3_P12ihipStream_tbPNSt15iterator_traitsISL_E10value_typeEPNSR_ISM_E10value_typeEPSN_NS1_7vsmem_tEENKUlT_SL_SM_SN_E_clIS8_S8_S9_S9_EESK_S10_SL_SM_SN_EUlS10_E0_NS1_11comp_targetILNS1_3genE4ELNS1_11target_archE910ELNS1_3gpuE8ELNS1_3repE0EEENS1_38merge_mergepath_config_static_selectorELNS0_4arch9wavefront6targetE0EEEvSM_.kd
    .uniform_work_group_size: 1
    .uses_dynamic_stack: false
    .vgpr_count:     0
    .vgpr_spill_count: 0
    .wavefront_size: 32
    .workgroup_processor_mode: 1
  - .args:
      - .offset:         0
        .size:           88
        .value_kind:     by_value
    .group_segment_fixed_size: 0
    .kernarg_segment_align: 8
    .kernarg_segment_size: 88
    .language:       OpenCL C
    .language_version:
      - 2
      - 0
    .max_flat_workgroup_size: 128
    .name:           _ZN7rocprim17ROCPRIM_400000_NS6detail17trampoline_kernelINS0_14default_configENS1_38merge_sort_block_merge_config_selectorIlNS0_10empty_typeEEEZZNS1_27merge_sort_block_merge_implIS3_PlPS5_mZN2at6native12_GLOBAL__N_124unique_dim_cuda_templateIfEESt5tupleIJNSA_6TensorESF_SF_EERKSF_lbbbEUlllE_EE10hipError_tT0_T1_T2_jT3_P12ihipStream_tbPNSt15iterator_traitsISL_E10value_typeEPNSR_ISM_E10value_typeEPSN_NS1_7vsmem_tEENKUlT_SL_SM_SN_E_clIS8_S8_S9_S9_EESK_S10_SL_SM_SN_EUlS10_E0_NS1_11comp_targetILNS1_3genE3ELNS1_11target_archE908ELNS1_3gpuE7ELNS1_3repE0EEENS1_38merge_mergepath_config_static_selectorELNS0_4arch9wavefront6targetE0EEEvSM_
    .private_segment_fixed_size: 0
    .sgpr_count:     0
    .sgpr_spill_count: 0
    .symbol:         _ZN7rocprim17ROCPRIM_400000_NS6detail17trampoline_kernelINS0_14default_configENS1_38merge_sort_block_merge_config_selectorIlNS0_10empty_typeEEEZZNS1_27merge_sort_block_merge_implIS3_PlPS5_mZN2at6native12_GLOBAL__N_124unique_dim_cuda_templateIfEESt5tupleIJNSA_6TensorESF_SF_EERKSF_lbbbEUlllE_EE10hipError_tT0_T1_T2_jT3_P12ihipStream_tbPNSt15iterator_traitsISL_E10value_typeEPNSR_ISM_E10value_typeEPSN_NS1_7vsmem_tEENKUlT_SL_SM_SN_E_clIS8_S8_S9_S9_EESK_S10_SL_SM_SN_EUlS10_E0_NS1_11comp_targetILNS1_3genE3ELNS1_11target_archE908ELNS1_3gpuE7ELNS1_3repE0EEENS1_38merge_mergepath_config_static_selectorELNS0_4arch9wavefront6targetE0EEEvSM_.kd
    .uniform_work_group_size: 1
    .uses_dynamic_stack: false
    .vgpr_count:     0
    .vgpr_spill_count: 0
    .wavefront_size: 32
    .workgroup_processor_mode: 1
  - .args:
      - .offset:         0
        .size:           88
        .value_kind:     by_value
    .group_segment_fixed_size: 0
    .kernarg_segment_align: 8
    .kernarg_segment_size: 88
    .language:       OpenCL C
    .language_version:
      - 2
      - 0
    .max_flat_workgroup_size: 256
    .name:           _ZN7rocprim17ROCPRIM_400000_NS6detail17trampoline_kernelINS0_14default_configENS1_38merge_sort_block_merge_config_selectorIlNS0_10empty_typeEEEZZNS1_27merge_sort_block_merge_implIS3_PlPS5_mZN2at6native12_GLOBAL__N_124unique_dim_cuda_templateIfEESt5tupleIJNSA_6TensorESF_SF_EERKSF_lbbbEUlllE_EE10hipError_tT0_T1_T2_jT3_P12ihipStream_tbPNSt15iterator_traitsISL_E10value_typeEPNSR_ISM_E10value_typeEPSN_NS1_7vsmem_tEENKUlT_SL_SM_SN_E_clIS8_S8_S9_S9_EESK_S10_SL_SM_SN_EUlS10_E0_NS1_11comp_targetILNS1_3genE2ELNS1_11target_archE906ELNS1_3gpuE6ELNS1_3repE0EEENS1_38merge_mergepath_config_static_selectorELNS0_4arch9wavefront6targetE0EEEvSM_
    .private_segment_fixed_size: 0
    .sgpr_count:     0
    .sgpr_spill_count: 0
    .symbol:         _ZN7rocprim17ROCPRIM_400000_NS6detail17trampoline_kernelINS0_14default_configENS1_38merge_sort_block_merge_config_selectorIlNS0_10empty_typeEEEZZNS1_27merge_sort_block_merge_implIS3_PlPS5_mZN2at6native12_GLOBAL__N_124unique_dim_cuda_templateIfEESt5tupleIJNSA_6TensorESF_SF_EERKSF_lbbbEUlllE_EE10hipError_tT0_T1_T2_jT3_P12ihipStream_tbPNSt15iterator_traitsISL_E10value_typeEPNSR_ISM_E10value_typeEPSN_NS1_7vsmem_tEENKUlT_SL_SM_SN_E_clIS8_S8_S9_S9_EESK_S10_SL_SM_SN_EUlS10_E0_NS1_11comp_targetILNS1_3genE2ELNS1_11target_archE906ELNS1_3gpuE6ELNS1_3repE0EEENS1_38merge_mergepath_config_static_selectorELNS0_4arch9wavefront6targetE0EEEvSM_.kd
    .uniform_work_group_size: 1
    .uses_dynamic_stack: false
    .vgpr_count:     0
    .vgpr_spill_count: 0
    .wavefront_size: 32
    .workgroup_processor_mode: 1
  - .args:
      - .offset:         0
        .size:           88
        .value_kind:     by_value
      - .offset:         88
        .size:           4
        .value_kind:     hidden_block_count_x
      - .offset:         92
        .size:           4
        .value_kind:     hidden_block_count_y
      - .offset:         96
        .size:           4
        .value_kind:     hidden_block_count_z
      - .offset:         100
        .size:           2
        .value_kind:     hidden_group_size_x
      - .offset:         102
        .size:           2
        .value_kind:     hidden_group_size_y
      - .offset:         104
        .size:           2
        .value_kind:     hidden_group_size_z
      - .offset:         106
        .size:           2
        .value_kind:     hidden_remainder_x
      - .offset:         108
        .size:           2
        .value_kind:     hidden_remainder_y
      - .offset:         110
        .size:           2
        .value_kind:     hidden_remainder_z
      - .offset:         128
        .size:           8
        .value_kind:     hidden_global_offset_x
      - .offset:         136
        .size:           8
        .value_kind:     hidden_global_offset_y
      - .offset:         144
        .size:           8
        .value_kind:     hidden_global_offset_z
      - .offset:         152
        .size:           2
        .value_kind:     hidden_grid_dims
    .group_segment_fixed_size: 8448
    .kernarg_segment_align: 8
    .kernarg_segment_size: 344
    .language:       OpenCL C
    .language_version:
      - 2
      - 0
    .max_flat_workgroup_size: 512
    .name:           _ZN7rocprim17ROCPRIM_400000_NS6detail17trampoline_kernelINS0_14default_configENS1_38merge_sort_block_merge_config_selectorIlNS0_10empty_typeEEEZZNS1_27merge_sort_block_merge_implIS3_PlPS5_mZN2at6native12_GLOBAL__N_124unique_dim_cuda_templateIfEESt5tupleIJNSA_6TensorESF_SF_EERKSF_lbbbEUlllE_EE10hipError_tT0_T1_T2_jT3_P12ihipStream_tbPNSt15iterator_traitsISL_E10value_typeEPNSR_ISM_E10value_typeEPSN_NS1_7vsmem_tEENKUlT_SL_SM_SN_E_clIS8_S8_S9_S9_EESK_S10_SL_SM_SN_EUlS10_E0_NS1_11comp_targetILNS1_3genE9ELNS1_11target_archE1100ELNS1_3gpuE3ELNS1_3repE0EEENS1_38merge_mergepath_config_static_selectorELNS0_4arch9wavefront6targetE0EEEvSM_
    .private_segment_fixed_size: 0
    .sgpr_count:     34
    .sgpr_spill_count: 0
    .symbol:         _ZN7rocprim17ROCPRIM_400000_NS6detail17trampoline_kernelINS0_14default_configENS1_38merge_sort_block_merge_config_selectorIlNS0_10empty_typeEEEZZNS1_27merge_sort_block_merge_implIS3_PlPS5_mZN2at6native12_GLOBAL__N_124unique_dim_cuda_templateIfEESt5tupleIJNSA_6TensorESF_SF_EERKSF_lbbbEUlllE_EE10hipError_tT0_T1_T2_jT3_P12ihipStream_tbPNSt15iterator_traitsISL_E10value_typeEPNSR_ISM_E10value_typeEPSN_NS1_7vsmem_tEENKUlT_SL_SM_SN_E_clIS8_S8_S9_S9_EESK_S10_SL_SM_SN_EUlS10_E0_NS1_11comp_targetILNS1_3genE9ELNS1_11target_archE1100ELNS1_3gpuE3ELNS1_3repE0EEENS1_38merge_mergepath_config_static_selectorELNS0_4arch9wavefront6targetE0EEEvSM_.kd
    .uniform_work_group_size: 1
    .uses_dynamic_stack: false
    .vgpr_count:     21
    .vgpr_spill_count: 0
    .wavefront_size: 32
    .workgroup_processor_mode: 1
  - .args:
      - .offset:         0
        .size:           88
        .value_kind:     by_value
    .group_segment_fixed_size: 0
    .kernarg_segment_align: 8
    .kernarg_segment_size: 88
    .language:       OpenCL C
    .language_version:
      - 2
      - 0
    .max_flat_workgroup_size: 1024
    .name:           _ZN7rocprim17ROCPRIM_400000_NS6detail17trampoline_kernelINS0_14default_configENS1_38merge_sort_block_merge_config_selectorIlNS0_10empty_typeEEEZZNS1_27merge_sort_block_merge_implIS3_PlPS5_mZN2at6native12_GLOBAL__N_124unique_dim_cuda_templateIfEESt5tupleIJNSA_6TensorESF_SF_EERKSF_lbbbEUlllE_EE10hipError_tT0_T1_T2_jT3_P12ihipStream_tbPNSt15iterator_traitsISL_E10value_typeEPNSR_ISM_E10value_typeEPSN_NS1_7vsmem_tEENKUlT_SL_SM_SN_E_clIS8_S8_S9_S9_EESK_S10_SL_SM_SN_EUlS10_E0_NS1_11comp_targetILNS1_3genE8ELNS1_11target_archE1030ELNS1_3gpuE2ELNS1_3repE0EEENS1_38merge_mergepath_config_static_selectorELNS0_4arch9wavefront6targetE0EEEvSM_
    .private_segment_fixed_size: 0
    .sgpr_count:     0
    .sgpr_spill_count: 0
    .symbol:         _ZN7rocprim17ROCPRIM_400000_NS6detail17trampoline_kernelINS0_14default_configENS1_38merge_sort_block_merge_config_selectorIlNS0_10empty_typeEEEZZNS1_27merge_sort_block_merge_implIS3_PlPS5_mZN2at6native12_GLOBAL__N_124unique_dim_cuda_templateIfEESt5tupleIJNSA_6TensorESF_SF_EERKSF_lbbbEUlllE_EE10hipError_tT0_T1_T2_jT3_P12ihipStream_tbPNSt15iterator_traitsISL_E10value_typeEPNSR_ISM_E10value_typeEPSN_NS1_7vsmem_tEENKUlT_SL_SM_SN_E_clIS8_S8_S9_S9_EESK_S10_SL_SM_SN_EUlS10_E0_NS1_11comp_targetILNS1_3genE8ELNS1_11target_archE1030ELNS1_3gpuE2ELNS1_3repE0EEENS1_38merge_mergepath_config_static_selectorELNS0_4arch9wavefront6targetE0EEEvSM_.kd
    .uniform_work_group_size: 1
    .uses_dynamic_stack: false
    .vgpr_count:     0
    .vgpr_spill_count: 0
    .wavefront_size: 32
    .workgroup_processor_mode: 1
  - .args:
      - .offset:         0
        .size:           64
        .value_kind:     by_value
    .group_segment_fixed_size: 0
    .kernarg_segment_align: 8
    .kernarg_segment_size: 64
    .language:       OpenCL C
    .language_version:
      - 2
      - 0
    .max_flat_workgroup_size: 256
    .name:           _ZN7rocprim17ROCPRIM_400000_NS6detail17trampoline_kernelINS0_14default_configENS1_38merge_sort_block_merge_config_selectorIlNS0_10empty_typeEEEZZNS1_27merge_sort_block_merge_implIS3_PlPS5_mZN2at6native12_GLOBAL__N_124unique_dim_cuda_templateIfEESt5tupleIJNSA_6TensorESF_SF_EERKSF_lbbbEUlllE_EE10hipError_tT0_T1_T2_jT3_P12ihipStream_tbPNSt15iterator_traitsISL_E10value_typeEPNSR_ISM_E10value_typeEPSN_NS1_7vsmem_tEENKUlT_SL_SM_SN_E_clIS8_S8_S9_S9_EESK_S10_SL_SM_SN_EUlS10_E1_NS1_11comp_targetILNS1_3genE0ELNS1_11target_archE4294967295ELNS1_3gpuE0ELNS1_3repE0EEENS1_36merge_oddeven_config_static_selectorELNS0_4arch9wavefront6targetE0EEEvSM_
    .private_segment_fixed_size: 0
    .sgpr_count:     0
    .sgpr_spill_count: 0
    .symbol:         _ZN7rocprim17ROCPRIM_400000_NS6detail17trampoline_kernelINS0_14default_configENS1_38merge_sort_block_merge_config_selectorIlNS0_10empty_typeEEEZZNS1_27merge_sort_block_merge_implIS3_PlPS5_mZN2at6native12_GLOBAL__N_124unique_dim_cuda_templateIfEESt5tupleIJNSA_6TensorESF_SF_EERKSF_lbbbEUlllE_EE10hipError_tT0_T1_T2_jT3_P12ihipStream_tbPNSt15iterator_traitsISL_E10value_typeEPNSR_ISM_E10value_typeEPSN_NS1_7vsmem_tEENKUlT_SL_SM_SN_E_clIS8_S8_S9_S9_EESK_S10_SL_SM_SN_EUlS10_E1_NS1_11comp_targetILNS1_3genE0ELNS1_11target_archE4294967295ELNS1_3gpuE0ELNS1_3repE0EEENS1_36merge_oddeven_config_static_selectorELNS0_4arch9wavefront6targetE0EEEvSM_.kd
    .uniform_work_group_size: 1
    .uses_dynamic_stack: false
    .vgpr_count:     0
    .vgpr_spill_count: 0
    .wavefront_size: 32
    .workgroup_processor_mode: 1
  - .args:
      - .offset:         0
        .size:           64
        .value_kind:     by_value
    .group_segment_fixed_size: 0
    .kernarg_segment_align: 8
    .kernarg_segment_size: 64
    .language:       OpenCL C
    .language_version:
      - 2
      - 0
    .max_flat_workgroup_size: 256
    .name:           _ZN7rocprim17ROCPRIM_400000_NS6detail17trampoline_kernelINS0_14default_configENS1_38merge_sort_block_merge_config_selectorIlNS0_10empty_typeEEEZZNS1_27merge_sort_block_merge_implIS3_PlPS5_mZN2at6native12_GLOBAL__N_124unique_dim_cuda_templateIfEESt5tupleIJNSA_6TensorESF_SF_EERKSF_lbbbEUlllE_EE10hipError_tT0_T1_T2_jT3_P12ihipStream_tbPNSt15iterator_traitsISL_E10value_typeEPNSR_ISM_E10value_typeEPSN_NS1_7vsmem_tEENKUlT_SL_SM_SN_E_clIS8_S8_S9_S9_EESK_S10_SL_SM_SN_EUlS10_E1_NS1_11comp_targetILNS1_3genE10ELNS1_11target_archE1201ELNS1_3gpuE5ELNS1_3repE0EEENS1_36merge_oddeven_config_static_selectorELNS0_4arch9wavefront6targetE0EEEvSM_
    .private_segment_fixed_size: 0
    .sgpr_count:     0
    .sgpr_spill_count: 0
    .symbol:         _ZN7rocprim17ROCPRIM_400000_NS6detail17trampoline_kernelINS0_14default_configENS1_38merge_sort_block_merge_config_selectorIlNS0_10empty_typeEEEZZNS1_27merge_sort_block_merge_implIS3_PlPS5_mZN2at6native12_GLOBAL__N_124unique_dim_cuda_templateIfEESt5tupleIJNSA_6TensorESF_SF_EERKSF_lbbbEUlllE_EE10hipError_tT0_T1_T2_jT3_P12ihipStream_tbPNSt15iterator_traitsISL_E10value_typeEPNSR_ISM_E10value_typeEPSN_NS1_7vsmem_tEENKUlT_SL_SM_SN_E_clIS8_S8_S9_S9_EESK_S10_SL_SM_SN_EUlS10_E1_NS1_11comp_targetILNS1_3genE10ELNS1_11target_archE1201ELNS1_3gpuE5ELNS1_3repE0EEENS1_36merge_oddeven_config_static_selectorELNS0_4arch9wavefront6targetE0EEEvSM_.kd
    .uniform_work_group_size: 1
    .uses_dynamic_stack: false
    .vgpr_count:     0
    .vgpr_spill_count: 0
    .wavefront_size: 32
    .workgroup_processor_mode: 1
  - .args:
      - .offset:         0
        .size:           64
        .value_kind:     by_value
    .group_segment_fixed_size: 0
    .kernarg_segment_align: 8
    .kernarg_segment_size: 64
    .language:       OpenCL C
    .language_version:
      - 2
      - 0
    .max_flat_workgroup_size: 256
    .name:           _ZN7rocprim17ROCPRIM_400000_NS6detail17trampoline_kernelINS0_14default_configENS1_38merge_sort_block_merge_config_selectorIlNS0_10empty_typeEEEZZNS1_27merge_sort_block_merge_implIS3_PlPS5_mZN2at6native12_GLOBAL__N_124unique_dim_cuda_templateIfEESt5tupleIJNSA_6TensorESF_SF_EERKSF_lbbbEUlllE_EE10hipError_tT0_T1_T2_jT3_P12ihipStream_tbPNSt15iterator_traitsISL_E10value_typeEPNSR_ISM_E10value_typeEPSN_NS1_7vsmem_tEENKUlT_SL_SM_SN_E_clIS8_S8_S9_S9_EESK_S10_SL_SM_SN_EUlS10_E1_NS1_11comp_targetILNS1_3genE5ELNS1_11target_archE942ELNS1_3gpuE9ELNS1_3repE0EEENS1_36merge_oddeven_config_static_selectorELNS0_4arch9wavefront6targetE0EEEvSM_
    .private_segment_fixed_size: 0
    .sgpr_count:     0
    .sgpr_spill_count: 0
    .symbol:         _ZN7rocprim17ROCPRIM_400000_NS6detail17trampoline_kernelINS0_14default_configENS1_38merge_sort_block_merge_config_selectorIlNS0_10empty_typeEEEZZNS1_27merge_sort_block_merge_implIS3_PlPS5_mZN2at6native12_GLOBAL__N_124unique_dim_cuda_templateIfEESt5tupleIJNSA_6TensorESF_SF_EERKSF_lbbbEUlllE_EE10hipError_tT0_T1_T2_jT3_P12ihipStream_tbPNSt15iterator_traitsISL_E10value_typeEPNSR_ISM_E10value_typeEPSN_NS1_7vsmem_tEENKUlT_SL_SM_SN_E_clIS8_S8_S9_S9_EESK_S10_SL_SM_SN_EUlS10_E1_NS1_11comp_targetILNS1_3genE5ELNS1_11target_archE942ELNS1_3gpuE9ELNS1_3repE0EEENS1_36merge_oddeven_config_static_selectorELNS0_4arch9wavefront6targetE0EEEvSM_.kd
    .uniform_work_group_size: 1
    .uses_dynamic_stack: false
    .vgpr_count:     0
    .vgpr_spill_count: 0
    .wavefront_size: 32
    .workgroup_processor_mode: 1
  - .args:
      - .offset:         0
        .size:           64
        .value_kind:     by_value
    .group_segment_fixed_size: 0
    .kernarg_segment_align: 8
    .kernarg_segment_size: 64
    .language:       OpenCL C
    .language_version:
      - 2
      - 0
    .max_flat_workgroup_size: 256
    .name:           _ZN7rocprim17ROCPRIM_400000_NS6detail17trampoline_kernelINS0_14default_configENS1_38merge_sort_block_merge_config_selectorIlNS0_10empty_typeEEEZZNS1_27merge_sort_block_merge_implIS3_PlPS5_mZN2at6native12_GLOBAL__N_124unique_dim_cuda_templateIfEESt5tupleIJNSA_6TensorESF_SF_EERKSF_lbbbEUlllE_EE10hipError_tT0_T1_T2_jT3_P12ihipStream_tbPNSt15iterator_traitsISL_E10value_typeEPNSR_ISM_E10value_typeEPSN_NS1_7vsmem_tEENKUlT_SL_SM_SN_E_clIS8_S8_S9_S9_EESK_S10_SL_SM_SN_EUlS10_E1_NS1_11comp_targetILNS1_3genE4ELNS1_11target_archE910ELNS1_3gpuE8ELNS1_3repE0EEENS1_36merge_oddeven_config_static_selectorELNS0_4arch9wavefront6targetE0EEEvSM_
    .private_segment_fixed_size: 0
    .sgpr_count:     0
    .sgpr_spill_count: 0
    .symbol:         _ZN7rocprim17ROCPRIM_400000_NS6detail17trampoline_kernelINS0_14default_configENS1_38merge_sort_block_merge_config_selectorIlNS0_10empty_typeEEEZZNS1_27merge_sort_block_merge_implIS3_PlPS5_mZN2at6native12_GLOBAL__N_124unique_dim_cuda_templateIfEESt5tupleIJNSA_6TensorESF_SF_EERKSF_lbbbEUlllE_EE10hipError_tT0_T1_T2_jT3_P12ihipStream_tbPNSt15iterator_traitsISL_E10value_typeEPNSR_ISM_E10value_typeEPSN_NS1_7vsmem_tEENKUlT_SL_SM_SN_E_clIS8_S8_S9_S9_EESK_S10_SL_SM_SN_EUlS10_E1_NS1_11comp_targetILNS1_3genE4ELNS1_11target_archE910ELNS1_3gpuE8ELNS1_3repE0EEENS1_36merge_oddeven_config_static_selectorELNS0_4arch9wavefront6targetE0EEEvSM_.kd
    .uniform_work_group_size: 1
    .uses_dynamic_stack: false
    .vgpr_count:     0
    .vgpr_spill_count: 0
    .wavefront_size: 32
    .workgroup_processor_mode: 1
  - .args:
      - .offset:         0
        .size:           64
        .value_kind:     by_value
    .group_segment_fixed_size: 0
    .kernarg_segment_align: 8
    .kernarg_segment_size: 64
    .language:       OpenCL C
    .language_version:
      - 2
      - 0
    .max_flat_workgroup_size: 256
    .name:           _ZN7rocprim17ROCPRIM_400000_NS6detail17trampoline_kernelINS0_14default_configENS1_38merge_sort_block_merge_config_selectorIlNS0_10empty_typeEEEZZNS1_27merge_sort_block_merge_implIS3_PlPS5_mZN2at6native12_GLOBAL__N_124unique_dim_cuda_templateIfEESt5tupleIJNSA_6TensorESF_SF_EERKSF_lbbbEUlllE_EE10hipError_tT0_T1_T2_jT3_P12ihipStream_tbPNSt15iterator_traitsISL_E10value_typeEPNSR_ISM_E10value_typeEPSN_NS1_7vsmem_tEENKUlT_SL_SM_SN_E_clIS8_S8_S9_S9_EESK_S10_SL_SM_SN_EUlS10_E1_NS1_11comp_targetILNS1_3genE3ELNS1_11target_archE908ELNS1_3gpuE7ELNS1_3repE0EEENS1_36merge_oddeven_config_static_selectorELNS0_4arch9wavefront6targetE0EEEvSM_
    .private_segment_fixed_size: 0
    .sgpr_count:     0
    .sgpr_spill_count: 0
    .symbol:         _ZN7rocprim17ROCPRIM_400000_NS6detail17trampoline_kernelINS0_14default_configENS1_38merge_sort_block_merge_config_selectorIlNS0_10empty_typeEEEZZNS1_27merge_sort_block_merge_implIS3_PlPS5_mZN2at6native12_GLOBAL__N_124unique_dim_cuda_templateIfEESt5tupleIJNSA_6TensorESF_SF_EERKSF_lbbbEUlllE_EE10hipError_tT0_T1_T2_jT3_P12ihipStream_tbPNSt15iterator_traitsISL_E10value_typeEPNSR_ISM_E10value_typeEPSN_NS1_7vsmem_tEENKUlT_SL_SM_SN_E_clIS8_S8_S9_S9_EESK_S10_SL_SM_SN_EUlS10_E1_NS1_11comp_targetILNS1_3genE3ELNS1_11target_archE908ELNS1_3gpuE7ELNS1_3repE0EEENS1_36merge_oddeven_config_static_selectorELNS0_4arch9wavefront6targetE0EEEvSM_.kd
    .uniform_work_group_size: 1
    .uses_dynamic_stack: false
    .vgpr_count:     0
    .vgpr_spill_count: 0
    .wavefront_size: 32
    .workgroup_processor_mode: 1
  - .args:
      - .offset:         0
        .size:           64
        .value_kind:     by_value
    .group_segment_fixed_size: 0
    .kernarg_segment_align: 8
    .kernarg_segment_size: 64
    .language:       OpenCL C
    .language_version:
      - 2
      - 0
    .max_flat_workgroup_size: 256
    .name:           _ZN7rocprim17ROCPRIM_400000_NS6detail17trampoline_kernelINS0_14default_configENS1_38merge_sort_block_merge_config_selectorIlNS0_10empty_typeEEEZZNS1_27merge_sort_block_merge_implIS3_PlPS5_mZN2at6native12_GLOBAL__N_124unique_dim_cuda_templateIfEESt5tupleIJNSA_6TensorESF_SF_EERKSF_lbbbEUlllE_EE10hipError_tT0_T1_T2_jT3_P12ihipStream_tbPNSt15iterator_traitsISL_E10value_typeEPNSR_ISM_E10value_typeEPSN_NS1_7vsmem_tEENKUlT_SL_SM_SN_E_clIS8_S8_S9_S9_EESK_S10_SL_SM_SN_EUlS10_E1_NS1_11comp_targetILNS1_3genE2ELNS1_11target_archE906ELNS1_3gpuE6ELNS1_3repE0EEENS1_36merge_oddeven_config_static_selectorELNS0_4arch9wavefront6targetE0EEEvSM_
    .private_segment_fixed_size: 0
    .sgpr_count:     0
    .sgpr_spill_count: 0
    .symbol:         _ZN7rocprim17ROCPRIM_400000_NS6detail17trampoline_kernelINS0_14default_configENS1_38merge_sort_block_merge_config_selectorIlNS0_10empty_typeEEEZZNS1_27merge_sort_block_merge_implIS3_PlPS5_mZN2at6native12_GLOBAL__N_124unique_dim_cuda_templateIfEESt5tupleIJNSA_6TensorESF_SF_EERKSF_lbbbEUlllE_EE10hipError_tT0_T1_T2_jT3_P12ihipStream_tbPNSt15iterator_traitsISL_E10value_typeEPNSR_ISM_E10value_typeEPSN_NS1_7vsmem_tEENKUlT_SL_SM_SN_E_clIS8_S8_S9_S9_EESK_S10_SL_SM_SN_EUlS10_E1_NS1_11comp_targetILNS1_3genE2ELNS1_11target_archE906ELNS1_3gpuE6ELNS1_3repE0EEENS1_36merge_oddeven_config_static_selectorELNS0_4arch9wavefront6targetE0EEEvSM_.kd
    .uniform_work_group_size: 1
    .uses_dynamic_stack: false
    .vgpr_count:     0
    .vgpr_spill_count: 0
    .wavefront_size: 32
    .workgroup_processor_mode: 1
  - .args:
      - .offset:         0
        .size:           64
        .value_kind:     by_value
    .group_segment_fixed_size: 0
    .kernarg_segment_align: 8
    .kernarg_segment_size: 64
    .language:       OpenCL C
    .language_version:
      - 2
      - 0
    .max_flat_workgroup_size: 256
    .name:           _ZN7rocprim17ROCPRIM_400000_NS6detail17trampoline_kernelINS0_14default_configENS1_38merge_sort_block_merge_config_selectorIlNS0_10empty_typeEEEZZNS1_27merge_sort_block_merge_implIS3_PlPS5_mZN2at6native12_GLOBAL__N_124unique_dim_cuda_templateIfEESt5tupleIJNSA_6TensorESF_SF_EERKSF_lbbbEUlllE_EE10hipError_tT0_T1_T2_jT3_P12ihipStream_tbPNSt15iterator_traitsISL_E10value_typeEPNSR_ISM_E10value_typeEPSN_NS1_7vsmem_tEENKUlT_SL_SM_SN_E_clIS8_S8_S9_S9_EESK_S10_SL_SM_SN_EUlS10_E1_NS1_11comp_targetILNS1_3genE9ELNS1_11target_archE1100ELNS1_3gpuE3ELNS1_3repE0EEENS1_36merge_oddeven_config_static_selectorELNS0_4arch9wavefront6targetE0EEEvSM_
    .private_segment_fixed_size: 0
    .sgpr_count:     30
    .sgpr_spill_count: 0
    .symbol:         _ZN7rocprim17ROCPRIM_400000_NS6detail17trampoline_kernelINS0_14default_configENS1_38merge_sort_block_merge_config_selectorIlNS0_10empty_typeEEEZZNS1_27merge_sort_block_merge_implIS3_PlPS5_mZN2at6native12_GLOBAL__N_124unique_dim_cuda_templateIfEESt5tupleIJNSA_6TensorESF_SF_EERKSF_lbbbEUlllE_EE10hipError_tT0_T1_T2_jT3_P12ihipStream_tbPNSt15iterator_traitsISL_E10value_typeEPNSR_ISM_E10value_typeEPSN_NS1_7vsmem_tEENKUlT_SL_SM_SN_E_clIS8_S8_S9_S9_EESK_S10_SL_SM_SN_EUlS10_E1_NS1_11comp_targetILNS1_3genE9ELNS1_11target_archE1100ELNS1_3gpuE3ELNS1_3repE0EEENS1_36merge_oddeven_config_static_selectorELNS0_4arch9wavefront6targetE0EEEvSM_.kd
    .uniform_work_group_size: 1
    .uses_dynamic_stack: false
    .vgpr_count:     18
    .vgpr_spill_count: 0
    .wavefront_size: 32
    .workgroup_processor_mode: 1
  - .args:
      - .offset:         0
        .size:           64
        .value_kind:     by_value
    .group_segment_fixed_size: 0
    .kernarg_segment_align: 8
    .kernarg_segment_size: 64
    .language:       OpenCL C
    .language_version:
      - 2
      - 0
    .max_flat_workgroup_size: 256
    .name:           _ZN7rocprim17ROCPRIM_400000_NS6detail17trampoline_kernelINS0_14default_configENS1_38merge_sort_block_merge_config_selectorIlNS0_10empty_typeEEEZZNS1_27merge_sort_block_merge_implIS3_PlPS5_mZN2at6native12_GLOBAL__N_124unique_dim_cuda_templateIfEESt5tupleIJNSA_6TensorESF_SF_EERKSF_lbbbEUlllE_EE10hipError_tT0_T1_T2_jT3_P12ihipStream_tbPNSt15iterator_traitsISL_E10value_typeEPNSR_ISM_E10value_typeEPSN_NS1_7vsmem_tEENKUlT_SL_SM_SN_E_clIS8_S8_S9_S9_EESK_S10_SL_SM_SN_EUlS10_E1_NS1_11comp_targetILNS1_3genE8ELNS1_11target_archE1030ELNS1_3gpuE2ELNS1_3repE0EEENS1_36merge_oddeven_config_static_selectorELNS0_4arch9wavefront6targetE0EEEvSM_
    .private_segment_fixed_size: 0
    .sgpr_count:     0
    .sgpr_spill_count: 0
    .symbol:         _ZN7rocprim17ROCPRIM_400000_NS6detail17trampoline_kernelINS0_14default_configENS1_38merge_sort_block_merge_config_selectorIlNS0_10empty_typeEEEZZNS1_27merge_sort_block_merge_implIS3_PlPS5_mZN2at6native12_GLOBAL__N_124unique_dim_cuda_templateIfEESt5tupleIJNSA_6TensorESF_SF_EERKSF_lbbbEUlllE_EE10hipError_tT0_T1_T2_jT3_P12ihipStream_tbPNSt15iterator_traitsISL_E10value_typeEPNSR_ISM_E10value_typeEPSN_NS1_7vsmem_tEENKUlT_SL_SM_SN_E_clIS8_S8_S9_S9_EESK_S10_SL_SM_SN_EUlS10_E1_NS1_11comp_targetILNS1_3genE8ELNS1_11target_archE1030ELNS1_3gpuE2ELNS1_3repE0EEENS1_36merge_oddeven_config_static_selectorELNS0_4arch9wavefront6targetE0EEEvSM_.kd
    .uniform_work_group_size: 1
    .uses_dynamic_stack: false
    .vgpr_count:     0
    .vgpr_spill_count: 0
    .wavefront_size: 32
    .workgroup_processor_mode: 1
  - .args:
      - .offset:         0
        .size:           64
        .value_kind:     by_value
    .group_segment_fixed_size: 0
    .kernarg_segment_align: 8
    .kernarg_segment_size: 64
    .language:       OpenCL C
    .language_version:
      - 2
      - 0
    .max_flat_workgroup_size: 128
    .name:           _ZN7rocprim17ROCPRIM_400000_NS6detail17trampoline_kernelINS0_14default_configENS1_35adjacent_difference_config_selectorILb0ElEEZNS1_24adjacent_difference_implIS3_Lb0ELb0EPlS7_ZN2at6native12_GLOBAL__N_124unique_dim_cuda_templateIfEESt5tupleIJNS8_6TensorESD_SD_EERKSD_lbbbEUlllE1_EE10hipError_tPvRmT2_T3_mT4_P12ihipStream_tbEUlT_E_NS1_11comp_targetILNS1_3genE0ELNS1_11target_archE4294967295ELNS1_3gpuE0ELNS1_3repE0EEENS1_30default_config_static_selectorELNS0_4arch9wavefront6targetE0EEEvT1_
    .private_segment_fixed_size: 0
    .sgpr_count:     0
    .sgpr_spill_count: 0
    .symbol:         _ZN7rocprim17ROCPRIM_400000_NS6detail17trampoline_kernelINS0_14default_configENS1_35adjacent_difference_config_selectorILb0ElEEZNS1_24adjacent_difference_implIS3_Lb0ELb0EPlS7_ZN2at6native12_GLOBAL__N_124unique_dim_cuda_templateIfEESt5tupleIJNS8_6TensorESD_SD_EERKSD_lbbbEUlllE1_EE10hipError_tPvRmT2_T3_mT4_P12ihipStream_tbEUlT_E_NS1_11comp_targetILNS1_3genE0ELNS1_11target_archE4294967295ELNS1_3gpuE0ELNS1_3repE0EEENS1_30default_config_static_selectorELNS0_4arch9wavefront6targetE0EEEvT1_.kd
    .uniform_work_group_size: 1
    .uses_dynamic_stack: false
    .vgpr_count:     0
    .vgpr_spill_count: 0
    .wavefront_size: 32
    .workgroup_processor_mode: 1
  - .args:
      - .offset:         0
        .size:           64
        .value_kind:     by_value
    .group_segment_fixed_size: 0
    .kernarg_segment_align: 8
    .kernarg_segment_size: 64
    .language:       OpenCL C
    .language_version:
      - 2
      - 0
    .max_flat_workgroup_size: 128
    .name:           _ZN7rocprim17ROCPRIM_400000_NS6detail17trampoline_kernelINS0_14default_configENS1_35adjacent_difference_config_selectorILb0ElEEZNS1_24adjacent_difference_implIS3_Lb0ELb0EPlS7_ZN2at6native12_GLOBAL__N_124unique_dim_cuda_templateIfEESt5tupleIJNS8_6TensorESD_SD_EERKSD_lbbbEUlllE1_EE10hipError_tPvRmT2_T3_mT4_P12ihipStream_tbEUlT_E_NS1_11comp_targetILNS1_3genE10ELNS1_11target_archE1201ELNS1_3gpuE5ELNS1_3repE0EEENS1_30default_config_static_selectorELNS0_4arch9wavefront6targetE0EEEvT1_
    .private_segment_fixed_size: 0
    .sgpr_count:     0
    .sgpr_spill_count: 0
    .symbol:         _ZN7rocprim17ROCPRIM_400000_NS6detail17trampoline_kernelINS0_14default_configENS1_35adjacent_difference_config_selectorILb0ElEEZNS1_24adjacent_difference_implIS3_Lb0ELb0EPlS7_ZN2at6native12_GLOBAL__N_124unique_dim_cuda_templateIfEESt5tupleIJNS8_6TensorESD_SD_EERKSD_lbbbEUlllE1_EE10hipError_tPvRmT2_T3_mT4_P12ihipStream_tbEUlT_E_NS1_11comp_targetILNS1_3genE10ELNS1_11target_archE1201ELNS1_3gpuE5ELNS1_3repE0EEENS1_30default_config_static_selectorELNS0_4arch9wavefront6targetE0EEEvT1_.kd
    .uniform_work_group_size: 1
    .uses_dynamic_stack: false
    .vgpr_count:     0
    .vgpr_spill_count: 0
    .wavefront_size: 32
    .workgroup_processor_mode: 1
  - .args:
      - .offset:         0
        .size:           64
        .value_kind:     by_value
    .group_segment_fixed_size: 0
    .kernarg_segment_align: 8
    .kernarg_segment_size: 64
    .language:       OpenCL C
    .language_version:
      - 2
      - 0
    .max_flat_workgroup_size: 64
    .name:           _ZN7rocprim17ROCPRIM_400000_NS6detail17trampoline_kernelINS0_14default_configENS1_35adjacent_difference_config_selectorILb0ElEEZNS1_24adjacent_difference_implIS3_Lb0ELb0EPlS7_ZN2at6native12_GLOBAL__N_124unique_dim_cuda_templateIfEESt5tupleIJNS8_6TensorESD_SD_EERKSD_lbbbEUlllE1_EE10hipError_tPvRmT2_T3_mT4_P12ihipStream_tbEUlT_E_NS1_11comp_targetILNS1_3genE5ELNS1_11target_archE942ELNS1_3gpuE9ELNS1_3repE0EEENS1_30default_config_static_selectorELNS0_4arch9wavefront6targetE0EEEvT1_
    .private_segment_fixed_size: 0
    .sgpr_count:     0
    .sgpr_spill_count: 0
    .symbol:         _ZN7rocprim17ROCPRIM_400000_NS6detail17trampoline_kernelINS0_14default_configENS1_35adjacent_difference_config_selectorILb0ElEEZNS1_24adjacent_difference_implIS3_Lb0ELb0EPlS7_ZN2at6native12_GLOBAL__N_124unique_dim_cuda_templateIfEESt5tupleIJNS8_6TensorESD_SD_EERKSD_lbbbEUlllE1_EE10hipError_tPvRmT2_T3_mT4_P12ihipStream_tbEUlT_E_NS1_11comp_targetILNS1_3genE5ELNS1_11target_archE942ELNS1_3gpuE9ELNS1_3repE0EEENS1_30default_config_static_selectorELNS0_4arch9wavefront6targetE0EEEvT1_.kd
    .uniform_work_group_size: 1
    .uses_dynamic_stack: false
    .vgpr_count:     0
    .vgpr_spill_count: 0
    .wavefront_size: 32
    .workgroup_processor_mode: 1
  - .args:
      - .offset:         0
        .size:           64
        .value_kind:     by_value
    .group_segment_fixed_size: 0
    .kernarg_segment_align: 8
    .kernarg_segment_size: 64
    .language:       OpenCL C
    .language_version:
      - 2
      - 0
    .max_flat_workgroup_size: 256
    .name:           _ZN7rocprim17ROCPRIM_400000_NS6detail17trampoline_kernelINS0_14default_configENS1_35adjacent_difference_config_selectorILb0ElEEZNS1_24adjacent_difference_implIS3_Lb0ELb0EPlS7_ZN2at6native12_GLOBAL__N_124unique_dim_cuda_templateIfEESt5tupleIJNS8_6TensorESD_SD_EERKSD_lbbbEUlllE1_EE10hipError_tPvRmT2_T3_mT4_P12ihipStream_tbEUlT_E_NS1_11comp_targetILNS1_3genE4ELNS1_11target_archE910ELNS1_3gpuE8ELNS1_3repE0EEENS1_30default_config_static_selectorELNS0_4arch9wavefront6targetE0EEEvT1_
    .private_segment_fixed_size: 0
    .sgpr_count:     0
    .sgpr_spill_count: 0
    .symbol:         _ZN7rocprim17ROCPRIM_400000_NS6detail17trampoline_kernelINS0_14default_configENS1_35adjacent_difference_config_selectorILb0ElEEZNS1_24adjacent_difference_implIS3_Lb0ELb0EPlS7_ZN2at6native12_GLOBAL__N_124unique_dim_cuda_templateIfEESt5tupleIJNS8_6TensorESD_SD_EERKSD_lbbbEUlllE1_EE10hipError_tPvRmT2_T3_mT4_P12ihipStream_tbEUlT_E_NS1_11comp_targetILNS1_3genE4ELNS1_11target_archE910ELNS1_3gpuE8ELNS1_3repE0EEENS1_30default_config_static_selectorELNS0_4arch9wavefront6targetE0EEEvT1_.kd
    .uniform_work_group_size: 1
    .uses_dynamic_stack: false
    .vgpr_count:     0
    .vgpr_spill_count: 0
    .wavefront_size: 32
    .workgroup_processor_mode: 1
  - .args:
      - .offset:         0
        .size:           64
        .value_kind:     by_value
    .group_segment_fixed_size: 0
    .kernarg_segment_align: 8
    .kernarg_segment_size: 64
    .language:       OpenCL C
    .language_version:
      - 2
      - 0
    .max_flat_workgroup_size: 128
    .name:           _ZN7rocprim17ROCPRIM_400000_NS6detail17trampoline_kernelINS0_14default_configENS1_35adjacent_difference_config_selectorILb0ElEEZNS1_24adjacent_difference_implIS3_Lb0ELb0EPlS7_ZN2at6native12_GLOBAL__N_124unique_dim_cuda_templateIfEESt5tupleIJNS8_6TensorESD_SD_EERKSD_lbbbEUlllE1_EE10hipError_tPvRmT2_T3_mT4_P12ihipStream_tbEUlT_E_NS1_11comp_targetILNS1_3genE3ELNS1_11target_archE908ELNS1_3gpuE7ELNS1_3repE0EEENS1_30default_config_static_selectorELNS0_4arch9wavefront6targetE0EEEvT1_
    .private_segment_fixed_size: 0
    .sgpr_count:     0
    .sgpr_spill_count: 0
    .symbol:         _ZN7rocprim17ROCPRIM_400000_NS6detail17trampoline_kernelINS0_14default_configENS1_35adjacent_difference_config_selectorILb0ElEEZNS1_24adjacent_difference_implIS3_Lb0ELb0EPlS7_ZN2at6native12_GLOBAL__N_124unique_dim_cuda_templateIfEESt5tupleIJNS8_6TensorESD_SD_EERKSD_lbbbEUlllE1_EE10hipError_tPvRmT2_T3_mT4_P12ihipStream_tbEUlT_E_NS1_11comp_targetILNS1_3genE3ELNS1_11target_archE908ELNS1_3gpuE7ELNS1_3repE0EEENS1_30default_config_static_selectorELNS0_4arch9wavefront6targetE0EEEvT1_.kd
    .uniform_work_group_size: 1
    .uses_dynamic_stack: false
    .vgpr_count:     0
    .vgpr_spill_count: 0
    .wavefront_size: 32
    .workgroup_processor_mode: 1
  - .args:
      - .offset:         0
        .size:           64
        .value_kind:     by_value
    .group_segment_fixed_size: 0
    .kernarg_segment_align: 8
    .kernarg_segment_size: 64
    .language:       OpenCL C
    .language_version:
      - 2
      - 0
    .max_flat_workgroup_size: 128
    .name:           _ZN7rocprim17ROCPRIM_400000_NS6detail17trampoline_kernelINS0_14default_configENS1_35adjacent_difference_config_selectorILb0ElEEZNS1_24adjacent_difference_implIS3_Lb0ELb0EPlS7_ZN2at6native12_GLOBAL__N_124unique_dim_cuda_templateIfEESt5tupleIJNS8_6TensorESD_SD_EERKSD_lbbbEUlllE1_EE10hipError_tPvRmT2_T3_mT4_P12ihipStream_tbEUlT_E_NS1_11comp_targetILNS1_3genE2ELNS1_11target_archE906ELNS1_3gpuE6ELNS1_3repE0EEENS1_30default_config_static_selectorELNS0_4arch9wavefront6targetE0EEEvT1_
    .private_segment_fixed_size: 0
    .sgpr_count:     0
    .sgpr_spill_count: 0
    .symbol:         _ZN7rocprim17ROCPRIM_400000_NS6detail17trampoline_kernelINS0_14default_configENS1_35adjacent_difference_config_selectorILb0ElEEZNS1_24adjacent_difference_implIS3_Lb0ELb0EPlS7_ZN2at6native12_GLOBAL__N_124unique_dim_cuda_templateIfEESt5tupleIJNS8_6TensorESD_SD_EERKSD_lbbbEUlllE1_EE10hipError_tPvRmT2_T3_mT4_P12ihipStream_tbEUlT_E_NS1_11comp_targetILNS1_3genE2ELNS1_11target_archE906ELNS1_3gpuE6ELNS1_3repE0EEENS1_30default_config_static_selectorELNS0_4arch9wavefront6targetE0EEEvT1_.kd
    .uniform_work_group_size: 1
    .uses_dynamic_stack: false
    .vgpr_count:     0
    .vgpr_spill_count: 0
    .wavefront_size: 32
    .workgroup_processor_mode: 1
  - .args:
      - .offset:         0
        .size:           64
        .value_kind:     by_value
    .group_segment_fixed_size: 8192
    .kernarg_segment_align: 8
    .kernarg_segment_size: 64
    .language:       OpenCL C
    .language_version:
      - 2
      - 0
    .max_flat_workgroup_size: 512
    .name:           _ZN7rocprim17ROCPRIM_400000_NS6detail17trampoline_kernelINS0_14default_configENS1_35adjacent_difference_config_selectorILb0ElEEZNS1_24adjacent_difference_implIS3_Lb0ELb0EPlS7_ZN2at6native12_GLOBAL__N_124unique_dim_cuda_templateIfEESt5tupleIJNS8_6TensorESD_SD_EERKSD_lbbbEUlllE1_EE10hipError_tPvRmT2_T3_mT4_P12ihipStream_tbEUlT_E_NS1_11comp_targetILNS1_3genE9ELNS1_11target_archE1100ELNS1_3gpuE3ELNS1_3repE0EEENS1_30default_config_static_selectorELNS0_4arch9wavefront6targetE0EEEvT1_
    .private_segment_fixed_size: 0
    .sgpr_count:     28
    .sgpr_spill_count: 0
    .symbol:         _ZN7rocprim17ROCPRIM_400000_NS6detail17trampoline_kernelINS0_14default_configENS1_35adjacent_difference_config_selectorILb0ElEEZNS1_24adjacent_difference_implIS3_Lb0ELb0EPlS7_ZN2at6native12_GLOBAL__N_124unique_dim_cuda_templateIfEESt5tupleIJNS8_6TensorESD_SD_EERKSD_lbbbEUlllE1_EE10hipError_tPvRmT2_T3_mT4_P12ihipStream_tbEUlT_E_NS1_11comp_targetILNS1_3genE9ELNS1_11target_archE1100ELNS1_3gpuE3ELNS1_3repE0EEENS1_30default_config_static_selectorELNS0_4arch9wavefront6targetE0EEEvT1_.kd
    .uniform_work_group_size: 1
    .uses_dynamic_stack: false
    .vgpr_count:     13
    .vgpr_spill_count: 0
    .wavefront_size: 32
    .workgroup_processor_mode: 1
  - .args:
      - .offset:         0
        .size:           64
        .value_kind:     by_value
    .group_segment_fixed_size: 0
    .kernarg_segment_align: 8
    .kernarg_segment_size: 64
    .language:       OpenCL C
    .language_version:
      - 2
      - 0
    .max_flat_workgroup_size: 1024
    .name:           _ZN7rocprim17ROCPRIM_400000_NS6detail17trampoline_kernelINS0_14default_configENS1_35adjacent_difference_config_selectorILb0ElEEZNS1_24adjacent_difference_implIS3_Lb0ELb0EPlS7_ZN2at6native12_GLOBAL__N_124unique_dim_cuda_templateIfEESt5tupleIJNS8_6TensorESD_SD_EERKSD_lbbbEUlllE1_EE10hipError_tPvRmT2_T3_mT4_P12ihipStream_tbEUlT_E_NS1_11comp_targetILNS1_3genE8ELNS1_11target_archE1030ELNS1_3gpuE2ELNS1_3repE0EEENS1_30default_config_static_selectorELNS0_4arch9wavefront6targetE0EEEvT1_
    .private_segment_fixed_size: 0
    .sgpr_count:     0
    .sgpr_spill_count: 0
    .symbol:         _ZN7rocprim17ROCPRIM_400000_NS6detail17trampoline_kernelINS0_14default_configENS1_35adjacent_difference_config_selectorILb0ElEEZNS1_24adjacent_difference_implIS3_Lb0ELb0EPlS7_ZN2at6native12_GLOBAL__N_124unique_dim_cuda_templateIfEESt5tupleIJNS8_6TensorESD_SD_EERKSD_lbbbEUlllE1_EE10hipError_tPvRmT2_T3_mT4_P12ihipStream_tbEUlT_E_NS1_11comp_targetILNS1_3genE8ELNS1_11target_archE1030ELNS1_3gpuE2ELNS1_3repE0EEENS1_30default_config_static_selectorELNS0_4arch9wavefront6targetE0EEEvT1_.kd
    .uniform_work_group_size: 1
    .uses_dynamic_stack: false
    .vgpr_count:     0
    .vgpr_spill_count: 0
    .wavefront_size: 32
    .workgroup_processor_mode: 1
  - .args:
      - .offset:         0
        .size:           56
        .value_kind:     by_value
    .group_segment_fixed_size: 0
    .kernarg_segment_align: 8
    .kernarg_segment_size: 56
    .language:       OpenCL C
    .language_version:
      - 2
      - 0
    .max_flat_workgroup_size: 128
    .name:           _ZN7rocprim17ROCPRIM_400000_NS6detail17trampoline_kernelINS0_14default_configENS1_25transform_config_selectorIlLb0EEEZNS1_14transform_implILb0ES3_S5_NS0_18transform_iteratorINS0_17counting_iteratorImlEEZNS1_24adjacent_difference_implIS3_Lb1ELb0EPlSB_ZN2at6native12_GLOBAL__N_124unique_dim_cuda_templateIfEESt5tupleIJNSC_6TensorESH_SH_EERKSH_lbbbEUlllE1_EE10hipError_tPvRmT2_T3_mT4_P12ihipStream_tbEUlmE_lEESB_NS0_8identityIvEEEESM_SP_SQ_mSR_ST_bEUlT_E_NS1_11comp_targetILNS1_3genE0ELNS1_11target_archE4294967295ELNS1_3gpuE0ELNS1_3repE0EEENS1_30default_config_static_selectorELNS0_4arch9wavefront6targetE0EEEvT1_
    .private_segment_fixed_size: 0
    .sgpr_count:     0
    .sgpr_spill_count: 0
    .symbol:         _ZN7rocprim17ROCPRIM_400000_NS6detail17trampoline_kernelINS0_14default_configENS1_25transform_config_selectorIlLb0EEEZNS1_14transform_implILb0ES3_S5_NS0_18transform_iteratorINS0_17counting_iteratorImlEEZNS1_24adjacent_difference_implIS3_Lb1ELb0EPlSB_ZN2at6native12_GLOBAL__N_124unique_dim_cuda_templateIfEESt5tupleIJNSC_6TensorESH_SH_EERKSH_lbbbEUlllE1_EE10hipError_tPvRmT2_T3_mT4_P12ihipStream_tbEUlmE_lEESB_NS0_8identityIvEEEESM_SP_SQ_mSR_ST_bEUlT_E_NS1_11comp_targetILNS1_3genE0ELNS1_11target_archE4294967295ELNS1_3gpuE0ELNS1_3repE0EEENS1_30default_config_static_selectorELNS0_4arch9wavefront6targetE0EEEvT1_.kd
    .uniform_work_group_size: 1
    .uses_dynamic_stack: false
    .vgpr_count:     0
    .vgpr_spill_count: 0
    .wavefront_size: 32
    .workgroup_processor_mode: 1
  - .args:
      - .offset:         0
        .size:           56
        .value_kind:     by_value
    .group_segment_fixed_size: 0
    .kernarg_segment_align: 8
    .kernarg_segment_size: 56
    .language:       OpenCL C
    .language_version:
      - 2
      - 0
    .max_flat_workgroup_size: 512
    .name:           _ZN7rocprim17ROCPRIM_400000_NS6detail17trampoline_kernelINS0_14default_configENS1_25transform_config_selectorIlLb0EEEZNS1_14transform_implILb0ES3_S5_NS0_18transform_iteratorINS0_17counting_iteratorImlEEZNS1_24adjacent_difference_implIS3_Lb1ELb0EPlSB_ZN2at6native12_GLOBAL__N_124unique_dim_cuda_templateIfEESt5tupleIJNSC_6TensorESH_SH_EERKSH_lbbbEUlllE1_EE10hipError_tPvRmT2_T3_mT4_P12ihipStream_tbEUlmE_lEESB_NS0_8identityIvEEEESM_SP_SQ_mSR_ST_bEUlT_E_NS1_11comp_targetILNS1_3genE5ELNS1_11target_archE942ELNS1_3gpuE9ELNS1_3repE0EEENS1_30default_config_static_selectorELNS0_4arch9wavefront6targetE0EEEvT1_
    .private_segment_fixed_size: 0
    .sgpr_count:     0
    .sgpr_spill_count: 0
    .symbol:         _ZN7rocprim17ROCPRIM_400000_NS6detail17trampoline_kernelINS0_14default_configENS1_25transform_config_selectorIlLb0EEEZNS1_14transform_implILb0ES3_S5_NS0_18transform_iteratorINS0_17counting_iteratorImlEEZNS1_24adjacent_difference_implIS3_Lb1ELb0EPlSB_ZN2at6native12_GLOBAL__N_124unique_dim_cuda_templateIfEESt5tupleIJNSC_6TensorESH_SH_EERKSH_lbbbEUlllE1_EE10hipError_tPvRmT2_T3_mT4_P12ihipStream_tbEUlmE_lEESB_NS0_8identityIvEEEESM_SP_SQ_mSR_ST_bEUlT_E_NS1_11comp_targetILNS1_3genE5ELNS1_11target_archE942ELNS1_3gpuE9ELNS1_3repE0EEENS1_30default_config_static_selectorELNS0_4arch9wavefront6targetE0EEEvT1_.kd
    .uniform_work_group_size: 1
    .uses_dynamic_stack: false
    .vgpr_count:     0
    .vgpr_spill_count: 0
    .wavefront_size: 32
    .workgroup_processor_mode: 1
  - .args:
      - .offset:         0
        .size:           56
        .value_kind:     by_value
    .group_segment_fixed_size: 0
    .kernarg_segment_align: 8
    .kernarg_segment_size: 56
    .language:       OpenCL C
    .language_version:
      - 2
      - 0
    .max_flat_workgroup_size: 256
    .name:           _ZN7rocprim17ROCPRIM_400000_NS6detail17trampoline_kernelINS0_14default_configENS1_25transform_config_selectorIlLb0EEEZNS1_14transform_implILb0ES3_S5_NS0_18transform_iteratorINS0_17counting_iteratorImlEEZNS1_24adjacent_difference_implIS3_Lb1ELb0EPlSB_ZN2at6native12_GLOBAL__N_124unique_dim_cuda_templateIfEESt5tupleIJNSC_6TensorESH_SH_EERKSH_lbbbEUlllE1_EE10hipError_tPvRmT2_T3_mT4_P12ihipStream_tbEUlmE_lEESB_NS0_8identityIvEEEESM_SP_SQ_mSR_ST_bEUlT_E_NS1_11comp_targetILNS1_3genE4ELNS1_11target_archE910ELNS1_3gpuE8ELNS1_3repE0EEENS1_30default_config_static_selectorELNS0_4arch9wavefront6targetE0EEEvT1_
    .private_segment_fixed_size: 0
    .sgpr_count:     0
    .sgpr_spill_count: 0
    .symbol:         _ZN7rocprim17ROCPRIM_400000_NS6detail17trampoline_kernelINS0_14default_configENS1_25transform_config_selectorIlLb0EEEZNS1_14transform_implILb0ES3_S5_NS0_18transform_iteratorINS0_17counting_iteratorImlEEZNS1_24adjacent_difference_implIS3_Lb1ELb0EPlSB_ZN2at6native12_GLOBAL__N_124unique_dim_cuda_templateIfEESt5tupleIJNSC_6TensorESH_SH_EERKSH_lbbbEUlllE1_EE10hipError_tPvRmT2_T3_mT4_P12ihipStream_tbEUlmE_lEESB_NS0_8identityIvEEEESM_SP_SQ_mSR_ST_bEUlT_E_NS1_11comp_targetILNS1_3genE4ELNS1_11target_archE910ELNS1_3gpuE8ELNS1_3repE0EEENS1_30default_config_static_selectorELNS0_4arch9wavefront6targetE0EEEvT1_.kd
    .uniform_work_group_size: 1
    .uses_dynamic_stack: false
    .vgpr_count:     0
    .vgpr_spill_count: 0
    .wavefront_size: 32
    .workgroup_processor_mode: 1
  - .args:
      - .offset:         0
        .size:           56
        .value_kind:     by_value
    .group_segment_fixed_size: 0
    .kernarg_segment_align: 8
    .kernarg_segment_size: 56
    .language:       OpenCL C
    .language_version:
      - 2
      - 0
    .max_flat_workgroup_size: 128
    .name:           _ZN7rocprim17ROCPRIM_400000_NS6detail17trampoline_kernelINS0_14default_configENS1_25transform_config_selectorIlLb0EEEZNS1_14transform_implILb0ES3_S5_NS0_18transform_iteratorINS0_17counting_iteratorImlEEZNS1_24adjacent_difference_implIS3_Lb1ELb0EPlSB_ZN2at6native12_GLOBAL__N_124unique_dim_cuda_templateIfEESt5tupleIJNSC_6TensorESH_SH_EERKSH_lbbbEUlllE1_EE10hipError_tPvRmT2_T3_mT4_P12ihipStream_tbEUlmE_lEESB_NS0_8identityIvEEEESM_SP_SQ_mSR_ST_bEUlT_E_NS1_11comp_targetILNS1_3genE3ELNS1_11target_archE908ELNS1_3gpuE7ELNS1_3repE0EEENS1_30default_config_static_selectorELNS0_4arch9wavefront6targetE0EEEvT1_
    .private_segment_fixed_size: 0
    .sgpr_count:     0
    .sgpr_spill_count: 0
    .symbol:         _ZN7rocprim17ROCPRIM_400000_NS6detail17trampoline_kernelINS0_14default_configENS1_25transform_config_selectorIlLb0EEEZNS1_14transform_implILb0ES3_S5_NS0_18transform_iteratorINS0_17counting_iteratorImlEEZNS1_24adjacent_difference_implIS3_Lb1ELb0EPlSB_ZN2at6native12_GLOBAL__N_124unique_dim_cuda_templateIfEESt5tupleIJNSC_6TensorESH_SH_EERKSH_lbbbEUlllE1_EE10hipError_tPvRmT2_T3_mT4_P12ihipStream_tbEUlmE_lEESB_NS0_8identityIvEEEESM_SP_SQ_mSR_ST_bEUlT_E_NS1_11comp_targetILNS1_3genE3ELNS1_11target_archE908ELNS1_3gpuE7ELNS1_3repE0EEENS1_30default_config_static_selectorELNS0_4arch9wavefront6targetE0EEEvT1_.kd
    .uniform_work_group_size: 1
    .uses_dynamic_stack: false
    .vgpr_count:     0
    .vgpr_spill_count: 0
    .wavefront_size: 32
    .workgroup_processor_mode: 1
  - .args:
      - .offset:         0
        .size:           56
        .value_kind:     by_value
    .group_segment_fixed_size: 0
    .kernarg_segment_align: 8
    .kernarg_segment_size: 56
    .language:       OpenCL C
    .language_version:
      - 2
      - 0
    .max_flat_workgroup_size: 512
    .name:           _ZN7rocprim17ROCPRIM_400000_NS6detail17trampoline_kernelINS0_14default_configENS1_25transform_config_selectorIlLb0EEEZNS1_14transform_implILb0ES3_S5_NS0_18transform_iteratorINS0_17counting_iteratorImlEEZNS1_24adjacent_difference_implIS3_Lb1ELb0EPlSB_ZN2at6native12_GLOBAL__N_124unique_dim_cuda_templateIfEESt5tupleIJNSC_6TensorESH_SH_EERKSH_lbbbEUlllE1_EE10hipError_tPvRmT2_T3_mT4_P12ihipStream_tbEUlmE_lEESB_NS0_8identityIvEEEESM_SP_SQ_mSR_ST_bEUlT_E_NS1_11comp_targetILNS1_3genE2ELNS1_11target_archE906ELNS1_3gpuE6ELNS1_3repE0EEENS1_30default_config_static_selectorELNS0_4arch9wavefront6targetE0EEEvT1_
    .private_segment_fixed_size: 0
    .sgpr_count:     0
    .sgpr_spill_count: 0
    .symbol:         _ZN7rocprim17ROCPRIM_400000_NS6detail17trampoline_kernelINS0_14default_configENS1_25transform_config_selectorIlLb0EEEZNS1_14transform_implILb0ES3_S5_NS0_18transform_iteratorINS0_17counting_iteratorImlEEZNS1_24adjacent_difference_implIS3_Lb1ELb0EPlSB_ZN2at6native12_GLOBAL__N_124unique_dim_cuda_templateIfEESt5tupleIJNSC_6TensorESH_SH_EERKSH_lbbbEUlllE1_EE10hipError_tPvRmT2_T3_mT4_P12ihipStream_tbEUlmE_lEESB_NS0_8identityIvEEEESM_SP_SQ_mSR_ST_bEUlT_E_NS1_11comp_targetILNS1_3genE2ELNS1_11target_archE906ELNS1_3gpuE6ELNS1_3repE0EEENS1_30default_config_static_selectorELNS0_4arch9wavefront6targetE0EEEvT1_.kd
    .uniform_work_group_size: 1
    .uses_dynamic_stack: false
    .vgpr_count:     0
    .vgpr_spill_count: 0
    .wavefront_size: 32
    .workgroup_processor_mode: 1
  - .args:
      - .offset:         0
        .size:           56
        .value_kind:     by_value
    .group_segment_fixed_size: 0
    .kernarg_segment_align: 8
    .kernarg_segment_size: 56
    .language:       OpenCL C
    .language_version:
      - 2
      - 0
    .max_flat_workgroup_size: 1024
    .name:           _ZN7rocprim17ROCPRIM_400000_NS6detail17trampoline_kernelINS0_14default_configENS1_25transform_config_selectorIlLb0EEEZNS1_14transform_implILb0ES3_S5_NS0_18transform_iteratorINS0_17counting_iteratorImlEEZNS1_24adjacent_difference_implIS3_Lb1ELb0EPlSB_ZN2at6native12_GLOBAL__N_124unique_dim_cuda_templateIfEESt5tupleIJNSC_6TensorESH_SH_EERKSH_lbbbEUlllE1_EE10hipError_tPvRmT2_T3_mT4_P12ihipStream_tbEUlmE_lEESB_NS0_8identityIvEEEESM_SP_SQ_mSR_ST_bEUlT_E_NS1_11comp_targetILNS1_3genE10ELNS1_11target_archE1201ELNS1_3gpuE5ELNS1_3repE0EEENS1_30default_config_static_selectorELNS0_4arch9wavefront6targetE0EEEvT1_
    .private_segment_fixed_size: 0
    .sgpr_count:     0
    .sgpr_spill_count: 0
    .symbol:         _ZN7rocprim17ROCPRIM_400000_NS6detail17trampoline_kernelINS0_14default_configENS1_25transform_config_selectorIlLb0EEEZNS1_14transform_implILb0ES3_S5_NS0_18transform_iteratorINS0_17counting_iteratorImlEEZNS1_24adjacent_difference_implIS3_Lb1ELb0EPlSB_ZN2at6native12_GLOBAL__N_124unique_dim_cuda_templateIfEESt5tupleIJNSC_6TensorESH_SH_EERKSH_lbbbEUlllE1_EE10hipError_tPvRmT2_T3_mT4_P12ihipStream_tbEUlmE_lEESB_NS0_8identityIvEEEESM_SP_SQ_mSR_ST_bEUlT_E_NS1_11comp_targetILNS1_3genE10ELNS1_11target_archE1201ELNS1_3gpuE5ELNS1_3repE0EEENS1_30default_config_static_selectorELNS0_4arch9wavefront6targetE0EEEvT1_.kd
    .uniform_work_group_size: 1
    .uses_dynamic_stack: false
    .vgpr_count:     0
    .vgpr_spill_count: 0
    .wavefront_size: 32
    .workgroup_processor_mode: 1
  - .args:
      - .offset:         0
        .size:           56
        .value_kind:     by_value
    .group_segment_fixed_size: 0
    .kernarg_segment_align: 8
    .kernarg_segment_size: 56
    .language:       OpenCL C
    .language_version:
      - 2
      - 0
    .max_flat_workgroup_size: 512
    .name:           _ZN7rocprim17ROCPRIM_400000_NS6detail17trampoline_kernelINS0_14default_configENS1_25transform_config_selectorIlLb0EEEZNS1_14transform_implILb0ES3_S5_NS0_18transform_iteratorINS0_17counting_iteratorImlEEZNS1_24adjacent_difference_implIS3_Lb1ELb0EPlSB_ZN2at6native12_GLOBAL__N_124unique_dim_cuda_templateIfEESt5tupleIJNSC_6TensorESH_SH_EERKSH_lbbbEUlllE1_EE10hipError_tPvRmT2_T3_mT4_P12ihipStream_tbEUlmE_lEESB_NS0_8identityIvEEEESM_SP_SQ_mSR_ST_bEUlT_E_NS1_11comp_targetILNS1_3genE10ELNS1_11target_archE1200ELNS1_3gpuE4ELNS1_3repE0EEENS1_30default_config_static_selectorELNS0_4arch9wavefront6targetE0EEEvT1_
    .private_segment_fixed_size: 0
    .sgpr_count:     0
    .sgpr_spill_count: 0
    .symbol:         _ZN7rocprim17ROCPRIM_400000_NS6detail17trampoline_kernelINS0_14default_configENS1_25transform_config_selectorIlLb0EEEZNS1_14transform_implILb0ES3_S5_NS0_18transform_iteratorINS0_17counting_iteratorImlEEZNS1_24adjacent_difference_implIS3_Lb1ELb0EPlSB_ZN2at6native12_GLOBAL__N_124unique_dim_cuda_templateIfEESt5tupleIJNSC_6TensorESH_SH_EERKSH_lbbbEUlllE1_EE10hipError_tPvRmT2_T3_mT4_P12ihipStream_tbEUlmE_lEESB_NS0_8identityIvEEEESM_SP_SQ_mSR_ST_bEUlT_E_NS1_11comp_targetILNS1_3genE10ELNS1_11target_archE1200ELNS1_3gpuE4ELNS1_3repE0EEENS1_30default_config_static_selectorELNS0_4arch9wavefront6targetE0EEEvT1_.kd
    .uniform_work_group_size: 1
    .uses_dynamic_stack: false
    .vgpr_count:     0
    .vgpr_spill_count: 0
    .wavefront_size: 32
    .workgroup_processor_mode: 1
  - .args:
      - .offset:         0
        .size:           56
        .value_kind:     by_value
      - .offset:         56
        .size:           4
        .value_kind:     hidden_block_count_x
      - .offset:         60
        .size:           4
        .value_kind:     hidden_block_count_y
      - .offset:         64
        .size:           4
        .value_kind:     hidden_block_count_z
      - .offset:         68
        .size:           2
        .value_kind:     hidden_group_size_x
      - .offset:         70
        .size:           2
        .value_kind:     hidden_group_size_y
      - .offset:         72
        .size:           2
        .value_kind:     hidden_group_size_z
      - .offset:         74
        .size:           2
        .value_kind:     hidden_remainder_x
      - .offset:         76
        .size:           2
        .value_kind:     hidden_remainder_y
      - .offset:         78
        .size:           2
        .value_kind:     hidden_remainder_z
      - .offset:         96
        .size:           8
        .value_kind:     hidden_global_offset_x
      - .offset:         104
        .size:           8
        .value_kind:     hidden_global_offset_y
      - .offset:         112
        .size:           8
        .value_kind:     hidden_global_offset_z
      - .offset:         120
        .size:           2
        .value_kind:     hidden_grid_dims
    .group_segment_fixed_size: 0
    .kernarg_segment_align: 8
    .kernarg_segment_size: 312
    .language:       OpenCL C
    .language_version:
      - 2
      - 0
    .max_flat_workgroup_size: 512
    .name:           _ZN7rocprim17ROCPRIM_400000_NS6detail17trampoline_kernelINS0_14default_configENS1_25transform_config_selectorIlLb0EEEZNS1_14transform_implILb0ES3_S5_NS0_18transform_iteratorINS0_17counting_iteratorImlEEZNS1_24adjacent_difference_implIS3_Lb1ELb0EPlSB_ZN2at6native12_GLOBAL__N_124unique_dim_cuda_templateIfEESt5tupleIJNSC_6TensorESH_SH_EERKSH_lbbbEUlllE1_EE10hipError_tPvRmT2_T3_mT4_P12ihipStream_tbEUlmE_lEESB_NS0_8identityIvEEEESM_SP_SQ_mSR_ST_bEUlT_E_NS1_11comp_targetILNS1_3genE9ELNS1_11target_archE1100ELNS1_3gpuE3ELNS1_3repE0EEENS1_30default_config_static_selectorELNS0_4arch9wavefront6targetE0EEEvT1_
    .private_segment_fixed_size: 0
    .sgpr_count:     18
    .sgpr_spill_count: 0
    .symbol:         _ZN7rocprim17ROCPRIM_400000_NS6detail17trampoline_kernelINS0_14default_configENS1_25transform_config_selectorIlLb0EEEZNS1_14transform_implILb0ES3_S5_NS0_18transform_iteratorINS0_17counting_iteratorImlEEZNS1_24adjacent_difference_implIS3_Lb1ELb0EPlSB_ZN2at6native12_GLOBAL__N_124unique_dim_cuda_templateIfEESt5tupleIJNSC_6TensorESH_SH_EERKSH_lbbbEUlllE1_EE10hipError_tPvRmT2_T3_mT4_P12ihipStream_tbEUlmE_lEESB_NS0_8identityIvEEEESM_SP_SQ_mSR_ST_bEUlT_E_NS1_11comp_targetILNS1_3genE9ELNS1_11target_archE1100ELNS1_3gpuE3ELNS1_3repE0EEENS1_30default_config_static_selectorELNS0_4arch9wavefront6targetE0EEEvT1_.kd
    .uniform_work_group_size: 1
    .uses_dynamic_stack: false
    .vgpr_count:     6
    .vgpr_spill_count: 0
    .wavefront_size: 32
    .workgroup_processor_mode: 1
  - .args:
      - .offset:         0
        .size:           56
        .value_kind:     by_value
    .group_segment_fixed_size: 0
    .kernarg_segment_align: 8
    .kernarg_segment_size: 56
    .language:       OpenCL C
    .language_version:
      - 2
      - 0
    .max_flat_workgroup_size: 512
    .name:           _ZN7rocprim17ROCPRIM_400000_NS6detail17trampoline_kernelINS0_14default_configENS1_25transform_config_selectorIlLb0EEEZNS1_14transform_implILb0ES3_S5_NS0_18transform_iteratorINS0_17counting_iteratorImlEEZNS1_24adjacent_difference_implIS3_Lb1ELb0EPlSB_ZN2at6native12_GLOBAL__N_124unique_dim_cuda_templateIfEESt5tupleIJNSC_6TensorESH_SH_EERKSH_lbbbEUlllE1_EE10hipError_tPvRmT2_T3_mT4_P12ihipStream_tbEUlmE_lEESB_NS0_8identityIvEEEESM_SP_SQ_mSR_ST_bEUlT_E_NS1_11comp_targetILNS1_3genE8ELNS1_11target_archE1030ELNS1_3gpuE2ELNS1_3repE0EEENS1_30default_config_static_selectorELNS0_4arch9wavefront6targetE0EEEvT1_
    .private_segment_fixed_size: 0
    .sgpr_count:     0
    .sgpr_spill_count: 0
    .symbol:         _ZN7rocprim17ROCPRIM_400000_NS6detail17trampoline_kernelINS0_14default_configENS1_25transform_config_selectorIlLb0EEEZNS1_14transform_implILb0ES3_S5_NS0_18transform_iteratorINS0_17counting_iteratorImlEEZNS1_24adjacent_difference_implIS3_Lb1ELb0EPlSB_ZN2at6native12_GLOBAL__N_124unique_dim_cuda_templateIfEESt5tupleIJNSC_6TensorESH_SH_EERKSH_lbbbEUlllE1_EE10hipError_tPvRmT2_T3_mT4_P12ihipStream_tbEUlmE_lEESB_NS0_8identityIvEEEESM_SP_SQ_mSR_ST_bEUlT_E_NS1_11comp_targetILNS1_3genE8ELNS1_11target_archE1030ELNS1_3gpuE2ELNS1_3repE0EEENS1_30default_config_static_selectorELNS0_4arch9wavefront6targetE0EEEvT1_.kd
    .uniform_work_group_size: 1
    .uses_dynamic_stack: false
    .vgpr_count:     0
    .vgpr_spill_count: 0
    .wavefront_size: 32
    .workgroup_processor_mode: 1
  - .args:
      - .offset:         0
        .size:           64
        .value_kind:     by_value
    .group_segment_fixed_size: 0
    .kernarg_segment_align: 8
    .kernarg_segment_size: 64
    .language:       OpenCL C
    .language_version:
      - 2
      - 0
    .max_flat_workgroup_size: 512
    .name:           _ZN7rocprim17ROCPRIM_400000_NS6detail17trampoline_kernelINS0_14default_configENS1_35adjacent_difference_config_selectorILb1ElEEZNS1_24adjacent_difference_implIS3_Lb1ELb0EPlS7_ZN2at6native12_GLOBAL__N_124unique_dim_cuda_templateIfEESt5tupleIJNS8_6TensorESD_SD_EERKSD_lbbbEUlllE1_EE10hipError_tPvRmT2_T3_mT4_P12ihipStream_tbEUlT_E_NS1_11comp_targetILNS1_3genE0ELNS1_11target_archE4294967295ELNS1_3gpuE0ELNS1_3repE0EEENS1_30default_config_static_selectorELNS0_4arch9wavefront6targetE0EEEvT1_
    .private_segment_fixed_size: 0
    .sgpr_count:     0
    .sgpr_spill_count: 0
    .symbol:         _ZN7rocprim17ROCPRIM_400000_NS6detail17trampoline_kernelINS0_14default_configENS1_35adjacent_difference_config_selectorILb1ElEEZNS1_24adjacent_difference_implIS3_Lb1ELb0EPlS7_ZN2at6native12_GLOBAL__N_124unique_dim_cuda_templateIfEESt5tupleIJNS8_6TensorESD_SD_EERKSD_lbbbEUlllE1_EE10hipError_tPvRmT2_T3_mT4_P12ihipStream_tbEUlT_E_NS1_11comp_targetILNS1_3genE0ELNS1_11target_archE4294967295ELNS1_3gpuE0ELNS1_3repE0EEENS1_30default_config_static_selectorELNS0_4arch9wavefront6targetE0EEEvT1_.kd
    .uniform_work_group_size: 1
    .uses_dynamic_stack: false
    .vgpr_count:     0
    .vgpr_spill_count: 0
    .wavefront_size: 32
    .workgroup_processor_mode: 1
  - .args:
      - .offset:         0
        .size:           64
        .value_kind:     by_value
    .group_segment_fixed_size: 0
    .kernarg_segment_align: 8
    .kernarg_segment_size: 64
    .language:       OpenCL C
    .language_version:
      - 2
      - 0
    .max_flat_workgroup_size: 32
    .name:           _ZN7rocprim17ROCPRIM_400000_NS6detail17trampoline_kernelINS0_14default_configENS1_35adjacent_difference_config_selectorILb1ElEEZNS1_24adjacent_difference_implIS3_Lb1ELb0EPlS7_ZN2at6native12_GLOBAL__N_124unique_dim_cuda_templateIfEESt5tupleIJNS8_6TensorESD_SD_EERKSD_lbbbEUlllE1_EE10hipError_tPvRmT2_T3_mT4_P12ihipStream_tbEUlT_E_NS1_11comp_targetILNS1_3genE10ELNS1_11target_archE1201ELNS1_3gpuE5ELNS1_3repE0EEENS1_30default_config_static_selectorELNS0_4arch9wavefront6targetE0EEEvT1_
    .private_segment_fixed_size: 0
    .sgpr_count:     0
    .sgpr_spill_count: 0
    .symbol:         _ZN7rocprim17ROCPRIM_400000_NS6detail17trampoline_kernelINS0_14default_configENS1_35adjacent_difference_config_selectorILb1ElEEZNS1_24adjacent_difference_implIS3_Lb1ELb0EPlS7_ZN2at6native12_GLOBAL__N_124unique_dim_cuda_templateIfEESt5tupleIJNS8_6TensorESD_SD_EERKSD_lbbbEUlllE1_EE10hipError_tPvRmT2_T3_mT4_P12ihipStream_tbEUlT_E_NS1_11comp_targetILNS1_3genE10ELNS1_11target_archE1201ELNS1_3gpuE5ELNS1_3repE0EEENS1_30default_config_static_selectorELNS0_4arch9wavefront6targetE0EEEvT1_.kd
    .uniform_work_group_size: 1
    .uses_dynamic_stack: false
    .vgpr_count:     0
    .vgpr_spill_count: 0
    .wavefront_size: 32
    .workgroup_processor_mode: 1
  - .args:
      - .offset:         0
        .size:           64
        .value_kind:     by_value
    .group_segment_fixed_size: 0
    .kernarg_segment_align: 8
    .kernarg_segment_size: 64
    .language:       OpenCL C
    .language_version:
      - 2
      - 0
    .max_flat_workgroup_size: 256
    .name:           _ZN7rocprim17ROCPRIM_400000_NS6detail17trampoline_kernelINS0_14default_configENS1_35adjacent_difference_config_selectorILb1ElEEZNS1_24adjacent_difference_implIS3_Lb1ELb0EPlS7_ZN2at6native12_GLOBAL__N_124unique_dim_cuda_templateIfEESt5tupleIJNS8_6TensorESD_SD_EERKSD_lbbbEUlllE1_EE10hipError_tPvRmT2_T3_mT4_P12ihipStream_tbEUlT_E_NS1_11comp_targetILNS1_3genE5ELNS1_11target_archE942ELNS1_3gpuE9ELNS1_3repE0EEENS1_30default_config_static_selectorELNS0_4arch9wavefront6targetE0EEEvT1_
    .private_segment_fixed_size: 0
    .sgpr_count:     0
    .sgpr_spill_count: 0
    .symbol:         _ZN7rocprim17ROCPRIM_400000_NS6detail17trampoline_kernelINS0_14default_configENS1_35adjacent_difference_config_selectorILb1ElEEZNS1_24adjacent_difference_implIS3_Lb1ELb0EPlS7_ZN2at6native12_GLOBAL__N_124unique_dim_cuda_templateIfEESt5tupleIJNS8_6TensorESD_SD_EERKSD_lbbbEUlllE1_EE10hipError_tPvRmT2_T3_mT4_P12ihipStream_tbEUlT_E_NS1_11comp_targetILNS1_3genE5ELNS1_11target_archE942ELNS1_3gpuE9ELNS1_3repE0EEENS1_30default_config_static_selectorELNS0_4arch9wavefront6targetE0EEEvT1_.kd
    .uniform_work_group_size: 1
    .uses_dynamic_stack: false
    .vgpr_count:     0
    .vgpr_spill_count: 0
    .wavefront_size: 32
    .workgroup_processor_mode: 1
  - .args:
      - .offset:         0
        .size:           64
        .value_kind:     by_value
    .group_segment_fixed_size: 0
    .kernarg_segment_align: 8
    .kernarg_segment_size: 64
    .language:       OpenCL C
    .language_version:
      - 2
      - 0
    .max_flat_workgroup_size: 512
    .name:           _ZN7rocprim17ROCPRIM_400000_NS6detail17trampoline_kernelINS0_14default_configENS1_35adjacent_difference_config_selectorILb1ElEEZNS1_24adjacent_difference_implIS3_Lb1ELb0EPlS7_ZN2at6native12_GLOBAL__N_124unique_dim_cuda_templateIfEESt5tupleIJNS8_6TensorESD_SD_EERKSD_lbbbEUlllE1_EE10hipError_tPvRmT2_T3_mT4_P12ihipStream_tbEUlT_E_NS1_11comp_targetILNS1_3genE4ELNS1_11target_archE910ELNS1_3gpuE8ELNS1_3repE0EEENS1_30default_config_static_selectorELNS0_4arch9wavefront6targetE0EEEvT1_
    .private_segment_fixed_size: 0
    .sgpr_count:     0
    .sgpr_spill_count: 0
    .symbol:         _ZN7rocprim17ROCPRIM_400000_NS6detail17trampoline_kernelINS0_14default_configENS1_35adjacent_difference_config_selectorILb1ElEEZNS1_24adjacent_difference_implIS3_Lb1ELb0EPlS7_ZN2at6native12_GLOBAL__N_124unique_dim_cuda_templateIfEESt5tupleIJNS8_6TensorESD_SD_EERKSD_lbbbEUlllE1_EE10hipError_tPvRmT2_T3_mT4_P12ihipStream_tbEUlT_E_NS1_11comp_targetILNS1_3genE4ELNS1_11target_archE910ELNS1_3gpuE8ELNS1_3repE0EEENS1_30default_config_static_selectorELNS0_4arch9wavefront6targetE0EEEvT1_.kd
    .uniform_work_group_size: 1
    .uses_dynamic_stack: false
    .vgpr_count:     0
    .vgpr_spill_count: 0
    .wavefront_size: 32
    .workgroup_processor_mode: 1
  - .args:
      - .offset:         0
        .size:           64
        .value_kind:     by_value
    .group_segment_fixed_size: 0
    .kernarg_segment_align: 8
    .kernarg_segment_size: 64
    .language:       OpenCL C
    .language_version:
      - 2
      - 0
    .max_flat_workgroup_size: 512
    .name:           _ZN7rocprim17ROCPRIM_400000_NS6detail17trampoline_kernelINS0_14default_configENS1_35adjacent_difference_config_selectorILb1ElEEZNS1_24adjacent_difference_implIS3_Lb1ELb0EPlS7_ZN2at6native12_GLOBAL__N_124unique_dim_cuda_templateIfEESt5tupleIJNS8_6TensorESD_SD_EERKSD_lbbbEUlllE1_EE10hipError_tPvRmT2_T3_mT4_P12ihipStream_tbEUlT_E_NS1_11comp_targetILNS1_3genE3ELNS1_11target_archE908ELNS1_3gpuE7ELNS1_3repE0EEENS1_30default_config_static_selectorELNS0_4arch9wavefront6targetE0EEEvT1_
    .private_segment_fixed_size: 0
    .sgpr_count:     0
    .sgpr_spill_count: 0
    .symbol:         _ZN7rocprim17ROCPRIM_400000_NS6detail17trampoline_kernelINS0_14default_configENS1_35adjacent_difference_config_selectorILb1ElEEZNS1_24adjacent_difference_implIS3_Lb1ELb0EPlS7_ZN2at6native12_GLOBAL__N_124unique_dim_cuda_templateIfEESt5tupleIJNS8_6TensorESD_SD_EERKSD_lbbbEUlllE1_EE10hipError_tPvRmT2_T3_mT4_P12ihipStream_tbEUlT_E_NS1_11comp_targetILNS1_3genE3ELNS1_11target_archE908ELNS1_3gpuE7ELNS1_3repE0EEENS1_30default_config_static_selectorELNS0_4arch9wavefront6targetE0EEEvT1_.kd
    .uniform_work_group_size: 1
    .uses_dynamic_stack: false
    .vgpr_count:     0
    .vgpr_spill_count: 0
    .wavefront_size: 32
    .workgroup_processor_mode: 1
  - .args:
      - .offset:         0
        .size:           64
        .value_kind:     by_value
    .group_segment_fixed_size: 0
    .kernarg_segment_align: 8
    .kernarg_segment_size: 64
    .language:       OpenCL C
    .language_version:
      - 2
      - 0
    .max_flat_workgroup_size: 128
    .name:           _ZN7rocprim17ROCPRIM_400000_NS6detail17trampoline_kernelINS0_14default_configENS1_35adjacent_difference_config_selectorILb1ElEEZNS1_24adjacent_difference_implIS3_Lb1ELb0EPlS7_ZN2at6native12_GLOBAL__N_124unique_dim_cuda_templateIfEESt5tupleIJNS8_6TensorESD_SD_EERKSD_lbbbEUlllE1_EE10hipError_tPvRmT2_T3_mT4_P12ihipStream_tbEUlT_E_NS1_11comp_targetILNS1_3genE2ELNS1_11target_archE906ELNS1_3gpuE6ELNS1_3repE0EEENS1_30default_config_static_selectorELNS0_4arch9wavefront6targetE0EEEvT1_
    .private_segment_fixed_size: 0
    .sgpr_count:     0
    .sgpr_spill_count: 0
    .symbol:         _ZN7rocprim17ROCPRIM_400000_NS6detail17trampoline_kernelINS0_14default_configENS1_35adjacent_difference_config_selectorILb1ElEEZNS1_24adjacent_difference_implIS3_Lb1ELb0EPlS7_ZN2at6native12_GLOBAL__N_124unique_dim_cuda_templateIfEESt5tupleIJNS8_6TensorESD_SD_EERKSD_lbbbEUlllE1_EE10hipError_tPvRmT2_T3_mT4_P12ihipStream_tbEUlT_E_NS1_11comp_targetILNS1_3genE2ELNS1_11target_archE906ELNS1_3gpuE6ELNS1_3repE0EEENS1_30default_config_static_selectorELNS0_4arch9wavefront6targetE0EEEvT1_.kd
    .uniform_work_group_size: 1
    .uses_dynamic_stack: false
    .vgpr_count:     0
    .vgpr_spill_count: 0
    .wavefront_size: 32
    .workgroup_processor_mode: 1
  - .args:
      - .offset:         0
        .size:           64
        .value_kind:     by_value
    .group_segment_fixed_size: 29696
    .kernarg_segment_align: 8
    .kernarg_segment_size: 64
    .language:       OpenCL C
    .language_version:
      - 2
      - 0
    .max_flat_workgroup_size: 128
    .name:           _ZN7rocprim17ROCPRIM_400000_NS6detail17trampoline_kernelINS0_14default_configENS1_35adjacent_difference_config_selectorILb1ElEEZNS1_24adjacent_difference_implIS3_Lb1ELb0EPlS7_ZN2at6native12_GLOBAL__N_124unique_dim_cuda_templateIfEESt5tupleIJNS8_6TensorESD_SD_EERKSD_lbbbEUlllE1_EE10hipError_tPvRmT2_T3_mT4_P12ihipStream_tbEUlT_E_NS1_11comp_targetILNS1_3genE9ELNS1_11target_archE1100ELNS1_3gpuE3ELNS1_3repE0EEENS1_30default_config_static_selectorELNS0_4arch9wavefront6targetE0EEEvT1_
    .private_segment_fixed_size: 0
    .sgpr_count:     32
    .sgpr_spill_count: 0
    .symbol:         _ZN7rocprim17ROCPRIM_400000_NS6detail17trampoline_kernelINS0_14default_configENS1_35adjacent_difference_config_selectorILb1ElEEZNS1_24adjacent_difference_implIS3_Lb1ELb0EPlS7_ZN2at6native12_GLOBAL__N_124unique_dim_cuda_templateIfEESt5tupleIJNS8_6TensorESD_SD_EERKSD_lbbbEUlllE1_EE10hipError_tPvRmT2_T3_mT4_P12ihipStream_tbEUlT_E_NS1_11comp_targetILNS1_3genE9ELNS1_11target_archE1100ELNS1_3gpuE3ELNS1_3repE0EEENS1_30default_config_static_selectorELNS0_4arch9wavefront6targetE0EEEvT1_.kd
    .uniform_work_group_size: 1
    .uses_dynamic_stack: false
    .vgpr_count:     196
    .vgpr_spill_count: 0
    .wavefront_size: 32
    .workgroup_processor_mode: 1
  - .args:
      - .offset:         0
        .size:           64
        .value_kind:     by_value
    .group_segment_fixed_size: 0
    .kernarg_segment_align: 8
    .kernarg_segment_size: 64
    .language:       OpenCL C
    .language_version:
      - 2
      - 0
    .max_flat_workgroup_size: 32
    .name:           _ZN7rocprim17ROCPRIM_400000_NS6detail17trampoline_kernelINS0_14default_configENS1_35adjacent_difference_config_selectorILb1ElEEZNS1_24adjacent_difference_implIS3_Lb1ELb0EPlS7_ZN2at6native12_GLOBAL__N_124unique_dim_cuda_templateIfEESt5tupleIJNS8_6TensorESD_SD_EERKSD_lbbbEUlllE1_EE10hipError_tPvRmT2_T3_mT4_P12ihipStream_tbEUlT_E_NS1_11comp_targetILNS1_3genE8ELNS1_11target_archE1030ELNS1_3gpuE2ELNS1_3repE0EEENS1_30default_config_static_selectorELNS0_4arch9wavefront6targetE0EEEvT1_
    .private_segment_fixed_size: 0
    .sgpr_count:     0
    .sgpr_spill_count: 0
    .symbol:         _ZN7rocprim17ROCPRIM_400000_NS6detail17trampoline_kernelINS0_14default_configENS1_35adjacent_difference_config_selectorILb1ElEEZNS1_24adjacent_difference_implIS3_Lb1ELb0EPlS7_ZN2at6native12_GLOBAL__N_124unique_dim_cuda_templateIfEESt5tupleIJNS8_6TensorESD_SD_EERKSD_lbbbEUlllE1_EE10hipError_tPvRmT2_T3_mT4_P12ihipStream_tbEUlT_E_NS1_11comp_targetILNS1_3genE8ELNS1_11target_archE1030ELNS1_3gpuE2ELNS1_3repE0EEENS1_30default_config_static_selectorELNS0_4arch9wavefront6targetE0EEEvT1_.kd
    .uniform_work_group_size: 1
    .uses_dynamic_stack: false
    .vgpr_count:     0
    .vgpr_spill_count: 0
    .wavefront_size: 32
    .workgroup_processor_mode: 1
  - .args:
      - .offset:         0
        .size:           120
        .value_kind:     by_value
    .group_segment_fixed_size: 0
    .kernarg_segment_align: 8
    .kernarg_segment_size: 120
    .language:       OpenCL C
    .language_version:
      - 2
      - 0
    .max_flat_workgroup_size: 512
    .name:           _ZN7rocprim17ROCPRIM_400000_NS6detail17trampoline_kernelINS0_14default_configENS1_25partition_config_selectorILNS1_17partition_subalgoE8ElNS0_10empty_typeEbEEZZNS1_14partition_implILS5_8ELb0ES3_jPlPS6_PKS6_NS0_5tupleIJS9_S6_EEENSD_IJSA_SA_EEENS0_18inequality_wrapperIZN2at6native12_GLOBAL__N_124unique_dim_cuda_templateIfEESt5tupleIJNSH_6TensorESM_SM_EERKSM_lbbbEUlllE0_EEPmJS6_EEE10hipError_tPvRmT3_T4_T5_T6_T7_T9_mT8_P12ihipStream_tbDpT10_ENKUlT_T0_E_clISt17integral_constantIbLb0EES1C_EEDaS17_S18_EUlS17_E_NS1_11comp_targetILNS1_3genE0ELNS1_11target_archE4294967295ELNS1_3gpuE0ELNS1_3repE0EEENS1_30default_config_static_selectorELNS0_4arch9wavefront6targetE0EEEvT1_
    .private_segment_fixed_size: 0
    .sgpr_count:     0
    .sgpr_spill_count: 0
    .symbol:         _ZN7rocprim17ROCPRIM_400000_NS6detail17trampoline_kernelINS0_14default_configENS1_25partition_config_selectorILNS1_17partition_subalgoE8ElNS0_10empty_typeEbEEZZNS1_14partition_implILS5_8ELb0ES3_jPlPS6_PKS6_NS0_5tupleIJS9_S6_EEENSD_IJSA_SA_EEENS0_18inequality_wrapperIZN2at6native12_GLOBAL__N_124unique_dim_cuda_templateIfEESt5tupleIJNSH_6TensorESM_SM_EERKSM_lbbbEUlllE0_EEPmJS6_EEE10hipError_tPvRmT3_T4_T5_T6_T7_T9_mT8_P12ihipStream_tbDpT10_ENKUlT_T0_E_clISt17integral_constantIbLb0EES1C_EEDaS17_S18_EUlS17_E_NS1_11comp_targetILNS1_3genE0ELNS1_11target_archE4294967295ELNS1_3gpuE0ELNS1_3repE0EEENS1_30default_config_static_selectorELNS0_4arch9wavefront6targetE0EEEvT1_.kd
    .uniform_work_group_size: 1
    .uses_dynamic_stack: false
    .vgpr_count:     0
    .vgpr_spill_count: 0
    .wavefront_size: 32
    .workgroup_processor_mode: 1
  - .args:
      - .offset:         0
        .size:           120
        .value_kind:     by_value
    .group_segment_fixed_size: 0
    .kernarg_segment_align: 8
    .kernarg_segment_size: 120
    .language:       OpenCL C
    .language_version:
      - 2
      - 0
    .max_flat_workgroup_size: 512
    .name:           _ZN7rocprim17ROCPRIM_400000_NS6detail17trampoline_kernelINS0_14default_configENS1_25partition_config_selectorILNS1_17partition_subalgoE8ElNS0_10empty_typeEbEEZZNS1_14partition_implILS5_8ELb0ES3_jPlPS6_PKS6_NS0_5tupleIJS9_S6_EEENSD_IJSA_SA_EEENS0_18inequality_wrapperIZN2at6native12_GLOBAL__N_124unique_dim_cuda_templateIfEESt5tupleIJNSH_6TensorESM_SM_EERKSM_lbbbEUlllE0_EEPmJS6_EEE10hipError_tPvRmT3_T4_T5_T6_T7_T9_mT8_P12ihipStream_tbDpT10_ENKUlT_T0_E_clISt17integral_constantIbLb0EES1C_EEDaS17_S18_EUlS17_E_NS1_11comp_targetILNS1_3genE5ELNS1_11target_archE942ELNS1_3gpuE9ELNS1_3repE0EEENS1_30default_config_static_selectorELNS0_4arch9wavefront6targetE0EEEvT1_
    .private_segment_fixed_size: 0
    .sgpr_count:     0
    .sgpr_spill_count: 0
    .symbol:         _ZN7rocprim17ROCPRIM_400000_NS6detail17trampoline_kernelINS0_14default_configENS1_25partition_config_selectorILNS1_17partition_subalgoE8ElNS0_10empty_typeEbEEZZNS1_14partition_implILS5_8ELb0ES3_jPlPS6_PKS6_NS0_5tupleIJS9_S6_EEENSD_IJSA_SA_EEENS0_18inequality_wrapperIZN2at6native12_GLOBAL__N_124unique_dim_cuda_templateIfEESt5tupleIJNSH_6TensorESM_SM_EERKSM_lbbbEUlllE0_EEPmJS6_EEE10hipError_tPvRmT3_T4_T5_T6_T7_T9_mT8_P12ihipStream_tbDpT10_ENKUlT_T0_E_clISt17integral_constantIbLb0EES1C_EEDaS17_S18_EUlS17_E_NS1_11comp_targetILNS1_3genE5ELNS1_11target_archE942ELNS1_3gpuE9ELNS1_3repE0EEENS1_30default_config_static_selectorELNS0_4arch9wavefront6targetE0EEEvT1_.kd
    .uniform_work_group_size: 1
    .uses_dynamic_stack: false
    .vgpr_count:     0
    .vgpr_spill_count: 0
    .wavefront_size: 32
    .workgroup_processor_mode: 1
  - .args:
      - .offset:         0
        .size:           120
        .value_kind:     by_value
    .group_segment_fixed_size: 0
    .kernarg_segment_align: 8
    .kernarg_segment_size: 120
    .language:       OpenCL C
    .language_version:
      - 2
      - 0
    .max_flat_workgroup_size: 256
    .name:           _ZN7rocprim17ROCPRIM_400000_NS6detail17trampoline_kernelINS0_14default_configENS1_25partition_config_selectorILNS1_17partition_subalgoE8ElNS0_10empty_typeEbEEZZNS1_14partition_implILS5_8ELb0ES3_jPlPS6_PKS6_NS0_5tupleIJS9_S6_EEENSD_IJSA_SA_EEENS0_18inequality_wrapperIZN2at6native12_GLOBAL__N_124unique_dim_cuda_templateIfEESt5tupleIJNSH_6TensorESM_SM_EERKSM_lbbbEUlllE0_EEPmJS6_EEE10hipError_tPvRmT3_T4_T5_T6_T7_T9_mT8_P12ihipStream_tbDpT10_ENKUlT_T0_E_clISt17integral_constantIbLb0EES1C_EEDaS17_S18_EUlS17_E_NS1_11comp_targetILNS1_3genE4ELNS1_11target_archE910ELNS1_3gpuE8ELNS1_3repE0EEENS1_30default_config_static_selectorELNS0_4arch9wavefront6targetE0EEEvT1_
    .private_segment_fixed_size: 0
    .sgpr_count:     0
    .sgpr_spill_count: 0
    .symbol:         _ZN7rocprim17ROCPRIM_400000_NS6detail17trampoline_kernelINS0_14default_configENS1_25partition_config_selectorILNS1_17partition_subalgoE8ElNS0_10empty_typeEbEEZZNS1_14partition_implILS5_8ELb0ES3_jPlPS6_PKS6_NS0_5tupleIJS9_S6_EEENSD_IJSA_SA_EEENS0_18inequality_wrapperIZN2at6native12_GLOBAL__N_124unique_dim_cuda_templateIfEESt5tupleIJNSH_6TensorESM_SM_EERKSM_lbbbEUlllE0_EEPmJS6_EEE10hipError_tPvRmT3_T4_T5_T6_T7_T9_mT8_P12ihipStream_tbDpT10_ENKUlT_T0_E_clISt17integral_constantIbLb0EES1C_EEDaS17_S18_EUlS17_E_NS1_11comp_targetILNS1_3genE4ELNS1_11target_archE910ELNS1_3gpuE8ELNS1_3repE0EEENS1_30default_config_static_selectorELNS0_4arch9wavefront6targetE0EEEvT1_.kd
    .uniform_work_group_size: 1
    .uses_dynamic_stack: false
    .vgpr_count:     0
    .vgpr_spill_count: 0
    .wavefront_size: 32
    .workgroup_processor_mode: 1
  - .args:
      - .offset:         0
        .size:           120
        .value_kind:     by_value
    .group_segment_fixed_size: 0
    .kernarg_segment_align: 8
    .kernarg_segment_size: 120
    .language:       OpenCL C
    .language_version:
      - 2
      - 0
    .max_flat_workgroup_size: 512
    .name:           _ZN7rocprim17ROCPRIM_400000_NS6detail17trampoline_kernelINS0_14default_configENS1_25partition_config_selectorILNS1_17partition_subalgoE8ElNS0_10empty_typeEbEEZZNS1_14partition_implILS5_8ELb0ES3_jPlPS6_PKS6_NS0_5tupleIJS9_S6_EEENSD_IJSA_SA_EEENS0_18inequality_wrapperIZN2at6native12_GLOBAL__N_124unique_dim_cuda_templateIfEESt5tupleIJNSH_6TensorESM_SM_EERKSM_lbbbEUlllE0_EEPmJS6_EEE10hipError_tPvRmT3_T4_T5_T6_T7_T9_mT8_P12ihipStream_tbDpT10_ENKUlT_T0_E_clISt17integral_constantIbLb0EES1C_EEDaS17_S18_EUlS17_E_NS1_11comp_targetILNS1_3genE3ELNS1_11target_archE908ELNS1_3gpuE7ELNS1_3repE0EEENS1_30default_config_static_selectorELNS0_4arch9wavefront6targetE0EEEvT1_
    .private_segment_fixed_size: 0
    .sgpr_count:     0
    .sgpr_spill_count: 0
    .symbol:         _ZN7rocprim17ROCPRIM_400000_NS6detail17trampoline_kernelINS0_14default_configENS1_25partition_config_selectorILNS1_17partition_subalgoE8ElNS0_10empty_typeEbEEZZNS1_14partition_implILS5_8ELb0ES3_jPlPS6_PKS6_NS0_5tupleIJS9_S6_EEENSD_IJSA_SA_EEENS0_18inequality_wrapperIZN2at6native12_GLOBAL__N_124unique_dim_cuda_templateIfEESt5tupleIJNSH_6TensorESM_SM_EERKSM_lbbbEUlllE0_EEPmJS6_EEE10hipError_tPvRmT3_T4_T5_T6_T7_T9_mT8_P12ihipStream_tbDpT10_ENKUlT_T0_E_clISt17integral_constantIbLb0EES1C_EEDaS17_S18_EUlS17_E_NS1_11comp_targetILNS1_3genE3ELNS1_11target_archE908ELNS1_3gpuE7ELNS1_3repE0EEENS1_30default_config_static_selectorELNS0_4arch9wavefront6targetE0EEEvT1_.kd
    .uniform_work_group_size: 1
    .uses_dynamic_stack: false
    .vgpr_count:     0
    .vgpr_spill_count: 0
    .wavefront_size: 32
    .workgroup_processor_mode: 1
  - .args:
      - .offset:         0
        .size:           120
        .value_kind:     by_value
    .group_segment_fixed_size: 0
    .kernarg_segment_align: 8
    .kernarg_segment_size: 120
    .language:       OpenCL C
    .language_version:
      - 2
      - 0
    .max_flat_workgroup_size: 256
    .name:           _ZN7rocprim17ROCPRIM_400000_NS6detail17trampoline_kernelINS0_14default_configENS1_25partition_config_selectorILNS1_17partition_subalgoE8ElNS0_10empty_typeEbEEZZNS1_14partition_implILS5_8ELb0ES3_jPlPS6_PKS6_NS0_5tupleIJS9_S6_EEENSD_IJSA_SA_EEENS0_18inequality_wrapperIZN2at6native12_GLOBAL__N_124unique_dim_cuda_templateIfEESt5tupleIJNSH_6TensorESM_SM_EERKSM_lbbbEUlllE0_EEPmJS6_EEE10hipError_tPvRmT3_T4_T5_T6_T7_T9_mT8_P12ihipStream_tbDpT10_ENKUlT_T0_E_clISt17integral_constantIbLb0EES1C_EEDaS17_S18_EUlS17_E_NS1_11comp_targetILNS1_3genE2ELNS1_11target_archE906ELNS1_3gpuE6ELNS1_3repE0EEENS1_30default_config_static_selectorELNS0_4arch9wavefront6targetE0EEEvT1_
    .private_segment_fixed_size: 0
    .sgpr_count:     0
    .sgpr_spill_count: 0
    .symbol:         _ZN7rocprim17ROCPRIM_400000_NS6detail17trampoline_kernelINS0_14default_configENS1_25partition_config_selectorILNS1_17partition_subalgoE8ElNS0_10empty_typeEbEEZZNS1_14partition_implILS5_8ELb0ES3_jPlPS6_PKS6_NS0_5tupleIJS9_S6_EEENSD_IJSA_SA_EEENS0_18inequality_wrapperIZN2at6native12_GLOBAL__N_124unique_dim_cuda_templateIfEESt5tupleIJNSH_6TensorESM_SM_EERKSM_lbbbEUlllE0_EEPmJS6_EEE10hipError_tPvRmT3_T4_T5_T6_T7_T9_mT8_P12ihipStream_tbDpT10_ENKUlT_T0_E_clISt17integral_constantIbLb0EES1C_EEDaS17_S18_EUlS17_E_NS1_11comp_targetILNS1_3genE2ELNS1_11target_archE906ELNS1_3gpuE6ELNS1_3repE0EEENS1_30default_config_static_selectorELNS0_4arch9wavefront6targetE0EEEvT1_.kd
    .uniform_work_group_size: 1
    .uses_dynamic_stack: false
    .vgpr_count:     0
    .vgpr_spill_count: 0
    .wavefront_size: 32
    .workgroup_processor_mode: 1
  - .args:
      - .offset:         0
        .size:           120
        .value_kind:     by_value
    .group_segment_fixed_size: 0
    .kernarg_segment_align: 8
    .kernarg_segment_size: 120
    .language:       OpenCL C
    .language_version:
      - 2
      - 0
    .max_flat_workgroup_size: 384
    .name:           _ZN7rocprim17ROCPRIM_400000_NS6detail17trampoline_kernelINS0_14default_configENS1_25partition_config_selectorILNS1_17partition_subalgoE8ElNS0_10empty_typeEbEEZZNS1_14partition_implILS5_8ELb0ES3_jPlPS6_PKS6_NS0_5tupleIJS9_S6_EEENSD_IJSA_SA_EEENS0_18inequality_wrapperIZN2at6native12_GLOBAL__N_124unique_dim_cuda_templateIfEESt5tupleIJNSH_6TensorESM_SM_EERKSM_lbbbEUlllE0_EEPmJS6_EEE10hipError_tPvRmT3_T4_T5_T6_T7_T9_mT8_P12ihipStream_tbDpT10_ENKUlT_T0_E_clISt17integral_constantIbLb0EES1C_EEDaS17_S18_EUlS17_E_NS1_11comp_targetILNS1_3genE10ELNS1_11target_archE1200ELNS1_3gpuE4ELNS1_3repE0EEENS1_30default_config_static_selectorELNS0_4arch9wavefront6targetE0EEEvT1_
    .private_segment_fixed_size: 0
    .sgpr_count:     0
    .sgpr_spill_count: 0
    .symbol:         _ZN7rocprim17ROCPRIM_400000_NS6detail17trampoline_kernelINS0_14default_configENS1_25partition_config_selectorILNS1_17partition_subalgoE8ElNS0_10empty_typeEbEEZZNS1_14partition_implILS5_8ELb0ES3_jPlPS6_PKS6_NS0_5tupleIJS9_S6_EEENSD_IJSA_SA_EEENS0_18inequality_wrapperIZN2at6native12_GLOBAL__N_124unique_dim_cuda_templateIfEESt5tupleIJNSH_6TensorESM_SM_EERKSM_lbbbEUlllE0_EEPmJS6_EEE10hipError_tPvRmT3_T4_T5_T6_T7_T9_mT8_P12ihipStream_tbDpT10_ENKUlT_T0_E_clISt17integral_constantIbLb0EES1C_EEDaS17_S18_EUlS17_E_NS1_11comp_targetILNS1_3genE10ELNS1_11target_archE1200ELNS1_3gpuE4ELNS1_3repE0EEENS1_30default_config_static_selectorELNS0_4arch9wavefront6targetE0EEEvT1_.kd
    .uniform_work_group_size: 1
    .uses_dynamic_stack: false
    .vgpr_count:     0
    .vgpr_spill_count: 0
    .wavefront_size: 32
    .workgroup_processor_mode: 1
  - .args:
      - .offset:         0
        .size:           120
        .value_kind:     by_value
    .group_segment_fixed_size: 33804
    .kernarg_segment_align: 8
    .kernarg_segment_size: 120
    .language:       OpenCL C
    .language_version:
      - 2
      - 0
    .max_flat_workgroup_size: 512
    .name:           _ZN7rocprim17ROCPRIM_400000_NS6detail17trampoline_kernelINS0_14default_configENS1_25partition_config_selectorILNS1_17partition_subalgoE8ElNS0_10empty_typeEbEEZZNS1_14partition_implILS5_8ELb0ES3_jPlPS6_PKS6_NS0_5tupleIJS9_S6_EEENSD_IJSA_SA_EEENS0_18inequality_wrapperIZN2at6native12_GLOBAL__N_124unique_dim_cuda_templateIfEESt5tupleIJNSH_6TensorESM_SM_EERKSM_lbbbEUlllE0_EEPmJS6_EEE10hipError_tPvRmT3_T4_T5_T6_T7_T9_mT8_P12ihipStream_tbDpT10_ENKUlT_T0_E_clISt17integral_constantIbLb0EES1C_EEDaS17_S18_EUlS17_E_NS1_11comp_targetILNS1_3genE9ELNS1_11target_archE1100ELNS1_3gpuE3ELNS1_3repE0EEENS1_30default_config_static_selectorELNS0_4arch9wavefront6targetE0EEEvT1_
    .private_segment_fixed_size: 0
    .sgpr_count:     38
    .sgpr_spill_count: 0
    .symbol:         _ZN7rocprim17ROCPRIM_400000_NS6detail17trampoline_kernelINS0_14default_configENS1_25partition_config_selectorILNS1_17partition_subalgoE8ElNS0_10empty_typeEbEEZZNS1_14partition_implILS5_8ELb0ES3_jPlPS6_PKS6_NS0_5tupleIJS9_S6_EEENSD_IJSA_SA_EEENS0_18inequality_wrapperIZN2at6native12_GLOBAL__N_124unique_dim_cuda_templateIfEESt5tupleIJNSH_6TensorESM_SM_EERKSM_lbbbEUlllE0_EEPmJS6_EEE10hipError_tPvRmT3_T4_T5_T6_T7_T9_mT8_P12ihipStream_tbDpT10_ENKUlT_T0_E_clISt17integral_constantIbLb0EES1C_EEDaS17_S18_EUlS17_E_NS1_11comp_targetILNS1_3genE9ELNS1_11target_archE1100ELNS1_3gpuE3ELNS1_3repE0EEENS1_30default_config_static_selectorELNS0_4arch9wavefront6targetE0EEEvT1_.kd
    .uniform_work_group_size: 1
    .uses_dynamic_stack: false
    .vgpr_count:     52
    .vgpr_spill_count: 0
    .wavefront_size: 32
    .workgroup_processor_mode: 1
  - .args:
      - .offset:         0
        .size:           120
        .value_kind:     by_value
    .group_segment_fixed_size: 0
    .kernarg_segment_align: 8
    .kernarg_segment_size: 120
    .language:       OpenCL C
    .language_version:
      - 2
      - 0
    .max_flat_workgroup_size: 512
    .name:           _ZN7rocprim17ROCPRIM_400000_NS6detail17trampoline_kernelINS0_14default_configENS1_25partition_config_selectorILNS1_17partition_subalgoE8ElNS0_10empty_typeEbEEZZNS1_14partition_implILS5_8ELb0ES3_jPlPS6_PKS6_NS0_5tupleIJS9_S6_EEENSD_IJSA_SA_EEENS0_18inequality_wrapperIZN2at6native12_GLOBAL__N_124unique_dim_cuda_templateIfEESt5tupleIJNSH_6TensorESM_SM_EERKSM_lbbbEUlllE0_EEPmJS6_EEE10hipError_tPvRmT3_T4_T5_T6_T7_T9_mT8_P12ihipStream_tbDpT10_ENKUlT_T0_E_clISt17integral_constantIbLb0EES1C_EEDaS17_S18_EUlS17_E_NS1_11comp_targetILNS1_3genE8ELNS1_11target_archE1030ELNS1_3gpuE2ELNS1_3repE0EEENS1_30default_config_static_selectorELNS0_4arch9wavefront6targetE0EEEvT1_
    .private_segment_fixed_size: 0
    .sgpr_count:     0
    .sgpr_spill_count: 0
    .symbol:         _ZN7rocprim17ROCPRIM_400000_NS6detail17trampoline_kernelINS0_14default_configENS1_25partition_config_selectorILNS1_17partition_subalgoE8ElNS0_10empty_typeEbEEZZNS1_14partition_implILS5_8ELb0ES3_jPlPS6_PKS6_NS0_5tupleIJS9_S6_EEENSD_IJSA_SA_EEENS0_18inequality_wrapperIZN2at6native12_GLOBAL__N_124unique_dim_cuda_templateIfEESt5tupleIJNSH_6TensorESM_SM_EERKSM_lbbbEUlllE0_EEPmJS6_EEE10hipError_tPvRmT3_T4_T5_T6_T7_T9_mT8_P12ihipStream_tbDpT10_ENKUlT_T0_E_clISt17integral_constantIbLb0EES1C_EEDaS17_S18_EUlS17_E_NS1_11comp_targetILNS1_3genE8ELNS1_11target_archE1030ELNS1_3gpuE2ELNS1_3repE0EEENS1_30default_config_static_selectorELNS0_4arch9wavefront6targetE0EEEvT1_.kd
    .uniform_work_group_size: 1
    .uses_dynamic_stack: false
    .vgpr_count:     0
    .vgpr_spill_count: 0
    .wavefront_size: 32
    .workgroup_processor_mode: 1
  - .args:
      - .offset:         0
        .size:           136
        .value_kind:     by_value
    .group_segment_fixed_size: 0
    .kernarg_segment_align: 8
    .kernarg_segment_size: 136
    .language:       OpenCL C
    .language_version:
      - 2
      - 0
    .max_flat_workgroup_size: 512
    .name:           _ZN7rocprim17ROCPRIM_400000_NS6detail17trampoline_kernelINS0_14default_configENS1_25partition_config_selectorILNS1_17partition_subalgoE8ElNS0_10empty_typeEbEEZZNS1_14partition_implILS5_8ELb0ES3_jPlPS6_PKS6_NS0_5tupleIJS9_S6_EEENSD_IJSA_SA_EEENS0_18inequality_wrapperIZN2at6native12_GLOBAL__N_124unique_dim_cuda_templateIfEESt5tupleIJNSH_6TensorESM_SM_EERKSM_lbbbEUlllE0_EEPmJS6_EEE10hipError_tPvRmT3_T4_T5_T6_T7_T9_mT8_P12ihipStream_tbDpT10_ENKUlT_T0_E_clISt17integral_constantIbLb1EES1C_EEDaS17_S18_EUlS17_E_NS1_11comp_targetILNS1_3genE0ELNS1_11target_archE4294967295ELNS1_3gpuE0ELNS1_3repE0EEENS1_30default_config_static_selectorELNS0_4arch9wavefront6targetE0EEEvT1_
    .private_segment_fixed_size: 0
    .sgpr_count:     0
    .sgpr_spill_count: 0
    .symbol:         _ZN7rocprim17ROCPRIM_400000_NS6detail17trampoline_kernelINS0_14default_configENS1_25partition_config_selectorILNS1_17partition_subalgoE8ElNS0_10empty_typeEbEEZZNS1_14partition_implILS5_8ELb0ES3_jPlPS6_PKS6_NS0_5tupleIJS9_S6_EEENSD_IJSA_SA_EEENS0_18inequality_wrapperIZN2at6native12_GLOBAL__N_124unique_dim_cuda_templateIfEESt5tupleIJNSH_6TensorESM_SM_EERKSM_lbbbEUlllE0_EEPmJS6_EEE10hipError_tPvRmT3_T4_T5_T6_T7_T9_mT8_P12ihipStream_tbDpT10_ENKUlT_T0_E_clISt17integral_constantIbLb1EES1C_EEDaS17_S18_EUlS17_E_NS1_11comp_targetILNS1_3genE0ELNS1_11target_archE4294967295ELNS1_3gpuE0ELNS1_3repE0EEENS1_30default_config_static_selectorELNS0_4arch9wavefront6targetE0EEEvT1_.kd
    .uniform_work_group_size: 1
    .uses_dynamic_stack: false
    .vgpr_count:     0
    .vgpr_spill_count: 0
    .wavefront_size: 32
    .workgroup_processor_mode: 1
  - .args:
      - .offset:         0
        .size:           136
        .value_kind:     by_value
    .group_segment_fixed_size: 0
    .kernarg_segment_align: 8
    .kernarg_segment_size: 136
    .language:       OpenCL C
    .language_version:
      - 2
      - 0
    .max_flat_workgroup_size: 512
    .name:           _ZN7rocprim17ROCPRIM_400000_NS6detail17trampoline_kernelINS0_14default_configENS1_25partition_config_selectorILNS1_17partition_subalgoE8ElNS0_10empty_typeEbEEZZNS1_14partition_implILS5_8ELb0ES3_jPlPS6_PKS6_NS0_5tupleIJS9_S6_EEENSD_IJSA_SA_EEENS0_18inequality_wrapperIZN2at6native12_GLOBAL__N_124unique_dim_cuda_templateIfEESt5tupleIJNSH_6TensorESM_SM_EERKSM_lbbbEUlllE0_EEPmJS6_EEE10hipError_tPvRmT3_T4_T5_T6_T7_T9_mT8_P12ihipStream_tbDpT10_ENKUlT_T0_E_clISt17integral_constantIbLb1EES1C_EEDaS17_S18_EUlS17_E_NS1_11comp_targetILNS1_3genE5ELNS1_11target_archE942ELNS1_3gpuE9ELNS1_3repE0EEENS1_30default_config_static_selectorELNS0_4arch9wavefront6targetE0EEEvT1_
    .private_segment_fixed_size: 0
    .sgpr_count:     0
    .sgpr_spill_count: 0
    .symbol:         _ZN7rocprim17ROCPRIM_400000_NS6detail17trampoline_kernelINS0_14default_configENS1_25partition_config_selectorILNS1_17partition_subalgoE8ElNS0_10empty_typeEbEEZZNS1_14partition_implILS5_8ELb0ES3_jPlPS6_PKS6_NS0_5tupleIJS9_S6_EEENSD_IJSA_SA_EEENS0_18inequality_wrapperIZN2at6native12_GLOBAL__N_124unique_dim_cuda_templateIfEESt5tupleIJNSH_6TensorESM_SM_EERKSM_lbbbEUlllE0_EEPmJS6_EEE10hipError_tPvRmT3_T4_T5_T6_T7_T9_mT8_P12ihipStream_tbDpT10_ENKUlT_T0_E_clISt17integral_constantIbLb1EES1C_EEDaS17_S18_EUlS17_E_NS1_11comp_targetILNS1_3genE5ELNS1_11target_archE942ELNS1_3gpuE9ELNS1_3repE0EEENS1_30default_config_static_selectorELNS0_4arch9wavefront6targetE0EEEvT1_.kd
    .uniform_work_group_size: 1
    .uses_dynamic_stack: false
    .vgpr_count:     0
    .vgpr_spill_count: 0
    .wavefront_size: 32
    .workgroup_processor_mode: 1
  - .args:
      - .offset:         0
        .size:           136
        .value_kind:     by_value
    .group_segment_fixed_size: 0
    .kernarg_segment_align: 8
    .kernarg_segment_size: 136
    .language:       OpenCL C
    .language_version:
      - 2
      - 0
    .max_flat_workgroup_size: 256
    .name:           _ZN7rocprim17ROCPRIM_400000_NS6detail17trampoline_kernelINS0_14default_configENS1_25partition_config_selectorILNS1_17partition_subalgoE8ElNS0_10empty_typeEbEEZZNS1_14partition_implILS5_8ELb0ES3_jPlPS6_PKS6_NS0_5tupleIJS9_S6_EEENSD_IJSA_SA_EEENS0_18inequality_wrapperIZN2at6native12_GLOBAL__N_124unique_dim_cuda_templateIfEESt5tupleIJNSH_6TensorESM_SM_EERKSM_lbbbEUlllE0_EEPmJS6_EEE10hipError_tPvRmT3_T4_T5_T6_T7_T9_mT8_P12ihipStream_tbDpT10_ENKUlT_T0_E_clISt17integral_constantIbLb1EES1C_EEDaS17_S18_EUlS17_E_NS1_11comp_targetILNS1_3genE4ELNS1_11target_archE910ELNS1_3gpuE8ELNS1_3repE0EEENS1_30default_config_static_selectorELNS0_4arch9wavefront6targetE0EEEvT1_
    .private_segment_fixed_size: 0
    .sgpr_count:     0
    .sgpr_spill_count: 0
    .symbol:         _ZN7rocprim17ROCPRIM_400000_NS6detail17trampoline_kernelINS0_14default_configENS1_25partition_config_selectorILNS1_17partition_subalgoE8ElNS0_10empty_typeEbEEZZNS1_14partition_implILS5_8ELb0ES3_jPlPS6_PKS6_NS0_5tupleIJS9_S6_EEENSD_IJSA_SA_EEENS0_18inequality_wrapperIZN2at6native12_GLOBAL__N_124unique_dim_cuda_templateIfEESt5tupleIJNSH_6TensorESM_SM_EERKSM_lbbbEUlllE0_EEPmJS6_EEE10hipError_tPvRmT3_T4_T5_T6_T7_T9_mT8_P12ihipStream_tbDpT10_ENKUlT_T0_E_clISt17integral_constantIbLb1EES1C_EEDaS17_S18_EUlS17_E_NS1_11comp_targetILNS1_3genE4ELNS1_11target_archE910ELNS1_3gpuE8ELNS1_3repE0EEENS1_30default_config_static_selectorELNS0_4arch9wavefront6targetE0EEEvT1_.kd
    .uniform_work_group_size: 1
    .uses_dynamic_stack: false
    .vgpr_count:     0
    .vgpr_spill_count: 0
    .wavefront_size: 32
    .workgroup_processor_mode: 1
  - .args:
      - .offset:         0
        .size:           136
        .value_kind:     by_value
    .group_segment_fixed_size: 0
    .kernarg_segment_align: 8
    .kernarg_segment_size: 136
    .language:       OpenCL C
    .language_version:
      - 2
      - 0
    .max_flat_workgroup_size: 512
    .name:           _ZN7rocprim17ROCPRIM_400000_NS6detail17trampoline_kernelINS0_14default_configENS1_25partition_config_selectorILNS1_17partition_subalgoE8ElNS0_10empty_typeEbEEZZNS1_14partition_implILS5_8ELb0ES3_jPlPS6_PKS6_NS0_5tupleIJS9_S6_EEENSD_IJSA_SA_EEENS0_18inequality_wrapperIZN2at6native12_GLOBAL__N_124unique_dim_cuda_templateIfEESt5tupleIJNSH_6TensorESM_SM_EERKSM_lbbbEUlllE0_EEPmJS6_EEE10hipError_tPvRmT3_T4_T5_T6_T7_T9_mT8_P12ihipStream_tbDpT10_ENKUlT_T0_E_clISt17integral_constantIbLb1EES1C_EEDaS17_S18_EUlS17_E_NS1_11comp_targetILNS1_3genE3ELNS1_11target_archE908ELNS1_3gpuE7ELNS1_3repE0EEENS1_30default_config_static_selectorELNS0_4arch9wavefront6targetE0EEEvT1_
    .private_segment_fixed_size: 0
    .sgpr_count:     0
    .sgpr_spill_count: 0
    .symbol:         _ZN7rocprim17ROCPRIM_400000_NS6detail17trampoline_kernelINS0_14default_configENS1_25partition_config_selectorILNS1_17partition_subalgoE8ElNS0_10empty_typeEbEEZZNS1_14partition_implILS5_8ELb0ES3_jPlPS6_PKS6_NS0_5tupleIJS9_S6_EEENSD_IJSA_SA_EEENS0_18inequality_wrapperIZN2at6native12_GLOBAL__N_124unique_dim_cuda_templateIfEESt5tupleIJNSH_6TensorESM_SM_EERKSM_lbbbEUlllE0_EEPmJS6_EEE10hipError_tPvRmT3_T4_T5_T6_T7_T9_mT8_P12ihipStream_tbDpT10_ENKUlT_T0_E_clISt17integral_constantIbLb1EES1C_EEDaS17_S18_EUlS17_E_NS1_11comp_targetILNS1_3genE3ELNS1_11target_archE908ELNS1_3gpuE7ELNS1_3repE0EEENS1_30default_config_static_selectorELNS0_4arch9wavefront6targetE0EEEvT1_.kd
    .uniform_work_group_size: 1
    .uses_dynamic_stack: false
    .vgpr_count:     0
    .vgpr_spill_count: 0
    .wavefront_size: 32
    .workgroup_processor_mode: 1
  - .args:
      - .offset:         0
        .size:           136
        .value_kind:     by_value
    .group_segment_fixed_size: 0
    .kernarg_segment_align: 8
    .kernarg_segment_size: 136
    .language:       OpenCL C
    .language_version:
      - 2
      - 0
    .max_flat_workgroup_size: 256
    .name:           _ZN7rocprim17ROCPRIM_400000_NS6detail17trampoline_kernelINS0_14default_configENS1_25partition_config_selectorILNS1_17partition_subalgoE8ElNS0_10empty_typeEbEEZZNS1_14partition_implILS5_8ELb0ES3_jPlPS6_PKS6_NS0_5tupleIJS9_S6_EEENSD_IJSA_SA_EEENS0_18inequality_wrapperIZN2at6native12_GLOBAL__N_124unique_dim_cuda_templateIfEESt5tupleIJNSH_6TensorESM_SM_EERKSM_lbbbEUlllE0_EEPmJS6_EEE10hipError_tPvRmT3_T4_T5_T6_T7_T9_mT8_P12ihipStream_tbDpT10_ENKUlT_T0_E_clISt17integral_constantIbLb1EES1C_EEDaS17_S18_EUlS17_E_NS1_11comp_targetILNS1_3genE2ELNS1_11target_archE906ELNS1_3gpuE6ELNS1_3repE0EEENS1_30default_config_static_selectorELNS0_4arch9wavefront6targetE0EEEvT1_
    .private_segment_fixed_size: 0
    .sgpr_count:     0
    .sgpr_spill_count: 0
    .symbol:         _ZN7rocprim17ROCPRIM_400000_NS6detail17trampoline_kernelINS0_14default_configENS1_25partition_config_selectorILNS1_17partition_subalgoE8ElNS0_10empty_typeEbEEZZNS1_14partition_implILS5_8ELb0ES3_jPlPS6_PKS6_NS0_5tupleIJS9_S6_EEENSD_IJSA_SA_EEENS0_18inequality_wrapperIZN2at6native12_GLOBAL__N_124unique_dim_cuda_templateIfEESt5tupleIJNSH_6TensorESM_SM_EERKSM_lbbbEUlllE0_EEPmJS6_EEE10hipError_tPvRmT3_T4_T5_T6_T7_T9_mT8_P12ihipStream_tbDpT10_ENKUlT_T0_E_clISt17integral_constantIbLb1EES1C_EEDaS17_S18_EUlS17_E_NS1_11comp_targetILNS1_3genE2ELNS1_11target_archE906ELNS1_3gpuE6ELNS1_3repE0EEENS1_30default_config_static_selectorELNS0_4arch9wavefront6targetE0EEEvT1_.kd
    .uniform_work_group_size: 1
    .uses_dynamic_stack: false
    .vgpr_count:     0
    .vgpr_spill_count: 0
    .wavefront_size: 32
    .workgroup_processor_mode: 1
  - .args:
      - .offset:         0
        .size:           136
        .value_kind:     by_value
    .group_segment_fixed_size: 0
    .kernarg_segment_align: 8
    .kernarg_segment_size: 136
    .language:       OpenCL C
    .language_version:
      - 2
      - 0
    .max_flat_workgroup_size: 384
    .name:           _ZN7rocprim17ROCPRIM_400000_NS6detail17trampoline_kernelINS0_14default_configENS1_25partition_config_selectorILNS1_17partition_subalgoE8ElNS0_10empty_typeEbEEZZNS1_14partition_implILS5_8ELb0ES3_jPlPS6_PKS6_NS0_5tupleIJS9_S6_EEENSD_IJSA_SA_EEENS0_18inequality_wrapperIZN2at6native12_GLOBAL__N_124unique_dim_cuda_templateIfEESt5tupleIJNSH_6TensorESM_SM_EERKSM_lbbbEUlllE0_EEPmJS6_EEE10hipError_tPvRmT3_T4_T5_T6_T7_T9_mT8_P12ihipStream_tbDpT10_ENKUlT_T0_E_clISt17integral_constantIbLb1EES1C_EEDaS17_S18_EUlS17_E_NS1_11comp_targetILNS1_3genE10ELNS1_11target_archE1200ELNS1_3gpuE4ELNS1_3repE0EEENS1_30default_config_static_selectorELNS0_4arch9wavefront6targetE0EEEvT1_
    .private_segment_fixed_size: 0
    .sgpr_count:     0
    .sgpr_spill_count: 0
    .symbol:         _ZN7rocprim17ROCPRIM_400000_NS6detail17trampoline_kernelINS0_14default_configENS1_25partition_config_selectorILNS1_17partition_subalgoE8ElNS0_10empty_typeEbEEZZNS1_14partition_implILS5_8ELb0ES3_jPlPS6_PKS6_NS0_5tupleIJS9_S6_EEENSD_IJSA_SA_EEENS0_18inequality_wrapperIZN2at6native12_GLOBAL__N_124unique_dim_cuda_templateIfEESt5tupleIJNSH_6TensorESM_SM_EERKSM_lbbbEUlllE0_EEPmJS6_EEE10hipError_tPvRmT3_T4_T5_T6_T7_T9_mT8_P12ihipStream_tbDpT10_ENKUlT_T0_E_clISt17integral_constantIbLb1EES1C_EEDaS17_S18_EUlS17_E_NS1_11comp_targetILNS1_3genE10ELNS1_11target_archE1200ELNS1_3gpuE4ELNS1_3repE0EEENS1_30default_config_static_selectorELNS0_4arch9wavefront6targetE0EEEvT1_.kd
    .uniform_work_group_size: 1
    .uses_dynamic_stack: false
    .vgpr_count:     0
    .vgpr_spill_count: 0
    .wavefront_size: 32
    .workgroup_processor_mode: 1
  - .args:
      - .offset:         0
        .size:           136
        .value_kind:     by_value
    .group_segment_fixed_size: 33804
    .kernarg_segment_align: 8
    .kernarg_segment_size: 136
    .language:       OpenCL C
    .language_version:
      - 2
      - 0
    .max_flat_workgroup_size: 512
    .name:           _ZN7rocprim17ROCPRIM_400000_NS6detail17trampoline_kernelINS0_14default_configENS1_25partition_config_selectorILNS1_17partition_subalgoE8ElNS0_10empty_typeEbEEZZNS1_14partition_implILS5_8ELb0ES3_jPlPS6_PKS6_NS0_5tupleIJS9_S6_EEENSD_IJSA_SA_EEENS0_18inequality_wrapperIZN2at6native12_GLOBAL__N_124unique_dim_cuda_templateIfEESt5tupleIJNSH_6TensorESM_SM_EERKSM_lbbbEUlllE0_EEPmJS6_EEE10hipError_tPvRmT3_T4_T5_T6_T7_T9_mT8_P12ihipStream_tbDpT10_ENKUlT_T0_E_clISt17integral_constantIbLb1EES1C_EEDaS17_S18_EUlS17_E_NS1_11comp_targetILNS1_3genE9ELNS1_11target_archE1100ELNS1_3gpuE3ELNS1_3repE0EEENS1_30default_config_static_selectorELNS0_4arch9wavefront6targetE0EEEvT1_
    .private_segment_fixed_size: 0
    .sgpr_count:     40
    .sgpr_spill_count: 0
    .symbol:         _ZN7rocprim17ROCPRIM_400000_NS6detail17trampoline_kernelINS0_14default_configENS1_25partition_config_selectorILNS1_17partition_subalgoE8ElNS0_10empty_typeEbEEZZNS1_14partition_implILS5_8ELb0ES3_jPlPS6_PKS6_NS0_5tupleIJS9_S6_EEENSD_IJSA_SA_EEENS0_18inequality_wrapperIZN2at6native12_GLOBAL__N_124unique_dim_cuda_templateIfEESt5tupleIJNSH_6TensorESM_SM_EERKSM_lbbbEUlllE0_EEPmJS6_EEE10hipError_tPvRmT3_T4_T5_T6_T7_T9_mT8_P12ihipStream_tbDpT10_ENKUlT_T0_E_clISt17integral_constantIbLb1EES1C_EEDaS17_S18_EUlS17_E_NS1_11comp_targetILNS1_3genE9ELNS1_11target_archE1100ELNS1_3gpuE3ELNS1_3repE0EEENS1_30default_config_static_selectorELNS0_4arch9wavefront6targetE0EEEvT1_.kd
    .uniform_work_group_size: 1
    .uses_dynamic_stack: false
    .vgpr_count:     52
    .vgpr_spill_count: 0
    .wavefront_size: 32
    .workgroup_processor_mode: 1
  - .args:
      - .offset:         0
        .size:           136
        .value_kind:     by_value
    .group_segment_fixed_size: 0
    .kernarg_segment_align: 8
    .kernarg_segment_size: 136
    .language:       OpenCL C
    .language_version:
      - 2
      - 0
    .max_flat_workgroup_size: 512
    .name:           _ZN7rocprim17ROCPRIM_400000_NS6detail17trampoline_kernelINS0_14default_configENS1_25partition_config_selectorILNS1_17partition_subalgoE8ElNS0_10empty_typeEbEEZZNS1_14partition_implILS5_8ELb0ES3_jPlPS6_PKS6_NS0_5tupleIJS9_S6_EEENSD_IJSA_SA_EEENS0_18inequality_wrapperIZN2at6native12_GLOBAL__N_124unique_dim_cuda_templateIfEESt5tupleIJNSH_6TensorESM_SM_EERKSM_lbbbEUlllE0_EEPmJS6_EEE10hipError_tPvRmT3_T4_T5_T6_T7_T9_mT8_P12ihipStream_tbDpT10_ENKUlT_T0_E_clISt17integral_constantIbLb1EES1C_EEDaS17_S18_EUlS17_E_NS1_11comp_targetILNS1_3genE8ELNS1_11target_archE1030ELNS1_3gpuE2ELNS1_3repE0EEENS1_30default_config_static_selectorELNS0_4arch9wavefront6targetE0EEEvT1_
    .private_segment_fixed_size: 0
    .sgpr_count:     0
    .sgpr_spill_count: 0
    .symbol:         _ZN7rocprim17ROCPRIM_400000_NS6detail17trampoline_kernelINS0_14default_configENS1_25partition_config_selectorILNS1_17partition_subalgoE8ElNS0_10empty_typeEbEEZZNS1_14partition_implILS5_8ELb0ES3_jPlPS6_PKS6_NS0_5tupleIJS9_S6_EEENSD_IJSA_SA_EEENS0_18inequality_wrapperIZN2at6native12_GLOBAL__N_124unique_dim_cuda_templateIfEESt5tupleIJNSH_6TensorESM_SM_EERKSM_lbbbEUlllE0_EEPmJS6_EEE10hipError_tPvRmT3_T4_T5_T6_T7_T9_mT8_P12ihipStream_tbDpT10_ENKUlT_T0_E_clISt17integral_constantIbLb1EES1C_EEDaS17_S18_EUlS17_E_NS1_11comp_targetILNS1_3genE8ELNS1_11target_archE1030ELNS1_3gpuE2ELNS1_3repE0EEENS1_30default_config_static_selectorELNS0_4arch9wavefront6targetE0EEEvT1_.kd
    .uniform_work_group_size: 1
    .uses_dynamic_stack: false
    .vgpr_count:     0
    .vgpr_spill_count: 0
    .wavefront_size: 32
    .workgroup_processor_mode: 1
  - .args:
      - .offset:         0
        .size:           120
        .value_kind:     by_value
    .group_segment_fixed_size: 0
    .kernarg_segment_align: 8
    .kernarg_segment_size: 120
    .language:       OpenCL C
    .language_version:
      - 2
      - 0
    .max_flat_workgroup_size: 512
    .name:           _ZN7rocprim17ROCPRIM_400000_NS6detail17trampoline_kernelINS0_14default_configENS1_25partition_config_selectorILNS1_17partition_subalgoE8ElNS0_10empty_typeEbEEZZNS1_14partition_implILS5_8ELb0ES3_jPlPS6_PKS6_NS0_5tupleIJS9_S6_EEENSD_IJSA_SA_EEENS0_18inequality_wrapperIZN2at6native12_GLOBAL__N_124unique_dim_cuda_templateIfEESt5tupleIJNSH_6TensorESM_SM_EERKSM_lbbbEUlllE0_EEPmJS6_EEE10hipError_tPvRmT3_T4_T5_T6_T7_T9_mT8_P12ihipStream_tbDpT10_ENKUlT_T0_E_clISt17integral_constantIbLb1EES1B_IbLb0EEEEDaS17_S18_EUlS17_E_NS1_11comp_targetILNS1_3genE0ELNS1_11target_archE4294967295ELNS1_3gpuE0ELNS1_3repE0EEENS1_30default_config_static_selectorELNS0_4arch9wavefront6targetE0EEEvT1_
    .private_segment_fixed_size: 0
    .sgpr_count:     0
    .sgpr_spill_count: 0
    .symbol:         _ZN7rocprim17ROCPRIM_400000_NS6detail17trampoline_kernelINS0_14default_configENS1_25partition_config_selectorILNS1_17partition_subalgoE8ElNS0_10empty_typeEbEEZZNS1_14partition_implILS5_8ELb0ES3_jPlPS6_PKS6_NS0_5tupleIJS9_S6_EEENSD_IJSA_SA_EEENS0_18inequality_wrapperIZN2at6native12_GLOBAL__N_124unique_dim_cuda_templateIfEESt5tupleIJNSH_6TensorESM_SM_EERKSM_lbbbEUlllE0_EEPmJS6_EEE10hipError_tPvRmT3_T4_T5_T6_T7_T9_mT8_P12ihipStream_tbDpT10_ENKUlT_T0_E_clISt17integral_constantIbLb1EES1B_IbLb0EEEEDaS17_S18_EUlS17_E_NS1_11comp_targetILNS1_3genE0ELNS1_11target_archE4294967295ELNS1_3gpuE0ELNS1_3repE0EEENS1_30default_config_static_selectorELNS0_4arch9wavefront6targetE0EEEvT1_.kd
    .uniform_work_group_size: 1
    .uses_dynamic_stack: false
    .vgpr_count:     0
    .vgpr_spill_count: 0
    .wavefront_size: 32
    .workgroup_processor_mode: 1
  - .args:
      - .offset:         0
        .size:           120
        .value_kind:     by_value
    .group_segment_fixed_size: 0
    .kernarg_segment_align: 8
    .kernarg_segment_size: 120
    .language:       OpenCL C
    .language_version:
      - 2
      - 0
    .max_flat_workgroup_size: 512
    .name:           _ZN7rocprim17ROCPRIM_400000_NS6detail17trampoline_kernelINS0_14default_configENS1_25partition_config_selectorILNS1_17partition_subalgoE8ElNS0_10empty_typeEbEEZZNS1_14partition_implILS5_8ELb0ES3_jPlPS6_PKS6_NS0_5tupleIJS9_S6_EEENSD_IJSA_SA_EEENS0_18inequality_wrapperIZN2at6native12_GLOBAL__N_124unique_dim_cuda_templateIfEESt5tupleIJNSH_6TensorESM_SM_EERKSM_lbbbEUlllE0_EEPmJS6_EEE10hipError_tPvRmT3_T4_T5_T6_T7_T9_mT8_P12ihipStream_tbDpT10_ENKUlT_T0_E_clISt17integral_constantIbLb1EES1B_IbLb0EEEEDaS17_S18_EUlS17_E_NS1_11comp_targetILNS1_3genE5ELNS1_11target_archE942ELNS1_3gpuE9ELNS1_3repE0EEENS1_30default_config_static_selectorELNS0_4arch9wavefront6targetE0EEEvT1_
    .private_segment_fixed_size: 0
    .sgpr_count:     0
    .sgpr_spill_count: 0
    .symbol:         _ZN7rocprim17ROCPRIM_400000_NS6detail17trampoline_kernelINS0_14default_configENS1_25partition_config_selectorILNS1_17partition_subalgoE8ElNS0_10empty_typeEbEEZZNS1_14partition_implILS5_8ELb0ES3_jPlPS6_PKS6_NS0_5tupleIJS9_S6_EEENSD_IJSA_SA_EEENS0_18inequality_wrapperIZN2at6native12_GLOBAL__N_124unique_dim_cuda_templateIfEESt5tupleIJNSH_6TensorESM_SM_EERKSM_lbbbEUlllE0_EEPmJS6_EEE10hipError_tPvRmT3_T4_T5_T6_T7_T9_mT8_P12ihipStream_tbDpT10_ENKUlT_T0_E_clISt17integral_constantIbLb1EES1B_IbLb0EEEEDaS17_S18_EUlS17_E_NS1_11comp_targetILNS1_3genE5ELNS1_11target_archE942ELNS1_3gpuE9ELNS1_3repE0EEENS1_30default_config_static_selectorELNS0_4arch9wavefront6targetE0EEEvT1_.kd
    .uniform_work_group_size: 1
    .uses_dynamic_stack: false
    .vgpr_count:     0
    .vgpr_spill_count: 0
    .wavefront_size: 32
    .workgroup_processor_mode: 1
  - .args:
      - .offset:         0
        .size:           120
        .value_kind:     by_value
    .group_segment_fixed_size: 0
    .kernarg_segment_align: 8
    .kernarg_segment_size: 120
    .language:       OpenCL C
    .language_version:
      - 2
      - 0
    .max_flat_workgroup_size: 256
    .name:           _ZN7rocprim17ROCPRIM_400000_NS6detail17trampoline_kernelINS0_14default_configENS1_25partition_config_selectorILNS1_17partition_subalgoE8ElNS0_10empty_typeEbEEZZNS1_14partition_implILS5_8ELb0ES3_jPlPS6_PKS6_NS0_5tupleIJS9_S6_EEENSD_IJSA_SA_EEENS0_18inequality_wrapperIZN2at6native12_GLOBAL__N_124unique_dim_cuda_templateIfEESt5tupleIJNSH_6TensorESM_SM_EERKSM_lbbbEUlllE0_EEPmJS6_EEE10hipError_tPvRmT3_T4_T5_T6_T7_T9_mT8_P12ihipStream_tbDpT10_ENKUlT_T0_E_clISt17integral_constantIbLb1EES1B_IbLb0EEEEDaS17_S18_EUlS17_E_NS1_11comp_targetILNS1_3genE4ELNS1_11target_archE910ELNS1_3gpuE8ELNS1_3repE0EEENS1_30default_config_static_selectorELNS0_4arch9wavefront6targetE0EEEvT1_
    .private_segment_fixed_size: 0
    .sgpr_count:     0
    .sgpr_spill_count: 0
    .symbol:         _ZN7rocprim17ROCPRIM_400000_NS6detail17trampoline_kernelINS0_14default_configENS1_25partition_config_selectorILNS1_17partition_subalgoE8ElNS0_10empty_typeEbEEZZNS1_14partition_implILS5_8ELb0ES3_jPlPS6_PKS6_NS0_5tupleIJS9_S6_EEENSD_IJSA_SA_EEENS0_18inequality_wrapperIZN2at6native12_GLOBAL__N_124unique_dim_cuda_templateIfEESt5tupleIJNSH_6TensorESM_SM_EERKSM_lbbbEUlllE0_EEPmJS6_EEE10hipError_tPvRmT3_T4_T5_T6_T7_T9_mT8_P12ihipStream_tbDpT10_ENKUlT_T0_E_clISt17integral_constantIbLb1EES1B_IbLb0EEEEDaS17_S18_EUlS17_E_NS1_11comp_targetILNS1_3genE4ELNS1_11target_archE910ELNS1_3gpuE8ELNS1_3repE0EEENS1_30default_config_static_selectorELNS0_4arch9wavefront6targetE0EEEvT1_.kd
    .uniform_work_group_size: 1
    .uses_dynamic_stack: false
    .vgpr_count:     0
    .vgpr_spill_count: 0
    .wavefront_size: 32
    .workgroup_processor_mode: 1
  - .args:
      - .offset:         0
        .size:           120
        .value_kind:     by_value
    .group_segment_fixed_size: 0
    .kernarg_segment_align: 8
    .kernarg_segment_size: 120
    .language:       OpenCL C
    .language_version:
      - 2
      - 0
    .max_flat_workgroup_size: 512
    .name:           _ZN7rocprim17ROCPRIM_400000_NS6detail17trampoline_kernelINS0_14default_configENS1_25partition_config_selectorILNS1_17partition_subalgoE8ElNS0_10empty_typeEbEEZZNS1_14partition_implILS5_8ELb0ES3_jPlPS6_PKS6_NS0_5tupleIJS9_S6_EEENSD_IJSA_SA_EEENS0_18inequality_wrapperIZN2at6native12_GLOBAL__N_124unique_dim_cuda_templateIfEESt5tupleIJNSH_6TensorESM_SM_EERKSM_lbbbEUlllE0_EEPmJS6_EEE10hipError_tPvRmT3_T4_T5_T6_T7_T9_mT8_P12ihipStream_tbDpT10_ENKUlT_T0_E_clISt17integral_constantIbLb1EES1B_IbLb0EEEEDaS17_S18_EUlS17_E_NS1_11comp_targetILNS1_3genE3ELNS1_11target_archE908ELNS1_3gpuE7ELNS1_3repE0EEENS1_30default_config_static_selectorELNS0_4arch9wavefront6targetE0EEEvT1_
    .private_segment_fixed_size: 0
    .sgpr_count:     0
    .sgpr_spill_count: 0
    .symbol:         _ZN7rocprim17ROCPRIM_400000_NS6detail17trampoline_kernelINS0_14default_configENS1_25partition_config_selectorILNS1_17partition_subalgoE8ElNS0_10empty_typeEbEEZZNS1_14partition_implILS5_8ELb0ES3_jPlPS6_PKS6_NS0_5tupleIJS9_S6_EEENSD_IJSA_SA_EEENS0_18inequality_wrapperIZN2at6native12_GLOBAL__N_124unique_dim_cuda_templateIfEESt5tupleIJNSH_6TensorESM_SM_EERKSM_lbbbEUlllE0_EEPmJS6_EEE10hipError_tPvRmT3_T4_T5_T6_T7_T9_mT8_P12ihipStream_tbDpT10_ENKUlT_T0_E_clISt17integral_constantIbLb1EES1B_IbLb0EEEEDaS17_S18_EUlS17_E_NS1_11comp_targetILNS1_3genE3ELNS1_11target_archE908ELNS1_3gpuE7ELNS1_3repE0EEENS1_30default_config_static_selectorELNS0_4arch9wavefront6targetE0EEEvT1_.kd
    .uniform_work_group_size: 1
    .uses_dynamic_stack: false
    .vgpr_count:     0
    .vgpr_spill_count: 0
    .wavefront_size: 32
    .workgroup_processor_mode: 1
  - .args:
      - .offset:         0
        .size:           120
        .value_kind:     by_value
    .group_segment_fixed_size: 0
    .kernarg_segment_align: 8
    .kernarg_segment_size: 120
    .language:       OpenCL C
    .language_version:
      - 2
      - 0
    .max_flat_workgroup_size: 256
    .name:           _ZN7rocprim17ROCPRIM_400000_NS6detail17trampoline_kernelINS0_14default_configENS1_25partition_config_selectorILNS1_17partition_subalgoE8ElNS0_10empty_typeEbEEZZNS1_14partition_implILS5_8ELb0ES3_jPlPS6_PKS6_NS0_5tupleIJS9_S6_EEENSD_IJSA_SA_EEENS0_18inequality_wrapperIZN2at6native12_GLOBAL__N_124unique_dim_cuda_templateIfEESt5tupleIJNSH_6TensorESM_SM_EERKSM_lbbbEUlllE0_EEPmJS6_EEE10hipError_tPvRmT3_T4_T5_T6_T7_T9_mT8_P12ihipStream_tbDpT10_ENKUlT_T0_E_clISt17integral_constantIbLb1EES1B_IbLb0EEEEDaS17_S18_EUlS17_E_NS1_11comp_targetILNS1_3genE2ELNS1_11target_archE906ELNS1_3gpuE6ELNS1_3repE0EEENS1_30default_config_static_selectorELNS0_4arch9wavefront6targetE0EEEvT1_
    .private_segment_fixed_size: 0
    .sgpr_count:     0
    .sgpr_spill_count: 0
    .symbol:         _ZN7rocprim17ROCPRIM_400000_NS6detail17trampoline_kernelINS0_14default_configENS1_25partition_config_selectorILNS1_17partition_subalgoE8ElNS0_10empty_typeEbEEZZNS1_14partition_implILS5_8ELb0ES3_jPlPS6_PKS6_NS0_5tupleIJS9_S6_EEENSD_IJSA_SA_EEENS0_18inequality_wrapperIZN2at6native12_GLOBAL__N_124unique_dim_cuda_templateIfEESt5tupleIJNSH_6TensorESM_SM_EERKSM_lbbbEUlllE0_EEPmJS6_EEE10hipError_tPvRmT3_T4_T5_T6_T7_T9_mT8_P12ihipStream_tbDpT10_ENKUlT_T0_E_clISt17integral_constantIbLb1EES1B_IbLb0EEEEDaS17_S18_EUlS17_E_NS1_11comp_targetILNS1_3genE2ELNS1_11target_archE906ELNS1_3gpuE6ELNS1_3repE0EEENS1_30default_config_static_selectorELNS0_4arch9wavefront6targetE0EEEvT1_.kd
    .uniform_work_group_size: 1
    .uses_dynamic_stack: false
    .vgpr_count:     0
    .vgpr_spill_count: 0
    .wavefront_size: 32
    .workgroup_processor_mode: 1
  - .args:
      - .offset:         0
        .size:           120
        .value_kind:     by_value
    .group_segment_fixed_size: 0
    .kernarg_segment_align: 8
    .kernarg_segment_size: 120
    .language:       OpenCL C
    .language_version:
      - 2
      - 0
    .max_flat_workgroup_size: 384
    .name:           _ZN7rocprim17ROCPRIM_400000_NS6detail17trampoline_kernelINS0_14default_configENS1_25partition_config_selectorILNS1_17partition_subalgoE8ElNS0_10empty_typeEbEEZZNS1_14partition_implILS5_8ELb0ES3_jPlPS6_PKS6_NS0_5tupleIJS9_S6_EEENSD_IJSA_SA_EEENS0_18inequality_wrapperIZN2at6native12_GLOBAL__N_124unique_dim_cuda_templateIfEESt5tupleIJNSH_6TensorESM_SM_EERKSM_lbbbEUlllE0_EEPmJS6_EEE10hipError_tPvRmT3_T4_T5_T6_T7_T9_mT8_P12ihipStream_tbDpT10_ENKUlT_T0_E_clISt17integral_constantIbLb1EES1B_IbLb0EEEEDaS17_S18_EUlS17_E_NS1_11comp_targetILNS1_3genE10ELNS1_11target_archE1200ELNS1_3gpuE4ELNS1_3repE0EEENS1_30default_config_static_selectorELNS0_4arch9wavefront6targetE0EEEvT1_
    .private_segment_fixed_size: 0
    .sgpr_count:     0
    .sgpr_spill_count: 0
    .symbol:         _ZN7rocprim17ROCPRIM_400000_NS6detail17trampoline_kernelINS0_14default_configENS1_25partition_config_selectorILNS1_17partition_subalgoE8ElNS0_10empty_typeEbEEZZNS1_14partition_implILS5_8ELb0ES3_jPlPS6_PKS6_NS0_5tupleIJS9_S6_EEENSD_IJSA_SA_EEENS0_18inequality_wrapperIZN2at6native12_GLOBAL__N_124unique_dim_cuda_templateIfEESt5tupleIJNSH_6TensorESM_SM_EERKSM_lbbbEUlllE0_EEPmJS6_EEE10hipError_tPvRmT3_T4_T5_T6_T7_T9_mT8_P12ihipStream_tbDpT10_ENKUlT_T0_E_clISt17integral_constantIbLb1EES1B_IbLb0EEEEDaS17_S18_EUlS17_E_NS1_11comp_targetILNS1_3genE10ELNS1_11target_archE1200ELNS1_3gpuE4ELNS1_3repE0EEENS1_30default_config_static_selectorELNS0_4arch9wavefront6targetE0EEEvT1_.kd
    .uniform_work_group_size: 1
    .uses_dynamic_stack: false
    .vgpr_count:     0
    .vgpr_spill_count: 0
    .wavefront_size: 32
    .workgroup_processor_mode: 1
  - .args:
      - .offset:         0
        .size:           120
        .value_kind:     by_value
    .group_segment_fixed_size: 33804
    .kernarg_segment_align: 8
    .kernarg_segment_size: 120
    .language:       OpenCL C
    .language_version:
      - 2
      - 0
    .max_flat_workgroup_size: 512
    .name:           _ZN7rocprim17ROCPRIM_400000_NS6detail17trampoline_kernelINS0_14default_configENS1_25partition_config_selectorILNS1_17partition_subalgoE8ElNS0_10empty_typeEbEEZZNS1_14partition_implILS5_8ELb0ES3_jPlPS6_PKS6_NS0_5tupleIJS9_S6_EEENSD_IJSA_SA_EEENS0_18inequality_wrapperIZN2at6native12_GLOBAL__N_124unique_dim_cuda_templateIfEESt5tupleIJNSH_6TensorESM_SM_EERKSM_lbbbEUlllE0_EEPmJS6_EEE10hipError_tPvRmT3_T4_T5_T6_T7_T9_mT8_P12ihipStream_tbDpT10_ENKUlT_T0_E_clISt17integral_constantIbLb1EES1B_IbLb0EEEEDaS17_S18_EUlS17_E_NS1_11comp_targetILNS1_3genE9ELNS1_11target_archE1100ELNS1_3gpuE3ELNS1_3repE0EEENS1_30default_config_static_selectorELNS0_4arch9wavefront6targetE0EEEvT1_
    .private_segment_fixed_size: 0
    .sgpr_count:     38
    .sgpr_spill_count: 0
    .symbol:         _ZN7rocprim17ROCPRIM_400000_NS6detail17trampoline_kernelINS0_14default_configENS1_25partition_config_selectorILNS1_17partition_subalgoE8ElNS0_10empty_typeEbEEZZNS1_14partition_implILS5_8ELb0ES3_jPlPS6_PKS6_NS0_5tupleIJS9_S6_EEENSD_IJSA_SA_EEENS0_18inequality_wrapperIZN2at6native12_GLOBAL__N_124unique_dim_cuda_templateIfEESt5tupleIJNSH_6TensorESM_SM_EERKSM_lbbbEUlllE0_EEPmJS6_EEE10hipError_tPvRmT3_T4_T5_T6_T7_T9_mT8_P12ihipStream_tbDpT10_ENKUlT_T0_E_clISt17integral_constantIbLb1EES1B_IbLb0EEEEDaS17_S18_EUlS17_E_NS1_11comp_targetILNS1_3genE9ELNS1_11target_archE1100ELNS1_3gpuE3ELNS1_3repE0EEENS1_30default_config_static_selectorELNS0_4arch9wavefront6targetE0EEEvT1_.kd
    .uniform_work_group_size: 1
    .uses_dynamic_stack: false
    .vgpr_count:     52
    .vgpr_spill_count: 0
    .wavefront_size: 32
    .workgroup_processor_mode: 1
  - .args:
      - .offset:         0
        .size:           120
        .value_kind:     by_value
    .group_segment_fixed_size: 0
    .kernarg_segment_align: 8
    .kernarg_segment_size: 120
    .language:       OpenCL C
    .language_version:
      - 2
      - 0
    .max_flat_workgroup_size: 512
    .name:           _ZN7rocprim17ROCPRIM_400000_NS6detail17trampoline_kernelINS0_14default_configENS1_25partition_config_selectorILNS1_17partition_subalgoE8ElNS0_10empty_typeEbEEZZNS1_14partition_implILS5_8ELb0ES3_jPlPS6_PKS6_NS0_5tupleIJS9_S6_EEENSD_IJSA_SA_EEENS0_18inequality_wrapperIZN2at6native12_GLOBAL__N_124unique_dim_cuda_templateIfEESt5tupleIJNSH_6TensorESM_SM_EERKSM_lbbbEUlllE0_EEPmJS6_EEE10hipError_tPvRmT3_T4_T5_T6_T7_T9_mT8_P12ihipStream_tbDpT10_ENKUlT_T0_E_clISt17integral_constantIbLb1EES1B_IbLb0EEEEDaS17_S18_EUlS17_E_NS1_11comp_targetILNS1_3genE8ELNS1_11target_archE1030ELNS1_3gpuE2ELNS1_3repE0EEENS1_30default_config_static_selectorELNS0_4arch9wavefront6targetE0EEEvT1_
    .private_segment_fixed_size: 0
    .sgpr_count:     0
    .sgpr_spill_count: 0
    .symbol:         _ZN7rocprim17ROCPRIM_400000_NS6detail17trampoline_kernelINS0_14default_configENS1_25partition_config_selectorILNS1_17partition_subalgoE8ElNS0_10empty_typeEbEEZZNS1_14partition_implILS5_8ELb0ES3_jPlPS6_PKS6_NS0_5tupleIJS9_S6_EEENSD_IJSA_SA_EEENS0_18inequality_wrapperIZN2at6native12_GLOBAL__N_124unique_dim_cuda_templateIfEESt5tupleIJNSH_6TensorESM_SM_EERKSM_lbbbEUlllE0_EEPmJS6_EEE10hipError_tPvRmT3_T4_T5_T6_T7_T9_mT8_P12ihipStream_tbDpT10_ENKUlT_T0_E_clISt17integral_constantIbLb1EES1B_IbLb0EEEEDaS17_S18_EUlS17_E_NS1_11comp_targetILNS1_3genE8ELNS1_11target_archE1030ELNS1_3gpuE2ELNS1_3repE0EEENS1_30default_config_static_selectorELNS0_4arch9wavefront6targetE0EEEvT1_.kd
    .uniform_work_group_size: 1
    .uses_dynamic_stack: false
    .vgpr_count:     0
    .vgpr_spill_count: 0
    .wavefront_size: 32
    .workgroup_processor_mode: 1
  - .args:
      - .offset:         0
        .size:           136
        .value_kind:     by_value
    .group_segment_fixed_size: 0
    .kernarg_segment_align: 8
    .kernarg_segment_size: 136
    .language:       OpenCL C
    .language_version:
      - 2
      - 0
    .max_flat_workgroup_size: 512
    .name:           _ZN7rocprim17ROCPRIM_400000_NS6detail17trampoline_kernelINS0_14default_configENS1_25partition_config_selectorILNS1_17partition_subalgoE8ElNS0_10empty_typeEbEEZZNS1_14partition_implILS5_8ELb0ES3_jPlPS6_PKS6_NS0_5tupleIJS9_S6_EEENSD_IJSA_SA_EEENS0_18inequality_wrapperIZN2at6native12_GLOBAL__N_124unique_dim_cuda_templateIfEESt5tupleIJNSH_6TensorESM_SM_EERKSM_lbbbEUlllE0_EEPmJS6_EEE10hipError_tPvRmT3_T4_T5_T6_T7_T9_mT8_P12ihipStream_tbDpT10_ENKUlT_T0_E_clISt17integral_constantIbLb0EES1B_IbLb1EEEEDaS17_S18_EUlS17_E_NS1_11comp_targetILNS1_3genE0ELNS1_11target_archE4294967295ELNS1_3gpuE0ELNS1_3repE0EEENS1_30default_config_static_selectorELNS0_4arch9wavefront6targetE0EEEvT1_
    .private_segment_fixed_size: 0
    .sgpr_count:     0
    .sgpr_spill_count: 0
    .symbol:         _ZN7rocprim17ROCPRIM_400000_NS6detail17trampoline_kernelINS0_14default_configENS1_25partition_config_selectorILNS1_17partition_subalgoE8ElNS0_10empty_typeEbEEZZNS1_14partition_implILS5_8ELb0ES3_jPlPS6_PKS6_NS0_5tupleIJS9_S6_EEENSD_IJSA_SA_EEENS0_18inequality_wrapperIZN2at6native12_GLOBAL__N_124unique_dim_cuda_templateIfEESt5tupleIJNSH_6TensorESM_SM_EERKSM_lbbbEUlllE0_EEPmJS6_EEE10hipError_tPvRmT3_T4_T5_T6_T7_T9_mT8_P12ihipStream_tbDpT10_ENKUlT_T0_E_clISt17integral_constantIbLb0EES1B_IbLb1EEEEDaS17_S18_EUlS17_E_NS1_11comp_targetILNS1_3genE0ELNS1_11target_archE4294967295ELNS1_3gpuE0ELNS1_3repE0EEENS1_30default_config_static_selectorELNS0_4arch9wavefront6targetE0EEEvT1_.kd
    .uniform_work_group_size: 1
    .uses_dynamic_stack: false
    .vgpr_count:     0
    .vgpr_spill_count: 0
    .wavefront_size: 32
    .workgroup_processor_mode: 1
  - .args:
      - .offset:         0
        .size:           136
        .value_kind:     by_value
    .group_segment_fixed_size: 0
    .kernarg_segment_align: 8
    .kernarg_segment_size: 136
    .language:       OpenCL C
    .language_version:
      - 2
      - 0
    .max_flat_workgroup_size: 512
    .name:           _ZN7rocprim17ROCPRIM_400000_NS6detail17trampoline_kernelINS0_14default_configENS1_25partition_config_selectorILNS1_17partition_subalgoE8ElNS0_10empty_typeEbEEZZNS1_14partition_implILS5_8ELb0ES3_jPlPS6_PKS6_NS0_5tupleIJS9_S6_EEENSD_IJSA_SA_EEENS0_18inequality_wrapperIZN2at6native12_GLOBAL__N_124unique_dim_cuda_templateIfEESt5tupleIJNSH_6TensorESM_SM_EERKSM_lbbbEUlllE0_EEPmJS6_EEE10hipError_tPvRmT3_T4_T5_T6_T7_T9_mT8_P12ihipStream_tbDpT10_ENKUlT_T0_E_clISt17integral_constantIbLb0EES1B_IbLb1EEEEDaS17_S18_EUlS17_E_NS1_11comp_targetILNS1_3genE5ELNS1_11target_archE942ELNS1_3gpuE9ELNS1_3repE0EEENS1_30default_config_static_selectorELNS0_4arch9wavefront6targetE0EEEvT1_
    .private_segment_fixed_size: 0
    .sgpr_count:     0
    .sgpr_spill_count: 0
    .symbol:         _ZN7rocprim17ROCPRIM_400000_NS6detail17trampoline_kernelINS0_14default_configENS1_25partition_config_selectorILNS1_17partition_subalgoE8ElNS0_10empty_typeEbEEZZNS1_14partition_implILS5_8ELb0ES3_jPlPS6_PKS6_NS0_5tupleIJS9_S6_EEENSD_IJSA_SA_EEENS0_18inequality_wrapperIZN2at6native12_GLOBAL__N_124unique_dim_cuda_templateIfEESt5tupleIJNSH_6TensorESM_SM_EERKSM_lbbbEUlllE0_EEPmJS6_EEE10hipError_tPvRmT3_T4_T5_T6_T7_T9_mT8_P12ihipStream_tbDpT10_ENKUlT_T0_E_clISt17integral_constantIbLb0EES1B_IbLb1EEEEDaS17_S18_EUlS17_E_NS1_11comp_targetILNS1_3genE5ELNS1_11target_archE942ELNS1_3gpuE9ELNS1_3repE0EEENS1_30default_config_static_selectorELNS0_4arch9wavefront6targetE0EEEvT1_.kd
    .uniform_work_group_size: 1
    .uses_dynamic_stack: false
    .vgpr_count:     0
    .vgpr_spill_count: 0
    .wavefront_size: 32
    .workgroup_processor_mode: 1
  - .args:
      - .offset:         0
        .size:           136
        .value_kind:     by_value
    .group_segment_fixed_size: 0
    .kernarg_segment_align: 8
    .kernarg_segment_size: 136
    .language:       OpenCL C
    .language_version:
      - 2
      - 0
    .max_flat_workgroup_size: 256
    .name:           _ZN7rocprim17ROCPRIM_400000_NS6detail17trampoline_kernelINS0_14default_configENS1_25partition_config_selectorILNS1_17partition_subalgoE8ElNS0_10empty_typeEbEEZZNS1_14partition_implILS5_8ELb0ES3_jPlPS6_PKS6_NS0_5tupleIJS9_S6_EEENSD_IJSA_SA_EEENS0_18inequality_wrapperIZN2at6native12_GLOBAL__N_124unique_dim_cuda_templateIfEESt5tupleIJNSH_6TensorESM_SM_EERKSM_lbbbEUlllE0_EEPmJS6_EEE10hipError_tPvRmT3_T4_T5_T6_T7_T9_mT8_P12ihipStream_tbDpT10_ENKUlT_T0_E_clISt17integral_constantIbLb0EES1B_IbLb1EEEEDaS17_S18_EUlS17_E_NS1_11comp_targetILNS1_3genE4ELNS1_11target_archE910ELNS1_3gpuE8ELNS1_3repE0EEENS1_30default_config_static_selectorELNS0_4arch9wavefront6targetE0EEEvT1_
    .private_segment_fixed_size: 0
    .sgpr_count:     0
    .sgpr_spill_count: 0
    .symbol:         _ZN7rocprim17ROCPRIM_400000_NS6detail17trampoline_kernelINS0_14default_configENS1_25partition_config_selectorILNS1_17partition_subalgoE8ElNS0_10empty_typeEbEEZZNS1_14partition_implILS5_8ELb0ES3_jPlPS6_PKS6_NS0_5tupleIJS9_S6_EEENSD_IJSA_SA_EEENS0_18inequality_wrapperIZN2at6native12_GLOBAL__N_124unique_dim_cuda_templateIfEESt5tupleIJNSH_6TensorESM_SM_EERKSM_lbbbEUlllE0_EEPmJS6_EEE10hipError_tPvRmT3_T4_T5_T6_T7_T9_mT8_P12ihipStream_tbDpT10_ENKUlT_T0_E_clISt17integral_constantIbLb0EES1B_IbLb1EEEEDaS17_S18_EUlS17_E_NS1_11comp_targetILNS1_3genE4ELNS1_11target_archE910ELNS1_3gpuE8ELNS1_3repE0EEENS1_30default_config_static_selectorELNS0_4arch9wavefront6targetE0EEEvT1_.kd
    .uniform_work_group_size: 1
    .uses_dynamic_stack: false
    .vgpr_count:     0
    .vgpr_spill_count: 0
    .wavefront_size: 32
    .workgroup_processor_mode: 1
  - .args:
      - .offset:         0
        .size:           136
        .value_kind:     by_value
    .group_segment_fixed_size: 0
    .kernarg_segment_align: 8
    .kernarg_segment_size: 136
    .language:       OpenCL C
    .language_version:
      - 2
      - 0
    .max_flat_workgroup_size: 512
    .name:           _ZN7rocprim17ROCPRIM_400000_NS6detail17trampoline_kernelINS0_14default_configENS1_25partition_config_selectorILNS1_17partition_subalgoE8ElNS0_10empty_typeEbEEZZNS1_14partition_implILS5_8ELb0ES3_jPlPS6_PKS6_NS0_5tupleIJS9_S6_EEENSD_IJSA_SA_EEENS0_18inequality_wrapperIZN2at6native12_GLOBAL__N_124unique_dim_cuda_templateIfEESt5tupleIJNSH_6TensorESM_SM_EERKSM_lbbbEUlllE0_EEPmJS6_EEE10hipError_tPvRmT3_T4_T5_T6_T7_T9_mT8_P12ihipStream_tbDpT10_ENKUlT_T0_E_clISt17integral_constantIbLb0EES1B_IbLb1EEEEDaS17_S18_EUlS17_E_NS1_11comp_targetILNS1_3genE3ELNS1_11target_archE908ELNS1_3gpuE7ELNS1_3repE0EEENS1_30default_config_static_selectorELNS0_4arch9wavefront6targetE0EEEvT1_
    .private_segment_fixed_size: 0
    .sgpr_count:     0
    .sgpr_spill_count: 0
    .symbol:         _ZN7rocprim17ROCPRIM_400000_NS6detail17trampoline_kernelINS0_14default_configENS1_25partition_config_selectorILNS1_17partition_subalgoE8ElNS0_10empty_typeEbEEZZNS1_14partition_implILS5_8ELb0ES3_jPlPS6_PKS6_NS0_5tupleIJS9_S6_EEENSD_IJSA_SA_EEENS0_18inequality_wrapperIZN2at6native12_GLOBAL__N_124unique_dim_cuda_templateIfEESt5tupleIJNSH_6TensorESM_SM_EERKSM_lbbbEUlllE0_EEPmJS6_EEE10hipError_tPvRmT3_T4_T5_T6_T7_T9_mT8_P12ihipStream_tbDpT10_ENKUlT_T0_E_clISt17integral_constantIbLb0EES1B_IbLb1EEEEDaS17_S18_EUlS17_E_NS1_11comp_targetILNS1_3genE3ELNS1_11target_archE908ELNS1_3gpuE7ELNS1_3repE0EEENS1_30default_config_static_selectorELNS0_4arch9wavefront6targetE0EEEvT1_.kd
    .uniform_work_group_size: 1
    .uses_dynamic_stack: false
    .vgpr_count:     0
    .vgpr_spill_count: 0
    .wavefront_size: 32
    .workgroup_processor_mode: 1
  - .args:
      - .offset:         0
        .size:           136
        .value_kind:     by_value
    .group_segment_fixed_size: 0
    .kernarg_segment_align: 8
    .kernarg_segment_size: 136
    .language:       OpenCL C
    .language_version:
      - 2
      - 0
    .max_flat_workgroup_size: 256
    .name:           _ZN7rocprim17ROCPRIM_400000_NS6detail17trampoline_kernelINS0_14default_configENS1_25partition_config_selectorILNS1_17partition_subalgoE8ElNS0_10empty_typeEbEEZZNS1_14partition_implILS5_8ELb0ES3_jPlPS6_PKS6_NS0_5tupleIJS9_S6_EEENSD_IJSA_SA_EEENS0_18inequality_wrapperIZN2at6native12_GLOBAL__N_124unique_dim_cuda_templateIfEESt5tupleIJNSH_6TensorESM_SM_EERKSM_lbbbEUlllE0_EEPmJS6_EEE10hipError_tPvRmT3_T4_T5_T6_T7_T9_mT8_P12ihipStream_tbDpT10_ENKUlT_T0_E_clISt17integral_constantIbLb0EES1B_IbLb1EEEEDaS17_S18_EUlS17_E_NS1_11comp_targetILNS1_3genE2ELNS1_11target_archE906ELNS1_3gpuE6ELNS1_3repE0EEENS1_30default_config_static_selectorELNS0_4arch9wavefront6targetE0EEEvT1_
    .private_segment_fixed_size: 0
    .sgpr_count:     0
    .sgpr_spill_count: 0
    .symbol:         _ZN7rocprim17ROCPRIM_400000_NS6detail17trampoline_kernelINS0_14default_configENS1_25partition_config_selectorILNS1_17partition_subalgoE8ElNS0_10empty_typeEbEEZZNS1_14partition_implILS5_8ELb0ES3_jPlPS6_PKS6_NS0_5tupleIJS9_S6_EEENSD_IJSA_SA_EEENS0_18inequality_wrapperIZN2at6native12_GLOBAL__N_124unique_dim_cuda_templateIfEESt5tupleIJNSH_6TensorESM_SM_EERKSM_lbbbEUlllE0_EEPmJS6_EEE10hipError_tPvRmT3_T4_T5_T6_T7_T9_mT8_P12ihipStream_tbDpT10_ENKUlT_T0_E_clISt17integral_constantIbLb0EES1B_IbLb1EEEEDaS17_S18_EUlS17_E_NS1_11comp_targetILNS1_3genE2ELNS1_11target_archE906ELNS1_3gpuE6ELNS1_3repE0EEENS1_30default_config_static_selectorELNS0_4arch9wavefront6targetE0EEEvT1_.kd
    .uniform_work_group_size: 1
    .uses_dynamic_stack: false
    .vgpr_count:     0
    .vgpr_spill_count: 0
    .wavefront_size: 32
    .workgroup_processor_mode: 1
  - .args:
      - .offset:         0
        .size:           136
        .value_kind:     by_value
    .group_segment_fixed_size: 0
    .kernarg_segment_align: 8
    .kernarg_segment_size: 136
    .language:       OpenCL C
    .language_version:
      - 2
      - 0
    .max_flat_workgroup_size: 384
    .name:           _ZN7rocprim17ROCPRIM_400000_NS6detail17trampoline_kernelINS0_14default_configENS1_25partition_config_selectorILNS1_17partition_subalgoE8ElNS0_10empty_typeEbEEZZNS1_14partition_implILS5_8ELb0ES3_jPlPS6_PKS6_NS0_5tupleIJS9_S6_EEENSD_IJSA_SA_EEENS0_18inequality_wrapperIZN2at6native12_GLOBAL__N_124unique_dim_cuda_templateIfEESt5tupleIJNSH_6TensorESM_SM_EERKSM_lbbbEUlllE0_EEPmJS6_EEE10hipError_tPvRmT3_T4_T5_T6_T7_T9_mT8_P12ihipStream_tbDpT10_ENKUlT_T0_E_clISt17integral_constantIbLb0EES1B_IbLb1EEEEDaS17_S18_EUlS17_E_NS1_11comp_targetILNS1_3genE10ELNS1_11target_archE1200ELNS1_3gpuE4ELNS1_3repE0EEENS1_30default_config_static_selectorELNS0_4arch9wavefront6targetE0EEEvT1_
    .private_segment_fixed_size: 0
    .sgpr_count:     0
    .sgpr_spill_count: 0
    .symbol:         _ZN7rocprim17ROCPRIM_400000_NS6detail17trampoline_kernelINS0_14default_configENS1_25partition_config_selectorILNS1_17partition_subalgoE8ElNS0_10empty_typeEbEEZZNS1_14partition_implILS5_8ELb0ES3_jPlPS6_PKS6_NS0_5tupleIJS9_S6_EEENSD_IJSA_SA_EEENS0_18inequality_wrapperIZN2at6native12_GLOBAL__N_124unique_dim_cuda_templateIfEESt5tupleIJNSH_6TensorESM_SM_EERKSM_lbbbEUlllE0_EEPmJS6_EEE10hipError_tPvRmT3_T4_T5_T6_T7_T9_mT8_P12ihipStream_tbDpT10_ENKUlT_T0_E_clISt17integral_constantIbLb0EES1B_IbLb1EEEEDaS17_S18_EUlS17_E_NS1_11comp_targetILNS1_3genE10ELNS1_11target_archE1200ELNS1_3gpuE4ELNS1_3repE0EEENS1_30default_config_static_selectorELNS0_4arch9wavefront6targetE0EEEvT1_.kd
    .uniform_work_group_size: 1
    .uses_dynamic_stack: false
    .vgpr_count:     0
    .vgpr_spill_count: 0
    .wavefront_size: 32
    .workgroup_processor_mode: 1
  - .args:
      - .offset:         0
        .size:           136
        .value_kind:     by_value
    .group_segment_fixed_size: 33804
    .kernarg_segment_align: 8
    .kernarg_segment_size: 136
    .language:       OpenCL C
    .language_version:
      - 2
      - 0
    .max_flat_workgroup_size: 512
    .name:           _ZN7rocprim17ROCPRIM_400000_NS6detail17trampoline_kernelINS0_14default_configENS1_25partition_config_selectorILNS1_17partition_subalgoE8ElNS0_10empty_typeEbEEZZNS1_14partition_implILS5_8ELb0ES3_jPlPS6_PKS6_NS0_5tupleIJS9_S6_EEENSD_IJSA_SA_EEENS0_18inequality_wrapperIZN2at6native12_GLOBAL__N_124unique_dim_cuda_templateIfEESt5tupleIJNSH_6TensorESM_SM_EERKSM_lbbbEUlllE0_EEPmJS6_EEE10hipError_tPvRmT3_T4_T5_T6_T7_T9_mT8_P12ihipStream_tbDpT10_ENKUlT_T0_E_clISt17integral_constantIbLb0EES1B_IbLb1EEEEDaS17_S18_EUlS17_E_NS1_11comp_targetILNS1_3genE9ELNS1_11target_archE1100ELNS1_3gpuE3ELNS1_3repE0EEENS1_30default_config_static_selectorELNS0_4arch9wavefront6targetE0EEEvT1_
    .private_segment_fixed_size: 0
    .sgpr_count:     40
    .sgpr_spill_count: 0
    .symbol:         _ZN7rocprim17ROCPRIM_400000_NS6detail17trampoline_kernelINS0_14default_configENS1_25partition_config_selectorILNS1_17partition_subalgoE8ElNS0_10empty_typeEbEEZZNS1_14partition_implILS5_8ELb0ES3_jPlPS6_PKS6_NS0_5tupleIJS9_S6_EEENSD_IJSA_SA_EEENS0_18inequality_wrapperIZN2at6native12_GLOBAL__N_124unique_dim_cuda_templateIfEESt5tupleIJNSH_6TensorESM_SM_EERKSM_lbbbEUlllE0_EEPmJS6_EEE10hipError_tPvRmT3_T4_T5_T6_T7_T9_mT8_P12ihipStream_tbDpT10_ENKUlT_T0_E_clISt17integral_constantIbLb0EES1B_IbLb1EEEEDaS17_S18_EUlS17_E_NS1_11comp_targetILNS1_3genE9ELNS1_11target_archE1100ELNS1_3gpuE3ELNS1_3repE0EEENS1_30default_config_static_selectorELNS0_4arch9wavefront6targetE0EEEvT1_.kd
    .uniform_work_group_size: 1
    .uses_dynamic_stack: false
    .vgpr_count:     52
    .vgpr_spill_count: 0
    .wavefront_size: 32
    .workgroup_processor_mode: 1
  - .args:
      - .offset:         0
        .size:           136
        .value_kind:     by_value
    .group_segment_fixed_size: 0
    .kernarg_segment_align: 8
    .kernarg_segment_size: 136
    .language:       OpenCL C
    .language_version:
      - 2
      - 0
    .max_flat_workgroup_size: 512
    .name:           _ZN7rocprim17ROCPRIM_400000_NS6detail17trampoline_kernelINS0_14default_configENS1_25partition_config_selectorILNS1_17partition_subalgoE8ElNS0_10empty_typeEbEEZZNS1_14partition_implILS5_8ELb0ES3_jPlPS6_PKS6_NS0_5tupleIJS9_S6_EEENSD_IJSA_SA_EEENS0_18inequality_wrapperIZN2at6native12_GLOBAL__N_124unique_dim_cuda_templateIfEESt5tupleIJNSH_6TensorESM_SM_EERKSM_lbbbEUlllE0_EEPmJS6_EEE10hipError_tPvRmT3_T4_T5_T6_T7_T9_mT8_P12ihipStream_tbDpT10_ENKUlT_T0_E_clISt17integral_constantIbLb0EES1B_IbLb1EEEEDaS17_S18_EUlS17_E_NS1_11comp_targetILNS1_3genE8ELNS1_11target_archE1030ELNS1_3gpuE2ELNS1_3repE0EEENS1_30default_config_static_selectorELNS0_4arch9wavefront6targetE0EEEvT1_
    .private_segment_fixed_size: 0
    .sgpr_count:     0
    .sgpr_spill_count: 0
    .symbol:         _ZN7rocprim17ROCPRIM_400000_NS6detail17trampoline_kernelINS0_14default_configENS1_25partition_config_selectorILNS1_17partition_subalgoE8ElNS0_10empty_typeEbEEZZNS1_14partition_implILS5_8ELb0ES3_jPlPS6_PKS6_NS0_5tupleIJS9_S6_EEENSD_IJSA_SA_EEENS0_18inequality_wrapperIZN2at6native12_GLOBAL__N_124unique_dim_cuda_templateIfEESt5tupleIJNSH_6TensorESM_SM_EERKSM_lbbbEUlllE0_EEPmJS6_EEE10hipError_tPvRmT3_T4_T5_T6_T7_T9_mT8_P12ihipStream_tbDpT10_ENKUlT_T0_E_clISt17integral_constantIbLb0EES1B_IbLb1EEEEDaS17_S18_EUlS17_E_NS1_11comp_targetILNS1_3genE8ELNS1_11target_archE1030ELNS1_3gpuE2ELNS1_3repE0EEENS1_30default_config_static_selectorELNS0_4arch9wavefront6targetE0EEEvT1_.kd
    .uniform_work_group_size: 1
    .uses_dynamic_stack: false
    .vgpr_count:     0
    .vgpr_spill_count: 0
    .wavefront_size: 32
    .workgroup_processor_mode: 1
  - .args:
      - .offset:         0
        .size:           120
        .value_kind:     by_value
    .group_segment_fixed_size: 0
    .kernarg_segment_align: 8
    .kernarg_segment_size: 120
    .language:       OpenCL C
    .language_version:
      - 2
      - 0
    .max_flat_workgroup_size: 128
    .name:           _ZN7rocprim17ROCPRIM_400000_NS6detail17trampoline_kernelINS0_14default_configENS1_25partition_config_selectorILNS1_17partition_subalgoE9EllbEEZZNS1_14partition_implILS5_9ELb0ES3_jPlS8_PNS0_10empty_typeENS0_5tupleIJS8_S9_EEENSB_IJS8_SA_EEENS0_18inequality_wrapperIZN2at6native12_GLOBAL__N_124unique_dim_cuda_templateIfEESt5tupleIJNSF_6TensorESK_SK_EERKSK_lbbbEUlllE0_EEPmJS9_EEE10hipError_tPvRmT3_T4_T5_T6_T7_T9_mT8_P12ihipStream_tbDpT10_ENKUlT_T0_E_clISt17integral_constantIbLb0EES1A_EEDaS15_S16_EUlS15_E_NS1_11comp_targetILNS1_3genE0ELNS1_11target_archE4294967295ELNS1_3gpuE0ELNS1_3repE0EEENS1_30default_config_static_selectorELNS0_4arch9wavefront6targetE0EEEvT1_
    .private_segment_fixed_size: 0
    .sgpr_count:     0
    .sgpr_spill_count: 0
    .symbol:         _ZN7rocprim17ROCPRIM_400000_NS6detail17trampoline_kernelINS0_14default_configENS1_25partition_config_selectorILNS1_17partition_subalgoE9EllbEEZZNS1_14partition_implILS5_9ELb0ES3_jPlS8_PNS0_10empty_typeENS0_5tupleIJS8_S9_EEENSB_IJS8_SA_EEENS0_18inequality_wrapperIZN2at6native12_GLOBAL__N_124unique_dim_cuda_templateIfEESt5tupleIJNSF_6TensorESK_SK_EERKSK_lbbbEUlllE0_EEPmJS9_EEE10hipError_tPvRmT3_T4_T5_T6_T7_T9_mT8_P12ihipStream_tbDpT10_ENKUlT_T0_E_clISt17integral_constantIbLb0EES1A_EEDaS15_S16_EUlS15_E_NS1_11comp_targetILNS1_3genE0ELNS1_11target_archE4294967295ELNS1_3gpuE0ELNS1_3repE0EEENS1_30default_config_static_selectorELNS0_4arch9wavefront6targetE0EEEvT1_.kd
    .uniform_work_group_size: 1
    .uses_dynamic_stack: false
    .vgpr_count:     0
    .vgpr_spill_count: 0
    .wavefront_size: 32
    .workgroup_processor_mode: 1
  - .args:
      - .offset:         0
        .size:           120
        .value_kind:     by_value
    .group_segment_fixed_size: 0
    .kernarg_segment_align: 8
    .kernarg_segment_size: 120
    .language:       OpenCL C
    .language_version:
      - 2
      - 0
    .max_flat_workgroup_size: 512
    .name:           _ZN7rocprim17ROCPRIM_400000_NS6detail17trampoline_kernelINS0_14default_configENS1_25partition_config_selectorILNS1_17partition_subalgoE9EllbEEZZNS1_14partition_implILS5_9ELb0ES3_jPlS8_PNS0_10empty_typeENS0_5tupleIJS8_S9_EEENSB_IJS8_SA_EEENS0_18inequality_wrapperIZN2at6native12_GLOBAL__N_124unique_dim_cuda_templateIfEESt5tupleIJNSF_6TensorESK_SK_EERKSK_lbbbEUlllE0_EEPmJS9_EEE10hipError_tPvRmT3_T4_T5_T6_T7_T9_mT8_P12ihipStream_tbDpT10_ENKUlT_T0_E_clISt17integral_constantIbLb0EES1A_EEDaS15_S16_EUlS15_E_NS1_11comp_targetILNS1_3genE5ELNS1_11target_archE942ELNS1_3gpuE9ELNS1_3repE0EEENS1_30default_config_static_selectorELNS0_4arch9wavefront6targetE0EEEvT1_
    .private_segment_fixed_size: 0
    .sgpr_count:     0
    .sgpr_spill_count: 0
    .symbol:         _ZN7rocprim17ROCPRIM_400000_NS6detail17trampoline_kernelINS0_14default_configENS1_25partition_config_selectorILNS1_17partition_subalgoE9EllbEEZZNS1_14partition_implILS5_9ELb0ES3_jPlS8_PNS0_10empty_typeENS0_5tupleIJS8_S9_EEENSB_IJS8_SA_EEENS0_18inequality_wrapperIZN2at6native12_GLOBAL__N_124unique_dim_cuda_templateIfEESt5tupleIJNSF_6TensorESK_SK_EERKSK_lbbbEUlllE0_EEPmJS9_EEE10hipError_tPvRmT3_T4_T5_T6_T7_T9_mT8_P12ihipStream_tbDpT10_ENKUlT_T0_E_clISt17integral_constantIbLb0EES1A_EEDaS15_S16_EUlS15_E_NS1_11comp_targetILNS1_3genE5ELNS1_11target_archE942ELNS1_3gpuE9ELNS1_3repE0EEENS1_30default_config_static_selectorELNS0_4arch9wavefront6targetE0EEEvT1_.kd
    .uniform_work_group_size: 1
    .uses_dynamic_stack: false
    .vgpr_count:     0
    .vgpr_spill_count: 0
    .wavefront_size: 32
    .workgroup_processor_mode: 1
  - .args:
      - .offset:         0
        .size:           120
        .value_kind:     by_value
    .group_segment_fixed_size: 0
    .kernarg_segment_align: 8
    .kernarg_segment_size: 120
    .language:       OpenCL C
    .language_version:
      - 2
      - 0
    .max_flat_workgroup_size: 128
    .name:           _ZN7rocprim17ROCPRIM_400000_NS6detail17trampoline_kernelINS0_14default_configENS1_25partition_config_selectorILNS1_17partition_subalgoE9EllbEEZZNS1_14partition_implILS5_9ELb0ES3_jPlS8_PNS0_10empty_typeENS0_5tupleIJS8_S9_EEENSB_IJS8_SA_EEENS0_18inequality_wrapperIZN2at6native12_GLOBAL__N_124unique_dim_cuda_templateIfEESt5tupleIJNSF_6TensorESK_SK_EERKSK_lbbbEUlllE0_EEPmJS9_EEE10hipError_tPvRmT3_T4_T5_T6_T7_T9_mT8_P12ihipStream_tbDpT10_ENKUlT_T0_E_clISt17integral_constantIbLb0EES1A_EEDaS15_S16_EUlS15_E_NS1_11comp_targetILNS1_3genE4ELNS1_11target_archE910ELNS1_3gpuE8ELNS1_3repE0EEENS1_30default_config_static_selectorELNS0_4arch9wavefront6targetE0EEEvT1_
    .private_segment_fixed_size: 0
    .sgpr_count:     0
    .sgpr_spill_count: 0
    .symbol:         _ZN7rocprim17ROCPRIM_400000_NS6detail17trampoline_kernelINS0_14default_configENS1_25partition_config_selectorILNS1_17partition_subalgoE9EllbEEZZNS1_14partition_implILS5_9ELb0ES3_jPlS8_PNS0_10empty_typeENS0_5tupleIJS8_S9_EEENSB_IJS8_SA_EEENS0_18inequality_wrapperIZN2at6native12_GLOBAL__N_124unique_dim_cuda_templateIfEESt5tupleIJNSF_6TensorESK_SK_EERKSK_lbbbEUlllE0_EEPmJS9_EEE10hipError_tPvRmT3_T4_T5_T6_T7_T9_mT8_P12ihipStream_tbDpT10_ENKUlT_T0_E_clISt17integral_constantIbLb0EES1A_EEDaS15_S16_EUlS15_E_NS1_11comp_targetILNS1_3genE4ELNS1_11target_archE910ELNS1_3gpuE8ELNS1_3repE0EEENS1_30default_config_static_selectorELNS0_4arch9wavefront6targetE0EEEvT1_.kd
    .uniform_work_group_size: 1
    .uses_dynamic_stack: false
    .vgpr_count:     0
    .vgpr_spill_count: 0
    .wavefront_size: 32
    .workgroup_processor_mode: 1
  - .args:
      - .offset:         0
        .size:           120
        .value_kind:     by_value
    .group_segment_fixed_size: 0
    .kernarg_segment_align: 8
    .kernarg_segment_size: 120
    .language:       OpenCL C
    .language_version:
      - 2
      - 0
    .max_flat_workgroup_size: 128
    .name:           _ZN7rocprim17ROCPRIM_400000_NS6detail17trampoline_kernelINS0_14default_configENS1_25partition_config_selectorILNS1_17partition_subalgoE9EllbEEZZNS1_14partition_implILS5_9ELb0ES3_jPlS8_PNS0_10empty_typeENS0_5tupleIJS8_S9_EEENSB_IJS8_SA_EEENS0_18inequality_wrapperIZN2at6native12_GLOBAL__N_124unique_dim_cuda_templateIfEESt5tupleIJNSF_6TensorESK_SK_EERKSK_lbbbEUlllE0_EEPmJS9_EEE10hipError_tPvRmT3_T4_T5_T6_T7_T9_mT8_P12ihipStream_tbDpT10_ENKUlT_T0_E_clISt17integral_constantIbLb0EES1A_EEDaS15_S16_EUlS15_E_NS1_11comp_targetILNS1_3genE3ELNS1_11target_archE908ELNS1_3gpuE7ELNS1_3repE0EEENS1_30default_config_static_selectorELNS0_4arch9wavefront6targetE0EEEvT1_
    .private_segment_fixed_size: 0
    .sgpr_count:     0
    .sgpr_spill_count: 0
    .symbol:         _ZN7rocprim17ROCPRIM_400000_NS6detail17trampoline_kernelINS0_14default_configENS1_25partition_config_selectorILNS1_17partition_subalgoE9EllbEEZZNS1_14partition_implILS5_9ELb0ES3_jPlS8_PNS0_10empty_typeENS0_5tupleIJS8_S9_EEENSB_IJS8_SA_EEENS0_18inequality_wrapperIZN2at6native12_GLOBAL__N_124unique_dim_cuda_templateIfEESt5tupleIJNSF_6TensorESK_SK_EERKSK_lbbbEUlllE0_EEPmJS9_EEE10hipError_tPvRmT3_T4_T5_T6_T7_T9_mT8_P12ihipStream_tbDpT10_ENKUlT_T0_E_clISt17integral_constantIbLb0EES1A_EEDaS15_S16_EUlS15_E_NS1_11comp_targetILNS1_3genE3ELNS1_11target_archE908ELNS1_3gpuE7ELNS1_3repE0EEENS1_30default_config_static_selectorELNS0_4arch9wavefront6targetE0EEEvT1_.kd
    .uniform_work_group_size: 1
    .uses_dynamic_stack: false
    .vgpr_count:     0
    .vgpr_spill_count: 0
    .wavefront_size: 32
    .workgroup_processor_mode: 1
  - .args:
      - .offset:         0
        .size:           120
        .value_kind:     by_value
    .group_segment_fixed_size: 0
    .kernarg_segment_align: 8
    .kernarg_segment_size: 120
    .language:       OpenCL C
    .language_version:
      - 2
      - 0
    .max_flat_workgroup_size: 192
    .name:           _ZN7rocprim17ROCPRIM_400000_NS6detail17trampoline_kernelINS0_14default_configENS1_25partition_config_selectorILNS1_17partition_subalgoE9EllbEEZZNS1_14partition_implILS5_9ELb0ES3_jPlS8_PNS0_10empty_typeENS0_5tupleIJS8_S9_EEENSB_IJS8_SA_EEENS0_18inequality_wrapperIZN2at6native12_GLOBAL__N_124unique_dim_cuda_templateIfEESt5tupleIJNSF_6TensorESK_SK_EERKSK_lbbbEUlllE0_EEPmJS9_EEE10hipError_tPvRmT3_T4_T5_T6_T7_T9_mT8_P12ihipStream_tbDpT10_ENKUlT_T0_E_clISt17integral_constantIbLb0EES1A_EEDaS15_S16_EUlS15_E_NS1_11comp_targetILNS1_3genE2ELNS1_11target_archE906ELNS1_3gpuE6ELNS1_3repE0EEENS1_30default_config_static_selectorELNS0_4arch9wavefront6targetE0EEEvT1_
    .private_segment_fixed_size: 0
    .sgpr_count:     0
    .sgpr_spill_count: 0
    .symbol:         _ZN7rocprim17ROCPRIM_400000_NS6detail17trampoline_kernelINS0_14default_configENS1_25partition_config_selectorILNS1_17partition_subalgoE9EllbEEZZNS1_14partition_implILS5_9ELb0ES3_jPlS8_PNS0_10empty_typeENS0_5tupleIJS8_S9_EEENSB_IJS8_SA_EEENS0_18inequality_wrapperIZN2at6native12_GLOBAL__N_124unique_dim_cuda_templateIfEESt5tupleIJNSF_6TensorESK_SK_EERKSK_lbbbEUlllE0_EEPmJS9_EEE10hipError_tPvRmT3_T4_T5_T6_T7_T9_mT8_P12ihipStream_tbDpT10_ENKUlT_T0_E_clISt17integral_constantIbLb0EES1A_EEDaS15_S16_EUlS15_E_NS1_11comp_targetILNS1_3genE2ELNS1_11target_archE906ELNS1_3gpuE6ELNS1_3repE0EEENS1_30default_config_static_selectorELNS0_4arch9wavefront6targetE0EEEvT1_.kd
    .uniform_work_group_size: 1
    .uses_dynamic_stack: false
    .vgpr_count:     0
    .vgpr_spill_count: 0
    .wavefront_size: 32
    .workgroup_processor_mode: 1
  - .args:
      - .offset:         0
        .size:           120
        .value_kind:     by_value
    .group_segment_fixed_size: 0
    .kernarg_segment_align: 8
    .kernarg_segment_size: 120
    .language:       OpenCL C
    .language_version:
      - 2
      - 0
    .max_flat_workgroup_size: 384
    .name:           _ZN7rocprim17ROCPRIM_400000_NS6detail17trampoline_kernelINS0_14default_configENS1_25partition_config_selectorILNS1_17partition_subalgoE9EllbEEZZNS1_14partition_implILS5_9ELb0ES3_jPlS8_PNS0_10empty_typeENS0_5tupleIJS8_S9_EEENSB_IJS8_SA_EEENS0_18inequality_wrapperIZN2at6native12_GLOBAL__N_124unique_dim_cuda_templateIfEESt5tupleIJNSF_6TensorESK_SK_EERKSK_lbbbEUlllE0_EEPmJS9_EEE10hipError_tPvRmT3_T4_T5_T6_T7_T9_mT8_P12ihipStream_tbDpT10_ENKUlT_T0_E_clISt17integral_constantIbLb0EES1A_EEDaS15_S16_EUlS15_E_NS1_11comp_targetILNS1_3genE10ELNS1_11target_archE1200ELNS1_3gpuE4ELNS1_3repE0EEENS1_30default_config_static_selectorELNS0_4arch9wavefront6targetE0EEEvT1_
    .private_segment_fixed_size: 0
    .sgpr_count:     0
    .sgpr_spill_count: 0
    .symbol:         _ZN7rocprim17ROCPRIM_400000_NS6detail17trampoline_kernelINS0_14default_configENS1_25partition_config_selectorILNS1_17partition_subalgoE9EllbEEZZNS1_14partition_implILS5_9ELb0ES3_jPlS8_PNS0_10empty_typeENS0_5tupleIJS8_S9_EEENSB_IJS8_SA_EEENS0_18inequality_wrapperIZN2at6native12_GLOBAL__N_124unique_dim_cuda_templateIfEESt5tupleIJNSF_6TensorESK_SK_EERKSK_lbbbEUlllE0_EEPmJS9_EEE10hipError_tPvRmT3_T4_T5_T6_T7_T9_mT8_P12ihipStream_tbDpT10_ENKUlT_T0_E_clISt17integral_constantIbLb0EES1A_EEDaS15_S16_EUlS15_E_NS1_11comp_targetILNS1_3genE10ELNS1_11target_archE1200ELNS1_3gpuE4ELNS1_3repE0EEENS1_30default_config_static_selectorELNS0_4arch9wavefront6targetE0EEEvT1_.kd
    .uniform_work_group_size: 1
    .uses_dynamic_stack: false
    .vgpr_count:     0
    .vgpr_spill_count: 0
    .wavefront_size: 32
    .workgroup_processor_mode: 1
  - .args:
      - .offset:         0
        .size:           120
        .value_kind:     by_value
    .group_segment_fixed_size: 33804
    .kernarg_segment_align: 8
    .kernarg_segment_size: 120
    .language:       OpenCL C
    .language_version:
      - 2
      - 0
    .max_flat_workgroup_size: 512
    .name:           _ZN7rocprim17ROCPRIM_400000_NS6detail17trampoline_kernelINS0_14default_configENS1_25partition_config_selectorILNS1_17partition_subalgoE9EllbEEZZNS1_14partition_implILS5_9ELb0ES3_jPlS8_PNS0_10empty_typeENS0_5tupleIJS8_S9_EEENSB_IJS8_SA_EEENS0_18inequality_wrapperIZN2at6native12_GLOBAL__N_124unique_dim_cuda_templateIfEESt5tupleIJNSF_6TensorESK_SK_EERKSK_lbbbEUlllE0_EEPmJS9_EEE10hipError_tPvRmT3_T4_T5_T6_T7_T9_mT8_P12ihipStream_tbDpT10_ENKUlT_T0_E_clISt17integral_constantIbLb0EES1A_EEDaS15_S16_EUlS15_E_NS1_11comp_targetILNS1_3genE9ELNS1_11target_archE1100ELNS1_3gpuE3ELNS1_3repE0EEENS1_30default_config_static_selectorELNS0_4arch9wavefront6targetE0EEEvT1_
    .private_segment_fixed_size: 0
    .sgpr_count:     38
    .sgpr_spill_count: 0
    .symbol:         _ZN7rocprim17ROCPRIM_400000_NS6detail17trampoline_kernelINS0_14default_configENS1_25partition_config_selectorILNS1_17partition_subalgoE9EllbEEZZNS1_14partition_implILS5_9ELb0ES3_jPlS8_PNS0_10empty_typeENS0_5tupleIJS8_S9_EEENSB_IJS8_SA_EEENS0_18inequality_wrapperIZN2at6native12_GLOBAL__N_124unique_dim_cuda_templateIfEESt5tupleIJNSF_6TensorESK_SK_EERKSK_lbbbEUlllE0_EEPmJS9_EEE10hipError_tPvRmT3_T4_T5_T6_T7_T9_mT8_P12ihipStream_tbDpT10_ENKUlT_T0_E_clISt17integral_constantIbLb0EES1A_EEDaS15_S16_EUlS15_E_NS1_11comp_targetILNS1_3genE9ELNS1_11target_archE1100ELNS1_3gpuE3ELNS1_3repE0EEENS1_30default_config_static_selectorELNS0_4arch9wavefront6targetE0EEEvT1_.kd
    .uniform_work_group_size: 1
    .uses_dynamic_stack: false
    .vgpr_count:     68
    .vgpr_spill_count: 0
    .wavefront_size: 32
    .workgroup_processor_mode: 1
  - .args:
      - .offset:         0
        .size:           120
        .value_kind:     by_value
    .group_segment_fixed_size: 0
    .kernarg_segment_align: 8
    .kernarg_segment_size: 120
    .language:       OpenCL C
    .language_version:
      - 2
      - 0
    .max_flat_workgroup_size: 512
    .name:           _ZN7rocprim17ROCPRIM_400000_NS6detail17trampoline_kernelINS0_14default_configENS1_25partition_config_selectorILNS1_17partition_subalgoE9EllbEEZZNS1_14partition_implILS5_9ELb0ES3_jPlS8_PNS0_10empty_typeENS0_5tupleIJS8_S9_EEENSB_IJS8_SA_EEENS0_18inequality_wrapperIZN2at6native12_GLOBAL__N_124unique_dim_cuda_templateIfEESt5tupleIJNSF_6TensorESK_SK_EERKSK_lbbbEUlllE0_EEPmJS9_EEE10hipError_tPvRmT3_T4_T5_T6_T7_T9_mT8_P12ihipStream_tbDpT10_ENKUlT_T0_E_clISt17integral_constantIbLb0EES1A_EEDaS15_S16_EUlS15_E_NS1_11comp_targetILNS1_3genE8ELNS1_11target_archE1030ELNS1_3gpuE2ELNS1_3repE0EEENS1_30default_config_static_selectorELNS0_4arch9wavefront6targetE0EEEvT1_
    .private_segment_fixed_size: 0
    .sgpr_count:     0
    .sgpr_spill_count: 0
    .symbol:         _ZN7rocprim17ROCPRIM_400000_NS6detail17trampoline_kernelINS0_14default_configENS1_25partition_config_selectorILNS1_17partition_subalgoE9EllbEEZZNS1_14partition_implILS5_9ELb0ES3_jPlS8_PNS0_10empty_typeENS0_5tupleIJS8_S9_EEENSB_IJS8_SA_EEENS0_18inequality_wrapperIZN2at6native12_GLOBAL__N_124unique_dim_cuda_templateIfEESt5tupleIJNSF_6TensorESK_SK_EERKSK_lbbbEUlllE0_EEPmJS9_EEE10hipError_tPvRmT3_T4_T5_T6_T7_T9_mT8_P12ihipStream_tbDpT10_ENKUlT_T0_E_clISt17integral_constantIbLb0EES1A_EEDaS15_S16_EUlS15_E_NS1_11comp_targetILNS1_3genE8ELNS1_11target_archE1030ELNS1_3gpuE2ELNS1_3repE0EEENS1_30default_config_static_selectorELNS0_4arch9wavefront6targetE0EEEvT1_.kd
    .uniform_work_group_size: 1
    .uses_dynamic_stack: false
    .vgpr_count:     0
    .vgpr_spill_count: 0
    .wavefront_size: 32
    .workgroup_processor_mode: 1
  - .args:
      - .offset:         0
        .size:           136
        .value_kind:     by_value
    .group_segment_fixed_size: 0
    .kernarg_segment_align: 8
    .kernarg_segment_size: 136
    .language:       OpenCL C
    .language_version:
      - 2
      - 0
    .max_flat_workgroup_size: 128
    .name:           _ZN7rocprim17ROCPRIM_400000_NS6detail17trampoline_kernelINS0_14default_configENS1_25partition_config_selectorILNS1_17partition_subalgoE9EllbEEZZNS1_14partition_implILS5_9ELb0ES3_jPlS8_PNS0_10empty_typeENS0_5tupleIJS8_S9_EEENSB_IJS8_SA_EEENS0_18inequality_wrapperIZN2at6native12_GLOBAL__N_124unique_dim_cuda_templateIfEESt5tupleIJNSF_6TensorESK_SK_EERKSK_lbbbEUlllE0_EEPmJS9_EEE10hipError_tPvRmT3_T4_T5_T6_T7_T9_mT8_P12ihipStream_tbDpT10_ENKUlT_T0_E_clISt17integral_constantIbLb1EES1A_EEDaS15_S16_EUlS15_E_NS1_11comp_targetILNS1_3genE0ELNS1_11target_archE4294967295ELNS1_3gpuE0ELNS1_3repE0EEENS1_30default_config_static_selectorELNS0_4arch9wavefront6targetE0EEEvT1_
    .private_segment_fixed_size: 0
    .sgpr_count:     0
    .sgpr_spill_count: 0
    .symbol:         _ZN7rocprim17ROCPRIM_400000_NS6detail17trampoline_kernelINS0_14default_configENS1_25partition_config_selectorILNS1_17partition_subalgoE9EllbEEZZNS1_14partition_implILS5_9ELb0ES3_jPlS8_PNS0_10empty_typeENS0_5tupleIJS8_S9_EEENSB_IJS8_SA_EEENS0_18inequality_wrapperIZN2at6native12_GLOBAL__N_124unique_dim_cuda_templateIfEESt5tupleIJNSF_6TensorESK_SK_EERKSK_lbbbEUlllE0_EEPmJS9_EEE10hipError_tPvRmT3_T4_T5_T6_T7_T9_mT8_P12ihipStream_tbDpT10_ENKUlT_T0_E_clISt17integral_constantIbLb1EES1A_EEDaS15_S16_EUlS15_E_NS1_11comp_targetILNS1_3genE0ELNS1_11target_archE4294967295ELNS1_3gpuE0ELNS1_3repE0EEENS1_30default_config_static_selectorELNS0_4arch9wavefront6targetE0EEEvT1_.kd
    .uniform_work_group_size: 1
    .uses_dynamic_stack: false
    .vgpr_count:     0
    .vgpr_spill_count: 0
    .wavefront_size: 32
    .workgroup_processor_mode: 1
  - .args:
      - .offset:         0
        .size:           136
        .value_kind:     by_value
    .group_segment_fixed_size: 0
    .kernarg_segment_align: 8
    .kernarg_segment_size: 136
    .language:       OpenCL C
    .language_version:
      - 2
      - 0
    .max_flat_workgroup_size: 512
    .name:           _ZN7rocprim17ROCPRIM_400000_NS6detail17trampoline_kernelINS0_14default_configENS1_25partition_config_selectorILNS1_17partition_subalgoE9EllbEEZZNS1_14partition_implILS5_9ELb0ES3_jPlS8_PNS0_10empty_typeENS0_5tupleIJS8_S9_EEENSB_IJS8_SA_EEENS0_18inequality_wrapperIZN2at6native12_GLOBAL__N_124unique_dim_cuda_templateIfEESt5tupleIJNSF_6TensorESK_SK_EERKSK_lbbbEUlllE0_EEPmJS9_EEE10hipError_tPvRmT3_T4_T5_T6_T7_T9_mT8_P12ihipStream_tbDpT10_ENKUlT_T0_E_clISt17integral_constantIbLb1EES1A_EEDaS15_S16_EUlS15_E_NS1_11comp_targetILNS1_3genE5ELNS1_11target_archE942ELNS1_3gpuE9ELNS1_3repE0EEENS1_30default_config_static_selectorELNS0_4arch9wavefront6targetE0EEEvT1_
    .private_segment_fixed_size: 0
    .sgpr_count:     0
    .sgpr_spill_count: 0
    .symbol:         _ZN7rocprim17ROCPRIM_400000_NS6detail17trampoline_kernelINS0_14default_configENS1_25partition_config_selectorILNS1_17partition_subalgoE9EllbEEZZNS1_14partition_implILS5_9ELb0ES3_jPlS8_PNS0_10empty_typeENS0_5tupleIJS8_S9_EEENSB_IJS8_SA_EEENS0_18inequality_wrapperIZN2at6native12_GLOBAL__N_124unique_dim_cuda_templateIfEESt5tupleIJNSF_6TensorESK_SK_EERKSK_lbbbEUlllE0_EEPmJS9_EEE10hipError_tPvRmT3_T4_T5_T6_T7_T9_mT8_P12ihipStream_tbDpT10_ENKUlT_T0_E_clISt17integral_constantIbLb1EES1A_EEDaS15_S16_EUlS15_E_NS1_11comp_targetILNS1_3genE5ELNS1_11target_archE942ELNS1_3gpuE9ELNS1_3repE0EEENS1_30default_config_static_selectorELNS0_4arch9wavefront6targetE0EEEvT1_.kd
    .uniform_work_group_size: 1
    .uses_dynamic_stack: false
    .vgpr_count:     0
    .vgpr_spill_count: 0
    .wavefront_size: 32
    .workgroup_processor_mode: 1
  - .args:
      - .offset:         0
        .size:           136
        .value_kind:     by_value
    .group_segment_fixed_size: 0
    .kernarg_segment_align: 8
    .kernarg_segment_size: 136
    .language:       OpenCL C
    .language_version:
      - 2
      - 0
    .max_flat_workgroup_size: 128
    .name:           _ZN7rocprim17ROCPRIM_400000_NS6detail17trampoline_kernelINS0_14default_configENS1_25partition_config_selectorILNS1_17partition_subalgoE9EllbEEZZNS1_14partition_implILS5_9ELb0ES3_jPlS8_PNS0_10empty_typeENS0_5tupleIJS8_S9_EEENSB_IJS8_SA_EEENS0_18inequality_wrapperIZN2at6native12_GLOBAL__N_124unique_dim_cuda_templateIfEESt5tupleIJNSF_6TensorESK_SK_EERKSK_lbbbEUlllE0_EEPmJS9_EEE10hipError_tPvRmT3_T4_T5_T6_T7_T9_mT8_P12ihipStream_tbDpT10_ENKUlT_T0_E_clISt17integral_constantIbLb1EES1A_EEDaS15_S16_EUlS15_E_NS1_11comp_targetILNS1_3genE4ELNS1_11target_archE910ELNS1_3gpuE8ELNS1_3repE0EEENS1_30default_config_static_selectorELNS0_4arch9wavefront6targetE0EEEvT1_
    .private_segment_fixed_size: 0
    .sgpr_count:     0
    .sgpr_spill_count: 0
    .symbol:         _ZN7rocprim17ROCPRIM_400000_NS6detail17trampoline_kernelINS0_14default_configENS1_25partition_config_selectorILNS1_17partition_subalgoE9EllbEEZZNS1_14partition_implILS5_9ELb0ES3_jPlS8_PNS0_10empty_typeENS0_5tupleIJS8_S9_EEENSB_IJS8_SA_EEENS0_18inequality_wrapperIZN2at6native12_GLOBAL__N_124unique_dim_cuda_templateIfEESt5tupleIJNSF_6TensorESK_SK_EERKSK_lbbbEUlllE0_EEPmJS9_EEE10hipError_tPvRmT3_T4_T5_T6_T7_T9_mT8_P12ihipStream_tbDpT10_ENKUlT_T0_E_clISt17integral_constantIbLb1EES1A_EEDaS15_S16_EUlS15_E_NS1_11comp_targetILNS1_3genE4ELNS1_11target_archE910ELNS1_3gpuE8ELNS1_3repE0EEENS1_30default_config_static_selectorELNS0_4arch9wavefront6targetE0EEEvT1_.kd
    .uniform_work_group_size: 1
    .uses_dynamic_stack: false
    .vgpr_count:     0
    .vgpr_spill_count: 0
    .wavefront_size: 32
    .workgroup_processor_mode: 1
  - .args:
      - .offset:         0
        .size:           136
        .value_kind:     by_value
    .group_segment_fixed_size: 0
    .kernarg_segment_align: 8
    .kernarg_segment_size: 136
    .language:       OpenCL C
    .language_version:
      - 2
      - 0
    .max_flat_workgroup_size: 128
    .name:           _ZN7rocprim17ROCPRIM_400000_NS6detail17trampoline_kernelINS0_14default_configENS1_25partition_config_selectorILNS1_17partition_subalgoE9EllbEEZZNS1_14partition_implILS5_9ELb0ES3_jPlS8_PNS0_10empty_typeENS0_5tupleIJS8_S9_EEENSB_IJS8_SA_EEENS0_18inequality_wrapperIZN2at6native12_GLOBAL__N_124unique_dim_cuda_templateIfEESt5tupleIJNSF_6TensorESK_SK_EERKSK_lbbbEUlllE0_EEPmJS9_EEE10hipError_tPvRmT3_T4_T5_T6_T7_T9_mT8_P12ihipStream_tbDpT10_ENKUlT_T0_E_clISt17integral_constantIbLb1EES1A_EEDaS15_S16_EUlS15_E_NS1_11comp_targetILNS1_3genE3ELNS1_11target_archE908ELNS1_3gpuE7ELNS1_3repE0EEENS1_30default_config_static_selectorELNS0_4arch9wavefront6targetE0EEEvT1_
    .private_segment_fixed_size: 0
    .sgpr_count:     0
    .sgpr_spill_count: 0
    .symbol:         _ZN7rocprim17ROCPRIM_400000_NS6detail17trampoline_kernelINS0_14default_configENS1_25partition_config_selectorILNS1_17partition_subalgoE9EllbEEZZNS1_14partition_implILS5_9ELb0ES3_jPlS8_PNS0_10empty_typeENS0_5tupleIJS8_S9_EEENSB_IJS8_SA_EEENS0_18inequality_wrapperIZN2at6native12_GLOBAL__N_124unique_dim_cuda_templateIfEESt5tupleIJNSF_6TensorESK_SK_EERKSK_lbbbEUlllE0_EEPmJS9_EEE10hipError_tPvRmT3_T4_T5_T6_T7_T9_mT8_P12ihipStream_tbDpT10_ENKUlT_T0_E_clISt17integral_constantIbLb1EES1A_EEDaS15_S16_EUlS15_E_NS1_11comp_targetILNS1_3genE3ELNS1_11target_archE908ELNS1_3gpuE7ELNS1_3repE0EEENS1_30default_config_static_selectorELNS0_4arch9wavefront6targetE0EEEvT1_.kd
    .uniform_work_group_size: 1
    .uses_dynamic_stack: false
    .vgpr_count:     0
    .vgpr_spill_count: 0
    .wavefront_size: 32
    .workgroup_processor_mode: 1
  - .args:
      - .offset:         0
        .size:           136
        .value_kind:     by_value
    .group_segment_fixed_size: 0
    .kernarg_segment_align: 8
    .kernarg_segment_size: 136
    .language:       OpenCL C
    .language_version:
      - 2
      - 0
    .max_flat_workgroup_size: 192
    .name:           _ZN7rocprim17ROCPRIM_400000_NS6detail17trampoline_kernelINS0_14default_configENS1_25partition_config_selectorILNS1_17partition_subalgoE9EllbEEZZNS1_14partition_implILS5_9ELb0ES3_jPlS8_PNS0_10empty_typeENS0_5tupleIJS8_S9_EEENSB_IJS8_SA_EEENS0_18inequality_wrapperIZN2at6native12_GLOBAL__N_124unique_dim_cuda_templateIfEESt5tupleIJNSF_6TensorESK_SK_EERKSK_lbbbEUlllE0_EEPmJS9_EEE10hipError_tPvRmT3_T4_T5_T6_T7_T9_mT8_P12ihipStream_tbDpT10_ENKUlT_T0_E_clISt17integral_constantIbLb1EES1A_EEDaS15_S16_EUlS15_E_NS1_11comp_targetILNS1_3genE2ELNS1_11target_archE906ELNS1_3gpuE6ELNS1_3repE0EEENS1_30default_config_static_selectorELNS0_4arch9wavefront6targetE0EEEvT1_
    .private_segment_fixed_size: 0
    .sgpr_count:     0
    .sgpr_spill_count: 0
    .symbol:         _ZN7rocprim17ROCPRIM_400000_NS6detail17trampoline_kernelINS0_14default_configENS1_25partition_config_selectorILNS1_17partition_subalgoE9EllbEEZZNS1_14partition_implILS5_9ELb0ES3_jPlS8_PNS0_10empty_typeENS0_5tupleIJS8_S9_EEENSB_IJS8_SA_EEENS0_18inequality_wrapperIZN2at6native12_GLOBAL__N_124unique_dim_cuda_templateIfEESt5tupleIJNSF_6TensorESK_SK_EERKSK_lbbbEUlllE0_EEPmJS9_EEE10hipError_tPvRmT3_T4_T5_T6_T7_T9_mT8_P12ihipStream_tbDpT10_ENKUlT_T0_E_clISt17integral_constantIbLb1EES1A_EEDaS15_S16_EUlS15_E_NS1_11comp_targetILNS1_3genE2ELNS1_11target_archE906ELNS1_3gpuE6ELNS1_3repE0EEENS1_30default_config_static_selectorELNS0_4arch9wavefront6targetE0EEEvT1_.kd
    .uniform_work_group_size: 1
    .uses_dynamic_stack: false
    .vgpr_count:     0
    .vgpr_spill_count: 0
    .wavefront_size: 32
    .workgroup_processor_mode: 1
  - .args:
      - .offset:         0
        .size:           136
        .value_kind:     by_value
    .group_segment_fixed_size: 0
    .kernarg_segment_align: 8
    .kernarg_segment_size: 136
    .language:       OpenCL C
    .language_version:
      - 2
      - 0
    .max_flat_workgroup_size: 384
    .name:           _ZN7rocprim17ROCPRIM_400000_NS6detail17trampoline_kernelINS0_14default_configENS1_25partition_config_selectorILNS1_17partition_subalgoE9EllbEEZZNS1_14partition_implILS5_9ELb0ES3_jPlS8_PNS0_10empty_typeENS0_5tupleIJS8_S9_EEENSB_IJS8_SA_EEENS0_18inequality_wrapperIZN2at6native12_GLOBAL__N_124unique_dim_cuda_templateIfEESt5tupleIJNSF_6TensorESK_SK_EERKSK_lbbbEUlllE0_EEPmJS9_EEE10hipError_tPvRmT3_T4_T5_T6_T7_T9_mT8_P12ihipStream_tbDpT10_ENKUlT_T0_E_clISt17integral_constantIbLb1EES1A_EEDaS15_S16_EUlS15_E_NS1_11comp_targetILNS1_3genE10ELNS1_11target_archE1200ELNS1_3gpuE4ELNS1_3repE0EEENS1_30default_config_static_selectorELNS0_4arch9wavefront6targetE0EEEvT1_
    .private_segment_fixed_size: 0
    .sgpr_count:     0
    .sgpr_spill_count: 0
    .symbol:         _ZN7rocprim17ROCPRIM_400000_NS6detail17trampoline_kernelINS0_14default_configENS1_25partition_config_selectorILNS1_17partition_subalgoE9EllbEEZZNS1_14partition_implILS5_9ELb0ES3_jPlS8_PNS0_10empty_typeENS0_5tupleIJS8_S9_EEENSB_IJS8_SA_EEENS0_18inequality_wrapperIZN2at6native12_GLOBAL__N_124unique_dim_cuda_templateIfEESt5tupleIJNSF_6TensorESK_SK_EERKSK_lbbbEUlllE0_EEPmJS9_EEE10hipError_tPvRmT3_T4_T5_T6_T7_T9_mT8_P12ihipStream_tbDpT10_ENKUlT_T0_E_clISt17integral_constantIbLb1EES1A_EEDaS15_S16_EUlS15_E_NS1_11comp_targetILNS1_3genE10ELNS1_11target_archE1200ELNS1_3gpuE4ELNS1_3repE0EEENS1_30default_config_static_selectorELNS0_4arch9wavefront6targetE0EEEvT1_.kd
    .uniform_work_group_size: 1
    .uses_dynamic_stack: false
    .vgpr_count:     0
    .vgpr_spill_count: 0
    .wavefront_size: 32
    .workgroup_processor_mode: 1
  - .args:
      - .offset:         0
        .size:           136
        .value_kind:     by_value
    .group_segment_fixed_size: 33804
    .kernarg_segment_align: 8
    .kernarg_segment_size: 136
    .language:       OpenCL C
    .language_version:
      - 2
      - 0
    .max_flat_workgroup_size: 512
    .name:           _ZN7rocprim17ROCPRIM_400000_NS6detail17trampoline_kernelINS0_14default_configENS1_25partition_config_selectorILNS1_17partition_subalgoE9EllbEEZZNS1_14partition_implILS5_9ELb0ES3_jPlS8_PNS0_10empty_typeENS0_5tupleIJS8_S9_EEENSB_IJS8_SA_EEENS0_18inequality_wrapperIZN2at6native12_GLOBAL__N_124unique_dim_cuda_templateIfEESt5tupleIJNSF_6TensorESK_SK_EERKSK_lbbbEUlllE0_EEPmJS9_EEE10hipError_tPvRmT3_T4_T5_T6_T7_T9_mT8_P12ihipStream_tbDpT10_ENKUlT_T0_E_clISt17integral_constantIbLb1EES1A_EEDaS15_S16_EUlS15_E_NS1_11comp_targetILNS1_3genE9ELNS1_11target_archE1100ELNS1_3gpuE3ELNS1_3repE0EEENS1_30default_config_static_selectorELNS0_4arch9wavefront6targetE0EEEvT1_
    .private_segment_fixed_size: 0
    .sgpr_count:     42
    .sgpr_spill_count: 0
    .symbol:         _ZN7rocprim17ROCPRIM_400000_NS6detail17trampoline_kernelINS0_14default_configENS1_25partition_config_selectorILNS1_17partition_subalgoE9EllbEEZZNS1_14partition_implILS5_9ELb0ES3_jPlS8_PNS0_10empty_typeENS0_5tupleIJS8_S9_EEENSB_IJS8_SA_EEENS0_18inequality_wrapperIZN2at6native12_GLOBAL__N_124unique_dim_cuda_templateIfEESt5tupleIJNSF_6TensorESK_SK_EERKSK_lbbbEUlllE0_EEPmJS9_EEE10hipError_tPvRmT3_T4_T5_T6_T7_T9_mT8_P12ihipStream_tbDpT10_ENKUlT_T0_E_clISt17integral_constantIbLb1EES1A_EEDaS15_S16_EUlS15_E_NS1_11comp_targetILNS1_3genE9ELNS1_11target_archE1100ELNS1_3gpuE3ELNS1_3repE0EEENS1_30default_config_static_selectorELNS0_4arch9wavefront6targetE0EEEvT1_.kd
    .uniform_work_group_size: 1
    .uses_dynamic_stack: false
    .vgpr_count:     68
    .vgpr_spill_count: 0
    .wavefront_size: 32
    .workgroup_processor_mode: 1
  - .args:
      - .offset:         0
        .size:           136
        .value_kind:     by_value
    .group_segment_fixed_size: 0
    .kernarg_segment_align: 8
    .kernarg_segment_size: 136
    .language:       OpenCL C
    .language_version:
      - 2
      - 0
    .max_flat_workgroup_size: 512
    .name:           _ZN7rocprim17ROCPRIM_400000_NS6detail17trampoline_kernelINS0_14default_configENS1_25partition_config_selectorILNS1_17partition_subalgoE9EllbEEZZNS1_14partition_implILS5_9ELb0ES3_jPlS8_PNS0_10empty_typeENS0_5tupleIJS8_S9_EEENSB_IJS8_SA_EEENS0_18inequality_wrapperIZN2at6native12_GLOBAL__N_124unique_dim_cuda_templateIfEESt5tupleIJNSF_6TensorESK_SK_EERKSK_lbbbEUlllE0_EEPmJS9_EEE10hipError_tPvRmT3_T4_T5_T6_T7_T9_mT8_P12ihipStream_tbDpT10_ENKUlT_T0_E_clISt17integral_constantIbLb1EES1A_EEDaS15_S16_EUlS15_E_NS1_11comp_targetILNS1_3genE8ELNS1_11target_archE1030ELNS1_3gpuE2ELNS1_3repE0EEENS1_30default_config_static_selectorELNS0_4arch9wavefront6targetE0EEEvT1_
    .private_segment_fixed_size: 0
    .sgpr_count:     0
    .sgpr_spill_count: 0
    .symbol:         _ZN7rocprim17ROCPRIM_400000_NS6detail17trampoline_kernelINS0_14default_configENS1_25partition_config_selectorILNS1_17partition_subalgoE9EllbEEZZNS1_14partition_implILS5_9ELb0ES3_jPlS8_PNS0_10empty_typeENS0_5tupleIJS8_S9_EEENSB_IJS8_SA_EEENS0_18inequality_wrapperIZN2at6native12_GLOBAL__N_124unique_dim_cuda_templateIfEESt5tupleIJNSF_6TensorESK_SK_EERKSK_lbbbEUlllE0_EEPmJS9_EEE10hipError_tPvRmT3_T4_T5_T6_T7_T9_mT8_P12ihipStream_tbDpT10_ENKUlT_T0_E_clISt17integral_constantIbLb1EES1A_EEDaS15_S16_EUlS15_E_NS1_11comp_targetILNS1_3genE8ELNS1_11target_archE1030ELNS1_3gpuE2ELNS1_3repE0EEENS1_30default_config_static_selectorELNS0_4arch9wavefront6targetE0EEEvT1_.kd
    .uniform_work_group_size: 1
    .uses_dynamic_stack: false
    .vgpr_count:     0
    .vgpr_spill_count: 0
    .wavefront_size: 32
    .workgroup_processor_mode: 1
  - .args:
      - .offset:         0
        .size:           120
        .value_kind:     by_value
    .group_segment_fixed_size: 0
    .kernarg_segment_align: 8
    .kernarg_segment_size: 120
    .language:       OpenCL C
    .language_version:
      - 2
      - 0
    .max_flat_workgroup_size: 128
    .name:           _ZN7rocprim17ROCPRIM_400000_NS6detail17trampoline_kernelINS0_14default_configENS1_25partition_config_selectorILNS1_17partition_subalgoE9EllbEEZZNS1_14partition_implILS5_9ELb0ES3_jPlS8_PNS0_10empty_typeENS0_5tupleIJS8_S9_EEENSB_IJS8_SA_EEENS0_18inequality_wrapperIZN2at6native12_GLOBAL__N_124unique_dim_cuda_templateIfEESt5tupleIJNSF_6TensorESK_SK_EERKSK_lbbbEUlllE0_EEPmJS9_EEE10hipError_tPvRmT3_T4_T5_T6_T7_T9_mT8_P12ihipStream_tbDpT10_ENKUlT_T0_E_clISt17integral_constantIbLb1EES19_IbLb0EEEEDaS15_S16_EUlS15_E_NS1_11comp_targetILNS1_3genE0ELNS1_11target_archE4294967295ELNS1_3gpuE0ELNS1_3repE0EEENS1_30default_config_static_selectorELNS0_4arch9wavefront6targetE0EEEvT1_
    .private_segment_fixed_size: 0
    .sgpr_count:     0
    .sgpr_spill_count: 0
    .symbol:         _ZN7rocprim17ROCPRIM_400000_NS6detail17trampoline_kernelINS0_14default_configENS1_25partition_config_selectorILNS1_17partition_subalgoE9EllbEEZZNS1_14partition_implILS5_9ELb0ES3_jPlS8_PNS0_10empty_typeENS0_5tupleIJS8_S9_EEENSB_IJS8_SA_EEENS0_18inequality_wrapperIZN2at6native12_GLOBAL__N_124unique_dim_cuda_templateIfEESt5tupleIJNSF_6TensorESK_SK_EERKSK_lbbbEUlllE0_EEPmJS9_EEE10hipError_tPvRmT3_T4_T5_T6_T7_T9_mT8_P12ihipStream_tbDpT10_ENKUlT_T0_E_clISt17integral_constantIbLb1EES19_IbLb0EEEEDaS15_S16_EUlS15_E_NS1_11comp_targetILNS1_3genE0ELNS1_11target_archE4294967295ELNS1_3gpuE0ELNS1_3repE0EEENS1_30default_config_static_selectorELNS0_4arch9wavefront6targetE0EEEvT1_.kd
    .uniform_work_group_size: 1
    .uses_dynamic_stack: false
    .vgpr_count:     0
    .vgpr_spill_count: 0
    .wavefront_size: 32
    .workgroup_processor_mode: 1
  - .args:
      - .offset:         0
        .size:           120
        .value_kind:     by_value
    .group_segment_fixed_size: 0
    .kernarg_segment_align: 8
    .kernarg_segment_size: 120
    .language:       OpenCL C
    .language_version:
      - 2
      - 0
    .max_flat_workgroup_size: 512
    .name:           _ZN7rocprim17ROCPRIM_400000_NS6detail17trampoline_kernelINS0_14default_configENS1_25partition_config_selectorILNS1_17partition_subalgoE9EllbEEZZNS1_14partition_implILS5_9ELb0ES3_jPlS8_PNS0_10empty_typeENS0_5tupleIJS8_S9_EEENSB_IJS8_SA_EEENS0_18inequality_wrapperIZN2at6native12_GLOBAL__N_124unique_dim_cuda_templateIfEESt5tupleIJNSF_6TensorESK_SK_EERKSK_lbbbEUlllE0_EEPmJS9_EEE10hipError_tPvRmT3_T4_T5_T6_T7_T9_mT8_P12ihipStream_tbDpT10_ENKUlT_T0_E_clISt17integral_constantIbLb1EES19_IbLb0EEEEDaS15_S16_EUlS15_E_NS1_11comp_targetILNS1_3genE5ELNS1_11target_archE942ELNS1_3gpuE9ELNS1_3repE0EEENS1_30default_config_static_selectorELNS0_4arch9wavefront6targetE0EEEvT1_
    .private_segment_fixed_size: 0
    .sgpr_count:     0
    .sgpr_spill_count: 0
    .symbol:         _ZN7rocprim17ROCPRIM_400000_NS6detail17trampoline_kernelINS0_14default_configENS1_25partition_config_selectorILNS1_17partition_subalgoE9EllbEEZZNS1_14partition_implILS5_9ELb0ES3_jPlS8_PNS0_10empty_typeENS0_5tupleIJS8_S9_EEENSB_IJS8_SA_EEENS0_18inequality_wrapperIZN2at6native12_GLOBAL__N_124unique_dim_cuda_templateIfEESt5tupleIJNSF_6TensorESK_SK_EERKSK_lbbbEUlllE0_EEPmJS9_EEE10hipError_tPvRmT3_T4_T5_T6_T7_T9_mT8_P12ihipStream_tbDpT10_ENKUlT_T0_E_clISt17integral_constantIbLb1EES19_IbLb0EEEEDaS15_S16_EUlS15_E_NS1_11comp_targetILNS1_3genE5ELNS1_11target_archE942ELNS1_3gpuE9ELNS1_3repE0EEENS1_30default_config_static_selectorELNS0_4arch9wavefront6targetE0EEEvT1_.kd
    .uniform_work_group_size: 1
    .uses_dynamic_stack: false
    .vgpr_count:     0
    .vgpr_spill_count: 0
    .wavefront_size: 32
    .workgroup_processor_mode: 1
  - .args:
      - .offset:         0
        .size:           120
        .value_kind:     by_value
    .group_segment_fixed_size: 0
    .kernarg_segment_align: 8
    .kernarg_segment_size: 120
    .language:       OpenCL C
    .language_version:
      - 2
      - 0
    .max_flat_workgroup_size: 128
    .name:           _ZN7rocprim17ROCPRIM_400000_NS6detail17trampoline_kernelINS0_14default_configENS1_25partition_config_selectorILNS1_17partition_subalgoE9EllbEEZZNS1_14partition_implILS5_9ELb0ES3_jPlS8_PNS0_10empty_typeENS0_5tupleIJS8_S9_EEENSB_IJS8_SA_EEENS0_18inequality_wrapperIZN2at6native12_GLOBAL__N_124unique_dim_cuda_templateIfEESt5tupleIJNSF_6TensorESK_SK_EERKSK_lbbbEUlllE0_EEPmJS9_EEE10hipError_tPvRmT3_T4_T5_T6_T7_T9_mT8_P12ihipStream_tbDpT10_ENKUlT_T0_E_clISt17integral_constantIbLb1EES19_IbLb0EEEEDaS15_S16_EUlS15_E_NS1_11comp_targetILNS1_3genE4ELNS1_11target_archE910ELNS1_3gpuE8ELNS1_3repE0EEENS1_30default_config_static_selectorELNS0_4arch9wavefront6targetE0EEEvT1_
    .private_segment_fixed_size: 0
    .sgpr_count:     0
    .sgpr_spill_count: 0
    .symbol:         _ZN7rocprim17ROCPRIM_400000_NS6detail17trampoline_kernelINS0_14default_configENS1_25partition_config_selectorILNS1_17partition_subalgoE9EllbEEZZNS1_14partition_implILS5_9ELb0ES3_jPlS8_PNS0_10empty_typeENS0_5tupleIJS8_S9_EEENSB_IJS8_SA_EEENS0_18inequality_wrapperIZN2at6native12_GLOBAL__N_124unique_dim_cuda_templateIfEESt5tupleIJNSF_6TensorESK_SK_EERKSK_lbbbEUlllE0_EEPmJS9_EEE10hipError_tPvRmT3_T4_T5_T6_T7_T9_mT8_P12ihipStream_tbDpT10_ENKUlT_T0_E_clISt17integral_constantIbLb1EES19_IbLb0EEEEDaS15_S16_EUlS15_E_NS1_11comp_targetILNS1_3genE4ELNS1_11target_archE910ELNS1_3gpuE8ELNS1_3repE0EEENS1_30default_config_static_selectorELNS0_4arch9wavefront6targetE0EEEvT1_.kd
    .uniform_work_group_size: 1
    .uses_dynamic_stack: false
    .vgpr_count:     0
    .vgpr_spill_count: 0
    .wavefront_size: 32
    .workgroup_processor_mode: 1
  - .args:
      - .offset:         0
        .size:           120
        .value_kind:     by_value
    .group_segment_fixed_size: 0
    .kernarg_segment_align: 8
    .kernarg_segment_size: 120
    .language:       OpenCL C
    .language_version:
      - 2
      - 0
    .max_flat_workgroup_size: 128
    .name:           _ZN7rocprim17ROCPRIM_400000_NS6detail17trampoline_kernelINS0_14default_configENS1_25partition_config_selectorILNS1_17partition_subalgoE9EllbEEZZNS1_14partition_implILS5_9ELb0ES3_jPlS8_PNS0_10empty_typeENS0_5tupleIJS8_S9_EEENSB_IJS8_SA_EEENS0_18inequality_wrapperIZN2at6native12_GLOBAL__N_124unique_dim_cuda_templateIfEESt5tupleIJNSF_6TensorESK_SK_EERKSK_lbbbEUlllE0_EEPmJS9_EEE10hipError_tPvRmT3_T4_T5_T6_T7_T9_mT8_P12ihipStream_tbDpT10_ENKUlT_T0_E_clISt17integral_constantIbLb1EES19_IbLb0EEEEDaS15_S16_EUlS15_E_NS1_11comp_targetILNS1_3genE3ELNS1_11target_archE908ELNS1_3gpuE7ELNS1_3repE0EEENS1_30default_config_static_selectorELNS0_4arch9wavefront6targetE0EEEvT1_
    .private_segment_fixed_size: 0
    .sgpr_count:     0
    .sgpr_spill_count: 0
    .symbol:         _ZN7rocprim17ROCPRIM_400000_NS6detail17trampoline_kernelINS0_14default_configENS1_25partition_config_selectorILNS1_17partition_subalgoE9EllbEEZZNS1_14partition_implILS5_9ELb0ES3_jPlS8_PNS0_10empty_typeENS0_5tupleIJS8_S9_EEENSB_IJS8_SA_EEENS0_18inequality_wrapperIZN2at6native12_GLOBAL__N_124unique_dim_cuda_templateIfEESt5tupleIJNSF_6TensorESK_SK_EERKSK_lbbbEUlllE0_EEPmJS9_EEE10hipError_tPvRmT3_T4_T5_T6_T7_T9_mT8_P12ihipStream_tbDpT10_ENKUlT_T0_E_clISt17integral_constantIbLb1EES19_IbLb0EEEEDaS15_S16_EUlS15_E_NS1_11comp_targetILNS1_3genE3ELNS1_11target_archE908ELNS1_3gpuE7ELNS1_3repE0EEENS1_30default_config_static_selectorELNS0_4arch9wavefront6targetE0EEEvT1_.kd
    .uniform_work_group_size: 1
    .uses_dynamic_stack: false
    .vgpr_count:     0
    .vgpr_spill_count: 0
    .wavefront_size: 32
    .workgroup_processor_mode: 1
  - .args:
      - .offset:         0
        .size:           120
        .value_kind:     by_value
    .group_segment_fixed_size: 0
    .kernarg_segment_align: 8
    .kernarg_segment_size: 120
    .language:       OpenCL C
    .language_version:
      - 2
      - 0
    .max_flat_workgroup_size: 192
    .name:           _ZN7rocprim17ROCPRIM_400000_NS6detail17trampoline_kernelINS0_14default_configENS1_25partition_config_selectorILNS1_17partition_subalgoE9EllbEEZZNS1_14partition_implILS5_9ELb0ES3_jPlS8_PNS0_10empty_typeENS0_5tupleIJS8_S9_EEENSB_IJS8_SA_EEENS0_18inequality_wrapperIZN2at6native12_GLOBAL__N_124unique_dim_cuda_templateIfEESt5tupleIJNSF_6TensorESK_SK_EERKSK_lbbbEUlllE0_EEPmJS9_EEE10hipError_tPvRmT3_T4_T5_T6_T7_T9_mT8_P12ihipStream_tbDpT10_ENKUlT_T0_E_clISt17integral_constantIbLb1EES19_IbLb0EEEEDaS15_S16_EUlS15_E_NS1_11comp_targetILNS1_3genE2ELNS1_11target_archE906ELNS1_3gpuE6ELNS1_3repE0EEENS1_30default_config_static_selectorELNS0_4arch9wavefront6targetE0EEEvT1_
    .private_segment_fixed_size: 0
    .sgpr_count:     0
    .sgpr_spill_count: 0
    .symbol:         _ZN7rocprim17ROCPRIM_400000_NS6detail17trampoline_kernelINS0_14default_configENS1_25partition_config_selectorILNS1_17partition_subalgoE9EllbEEZZNS1_14partition_implILS5_9ELb0ES3_jPlS8_PNS0_10empty_typeENS0_5tupleIJS8_S9_EEENSB_IJS8_SA_EEENS0_18inequality_wrapperIZN2at6native12_GLOBAL__N_124unique_dim_cuda_templateIfEESt5tupleIJNSF_6TensorESK_SK_EERKSK_lbbbEUlllE0_EEPmJS9_EEE10hipError_tPvRmT3_T4_T5_T6_T7_T9_mT8_P12ihipStream_tbDpT10_ENKUlT_T0_E_clISt17integral_constantIbLb1EES19_IbLb0EEEEDaS15_S16_EUlS15_E_NS1_11comp_targetILNS1_3genE2ELNS1_11target_archE906ELNS1_3gpuE6ELNS1_3repE0EEENS1_30default_config_static_selectorELNS0_4arch9wavefront6targetE0EEEvT1_.kd
    .uniform_work_group_size: 1
    .uses_dynamic_stack: false
    .vgpr_count:     0
    .vgpr_spill_count: 0
    .wavefront_size: 32
    .workgroup_processor_mode: 1
  - .args:
      - .offset:         0
        .size:           120
        .value_kind:     by_value
    .group_segment_fixed_size: 0
    .kernarg_segment_align: 8
    .kernarg_segment_size: 120
    .language:       OpenCL C
    .language_version:
      - 2
      - 0
    .max_flat_workgroup_size: 384
    .name:           _ZN7rocprim17ROCPRIM_400000_NS6detail17trampoline_kernelINS0_14default_configENS1_25partition_config_selectorILNS1_17partition_subalgoE9EllbEEZZNS1_14partition_implILS5_9ELb0ES3_jPlS8_PNS0_10empty_typeENS0_5tupleIJS8_S9_EEENSB_IJS8_SA_EEENS0_18inequality_wrapperIZN2at6native12_GLOBAL__N_124unique_dim_cuda_templateIfEESt5tupleIJNSF_6TensorESK_SK_EERKSK_lbbbEUlllE0_EEPmJS9_EEE10hipError_tPvRmT3_T4_T5_T6_T7_T9_mT8_P12ihipStream_tbDpT10_ENKUlT_T0_E_clISt17integral_constantIbLb1EES19_IbLb0EEEEDaS15_S16_EUlS15_E_NS1_11comp_targetILNS1_3genE10ELNS1_11target_archE1200ELNS1_3gpuE4ELNS1_3repE0EEENS1_30default_config_static_selectorELNS0_4arch9wavefront6targetE0EEEvT1_
    .private_segment_fixed_size: 0
    .sgpr_count:     0
    .sgpr_spill_count: 0
    .symbol:         _ZN7rocprim17ROCPRIM_400000_NS6detail17trampoline_kernelINS0_14default_configENS1_25partition_config_selectorILNS1_17partition_subalgoE9EllbEEZZNS1_14partition_implILS5_9ELb0ES3_jPlS8_PNS0_10empty_typeENS0_5tupleIJS8_S9_EEENSB_IJS8_SA_EEENS0_18inequality_wrapperIZN2at6native12_GLOBAL__N_124unique_dim_cuda_templateIfEESt5tupleIJNSF_6TensorESK_SK_EERKSK_lbbbEUlllE0_EEPmJS9_EEE10hipError_tPvRmT3_T4_T5_T6_T7_T9_mT8_P12ihipStream_tbDpT10_ENKUlT_T0_E_clISt17integral_constantIbLb1EES19_IbLb0EEEEDaS15_S16_EUlS15_E_NS1_11comp_targetILNS1_3genE10ELNS1_11target_archE1200ELNS1_3gpuE4ELNS1_3repE0EEENS1_30default_config_static_selectorELNS0_4arch9wavefront6targetE0EEEvT1_.kd
    .uniform_work_group_size: 1
    .uses_dynamic_stack: false
    .vgpr_count:     0
    .vgpr_spill_count: 0
    .wavefront_size: 32
    .workgroup_processor_mode: 1
  - .args:
      - .offset:         0
        .size:           120
        .value_kind:     by_value
    .group_segment_fixed_size: 33804
    .kernarg_segment_align: 8
    .kernarg_segment_size: 120
    .language:       OpenCL C
    .language_version:
      - 2
      - 0
    .max_flat_workgroup_size: 512
    .name:           _ZN7rocprim17ROCPRIM_400000_NS6detail17trampoline_kernelINS0_14default_configENS1_25partition_config_selectorILNS1_17partition_subalgoE9EllbEEZZNS1_14partition_implILS5_9ELb0ES3_jPlS8_PNS0_10empty_typeENS0_5tupleIJS8_S9_EEENSB_IJS8_SA_EEENS0_18inequality_wrapperIZN2at6native12_GLOBAL__N_124unique_dim_cuda_templateIfEESt5tupleIJNSF_6TensorESK_SK_EERKSK_lbbbEUlllE0_EEPmJS9_EEE10hipError_tPvRmT3_T4_T5_T6_T7_T9_mT8_P12ihipStream_tbDpT10_ENKUlT_T0_E_clISt17integral_constantIbLb1EES19_IbLb0EEEEDaS15_S16_EUlS15_E_NS1_11comp_targetILNS1_3genE9ELNS1_11target_archE1100ELNS1_3gpuE3ELNS1_3repE0EEENS1_30default_config_static_selectorELNS0_4arch9wavefront6targetE0EEEvT1_
    .private_segment_fixed_size: 0
    .sgpr_count:     38
    .sgpr_spill_count: 0
    .symbol:         _ZN7rocprim17ROCPRIM_400000_NS6detail17trampoline_kernelINS0_14default_configENS1_25partition_config_selectorILNS1_17partition_subalgoE9EllbEEZZNS1_14partition_implILS5_9ELb0ES3_jPlS8_PNS0_10empty_typeENS0_5tupleIJS8_S9_EEENSB_IJS8_SA_EEENS0_18inequality_wrapperIZN2at6native12_GLOBAL__N_124unique_dim_cuda_templateIfEESt5tupleIJNSF_6TensorESK_SK_EERKSK_lbbbEUlllE0_EEPmJS9_EEE10hipError_tPvRmT3_T4_T5_T6_T7_T9_mT8_P12ihipStream_tbDpT10_ENKUlT_T0_E_clISt17integral_constantIbLb1EES19_IbLb0EEEEDaS15_S16_EUlS15_E_NS1_11comp_targetILNS1_3genE9ELNS1_11target_archE1100ELNS1_3gpuE3ELNS1_3repE0EEENS1_30default_config_static_selectorELNS0_4arch9wavefront6targetE0EEEvT1_.kd
    .uniform_work_group_size: 1
    .uses_dynamic_stack: false
    .vgpr_count:     68
    .vgpr_spill_count: 0
    .wavefront_size: 32
    .workgroup_processor_mode: 1
  - .args:
      - .offset:         0
        .size:           120
        .value_kind:     by_value
    .group_segment_fixed_size: 0
    .kernarg_segment_align: 8
    .kernarg_segment_size: 120
    .language:       OpenCL C
    .language_version:
      - 2
      - 0
    .max_flat_workgroup_size: 512
    .name:           _ZN7rocprim17ROCPRIM_400000_NS6detail17trampoline_kernelINS0_14default_configENS1_25partition_config_selectorILNS1_17partition_subalgoE9EllbEEZZNS1_14partition_implILS5_9ELb0ES3_jPlS8_PNS0_10empty_typeENS0_5tupleIJS8_S9_EEENSB_IJS8_SA_EEENS0_18inequality_wrapperIZN2at6native12_GLOBAL__N_124unique_dim_cuda_templateIfEESt5tupleIJNSF_6TensorESK_SK_EERKSK_lbbbEUlllE0_EEPmJS9_EEE10hipError_tPvRmT3_T4_T5_T6_T7_T9_mT8_P12ihipStream_tbDpT10_ENKUlT_T0_E_clISt17integral_constantIbLb1EES19_IbLb0EEEEDaS15_S16_EUlS15_E_NS1_11comp_targetILNS1_3genE8ELNS1_11target_archE1030ELNS1_3gpuE2ELNS1_3repE0EEENS1_30default_config_static_selectorELNS0_4arch9wavefront6targetE0EEEvT1_
    .private_segment_fixed_size: 0
    .sgpr_count:     0
    .sgpr_spill_count: 0
    .symbol:         _ZN7rocprim17ROCPRIM_400000_NS6detail17trampoline_kernelINS0_14default_configENS1_25partition_config_selectorILNS1_17partition_subalgoE9EllbEEZZNS1_14partition_implILS5_9ELb0ES3_jPlS8_PNS0_10empty_typeENS0_5tupleIJS8_S9_EEENSB_IJS8_SA_EEENS0_18inequality_wrapperIZN2at6native12_GLOBAL__N_124unique_dim_cuda_templateIfEESt5tupleIJNSF_6TensorESK_SK_EERKSK_lbbbEUlllE0_EEPmJS9_EEE10hipError_tPvRmT3_T4_T5_T6_T7_T9_mT8_P12ihipStream_tbDpT10_ENKUlT_T0_E_clISt17integral_constantIbLb1EES19_IbLb0EEEEDaS15_S16_EUlS15_E_NS1_11comp_targetILNS1_3genE8ELNS1_11target_archE1030ELNS1_3gpuE2ELNS1_3repE0EEENS1_30default_config_static_selectorELNS0_4arch9wavefront6targetE0EEEvT1_.kd
    .uniform_work_group_size: 1
    .uses_dynamic_stack: false
    .vgpr_count:     0
    .vgpr_spill_count: 0
    .wavefront_size: 32
    .workgroup_processor_mode: 1
  - .args:
      - .offset:         0
        .size:           136
        .value_kind:     by_value
    .group_segment_fixed_size: 0
    .kernarg_segment_align: 8
    .kernarg_segment_size: 136
    .language:       OpenCL C
    .language_version:
      - 2
      - 0
    .max_flat_workgroup_size: 128
    .name:           _ZN7rocprim17ROCPRIM_400000_NS6detail17trampoline_kernelINS0_14default_configENS1_25partition_config_selectorILNS1_17partition_subalgoE9EllbEEZZNS1_14partition_implILS5_9ELb0ES3_jPlS8_PNS0_10empty_typeENS0_5tupleIJS8_S9_EEENSB_IJS8_SA_EEENS0_18inequality_wrapperIZN2at6native12_GLOBAL__N_124unique_dim_cuda_templateIfEESt5tupleIJNSF_6TensorESK_SK_EERKSK_lbbbEUlllE0_EEPmJS9_EEE10hipError_tPvRmT3_T4_T5_T6_T7_T9_mT8_P12ihipStream_tbDpT10_ENKUlT_T0_E_clISt17integral_constantIbLb0EES19_IbLb1EEEEDaS15_S16_EUlS15_E_NS1_11comp_targetILNS1_3genE0ELNS1_11target_archE4294967295ELNS1_3gpuE0ELNS1_3repE0EEENS1_30default_config_static_selectorELNS0_4arch9wavefront6targetE0EEEvT1_
    .private_segment_fixed_size: 0
    .sgpr_count:     0
    .sgpr_spill_count: 0
    .symbol:         _ZN7rocprim17ROCPRIM_400000_NS6detail17trampoline_kernelINS0_14default_configENS1_25partition_config_selectorILNS1_17partition_subalgoE9EllbEEZZNS1_14partition_implILS5_9ELb0ES3_jPlS8_PNS0_10empty_typeENS0_5tupleIJS8_S9_EEENSB_IJS8_SA_EEENS0_18inequality_wrapperIZN2at6native12_GLOBAL__N_124unique_dim_cuda_templateIfEESt5tupleIJNSF_6TensorESK_SK_EERKSK_lbbbEUlllE0_EEPmJS9_EEE10hipError_tPvRmT3_T4_T5_T6_T7_T9_mT8_P12ihipStream_tbDpT10_ENKUlT_T0_E_clISt17integral_constantIbLb0EES19_IbLb1EEEEDaS15_S16_EUlS15_E_NS1_11comp_targetILNS1_3genE0ELNS1_11target_archE4294967295ELNS1_3gpuE0ELNS1_3repE0EEENS1_30default_config_static_selectorELNS0_4arch9wavefront6targetE0EEEvT1_.kd
    .uniform_work_group_size: 1
    .uses_dynamic_stack: false
    .vgpr_count:     0
    .vgpr_spill_count: 0
    .wavefront_size: 32
    .workgroup_processor_mode: 1
  - .args:
      - .offset:         0
        .size:           136
        .value_kind:     by_value
    .group_segment_fixed_size: 0
    .kernarg_segment_align: 8
    .kernarg_segment_size: 136
    .language:       OpenCL C
    .language_version:
      - 2
      - 0
    .max_flat_workgroup_size: 512
    .name:           _ZN7rocprim17ROCPRIM_400000_NS6detail17trampoline_kernelINS0_14default_configENS1_25partition_config_selectorILNS1_17partition_subalgoE9EllbEEZZNS1_14partition_implILS5_9ELb0ES3_jPlS8_PNS0_10empty_typeENS0_5tupleIJS8_S9_EEENSB_IJS8_SA_EEENS0_18inequality_wrapperIZN2at6native12_GLOBAL__N_124unique_dim_cuda_templateIfEESt5tupleIJNSF_6TensorESK_SK_EERKSK_lbbbEUlllE0_EEPmJS9_EEE10hipError_tPvRmT3_T4_T5_T6_T7_T9_mT8_P12ihipStream_tbDpT10_ENKUlT_T0_E_clISt17integral_constantIbLb0EES19_IbLb1EEEEDaS15_S16_EUlS15_E_NS1_11comp_targetILNS1_3genE5ELNS1_11target_archE942ELNS1_3gpuE9ELNS1_3repE0EEENS1_30default_config_static_selectorELNS0_4arch9wavefront6targetE0EEEvT1_
    .private_segment_fixed_size: 0
    .sgpr_count:     0
    .sgpr_spill_count: 0
    .symbol:         _ZN7rocprim17ROCPRIM_400000_NS6detail17trampoline_kernelINS0_14default_configENS1_25partition_config_selectorILNS1_17partition_subalgoE9EllbEEZZNS1_14partition_implILS5_9ELb0ES3_jPlS8_PNS0_10empty_typeENS0_5tupleIJS8_S9_EEENSB_IJS8_SA_EEENS0_18inequality_wrapperIZN2at6native12_GLOBAL__N_124unique_dim_cuda_templateIfEESt5tupleIJNSF_6TensorESK_SK_EERKSK_lbbbEUlllE0_EEPmJS9_EEE10hipError_tPvRmT3_T4_T5_T6_T7_T9_mT8_P12ihipStream_tbDpT10_ENKUlT_T0_E_clISt17integral_constantIbLb0EES19_IbLb1EEEEDaS15_S16_EUlS15_E_NS1_11comp_targetILNS1_3genE5ELNS1_11target_archE942ELNS1_3gpuE9ELNS1_3repE0EEENS1_30default_config_static_selectorELNS0_4arch9wavefront6targetE0EEEvT1_.kd
    .uniform_work_group_size: 1
    .uses_dynamic_stack: false
    .vgpr_count:     0
    .vgpr_spill_count: 0
    .wavefront_size: 32
    .workgroup_processor_mode: 1
  - .args:
      - .offset:         0
        .size:           136
        .value_kind:     by_value
    .group_segment_fixed_size: 0
    .kernarg_segment_align: 8
    .kernarg_segment_size: 136
    .language:       OpenCL C
    .language_version:
      - 2
      - 0
    .max_flat_workgroup_size: 128
    .name:           _ZN7rocprim17ROCPRIM_400000_NS6detail17trampoline_kernelINS0_14default_configENS1_25partition_config_selectorILNS1_17partition_subalgoE9EllbEEZZNS1_14partition_implILS5_9ELb0ES3_jPlS8_PNS0_10empty_typeENS0_5tupleIJS8_S9_EEENSB_IJS8_SA_EEENS0_18inequality_wrapperIZN2at6native12_GLOBAL__N_124unique_dim_cuda_templateIfEESt5tupleIJNSF_6TensorESK_SK_EERKSK_lbbbEUlllE0_EEPmJS9_EEE10hipError_tPvRmT3_T4_T5_T6_T7_T9_mT8_P12ihipStream_tbDpT10_ENKUlT_T0_E_clISt17integral_constantIbLb0EES19_IbLb1EEEEDaS15_S16_EUlS15_E_NS1_11comp_targetILNS1_3genE4ELNS1_11target_archE910ELNS1_3gpuE8ELNS1_3repE0EEENS1_30default_config_static_selectorELNS0_4arch9wavefront6targetE0EEEvT1_
    .private_segment_fixed_size: 0
    .sgpr_count:     0
    .sgpr_spill_count: 0
    .symbol:         _ZN7rocprim17ROCPRIM_400000_NS6detail17trampoline_kernelINS0_14default_configENS1_25partition_config_selectorILNS1_17partition_subalgoE9EllbEEZZNS1_14partition_implILS5_9ELb0ES3_jPlS8_PNS0_10empty_typeENS0_5tupleIJS8_S9_EEENSB_IJS8_SA_EEENS0_18inequality_wrapperIZN2at6native12_GLOBAL__N_124unique_dim_cuda_templateIfEESt5tupleIJNSF_6TensorESK_SK_EERKSK_lbbbEUlllE0_EEPmJS9_EEE10hipError_tPvRmT3_T4_T5_T6_T7_T9_mT8_P12ihipStream_tbDpT10_ENKUlT_T0_E_clISt17integral_constantIbLb0EES19_IbLb1EEEEDaS15_S16_EUlS15_E_NS1_11comp_targetILNS1_3genE4ELNS1_11target_archE910ELNS1_3gpuE8ELNS1_3repE0EEENS1_30default_config_static_selectorELNS0_4arch9wavefront6targetE0EEEvT1_.kd
    .uniform_work_group_size: 1
    .uses_dynamic_stack: false
    .vgpr_count:     0
    .vgpr_spill_count: 0
    .wavefront_size: 32
    .workgroup_processor_mode: 1
  - .args:
      - .offset:         0
        .size:           136
        .value_kind:     by_value
    .group_segment_fixed_size: 0
    .kernarg_segment_align: 8
    .kernarg_segment_size: 136
    .language:       OpenCL C
    .language_version:
      - 2
      - 0
    .max_flat_workgroup_size: 128
    .name:           _ZN7rocprim17ROCPRIM_400000_NS6detail17trampoline_kernelINS0_14default_configENS1_25partition_config_selectorILNS1_17partition_subalgoE9EllbEEZZNS1_14partition_implILS5_9ELb0ES3_jPlS8_PNS0_10empty_typeENS0_5tupleIJS8_S9_EEENSB_IJS8_SA_EEENS0_18inequality_wrapperIZN2at6native12_GLOBAL__N_124unique_dim_cuda_templateIfEESt5tupleIJNSF_6TensorESK_SK_EERKSK_lbbbEUlllE0_EEPmJS9_EEE10hipError_tPvRmT3_T4_T5_T6_T7_T9_mT8_P12ihipStream_tbDpT10_ENKUlT_T0_E_clISt17integral_constantIbLb0EES19_IbLb1EEEEDaS15_S16_EUlS15_E_NS1_11comp_targetILNS1_3genE3ELNS1_11target_archE908ELNS1_3gpuE7ELNS1_3repE0EEENS1_30default_config_static_selectorELNS0_4arch9wavefront6targetE0EEEvT1_
    .private_segment_fixed_size: 0
    .sgpr_count:     0
    .sgpr_spill_count: 0
    .symbol:         _ZN7rocprim17ROCPRIM_400000_NS6detail17trampoline_kernelINS0_14default_configENS1_25partition_config_selectorILNS1_17partition_subalgoE9EllbEEZZNS1_14partition_implILS5_9ELb0ES3_jPlS8_PNS0_10empty_typeENS0_5tupleIJS8_S9_EEENSB_IJS8_SA_EEENS0_18inequality_wrapperIZN2at6native12_GLOBAL__N_124unique_dim_cuda_templateIfEESt5tupleIJNSF_6TensorESK_SK_EERKSK_lbbbEUlllE0_EEPmJS9_EEE10hipError_tPvRmT3_T4_T5_T6_T7_T9_mT8_P12ihipStream_tbDpT10_ENKUlT_T0_E_clISt17integral_constantIbLb0EES19_IbLb1EEEEDaS15_S16_EUlS15_E_NS1_11comp_targetILNS1_3genE3ELNS1_11target_archE908ELNS1_3gpuE7ELNS1_3repE0EEENS1_30default_config_static_selectorELNS0_4arch9wavefront6targetE0EEEvT1_.kd
    .uniform_work_group_size: 1
    .uses_dynamic_stack: false
    .vgpr_count:     0
    .vgpr_spill_count: 0
    .wavefront_size: 32
    .workgroup_processor_mode: 1
  - .args:
      - .offset:         0
        .size:           136
        .value_kind:     by_value
    .group_segment_fixed_size: 0
    .kernarg_segment_align: 8
    .kernarg_segment_size: 136
    .language:       OpenCL C
    .language_version:
      - 2
      - 0
    .max_flat_workgroup_size: 192
    .name:           _ZN7rocprim17ROCPRIM_400000_NS6detail17trampoline_kernelINS0_14default_configENS1_25partition_config_selectorILNS1_17partition_subalgoE9EllbEEZZNS1_14partition_implILS5_9ELb0ES3_jPlS8_PNS0_10empty_typeENS0_5tupleIJS8_S9_EEENSB_IJS8_SA_EEENS0_18inequality_wrapperIZN2at6native12_GLOBAL__N_124unique_dim_cuda_templateIfEESt5tupleIJNSF_6TensorESK_SK_EERKSK_lbbbEUlllE0_EEPmJS9_EEE10hipError_tPvRmT3_T4_T5_T6_T7_T9_mT8_P12ihipStream_tbDpT10_ENKUlT_T0_E_clISt17integral_constantIbLb0EES19_IbLb1EEEEDaS15_S16_EUlS15_E_NS1_11comp_targetILNS1_3genE2ELNS1_11target_archE906ELNS1_3gpuE6ELNS1_3repE0EEENS1_30default_config_static_selectorELNS0_4arch9wavefront6targetE0EEEvT1_
    .private_segment_fixed_size: 0
    .sgpr_count:     0
    .sgpr_spill_count: 0
    .symbol:         _ZN7rocprim17ROCPRIM_400000_NS6detail17trampoline_kernelINS0_14default_configENS1_25partition_config_selectorILNS1_17partition_subalgoE9EllbEEZZNS1_14partition_implILS5_9ELb0ES3_jPlS8_PNS0_10empty_typeENS0_5tupleIJS8_S9_EEENSB_IJS8_SA_EEENS0_18inequality_wrapperIZN2at6native12_GLOBAL__N_124unique_dim_cuda_templateIfEESt5tupleIJNSF_6TensorESK_SK_EERKSK_lbbbEUlllE0_EEPmJS9_EEE10hipError_tPvRmT3_T4_T5_T6_T7_T9_mT8_P12ihipStream_tbDpT10_ENKUlT_T0_E_clISt17integral_constantIbLb0EES19_IbLb1EEEEDaS15_S16_EUlS15_E_NS1_11comp_targetILNS1_3genE2ELNS1_11target_archE906ELNS1_3gpuE6ELNS1_3repE0EEENS1_30default_config_static_selectorELNS0_4arch9wavefront6targetE0EEEvT1_.kd
    .uniform_work_group_size: 1
    .uses_dynamic_stack: false
    .vgpr_count:     0
    .vgpr_spill_count: 0
    .wavefront_size: 32
    .workgroup_processor_mode: 1
  - .args:
      - .offset:         0
        .size:           136
        .value_kind:     by_value
    .group_segment_fixed_size: 0
    .kernarg_segment_align: 8
    .kernarg_segment_size: 136
    .language:       OpenCL C
    .language_version:
      - 2
      - 0
    .max_flat_workgroup_size: 384
    .name:           _ZN7rocprim17ROCPRIM_400000_NS6detail17trampoline_kernelINS0_14default_configENS1_25partition_config_selectorILNS1_17partition_subalgoE9EllbEEZZNS1_14partition_implILS5_9ELb0ES3_jPlS8_PNS0_10empty_typeENS0_5tupleIJS8_S9_EEENSB_IJS8_SA_EEENS0_18inequality_wrapperIZN2at6native12_GLOBAL__N_124unique_dim_cuda_templateIfEESt5tupleIJNSF_6TensorESK_SK_EERKSK_lbbbEUlllE0_EEPmJS9_EEE10hipError_tPvRmT3_T4_T5_T6_T7_T9_mT8_P12ihipStream_tbDpT10_ENKUlT_T0_E_clISt17integral_constantIbLb0EES19_IbLb1EEEEDaS15_S16_EUlS15_E_NS1_11comp_targetILNS1_3genE10ELNS1_11target_archE1200ELNS1_3gpuE4ELNS1_3repE0EEENS1_30default_config_static_selectorELNS0_4arch9wavefront6targetE0EEEvT1_
    .private_segment_fixed_size: 0
    .sgpr_count:     0
    .sgpr_spill_count: 0
    .symbol:         _ZN7rocprim17ROCPRIM_400000_NS6detail17trampoline_kernelINS0_14default_configENS1_25partition_config_selectorILNS1_17partition_subalgoE9EllbEEZZNS1_14partition_implILS5_9ELb0ES3_jPlS8_PNS0_10empty_typeENS0_5tupleIJS8_S9_EEENSB_IJS8_SA_EEENS0_18inequality_wrapperIZN2at6native12_GLOBAL__N_124unique_dim_cuda_templateIfEESt5tupleIJNSF_6TensorESK_SK_EERKSK_lbbbEUlllE0_EEPmJS9_EEE10hipError_tPvRmT3_T4_T5_T6_T7_T9_mT8_P12ihipStream_tbDpT10_ENKUlT_T0_E_clISt17integral_constantIbLb0EES19_IbLb1EEEEDaS15_S16_EUlS15_E_NS1_11comp_targetILNS1_3genE10ELNS1_11target_archE1200ELNS1_3gpuE4ELNS1_3repE0EEENS1_30default_config_static_selectorELNS0_4arch9wavefront6targetE0EEEvT1_.kd
    .uniform_work_group_size: 1
    .uses_dynamic_stack: false
    .vgpr_count:     0
    .vgpr_spill_count: 0
    .wavefront_size: 32
    .workgroup_processor_mode: 1
  - .args:
      - .offset:         0
        .size:           136
        .value_kind:     by_value
    .group_segment_fixed_size: 33804
    .kernarg_segment_align: 8
    .kernarg_segment_size: 136
    .language:       OpenCL C
    .language_version:
      - 2
      - 0
    .max_flat_workgroup_size: 512
    .name:           _ZN7rocprim17ROCPRIM_400000_NS6detail17trampoline_kernelINS0_14default_configENS1_25partition_config_selectorILNS1_17partition_subalgoE9EllbEEZZNS1_14partition_implILS5_9ELb0ES3_jPlS8_PNS0_10empty_typeENS0_5tupleIJS8_S9_EEENSB_IJS8_SA_EEENS0_18inequality_wrapperIZN2at6native12_GLOBAL__N_124unique_dim_cuda_templateIfEESt5tupleIJNSF_6TensorESK_SK_EERKSK_lbbbEUlllE0_EEPmJS9_EEE10hipError_tPvRmT3_T4_T5_T6_T7_T9_mT8_P12ihipStream_tbDpT10_ENKUlT_T0_E_clISt17integral_constantIbLb0EES19_IbLb1EEEEDaS15_S16_EUlS15_E_NS1_11comp_targetILNS1_3genE9ELNS1_11target_archE1100ELNS1_3gpuE3ELNS1_3repE0EEENS1_30default_config_static_selectorELNS0_4arch9wavefront6targetE0EEEvT1_
    .private_segment_fixed_size: 0
    .sgpr_count:     42
    .sgpr_spill_count: 0
    .symbol:         _ZN7rocprim17ROCPRIM_400000_NS6detail17trampoline_kernelINS0_14default_configENS1_25partition_config_selectorILNS1_17partition_subalgoE9EllbEEZZNS1_14partition_implILS5_9ELb0ES3_jPlS8_PNS0_10empty_typeENS0_5tupleIJS8_S9_EEENSB_IJS8_SA_EEENS0_18inequality_wrapperIZN2at6native12_GLOBAL__N_124unique_dim_cuda_templateIfEESt5tupleIJNSF_6TensorESK_SK_EERKSK_lbbbEUlllE0_EEPmJS9_EEE10hipError_tPvRmT3_T4_T5_T6_T7_T9_mT8_P12ihipStream_tbDpT10_ENKUlT_T0_E_clISt17integral_constantIbLb0EES19_IbLb1EEEEDaS15_S16_EUlS15_E_NS1_11comp_targetILNS1_3genE9ELNS1_11target_archE1100ELNS1_3gpuE3ELNS1_3repE0EEENS1_30default_config_static_selectorELNS0_4arch9wavefront6targetE0EEEvT1_.kd
    .uniform_work_group_size: 1
    .uses_dynamic_stack: false
    .vgpr_count:     68
    .vgpr_spill_count: 0
    .wavefront_size: 32
    .workgroup_processor_mode: 1
  - .args:
      - .offset:         0
        .size:           136
        .value_kind:     by_value
    .group_segment_fixed_size: 0
    .kernarg_segment_align: 8
    .kernarg_segment_size: 136
    .language:       OpenCL C
    .language_version:
      - 2
      - 0
    .max_flat_workgroup_size: 512
    .name:           _ZN7rocprim17ROCPRIM_400000_NS6detail17trampoline_kernelINS0_14default_configENS1_25partition_config_selectorILNS1_17partition_subalgoE9EllbEEZZNS1_14partition_implILS5_9ELb0ES3_jPlS8_PNS0_10empty_typeENS0_5tupleIJS8_S9_EEENSB_IJS8_SA_EEENS0_18inequality_wrapperIZN2at6native12_GLOBAL__N_124unique_dim_cuda_templateIfEESt5tupleIJNSF_6TensorESK_SK_EERKSK_lbbbEUlllE0_EEPmJS9_EEE10hipError_tPvRmT3_T4_T5_T6_T7_T9_mT8_P12ihipStream_tbDpT10_ENKUlT_T0_E_clISt17integral_constantIbLb0EES19_IbLb1EEEEDaS15_S16_EUlS15_E_NS1_11comp_targetILNS1_3genE8ELNS1_11target_archE1030ELNS1_3gpuE2ELNS1_3repE0EEENS1_30default_config_static_selectorELNS0_4arch9wavefront6targetE0EEEvT1_
    .private_segment_fixed_size: 0
    .sgpr_count:     0
    .sgpr_spill_count: 0
    .symbol:         _ZN7rocprim17ROCPRIM_400000_NS6detail17trampoline_kernelINS0_14default_configENS1_25partition_config_selectorILNS1_17partition_subalgoE9EllbEEZZNS1_14partition_implILS5_9ELb0ES3_jPlS8_PNS0_10empty_typeENS0_5tupleIJS8_S9_EEENSB_IJS8_SA_EEENS0_18inequality_wrapperIZN2at6native12_GLOBAL__N_124unique_dim_cuda_templateIfEESt5tupleIJNSF_6TensorESK_SK_EERKSK_lbbbEUlllE0_EEPmJS9_EEE10hipError_tPvRmT3_T4_T5_T6_T7_T9_mT8_P12ihipStream_tbDpT10_ENKUlT_T0_E_clISt17integral_constantIbLb0EES19_IbLb1EEEEDaS15_S16_EUlS15_E_NS1_11comp_targetILNS1_3genE8ELNS1_11target_archE1030ELNS1_3gpuE2ELNS1_3repE0EEENS1_30default_config_static_selectorELNS0_4arch9wavefront6targetE0EEEvT1_.kd
    .uniform_work_group_size: 1
    .uses_dynamic_stack: false
    .vgpr_count:     0
    .vgpr_spill_count: 0
    .wavefront_size: 32
    .workgroup_processor_mode: 1
  - .args:
      - .offset:         0
        .size:           72
        .value_kind:     by_value
    .group_segment_fixed_size: 0
    .kernarg_segment_align: 8
    .kernarg_segment_size: 72
    .language:       OpenCL C
    .language_version:
      - 2
      - 0
    .max_flat_workgroup_size: 256
    .name:           _ZN7rocprim17ROCPRIM_400000_NS6detail17trampoline_kernelINS0_14default_configENS1_37merge_sort_block_sort_config_selectorIlNS0_10empty_typeEEEZNS1_21merge_sort_block_sortIS3_PlS8_PS5_S9_ZN2at6native12_GLOBAL__N_124unique_dim_cuda_templateIbEESt5tupleIJNSA_6TensorESF_SF_EERKSF_lbbbEUlllE_EE10hipError_tT0_T1_T2_T3_mRjT4_P12ihipStream_tbNS1_7vsmem_tEEUlT_E_NS1_11comp_targetILNS1_3genE0ELNS1_11target_archE4294967295ELNS1_3gpuE0ELNS1_3repE0EEENS1_30default_config_static_selectorELNS0_4arch9wavefront6targetE0EEEvSM_
    .private_segment_fixed_size: 0
    .sgpr_count:     0
    .sgpr_spill_count: 0
    .symbol:         _ZN7rocprim17ROCPRIM_400000_NS6detail17trampoline_kernelINS0_14default_configENS1_37merge_sort_block_sort_config_selectorIlNS0_10empty_typeEEEZNS1_21merge_sort_block_sortIS3_PlS8_PS5_S9_ZN2at6native12_GLOBAL__N_124unique_dim_cuda_templateIbEESt5tupleIJNSA_6TensorESF_SF_EERKSF_lbbbEUlllE_EE10hipError_tT0_T1_T2_T3_mRjT4_P12ihipStream_tbNS1_7vsmem_tEEUlT_E_NS1_11comp_targetILNS1_3genE0ELNS1_11target_archE4294967295ELNS1_3gpuE0ELNS1_3repE0EEENS1_30default_config_static_selectorELNS0_4arch9wavefront6targetE0EEEvSM_.kd
    .uniform_work_group_size: 1
    .uses_dynamic_stack: false
    .vgpr_count:     0
    .vgpr_spill_count: 0
    .wavefront_size: 32
    .workgroup_processor_mode: 1
  - .args:
      - .offset:         0
        .size:           72
        .value_kind:     by_value
    .group_segment_fixed_size: 0
    .kernarg_segment_align: 8
    .kernarg_segment_size: 72
    .language:       OpenCL C
    .language_version:
      - 2
      - 0
    .max_flat_workgroup_size: 256
    .name:           _ZN7rocprim17ROCPRIM_400000_NS6detail17trampoline_kernelINS0_14default_configENS1_37merge_sort_block_sort_config_selectorIlNS0_10empty_typeEEEZNS1_21merge_sort_block_sortIS3_PlS8_PS5_S9_ZN2at6native12_GLOBAL__N_124unique_dim_cuda_templateIbEESt5tupleIJNSA_6TensorESF_SF_EERKSF_lbbbEUlllE_EE10hipError_tT0_T1_T2_T3_mRjT4_P12ihipStream_tbNS1_7vsmem_tEEUlT_E_NS1_11comp_targetILNS1_3genE5ELNS1_11target_archE942ELNS1_3gpuE9ELNS1_3repE0EEENS1_30default_config_static_selectorELNS0_4arch9wavefront6targetE0EEEvSM_
    .private_segment_fixed_size: 0
    .sgpr_count:     0
    .sgpr_spill_count: 0
    .symbol:         _ZN7rocprim17ROCPRIM_400000_NS6detail17trampoline_kernelINS0_14default_configENS1_37merge_sort_block_sort_config_selectorIlNS0_10empty_typeEEEZNS1_21merge_sort_block_sortIS3_PlS8_PS5_S9_ZN2at6native12_GLOBAL__N_124unique_dim_cuda_templateIbEESt5tupleIJNSA_6TensorESF_SF_EERKSF_lbbbEUlllE_EE10hipError_tT0_T1_T2_T3_mRjT4_P12ihipStream_tbNS1_7vsmem_tEEUlT_E_NS1_11comp_targetILNS1_3genE5ELNS1_11target_archE942ELNS1_3gpuE9ELNS1_3repE0EEENS1_30default_config_static_selectorELNS0_4arch9wavefront6targetE0EEEvSM_.kd
    .uniform_work_group_size: 1
    .uses_dynamic_stack: false
    .vgpr_count:     0
    .vgpr_spill_count: 0
    .wavefront_size: 32
    .workgroup_processor_mode: 1
  - .args:
      - .offset:         0
        .size:           72
        .value_kind:     by_value
    .group_segment_fixed_size: 0
    .kernarg_segment_align: 8
    .kernarg_segment_size: 72
    .language:       OpenCL C
    .language_version:
      - 2
      - 0
    .max_flat_workgroup_size: 256
    .name:           _ZN7rocprim17ROCPRIM_400000_NS6detail17trampoline_kernelINS0_14default_configENS1_37merge_sort_block_sort_config_selectorIlNS0_10empty_typeEEEZNS1_21merge_sort_block_sortIS3_PlS8_PS5_S9_ZN2at6native12_GLOBAL__N_124unique_dim_cuda_templateIbEESt5tupleIJNSA_6TensorESF_SF_EERKSF_lbbbEUlllE_EE10hipError_tT0_T1_T2_T3_mRjT4_P12ihipStream_tbNS1_7vsmem_tEEUlT_E_NS1_11comp_targetILNS1_3genE4ELNS1_11target_archE910ELNS1_3gpuE8ELNS1_3repE0EEENS1_30default_config_static_selectorELNS0_4arch9wavefront6targetE0EEEvSM_
    .private_segment_fixed_size: 0
    .sgpr_count:     0
    .sgpr_spill_count: 0
    .symbol:         _ZN7rocprim17ROCPRIM_400000_NS6detail17trampoline_kernelINS0_14default_configENS1_37merge_sort_block_sort_config_selectorIlNS0_10empty_typeEEEZNS1_21merge_sort_block_sortIS3_PlS8_PS5_S9_ZN2at6native12_GLOBAL__N_124unique_dim_cuda_templateIbEESt5tupleIJNSA_6TensorESF_SF_EERKSF_lbbbEUlllE_EE10hipError_tT0_T1_T2_T3_mRjT4_P12ihipStream_tbNS1_7vsmem_tEEUlT_E_NS1_11comp_targetILNS1_3genE4ELNS1_11target_archE910ELNS1_3gpuE8ELNS1_3repE0EEENS1_30default_config_static_selectorELNS0_4arch9wavefront6targetE0EEEvSM_.kd
    .uniform_work_group_size: 1
    .uses_dynamic_stack: false
    .vgpr_count:     0
    .vgpr_spill_count: 0
    .wavefront_size: 32
    .workgroup_processor_mode: 1
  - .args:
      - .offset:         0
        .size:           72
        .value_kind:     by_value
    .group_segment_fixed_size: 0
    .kernarg_segment_align: 8
    .kernarg_segment_size: 72
    .language:       OpenCL C
    .language_version:
      - 2
      - 0
    .max_flat_workgroup_size: 256
    .name:           _ZN7rocprim17ROCPRIM_400000_NS6detail17trampoline_kernelINS0_14default_configENS1_37merge_sort_block_sort_config_selectorIlNS0_10empty_typeEEEZNS1_21merge_sort_block_sortIS3_PlS8_PS5_S9_ZN2at6native12_GLOBAL__N_124unique_dim_cuda_templateIbEESt5tupleIJNSA_6TensorESF_SF_EERKSF_lbbbEUlllE_EE10hipError_tT0_T1_T2_T3_mRjT4_P12ihipStream_tbNS1_7vsmem_tEEUlT_E_NS1_11comp_targetILNS1_3genE3ELNS1_11target_archE908ELNS1_3gpuE7ELNS1_3repE0EEENS1_30default_config_static_selectorELNS0_4arch9wavefront6targetE0EEEvSM_
    .private_segment_fixed_size: 0
    .sgpr_count:     0
    .sgpr_spill_count: 0
    .symbol:         _ZN7rocprim17ROCPRIM_400000_NS6detail17trampoline_kernelINS0_14default_configENS1_37merge_sort_block_sort_config_selectorIlNS0_10empty_typeEEEZNS1_21merge_sort_block_sortIS3_PlS8_PS5_S9_ZN2at6native12_GLOBAL__N_124unique_dim_cuda_templateIbEESt5tupleIJNSA_6TensorESF_SF_EERKSF_lbbbEUlllE_EE10hipError_tT0_T1_T2_T3_mRjT4_P12ihipStream_tbNS1_7vsmem_tEEUlT_E_NS1_11comp_targetILNS1_3genE3ELNS1_11target_archE908ELNS1_3gpuE7ELNS1_3repE0EEENS1_30default_config_static_selectorELNS0_4arch9wavefront6targetE0EEEvSM_.kd
    .uniform_work_group_size: 1
    .uses_dynamic_stack: false
    .vgpr_count:     0
    .vgpr_spill_count: 0
    .wavefront_size: 32
    .workgroup_processor_mode: 1
  - .args:
      - .offset:         0
        .size:           72
        .value_kind:     by_value
    .group_segment_fixed_size: 0
    .kernarg_segment_align: 8
    .kernarg_segment_size: 72
    .language:       OpenCL C
    .language_version:
      - 2
      - 0
    .max_flat_workgroup_size: 256
    .name:           _ZN7rocprim17ROCPRIM_400000_NS6detail17trampoline_kernelINS0_14default_configENS1_37merge_sort_block_sort_config_selectorIlNS0_10empty_typeEEEZNS1_21merge_sort_block_sortIS3_PlS8_PS5_S9_ZN2at6native12_GLOBAL__N_124unique_dim_cuda_templateIbEESt5tupleIJNSA_6TensorESF_SF_EERKSF_lbbbEUlllE_EE10hipError_tT0_T1_T2_T3_mRjT4_P12ihipStream_tbNS1_7vsmem_tEEUlT_E_NS1_11comp_targetILNS1_3genE2ELNS1_11target_archE906ELNS1_3gpuE6ELNS1_3repE0EEENS1_30default_config_static_selectorELNS0_4arch9wavefront6targetE0EEEvSM_
    .private_segment_fixed_size: 0
    .sgpr_count:     0
    .sgpr_spill_count: 0
    .symbol:         _ZN7rocprim17ROCPRIM_400000_NS6detail17trampoline_kernelINS0_14default_configENS1_37merge_sort_block_sort_config_selectorIlNS0_10empty_typeEEEZNS1_21merge_sort_block_sortIS3_PlS8_PS5_S9_ZN2at6native12_GLOBAL__N_124unique_dim_cuda_templateIbEESt5tupleIJNSA_6TensorESF_SF_EERKSF_lbbbEUlllE_EE10hipError_tT0_T1_T2_T3_mRjT4_P12ihipStream_tbNS1_7vsmem_tEEUlT_E_NS1_11comp_targetILNS1_3genE2ELNS1_11target_archE906ELNS1_3gpuE6ELNS1_3repE0EEENS1_30default_config_static_selectorELNS0_4arch9wavefront6targetE0EEEvSM_.kd
    .uniform_work_group_size: 1
    .uses_dynamic_stack: false
    .vgpr_count:     0
    .vgpr_spill_count: 0
    .wavefront_size: 32
    .workgroup_processor_mode: 1
  - .args:
      - .offset:         0
        .size:           72
        .value_kind:     by_value
    .group_segment_fixed_size: 0
    .kernarg_segment_align: 8
    .kernarg_segment_size: 72
    .language:       OpenCL C
    .language_version:
      - 2
      - 0
    .max_flat_workgroup_size: 256
    .name:           _ZN7rocprim17ROCPRIM_400000_NS6detail17trampoline_kernelINS0_14default_configENS1_37merge_sort_block_sort_config_selectorIlNS0_10empty_typeEEEZNS1_21merge_sort_block_sortIS3_PlS8_PS5_S9_ZN2at6native12_GLOBAL__N_124unique_dim_cuda_templateIbEESt5tupleIJNSA_6TensorESF_SF_EERKSF_lbbbEUlllE_EE10hipError_tT0_T1_T2_T3_mRjT4_P12ihipStream_tbNS1_7vsmem_tEEUlT_E_NS1_11comp_targetILNS1_3genE10ELNS1_11target_archE1201ELNS1_3gpuE5ELNS1_3repE0EEENS1_30default_config_static_selectorELNS0_4arch9wavefront6targetE0EEEvSM_
    .private_segment_fixed_size: 0
    .sgpr_count:     0
    .sgpr_spill_count: 0
    .symbol:         _ZN7rocprim17ROCPRIM_400000_NS6detail17trampoline_kernelINS0_14default_configENS1_37merge_sort_block_sort_config_selectorIlNS0_10empty_typeEEEZNS1_21merge_sort_block_sortIS3_PlS8_PS5_S9_ZN2at6native12_GLOBAL__N_124unique_dim_cuda_templateIbEESt5tupleIJNSA_6TensorESF_SF_EERKSF_lbbbEUlllE_EE10hipError_tT0_T1_T2_T3_mRjT4_P12ihipStream_tbNS1_7vsmem_tEEUlT_E_NS1_11comp_targetILNS1_3genE10ELNS1_11target_archE1201ELNS1_3gpuE5ELNS1_3repE0EEENS1_30default_config_static_selectorELNS0_4arch9wavefront6targetE0EEEvSM_.kd
    .uniform_work_group_size: 1
    .uses_dynamic_stack: false
    .vgpr_count:     0
    .vgpr_spill_count: 0
    .wavefront_size: 32
    .workgroup_processor_mode: 1
  - .args:
      - .offset:         0
        .size:           72
        .value_kind:     by_value
    .group_segment_fixed_size: 0
    .kernarg_segment_align: 8
    .kernarg_segment_size: 72
    .language:       OpenCL C
    .language_version:
      - 2
      - 0
    .max_flat_workgroup_size: 512
    .name:           _ZN7rocprim17ROCPRIM_400000_NS6detail17trampoline_kernelINS0_14default_configENS1_37merge_sort_block_sort_config_selectorIlNS0_10empty_typeEEEZNS1_21merge_sort_block_sortIS3_PlS8_PS5_S9_ZN2at6native12_GLOBAL__N_124unique_dim_cuda_templateIbEESt5tupleIJNSA_6TensorESF_SF_EERKSF_lbbbEUlllE_EE10hipError_tT0_T1_T2_T3_mRjT4_P12ihipStream_tbNS1_7vsmem_tEEUlT_E_NS1_11comp_targetILNS1_3genE10ELNS1_11target_archE1200ELNS1_3gpuE4ELNS1_3repE0EEENS1_30default_config_static_selectorELNS0_4arch9wavefront6targetE0EEEvSM_
    .private_segment_fixed_size: 0
    .sgpr_count:     0
    .sgpr_spill_count: 0
    .symbol:         _ZN7rocprim17ROCPRIM_400000_NS6detail17trampoline_kernelINS0_14default_configENS1_37merge_sort_block_sort_config_selectorIlNS0_10empty_typeEEEZNS1_21merge_sort_block_sortIS3_PlS8_PS5_S9_ZN2at6native12_GLOBAL__N_124unique_dim_cuda_templateIbEESt5tupleIJNSA_6TensorESF_SF_EERKSF_lbbbEUlllE_EE10hipError_tT0_T1_T2_T3_mRjT4_P12ihipStream_tbNS1_7vsmem_tEEUlT_E_NS1_11comp_targetILNS1_3genE10ELNS1_11target_archE1200ELNS1_3gpuE4ELNS1_3repE0EEENS1_30default_config_static_selectorELNS0_4arch9wavefront6targetE0EEEvSM_.kd
    .uniform_work_group_size: 1
    .uses_dynamic_stack: false
    .vgpr_count:     0
    .vgpr_spill_count: 0
    .wavefront_size: 32
    .workgroup_processor_mode: 1
  - .args:
      - .offset:         0
        .size:           72
        .value_kind:     by_value
      - .offset:         72
        .size:           4
        .value_kind:     hidden_block_count_x
      - .offset:         76
        .size:           4
        .value_kind:     hidden_block_count_y
      - .offset:         80
        .size:           4
        .value_kind:     hidden_block_count_z
      - .offset:         84
        .size:           2
        .value_kind:     hidden_group_size_x
      - .offset:         86
        .size:           2
        .value_kind:     hidden_group_size_y
      - .offset:         88
        .size:           2
        .value_kind:     hidden_group_size_z
      - .offset:         90
        .size:           2
        .value_kind:     hidden_remainder_x
      - .offset:         92
        .size:           2
        .value_kind:     hidden_remainder_y
      - .offset:         94
        .size:           2
        .value_kind:     hidden_remainder_z
      - .offset:         112
        .size:           8
        .value_kind:     hidden_global_offset_x
      - .offset:         120
        .size:           8
        .value_kind:     hidden_global_offset_y
      - .offset:         128
        .size:           8
        .value_kind:     hidden_global_offset_z
      - .offset:         136
        .size:           2
        .value_kind:     hidden_grid_dims
    .group_segment_fixed_size: 8448
    .kernarg_segment_align: 8
    .kernarg_segment_size: 328
    .language:       OpenCL C
    .language_version:
      - 2
      - 0
    .max_flat_workgroup_size: 256
    .name:           _ZN7rocprim17ROCPRIM_400000_NS6detail17trampoline_kernelINS0_14default_configENS1_37merge_sort_block_sort_config_selectorIlNS0_10empty_typeEEEZNS1_21merge_sort_block_sortIS3_PlS8_PS5_S9_ZN2at6native12_GLOBAL__N_124unique_dim_cuda_templateIbEESt5tupleIJNSA_6TensorESF_SF_EERKSF_lbbbEUlllE_EE10hipError_tT0_T1_T2_T3_mRjT4_P12ihipStream_tbNS1_7vsmem_tEEUlT_E_NS1_11comp_targetILNS1_3genE9ELNS1_11target_archE1100ELNS1_3gpuE3ELNS1_3repE0EEENS1_30default_config_static_selectorELNS0_4arch9wavefront6targetE0EEEvSM_
    .private_segment_fixed_size: 0
    .sgpr_count:     37
    .sgpr_spill_count: 0
    .symbol:         _ZN7rocprim17ROCPRIM_400000_NS6detail17trampoline_kernelINS0_14default_configENS1_37merge_sort_block_sort_config_selectorIlNS0_10empty_typeEEEZNS1_21merge_sort_block_sortIS3_PlS8_PS5_S9_ZN2at6native12_GLOBAL__N_124unique_dim_cuda_templateIbEESt5tupleIJNSA_6TensorESF_SF_EERKSF_lbbbEUlllE_EE10hipError_tT0_T1_T2_T3_mRjT4_P12ihipStream_tbNS1_7vsmem_tEEUlT_E_NS1_11comp_targetILNS1_3genE9ELNS1_11target_archE1100ELNS1_3gpuE3ELNS1_3repE0EEENS1_30default_config_static_selectorELNS0_4arch9wavefront6targetE0EEEvSM_.kd
    .uniform_work_group_size: 1
    .uses_dynamic_stack: false
    .vgpr_count:     47
    .vgpr_spill_count: 0
    .wavefront_size: 32
    .workgroup_processor_mode: 1
  - .args:
      - .offset:         0
        .size:           72
        .value_kind:     by_value
    .group_segment_fixed_size: 0
    .kernarg_segment_align: 8
    .kernarg_segment_size: 72
    .language:       OpenCL C
    .language_version:
      - 2
      - 0
    .max_flat_workgroup_size: 256
    .name:           _ZN7rocprim17ROCPRIM_400000_NS6detail17trampoline_kernelINS0_14default_configENS1_37merge_sort_block_sort_config_selectorIlNS0_10empty_typeEEEZNS1_21merge_sort_block_sortIS3_PlS8_PS5_S9_ZN2at6native12_GLOBAL__N_124unique_dim_cuda_templateIbEESt5tupleIJNSA_6TensorESF_SF_EERKSF_lbbbEUlllE_EE10hipError_tT0_T1_T2_T3_mRjT4_P12ihipStream_tbNS1_7vsmem_tEEUlT_E_NS1_11comp_targetILNS1_3genE8ELNS1_11target_archE1030ELNS1_3gpuE2ELNS1_3repE0EEENS1_30default_config_static_selectorELNS0_4arch9wavefront6targetE0EEEvSM_
    .private_segment_fixed_size: 0
    .sgpr_count:     0
    .sgpr_spill_count: 0
    .symbol:         _ZN7rocprim17ROCPRIM_400000_NS6detail17trampoline_kernelINS0_14default_configENS1_37merge_sort_block_sort_config_selectorIlNS0_10empty_typeEEEZNS1_21merge_sort_block_sortIS3_PlS8_PS5_S9_ZN2at6native12_GLOBAL__N_124unique_dim_cuda_templateIbEESt5tupleIJNSA_6TensorESF_SF_EERKSF_lbbbEUlllE_EE10hipError_tT0_T1_T2_T3_mRjT4_P12ihipStream_tbNS1_7vsmem_tEEUlT_E_NS1_11comp_targetILNS1_3genE8ELNS1_11target_archE1030ELNS1_3gpuE2ELNS1_3repE0EEENS1_30default_config_static_selectorELNS0_4arch9wavefront6targetE0EEEvSM_.kd
    .uniform_work_group_size: 1
    .uses_dynamic_stack: false
    .vgpr_count:     0
    .vgpr_spill_count: 0
    .wavefront_size: 32
    .workgroup_processor_mode: 1
  - .args:
      - .offset:         0
        .size:           56
        .value_kind:     by_value
    .group_segment_fixed_size: 0
    .kernarg_segment_align: 8
    .kernarg_segment_size: 56
    .language:       OpenCL C
    .language_version:
      - 2
      - 0
    .max_flat_workgroup_size: 128
    .name:           _ZN7rocprim17ROCPRIM_400000_NS6detail17trampoline_kernelINS0_14default_configENS1_38merge_sort_block_merge_config_selectorIlNS0_10empty_typeEEEZZNS1_27merge_sort_block_merge_implIS3_PlPS5_mZN2at6native12_GLOBAL__N_124unique_dim_cuda_templateIbEESt5tupleIJNSA_6TensorESF_SF_EERKSF_lbbbEUlllE_EE10hipError_tT0_T1_T2_jT3_P12ihipStream_tbPNSt15iterator_traitsISL_E10value_typeEPNSR_ISM_E10value_typeEPSN_NS1_7vsmem_tEENKUlT_SL_SM_SN_E_clIS8_S8_S9_S9_EESK_S10_SL_SM_SN_EUlS10_E_NS1_11comp_targetILNS1_3genE0ELNS1_11target_archE4294967295ELNS1_3gpuE0ELNS1_3repE0EEENS1_48merge_mergepath_partition_config_static_selectorELNS0_4arch9wavefront6targetE0EEEvSM_
    .private_segment_fixed_size: 0
    .sgpr_count:     0
    .sgpr_spill_count: 0
    .symbol:         _ZN7rocprim17ROCPRIM_400000_NS6detail17trampoline_kernelINS0_14default_configENS1_38merge_sort_block_merge_config_selectorIlNS0_10empty_typeEEEZZNS1_27merge_sort_block_merge_implIS3_PlPS5_mZN2at6native12_GLOBAL__N_124unique_dim_cuda_templateIbEESt5tupleIJNSA_6TensorESF_SF_EERKSF_lbbbEUlllE_EE10hipError_tT0_T1_T2_jT3_P12ihipStream_tbPNSt15iterator_traitsISL_E10value_typeEPNSR_ISM_E10value_typeEPSN_NS1_7vsmem_tEENKUlT_SL_SM_SN_E_clIS8_S8_S9_S9_EESK_S10_SL_SM_SN_EUlS10_E_NS1_11comp_targetILNS1_3genE0ELNS1_11target_archE4294967295ELNS1_3gpuE0ELNS1_3repE0EEENS1_48merge_mergepath_partition_config_static_selectorELNS0_4arch9wavefront6targetE0EEEvSM_.kd
    .uniform_work_group_size: 1
    .uses_dynamic_stack: false
    .vgpr_count:     0
    .vgpr_spill_count: 0
    .wavefront_size: 32
    .workgroup_processor_mode: 1
  - .args:
      - .offset:         0
        .size:           56
        .value_kind:     by_value
    .group_segment_fixed_size: 0
    .kernarg_segment_align: 8
    .kernarg_segment_size: 56
    .language:       OpenCL C
    .language_version:
      - 2
      - 0
    .max_flat_workgroup_size: 128
    .name:           _ZN7rocprim17ROCPRIM_400000_NS6detail17trampoline_kernelINS0_14default_configENS1_38merge_sort_block_merge_config_selectorIlNS0_10empty_typeEEEZZNS1_27merge_sort_block_merge_implIS3_PlPS5_mZN2at6native12_GLOBAL__N_124unique_dim_cuda_templateIbEESt5tupleIJNSA_6TensorESF_SF_EERKSF_lbbbEUlllE_EE10hipError_tT0_T1_T2_jT3_P12ihipStream_tbPNSt15iterator_traitsISL_E10value_typeEPNSR_ISM_E10value_typeEPSN_NS1_7vsmem_tEENKUlT_SL_SM_SN_E_clIS8_S8_S9_S9_EESK_S10_SL_SM_SN_EUlS10_E_NS1_11comp_targetILNS1_3genE10ELNS1_11target_archE1201ELNS1_3gpuE5ELNS1_3repE0EEENS1_48merge_mergepath_partition_config_static_selectorELNS0_4arch9wavefront6targetE0EEEvSM_
    .private_segment_fixed_size: 0
    .sgpr_count:     0
    .sgpr_spill_count: 0
    .symbol:         _ZN7rocprim17ROCPRIM_400000_NS6detail17trampoline_kernelINS0_14default_configENS1_38merge_sort_block_merge_config_selectorIlNS0_10empty_typeEEEZZNS1_27merge_sort_block_merge_implIS3_PlPS5_mZN2at6native12_GLOBAL__N_124unique_dim_cuda_templateIbEESt5tupleIJNSA_6TensorESF_SF_EERKSF_lbbbEUlllE_EE10hipError_tT0_T1_T2_jT3_P12ihipStream_tbPNSt15iterator_traitsISL_E10value_typeEPNSR_ISM_E10value_typeEPSN_NS1_7vsmem_tEENKUlT_SL_SM_SN_E_clIS8_S8_S9_S9_EESK_S10_SL_SM_SN_EUlS10_E_NS1_11comp_targetILNS1_3genE10ELNS1_11target_archE1201ELNS1_3gpuE5ELNS1_3repE0EEENS1_48merge_mergepath_partition_config_static_selectorELNS0_4arch9wavefront6targetE0EEEvSM_.kd
    .uniform_work_group_size: 1
    .uses_dynamic_stack: false
    .vgpr_count:     0
    .vgpr_spill_count: 0
    .wavefront_size: 32
    .workgroup_processor_mode: 1
  - .args:
      - .offset:         0
        .size:           56
        .value_kind:     by_value
    .group_segment_fixed_size: 0
    .kernarg_segment_align: 8
    .kernarg_segment_size: 56
    .language:       OpenCL C
    .language_version:
      - 2
      - 0
    .max_flat_workgroup_size: 128
    .name:           _ZN7rocprim17ROCPRIM_400000_NS6detail17trampoline_kernelINS0_14default_configENS1_38merge_sort_block_merge_config_selectorIlNS0_10empty_typeEEEZZNS1_27merge_sort_block_merge_implIS3_PlPS5_mZN2at6native12_GLOBAL__N_124unique_dim_cuda_templateIbEESt5tupleIJNSA_6TensorESF_SF_EERKSF_lbbbEUlllE_EE10hipError_tT0_T1_T2_jT3_P12ihipStream_tbPNSt15iterator_traitsISL_E10value_typeEPNSR_ISM_E10value_typeEPSN_NS1_7vsmem_tEENKUlT_SL_SM_SN_E_clIS8_S8_S9_S9_EESK_S10_SL_SM_SN_EUlS10_E_NS1_11comp_targetILNS1_3genE5ELNS1_11target_archE942ELNS1_3gpuE9ELNS1_3repE0EEENS1_48merge_mergepath_partition_config_static_selectorELNS0_4arch9wavefront6targetE0EEEvSM_
    .private_segment_fixed_size: 0
    .sgpr_count:     0
    .sgpr_spill_count: 0
    .symbol:         _ZN7rocprim17ROCPRIM_400000_NS6detail17trampoline_kernelINS0_14default_configENS1_38merge_sort_block_merge_config_selectorIlNS0_10empty_typeEEEZZNS1_27merge_sort_block_merge_implIS3_PlPS5_mZN2at6native12_GLOBAL__N_124unique_dim_cuda_templateIbEESt5tupleIJNSA_6TensorESF_SF_EERKSF_lbbbEUlllE_EE10hipError_tT0_T1_T2_jT3_P12ihipStream_tbPNSt15iterator_traitsISL_E10value_typeEPNSR_ISM_E10value_typeEPSN_NS1_7vsmem_tEENKUlT_SL_SM_SN_E_clIS8_S8_S9_S9_EESK_S10_SL_SM_SN_EUlS10_E_NS1_11comp_targetILNS1_3genE5ELNS1_11target_archE942ELNS1_3gpuE9ELNS1_3repE0EEENS1_48merge_mergepath_partition_config_static_selectorELNS0_4arch9wavefront6targetE0EEEvSM_.kd
    .uniform_work_group_size: 1
    .uses_dynamic_stack: false
    .vgpr_count:     0
    .vgpr_spill_count: 0
    .wavefront_size: 32
    .workgroup_processor_mode: 1
  - .args:
      - .offset:         0
        .size:           56
        .value_kind:     by_value
    .group_segment_fixed_size: 0
    .kernarg_segment_align: 8
    .kernarg_segment_size: 56
    .language:       OpenCL C
    .language_version:
      - 2
      - 0
    .max_flat_workgroup_size: 128
    .name:           _ZN7rocprim17ROCPRIM_400000_NS6detail17trampoline_kernelINS0_14default_configENS1_38merge_sort_block_merge_config_selectorIlNS0_10empty_typeEEEZZNS1_27merge_sort_block_merge_implIS3_PlPS5_mZN2at6native12_GLOBAL__N_124unique_dim_cuda_templateIbEESt5tupleIJNSA_6TensorESF_SF_EERKSF_lbbbEUlllE_EE10hipError_tT0_T1_T2_jT3_P12ihipStream_tbPNSt15iterator_traitsISL_E10value_typeEPNSR_ISM_E10value_typeEPSN_NS1_7vsmem_tEENKUlT_SL_SM_SN_E_clIS8_S8_S9_S9_EESK_S10_SL_SM_SN_EUlS10_E_NS1_11comp_targetILNS1_3genE4ELNS1_11target_archE910ELNS1_3gpuE8ELNS1_3repE0EEENS1_48merge_mergepath_partition_config_static_selectorELNS0_4arch9wavefront6targetE0EEEvSM_
    .private_segment_fixed_size: 0
    .sgpr_count:     0
    .sgpr_spill_count: 0
    .symbol:         _ZN7rocprim17ROCPRIM_400000_NS6detail17trampoline_kernelINS0_14default_configENS1_38merge_sort_block_merge_config_selectorIlNS0_10empty_typeEEEZZNS1_27merge_sort_block_merge_implIS3_PlPS5_mZN2at6native12_GLOBAL__N_124unique_dim_cuda_templateIbEESt5tupleIJNSA_6TensorESF_SF_EERKSF_lbbbEUlllE_EE10hipError_tT0_T1_T2_jT3_P12ihipStream_tbPNSt15iterator_traitsISL_E10value_typeEPNSR_ISM_E10value_typeEPSN_NS1_7vsmem_tEENKUlT_SL_SM_SN_E_clIS8_S8_S9_S9_EESK_S10_SL_SM_SN_EUlS10_E_NS1_11comp_targetILNS1_3genE4ELNS1_11target_archE910ELNS1_3gpuE8ELNS1_3repE0EEENS1_48merge_mergepath_partition_config_static_selectorELNS0_4arch9wavefront6targetE0EEEvSM_.kd
    .uniform_work_group_size: 1
    .uses_dynamic_stack: false
    .vgpr_count:     0
    .vgpr_spill_count: 0
    .wavefront_size: 32
    .workgroup_processor_mode: 1
  - .args:
      - .offset:         0
        .size:           56
        .value_kind:     by_value
    .group_segment_fixed_size: 0
    .kernarg_segment_align: 8
    .kernarg_segment_size: 56
    .language:       OpenCL C
    .language_version:
      - 2
      - 0
    .max_flat_workgroup_size: 128
    .name:           _ZN7rocprim17ROCPRIM_400000_NS6detail17trampoline_kernelINS0_14default_configENS1_38merge_sort_block_merge_config_selectorIlNS0_10empty_typeEEEZZNS1_27merge_sort_block_merge_implIS3_PlPS5_mZN2at6native12_GLOBAL__N_124unique_dim_cuda_templateIbEESt5tupleIJNSA_6TensorESF_SF_EERKSF_lbbbEUlllE_EE10hipError_tT0_T1_T2_jT3_P12ihipStream_tbPNSt15iterator_traitsISL_E10value_typeEPNSR_ISM_E10value_typeEPSN_NS1_7vsmem_tEENKUlT_SL_SM_SN_E_clIS8_S8_S9_S9_EESK_S10_SL_SM_SN_EUlS10_E_NS1_11comp_targetILNS1_3genE3ELNS1_11target_archE908ELNS1_3gpuE7ELNS1_3repE0EEENS1_48merge_mergepath_partition_config_static_selectorELNS0_4arch9wavefront6targetE0EEEvSM_
    .private_segment_fixed_size: 0
    .sgpr_count:     0
    .sgpr_spill_count: 0
    .symbol:         _ZN7rocprim17ROCPRIM_400000_NS6detail17trampoline_kernelINS0_14default_configENS1_38merge_sort_block_merge_config_selectorIlNS0_10empty_typeEEEZZNS1_27merge_sort_block_merge_implIS3_PlPS5_mZN2at6native12_GLOBAL__N_124unique_dim_cuda_templateIbEESt5tupleIJNSA_6TensorESF_SF_EERKSF_lbbbEUlllE_EE10hipError_tT0_T1_T2_jT3_P12ihipStream_tbPNSt15iterator_traitsISL_E10value_typeEPNSR_ISM_E10value_typeEPSN_NS1_7vsmem_tEENKUlT_SL_SM_SN_E_clIS8_S8_S9_S9_EESK_S10_SL_SM_SN_EUlS10_E_NS1_11comp_targetILNS1_3genE3ELNS1_11target_archE908ELNS1_3gpuE7ELNS1_3repE0EEENS1_48merge_mergepath_partition_config_static_selectorELNS0_4arch9wavefront6targetE0EEEvSM_.kd
    .uniform_work_group_size: 1
    .uses_dynamic_stack: false
    .vgpr_count:     0
    .vgpr_spill_count: 0
    .wavefront_size: 32
    .workgroup_processor_mode: 1
  - .args:
      - .offset:         0
        .size:           56
        .value_kind:     by_value
    .group_segment_fixed_size: 0
    .kernarg_segment_align: 8
    .kernarg_segment_size: 56
    .language:       OpenCL C
    .language_version:
      - 2
      - 0
    .max_flat_workgroup_size: 128
    .name:           _ZN7rocprim17ROCPRIM_400000_NS6detail17trampoline_kernelINS0_14default_configENS1_38merge_sort_block_merge_config_selectorIlNS0_10empty_typeEEEZZNS1_27merge_sort_block_merge_implIS3_PlPS5_mZN2at6native12_GLOBAL__N_124unique_dim_cuda_templateIbEESt5tupleIJNSA_6TensorESF_SF_EERKSF_lbbbEUlllE_EE10hipError_tT0_T1_T2_jT3_P12ihipStream_tbPNSt15iterator_traitsISL_E10value_typeEPNSR_ISM_E10value_typeEPSN_NS1_7vsmem_tEENKUlT_SL_SM_SN_E_clIS8_S8_S9_S9_EESK_S10_SL_SM_SN_EUlS10_E_NS1_11comp_targetILNS1_3genE2ELNS1_11target_archE906ELNS1_3gpuE6ELNS1_3repE0EEENS1_48merge_mergepath_partition_config_static_selectorELNS0_4arch9wavefront6targetE0EEEvSM_
    .private_segment_fixed_size: 0
    .sgpr_count:     0
    .sgpr_spill_count: 0
    .symbol:         _ZN7rocprim17ROCPRIM_400000_NS6detail17trampoline_kernelINS0_14default_configENS1_38merge_sort_block_merge_config_selectorIlNS0_10empty_typeEEEZZNS1_27merge_sort_block_merge_implIS3_PlPS5_mZN2at6native12_GLOBAL__N_124unique_dim_cuda_templateIbEESt5tupleIJNSA_6TensorESF_SF_EERKSF_lbbbEUlllE_EE10hipError_tT0_T1_T2_jT3_P12ihipStream_tbPNSt15iterator_traitsISL_E10value_typeEPNSR_ISM_E10value_typeEPSN_NS1_7vsmem_tEENKUlT_SL_SM_SN_E_clIS8_S8_S9_S9_EESK_S10_SL_SM_SN_EUlS10_E_NS1_11comp_targetILNS1_3genE2ELNS1_11target_archE906ELNS1_3gpuE6ELNS1_3repE0EEENS1_48merge_mergepath_partition_config_static_selectorELNS0_4arch9wavefront6targetE0EEEvSM_.kd
    .uniform_work_group_size: 1
    .uses_dynamic_stack: false
    .vgpr_count:     0
    .vgpr_spill_count: 0
    .wavefront_size: 32
    .workgroup_processor_mode: 1
  - .args:
      - .offset:         0
        .size:           56
        .value_kind:     by_value
    .group_segment_fixed_size: 0
    .kernarg_segment_align: 8
    .kernarg_segment_size: 56
    .language:       OpenCL C
    .language_version:
      - 2
      - 0
    .max_flat_workgroup_size: 128
    .name:           _ZN7rocprim17ROCPRIM_400000_NS6detail17trampoline_kernelINS0_14default_configENS1_38merge_sort_block_merge_config_selectorIlNS0_10empty_typeEEEZZNS1_27merge_sort_block_merge_implIS3_PlPS5_mZN2at6native12_GLOBAL__N_124unique_dim_cuda_templateIbEESt5tupleIJNSA_6TensorESF_SF_EERKSF_lbbbEUlllE_EE10hipError_tT0_T1_T2_jT3_P12ihipStream_tbPNSt15iterator_traitsISL_E10value_typeEPNSR_ISM_E10value_typeEPSN_NS1_7vsmem_tEENKUlT_SL_SM_SN_E_clIS8_S8_S9_S9_EESK_S10_SL_SM_SN_EUlS10_E_NS1_11comp_targetILNS1_3genE9ELNS1_11target_archE1100ELNS1_3gpuE3ELNS1_3repE0EEENS1_48merge_mergepath_partition_config_static_selectorELNS0_4arch9wavefront6targetE0EEEvSM_
    .private_segment_fixed_size: 0
    .sgpr_count:     23
    .sgpr_spill_count: 0
    .symbol:         _ZN7rocprim17ROCPRIM_400000_NS6detail17trampoline_kernelINS0_14default_configENS1_38merge_sort_block_merge_config_selectorIlNS0_10empty_typeEEEZZNS1_27merge_sort_block_merge_implIS3_PlPS5_mZN2at6native12_GLOBAL__N_124unique_dim_cuda_templateIbEESt5tupleIJNSA_6TensorESF_SF_EERKSF_lbbbEUlllE_EE10hipError_tT0_T1_T2_jT3_P12ihipStream_tbPNSt15iterator_traitsISL_E10value_typeEPNSR_ISM_E10value_typeEPSN_NS1_7vsmem_tEENKUlT_SL_SM_SN_E_clIS8_S8_S9_S9_EESK_S10_SL_SM_SN_EUlS10_E_NS1_11comp_targetILNS1_3genE9ELNS1_11target_archE1100ELNS1_3gpuE3ELNS1_3repE0EEENS1_48merge_mergepath_partition_config_static_selectorELNS0_4arch9wavefront6targetE0EEEvSM_.kd
    .uniform_work_group_size: 1
    .uses_dynamic_stack: false
    .vgpr_count:     22
    .vgpr_spill_count: 0
    .wavefront_size: 32
    .workgroup_processor_mode: 1
  - .args:
      - .offset:         0
        .size:           56
        .value_kind:     by_value
    .group_segment_fixed_size: 0
    .kernarg_segment_align: 8
    .kernarg_segment_size: 56
    .language:       OpenCL C
    .language_version:
      - 2
      - 0
    .max_flat_workgroup_size: 128
    .name:           _ZN7rocprim17ROCPRIM_400000_NS6detail17trampoline_kernelINS0_14default_configENS1_38merge_sort_block_merge_config_selectorIlNS0_10empty_typeEEEZZNS1_27merge_sort_block_merge_implIS3_PlPS5_mZN2at6native12_GLOBAL__N_124unique_dim_cuda_templateIbEESt5tupleIJNSA_6TensorESF_SF_EERKSF_lbbbEUlllE_EE10hipError_tT0_T1_T2_jT3_P12ihipStream_tbPNSt15iterator_traitsISL_E10value_typeEPNSR_ISM_E10value_typeEPSN_NS1_7vsmem_tEENKUlT_SL_SM_SN_E_clIS8_S8_S9_S9_EESK_S10_SL_SM_SN_EUlS10_E_NS1_11comp_targetILNS1_3genE8ELNS1_11target_archE1030ELNS1_3gpuE2ELNS1_3repE0EEENS1_48merge_mergepath_partition_config_static_selectorELNS0_4arch9wavefront6targetE0EEEvSM_
    .private_segment_fixed_size: 0
    .sgpr_count:     0
    .sgpr_spill_count: 0
    .symbol:         _ZN7rocprim17ROCPRIM_400000_NS6detail17trampoline_kernelINS0_14default_configENS1_38merge_sort_block_merge_config_selectorIlNS0_10empty_typeEEEZZNS1_27merge_sort_block_merge_implIS3_PlPS5_mZN2at6native12_GLOBAL__N_124unique_dim_cuda_templateIbEESt5tupleIJNSA_6TensorESF_SF_EERKSF_lbbbEUlllE_EE10hipError_tT0_T1_T2_jT3_P12ihipStream_tbPNSt15iterator_traitsISL_E10value_typeEPNSR_ISM_E10value_typeEPSN_NS1_7vsmem_tEENKUlT_SL_SM_SN_E_clIS8_S8_S9_S9_EESK_S10_SL_SM_SN_EUlS10_E_NS1_11comp_targetILNS1_3genE8ELNS1_11target_archE1030ELNS1_3gpuE2ELNS1_3repE0EEENS1_48merge_mergepath_partition_config_static_selectorELNS0_4arch9wavefront6targetE0EEEvSM_.kd
    .uniform_work_group_size: 1
    .uses_dynamic_stack: false
    .vgpr_count:     0
    .vgpr_spill_count: 0
    .wavefront_size: 32
    .workgroup_processor_mode: 1
  - .args:
      - .offset:         0
        .size:           88
        .value_kind:     by_value
    .group_segment_fixed_size: 0
    .kernarg_segment_align: 8
    .kernarg_segment_size: 88
    .language:       OpenCL C
    .language_version:
      - 2
      - 0
    .max_flat_workgroup_size: 128
    .name:           _ZN7rocprim17ROCPRIM_400000_NS6detail17trampoline_kernelINS0_14default_configENS1_38merge_sort_block_merge_config_selectorIlNS0_10empty_typeEEEZZNS1_27merge_sort_block_merge_implIS3_PlPS5_mZN2at6native12_GLOBAL__N_124unique_dim_cuda_templateIbEESt5tupleIJNSA_6TensorESF_SF_EERKSF_lbbbEUlllE_EE10hipError_tT0_T1_T2_jT3_P12ihipStream_tbPNSt15iterator_traitsISL_E10value_typeEPNSR_ISM_E10value_typeEPSN_NS1_7vsmem_tEENKUlT_SL_SM_SN_E_clIS8_S8_S9_S9_EESK_S10_SL_SM_SN_EUlS10_E0_NS1_11comp_targetILNS1_3genE0ELNS1_11target_archE4294967295ELNS1_3gpuE0ELNS1_3repE0EEENS1_38merge_mergepath_config_static_selectorELNS0_4arch9wavefront6targetE0EEEvSM_
    .private_segment_fixed_size: 0
    .sgpr_count:     0
    .sgpr_spill_count: 0
    .symbol:         _ZN7rocprim17ROCPRIM_400000_NS6detail17trampoline_kernelINS0_14default_configENS1_38merge_sort_block_merge_config_selectorIlNS0_10empty_typeEEEZZNS1_27merge_sort_block_merge_implIS3_PlPS5_mZN2at6native12_GLOBAL__N_124unique_dim_cuda_templateIbEESt5tupleIJNSA_6TensorESF_SF_EERKSF_lbbbEUlllE_EE10hipError_tT0_T1_T2_jT3_P12ihipStream_tbPNSt15iterator_traitsISL_E10value_typeEPNSR_ISM_E10value_typeEPSN_NS1_7vsmem_tEENKUlT_SL_SM_SN_E_clIS8_S8_S9_S9_EESK_S10_SL_SM_SN_EUlS10_E0_NS1_11comp_targetILNS1_3genE0ELNS1_11target_archE4294967295ELNS1_3gpuE0ELNS1_3repE0EEENS1_38merge_mergepath_config_static_selectorELNS0_4arch9wavefront6targetE0EEEvSM_.kd
    .uniform_work_group_size: 1
    .uses_dynamic_stack: false
    .vgpr_count:     0
    .vgpr_spill_count: 0
    .wavefront_size: 32
    .workgroup_processor_mode: 1
  - .args:
      - .offset:         0
        .size:           88
        .value_kind:     by_value
    .group_segment_fixed_size: 0
    .kernarg_segment_align: 8
    .kernarg_segment_size: 88
    .language:       OpenCL C
    .language_version:
      - 2
      - 0
    .max_flat_workgroup_size: 512
    .name:           _ZN7rocprim17ROCPRIM_400000_NS6detail17trampoline_kernelINS0_14default_configENS1_38merge_sort_block_merge_config_selectorIlNS0_10empty_typeEEEZZNS1_27merge_sort_block_merge_implIS3_PlPS5_mZN2at6native12_GLOBAL__N_124unique_dim_cuda_templateIbEESt5tupleIJNSA_6TensorESF_SF_EERKSF_lbbbEUlllE_EE10hipError_tT0_T1_T2_jT3_P12ihipStream_tbPNSt15iterator_traitsISL_E10value_typeEPNSR_ISM_E10value_typeEPSN_NS1_7vsmem_tEENKUlT_SL_SM_SN_E_clIS8_S8_S9_S9_EESK_S10_SL_SM_SN_EUlS10_E0_NS1_11comp_targetILNS1_3genE10ELNS1_11target_archE1201ELNS1_3gpuE5ELNS1_3repE0EEENS1_38merge_mergepath_config_static_selectorELNS0_4arch9wavefront6targetE0EEEvSM_
    .private_segment_fixed_size: 0
    .sgpr_count:     0
    .sgpr_spill_count: 0
    .symbol:         _ZN7rocprim17ROCPRIM_400000_NS6detail17trampoline_kernelINS0_14default_configENS1_38merge_sort_block_merge_config_selectorIlNS0_10empty_typeEEEZZNS1_27merge_sort_block_merge_implIS3_PlPS5_mZN2at6native12_GLOBAL__N_124unique_dim_cuda_templateIbEESt5tupleIJNSA_6TensorESF_SF_EERKSF_lbbbEUlllE_EE10hipError_tT0_T1_T2_jT3_P12ihipStream_tbPNSt15iterator_traitsISL_E10value_typeEPNSR_ISM_E10value_typeEPSN_NS1_7vsmem_tEENKUlT_SL_SM_SN_E_clIS8_S8_S9_S9_EESK_S10_SL_SM_SN_EUlS10_E0_NS1_11comp_targetILNS1_3genE10ELNS1_11target_archE1201ELNS1_3gpuE5ELNS1_3repE0EEENS1_38merge_mergepath_config_static_selectorELNS0_4arch9wavefront6targetE0EEEvSM_.kd
    .uniform_work_group_size: 1
    .uses_dynamic_stack: false
    .vgpr_count:     0
    .vgpr_spill_count: 0
    .wavefront_size: 32
    .workgroup_processor_mode: 1
  - .args:
      - .offset:         0
        .size:           88
        .value_kind:     by_value
    .group_segment_fixed_size: 0
    .kernarg_segment_align: 8
    .kernarg_segment_size: 88
    .language:       OpenCL C
    .language_version:
      - 2
      - 0
    .max_flat_workgroup_size: 128
    .name:           _ZN7rocprim17ROCPRIM_400000_NS6detail17trampoline_kernelINS0_14default_configENS1_38merge_sort_block_merge_config_selectorIlNS0_10empty_typeEEEZZNS1_27merge_sort_block_merge_implIS3_PlPS5_mZN2at6native12_GLOBAL__N_124unique_dim_cuda_templateIbEESt5tupleIJNSA_6TensorESF_SF_EERKSF_lbbbEUlllE_EE10hipError_tT0_T1_T2_jT3_P12ihipStream_tbPNSt15iterator_traitsISL_E10value_typeEPNSR_ISM_E10value_typeEPSN_NS1_7vsmem_tEENKUlT_SL_SM_SN_E_clIS8_S8_S9_S9_EESK_S10_SL_SM_SN_EUlS10_E0_NS1_11comp_targetILNS1_3genE5ELNS1_11target_archE942ELNS1_3gpuE9ELNS1_3repE0EEENS1_38merge_mergepath_config_static_selectorELNS0_4arch9wavefront6targetE0EEEvSM_
    .private_segment_fixed_size: 0
    .sgpr_count:     0
    .sgpr_spill_count: 0
    .symbol:         _ZN7rocprim17ROCPRIM_400000_NS6detail17trampoline_kernelINS0_14default_configENS1_38merge_sort_block_merge_config_selectorIlNS0_10empty_typeEEEZZNS1_27merge_sort_block_merge_implIS3_PlPS5_mZN2at6native12_GLOBAL__N_124unique_dim_cuda_templateIbEESt5tupleIJNSA_6TensorESF_SF_EERKSF_lbbbEUlllE_EE10hipError_tT0_T1_T2_jT3_P12ihipStream_tbPNSt15iterator_traitsISL_E10value_typeEPNSR_ISM_E10value_typeEPSN_NS1_7vsmem_tEENKUlT_SL_SM_SN_E_clIS8_S8_S9_S9_EESK_S10_SL_SM_SN_EUlS10_E0_NS1_11comp_targetILNS1_3genE5ELNS1_11target_archE942ELNS1_3gpuE9ELNS1_3repE0EEENS1_38merge_mergepath_config_static_selectorELNS0_4arch9wavefront6targetE0EEEvSM_.kd
    .uniform_work_group_size: 1
    .uses_dynamic_stack: false
    .vgpr_count:     0
    .vgpr_spill_count: 0
    .wavefront_size: 32
    .workgroup_processor_mode: 1
  - .args:
      - .offset:         0
        .size:           88
        .value_kind:     by_value
    .group_segment_fixed_size: 0
    .kernarg_segment_align: 8
    .kernarg_segment_size: 88
    .language:       OpenCL C
    .language_version:
      - 2
      - 0
    .max_flat_workgroup_size: 256
    .name:           _ZN7rocprim17ROCPRIM_400000_NS6detail17trampoline_kernelINS0_14default_configENS1_38merge_sort_block_merge_config_selectorIlNS0_10empty_typeEEEZZNS1_27merge_sort_block_merge_implIS3_PlPS5_mZN2at6native12_GLOBAL__N_124unique_dim_cuda_templateIbEESt5tupleIJNSA_6TensorESF_SF_EERKSF_lbbbEUlllE_EE10hipError_tT0_T1_T2_jT3_P12ihipStream_tbPNSt15iterator_traitsISL_E10value_typeEPNSR_ISM_E10value_typeEPSN_NS1_7vsmem_tEENKUlT_SL_SM_SN_E_clIS8_S8_S9_S9_EESK_S10_SL_SM_SN_EUlS10_E0_NS1_11comp_targetILNS1_3genE4ELNS1_11target_archE910ELNS1_3gpuE8ELNS1_3repE0EEENS1_38merge_mergepath_config_static_selectorELNS0_4arch9wavefront6targetE0EEEvSM_
    .private_segment_fixed_size: 0
    .sgpr_count:     0
    .sgpr_spill_count: 0
    .symbol:         _ZN7rocprim17ROCPRIM_400000_NS6detail17trampoline_kernelINS0_14default_configENS1_38merge_sort_block_merge_config_selectorIlNS0_10empty_typeEEEZZNS1_27merge_sort_block_merge_implIS3_PlPS5_mZN2at6native12_GLOBAL__N_124unique_dim_cuda_templateIbEESt5tupleIJNSA_6TensorESF_SF_EERKSF_lbbbEUlllE_EE10hipError_tT0_T1_T2_jT3_P12ihipStream_tbPNSt15iterator_traitsISL_E10value_typeEPNSR_ISM_E10value_typeEPSN_NS1_7vsmem_tEENKUlT_SL_SM_SN_E_clIS8_S8_S9_S9_EESK_S10_SL_SM_SN_EUlS10_E0_NS1_11comp_targetILNS1_3genE4ELNS1_11target_archE910ELNS1_3gpuE8ELNS1_3repE0EEENS1_38merge_mergepath_config_static_selectorELNS0_4arch9wavefront6targetE0EEEvSM_.kd
    .uniform_work_group_size: 1
    .uses_dynamic_stack: false
    .vgpr_count:     0
    .vgpr_spill_count: 0
    .wavefront_size: 32
    .workgroup_processor_mode: 1
  - .args:
      - .offset:         0
        .size:           88
        .value_kind:     by_value
    .group_segment_fixed_size: 0
    .kernarg_segment_align: 8
    .kernarg_segment_size: 88
    .language:       OpenCL C
    .language_version:
      - 2
      - 0
    .max_flat_workgroup_size: 128
    .name:           _ZN7rocprim17ROCPRIM_400000_NS6detail17trampoline_kernelINS0_14default_configENS1_38merge_sort_block_merge_config_selectorIlNS0_10empty_typeEEEZZNS1_27merge_sort_block_merge_implIS3_PlPS5_mZN2at6native12_GLOBAL__N_124unique_dim_cuda_templateIbEESt5tupleIJNSA_6TensorESF_SF_EERKSF_lbbbEUlllE_EE10hipError_tT0_T1_T2_jT3_P12ihipStream_tbPNSt15iterator_traitsISL_E10value_typeEPNSR_ISM_E10value_typeEPSN_NS1_7vsmem_tEENKUlT_SL_SM_SN_E_clIS8_S8_S9_S9_EESK_S10_SL_SM_SN_EUlS10_E0_NS1_11comp_targetILNS1_3genE3ELNS1_11target_archE908ELNS1_3gpuE7ELNS1_3repE0EEENS1_38merge_mergepath_config_static_selectorELNS0_4arch9wavefront6targetE0EEEvSM_
    .private_segment_fixed_size: 0
    .sgpr_count:     0
    .sgpr_spill_count: 0
    .symbol:         _ZN7rocprim17ROCPRIM_400000_NS6detail17trampoline_kernelINS0_14default_configENS1_38merge_sort_block_merge_config_selectorIlNS0_10empty_typeEEEZZNS1_27merge_sort_block_merge_implIS3_PlPS5_mZN2at6native12_GLOBAL__N_124unique_dim_cuda_templateIbEESt5tupleIJNSA_6TensorESF_SF_EERKSF_lbbbEUlllE_EE10hipError_tT0_T1_T2_jT3_P12ihipStream_tbPNSt15iterator_traitsISL_E10value_typeEPNSR_ISM_E10value_typeEPSN_NS1_7vsmem_tEENKUlT_SL_SM_SN_E_clIS8_S8_S9_S9_EESK_S10_SL_SM_SN_EUlS10_E0_NS1_11comp_targetILNS1_3genE3ELNS1_11target_archE908ELNS1_3gpuE7ELNS1_3repE0EEENS1_38merge_mergepath_config_static_selectorELNS0_4arch9wavefront6targetE0EEEvSM_.kd
    .uniform_work_group_size: 1
    .uses_dynamic_stack: false
    .vgpr_count:     0
    .vgpr_spill_count: 0
    .wavefront_size: 32
    .workgroup_processor_mode: 1
  - .args:
      - .offset:         0
        .size:           88
        .value_kind:     by_value
    .group_segment_fixed_size: 0
    .kernarg_segment_align: 8
    .kernarg_segment_size: 88
    .language:       OpenCL C
    .language_version:
      - 2
      - 0
    .max_flat_workgroup_size: 256
    .name:           _ZN7rocprim17ROCPRIM_400000_NS6detail17trampoline_kernelINS0_14default_configENS1_38merge_sort_block_merge_config_selectorIlNS0_10empty_typeEEEZZNS1_27merge_sort_block_merge_implIS3_PlPS5_mZN2at6native12_GLOBAL__N_124unique_dim_cuda_templateIbEESt5tupleIJNSA_6TensorESF_SF_EERKSF_lbbbEUlllE_EE10hipError_tT0_T1_T2_jT3_P12ihipStream_tbPNSt15iterator_traitsISL_E10value_typeEPNSR_ISM_E10value_typeEPSN_NS1_7vsmem_tEENKUlT_SL_SM_SN_E_clIS8_S8_S9_S9_EESK_S10_SL_SM_SN_EUlS10_E0_NS1_11comp_targetILNS1_3genE2ELNS1_11target_archE906ELNS1_3gpuE6ELNS1_3repE0EEENS1_38merge_mergepath_config_static_selectorELNS0_4arch9wavefront6targetE0EEEvSM_
    .private_segment_fixed_size: 0
    .sgpr_count:     0
    .sgpr_spill_count: 0
    .symbol:         _ZN7rocprim17ROCPRIM_400000_NS6detail17trampoline_kernelINS0_14default_configENS1_38merge_sort_block_merge_config_selectorIlNS0_10empty_typeEEEZZNS1_27merge_sort_block_merge_implIS3_PlPS5_mZN2at6native12_GLOBAL__N_124unique_dim_cuda_templateIbEESt5tupleIJNSA_6TensorESF_SF_EERKSF_lbbbEUlllE_EE10hipError_tT0_T1_T2_jT3_P12ihipStream_tbPNSt15iterator_traitsISL_E10value_typeEPNSR_ISM_E10value_typeEPSN_NS1_7vsmem_tEENKUlT_SL_SM_SN_E_clIS8_S8_S9_S9_EESK_S10_SL_SM_SN_EUlS10_E0_NS1_11comp_targetILNS1_3genE2ELNS1_11target_archE906ELNS1_3gpuE6ELNS1_3repE0EEENS1_38merge_mergepath_config_static_selectorELNS0_4arch9wavefront6targetE0EEEvSM_.kd
    .uniform_work_group_size: 1
    .uses_dynamic_stack: false
    .vgpr_count:     0
    .vgpr_spill_count: 0
    .wavefront_size: 32
    .workgroup_processor_mode: 1
  - .args:
      - .offset:         0
        .size:           88
        .value_kind:     by_value
      - .offset:         88
        .size:           4
        .value_kind:     hidden_block_count_x
      - .offset:         92
        .size:           4
        .value_kind:     hidden_block_count_y
      - .offset:         96
        .size:           4
        .value_kind:     hidden_block_count_z
      - .offset:         100
        .size:           2
        .value_kind:     hidden_group_size_x
      - .offset:         102
        .size:           2
        .value_kind:     hidden_group_size_y
      - .offset:         104
        .size:           2
        .value_kind:     hidden_group_size_z
      - .offset:         106
        .size:           2
        .value_kind:     hidden_remainder_x
      - .offset:         108
        .size:           2
        .value_kind:     hidden_remainder_y
      - .offset:         110
        .size:           2
        .value_kind:     hidden_remainder_z
      - .offset:         128
        .size:           8
        .value_kind:     hidden_global_offset_x
      - .offset:         136
        .size:           8
        .value_kind:     hidden_global_offset_y
      - .offset:         144
        .size:           8
        .value_kind:     hidden_global_offset_z
      - .offset:         152
        .size:           2
        .value_kind:     hidden_grid_dims
    .group_segment_fixed_size: 8448
    .kernarg_segment_align: 8
    .kernarg_segment_size: 344
    .language:       OpenCL C
    .language_version:
      - 2
      - 0
    .max_flat_workgroup_size: 512
    .name:           _ZN7rocprim17ROCPRIM_400000_NS6detail17trampoline_kernelINS0_14default_configENS1_38merge_sort_block_merge_config_selectorIlNS0_10empty_typeEEEZZNS1_27merge_sort_block_merge_implIS3_PlPS5_mZN2at6native12_GLOBAL__N_124unique_dim_cuda_templateIbEESt5tupleIJNSA_6TensorESF_SF_EERKSF_lbbbEUlllE_EE10hipError_tT0_T1_T2_jT3_P12ihipStream_tbPNSt15iterator_traitsISL_E10value_typeEPNSR_ISM_E10value_typeEPSN_NS1_7vsmem_tEENKUlT_SL_SM_SN_E_clIS8_S8_S9_S9_EESK_S10_SL_SM_SN_EUlS10_E0_NS1_11comp_targetILNS1_3genE9ELNS1_11target_archE1100ELNS1_3gpuE3ELNS1_3repE0EEENS1_38merge_mergepath_config_static_selectorELNS0_4arch9wavefront6targetE0EEEvSM_
    .private_segment_fixed_size: 0
    .sgpr_count:     36
    .sgpr_spill_count: 0
    .symbol:         _ZN7rocprim17ROCPRIM_400000_NS6detail17trampoline_kernelINS0_14default_configENS1_38merge_sort_block_merge_config_selectorIlNS0_10empty_typeEEEZZNS1_27merge_sort_block_merge_implIS3_PlPS5_mZN2at6native12_GLOBAL__N_124unique_dim_cuda_templateIbEESt5tupleIJNSA_6TensorESF_SF_EERKSF_lbbbEUlllE_EE10hipError_tT0_T1_T2_jT3_P12ihipStream_tbPNSt15iterator_traitsISL_E10value_typeEPNSR_ISM_E10value_typeEPSN_NS1_7vsmem_tEENKUlT_SL_SM_SN_E_clIS8_S8_S9_S9_EESK_S10_SL_SM_SN_EUlS10_E0_NS1_11comp_targetILNS1_3genE9ELNS1_11target_archE1100ELNS1_3gpuE3ELNS1_3repE0EEENS1_38merge_mergepath_config_static_selectorELNS0_4arch9wavefront6targetE0EEEvSM_.kd
    .uniform_work_group_size: 1
    .uses_dynamic_stack: false
    .vgpr_count:     21
    .vgpr_spill_count: 0
    .wavefront_size: 32
    .workgroup_processor_mode: 1
  - .args:
      - .offset:         0
        .size:           88
        .value_kind:     by_value
    .group_segment_fixed_size: 0
    .kernarg_segment_align: 8
    .kernarg_segment_size: 88
    .language:       OpenCL C
    .language_version:
      - 2
      - 0
    .max_flat_workgroup_size: 1024
    .name:           _ZN7rocprim17ROCPRIM_400000_NS6detail17trampoline_kernelINS0_14default_configENS1_38merge_sort_block_merge_config_selectorIlNS0_10empty_typeEEEZZNS1_27merge_sort_block_merge_implIS3_PlPS5_mZN2at6native12_GLOBAL__N_124unique_dim_cuda_templateIbEESt5tupleIJNSA_6TensorESF_SF_EERKSF_lbbbEUlllE_EE10hipError_tT0_T1_T2_jT3_P12ihipStream_tbPNSt15iterator_traitsISL_E10value_typeEPNSR_ISM_E10value_typeEPSN_NS1_7vsmem_tEENKUlT_SL_SM_SN_E_clIS8_S8_S9_S9_EESK_S10_SL_SM_SN_EUlS10_E0_NS1_11comp_targetILNS1_3genE8ELNS1_11target_archE1030ELNS1_3gpuE2ELNS1_3repE0EEENS1_38merge_mergepath_config_static_selectorELNS0_4arch9wavefront6targetE0EEEvSM_
    .private_segment_fixed_size: 0
    .sgpr_count:     0
    .sgpr_spill_count: 0
    .symbol:         _ZN7rocprim17ROCPRIM_400000_NS6detail17trampoline_kernelINS0_14default_configENS1_38merge_sort_block_merge_config_selectorIlNS0_10empty_typeEEEZZNS1_27merge_sort_block_merge_implIS3_PlPS5_mZN2at6native12_GLOBAL__N_124unique_dim_cuda_templateIbEESt5tupleIJNSA_6TensorESF_SF_EERKSF_lbbbEUlllE_EE10hipError_tT0_T1_T2_jT3_P12ihipStream_tbPNSt15iterator_traitsISL_E10value_typeEPNSR_ISM_E10value_typeEPSN_NS1_7vsmem_tEENKUlT_SL_SM_SN_E_clIS8_S8_S9_S9_EESK_S10_SL_SM_SN_EUlS10_E0_NS1_11comp_targetILNS1_3genE8ELNS1_11target_archE1030ELNS1_3gpuE2ELNS1_3repE0EEENS1_38merge_mergepath_config_static_selectorELNS0_4arch9wavefront6targetE0EEEvSM_.kd
    .uniform_work_group_size: 1
    .uses_dynamic_stack: false
    .vgpr_count:     0
    .vgpr_spill_count: 0
    .wavefront_size: 32
    .workgroup_processor_mode: 1
  - .args:
      - .offset:         0
        .size:           64
        .value_kind:     by_value
    .group_segment_fixed_size: 0
    .kernarg_segment_align: 8
    .kernarg_segment_size: 64
    .language:       OpenCL C
    .language_version:
      - 2
      - 0
    .max_flat_workgroup_size: 256
    .name:           _ZN7rocprim17ROCPRIM_400000_NS6detail17trampoline_kernelINS0_14default_configENS1_38merge_sort_block_merge_config_selectorIlNS0_10empty_typeEEEZZNS1_27merge_sort_block_merge_implIS3_PlPS5_mZN2at6native12_GLOBAL__N_124unique_dim_cuda_templateIbEESt5tupleIJNSA_6TensorESF_SF_EERKSF_lbbbEUlllE_EE10hipError_tT0_T1_T2_jT3_P12ihipStream_tbPNSt15iterator_traitsISL_E10value_typeEPNSR_ISM_E10value_typeEPSN_NS1_7vsmem_tEENKUlT_SL_SM_SN_E_clIS8_S8_S9_S9_EESK_S10_SL_SM_SN_EUlS10_E1_NS1_11comp_targetILNS1_3genE0ELNS1_11target_archE4294967295ELNS1_3gpuE0ELNS1_3repE0EEENS1_36merge_oddeven_config_static_selectorELNS0_4arch9wavefront6targetE0EEEvSM_
    .private_segment_fixed_size: 0
    .sgpr_count:     0
    .sgpr_spill_count: 0
    .symbol:         _ZN7rocprim17ROCPRIM_400000_NS6detail17trampoline_kernelINS0_14default_configENS1_38merge_sort_block_merge_config_selectorIlNS0_10empty_typeEEEZZNS1_27merge_sort_block_merge_implIS3_PlPS5_mZN2at6native12_GLOBAL__N_124unique_dim_cuda_templateIbEESt5tupleIJNSA_6TensorESF_SF_EERKSF_lbbbEUlllE_EE10hipError_tT0_T1_T2_jT3_P12ihipStream_tbPNSt15iterator_traitsISL_E10value_typeEPNSR_ISM_E10value_typeEPSN_NS1_7vsmem_tEENKUlT_SL_SM_SN_E_clIS8_S8_S9_S9_EESK_S10_SL_SM_SN_EUlS10_E1_NS1_11comp_targetILNS1_3genE0ELNS1_11target_archE4294967295ELNS1_3gpuE0ELNS1_3repE0EEENS1_36merge_oddeven_config_static_selectorELNS0_4arch9wavefront6targetE0EEEvSM_.kd
    .uniform_work_group_size: 1
    .uses_dynamic_stack: false
    .vgpr_count:     0
    .vgpr_spill_count: 0
    .wavefront_size: 32
    .workgroup_processor_mode: 1
  - .args:
      - .offset:         0
        .size:           64
        .value_kind:     by_value
    .group_segment_fixed_size: 0
    .kernarg_segment_align: 8
    .kernarg_segment_size: 64
    .language:       OpenCL C
    .language_version:
      - 2
      - 0
    .max_flat_workgroup_size: 256
    .name:           _ZN7rocprim17ROCPRIM_400000_NS6detail17trampoline_kernelINS0_14default_configENS1_38merge_sort_block_merge_config_selectorIlNS0_10empty_typeEEEZZNS1_27merge_sort_block_merge_implIS3_PlPS5_mZN2at6native12_GLOBAL__N_124unique_dim_cuda_templateIbEESt5tupleIJNSA_6TensorESF_SF_EERKSF_lbbbEUlllE_EE10hipError_tT0_T1_T2_jT3_P12ihipStream_tbPNSt15iterator_traitsISL_E10value_typeEPNSR_ISM_E10value_typeEPSN_NS1_7vsmem_tEENKUlT_SL_SM_SN_E_clIS8_S8_S9_S9_EESK_S10_SL_SM_SN_EUlS10_E1_NS1_11comp_targetILNS1_3genE10ELNS1_11target_archE1201ELNS1_3gpuE5ELNS1_3repE0EEENS1_36merge_oddeven_config_static_selectorELNS0_4arch9wavefront6targetE0EEEvSM_
    .private_segment_fixed_size: 0
    .sgpr_count:     0
    .sgpr_spill_count: 0
    .symbol:         _ZN7rocprim17ROCPRIM_400000_NS6detail17trampoline_kernelINS0_14default_configENS1_38merge_sort_block_merge_config_selectorIlNS0_10empty_typeEEEZZNS1_27merge_sort_block_merge_implIS3_PlPS5_mZN2at6native12_GLOBAL__N_124unique_dim_cuda_templateIbEESt5tupleIJNSA_6TensorESF_SF_EERKSF_lbbbEUlllE_EE10hipError_tT0_T1_T2_jT3_P12ihipStream_tbPNSt15iterator_traitsISL_E10value_typeEPNSR_ISM_E10value_typeEPSN_NS1_7vsmem_tEENKUlT_SL_SM_SN_E_clIS8_S8_S9_S9_EESK_S10_SL_SM_SN_EUlS10_E1_NS1_11comp_targetILNS1_3genE10ELNS1_11target_archE1201ELNS1_3gpuE5ELNS1_3repE0EEENS1_36merge_oddeven_config_static_selectorELNS0_4arch9wavefront6targetE0EEEvSM_.kd
    .uniform_work_group_size: 1
    .uses_dynamic_stack: false
    .vgpr_count:     0
    .vgpr_spill_count: 0
    .wavefront_size: 32
    .workgroup_processor_mode: 1
  - .args:
      - .offset:         0
        .size:           64
        .value_kind:     by_value
    .group_segment_fixed_size: 0
    .kernarg_segment_align: 8
    .kernarg_segment_size: 64
    .language:       OpenCL C
    .language_version:
      - 2
      - 0
    .max_flat_workgroup_size: 256
    .name:           _ZN7rocprim17ROCPRIM_400000_NS6detail17trampoline_kernelINS0_14default_configENS1_38merge_sort_block_merge_config_selectorIlNS0_10empty_typeEEEZZNS1_27merge_sort_block_merge_implIS3_PlPS5_mZN2at6native12_GLOBAL__N_124unique_dim_cuda_templateIbEESt5tupleIJNSA_6TensorESF_SF_EERKSF_lbbbEUlllE_EE10hipError_tT0_T1_T2_jT3_P12ihipStream_tbPNSt15iterator_traitsISL_E10value_typeEPNSR_ISM_E10value_typeEPSN_NS1_7vsmem_tEENKUlT_SL_SM_SN_E_clIS8_S8_S9_S9_EESK_S10_SL_SM_SN_EUlS10_E1_NS1_11comp_targetILNS1_3genE5ELNS1_11target_archE942ELNS1_3gpuE9ELNS1_3repE0EEENS1_36merge_oddeven_config_static_selectorELNS0_4arch9wavefront6targetE0EEEvSM_
    .private_segment_fixed_size: 0
    .sgpr_count:     0
    .sgpr_spill_count: 0
    .symbol:         _ZN7rocprim17ROCPRIM_400000_NS6detail17trampoline_kernelINS0_14default_configENS1_38merge_sort_block_merge_config_selectorIlNS0_10empty_typeEEEZZNS1_27merge_sort_block_merge_implIS3_PlPS5_mZN2at6native12_GLOBAL__N_124unique_dim_cuda_templateIbEESt5tupleIJNSA_6TensorESF_SF_EERKSF_lbbbEUlllE_EE10hipError_tT0_T1_T2_jT3_P12ihipStream_tbPNSt15iterator_traitsISL_E10value_typeEPNSR_ISM_E10value_typeEPSN_NS1_7vsmem_tEENKUlT_SL_SM_SN_E_clIS8_S8_S9_S9_EESK_S10_SL_SM_SN_EUlS10_E1_NS1_11comp_targetILNS1_3genE5ELNS1_11target_archE942ELNS1_3gpuE9ELNS1_3repE0EEENS1_36merge_oddeven_config_static_selectorELNS0_4arch9wavefront6targetE0EEEvSM_.kd
    .uniform_work_group_size: 1
    .uses_dynamic_stack: false
    .vgpr_count:     0
    .vgpr_spill_count: 0
    .wavefront_size: 32
    .workgroup_processor_mode: 1
  - .args:
      - .offset:         0
        .size:           64
        .value_kind:     by_value
    .group_segment_fixed_size: 0
    .kernarg_segment_align: 8
    .kernarg_segment_size: 64
    .language:       OpenCL C
    .language_version:
      - 2
      - 0
    .max_flat_workgroup_size: 256
    .name:           _ZN7rocprim17ROCPRIM_400000_NS6detail17trampoline_kernelINS0_14default_configENS1_38merge_sort_block_merge_config_selectorIlNS0_10empty_typeEEEZZNS1_27merge_sort_block_merge_implIS3_PlPS5_mZN2at6native12_GLOBAL__N_124unique_dim_cuda_templateIbEESt5tupleIJNSA_6TensorESF_SF_EERKSF_lbbbEUlllE_EE10hipError_tT0_T1_T2_jT3_P12ihipStream_tbPNSt15iterator_traitsISL_E10value_typeEPNSR_ISM_E10value_typeEPSN_NS1_7vsmem_tEENKUlT_SL_SM_SN_E_clIS8_S8_S9_S9_EESK_S10_SL_SM_SN_EUlS10_E1_NS1_11comp_targetILNS1_3genE4ELNS1_11target_archE910ELNS1_3gpuE8ELNS1_3repE0EEENS1_36merge_oddeven_config_static_selectorELNS0_4arch9wavefront6targetE0EEEvSM_
    .private_segment_fixed_size: 0
    .sgpr_count:     0
    .sgpr_spill_count: 0
    .symbol:         _ZN7rocprim17ROCPRIM_400000_NS6detail17trampoline_kernelINS0_14default_configENS1_38merge_sort_block_merge_config_selectorIlNS0_10empty_typeEEEZZNS1_27merge_sort_block_merge_implIS3_PlPS5_mZN2at6native12_GLOBAL__N_124unique_dim_cuda_templateIbEESt5tupleIJNSA_6TensorESF_SF_EERKSF_lbbbEUlllE_EE10hipError_tT0_T1_T2_jT3_P12ihipStream_tbPNSt15iterator_traitsISL_E10value_typeEPNSR_ISM_E10value_typeEPSN_NS1_7vsmem_tEENKUlT_SL_SM_SN_E_clIS8_S8_S9_S9_EESK_S10_SL_SM_SN_EUlS10_E1_NS1_11comp_targetILNS1_3genE4ELNS1_11target_archE910ELNS1_3gpuE8ELNS1_3repE0EEENS1_36merge_oddeven_config_static_selectorELNS0_4arch9wavefront6targetE0EEEvSM_.kd
    .uniform_work_group_size: 1
    .uses_dynamic_stack: false
    .vgpr_count:     0
    .vgpr_spill_count: 0
    .wavefront_size: 32
    .workgroup_processor_mode: 1
  - .args:
      - .offset:         0
        .size:           64
        .value_kind:     by_value
    .group_segment_fixed_size: 0
    .kernarg_segment_align: 8
    .kernarg_segment_size: 64
    .language:       OpenCL C
    .language_version:
      - 2
      - 0
    .max_flat_workgroup_size: 256
    .name:           _ZN7rocprim17ROCPRIM_400000_NS6detail17trampoline_kernelINS0_14default_configENS1_38merge_sort_block_merge_config_selectorIlNS0_10empty_typeEEEZZNS1_27merge_sort_block_merge_implIS3_PlPS5_mZN2at6native12_GLOBAL__N_124unique_dim_cuda_templateIbEESt5tupleIJNSA_6TensorESF_SF_EERKSF_lbbbEUlllE_EE10hipError_tT0_T1_T2_jT3_P12ihipStream_tbPNSt15iterator_traitsISL_E10value_typeEPNSR_ISM_E10value_typeEPSN_NS1_7vsmem_tEENKUlT_SL_SM_SN_E_clIS8_S8_S9_S9_EESK_S10_SL_SM_SN_EUlS10_E1_NS1_11comp_targetILNS1_3genE3ELNS1_11target_archE908ELNS1_3gpuE7ELNS1_3repE0EEENS1_36merge_oddeven_config_static_selectorELNS0_4arch9wavefront6targetE0EEEvSM_
    .private_segment_fixed_size: 0
    .sgpr_count:     0
    .sgpr_spill_count: 0
    .symbol:         _ZN7rocprim17ROCPRIM_400000_NS6detail17trampoline_kernelINS0_14default_configENS1_38merge_sort_block_merge_config_selectorIlNS0_10empty_typeEEEZZNS1_27merge_sort_block_merge_implIS3_PlPS5_mZN2at6native12_GLOBAL__N_124unique_dim_cuda_templateIbEESt5tupleIJNSA_6TensorESF_SF_EERKSF_lbbbEUlllE_EE10hipError_tT0_T1_T2_jT3_P12ihipStream_tbPNSt15iterator_traitsISL_E10value_typeEPNSR_ISM_E10value_typeEPSN_NS1_7vsmem_tEENKUlT_SL_SM_SN_E_clIS8_S8_S9_S9_EESK_S10_SL_SM_SN_EUlS10_E1_NS1_11comp_targetILNS1_3genE3ELNS1_11target_archE908ELNS1_3gpuE7ELNS1_3repE0EEENS1_36merge_oddeven_config_static_selectorELNS0_4arch9wavefront6targetE0EEEvSM_.kd
    .uniform_work_group_size: 1
    .uses_dynamic_stack: false
    .vgpr_count:     0
    .vgpr_spill_count: 0
    .wavefront_size: 32
    .workgroup_processor_mode: 1
  - .args:
      - .offset:         0
        .size:           64
        .value_kind:     by_value
    .group_segment_fixed_size: 0
    .kernarg_segment_align: 8
    .kernarg_segment_size: 64
    .language:       OpenCL C
    .language_version:
      - 2
      - 0
    .max_flat_workgroup_size: 256
    .name:           _ZN7rocprim17ROCPRIM_400000_NS6detail17trampoline_kernelINS0_14default_configENS1_38merge_sort_block_merge_config_selectorIlNS0_10empty_typeEEEZZNS1_27merge_sort_block_merge_implIS3_PlPS5_mZN2at6native12_GLOBAL__N_124unique_dim_cuda_templateIbEESt5tupleIJNSA_6TensorESF_SF_EERKSF_lbbbEUlllE_EE10hipError_tT0_T1_T2_jT3_P12ihipStream_tbPNSt15iterator_traitsISL_E10value_typeEPNSR_ISM_E10value_typeEPSN_NS1_7vsmem_tEENKUlT_SL_SM_SN_E_clIS8_S8_S9_S9_EESK_S10_SL_SM_SN_EUlS10_E1_NS1_11comp_targetILNS1_3genE2ELNS1_11target_archE906ELNS1_3gpuE6ELNS1_3repE0EEENS1_36merge_oddeven_config_static_selectorELNS0_4arch9wavefront6targetE0EEEvSM_
    .private_segment_fixed_size: 0
    .sgpr_count:     0
    .sgpr_spill_count: 0
    .symbol:         _ZN7rocprim17ROCPRIM_400000_NS6detail17trampoline_kernelINS0_14default_configENS1_38merge_sort_block_merge_config_selectorIlNS0_10empty_typeEEEZZNS1_27merge_sort_block_merge_implIS3_PlPS5_mZN2at6native12_GLOBAL__N_124unique_dim_cuda_templateIbEESt5tupleIJNSA_6TensorESF_SF_EERKSF_lbbbEUlllE_EE10hipError_tT0_T1_T2_jT3_P12ihipStream_tbPNSt15iterator_traitsISL_E10value_typeEPNSR_ISM_E10value_typeEPSN_NS1_7vsmem_tEENKUlT_SL_SM_SN_E_clIS8_S8_S9_S9_EESK_S10_SL_SM_SN_EUlS10_E1_NS1_11comp_targetILNS1_3genE2ELNS1_11target_archE906ELNS1_3gpuE6ELNS1_3repE0EEENS1_36merge_oddeven_config_static_selectorELNS0_4arch9wavefront6targetE0EEEvSM_.kd
    .uniform_work_group_size: 1
    .uses_dynamic_stack: false
    .vgpr_count:     0
    .vgpr_spill_count: 0
    .wavefront_size: 32
    .workgroup_processor_mode: 1
  - .args:
      - .offset:         0
        .size:           64
        .value_kind:     by_value
    .group_segment_fixed_size: 0
    .kernarg_segment_align: 8
    .kernarg_segment_size: 64
    .language:       OpenCL C
    .language_version:
      - 2
      - 0
    .max_flat_workgroup_size: 256
    .name:           _ZN7rocprim17ROCPRIM_400000_NS6detail17trampoline_kernelINS0_14default_configENS1_38merge_sort_block_merge_config_selectorIlNS0_10empty_typeEEEZZNS1_27merge_sort_block_merge_implIS3_PlPS5_mZN2at6native12_GLOBAL__N_124unique_dim_cuda_templateIbEESt5tupleIJNSA_6TensorESF_SF_EERKSF_lbbbEUlllE_EE10hipError_tT0_T1_T2_jT3_P12ihipStream_tbPNSt15iterator_traitsISL_E10value_typeEPNSR_ISM_E10value_typeEPSN_NS1_7vsmem_tEENKUlT_SL_SM_SN_E_clIS8_S8_S9_S9_EESK_S10_SL_SM_SN_EUlS10_E1_NS1_11comp_targetILNS1_3genE9ELNS1_11target_archE1100ELNS1_3gpuE3ELNS1_3repE0EEENS1_36merge_oddeven_config_static_selectorELNS0_4arch9wavefront6targetE0EEEvSM_
    .private_segment_fixed_size: 0
    .sgpr_count:     30
    .sgpr_spill_count: 0
    .symbol:         _ZN7rocprim17ROCPRIM_400000_NS6detail17trampoline_kernelINS0_14default_configENS1_38merge_sort_block_merge_config_selectorIlNS0_10empty_typeEEEZZNS1_27merge_sort_block_merge_implIS3_PlPS5_mZN2at6native12_GLOBAL__N_124unique_dim_cuda_templateIbEESt5tupleIJNSA_6TensorESF_SF_EERKSF_lbbbEUlllE_EE10hipError_tT0_T1_T2_jT3_P12ihipStream_tbPNSt15iterator_traitsISL_E10value_typeEPNSR_ISM_E10value_typeEPSN_NS1_7vsmem_tEENKUlT_SL_SM_SN_E_clIS8_S8_S9_S9_EESK_S10_SL_SM_SN_EUlS10_E1_NS1_11comp_targetILNS1_3genE9ELNS1_11target_archE1100ELNS1_3gpuE3ELNS1_3repE0EEENS1_36merge_oddeven_config_static_selectorELNS0_4arch9wavefront6targetE0EEEvSM_.kd
    .uniform_work_group_size: 1
    .uses_dynamic_stack: false
    .vgpr_count:     18
    .vgpr_spill_count: 0
    .wavefront_size: 32
    .workgroup_processor_mode: 1
  - .args:
      - .offset:         0
        .size:           64
        .value_kind:     by_value
    .group_segment_fixed_size: 0
    .kernarg_segment_align: 8
    .kernarg_segment_size: 64
    .language:       OpenCL C
    .language_version:
      - 2
      - 0
    .max_flat_workgroup_size: 256
    .name:           _ZN7rocprim17ROCPRIM_400000_NS6detail17trampoline_kernelINS0_14default_configENS1_38merge_sort_block_merge_config_selectorIlNS0_10empty_typeEEEZZNS1_27merge_sort_block_merge_implIS3_PlPS5_mZN2at6native12_GLOBAL__N_124unique_dim_cuda_templateIbEESt5tupleIJNSA_6TensorESF_SF_EERKSF_lbbbEUlllE_EE10hipError_tT0_T1_T2_jT3_P12ihipStream_tbPNSt15iterator_traitsISL_E10value_typeEPNSR_ISM_E10value_typeEPSN_NS1_7vsmem_tEENKUlT_SL_SM_SN_E_clIS8_S8_S9_S9_EESK_S10_SL_SM_SN_EUlS10_E1_NS1_11comp_targetILNS1_3genE8ELNS1_11target_archE1030ELNS1_3gpuE2ELNS1_3repE0EEENS1_36merge_oddeven_config_static_selectorELNS0_4arch9wavefront6targetE0EEEvSM_
    .private_segment_fixed_size: 0
    .sgpr_count:     0
    .sgpr_spill_count: 0
    .symbol:         _ZN7rocprim17ROCPRIM_400000_NS6detail17trampoline_kernelINS0_14default_configENS1_38merge_sort_block_merge_config_selectorIlNS0_10empty_typeEEEZZNS1_27merge_sort_block_merge_implIS3_PlPS5_mZN2at6native12_GLOBAL__N_124unique_dim_cuda_templateIbEESt5tupleIJNSA_6TensorESF_SF_EERKSF_lbbbEUlllE_EE10hipError_tT0_T1_T2_jT3_P12ihipStream_tbPNSt15iterator_traitsISL_E10value_typeEPNSR_ISM_E10value_typeEPSN_NS1_7vsmem_tEENKUlT_SL_SM_SN_E_clIS8_S8_S9_S9_EESK_S10_SL_SM_SN_EUlS10_E1_NS1_11comp_targetILNS1_3genE8ELNS1_11target_archE1030ELNS1_3gpuE2ELNS1_3repE0EEENS1_36merge_oddeven_config_static_selectorELNS0_4arch9wavefront6targetE0EEEvSM_.kd
    .uniform_work_group_size: 1
    .uses_dynamic_stack: false
    .vgpr_count:     0
    .vgpr_spill_count: 0
    .wavefront_size: 32
    .workgroup_processor_mode: 1
  - .args:
      - .offset:         0
        .size:           64
        .value_kind:     by_value
    .group_segment_fixed_size: 0
    .kernarg_segment_align: 8
    .kernarg_segment_size: 64
    .language:       OpenCL C
    .language_version:
      - 2
      - 0
    .max_flat_workgroup_size: 128
    .name:           _ZN7rocprim17ROCPRIM_400000_NS6detail17trampoline_kernelINS0_14default_configENS1_35adjacent_difference_config_selectorILb0ElEEZNS1_24adjacent_difference_implIS3_Lb0ELb0EPlS7_ZN2at6native12_GLOBAL__N_124unique_dim_cuda_templateIbEESt5tupleIJNS8_6TensorESD_SD_EERKSD_lbbbEUlllE1_EE10hipError_tPvRmT2_T3_mT4_P12ihipStream_tbEUlT_E_NS1_11comp_targetILNS1_3genE0ELNS1_11target_archE4294967295ELNS1_3gpuE0ELNS1_3repE0EEENS1_30default_config_static_selectorELNS0_4arch9wavefront6targetE0EEEvT1_
    .private_segment_fixed_size: 0
    .sgpr_count:     0
    .sgpr_spill_count: 0
    .symbol:         _ZN7rocprim17ROCPRIM_400000_NS6detail17trampoline_kernelINS0_14default_configENS1_35adjacent_difference_config_selectorILb0ElEEZNS1_24adjacent_difference_implIS3_Lb0ELb0EPlS7_ZN2at6native12_GLOBAL__N_124unique_dim_cuda_templateIbEESt5tupleIJNS8_6TensorESD_SD_EERKSD_lbbbEUlllE1_EE10hipError_tPvRmT2_T3_mT4_P12ihipStream_tbEUlT_E_NS1_11comp_targetILNS1_3genE0ELNS1_11target_archE4294967295ELNS1_3gpuE0ELNS1_3repE0EEENS1_30default_config_static_selectorELNS0_4arch9wavefront6targetE0EEEvT1_.kd
    .uniform_work_group_size: 1
    .uses_dynamic_stack: false
    .vgpr_count:     0
    .vgpr_spill_count: 0
    .wavefront_size: 32
    .workgroup_processor_mode: 1
  - .args:
      - .offset:         0
        .size:           64
        .value_kind:     by_value
    .group_segment_fixed_size: 0
    .kernarg_segment_align: 8
    .kernarg_segment_size: 64
    .language:       OpenCL C
    .language_version:
      - 2
      - 0
    .max_flat_workgroup_size: 128
    .name:           _ZN7rocprim17ROCPRIM_400000_NS6detail17trampoline_kernelINS0_14default_configENS1_35adjacent_difference_config_selectorILb0ElEEZNS1_24adjacent_difference_implIS3_Lb0ELb0EPlS7_ZN2at6native12_GLOBAL__N_124unique_dim_cuda_templateIbEESt5tupleIJNS8_6TensorESD_SD_EERKSD_lbbbEUlllE1_EE10hipError_tPvRmT2_T3_mT4_P12ihipStream_tbEUlT_E_NS1_11comp_targetILNS1_3genE10ELNS1_11target_archE1201ELNS1_3gpuE5ELNS1_3repE0EEENS1_30default_config_static_selectorELNS0_4arch9wavefront6targetE0EEEvT1_
    .private_segment_fixed_size: 0
    .sgpr_count:     0
    .sgpr_spill_count: 0
    .symbol:         _ZN7rocprim17ROCPRIM_400000_NS6detail17trampoline_kernelINS0_14default_configENS1_35adjacent_difference_config_selectorILb0ElEEZNS1_24adjacent_difference_implIS3_Lb0ELb0EPlS7_ZN2at6native12_GLOBAL__N_124unique_dim_cuda_templateIbEESt5tupleIJNS8_6TensorESD_SD_EERKSD_lbbbEUlllE1_EE10hipError_tPvRmT2_T3_mT4_P12ihipStream_tbEUlT_E_NS1_11comp_targetILNS1_3genE10ELNS1_11target_archE1201ELNS1_3gpuE5ELNS1_3repE0EEENS1_30default_config_static_selectorELNS0_4arch9wavefront6targetE0EEEvT1_.kd
    .uniform_work_group_size: 1
    .uses_dynamic_stack: false
    .vgpr_count:     0
    .vgpr_spill_count: 0
    .wavefront_size: 32
    .workgroup_processor_mode: 1
  - .args:
      - .offset:         0
        .size:           64
        .value_kind:     by_value
    .group_segment_fixed_size: 0
    .kernarg_segment_align: 8
    .kernarg_segment_size: 64
    .language:       OpenCL C
    .language_version:
      - 2
      - 0
    .max_flat_workgroup_size: 64
    .name:           _ZN7rocprim17ROCPRIM_400000_NS6detail17trampoline_kernelINS0_14default_configENS1_35adjacent_difference_config_selectorILb0ElEEZNS1_24adjacent_difference_implIS3_Lb0ELb0EPlS7_ZN2at6native12_GLOBAL__N_124unique_dim_cuda_templateIbEESt5tupleIJNS8_6TensorESD_SD_EERKSD_lbbbEUlllE1_EE10hipError_tPvRmT2_T3_mT4_P12ihipStream_tbEUlT_E_NS1_11comp_targetILNS1_3genE5ELNS1_11target_archE942ELNS1_3gpuE9ELNS1_3repE0EEENS1_30default_config_static_selectorELNS0_4arch9wavefront6targetE0EEEvT1_
    .private_segment_fixed_size: 0
    .sgpr_count:     0
    .sgpr_spill_count: 0
    .symbol:         _ZN7rocprim17ROCPRIM_400000_NS6detail17trampoline_kernelINS0_14default_configENS1_35adjacent_difference_config_selectorILb0ElEEZNS1_24adjacent_difference_implIS3_Lb0ELb0EPlS7_ZN2at6native12_GLOBAL__N_124unique_dim_cuda_templateIbEESt5tupleIJNS8_6TensorESD_SD_EERKSD_lbbbEUlllE1_EE10hipError_tPvRmT2_T3_mT4_P12ihipStream_tbEUlT_E_NS1_11comp_targetILNS1_3genE5ELNS1_11target_archE942ELNS1_3gpuE9ELNS1_3repE0EEENS1_30default_config_static_selectorELNS0_4arch9wavefront6targetE0EEEvT1_.kd
    .uniform_work_group_size: 1
    .uses_dynamic_stack: false
    .vgpr_count:     0
    .vgpr_spill_count: 0
    .wavefront_size: 32
    .workgroup_processor_mode: 1
  - .args:
      - .offset:         0
        .size:           64
        .value_kind:     by_value
    .group_segment_fixed_size: 0
    .kernarg_segment_align: 8
    .kernarg_segment_size: 64
    .language:       OpenCL C
    .language_version:
      - 2
      - 0
    .max_flat_workgroup_size: 256
    .name:           _ZN7rocprim17ROCPRIM_400000_NS6detail17trampoline_kernelINS0_14default_configENS1_35adjacent_difference_config_selectorILb0ElEEZNS1_24adjacent_difference_implIS3_Lb0ELb0EPlS7_ZN2at6native12_GLOBAL__N_124unique_dim_cuda_templateIbEESt5tupleIJNS8_6TensorESD_SD_EERKSD_lbbbEUlllE1_EE10hipError_tPvRmT2_T3_mT4_P12ihipStream_tbEUlT_E_NS1_11comp_targetILNS1_3genE4ELNS1_11target_archE910ELNS1_3gpuE8ELNS1_3repE0EEENS1_30default_config_static_selectorELNS0_4arch9wavefront6targetE0EEEvT1_
    .private_segment_fixed_size: 0
    .sgpr_count:     0
    .sgpr_spill_count: 0
    .symbol:         _ZN7rocprim17ROCPRIM_400000_NS6detail17trampoline_kernelINS0_14default_configENS1_35adjacent_difference_config_selectorILb0ElEEZNS1_24adjacent_difference_implIS3_Lb0ELb0EPlS7_ZN2at6native12_GLOBAL__N_124unique_dim_cuda_templateIbEESt5tupleIJNS8_6TensorESD_SD_EERKSD_lbbbEUlllE1_EE10hipError_tPvRmT2_T3_mT4_P12ihipStream_tbEUlT_E_NS1_11comp_targetILNS1_3genE4ELNS1_11target_archE910ELNS1_3gpuE8ELNS1_3repE0EEENS1_30default_config_static_selectorELNS0_4arch9wavefront6targetE0EEEvT1_.kd
    .uniform_work_group_size: 1
    .uses_dynamic_stack: false
    .vgpr_count:     0
    .vgpr_spill_count: 0
    .wavefront_size: 32
    .workgroup_processor_mode: 1
  - .args:
      - .offset:         0
        .size:           64
        .value_kind:     by_value
    .group_segment_fixed_size: 0
    .kernarg_segment_align: 8
    .kernarg_segment_size: 64
    .language:       OpenCL C
    .language_version:
      - 2
      - 0
    .max_flat_workgroup_size: 128
    .name:           _ZN7rocprim17ROCPRIM_400000_NS6detail17trampoline_kernelINS0_14default_configENS1_35adjacent_difference_config_selectorILb0ElEEZNS1_24adjacent_difference_implIS3_Lb0ELb0EPlS7_ZN2at6native12_GLOBAL__N_124unique_dim_cuda_templateIbEESt5tupleIJNS8_6TensorESD_SD_EERKSD_lbbbEUlllE1_EE10hipError_tPvRmT2_T3_mT4_P12ihipStream_tbEUlT_E_NS1_11comp_targetILNS1_3genE3ELNS1_11target_archE908ELNS1_3gpuE7ELNS1_3repE0EEENS1_30default_config_static_selectorELNS0_4arch9wavefront6targetE0EEEvT1_
    .private_segment_fixed_size: 0
    .sgpr_count:     0
    .sgpr_spill_count: 0
    .symbol:         _ZN7rocprim17ROCPRIM_400000_NS6detail17trampoline_kernelINS0_14default_configENS1_35adjacent_difference_config_selectorILb0ElEEZNS1_24adjacent_difference_implIS3_Lb0ELb0EPlS7_ZN2at6native12_GLOBAL__N_124unique_dim_cuda_templateIbEESt5tupleIJNS8_6TensorESD_SD_EERKSD_lbbbEUlllE1_EE10hipError_tPvRmT2_T3_mT4_P12ihipStream_tbEUlT_E_NS1_11comp_targetILNS1_3genE3ELNS1_11target_archE908ELNS1_3gpuE7ELNS1_3repE0EEENS1_30default_config_static_selectorELNS0_4arch9wavefront6targetE0EEEvT1_.kd
    .uniform_work_group_size: 1
    .uses_dynamic_stack: false
    .vgpr_count:     0
    .vgpr_spill_count: 0
    .wavefront_size: 32
    .workgroup_processor_mode: 1
  - .args:
      - .offset:         0
        .size:           64
        .value_kind:     by_value
    .group_segment_fixed_size: 0
    .kernarg_segment_align: 8
    .kernarg_segment_size: 64
    .language:       OpenCL C
    .language_version:
      - 2
      - 0
    .max_flat_workgroup_size: 128
    .name:           _ZN7rocprim17ROCPRIM_400000_NS6detail17trampoline_kernelINS0_14default_configENS1_35adjacent_difference_config_selectorILb0ElEEZNS1_24adjacent_difference_implIS3_Lb0ELb0EPlS7_ZN2at6native12_GLOBAL__N_124unique_dim_cuda_templateIbEESt5tupleIJNS8_6TensorESD_SD_EERKSD_lbbbEUlllE1_EE10hipError_tPvRmT2_T3_mT4_P12ihipStream_tbEUlT_E_NS1_11comp_targetILNS1_3genE2ELNS1_11target_archE906ELNS1_3gpuE6ELNS1_3repE0EEENS1_30default_config_static_selectorELNS0_4arch9wavefront6targetE0EEEvT1_
    .private_segment_fixed_size: 0
    .sgpr_count:     0
    .sgpr_spill_count: 0
    .symbol:         _ZN7rocprim17ROCPRIM_400000_NS6detail17trampoline_kernelINS0_14default_configENS1_35adjacent_difference_config_selectorILb0ElEEZNS1_24adjacent_difference_implIS3_Lb0ELb0EPlS7_ZN2at6native12_GLOBAL__N_124unique_dim_cuda_templateIbEESt5tupleIJNS8_6TensorESD_SD_EERKSD_lbbbEUlllE1_EE10hipError_tPvRmT2_T3_mT4_P12ihipStream_tbEUlT_E_NS1_11comp_targetILNS1_3genE2ELNS1_11target_archE906ELNS1_3gpuE6ELNS1_3repE0EEENS1_30default_config_static_selectorELNS0_4arch9wavefront6targetE0EEEvT1_.kd
    .uniform_work_group_size: 1
    .uses_dynamic_stack: false
    .vgpr_count:     0
    .vgpr_spill_count: 0
    .wavefront_size: 32
    .workgroup_processor_mode: 1
  - .args:
      - .offset:         0
        .size:           64
        .value_kind:     by_value
    .group_segment_fixed_size: 8192
    .kernarg_segment_align: 8
    .kernarg_segment_size: 64
    .language:       OpenCL C
    .language_version:
      - 2
      - 0
    .max_flat_workgroup_size: 512
    .name:           _ZN7rocprim17ROCPRIM_400000_NS6detail17trampoline_kernelINS0_14default_configENS1_35adjacent_difference_config_selectorILb0ElEEZNS1_24adjacent_difference_implIS3_Lb0ELb0EPlS7_ZN2at6native12_GLOBAL__N_124unique_dim_cuda_templateIbEESt5tupleIJNS8_6TensorESD_SD_EERKSD_lbbbEUlllE1_EE10hipError_tPvRmT2_T3_mT4_P12ihipStream_tbEUlT_E_NS1_11comp_targetILNS1_3genE9ELNS1_11target_archE1100ELNS1_3gpuE3ELNS1_3repE0EEENS1_30default_config_static_selectorELNS0_4arch9wavefront6targetE0EEEvT1_
    .private_segment_fixed_size: 0
    .sgpr_count:     27
    .sgpr_spill_count: 0
    .symbol:         _ZN7rocprim17ROCPRIM_400000_NS6detail17trampoline_kernelINS0_14default_configENS1_35adjacent_difference_config_selectorILb0ElEEZNS1_24adjacent_difference_implIS3_Lb0ELb0EPlS7_ZN2at6native12_GLOBAL__N_124unique_dim_cuda_templateIbEESt5tupleIJNS8_6TensorESD_SD_EERKSD_lbbbEUlllE1_EE10hipError_tPvRmT2_T3_mT4_P12ihipStream_tbEUlT_E_NS1_11comp_targetILNS1_3genE9ELNS1_11target_archE1100ELNS1_3gpuE3ELNS1_3repE0EEENS1_30default_config_static_selectorELNS0_4arch9wavefront6targetE0EEEvT1_.kd
    .uniform_work_group_size: 1
    .uses_dynamic_stack: false
    .vgpr_count:     13
    .vgpr_spill_count: 0
    .wavefront_size: 32
    .workgroup_processor_mode: 1
  - .args:
      - .offset:         0
        .size:           64
        .value_kind:     by_value
    .group_segment_fixed_size: 0
    .kernarg_segment_align: 8
    .kernarg_segment_size: 64
    .language:       OpenCL C
    .language_version:
      - 2
      - 0
    .max_flat_workgroup_size: 1024
    .name:           _ZN7rocprim17ROCPRIM_400000_NS6detail17trampoline_kernelINS0_14default_configENS1_35adjacent_difference_config_selectorILb0ElEEZNS1_24adjacent_difference_implIS3_Lb0ELb0EPlS7_ZN2at6native12_GLOBAL__N_124unique_dim_cuda_templateIbEESt5tupleIJNS8_6TensorESD_SD_EERKSD_lbbbEUlllE1_EE10hipError_tPvRmT2_T3_mT4_P12ihipStream_tbEUlT_E_NS1_11comp_targetILNS1_3genE8ELNS1_11target_archE1030ELNS1_3gpuE2ELNS1_3repE0EEENS1_30default_config_static_selectorELNS0_4arch9wavefront6targetE0EEEvT1_
    .private_segment_fixed_size: 0
    .sgpr_count:     0
    .sgpr_spill_count: 0
    .symbol:         _ZN7rocprim17ROCPRIM_400000_NS6detail17trampoline_kernelINS0_14default_configENS1_35adjacent_difference_config_selectorILb0ElEEZNS1_24adjacent_difference_implIS3_Lb0ELb0EPlS7_ZN2at6native12_GLOBAL__N_124unique_dim_cuda_templateIbEESt5tupleIJNS8_6TensorESD_SD_EERKSD_lbbbEUlllE1_EE10hipError_tPvRmT2_T3_mT4_P12ihipStream_tbEUlT_E_NS1_11comp_targetILNS1_3genE8ELNS1_11target_archE1030ELNS1_3gpuE2ELNS1_3repE0EEENS1_30default_config_static_selectorELNS0_4arch9wavefront6targetE0EEEvT1_.kd
    .uniform_work_group_size: 1
    .uses_dynamic_stack: false
    .vgpr_count:     0
    .vgpr_spill_count: 0
    .wavefront_size: 32
    .workgroup_processor_mode: 1
  - .args:
      - .offset:         0
        .size:           56
        .value_kind:     by_value
    .group_segment_fixed_size: 0
    .kernarg_segment_align: 8
    .kernarg_segment_size: 56
    .language:       OpenCL C
    .language_version:
      - 2
      - 0
    .max_flat_workgroup_size: 128
    .name:           _ZN7rocprim17ROCPRIM_400000_NS6detail17trampoline_kernelINS0_14default_configENS1_25transform_config_selectorIlLb0EEEZNS1_14transform_implILb0ES3_S5_NS0_18transform_iteratorINS0_17counting_iteratorImlEEZNS1_24adjacent_difference_implIS3_Lb1ELb0EPlSB_ZN2at6native12_GLOBAL__N_124unique_dim_cuda_templateIbEESt5tupleIJNSC_6TensorESH_SH_EERKSH_lbbbEUlllE1_EE10hipError_tPvRmT2_T3_mT4_P12ihipStream_tbEUlmE_lEESB_NS0_8identityIvEEEESM_SP_SQ_mSR_ST_bEUlT_E_NS1_11comp_targetILNS1_3genE0ELNS1_11target_archE4294967295ELNS1_3gpuE0ELNS1_3repE0EEENS1_30default_config_static_selectorELNS0_4arch9wavefront6targetE0EEEvT1_
    .private_segment_fixed_size: 0
    .sgpr_count:     0
    .sgpr_spill_count: 0
    .symbol:         _ZN7rocprim17ROCPRIM_400000_NS6detail17trampoline_kernelINS0_14default_configENS1_25transform_config_selectorIlLb0EEEZNS1_14transform_implILb0ES3_S5_NS0_18transform_iteratorINS0_17counting_iteratorImlEEZNS1_24adjacent_difference_implIS3_Lb1ELb0EPlSB_ZN2at6native12_GLOBAL__N_124unique_dim_cuda_templateIbEESt5tupleIJNSC_6TensorESH_SH_EERKSH_lbbbEUlllE1_EE10hipError_tPvRmT2_T3_mT4_P12ihipStream_tbEUlmE_lEESB_NS0_8identityIvEEEESM_SP_SQ_mSR_ST_bEUlT_E_NS1_11comp_targetILNS1_3genE0ELNS1_11target_archE4294967295ELNS1_3gpuE0ELNS1_3repE0EEENS1_30default_config_static_selectorELNS0_4arch9wavefront6targetE0EEEvT1_.kd
    .uniform_work_group_size: 1
    .uses_dynamic_stack: false
    .vgpr_count:     0
    .vgpr_spill_count: 0
    .wavefront_size: 32
    .workgroup_processor_mode: 1
  - .args:
      - .offset:         0
        .size:           56
        .value_kind:     by_value
    .group_segment_fixed_size: 0
    .kernarg_segment_align: 8
    .kernarg_segment_size: 56
    .language:       OpenCL C
    .language_version:
      - 2
      - 0
    .max_flat_workgroup_size: 512
    .name:           _ZN7rocprim17ROCPRIM_400000_NS6detail17trampoline_kernelINS0_14default_configENS1_25transform_config_selectorIlLb0EEEZNS1_14transform_implILb0ES3_S5_NS0_18transform_iteratorINS0_17counting_iteratorImlEEZNS1_24adjacent_difference_implIS3_Lb1ELb0EPlSB_ZN2at6native12_GLOBAL__N_124unique_dim_cuda_templateIbEESt5tupleIJNSC_6TensorESH_SH_EERKSH_lbbbEUlllE1_EE10hipError_tPvRmT2_T3_mT4_P12ihipStream_tbEUlmE_lEESB_NS0_8identityIvEEEESM_SP_SQ_mSR_ST_bEUlT_E_NS1_11comp_targetILNS1_3genE5ELNS1_11target_archE942ELNS1_3gpuE9ELNS1_3repE0EEENS1_30default_config_static_selectorELNS0_4arch9wavefront6targetE0EEEvT1_
    .private_segment_fixed_size: 0
    .sgpr_count:     0
    .sgpr_spill_count: 0
    .symbol:         _ZN7rocprim17ROCPRIM_400000_NS6detail17trampoline_kernelINS0_14default_configENS1_25transform_config_selectorIlLb0EEEZNS1_14transform_implILb0ES3_S5_NS0_18transform_iteratorINS0_17counting_iteratorImlEEZNS1_24adjacent_difference_implIS3_Lb1ELb0EPlSB_ZN2at6native12_GLOBAL__N_124unique_dim_cuda_templateIbEESt5tupleIJNSC_6TensorESH_SH_EERKSH_lbbbEUlllE1_EE10hipError_tPvRmT2_T3_mT4_P12ihipStream_tbEUlmE_lEESB_NS0_8identityIvEEEESM_SP_SQ_mSR_ST_bEUlT_E_NS1_11comp_targetILNS1_3genE5ELNS1_11target_archE942ELNS1_3gpuE9ELNS1_3repE0EEENS1_30default_config_static_selectorELNS0_4arch9wavefront6targetE0EEEvT1_.kd
    .uniform_work_group_size: 1
    .uses_dynamic_stack: false
    .vgpr_count:     0
    .vgpr_spill_count: 0
    .wavefront_size: 32
    .workgroup_processor_mode: 1
  - .args:
      - .offset:         0
        .size:           56
        .value_kind:     by_value
    .group_segment_fixed_size: 0
    .kernarg_segment_align: 8
    .kernarg_segment_size: 56
    .language:       OpenCL C
    .language_version:
      - 2
      - 0
    .max_flat_workgroup_size: 256
    .name:           _ZN7rocprim17ROCPRIM_400000_NS6detail17trampoline_kernelINS0_14default_configENS1_25transform_config_selectorIlLb0EEEZNS1_14transform_implILb0ES3_S5_NS0_18transform_iteratorINS0_17counting_iteratorImlEEZNS1_24adjacent_difference_implIS3_Lb1ELb0EPlSB_ZN2at6native12_GLOBAL__N_124unique_dim_cuda_templateIbEESt5tupleIJNSC_6TensorESH_SH_EERKSH_lbbbEUlllE1_EE10hipError_tPvRmT2_T3_mT4_P12ihipStream_tbEUlmE_lEESB_NS0_8identityIvEEEESM_SP_SQ_mSR_ST_bEUlT_E_NS1_11comp_targetILNS1_3genE4ELNS1_11target_archE910ELNS1_3gpuE8ELNS1_3repE0EEENS1_30default_config_static_selectorELNS0_4arch9wavefront6targetE0EEEvT1_
    .private_segment_fixed_size: 0
    .sgpr_count:     0
    .sgpr_spill_count: 0
    .symbol:         _ZN7rocprim17ROCPRIM_400000_NS6detail17trampoline_kernelINS0_14default_configENS1_25transform_config_selectorIlLb0EEEZNS1_14transform_implILb0ES3_S5_NS0_18transform_iteratorINS0_17counting_iteratorImlEEZNS1_24adjacent_difference_implIS3_Lb1ELb0EPlSB_ZN2at6native12_GLOBAL__N_124unique_dim_cuda_templateIbEESt5tupleIJNSC_6TensorESH_SH_EERKSH_lbbbEUlllE1_EE10hipError_tPvRmT2_T3_mT4_P12ihipStream_tbEUlmE_lEESB_NS0_8identityIvEEEESM_SP_SQ_mSR_ST_bEUlT_E_NS1_11comp_targetILNS1_3genE4ELNS1_11target_archE910ELNS1_3gpuE8ELNS1_3repE0EEENS1_30default_config_static_selectorELNS0_4arch9wavefront6targetE0EEEvT1_.kd
    .uniform_work_group_size: 1
    .uses_dynamic_stack: false
    .vgpr_count:     0
    .vgpr_spill_count: 0
    .wavefront_size: 32
    .workgroup_processor_mode: 1
  - .args:
      - .offset:         0
        .size:           56
        .value_kind:     by_value
    .group_segment_fixed_size: 0
    .kernarg_segment_align: 8
    .kernarg_segment_size: 56
    .language:       OpenCL C
    .language_version:
      - 2
      - 0
    .max_flat_workgroup_size: 128
    .name:           _ZN7rocprim17ROCPRIM_400000_NS6detail17trampoline_kernelINS0_14default_configENS1_25transform_config_selectorIlLb0EEEZNS1_14transform_implILb0ES3_S5_NS0_18transform_iteratorINS0_17counting_iteratorImlEEZNS1_24adjacent_difference_implIS3_Lb1ELb0EPlSB_ZN2at6native12_GLOBAL__N_124unique_dim_cuda_templateIbEESt5tupleIJNSC_6TensorESH_SH_EERKSH_lbbbEUlllE1_EE10hipError_tPvRmT2_T3_mT4_P12ihipStream_tbEUlmE_lEESB_NS0_8identityIvEEEESM_SP_SQ_mSR_ST_bEUlT_E_NS1_11comp_targetILNS1_3genE3ELNS1_11target_archE908ELNS1_3gpuE7ELNS1_3repE0EEENS1_30default_config_static_selectorELNS0_4arch9wavefront6targetE0EEEvT1_
    .private_segment_fixed_size: 0
    .sgpr_count:     0
    .sgpr_spill_count: 0
    .symbol:         _ZN7rocprim17ROCPRIM_400000_NS6detail17trampoline_kernelINS0_14default_configENS1_25transform_config_selectorIlLb0EEEZNS1_14transform_implILb0ES3_S5_NS0_18transform_iteratorINS0_17counting_iteratorImlEEZNS1_24adjacent_difference_implIS3_Lb1ELb0EPlSB_ZN2at6native12_GLOBAL__N_124unique_dim_cuda_templateIbEESt5tupleIJNSC_6TensorESH_SH_EERKSH_lbbbEUlllE1_EE10hipError_tPvRmT2_T3_mT4_P12ihipStream_tbEUlmE_lEESB_NS0_8identityIvEEEESM_SP_SQ_mSR_ST_bEUlT_E_NS1_11comp_targetILNS1_3genE3ELNS1_11target_archE908ELNS1_3gpuE7ELNS1_3repE0EEENS1_30default_config_static_selectorELNS0_4arch9wavefront6targetE0EEEvT1_.kd
    .uniform_work_group_size: 1
    .uses_dynamic_stack: false
    .vgpr_count:     0
    .vgpr_spill_count: 0
    .wavefront_size: 32
    .workgroup_processor_mode: 1
  - .args:
      - .offset:         0
        .size:           56
        .value_kind:     by_value
    .group_segment_fixed_size: 0
    .kernarg_segment_align: 8
    .kernarg_segment_size: 56
    .language:       OpenCL C
    .language_version:
      - 2
      - 0
    .max_flat_workgroup_size: 512
    .name:           _ZN7rocprim17ROCPRIM_400000_NS6detail17trampoline_kernelINS0_14default_configENS1_25transform_config_selectorIlLb0EEEZNS1_14transform_implILb0ES3_S5_NS0_18transform_iteratorINS0_17counting_iteratorImlEEZNS1_24adjacent_difference_implIS3_Lb1ELb0EPlSB_ZN2at6native12_GLOBAL__N_124unique_dim_cuda_templateIbEESt5tupleIJNSC_6TensorESH_SH_EERKSH_lbbbEUlllE1_EE10hipError_tPvRmT2_T3_mT4_P12ihipStream_tbEUlmE_lEESB_NS0_8identityIvEEEESM_SP_SQ_mSR_ST_bEUlT_E_NS1_11comp_targetILNS1_3genE2ELNS1_11target_archE906ELNS1_3gpuE6ELNS1_3repE0EEENS1_30default_config_static_selectorELNS0_4arch9wavefront6targetE0EEEvT1_
    .private_segment_fixed_size: 0
    .sgpr_count:     0
    .sgpr_spill_count: 0
    .symbol:         _ZN7rocprim17ROCPRIM_400000_NS6detail17trampoline_kernelINS0_14default_configENS1_25transform_config_selectorIlLb0EEEZNS1_14transform_implILb0ES3_S5_NS0_18transform_iteratorINS0_17counting_iteratorImlEEZNS1_24adjacent_difference_implIS3_Lb1ELb0EPlSB_ZN2at6native12_GLOBAL__N_124unique_dim_cuda_templateIbEESt5tupleIJNSC_6TensorESH_SH_EERKSH_lbbbEUlllE1_EE10hipError_tPvRmT2_T3_mT4_P12ihipStream_tbEUlmE_lEESB_NS0_8identityIvEEEESM_SP_SQ_mSR_ST_bEUlT_E_NS1_11comp_targetILNS1_3genE2ELNS1_11target_archE906ELNS1_3gpuE6ELNS1_3repE0EEENS1_30default_config_static_selectorELNS0_4arch9wavefront6targetE0EEEvT1_.kd
    .uniform_work_group_size: 1
    .uses_dynamic_stack: false
    .vgpr_count:     0
    .vgpr_spill_count: 0
    .wavefront_size: 32
    .workgroup_processor_mode: 1
  - .args:
      - .offset:         0
        .size:           56
        .value_kind:     by_value
    .group_segment_fixed_size: 0
    .kernarg_segment_align: 8
    .kernarg_segment_size: 56
    .language:       OpenCL C
    .language_version:
      - 2
      - 0
    .max_flat_workgroup_size: 1024
    .name:           _ZN7rocprim17ROCPRIM_400000_NS6detail17trampoline_kernelINS0_14default_configENS1_25transform_config_selectorIlLb0EEEZNS1_14transform_implILb0ES3_S5_NS0_18transform_iteratorINS0_17counting_iteratorImlEEZNS1_24adjacent_difference_implIS3_Lb1ELb0EPlSB_ZN2at6native12_GLOBAL__N_124unique_dim_cuda_templateIbEESt5tupleIJNSC_6TensorESH_SH_EERKSH_lbbbEUlllE1_EE10hipError_tPvRmT2_T3_mT4_P12ihipStream_tbEUlmE_lEESB_NS0_8identityIvEEEESM_SP_SQ_mSR_ST_bEUlT_E_NS1_11comp_targetILNS1_3genE10ELNS1_11target_archE1201ELNS1_3gpuE5ELNS1_3repE0EEENS1_30default_config_static_selectorELNS0_4arch9wavefront6targetE0EEEvT1_
    .private_segment_fixed_size: 0
    .sgpr_count:     0
    .sgpr_spill_count: 0
    .symbol:         _ZN7rocprim17ROCPRIM_400000_NS6detail17trampoline_kernelINS0_14default_configENS1_25transform_config_selectorIlLb0EEEZNS1_14transform_implILb0ES3_S5_NS0_18transform_iteratorINS0_17counting_iteratorImlEEZNS1_24adjacent_difference_implIS3_Lb1ELb0EPlSB_ZN2at6native12_GLOBAL__N_124unique_dim_cuda_templateIbEESt5tupleIJNSC_6TensorESH_SH_EERKSH_lbbbEUlllE1_EE10hipError_tPvRmT2_T3_mT4_P12ihipStream_tbEUlmE_lEESB_NS0_8identityIvEEEESM_SP_SQ_mSR_ST_bEUlT_E_NS1_11comp_targetILNS1_3genE10ELNS1_11target_archE1201ELNS1_3gpuE5ELNS1_3repE0EEENS1_30default_config_static_selectorELNS0_4arch9wavefront6targetE0EEEvT1_.kd
    .uniform_work_group_size: 1
    .uses_dynamic_stack: false
    .vgpr_count:     0
    .vgpr_spill_count: 0
    .wavefront_size: 32
    .workgroup_processor_mode: 1
  - .args:
      - .offset:         0
        .size:           56
        .value_kind:     by_value
    .group_segment_fixed_size: 0
    .kernarg_segment_align: 8
    .kernarg_segment_size: 56
    .language:       OpenCL C
    .language_version:
      - 2
      - 0
    .max_flat_workgroup_size: 512
    .name:           _ZN7rocprim17ROCPRIM_400000_NS6detail17trampoline_kernelINS0_14default_configENS1_25transform_config_selectorIlLb0EEEZNS1_14transform_implILb0ES3_S5_NS0_18transform_iteratorINS0_17counting_iteratorImlEEZNS1_24adjacent_difference_implIS3_Lb1ELb0EPlSB_ZN2at6native12_GLOBAL__N_124unique_dim_cuda_templateIbEESt5tupleIJNSC_6TensorESH_SH_EERKSH_lbbbEUlllE1_EE10hipError_tPvRmT2_T3_mT4_P12ihipStream_tbEUlmE_lEESB_NS0_8identityIvEEEESM_SP_SQ_mSR_ST_bEUlT_E_NS1_11comp_targetILNS1_3genE10ELNS1_11target_archE1200ELNS1_3gpuE4ELNS1_3repE0EEENS1_30default_config_static_selectorELNS0_4arch9wavefront6targetE0EEEvT1_
    .private_segment_fixed_size: 0
    .sgpr_count:     0
    .sgpr_spill_count: 0
    .symbol:         _ZN7rocprim17ROCPRIM_400000_NS6detail17trampoline_kernelINS0_14default_configENS1_25transform_config_selectorIlLb0EEEZNS1_14transform_implILb0ES3_S5_NS0_18transform_iteratorINS0_17counting_iteratorImlEEZNS1_24adjacent_difference_implIS3_Lb1ELb0EPlSB_ZN2at6native12_GLOBAL__N_124unique_dim_cuda_templateIbEESt5tupleIJNSC_6TensorESH_SH_EERKSH_lbbbEUlllE1_EE10hipError_tPvRmT2_T3_mT4_P12ihipStream_tbEUlmE_lEESB_NS0_8identityIvEEEESM_SP_SQ_mSR_ST_bEUlT_E_NS1_11comp_targetILNS1_3genE10ELNS1_11target_archE1200ELNS1_3gpuE4ELNS1_3repE0EEENS1_30default_config_static_selectorELNS0_4arch9wavefront6targetE0EEEvT1_.kd
    .uniform_work_group_size: 1
    .uses_dynamic_stack: false
    .vgpr_count:     0
    .vgpr_spill_count: 0
    .wavefront_size: 32
    .workgroup_processor_mode: 1
  - .args:
      - .offset:         0
        .size:           56
        .value_kind:     by_value
      - .offset:         56
        .size:           4
        .value_kind:     hidden_block_count_x
      - .offset:         60
        .size:           4
        .value_kind:     hidden_block_count_y
      - .offset:         64
        .size:           4
        .value_kind:     hidden_block_count_z
      - .offset:         68
        .size:           2
        .value_kind:     hidden_group_size_x
      - .offset:         70
        .size:           2
        .value_kind:     hidden_group_size_y
      - .offset:         72
        .size:           2
        .value_kind:     hidden_group_size_z
      - .offset:         74
        .size:           2
        .value_kind:     hidden_remainder_x
      - .offset:         76
        .size:           2
        .value_kind:     hidden_remainder_y
      - .offset:         78
        .size:           2
        .value_kind:     hidden_remainder_z
      - .offset:         96
        .size:           8
        .value_kind:     hidden_global_offset_x
      - .offset:         104
        .size:           8
        .value_kind:     hidden_global_offset_y
      - .offset:         112
        .size:           8
        .value_kind:     hidden_global_offset_z
      - .offset:         120
        .size:           2
        .value_kind:     hidden_grid_dims
    .group_segment_fixed_size: 0
    .kernarg_segment_align: 8
    .kernarg_segment_size: 312
    .language:       OpenCL C
    .language_version:
      - 2
      - 0
    .max_flat_workgroup_size: 512
    .name:           _ZN7rocprim17ROCPRIM_400000_NS6detail17trampoline_kernelINS0_14default_configENS1_25transform_config_selectorIlLb0EEEZNS1_14transform_implILb0ES3_S5_NS0_18transform_iteratorINS0_17counting_iteratorImlEEZNS1_24adjacent_difference_implIS3_Lb1ELb0EPlSB_ZN2at6native12_GLOBAL__N_124unique_dim_cuda_templateIbEESt5tupleIJNSC_6TensorESH_SH_EERKSH_lbbbEUlllE1_EE10hipError_tPvRmT2_T3_mT4_P12ihipStream_tbEUlmE_lEESB_NS0_8identityIvEEEESM_SP_SQ_mSR_ST_bEUlT_E_NS1_11comp_targetILNS1_3genE9ELNS1_11target_archE1100ELNS1_3gpuE3ELNS1_3repE0EEENS1_30default_config_static_selectorELNS0_4arch9wavefront6targetE0EEEvT1_
    .private_segment_fixed_size: 0
    .sgpr_count:     18
    .sgpr_spill_count: 0
    .symbol:         _ZN7rocprim17ROCPRIM_400000_NS6detail17trampoline_kernelINS0_14default_configENS1_25transform_config_selectorIlLb0EEEZNS1_14transform_implILb0ES3_S5_NS0_18transform_iteratorINS0_17counting_iteratorImlEEZNS1_24adjacent_difference_implIS3_Lb1ELb0EPlSB_ZN2at6native12_GLOBAL__N_124unique_dim_cuda_templateIbEESt5tupleIJNSC_6TensorESH_SH_EERKSH_lbbbEUlllE1_EE10hipError_tPvRmT2_T3_mT4_P12ihipStream_tbEUlmE_lEESB_NS0_8identityIvEEEESM_SP_SQ_mSR_ST_bEUlT_E_NS1_11comp_targetILNS1_3genE9ELNS1_11target_archE1100ELNS1_3gpuE3ELNS1_3repE0EEENS1_30default_config_static_selectorELNS0_4arch9wavefront6targetE0EEEvT1_.kd
    .uniform_work_group_size: 1
    .uses_dynamic_stack: false
    .vgpr_count:     6
    .vgpr_spill_count: 0
    .wavefront_size: 32
    .workgroup_processor_mode: 1
  - .args:
      - .offset:         0
        .size:           56
        .value_kind:     by_value
    .group_segment_fixed_size: 0
    .kernarg_segment_align: 8
    .kernarg_segment_size: 56
    .language:       OpenCL C
    .language_version:
      - 2
      - 0
    .max_flat_workgroup_size: 512
    .name:           _ZN7rocprim17ROCPRIM_400000_NS6detail17trampoline_kernelINS0_14default_configENS1_25transform_config_selectorIlLb0EEEZNS1_14transform_implILb0ES3_S5_NS0_18transform_iteratorINS0_17counting_iteratorImlEEZNS1_24adjacent_difference_implIS3_Lb1ELb0EPlSB_ZN2at6native12_GLOBAL__N_124unique_dim_cuda_templateIbEESt5tupleIJNSC_6TensorESH_SH_EERKSH_lbbbEUlllE1_EE10hipError_tPvRmT2_T3_mT4_P12ihipStream_tbEUlmE_lEESB_NS0_8identityIvEEEESM_SP_SQ_mSR_ST_bEUlT_E_NS1_11comp_targetILNS1_3genE8ELNS1_11target_archE1030ELNS1_3gpuE2ELNS1_3repE0EEENS1_30default_config_static_selectorELNS0_4arch9wavefront6targetE0EEEvT1_
    .private_segment_fixed_size: 0
    .sgpr_count:     0
    .sgpr_spill_count: 0
    .symbol:         _ZN7rocprim17ROCPRIM_400000_NS6detail17trampoline_kernelINS0_14default_configENS1_25transform_config_selectorIlLb0EEEZNS1_14transform_implILb0ES3_S5_NS0_18transform_iteratorINS0_17counting_iteratorImlEEZNS1_24adjacent_difference_implIS3_Lb1ELb0EPlSB_ZN2at6native12_GLOBAL__N_124unique_dim_cuda_templateIbEESt5tupleIJNSC_6TensorESH_SH_EERKSH_lbbbEUlllE1_EE10hipError_tPvRmT2_T3_mT4_P12ihipStream_tbEUlmE_lEESB_NS0_8identityIvEEEESM_SP_SQ_mSR_ST_bEUlT_E_NS1_11comp_targetILNS1_3genE8ELNS1_11target_archE1030ELNS1_3gpuE2ELNS1_3repE0EEENS1_30default_config_static_selectorELNS0_4arch9wavefront6targetE0EEEvT1_.kd
    .uniform_work_group_size: 1
    .uses_dynamic_stack: false
    .vgpr_count:     0
    .vgpr_spill_count: 0
    .wavefront_size: 32
    .workgroup_processor_mode: 1
  - .args:
      - .offset:         0
        .size:           64
        .value_kind:     by_value
    .group_segment_fixed_size: 0
    .kernarg_segment_align: 8
    .kernarg_segment_size: 64
    .language:       OpenCL C
    .language_version:
      - 2
      - 0
    .max_flat_workgroup_size: 512
    .name:           _ZN7rocprim17ROCPRIM_400000_NS6detail17trampoline_kernelINS0_14default_configENS1_35adjacent_difference_config_selectorILb1ElEEZNS1_24adjacent_difference_implIS3_Lb1ELb0EPlS7_ZN2at6native12_GLOBAL__N_124unique_dim_cuda_templateIbEESt5tupleIJNS8_6TensorESD_SD_EERKSD_lbbbEUlllE1_EE10hipError_tPvRmT2_T3_mT4_P12ihipStream_tbEUlT_E_NS1_11comp_targetILNS1_3genE0ELNS1_11target_archE4294967295ELNS1_3gpuE0ELNS1_3repE0EEENS1_30default_config_static_selectorELNS0_4arch9wavefront6targetE0EEEvT1_
    .private_segment_fixed_size: 0
    .sgpr_count:     0
    .sgpr_spill_count: 0
    .symbol:         _ZN7rocprim17ROCPRIM_400000_NS6detail17trampoline_kernelINS0_14default_configENS1_35adjacent_difference_config_selectorILb1ElEEZNS1_24adjacent_difference_implIS3_Lb1ELb0EPlS7_ZN2at6native12_GLOBAL__N_124unique_dim_cuda_templateIbEESt5tupleIJNS8_6TensorESD_SD_EERKSD_lbbbEUlllE1_EE10hipError_tPvRmT2_T3_mT4_P12ihipStream_tbEUlT_E_NS1_11comp_targetILNS1_3genE0ELNS1_11target_archE4294967295ELNS1_3gpuE0ELNS1_3repE0EEENS1_30default_config_static_selectorELNS0_4arch9wavefront6targetE0EEEvT1_.kd
    .uniform_work_group_size: 1
    .uses_dynamic_stack: false
    .vgpr_count:     0
    .vgpr_spill_count: 0
    .wavefront_size: 32
    .workgroup_processor_mode: 1
  - .args:
      - .offset:         0
        .size:           64
        .value_kind:     by_value
    .group_segment_fixed_size: 0
    .kernarg_segment_align: 8
    .kernarg_segment_size: 64
    .language:       OpenCL C
    .language_version:
      - 2
      - 0
    .max_flat_workgroup_size: 32
    .name:           _ZN7rocprim17ROCPRIM_400000_NS6detail17trampoline_kernelINS0_14default_configENS1_35adjacent_difference_config_selectorILb1ElEEZNS1_24adjacent_difference_implIS3_Lb1ELb0EPlS7_ZN2at6native12_GLOBAL__N_124unique_dim_cuda_templateIbEESt5tupleIJNS8_6TensorESD_SD_EERKSD_lbbbEUlllE1_EE10hipError_tPvRmT2_T3_mT4_P12ihipStream_tbEUlT_E_NS1_11comp_targetILNS1_3genE10ELNS1_11target_archE1201ELNS1_3gpuE5ELNS1_3repE0EEENS1_30default_config_static_selectorELNS0_4arch9wavefront6targetE0EEEvT1_
    .private_segment_fixed_size: 0
    .sgpr_count:     0
    .sgpr_spill_count: 0
    .symbol:         _ZN7rocprim17ROCPRIM_400000_NS6detail17trampoline_kernelINS0_14default_configENS1_35adjacent_difference_config_selectorILb1ElEEZNS1_24adjacent_difference_implIS3_Lb1ELb0EPlS7_ZN2at6native12_GLOBAL__N_124unique_dim_cuda_templateIbEESt5tupleIJNS8_6TensorESD_SD_EERKSD_lbbbEUlllE1_EE10hipError_tPvRmT2_T3_mT4_P12ihipStream_tbEUlT_E_NS1_11comp_targetILNS1_3genE10ELNS1_11target_archE1201ELNS1_3gpuE5ELNS1_3repE0EEENS1_30default_config_static_selectorELNS0_4arch9wavefront6targetE0EEEvT1_.kd
    .uniform_work_group_size: 1
    .uses_dynamic_stack: false
    .vgpr_count:     0
    .vgpr_spill_count: 0
    .wavefront_size: 32
    .workgroup_processor_mode: 1
  - .args:
      - .offset:         0
        .size:           64
        .value_kind:     by_value
    .group_segment_fixed_size: 0
    .kernarg_segment_align: 8
    .kernarg_segment_size: 64
    .language:       OpenCL C
    .language_version:
      - 2
      - 0
    .max_flat_workgroup_size: 256
    .name:           _ZN7rocprim17ROCPRIM_400000_NS6detail17trampoline_kernelINS0_14default_configENS1_35adjacent_difference_config_selectorILb1ElEEZNS1_24adjacent_difference_implIS3_Lb1ELb0EPlS7_ZN2at6native12_GLOBAL__N_124unique_dim_cuda_templateIbEESt5tupleIJNS8_6TensorESD_SD_EERKSD_lbbbEUlllE1_EE10hipError_tPvRmT2_T3_mT4_P12ihipStream_tbEUlT_E_NS1_11comp_targetILNS1_3genE5ELNS1_11target_archE942ELNS1_3gpuE9ELNS1_3repE0EEENS1_30default_config_static_selectorELNS0_4arch9wavefront6targetE0EEEvT1_
    .private_segment_fixed_size: 0
    .sgpr_count:     0
    .sgpr_spill_count: 0
    .symbol:         _ZN7rocprim17ROCPRIM_400000_NS6detail17trampoline_kernelINS0_14default_configENS1_35adjacent_difference_config_selectorILb1ElEEZNS1_24adjacent_difference_implIS3_Lb1ELb0EPlS7_ZN2at6native12_GLOBAL__N_124unique_dim_cuda_templateIbEESt5tupleIJNS8_6TensorESD_SD_EERKSD_lbbbEUlllE1_EE10hipError_tPvRmT2_T3_mT4_P12ihipStream_tbEUlT_E_NS1_11comp_targetILNS1_3genE5ELNS1_11target_archE942ELNS1_3gpuE9ELNS1_3repE0EEENS1_30default_config_static_selectorELNS0_4arch9wavefront6targetE0EEEvT1_.kd
    .uniform_work_group_size: 1
    .uses_dynamic_stack: false
    .vgpr_count:     0
    .vgpr_spill_count: 0
    .wavefront_size: 32
    .workgroup_processor_mode: 1
  - .args:
      - .offset:         0
        .size:           64
        .value_kind:     by_value
    .group_segment_fixed_size: 0
    .kernarg_segment_align: 8
    .kernarg_segment_size: 64
    .language:       OpenCL C
    .language_version:
      - 2
      - 0
    .max_flat_workgroup_size: 512
    .name:           _ZN7rocprim17ROCPRIM_400000_NS6detail17trampoline_kernelINS0_14default_configENS1_35adjacent_difference_config_selectorILb1ElEEZNS1_24adjacent_difference_implIS3_Lb1ELb0EPlS7_ZN2at6native12_GLOBAL__N_124unique_dim_cuda_templateIbEESt5tupleIJNS8_6TensorESD_SD_EERKSD_lbbbEUlllE1_EE10hipError_tPvRmT2_T3_mT4_P12ihipStream_tbEUlT_E_NS1_11comp_targetILNS1_3genE4ELNS1_11target_archE910ELNS1_3gpuE8ELNS1_3repE0EEENS1_30default_config_static_selectorELNS0_4arch9wavefront6targetE0EEEvT1_
    .private_segment_fixed_size: 0
    .sgpr_count:     0
    .sgpr_spill_count: 0
    .symbol:         _ZN7rocprim17ROCPRIM_400000_NS6detail17trampoline_kernelINS0_14default_configENS1_35adjacent_difference_config_selectorILb1ElEEZNS1_24adjacent_difference_implIS3_Lb1ELb0EPlS7_ZN2at6native12_GLOBAL__N_124unique_dim_cuda_templateIbEESt5tupleIJNS8_6TensorESD_SD_EERKSD_lbbbEUlllE1_EE10hipError_tPvRmT2_T3_mT4_P12ihipStream_tbEUlT_E_NS1_11comp_targetILNS1_3genE4ELNS1_11target_archE910ELNS1_3gpuE8ELNS1_3repE0EEENS1_30default_config_static_selectorELNS0_4arch9wavefront6targetE0EEEvT1_.kd
    .uniform_work_group_size: 1
    .uses_dynamic_stack: false
    .vgpr_count:     0
    .vgpr_spill_count: 0
    .wavefront_size: 32
    .workgroup_processor_mode: 1
  - .args:
      - .offset:         0
        .size:           64
        .value_kind:     by_value
    .group_segment_fixed_size: 0
    .kernarg_segment_align: 8
    .kernarg_segment_size: 64
    .language:       OpenCL C
    .language_version:
      - 2
      - 0
    .max_flat_workgroup_size: 512
    .name:           _ZN7rocprim17ROCPRIM_400000_NS6detail17trampoline_kernelINS0_14default_configENS1_35adjacent_difference_config_selectorILb1ElEEZNS1_24adjacent_difference_implIS3_Lb1ELb0EPlS7_ZN2at6native12_GLOBAL__N_124unique_dim_cuda_templateIbEESt5tupleIJNS8_6TensorESD_SD_EERKSD_lbbbEUlllE1_EE10hipError_tPvRmT2_T3_mT4_P12ihipStream_tbEUlT_E_NS1_11comp_targetILNS1_3genE3ELNS1_11target_archE908ELNS1_3gpuE7ELNS1_3repE0EEENS1_30default_config_static_selectorELNS0_4arch9wavefront6targetE0EEEvT1_
    .private_segment_fixed_size: 0
    .sgpr_count:     0
    .sgpr_spill_count: 0
    .symbol:         _ZN7rocprim17ROCPRIM_400000_NS6detail17trampoline_kernelINS0_14default_configENS1_35adjacent_difference_config_selectorILb1ElEEZNS1_24adjacent_difference_implIS3_Lb1ELb0EPlS7_ZN2at6native12_GLOBAL__N_124unique_dim_cuda_templateIbEESt5tupleIJNS8_6TensorESD_SD_EERKSD_lbbbEUlllE1_EE10hipError_tPvRmT2_T3_mT4_P12ihipStream_tbEUlT_E_NS1_11comp_targetILNS1_3genE3ELNS1_11target_archE908ELNS1_3gpuE7ELNS1_3repE0EEENS1_30default_config_static_selectorELNS0_4arch9wavefront6targetE0EEEvT1_.kd
    .uniform_work_group_size: 1
    .uses_dynamic_stack: false
    .vgpr_count:     0
    .vgpr_spill_count: 0
    .wavefront_size: 32
    .workgroup_processor_mode: 1
  - .args:
      - .offset:         0
        .size:           64
        .value_kind:     by_value
    .group_segment_fixed_size: 0
    .kernarg_segment_align: 8
    .kernarg_segment_size: 64
    .language:       OpenCL C
    .language_version:
      - 2
      - 0
    .max_flat_workgroup_size: 128
    .name:           _ZN7rocprim17ROCPRIM_400000_NS6detail17trampoline_kernelINS0_14default_configENS1_35adjacent_difference_config_selectorILb1ElEEZNS1_24adjacent_difference_implIS3_Lb1ELb0EPlS7_ZN2at6native12_GLOBAL__N_124unique_dim_cuda_templateIbEESt5tupleIJNS8_6TensorESD_SD_EERKSD_lbbbEUlllE1_EE10hipError_tPvRmT2_T3_mT4_P12ihipStream_tbEUlT_E_NS1_11comp_targetILNS1_3genE2ELNS1_11target_archE906ELNS1_3gpuE6ELNS1_3repE0EEENS1_30default_config_static_selectorELNS0_4arch9wavefront6targetE0EEEvT1_
    .private_segment_fixed_size: 0
    .sgpr_count:     0
    .sgpr_spill_count: 0
    .symbol:         _ZN7rocprim17ROCPRIM_400000_NS6detail17trampoline_kernelINS0_14default_configENS1_35adjacent_difference_config_selectorILb1ElEEZNS1_24adjacent_difference_implIS3_Lb1ELb0EPlS7_ZN2at6native12_GLOBAL__N_124unique_dim_cuda_templateIbEESt5tupleIJNS8_6TensorESD_SD_EERKSD_lbbbEUlllE1_EE10hipError_tPvRmT2_T3_mT4_P12ihipStream_tbEUlT_E_NS1_11comp_targetILNS1_3genE2ELNS1_11target_archE906ELNS1_3gpuE6ELNS1_3repE0EEENS1_30default_config_static_selectorELNS0_4arch9wavefront6targetE0EEEvT1_.kd
    .uniform_work_group_size: 1
    .uses_dynamic_stack: false
    .vgpr_count:     0
    .vgpr_spill_count: 0
    .wavefront_size: 32
    .workgroup_processor_mode: 1
  - .args:
      - .offset:         0
        .size:           64
        .value_kind:     by_value
    .group_segment_fixed_size: 29696
    .kernarg_segment_align: 8
    .kernarg_segment_size: 64
    .language:       OpenCL C
    .language_version:
      - 2
      - 0
    .max_flat_workgroup_size: 128
    .name:           _ZN7rocprim17ROCPRIM_400000_NS6detail17trampoline_kernelINS0_14default_configENS1_35adjacent_difference_config_selectorILb1ElEEZNS1_24adjacent_difference_implIS3_Lb1ELb0EPlS7_ZN2at6native12_GLOBAL__N_124unique_dim_cuda_templateIbEESt5tupleIJNS8_6TensorESD_SD_EERKSD_lbbbEUlllE1_EE10hipError_tPvRmT2_T3_mT4_P12ihipStream_tbEUlT_E_NS1_11comp_targetILNS1_3genE9ELNS1_11target_archE1100ELNS1_3gpuE3ELNS1_3repE0EEENS1_30default_config_static_selectorELNS0_4arch9wavefront6targetE0EEEvT1_
    .private_segment_fixed_size: 0
    .sgpr_count:     32
    .sgpr_spill_count: 0
    .symbol:         _ZN7rocprim17ROCPRIM_400000_NS6detail17trampoline_kernelINS0_14default_configENS1_35adjacent_difference_config_selectorILb1ElEEZNS1_24adjacent_difference_implIS3_Lb1ELb0EPlS7_ZN2at6native12_GLOBAL__N_124unique_dim_cuda_templateIbEESt5tupleIJNS8_6TensorESD_SD_EERKSD_lbbbEUlllE1_EE10hipError_tPvRmT2_T3_mT4_P12ihipStream_tbEUlT_E_NS1_11comp_targetILNS1_3genE9ELNS1_11target_archE1100ELNS1_3gpuE3ELNS1_3repE0EEENS1_30default_config_static_selectorELNS0_4arch9wavefront6targetE0EEEvT1_.kd
    .uniform_work_group_size: 1
    .uses_dynamic_stack: false
    .vgpr_count:     142
    .vgpr_spill_count: 0
    .wavefront_size: 32
    .workgroup_processor_mode: 1
  - .args:
      - .offset:         0
        .size:           64
        .value_kind:     by_value
    .group_segment_fixed_size: 0
    .kernarg_segment_align: 8
    .kernarg_segment_size: 64
    .language:       OpenCL C
    .language_version:
      - 2
      - 0
    .max_flat_workgroup_size: 32
    .name:           _ZN7rocprim17ROCPRIM_400000_NS6detail17trampoline_kernelINS0_14default_configENS1_35adjacent_difference_config_selectorILb1ElEEZNS1_24adjacent_difference_implIS3_Lb1ELb0EPlS7_ZN2at6native12_GLOBAL__N_124unique_dim_cuda_templateIbEESt5tupleIJNS8_6TensorESD_SD_EERKSD_lbbbEUlllE1_EE10hipError_tPvRmT2_T3_mT4_P12ihipStream_tbEUlT_E_NS1_11comp_targetILNS1_3genE8ELNS1_11target_archE1030ELNS1_3gpuE2ELNS1_3repE0EEENS1_30default_config_static_selectorELNS0_4arch9wavefront6targetE0EEEvT1_
    .private_segment_fixed_size: 0
    .sgpr_count:     0
    .sgpr_spill_count: 0
    .symbol:         _ZN7rocprim17ROCPRIM_400000_NS6detail17trampoline_kernelINS0_14default_configENS1_35adjacent_difference_config_selectorILb1ElEEZNS1_24adjacent_difference_implIS3_Lb1ELb0EPlS7_ZN2at6native12_GLOBAL__N_124unique_dim_cuda_templateIbEESt5tupleIJNS8_6TensorESD_SD_EERKSD_lbbbEUlllE1_EE10hipError_tPvRmT2_T3_mT4_P12ihipStream_tbEUlT_E_NS1_11comp_targetILNS1_3genE8ELNS1_11target_archE1030ELNS1_3gpuE2ELNS1_3repE0EEENS1_30default_config_static_selectorELNS0_4arch9wavefront6targetE0EEEvT1_.kd
    .uniform_work_group_size: 1
    .uses_dynamic_stack: false
    .vgpr_count:     0
    .vgpr_spill_count: 0
    .wavefront_size: 32
    .workgroup_processor_mode: 1
  - .args:
      - .offset:         0
        .size:           120
        .value_kind:     by_value
    .group_segment_fixed_size: 0
    .kernarg_segment_align: 8
    .kernarg_segment_size: 120
    .language:       OpenCL C
    .language_version:
      - 2
      - 0
    .max_flat_workgroup_size: 512
    .name:           _ZN7rocprim17ROCPRIM_400000_NS6detail17trampoline_kernelINS0_14default_configENS1_25partition_config_selectorILNS1_17partition_subalgoE8ElNS0_10empty_typeEbEEZZNS1_14partition_implILS5_8ELb0ES3_jPlPS6_PKS6_NS0_5tupleIJS9_S6_EEENSD_IJSA_SA_EEENS0_18inequality_wrapperIZN2at6native12_GLOBAL__N_124unique_dim_cuda_templateIbEESt5tupleIJNSH_6TensorESM_SM_EERKSM_lbbbEUlllE0_EEPmJS6_EEE10hipError_tPvRmT3_T4_T5_T6_T7_T9_mT8_P12ihipStream_tbDpT10_ENKUlT_T0_E_clISt17integral_constantIbLb0EES1C_EEDaS17_S18_EUlS17_E_NS1_11comp_targetILNS1_3genE0ELNS1_11target_archE4294967295ELNS1_3gpuE0ELNS1_3repE0EEENS1_30default_config_static_selectorELNS0_4arch9wavefront6targetE0EEEvT1_
    .private_segment_fixed_size: 0
    .sgpr_count:     0
    .sgpr_spill_count: 0
    .symbol:         _ZN7rocprim17ROCPRIM_400000_NS6detail17trampoline_kernelINS0_14default_configENS1_25partition_config_selectorILNS1_17partition_subalgoE8ElNS0_10empty_typeEbEEZZNS1_14partition_implILS5_8ELb0ES3_jPlPS6_PKS6_NS0_5tupleIJS9_S6_EEENSD_IJSA_SA_EEENS0_18inequality_wrapperIZN2at6native12_GLOBAL__N_124unique_dim_cuda_templateIbEESt5tupleIJNSH_6TensorESM_SM_EERKSM_lbbbEUlllE0_EEPmJS6_EEE10hipError_tPvRmT3_T4_T5_T6_T7_T9_mT8_P12ihipStream_tbDpT10_ENKUlT_T0_E_clISt17integral_constantIbLb0EES1C_EEDaS17_S18_EUlS17_E_NS1_11comp_targetILNS1_3genE0ELNS1_11target_archE4294967295ELNS1_3gpuE0ELNS1_3repE0EEENS1_30default_config_static_selectorELNS0_4arch9wavefront6targetE0EEEvT1_.kd
    .uniform_work_group_size: 1
    .uses_dynamic_stack: false
    .vgpr_count:     0
    .vgpr_spill_count: 0
    .wavefront_size: 32
    .workgroup_processor_mode: 1
  - .args:
      - .offset:         0
        .size:           120
        .value_kind:     by_value
    .group_segment_fixed_size: 0
    .kernarg_segment_align: 8
    .kernarg_segment_size: 120
    .language:       OpenCL C
    .language_version:
      - 2
      - 0
    .max_flat_workgroup_size: 512
    .name:           _ZN7rocprim17ROCPRIM_400000_NS6detail17trampoline_kernelINS0_14default_configENS1_25partition_config_selectorILNS1_17partition_subalgoE8ElNS0_10empty_typeEbEEZZNS1_14partition_implILS5_8ELb0ES3_jPlPS6_PKS6_NS0_5tupleIJS9_S6_EEENSD_IJSA_SA_EEENS0_18inequality_wrapperIZN2at6native12_GLOBAL__N_124unique_dim_cuda_templateIbEESt5tupleIJNSH_6TensorESM_SM_EERKSM_lbbbEUlllE0_EEPmJS6_EEE10hipError_tPvRmT3_T4_T5_T6_T7_T9_mT8_P12ihipStream_tbDpT10_ENKUlT_T0_E_clISt17integral_constantIbLb0EES1C_EEDaS17_S18_EUlS17_E_NS1_11comp_targetILNS1_3genE5ELNS1_11target_archE942ELNS1_3gpuE9ELNS1_3repE0EEENS1_30default_config_static_selectorELNS0_4arch9wavefront6targetE0EEEvT1_
    .private_segment_fixed_size: 0
    .sgpr_count:     0
    .sgpr_spill_count: 0
    .symbol:         _ZN7rocprim17ROCPRIM_400000_NS6detail17trampoline_kernelINS0_14default_configENS1_25partition_config_selectorILNS1_17partition_subalgoE8ElNS0_10empty_typeEbEEZZNS1_14partition_implILS5_8ELb0ES3_jPlPS6_PKS6_NS0_5tupleIJS9_S6_EEENSD_IJSA_SA_EEENS0_18inequality_wrapperIZN2at6native12_GLOBAL__N_124unique_dim_cuda_templateIbEESt5tupleIJNSH_6TensorESM_SM_EERKSM_lbbbEUlllE0_EEPmJS6_EEE10hipError_tPvRmT3_T4_T5_T6_T7_T9_mT8_P12ihipStream_tbDpT10_ENKUlT_T0_E_clISt17integral_constantIbLb0EES1C_EEDaS17_S18_EUlS17_E_NS1_11comp_targetILNS1_3genE5ELNS1_11target_archE942ELNS1_3gpuE9ELNS1_3repE0EEENS1_30default_config_static_selectorELNS0_4arch9wavefront6targetE0EEEvT1_.kd
    .uniform_work_group_size: 1
    .uses_dynamic_stack: false
    .vgpr_count:     0
    .vgpr_spill_count: 0
    .wavefront_size: 32
    .workgroup_processor_mode: 1
  - .args:
      - .offset:         0
        .size:           120
        .value_kind:     by_value
    .group_segment_fixed_size: 0
    .kernarg_segment_align: 8
    .kernarg_segment_size: 120
    .language:       OpenCL C
    .language_version:
      - 2
      - 0
    .max_flat_workgroup_size: 256
    .name:           _ZN7rocprim17ROCPRIM_400000_NS6detail17trampoline_kernelINS0_14default_configENS1_25partition_config_selectorILNS1_17partition_subalgoE8ElNS0_10empty_typeEbEEZZNS1_14partition_implILS5_8ELb0ES3_jPlPS6_PKS6_NS0_5tupleIJS9_S6_EEENSD_IJSA_SA_EEENS0_18inequality_wrapperIZN2at6native12_GLOBAL__N_124unique_dim_cuda_templateIbEESt5tupleIJNSH_6TensorESM_SM_EERKSM_lbbbEUlllE0_EEPmJS6_EEE10hipError_tPvRmT3_T4_T5_T6_T7_T9_mT8_P12ihipStream_tbDpT10_ENKUlT_T0_E_clISt17integral_constantIbLb0EES1C_EEDaS17_S18_EUlS17_E_NS1_11comp_targetILNS1_3genE4ELNS1_11target_archE910ELNS1_3gpuE8ELNS1_3repE0EEENS1_30default_config_static_selectorELNS0_4arch9wavefront6targetE0EEEvT1_
    .private_segment_fixed_size: 0
    .sgpr_count:     0
    .sgpr_spill_count: 0
    .symbol:         _ZN7rocprim17ROCPRIM_400000_NS6detail17trampoline_kernelINS0_14default_configENS1_25partition_config_selectorILNS1_17partition_subalgoE8ElNS0_10empty_typeEbEEZZNS1_14partition_implILS5_8ELb0ES3_jPlPS6_PKS6_NS0_5tupleIJS9_S6_EEENSD_IJSA_SA_EEENS0_18inequality_wrapperIZN2at6native12_GLOBAL__N_124unique_dim_cuda_templateIbEESt5tupleIJNSH_6TensorESM_SM_EERKSM_lbbbEUlllE0_EEPmJS6_EEE10hipError_tPvRmT3_T4_T5_T6_T7_T9_mT8_P12ihipStream_tbDpT10_ENKUlT_T0_E_clISt17integral_constantIbLb0EES1C_EEDaS17_S18_EUlS17_E_NS1_11comp_targetILNS1_3genE4ELNS1_11target_archE910ELNS1_3gpuE8ELNS1_3repE0EEENS1_30default_config_static_selectorELNS0_4arch9wavefront6targetE0EEEvT1_.kd
    .uniform_work_group_size: 1
    .uses_dynamic_stack: false
    .vgpr_count:     0
    .vgpr_spill_count: 0
    .wavefront_size: 32
    .workgroup_processor_mode: 1
  - .args:
      - .offset:         0
        .size:           120
        .value_kind:     by_value
    .group_segment_fixed_size: 0
    .kernarg_segment_align: 8
    .kernarg_segment_size: 120
    .language:       OpenCL C
    .language_version:
      - 2
      - 0
    .max_flat_workgroup_size: 512
    .name:           _ZN7rocprim17ROCPRIM_400000_NS6detail17trampoline_kernelINS0_14default_configENS1_25partition_config_selectorILNS1_17partition_subalgoE8ElNS0_10empty_typeEbEEZZNS1_14partition_implILS5_8ELb0ES3_jPlPS6_PKS6_NS0_5tupleIJS9_S6_EEENSD_IJSA_SA_EEENS0_18inequality_wrapperIZN2at6native12_GLOBAL__N_124unique_dim_cuda_templateIbEESt5tupleIJNSH_6TensorESM_SM_EERKSM_lbbbEUlllE0_EEPmJS6_EEE10hipError_tPvRmT3_T4_T5_T6_T7_T9_mT8_P12ihipStream_tbDpT10_ENKUlT_T0_E_clISt17integral_constantIbLb0EES1C_EEDaS17_S18_EUlS17_E_NS1_11comp_targetILNS1_3genE3ELNS1_11target_archE908ELNS1_3gpuE7ELNS1_3repE0EEENS1_30default_config_static_selectorELNS0_4arch9wavefront6targetE0EEEvT1_
    .private_segment_fixed_size: 0
    .sgpr_count:     0
    .sgpr_spill_count: 0
    .symbol:         _ZN7rocprim17ROCPRIM_400000_NS6detail17trampoline_kernelINS0_14default_configENS1_25partition_config_selectorILNS1_17partition_subalgoE8ElNS0_10empty_typeEbEEZZNS1_14partition_implILS5_8ELb0ES3_jPlPS6_PKS6_NS0_5tupleIJS9_S6_EEENSD_IJSA_SA_EEENS0_18inequality_wrapperIZN2at6native12_GLOBAL__N_124unique_dim_cuda_templateIbEESt5tupleIJNSH_6TensorESM_SM_EERKSM_lbbbEUlllE0_EEPmJS6_EEE10hipError_tPvRmT3_T4_T5_T6_T7_T9_mT8_P12ihipStream_tbDpT10_ENKUlT_T0_E_clISt17integral_constantIbLb0EES1C_EEDaS17_S18_EUlS17_E_NS1_11comp_targetILNS1_3genE3ELNS1_11target_archE908ELNS1_3gpuE7ELNS1_3repE0EEENS1_30default_config_static_selectorELNS0_4arch9wavefront6targetE0EEEvT1_.kd
    .uniform_work_group_size: 1
    .uses_dynamic_stack: false
    .vgpr_count:     0
    .vgpr_spill_count: 0
    .wavefront_size: 32
    .workgroup_processor_mode: 1
  - .args:
      - .offset:         0
        .size:           120
        .value_kind:     by_value
    .group_segment_fixed_size: 0
    .kernarg_segment_align: 8
    .kernarg_segment_size: 120
    .language:       OpenCL C
    .language_version:
      - 2
      - 0
    .max_flat_workgroup_size: 256
    .name:           _ZN7rocprim17ROCPRIM_400000_NS6detail17trampoline_kernelINS0_14default_configENS1_25partition_config_selectorILNS1_17partition_subalgoE8ElNS0_10empty_typeEbEEZZNS1_14partition_implILS5_8ELb0ES3_jPlPS6_PKS6_NS0_5tupleIJS9_S6_EEENSD_IJSA_SA_EEENS0_18inequality_wrapperIZN2at6native12_GLOBAL__N_124unique_dim_cuda_templateIbEESt5tupleIJNSH_6TensorESM_SM_EERKSM_lbbbEUlllE0_EEPmJS6_EEE10hipError_tPvRmT3_T4_T5_T6_T7_T9_mT8_P12ihipStream_tbDpT10_ENKUlT_T0_E_clISt17integral_constantIbLb0EES1C_EEDaS17_S18_EUlS17_E_NS1_11comp_targetILNS1_3genE2ELNS1_11target_archE906ELNS1_3gpuE6ELNS1_3repE0EEENS1_30default_config_static_selectorELNS0_4arch9wavefront6targetE0EEEvT1_
    .private_segment_fixed_size: 0
    .sgpr_count:     0
    .sgpr_spill_count: 0
    .symbol:         _ZN7rocprim17ROCPRIM_400000_NS6detail17trampoline_kernelINS0_14default_configENS1_25partition_config_selectorILNS1_17partition_subalgoE8ElNS0_10empty_typeEbEEZZNS1_14partition_implILS5_8ELb0ES3_jPlPS6_PKS6_NS0_5tupleIJS9_S6_EEENSD_IJSA_SA_EEENS0_18inequality_wrapperIZN2at6native12_GLOBAL__N_124unique_dim_cuda_templateIbEESt5tupleIJNSH_6TensorESM_SM_EERKSM_lbbbEUlllE0_EEPmJS6_EEE10hipError_tPvRmT3_T4_T5_T6_T7_T9_mT8_P12ihipStream_tbDpT10_ENKUlT_T0_E_clISt17integral_constantIbLb0EES1C_EEDaS17_S18_EUlS17_E_NS1_11comp_targetILNS1_3genE2ELNS1_11target_archE906ELNS1_3gpuE6ELNS1_3repE0EEENS1_30default_config_static_selectorELNS0_4arch9wavefront6targetE0EEEvT1_.kd
    .uniform_work_group_size: 1
    .uses_dynamic_stack: false
    .vgpr_count:     0
    .vgpr_spill_count: 0
    .wavefront_size: 32
    .workgroup_processor_mode: 1
  - .args:
      - .offset:         0
        .size:           120
        .value_kind:     by_value
    .group_segment_fixed_size: 0
    .kernarg_segment_align: 8
    .kernarg_segment_size: 120
    .language:       OpenCL C
    .language_version:
      - 2
      - 0
    .max_flat_workgroup_size: 384
    .name:           _ZN7rocprim17ROCPRIM_400000_NS6detail17trampoline_kernelINS0_14default_configENS1_25partition_config_selectorILNS1_17partition_subalgoE8ElNS0_10empty_typeEbEEZZNS1_14partition_implILS5_8ELb0ES3_jPlPS6_PKS6_NS0_5tupleIJS9_S6_EEENSD_IJSA_SA_EEENS0_18inequality_wrapperIZN2at6native12_GLOBAL__N_124unique_dim_cuda_templateIbEESt5tupleIJNSH_6TensorESM_SM_EERKSM_lbbbEUlllE0_EEPmJS6_EEE10hipError_tPvRmT3_T4_T5_T6_T7_T9_mT8_P12ihipStream_tbDpT10_ENKUlT_T0_E_clISt17integral_constantIbLb0EES1C_EEDaS17_S18_EUlS17_E_NS1_11comp_targetILNS1_3genE10ELNS1_11target_archE1200ELNS1_3gpuE4ELNS1_3repE0EEENS1_30default_config_static_selectorELNS0_4arch9wavefront6targetE0EEEvT1_
    .private_segment_fixed_size: 0
    .sgpr_count:     0
    .sgpr_spill_count: 0
    .symbol:         _ZN7rocprim17ROCPRIM_400000_NS6detail17trampoline_kernelINS0_14default_configENS1_25partition_config_selectorILNS1_17partition_subalgoE8ElNS0_10empty_typeEbEEZZNS1_14partition_implILS5_8ELb0ES3_jPlPS6_PKS6_NS0_5tupleIJS9_S6_EEENSD_IJSA_SA_EEENS0_18inequality_wrapperIZN2at6native12_GLOBAL__N_124unique_dim_cuda_templateIbEESt5tupleIJNSH_6TensorESM_SM_EERKSM_lbbbEUlllE0_EEPmJS6_EEE10hipError_tPvRmT3_T4_T5_T6_T7_T9_mT8_P12ihipStream_tbDpT10_ENKUlT_T0_E_clISt17integral_constantIbLb0EES1C_EEDaS17_S18_EUlS17_E_NS1_11comp_targetILNS1_3genE10ELNS1_11target_archE1200ELNS1_3gpuE4ELNS1_3repE0EEENS1_30default_config_static_selectorELNS0_4arch9wavefront6targetE0EEEvT1_.kd
    .uniform_work_group_size: 1
    .uses_dynamic_stack: false
    .vgpr_count:     0
    .vgpr_spill_count: 0
    .wavefront_size: 32
    .workgroup_processor_mode: 1
  - .args:
      - .offset:         0
        .size:           120
        .value_kind:     by_value
    .group_segment_fixed_size: 33804
    .kernarg_segment_align: 8
    .kernarg_segment_size: 120
    .language:       OpenCL C
    .language_version:
      - 2
      - 0
    .max_flat_workgroup_size: 512
    .name:           _ZN7rocprim17ROCPRIM_400000_NS6detail17trampoline_kernelINS0_14default_configENS1_25partition_config_selectorILNS1_17partition_subalgoE8ElNS0_10empty_typeEbEEZZNS1_14partition_implILS5_8ELb0ES3_jPlPS6_PKS6_NS0_5tupleIJS9_S6_EEENSD_IJSA_SA_EEENS0_18inequality_wrapperIZN2at6native12_GLOBAL__N_124unique_dim_cuda_templateIbEESt5tupleIJNSH_6TensorESM_SM_EERKSM_lbbbEUlllE0_EEPmJS6_EEE10hipError_tPvRmT3_T4_T5_T6_T7_T9_mT8_P12ihipStream_tbDpT10_ENKUlT_T0_E_clISt17integral_constantIbLb0EES1C_EEDaS17_S18_EUlS17_E_NS1_11comp_targetILNS1_3genE9ELNS1_11target_archE1100ELNS1_3gpuE3ELNS1_3repE0EEENS1_30default_config_static_selectorELNS0_4arch9wavefront6targetE0EEEvT1_
    .private_segment_fixed_size: 0
    .sgpr_count:     39
    .sgpr_spill_count: 0
    .symbol:         _ZN7rocprim17ROCPRIM_400000_NS6detail17trampoline_kernelINS0_14default_configENS1_25partition_config_selectorILNS1_17partition_subalgoE8ElNS0_10empty_typeEbEEZZNS1_14partition_implILS5_8ELb0ES3_jPlPS6_PKS6_NS0_5tupleIJS9_S6_EEENSD_IJSA_SA_EEENS0_18inequality_wrapperIZN2at6native12_GLOBAL__N_124unique_dim_cuda_templateIbEESt5tupleIJNSH_6TensorESM_SM_EERKSM_lbbbEUlllE0_EEPmJS6_EEE10hipError_tPvRmT3_T4_T5_T6_T7_T9_mT8_P12ihipStream_tbDpT10_ENKUlT_T0_E_clISt17integral_constantIbLb0EES1C_EEDaS17_S18_EUlS17_E_NS1_11comp_targetILNS1_3genE9ELNS1_11target_archE1100ELNS1_3gpuE3ELNS1_3repE0EEENS1_30default_config_static_selectorELNS0_4arch9wavefront6targetE0EEEvT1_.kd
    .uniform_work_group_size: 1
    .uses_dynamic_stack: false
    .vgpr_count:     52
    .vgpr_spill_count: 0
    .wavefront_size: 32
    .workgroup_processor_mode: 1
  - .args:
      - .offset:         0
        .size:           120
        .value_kind:     by_value
    .group_segment_fixed_size: 0
    .kernarg_segment_align: 8
    .kernarg_segment_size: 120
    .language:       OpenCL C
    .language_version:
      - 2
      - 0
    .max_flat_workgroup_size: 512
    .name:           _ZN7rocprim17ROCPRIM_400000_NS6detail17trampoline_kernelINS0_14default_configENS1_25partition_config_selectorILNS1_17partition_subalgoE8ElNS0_10empty_typeEbEEZZNS1_14partition_implILS5_8ELb0ES3_jPlPS6_PKS6_NS0_5tupleIJS9_S6_EEENSD_IJSA_SA_EEENS0_18inequality_wrapperIZN2at6native12_GLOBAL__N_124unique_dim_cuda_templateIbEESt5tupleIJNSH_6TensorESM_SM_EERKSM_lbbbEUlllE0_EEPmJS6_EEE10hipError_tPvRmT3_T4_T5_T6_T7_T9_mT8_P12ihipStream_tbDpT10_ENKUlT_T0_E_clISt17integral_constantIbLb0EES1C_EEDaS17_S18_EUlS17_E_NS1_11comp_targetILNS1_3genE8ELNS1_11target_archE1030ELNS1_3gpuE2ELNS1_3repE0EEENS1_30default_config_static_selectorELNS0_4arch9wavefront6targetE0EEEvT1_
    .private_segment_fixed_size: 0
    .sgpr_count:     0
    .sgpr_spill_count: 0
    .symbol:         _ZN7rocprim17ROCPRIM_400000_NS6detail17trampoline_kernelINS0_14default_configENS1_25partition_config_selectorILNS1_17partition_subalgoE8ElNS0_10empty_typeEbEEZZNS1_14partition_implILS5_8ELb0ES3_jPlPS6_PKS6_NS0_5tupleIJS9_S6_EEENSD_IJSA_SA_EEENS0_18inequality_wrapperIZN2at6native12_GLOBAL__N_124unique_dim_cuda_templateIbEESt5tupleIJNSH_6TensorESM_SM_EERKSM_lbbbEUlllE0_EEPmJS6_EEE10hipError_tPvRmT3_T4_T5_T6_T7_T9_mT8_P12ihipStream_tbDpT10_ENKUlT_T0_E_clISt17integral_constantIbLb0EES1C_EEDaS17_S18_EUlS17_E_NS1_11comp_targetILNS1_3genE8ELNS1_11target_archE1030ELNS1_3gpuE2ELNS1_3repE0EEENS1_30default_config_static_selectorELNS0_4arch9wavefront6targetE0EEEvT1_.kd
    .uniform_work_group_size: 1
    .uses_dynamic_stack: false
    .vgpr_count:     0
    .vgpr_spill_count: 0
    .wavefront_size: 32
    .workgroup_processor_mode: 1
  - .args:
      - .offset:         0
        .size:           136
        .value_kind:     by_value
    .group_segment_fixed_size: 0
    .kernarg_segment_align: 8
    .kernarg_segment_size: 136
    .language:       OpenCL C
    .language_version:
      - 2
      - 0
    .max_flat_workgroup_size: 512
    .name:           _ZN7rocprim17ROCPRIM_400000_NS6detail17trampoline_kernelINS0_14default_configENS1_25partition_config_selectorILNS1_17partition_subalgoE8ElNS0_10empty_typeEbEEZZNS1_14partition_implILS5_8ELb0ES3_jPlPS6_PKS6_NS0_5tupleIJS9_S6_EEENSD_IJSA_SA_EEENS0_18inequality_wrapperIZN2at6native12_GLOBAL__N_124unique_dim_cuda_templateIbEESt5tupleIJNSH_6TensorESM_SM_EERKSM_lbbbEUlllE0_EEPmJS6_EEE10hipError_tPvRmT3_T4_T5_T6_T7_T9_mT8_P12ihipStream_tbDpT10_ENKUlT_T0_E_clISt17integral_constantIbLb1EES1C_EEDaS17_S18_EUlS17_E_NS1_11comp_targetILNS1_3genE0ELNS1_11target_archE4294967295ELNS1_3gpuE0ELNS1_3repE0EEENS1_30default_config_static_selectorELNS0_4arch9wavefront6targetE0EEEvT1_
    .private_segment_fixed_size: 0
    .sgpr_count:     0
    .sgpr_spill_count: 0
    .symbol:         _ZN7rocprim17ROCPRIM_400000_NS6detail17trampoline_kernelINS0_14default_configENS1_25partition_config_selectorILNS1_17partition_subalgoE8ElNS0_10empty_typeEbEEZZNS1_14partition_implILS5_8ELb0ES3_jPlPS6_PKS6_NS0_5tupleIJS9_S6_EEENSD_IJSA_SA_EEENS0_18inequality_wrapperIZN2at6native12_GLOBAL__N_124unique_dim_cuda_templateIbEESt5tupleIJNSH_6TensorESM_SM_EERKSM_lbbbEUlllE0_EEPmJS6_EEE10hipError_tPvRmT3_T4_T5_T6_T7_T9_mT8_P12ihipStream_tbDpT10_ENKUlT_T0_E_clISt17integral_constantIbLb1EES1C_EEDaS17_S18_EUlS17_E_NS1_11comp_targetILNS1_3genE0ELNS1_11target_archE4294967295ELNS1_3gpuE0ELNS1_3repE0EEENS1_30default_config_static_selectorELNS0_4arch9wavefront6targetE0EEEvT1_.kd
    .uniform_work_group_size: 1
    .uses_dynamic_stack: false
    .vgpr_count:     0
    .vgpr_spill_count: 0
    .wavefront_size: 32
    .workgroup_processor_mode: 1
  - .args:
      - .offset:         0
        .size:           136
        .value_kind:     by_value
    .group_segment_fixed_size: 0
    .kernarg_segment_align: 8
    .kernarg_segment_size: 136
    .language:       OpenCL C
    .language_version:
      - 2
      - 0
    .max_flat_workgroup_size: 512
    .name:           _ZN7rocprim17ROCPRIM_400000_NS6detail17trampoline_kernelINS0_14default_configENS1_25partition_config_selectorILNS1_17partition_subalgoE8ElNS0_10empty_typeEbEEZZNS1_14partition_implILS5_8ELb0ES3_jPlPS6_PKS6_NS0_5tupleIJS9_S6_EEENSD_IJSA_SA_EEENS0_18inequality_wrapperIZN2at6native12_GLOBAL__N_124unique_dim_cuda_templateIbEESt5tupleIJNSH_6TensorESM_SM_EERKSM_lbbbEUlllE0_EEPmJS6_EEE10hipError_tPvRmT3_T4_T5_T6_T7_T9_mT8_P12ihipStream_tbDpT10_ENKUlT_T0_E_clISt17integral_constantIbLb1EES1C_EEDaS17_S18_EUlS17_E_NS1_11comp_targetILNS1_3genE5ELNS1_11target_archE942ELNS1_3gpuE9ELNS1_3repE0EEENS1_30default_config_static_selectorELNS0_4arch9wavefront6targetE0EEEvT1_
    .private_segment_fixed_size: 0
    .sgpr_count:     0
    .sgpr_spill_count: 0
    .symbol:         _ZN7rocprim17ROCPRIM_400000_NS6detail17trampoline_kernelINS0_14default_configENS1_25partition_config_selectorILNS1_17partition_subalgoE8ElNS0_10empty_typeEbEEZZNS1_14partition_implILS5_8ELb0ES3_jPlPS6_PKS6_NS0_5tupleIJS9_S6_EEENSD_IJSA_SA_EEENS0_18inequality_wrapperIZN2at6native12_GLOBAL__N_124unique_dim_cuda_templateIbEESt5tupleIJNSH_6TensorESM_SM_EERKSM_lbbbEUlllE0_EEPmJS6_EEE10hipError_tPvRmT3_T4_T5_T6_T7_T9_mT8_P12ihipStream_tbDpT10_ENKUlT_T0_E_clISt17integral_constantIbLb1EES1C_EEDaS17_S18_EUlS17_E_NS1_11comp_targetILNS1_3genE5ELNS1_11target_archE942ELNS1_3gpuE9ELNS1_3repE0EEENS1_30default_config_static_selectorELNS0_4arch9wavefront6targetE0EEEvT1_.kd
    .uniform_work_group_size: 1
    .uses_dynamic_stack: false
    .vgpr_count:     0
    .vgpr_spill_count: 0
    .wavefront_size: 32
    .workgroup_processor_mode: 1
  - .args:
      - .offset:         0
        .size:           136
        .value_kind:     by_value
    .group_segment_fixed_size: 0
    .kernarg_segment_align: 8
    .kernarg_segment_size: 136
    .language:       OpenCL C
    .language_version:
      - 2
      - 0
    .max_flat_workgroup_size: 256
    .name:           _ZN7rocprim17ROCPRIM_400000_NS6detail17trampoline_kernelINS0_14default_configENS1_25partition_config_selectorILNS1_17partition_subalgoE8ElNS0_10empty_typeEbEEZZNS1_14partition_implILS5_8ELb0ES3_jPlPS6_PKS6_NS0_5tupleIJS9_S6_EEENSD_IJSA_SA_EEENS0_18inequality_wrapperIZN2at6native12_GLOBAL__N_124unique_dim_cuda_templateIbEESt5tupleIJNSH_6TensorESM_SM_EERKSM_lbbbEUlllE0_EEPmJS6_EEE10hipError_tPvRmT3_T4_T5_T6_T7_T9_mT8_P12ihipStream_tbDpT10_ENKUlT_T0_E_clISt17integral_constantIbLb1EES1C_EEDaS17_S18_EUlS17_E_NS1_11comp_targetILNS1_3genE4ELNS1_11target_archE910ELNS1_3gpuE8ELNS1_3repE0EEENS1_30default_config_static_selectorELNS0_4arch9wavefront6targetE0EEEvT1_
    .private_segment_fixed_size: 0
    .sgpr_count:     0
    .sgpr_spill_count: 0
    .symbol:         _ZN7rocprim17ROCPRIM_400000_NS6detail17trampoline_kernelINS0_14default_configENS1_25partition_config_selectorILNS1_17partition_subalgoE8ElNS0_10empty_typeEbEEZZNS1_14partition_implILS5_8ELb0ES3_jPlPS6_PKS6_NS0_5tupleIJS9_S6_EEENSD_IJSA_SA_EEENS0_18inequality_wrapperIZN2at6native12_GLOBAL__N_124unique_dim_cuda_templateIbEESt5tupleIJNSH_6TensorESM_SM_EERKSM_lbbbEUlllE0_EEPmJS6_EEE10hipError_tPvRmT3_T4_T5_T6_T7_T9_mT8_P12ihipStream_tbDpT10_ENKUlT_T0_E_clISt17integral_constantIbLb1EES1C_EEDaS17_S18_EUlS17_E_NS1_11comp_targetILNS1_3genE4ELNS1_11target_archE910ELNS1_3gpuE8ELNS1_3repE0EEENS1_30default_config_static_selectorELNS0_4arch9wavefront6targetE0EEEvT1_.kd
    .uniform_work_group_size: 1
    .uses_dynamic_stack: false
    .vgpr_count:     0
    .vgpr_spill_count: 0
    .wavefront_size: 32
    .workgroup_processor_mode: 1
  - .args:
      - .offset:         0
        .size:           136
        .value_kind:     by_value
    .group_segment_fixed_size: 0
    .kernarg_segment_align: 8
    .kernarg_segment_size: 136
    .language:       OpenCL C
    .language_version:
      - 2
      - 0
    .max_flat_workgroup_size: 512
    .name:           _ZN7rocprim17ROCPRIM_400000_NS6detail17trampoline_kernelINS0_14default_configENS1_25partition_config_selectorILNS1_17partition_subalgoE8ElNS0_10empty_typeEbEEZZNS1_14partition_implILS5_8ELb0ES3_jPlPS6_PKS6_NS0_5tupleIJS9_S6_EEENSD_IJSA_SA_EEENS0_18inequality_wrapperIZN2at6native12_GLOBAL__N_124unique_dim_cuda_templateIbEESt5tupleIJNSH_6TensorESM_SM_EERKSM_lbbbEUlllE0_EEPmJS6_EEE10hipError_tPvRmT3_T4_T5_T6_T7_T9_mT8_P12ihipStream_tbDpT10_ENKUlT_T0_E_clISt17integral_constantIbLb1EES1C_EEDaS17_S18_EUlS17_E_NS1_11comp_targetILNS1_3genE3ELNS1_11target_archE908ELNS1_3gpuE7ELNS1_3repE0EEENS1_30default_config_static_selectorELNS0_4arch9wavefront6targetE0EEEvT1_
    .private_segment_fixed_size: 0
    .sgpr_count:     0
    .sgpr_spill_count: 0
    .symbol:         _ZN7rocprim17ROCPRIM_400000_NS6detail17trampoline_kernelINS0_14default_configENS1_25partition_config_selectorILNS1_17partition_subalgoE8ElNS0_10empty_typeEbEEZZNS1_14partition_implILS5_8ELb0ES3_jPlPS6_PKS6_NS0_5tupleIJS9_S6_EEENSD_IJSA_SA_EEENS0_18inequality_wrapperIZN2at6native12_GLOBAL__N_124unique_dim_cuda_templateIbEESt5tupleIJNSH_6TensorESM_SM_EERKSM_lbbbEUlllE0_EEPmJS6_EEE10hipError_tPvRmT3_T4_T5_T6_T7_T9_mT8_P12ihipStream_tbDpT10_ENKUlT_T0_E_clISt17integral_constantIbLb1EES1C_EEDaS17_S18_EUlS17_E_NS1_11comp_targetILNS1_3genE3ELNS1_11target_archE908ELNS1_3gpuE7ELNS1_3repE0EEENS1_30default_config_static_selectorELNS0_4arch9wavefront6targetE0EEEvT1_.kd
    .uniform_work_group_size: 1
    .uses_dynamic_stack: false
    .vgpr_count:     0
    .vgpr_spill_count: 0
    .wavefront_size: 32
    .workgroup_processor_mode: 1
  - .args:
      - .offset:         0
        .size:           136
        .value_kind:     by_value
    .group_segment_fixed_size: 0
    .kernarg_segment_align: 8
    .kernarg_segment_size: 136
    .language:       OpenCL C
    .language_version:
      - 2
      - 0
    .max_flat_workgroup_size: 256
    .name:           _ZN7rocprim17ROCPRIM_400000_NS6detail17trampoline_kernelINS0_14default_configENS1_25partition_config_selectorILNS1_17partition_subalgoE8ElNS0_10empty_typeEbEEZZNS1_14partition_implILS5_8ELb0ES3_jPlPS6_PKS6_NS0_5tupleIJS9_S6_EEENSD_IJSA_SA_EEENS0_18inequality_wrapperIZN2at6native12_GLOBAL__N_124unique_dim_cuda_templateIbEESt5tupleIJNSH_6TensorESM_SM_EERKSM_lbbbEUlllE0_EEPmJS6_EEE10hipError_tPvRmT3_T4_T5_T6_T7_T9_mT8_P12ihipStream_tbDpT10_ENKUlT_T0_E_clISt17integral_constantIbLb1EES1C_EEDaS17_S18_EUlS17_E_NS1_11comp_targetILNS1_3genE2ELNS1_11target_archE906ELNS1_3gpuE6ELNS1_3repE0EEENS1_30default_config_static_selectorELNS0_4arch9wavefront6targetE0EEEvT1_
    .private_segment_fixed_size: 0
    .sgpr_count:     0
    .sgpr_spill_count: 0
    .symbol:         _ZN7rocprim17ROCPRIM_400000_NS6detail17trampoline_kernelINS0_14default_configENS1_25partition_config_selectorILNS1_17partition_subalgoE8ElNS0_10empty_typeEbEEZZNS1_14partition_implILS5_8ELb0ES3_jPlPS6_PKS6_NS0_5tupleIJS9_S6_EEENSD_IJSA_SA_EEENS0_18inequality_wrapperIZN2at6native12_GLOBAL__N_124unique_dim_cuda_templateIbEESt5tupleIJNSH_6TensorESM_SM_EERKSM_lbbbEUlllE0_EEPmJS6_EEE10hipError_tPvRmT3_T4_T5_T6_T7_T9_mT8_P12ihipStream_tbDpT10_ENKUlT_T0_E_clISt17integral_constantIbLb1EES1C_EEDaS17_S18_EUlS17_E_NS1_11comp_targetILNS1_3genE2ELNS1_11target_archE906ELNS1_3gpuE6ELNS1_3repE0EEENS1_30default_config_static_selectorELNS0_4arch9wavefront6targetE0EEEvT1_.kd
    .uniform_work_group_size: 1
    .uses_dynamic_stack: false
    .vgpr_count:     0
    .vgpr_spill_count: 0
    .wavefront_size: 32
    .workgroup_processor_mode: 1
  - .args:
      - .offset:         0
        .size:           136
        .value_kind:     by_value
    .group_segment_fixed_size: 0
    .kernarg_segment_align: 8
    .kernarg_segment_size: 136
    .language:       OpenCL C
    .language_version:
      - 2
      - 0
    .max_flat_workgroup_size: 384
    .name:           _ZN7rocprim17ROCPRIM_400000_NS6detail17trampoline_kernelINS0_14default_configENS1_25partition_config_selectorILNS1_17partition_subalgoE8ElNS0_10empty_typeEbEEZZNS1_14partition_implILS5_8ELb0ES3_jPlPS6_PKS6_NS0_5tupleIJS9_S6_EEENSD_IJSA_SA_EEENS0_18inequality_wrapperIZN2at6native12_GLOBAL__N_124unique_dim_cuda_templateIbEESt5tupleIJNSH_6TensorESM_SM_EERKSM_lbbbEUlllE0_EEPmJS6_EEE10hipError_tPvRmT3_T4_T5_T6_T7_T9_mT8_P12ihipStream_tbDpT10_ENKUlT_T0_E_clISt17integral_constantIbLb1EES1C_EEDaS17_S18_EUlS17_E_NS1_11comp_targetILNS1_3genE10ELNS1_11target_archE1200ELNS1_3gpuE4ELNS1_3repE0EEENS1_30default_config_static_selectorELNS0_4arch9wavefront6targetE0EEEvT1_
    .private_segment_fixed_size: 0
    .sgpr_count:     0
    .sgpr_spill_count: 0
    .symbol:         _ZN7rocprim17ROCPRIM_400000_NS6detail17trampoline_kernelINS0_14default_configENS1_25partition_config_selectorILNS1_17partition_subalgoE8ElNS0_10empty_typeEbEEZZNS1_14partition_implILS5_8ELb0ES3_jPlPS6_PKS6_NS0_5tupleIJS9_S6_EEENSD_IJSA_SA_EEENS0_18inequality_wrapperIZN2at6native12_GLOBAL__N_124unique_dim_cuda_templateIbEESt5tupleIJNSH_6TensorESM_SM_EERKSM_lbbbEUlllE0_EEPmJS6_EEE10hipError_tPvRmT3_T4_T5_T6_T7_T9_mT8_P12ihipStream_tbDpT10_ENKUlT_T0_E_clISt17integral_constantIbLb1EES1C_EEDaS17_S18_EUlS17_E_NS1_11comp_targetILNS1_3genE10ELNS1_11target_archE1200ELNS1_3gpuE4ELNS1_3repE0EEENS1_30default_config_static_selectorELNS0_4arch9wavefront6targetE0EEEvT1_.kd
    .uniform_work_group_size: 1
    .uses_dynamic_stack: false
    .vgpr_count:     0
    .vgpr_spill_count: 0
    .wavefront_size: 32
    .workgroup_processor_mode: 1
  - .args:
      - .offset:         0
        .size:           136
        .value_kind:     by_value
    .group_segment_fixed_size: 33804
    .kernarg_segment_align: 8
    .kernarg_segment_size: 136
    .language:       OpenCL C
    .language_version:
      - 2
      - 0
    .max_flat_workgroup_size: 512
    .name:           _ZN7rocprim17ROCPRIM_400000_NS6detail17trampoline_kernelINS0_14default_configENS1_25partition_config_selectorILNS1_17partition_subalgoE8ElNS0_10empty_typeEbEEZZNS1_14partition_implILS5_8ELb0ES3_jPlPS6_PKS6_NS0_5tupleIJS9_S6_EEENSD_IJSA_SA_EEENS0_18inequality_wrapperIZN2at6native12_GLOBAL__N_124unique_dim_cuda_templateIbEESt5tupleIJNSH_6TensorESM_SM_EERKSM_lbbbEUlllE0_EEPmJS6_EEE10hipError_tPvRmT3_T4_T5_T6_T7_T9_mT8_P12ihipStream_tbDpT10_ENKUlT_T0_E_clISt17integral_constantIbLb1EES1C_EEDaS17_S18_EUlS17_E_NS1_11comp_targetILNS1_3genE9ELNS1_11target_archE1100ELNS1_3gpuE3ELNS1_3repE0EEENS1_30default_config_static_selectorELNS0_4arch9wavefront6targetE0EEEvT1_
    .private_segment_fixed_size: 0
    .sgpr_count:     40
    .sgpr_spill_count: 0
    .symbol:         _ZN7rocprim17ROCPRIM_400000_NS6detail17trampoline_kernelINS0_14default_configENS1_25partition_config_selectorILNS1_17partition_subalgoE8ElNS0_10empty_typeEbEEZZNS1_14partition_implILS5_8ELb0ES3_jPlPS6_PKS6_NS0_5tupleIJS9_S6_EEENSD_IJSA_SA_EEENS0_18inequality_wrapperIZN2at6native12_GLOBAL__N_124unique_dim_cuda_templateIbEESt5tupleIJNSH_6TensorESM_SM_EERKSM_lbbbEUlllE0_EEPmJS6_EEE10hipError_tPvRmT3_T4_T5_T6_T7_T9_mT8_P12ihipStream_tbDpT10_ENKUlT_T0_E_clISt17integral_constantIbLb1EES1C_EEDaS17_S18_EUlS17_E_NS1_11comp_targetILNS1_3genE9ELNS1_11target_archE1100ELNS1_3gpuE3ELNS1_3repE0EEENS1_30default_config_static_selectorELNS0_4arch9wavefront6targetE0EEEvT1_.kd
    .uniform_work_group_size: 1
    .uses_dynamic_stack: false
    .vgpr_count:     52
    .vgpr_spill_count: 0
    .wavefront_size: 32
    .workgroup_processor_mode: 1
  - .args:
      - .offset:         0
        .size:           136
        .value_kind:     by_value
    .group_segment_fixed_size: 0
    .kernarg_segment_align: 8
    .kernarg_segment_size: 136
    .language:       OpenCL C
    .language_version:
      - 2
      - 0
    .max_flat_workgroup_size: 512
    .name:           _ZN7rocprim17ROCPRIM_400000_NS6detail17trampoline_kernelINS0_14default_configENS1_25partition_config_selectorILNS1_17partition_subalgoE8ElNS0_10empty_typeEbEEZZNS1_14partition_implILS5_8ELb0ES3_jPlPS6_PKS6_NS0_5tupleIJS9_S6_EEENSD_IJSA_SA_EEENS0_18inequality_wrapperIZN2at6native12_GLOBAL__N_124unique_dim_cuda_templateIbEESt5tupleIJNSH_6TensorESM_SM_EERKSM_lbbbEUlllE0_EEPmJS6_EEE10hipError_tPvRmT3_T4_T5_T6_T7_T9_mT8_P12ihipStream_tbDpT10_ENKUlT_T0_E_clISt17integral_constantIbLb1EES1C_EEDaS17_S18_EUlS17_E_NS1_11comp_targetILNS1_3genE8ELNS1_11target_archE1030ELNS1_3gpuE2ELNS1_3repE0EEENS1_30default_config_static_selectorELNS0_4arch9wavefront6targetE0EEEvT1_
    .private_segment_fixed_size: 0
    .sgpr_count:     0
    .sgpr_spill_count: 0
    .symbol:         _ZN7rocprim17ROCPRIM_400000_NS6detail17trampoline_kernelINS0_14default_configENS1_25partition_config_selectorILNS1_17partition_subalgoE8ElNS0_10empty_typeEbEEZZNS1_14partition_implILS5_8ELb0ES3_jPlPS6_PKS6_NS0_5tupleIJS9_S6_EEENSD_IJSA_SA_EEENS0_18inequality_wrapperIZN2at6native12_GLOBAL__N_124unique_dim_cuda_templateIbEESt5tupleIJNSH_6TensorESM_SM_EERKSM_lbbbEUlllE0_EEPmJS6_EEE10hipError_tPvRmT3_T4_T5_T6_T7_T9_mT8_P12ihipStream_tbDpT10_ENKUlT_T0_E_clISt17integral_constantIbLb1EES1C_EEDaS17_S18_EUlS17_E_NS1_11comp_targetILNS1_3genE8ELNS1_11target_archE1030ELNS1_3gpuE2ELNS1_3repE0EEENS1_30default_config_static_selectorELNS0_4arch9wavefront6targetE0EEEvT1_.kd
    .uniform_work_group_size: 1
    .uses_dynamic_stack: false
    .vgpr_count:     0
    .vgpr_spill_count: 0
    .wavefront_size: 32
    .workgroup_processor_mode: 1
  - .args:
      - .offset:         0
        .size:           120
        .value_kind:     by_value
    .group_segment_fixed_size: 0
    .kernarg_segment_align: 8
    .kernarg_segment_size: 120
    .language:       OpenCL C
    .language_version:
      - 2
      - 0
    .max_flat_workgroup_size: 512
    .name:           _ZN7rocprim17ROCPRIM_400000_NS6detail17trampoline_kernelINS0_14default_configENS1_25partition_config_selectorILNS1_17partition_subalgoE8ElNS0_10empty_typeEbEEZZNS1_14partition_implILS5_8ELb0ES3_jPlPS6_PKS6_NS0_5tupleIJS9_S6_EEENSD_IJSA_SA_EEENS0_18inequality_wrapperIZN2at6native12_GLOBAL__N_124unique_dim_cuda_templateIbEESt5tupleIJNSH_6TensorESM_SM_EERKSM_lbbbEUlllE0_EEPmJS6_EEE10hipError_tPvRmT3_T4_T5_T6_T7_T9_mT8_P12ihipStream_tbDpT10_ENKUlT_T0_E_clISt17integral_constantIbLb1EES1B_IbLb0EEEEDaS17_S18_EUlS17_E_NS1_11comp_targetILNS1_3genE0ELNS1_11target_archE4294967295ELNS1_3gpuE0ELNS1_3repE0EEENS1_30default_config_static_selectorELNS0_4arch9wavefront6targetE0EEEvT1_
    .private_segment_fixed_size: 0
    .sgpr_count:     0
    .sgpr_spill_count: 0
    .symbol:         _ZN7rocprim17ROCPRIM_400000_NS6detail17trampoline_kernelINS0_14default_configENS1_25partition_config_selectorILNS1_17partition_subalgoE8ElNS0_10empty_typeEbEEZZNS1_14partition_implILS5_8ELb0ES3_jPlPS6_PKS6_NS0_5tupleIJS9_S6_EEENSD_IJSA_SA_EEENS0_18inequality_wrapperIZN2at6native12_GLOBAL__N_124unique_dim_cuda_templateIbEESt5tupleIJNSH_6TensorESM_SM_EERKSM_lbbbEUlllE0_EEPmJS6_EEE10hipError_tPvRmT3_T4_T5_T6_T7_T9_mT8_P12ihipStream_tbDpT10_ENKUlT_T0_E_clISt17integral_constantIbLb1EES1B_IbLb0EEEEDaS17_S18_EUlS17_E_NS1_11comp_targetILNS1_3genE0ELNS1_11target_archE4294967295ELNS1_3gpuE0ELNS1_3repE0EEENS1_30default_config_static_selectorELNS0_4arch9wavefront6targetE0EEEvT1_.kd
    .uniform_work_group_size: 1
    .uses_dynamic_stack: false
    .vgpr_count:     0
    .vgpr_spill_count: 0
    .wavefront_size: 32
    .workgroup_processor_mode: 1
  - .args:
      - .offset:         0
        .size:           120
        .value_kind:     by_value
    .group_segment_fixed_size: 0
    .kernarg_segment_align: 8
    .kernarg_segment_size: 120
    .language:       OpenCL C
    .language_version:
      - 2
      - 0
    .max_flat_workgroup_size: 512
    .name:           _ZN7rocprim17ROCPRIM_400000_NS6detail17trampoline_kernelINS0_14default_configENS1_25partition_config_selectorILNS1_17partition_subalgoE8ElNS0_10empty_typeEbEEZZNS1_14partition_implILS5_8ELb0ES3_jPlPS6_PKS6_NS0_5tupleIJS9_S6_EEENSD_IJSA_SA_EEENS0_18inequality_wrapperIZN2at6native12_GLOBAL__N_124unique_dim_cuda_templateIbEESt5tupleIJNSH_6TensorESM_SM_EERKSM_lbbbEUlllE0_EEPmJS6_EEE10hipError_tPvRmT3_T4_T5_T6_T7_T9_mT8_P12ihipStream_tbDpT10_ENKUlT_T0_E_clISt17integral_constantIbLb1EES1B_IbLb0EEEEDaS17_S18_EUlS17_E_NS1_11comp_targetILNS1_3genE5ELNS1_11target_archE942ELNS1_3gpuE9ELNS1_3repE0EEENS1_30default_config_static_selectorELNS0_4arch9wavefront6targetE0EEEvT1_
    .private_segment_fixed_size: 0
    .sgpr_count:     0
    .sgpr_spill_count: 0
    .symbol:         _ZN7rocprim17ROCPRIM_400000_NS6detail17trampoline_kernelINS0_14default_configENS1_25partition_config_selectorILNS1_17partition_subalgoE8ElNS0_10empty_typeEbEEZZNS1_14partition_implILS5_8ELb0ES3_jPlPS6_PKS6_NS0_5tupleIJS9_S6_EEENSD_IJSA_SA_EEENS0_18inequality_wrapperIZN2at6native12_GLOBAL__N_124unique_dim_cuda_templateIbEESt5tupleIJNSH_6TensorESM_SM_EERKSM_lbbbEUlllE0_EEPmJS6_EEE10hipError_tPvRmT3_T4_T5_T6_T7_T9_mT8_P12ihipStream_tbDpT10_ENKUlT_T0_E_clISt17integral_constantIbLb1EES1B_IbLb0EEEEDaS17_S18_EUlS17_E_NS1_11comp_targetILNS1_3genE5ELNS1_11target_archE942ELNS1_3gpuE9ELNS1_3repE0EEENS1_30default_config_static_selectorELNS0_4arch9wavefront6targetE0EEEvT1_.kd
    .uniform_work_group_size: 1
    .uses_dynamic_stack: false
    .vgpr_count:     0
    .vgpr_spill_count: 0
    .wavefront_size: 32
    .workgroup_processor_mode: 1
  - .args:
      - .offset:         0
        .size:           120
        .value_kind:     by_value
    .group_segment_fixed_size: 0
    .kernarg_segment_align: 8
    .kernarg_segment_size: 120
    .language:       OpenCL C
    .language_version:
      - 2
      - 0
    .max_flat_workgroup_size: 256
    .name:           _ZN7rocprim17ROCPRIM_400000_NS6detail17trampoline_kernelINS0_14default_configENS1_25partition_config_selectorILNS1_17partition_subalgoE8ElNS0_10empty_typeEbEEZZNS1_14partition_implILS5_8ELb0ES3_jPlPS6_PKS6_NS0_5tupleIJS9_S6_EEENSD_IJSA_SA_EEENS0_18inequality_wrapperIZN2at6native12_GLOBAL__N_124unique_dim_cuda_templateIbEESt5tupleIJNSH_6TensorESM_SM_EERKSM_lbbbEUlllE0_EEPmJS6_EEE10hipError_tPvRmT3_T4_T5_T6_T7_T9_mT8_P12ihipStream_tbDpT10_ENKUlT_T0_E_clISt17integral_constantIbLb1EES1B_IbLb0EEEEDaS17_S18_EUlS17_E_NS1_11comp_targetILNS1_3genE4ELNS1_11target_archE910ELNS1_3gpuE8ELNS1_3repE0EEENS1_30default_config_static_selectorELNS0_4arch9wavefront6targetE0EEEvT1_
    .private_segment_fixed_size: 0
    .sgpr_count:     0
    .sgpr_spill_count: 0
    .symbol:         _ZN7rocprim17ROCPRIM_400000_NS6detail17trampoline_kernelINS0_14default_configENS1_25partition_config_selectorILNS1_17partition_subalgoE8ElNS0_10empty_typeEbEEZZNS1_14partition_implILS5_8ELb0ES3_jPlPS6_PKS6_NS0_5tupleIJS9_S6_EEENSD_IJSA_SA_EEENS0_18inequality_wrapperIZN2at6native12_GLOBAL__N_124unique_dim_cuda_templateIbEESt5tupleIJNSH_6TensorESM_SM_EERKSM_lbbbEUlllE0_EEPmJS6_EEE10hipError_tPvRmT3_T4_T5_T6_T7_T9_mT8_P12ihipStream_tbDpT10_ENKUlT_T0_E_clISt17integral_constantIbLb1EES1B_IbLb0EEEEDaS17_S18_EUlS17_E_NS1_11comp_targetILNS1_3genE4ELNS1_11target_archE910ELNS1_3gpuE8ELNS1_3repE0EEENS1_30default_config_static_selectorELNS0_4arch9wavefront6targetE0EEEvT1_.kd
    .uniform_work_group_size: 1
    .uses_dynamic_stack: false
    .vgpr_count:     0
    .vgpr_spill_count: 0
    .wavefront_size: 32
    .workgroup_processor_mode: 1
  - .args:
      - .offset:         0
        .size:           120
        .value_kind:     by_value
    .group_segment_fixed_size: 0
    .kernarg_segment_align: 8
    .kernarg_segment_size: 120
    .language:       OpenCL C
    .language_version:
      - 2
      - 0
    .max_flat_workgroup_size: 512
    .name:           _ZN7rocprim17ROCPRIM_400000_NS6detail17trampoline_kernelINS0_14default_configENS1_25partition_config_selectorILNS1_17partition_subalgoE8ElNS0_10empty_typeEbEEZZNS1_14partition_implILS5_8ELb0ES3_jPlPS6_PKS6_NS0_5tupleIJS9_S6_EEENSD_IJSA_SA_EEENS0_18inequality_wrapperIZN2at6native12_GLOBAL__N_124unique_dim_cuda_templateIbEESt5tupleIJNSH_6TensorESM_SM_EERKSM_lbbbEUlllE0_EEPmJS6_EEE10hipError_tPvRmT3_T4_T5_T6_T7_T9_mT8_P12ihipStream_tbDpT10_ENKUlT_T0_E_clISt17integral_constantIbLb1EES1B_IbLb0EEEEDaS17_S18_EUlS17_E_NS1_11comp_targetILNS1_3genE3ELNS1_11target_archE908ELNS1_3gpuE7ELNS1_3repE0EEENS1_30default_config_static_selectorELNS0_4arch9wavefront6targetE0EEEvT1_
    .private_segment_fixed_size: 0
    .sgpr_count:     0
    .sgpr_spill_count: 0
    .symbol:         _ZN7rocprim17ROCPRIM_400000_NS6detail17trampoline_kernelINS0_14default_configENS1_25partition_config_selectorILNS1_17partition_subalgoE8ElNS0_10empty_typeEbEEZZNS1_14partition_implILS5_8ELb0ES3_jPlPS6_PKS6_NS0_5tupleIJS9_S6_EEENSD_IJSA_SA_EEENS0_18inequality_wrapperIZN2at6native12_GLOBAL__N_124unique_dim_cuda_templateIbEESt5tupleIJNSH_6TensorESM_SM_EERKSM_lbbbEUlllE0_EEPmJS6_EEE10hipError_tPvRmT3_T4_T5_T6_T7_T9_mT8_P12ihipStream_tbDpT10_ENKUlT_T0_E_clISt17integral_constantIbLb1EES1B_IbLb0EEEEDaS17_S18_EUlS17_E_NS1_11comp_targetILNS1_3genE3ELNS1_11target_archE908ELNS1_3gpuE7ELNS1_3repE0EEENS1_30default_config_static_selectorELNS0_4arch9wavefront6targetE0EEEvT1_.kd
    .uniform_work_group_size: 1
    .uses_dynamic_stack: false
    .vgpr_count:     0
    .vgpr_spill_count: 0
    .wavefront_size: 32
    .workgroup_processor_mode: 1
  - .args:
      - .offset:         0
        .size:           120
        .value_kind:     by_value
    .group_segment_fixed_size: 0
    .kernarg_segment_align: 8
    .kernarg_segment_size: 120
    .language:       OpenCL C
    .language_version:
      - 2
      - 0
    .max_flat_workgroup_size: 256
    .name:           _ZN7rocprim17ROCPRIM_400000_NS6detail17trampoline_kernelINS0_14default_configENS1_25partition_config_selectorILNS1_17partition_subalgoE8ElNS0_10empty_typeEbEEZZNS1_14partition_implILS5_8ELb0ES3_jPlPS6_PKS6_NS0_5tupleIJS9_S6_EEENSD_IJSA_SA_EEENS0_18inequality_wrapperIZN2at6native12_GLOBAL__N_124unique_dim_cuda_templateIbEESt5tupleIJNSH_6TensorESM_SM_EERKSM_lbbbEUlllE0_EEPmJS6_EEE10hipError_tPvRmT3_T4_T5_T6_T7_T9_mT8_P12ihipStream_tbDpT10_ENKUlT_T0_E_clISt17integral_constantIbLb1EES1B_IbLb0EEEEDaS17_S18_EUlS17_E_NS1_11comp_targetILNS1_3genE2ELNS1_11target_archE906ELNS1_3gpuE6ELNS1_3repE0EEENS1_30default_config_static_selectorELNS0_4arch9wavefront6targetE0EEEvT1_
    .private_segment_fixed_size: 0
    .sgpr_count:     0
    .sgpr_spill_count: 0
    .symbol:         _ZN7rocprim17ROCPRIM_400000_NS6detail17trampoline_kernelINS0_14default_configENS1_25partition_config_selectorILNS1_17partition_subalgoE8ElNS0_10empty_typeEbEEZZNS1_14partition_implILS5_8ELb0ES3_jPlPS6_PKS6_NS0_5tupleIJS9_S6_EEENSD_IJSA_SA_EEENS0_18inequality_wrapperIZN2at6native12_GLOBAL__N_124unique_dim_cuda_templateIbEESt5tupleIJNSH_6TensorESM_SM_EERKSM_lbbbEUlllE0_EEPmJS6_EEE10hipError_tPvRmT3_T4_T5_T6_T7_T9_mT8_P12ihipStream_tbDpT10_ENKUlT_T0_E_clISt17integral_constantIbLb1EES1B_IbLb0EEEEDaS17_S18_EUlS17_E_NS1_11comp_targetILNS1_3genE2ELNS1_11target_archE906ELNS1_3gpuE6ELNS1_3repE0EEENS1_30default_config_static_selectorELNS0_4arch9wavefront6targetE0EEEvT1_.kd
    .uniform_work_group_size: 1
    .uses_dynamic_stack: false
    .vgpr_count:     0
    .vgpr_spill_count: 0
    .wavefront_size: 32
    .workgroup_processor_mode: 1
  - .args:
      - .offset:         0
        .size:           120
        .value_kind:     by_value
    .group_segment_fixed_size: 0
    .kernarg_segment_align: 8
    .kernarg_segment_size: 120
    .language:       OpenCL C
    .language_version:
      - 2
      - 0
    .max_flat_workgroup_size: 384
    .name:           _ZN7rocprim17ROCPRIM_400000_NS6detail17trampoline_kernelINS0_14default_configENS1_25partition_config_selectorILNS1_17partition_subalgoE8ElNS0_10empty_typeEbEEZZNS1_14partition_implILS5_8ELb0ES3_jPlPS6_PKS6_NS0_5tupleIJS9_S6_EEENSD_IJSA_SA_EEENS0_18inequality_wrapperIZN2at6native12_GLOBAL__N_124unique_dim_cuda_templateIbEESt5tupleIJNSH_6TensorESM_SM_EERKSM_lbbbEUlllE0_EEPmJS6_EEE10hipError_tPvRmT3_T4_T5_T6_T7_T9_mT8_P12ihipStream_tbDpT10_ENKUlT_T0_E_clISt17integral_constantIbLb1EES1B_IbLb0EEEEDaS17_S18_EUlS17_E_NS1_11comp_targetILNS1_3genE10ELNS1_11target_archE1200ELNS1_3gpuE4ELNS1_3repE0EEENS1_30default_config_static_selectorELNS0_4arch9wavefront6targetE0EEEvT1_
    .private_segment_fixed_size: 0
    .sgpr_count:     0
    .sgpr_spill_count: 0
    .symbol:         _ZN7rocprim17ROCPRIM_400000_NS6detail17trampoline_kernelINS0_14default_configENS1_25partition_config_selectorILNS1_17partition_subalgoE8ElNS0_10empty_typeEbEEZZNS1_14partition_implILS5_8ELb0ES3_jPlPS6_PKS6_NS0_5tupleIJS9_S6_EEENSD_IJSA_SA_EEENS0_18inequality_wrapperIZN2at6native12_GLOBAL__N_124unique_dim_cuda_templateIbEESt5tupleIJNSH_6TensorESM_SM_EERKSM_lbbbEUlllE0_EEPmJS6_EEE10hipError_tPvRmT3_T4_T5_T6_T7_T9_mT8_P12ihipStream_tbDpT10_ENKUlT_T0_E_clISt17integral_constantIbLb1EES1B_IbLb0EEEEDaS17_S18_EUlS17_E_NS1_11comp_targetILNS1_3genE10ELNS1_11target_archE1200ELNS1_3gpuE4ELNS1_3repE0EEENS1_30default_config_static_selectorELNS0_4arch9wavefront6targetE0EEEvT1_.kd
    .uniform_work_group_size: 1
    .uses_dynamic_stack: false
    .vgpr_count:     0
    .vgpr_spill_count: 0
    .wavefront_size: 32
    .workgroup_processor_mode: 1
  - .args:
      - .offset:         0
        .size:           120
        .value_kind:     by_value
    .group_segment_fixed_size: 33804
    .kernarg_segment_align: 8
    .kernarg_segment_size: 120
    .language:       OpenCL C
    .language_version:
      - 2
      - 0
    .max_flat_workgroup_size: 512
    .name:           _ZN7rocprim17ROCPRIM_400000_NS6detail17trampoline_kernelINS0_14default_configENS1_25partition_config_selectorILNS1_17partition_subalgoE8ElNS0_10empty_typeEbEEZZNS1_14partition_implILS5_8ELb0ES3_jPlPS6_PKS6_NS0_5tupleIJS9_S6_EEENSD_IJSA_SA_EEENS0_18inequality_wrapperIZN2at6native12_GLOBAL__N_124unique_dim_cuda_templateIbEESt5tupleIJNSH_6TensorESM_SM_EERKSM_lbbbEUlllE0_EEPmJS6_EEE10hipError_tPvRmT3_T4_T5_T6_T7_T9_mT8_P12ihipStream_tbDpT10_ENKUlT_T0_E_clISt17integral_constantIbLb1EES1B_IbLb0EEEEDaS17_S18_EUlS17_E_NS1_11comp_targetILNS1_3genE9ELNS1_11target_archE1100ELNS1_3gpuE3ELNS1_3repE0EEENS1_30default_config_static_selectorELNS0_4arch9wavefront6targetE0EEEvT1_
    .private_segment_fixed_size: 0
    .sgpr_count:     39
    .sgpr_spill_count: 0
    .symbol:         _ZN7rocprim17ROCPRIM_400000_NS6detail17trampoline_kernelINS0_14default_configENS1_25partition_config_selectorILNS1_17partition_subalgoE8ElNS0_10empty_typeEbEEZZNS1_14partition_implILS5_8ELb0ES3_jPlPS6_PKS6_NS0_5tupleIJS9_S6_EEENSD_IJSA_SA_EEENS0_18inequality_wrapperIZN2at6native12_GLOBAL__N_124unique_dim_cuda_templateIbEESt5tupleIJNSH_6TensorESM_SM_EERKSM_lbbbEUlllE0_EEPmJS6_EEE10hipError_tPvRmT3_T4_T5_T6_T7_T9_mT8_P12ihipStream_tbDpT10_ENKUlT_T0_E_clISt17integral_constantIbLb1EES1B_IbLb0EEEEDaS17_S18_EUlS17_E_NS1_11comp_targetILNS1_3genE9ELNS1_11target_archE1100ELNS1_3gpuE3ELNS1_3repE0EEENS1_30default_config_static_selectorELNS0_4arch9wavefront6targetE0EEEvT1_.kd
    .uniform_work_group_size: 1
    .uses_dynamic_stack: false
    .vgpr_count:     52
    .vgpr_spill_count: 0
    .wavefront_size: 32
    .workgroup_processor_mode: 1
  - .args:
      - .offset:         0
        .size:           120
        .value_kind:     by_value
    .group_segment_fixed_size: 0
    .kernarg_segment_align: 8
    .kernarg_segment_size: 120
    .language:       OpenCL C
    .language_version:
      - 2
      - 0
    .max_flat_workgroup_size: 512
    .name:           _ZN7rocprim17ROCPRIM_400000_NS6detail17trampoline_kernelINS0_14default_configENS1_25partition_config_selectorILNS1_17partition_subalgoE8ElNS0_10empty_typeEbEEZZNS1_14partition_implILS5_8ELb0ES3_jPlPS6_PKS6_NS0_5tupleIJS9_S6_EEENSD_IJSA_SA_EEENS0_18inequality_wrapperIZN2at6native12_GLOBAL__N_124unique_dim_cuda_templateIbEESt5tupleIJNSH_6TensorESM_SM_EERKSM_lbbbEUlllE0_EEPmJS6_EEE10hipError_tPvRmT3_T4_T5_T6_T7_T9_mT8_P12ihipStream_tbDpT10_ENKUlT_T0_E_clISt17integral_constantIbLb1EES1B_IbLb0EEEEDaS17_S18_EUlS17_E_NS1_11comp_targetILNS1_3genE8ELNS1_11target_archE1030ELNS1_3gpuE2ELNS1_3repE0EEENS1_30default_config_static_selectorELNS0_4arch9wavefront6targetE0EEEvT1_
    .private_segment_fixed_size: 0
    .sgpr_count:     0
    .sgpr_spill_count: 0
    .symbol:         _ZN7rocprim17ROCPRIM_400000_NS6detail17trampoline_kernelINS0_14default_configENS1_25partition_config_selectorILNS1_17partition_subalgoE8ElNS0_10empty_typeEbEEZZNS1_14partition_implILS5_8ELb0ES3_jPlPS6_PKS6_NS0_5tupleIJS9_S6_EEENSD_IJSA_SA_EEENS0_18inequality_wrapperIZN2at6native12_GLOBAL__N_124unique_dim_cuda_templateIbEESt5tupleIJNSH_6TensorESM_SM_EERKSM_lbbbEUlllE0_EEPmJS6_EEE10hipError_tPvRmT3_T4_T5_T6_T7_T9_mT8_P12ihipStream_tbDpT10_ENKUlT_T0_E_clISt17integral_constantIbLb1EES1B_IbLb0EEEEDaS17_S18_EUlS17_E_NS1_11comp_targetILNS1_3genE8ELNS1_11target_archE1030ELNS1_3gpuE2ELNS1_3repE0EEENS1_30default_config_static_selectorELNS0_4arch9wavefront6targetE0EEEvT1_.kd
    .uniform_work_group_size: 1
    .uses_dynamic_stack: false
    .vgpr_count:     0
    .vgpr_spill_count: 0
    .wavefront_size: 32
    .workgroup_processor_mode: 1
  - .args:
      - .offset:         0
        .size:           136
        .value_kind:     by_value
    .group_segment_fixed_size: 0
    .kernarg_segment_align: 8
    .kernarg_segment_size: 136
    .language:       OpenCL C
    .language_version:
      - 2
      - 0
    .max_flat_workgroup_size: 512
    .name:           _ZN7rocprim17ROCPRIM_400000_NS6detail17trampoline_kernelINS0_14default_configENS1_25partition_config_selectorILNS1_17partition_subalgoE8ElNS0_10empty_typeEbEEZZNS1_14partition_implILS5_8ELb0ES3_jPlPS6_PKS6_NS0_5tupleIJS9_S6_EEENSD_IJSA_SA_EEENS0_18inequality_wrapperIZN2at6native12_GLOBAL__N_124unique_dim_cuda_templateIbEESt5tupleIJNSH_6TensorESM_SM_EERKSM_lbbbEUlllE0_EEPmJS6_EEE10hipError_tPvRmT3_T4_T5_T6_T7_T9_mT8_P12ihipStream_tbDpT10_ENKUlT_T0_E_clISt17integral_constantIbLb0EES1B_IbLb1EEEEDaS17_S18_EUlS17_E_NS1_11comp_targetILNS1_3genE0ELNS1_11target_archE4294967295ELNS1_3gpuE0ELNS1_3repE0EEENS1_30default_config_static_selectorELNS0_4arch9wavefront6targetE0EEEvT1_
    .private_segment_fixed_size: 0
    .sgpr_count:     0
    .sgpr_spill_count: 0
    .symbol:         _ZN7rocprim17ROCPRIM_400000_NS6detail17trampoline_kernelINS0_14default_configENS1_25partition_config_selectorILNS1_17partition_subalgoE8ElNS0_10empty_typeEbEEZZNS1_14partition_implILS5_8ELb0ES3_jPlPS6_PKS6_NS0_5tupleIJS9_S6_EEENSD_IJSA_SA_EEENS0_18inequality_wrapperIZN2at6native12_GLOBAL__N_124unique_dim_cuda_templateIbEESt5tupleIJNSH_6TensorESM_SM_EERKSM_lbbbEUlllE0_EEPmJS6_EEE10hipError_tPvRmT3_T4_T5_T6_T7_T9_mT8_P12ihipStream_tbDpT10_ENKUlT_T0_E_clISt17integral_constantIbLb0EES1B_IbLb1EEEEDaS17_S18_EUlS17_E_NS1_11comp_targetILNS1_3genE0ELNS1_11target_archE4294967295ELNS1_3gpuE0ELNS1_3repE0EEENS1_30default_config_static_selectorELNS0_4arch9wavefront6targetE0EEEvT1_.kd
    .uniform_work_group_size: 1
    .uses_dynamic_stack: false
    .vgpr_count:     0
    .vgpr_spill_count: 0
    .wavefront_size: 32
    .workgroup_processor_mode: 1
  - .args:
      - .offset:         0
        .size:           136
        .value_kind:     by_value
    .group_segment_fixed_size: 0
    .kernarg_segment_align: 8
    .kernarg_segment_size: 136
    .language:       OpenCL C
    .language_version:
      - 2
      - 0
    .max_flat_workgroup_size: 512
    .name:           _ZN7rocprim17ROCPRIM_400000_NS6detail17trampoline_kernelINS0_14default_configENS1_25partition_config_selectorILNS1_17partition_subalgoE8ElNS0_10empty_typeEbEEZZNS1_14partition_implILS5_8ELb0ES3_jPlPS6_PKS6_NS0_5tupleIJS9_S6_EEENSD_IJSA_SA_EEENS0_18inequality_wrapperIZN2at6native12_GLOBAL__N_124unique_dim_cuda_templateIbEESt5tupleIJNSH_6TensorESM_SM_EERKSM_lbbbEUlllE0_EEPmJS6_EEE10hipError_tPvRmT3_T4_T5_T6_T7_T9_mT8_P12ihipStream_tbDpT10_ENKUlT_T0_E_clISt17integral_constantIbLb0EES1B_IbLb1EEEEDaS17_S18_EUlS17_E_NS1_11comp_targetILNS1_3genE5ELNS1_11target_archE942ELNS1_3gpuE9ELNS1_3repE0EEENS1_30default_config_static_selectorELNS0_4arch9wavefront6targetE0EEEvT1_
    .private_segment_fixed_size: 0
    .sgpr_count:     0
    .sgpr_spill_count: 0
    .symbol:         _ZN7rocprim17ROCPRIM_400000_NS6detail17trampoline_kernelINS0_14default_configENS1_25partition_config_selectorILNS1_17partition_subalgoE8ElNS0_10empty_typeEbEEZZNS1_14partition_implILS5_8ELb0ES3_jPlPS6_PKS6_NS0_5tupleIJS9_S6_EEENSD_IJSA_SA_EEENS0_18inequality_wrapperIZN2at6native12_GLOBAL__N_124unique_dim_cuda_templateIbEESt5tupleIJNSH_6TensorESM_SM_EERKSM_lbbbEUlllE0_EEPmJS6_EEE10hipError_tPvRmT3_T4_T5_T6_T7_T9_mT8_P12ihipStream_tbDpT10_ENKUlT_T0_E_clISt17integral_constantIbLb0EES1B_IbLb1EEEEDaS17_S18_EUlS17_E_NS1_11comp_targetILNS1_3genE5ELNS1_11target_archE942ELNS1_3gpuE9ELNS1_3repE0EEENS1_30default_config_static_selectorELNS0_4arch9wavefront6targetE0EEEvT1_.kd
    .uniform_work_group_size: 1
    .uses_dynamic_stack: false
    .vgpr_count:     0
    .vgpr_spill_count: 0
    .wavefront_size: 32
    .workgroup_processor_mode: 1
  - .args:
      - .offset:         0
        .size:           136
        .value_kind:     by_value
    .group_segment_fixed_size: 0
    .kernarg_segment_align: 8
    .kernarg_segment_size: 136
    .language:       OpenCL C
    .language_version:
      - 2
      - 0
    .max_flat_workgroup_size: 256
    .name:           _ZN7rocprim17ROCPRIM_400000_NS6detail17trampoline_kernelINS0_14default_configENS1_25partition_config_selectorILNS1_17partition_subalgoE8ElNS0_10empty_typeEbEEZZNS1_14partition_implILS5_8ELb0ES3_jPlPS6_PKS6_NS0_5tupleIJS9_S6_EEENSD_IJSA_SA_EEENS0_18inequality_wrapperIZN2at6native12_GLOBAL__N_124unique_dim_cuda_templateIbEESt5tupleIJNSH_6TensorESM_SM_EERKSM_lbbbEUlllE0_EEPmJS6_EEE10hipError_tPvRmT3_T4_T5_T6_T7_T9_mT8_P12ihipStream_tbDpT10_ENKUlT_T0_E_clISt17integral_constantIbLb0EES1B_IbLb1EEEEDaS17_S18_EUlS17_E_NS1_11comp_targetILNS1_3genE4ELNS1_11target_archE910ELNS1_3gpuE8ELNS1_3repE0EEENS1_30default_config_static_selectorELNS0_4arch9wavefront6targetE0EEEvT1_
    .private_segment_fixed_size: 0
    .sgpr_count:     0
    .sgpr_spill_count: 0
    .symbol:         _ZN7rocprim17ROCPRIM_400000_NS6detail17trampoline_kernelINS0_14default_configENS1_25partition_config_selectorILNS1_17partition_subalgoE8ElNS0_10empty_typeEbEEZZNS1_14partition_implILS5_8ELb0ES3_jPlPS6_PKS6_NS0_5tupleIJS9_S6_EEENSD_IJSA_SA_EEENS0_18inequality_wrapperIZN2at6native12_GLOBAL__N_124unique_dim_cuda_templateIbEESt5tupleIJNSH_6TensorESM_SM_EERKSM_lbbbEUlllE0_EEPmJS6_EEE10hipError_tPvRmT3_T4_T5_T6_T7_T9_mT8_P12ihipStream_tbDpT10_ENKUlT_T0_E_clISt17integral_constantIbLb0EES1B_IbLb1EEEEDaS17_S18_EUlS17_E_NS1_11comp_targetILNS1_3genE4ELNS1_11target_archE910ELNS1_3gpuE8ELNS1_3repE0EEENS1_30default_config_static_selectorELNS0_4arch9wavefront6targetE0EEEvT1_.kd
    .uniform_work_group_size: 1
    .uses_dynamic_stack: false
    .vgpr_count:     0
    .vgpr_spill_count: 0
    .wavefront_size: 32
    .workgroup_processor_mode: 1
  - .args:
      - .offset:         0
        .size:           136
        .value_kind:     by_value
    .group_segment_fixed_size: 0
    .kernarg_segment_align: 8
    .kernarg_segment_size: 136
    .language:       OpenCL C
    .language_version:
      - 2
      - 0
    .max_flat_workgroup_size: 512
    .name:           _ZN7rocprim17ROCPRIM_400000_NS6detail17trampoline_kernelINS0_14default_configENS1_25partition_config_selectorILNS1_17partition_subalgoE8ElNS0_10empty_typeEbEEZZNS1_14partition_implILS5_8ELb0ES3_jPlPS6_PKS6_NS0_5tupleIJS9_S6_EEENSD_IJSA_SA_EEENS0_18inequality_wrapperIZN2at6native12_GLOBAL__N_124unique_dim_cuda_templateIbEESt5tupleIJNSH_6TensorESM_SM_EERKSM_lbbbEUlllE0_EEPmJS6_EEE10hipError_tPvRmT3_T4_T5_T6_T7_T9_mT8_P12ihipStream_tbDpT10_ENKUlT_T0_E_clISt17integral_constantIbLb0EES1B_IbLb1EEEEDaS17_S18_EUlS17_E_NS1_11comp_targetILNS1_3genE3ELNS1_11target_archE908ELNS1_3gpuE7ELNS1_3repE0EEENS1_30default_config_static_selectorELNS0_4arch9wavefront6targetE0EEEvT1_
    .private_segment_fixed_size: 0
    .sgpr_count:     0
    .sgpr_spill_count: 0
    .symbol:         _ZN7rocprim17ROCPRIM_400000_NS6detail17trampoline_kernelINS0_14default_configENS1_25partition_config_selectorILNS1_17partition_subalgoE8ElNS0_10empty_typeEbEEZZNS1_14partition_implILS5_8ELb0ES3_jPlPS6_PKS6_NS0_5tupleIJS9_S6_EEENSD_IJSA_SA_EEENS0_18inequality_wrapperIZN2at6native12_GLOBAL__N_124unique_dim_cuda_templateIbEESt5tupleIJNSH_6TensorESM_SM_EERKSM_lbbbEUlllE0_EEPmJS6_EEE10hipError_tPvRmT3_T4_T5_T6_T7_T9_mT8_P12ihipStream_tbDpT10_ENKUlT_T0_E_clISt17integral_constantIbLb0EES1B_IbLb1EEEEDaS17_S18_EUlS17_E_NS1_11comp_targetILNS1_3genE3ELNS1_11target_archE908ELNS1_3gpuE7ELNS1_3repE0EEENS1_30default_config_static_selectorELNS0_4arch9wavefront6targetE0EEEvT1_.kd
    .uniform_work_group_size: 1
    .uses_dynamic_stack: false
    .vgpr_count:     0
    .vgpr_spill_count: 0
    .wavefront_size: 32
    .workgroup_processor_mode: 1
  - .args:
      - .offset:         0
        .size:           136
        .value_kind:     by_value
    .group_segment_fixed_size: 0
    .kernarg_segment_align: 8
    .kernarg_segment_size: 136
    .language:       OpenCL C
    .language_version:
      - 2
      - 0
    .max_flat_workgroup_size: 256
    .name:           _ZN7rocprim17ROCPRIM_400000_NS6detail17trampoline_kernelINS0_14default_configENS1_25partition_config_selectorILNS1_17partition_subalgoE8ElNS0_10empty_typeEbEEZZNS1_14partition_implILS5_8ELb0ES3_jPlPS6_PKS6_NS0_5tupleIJS9_S6_EEENSD_IJSA_SA_EEENS0_18inequality_wrapperIZN2at6native12_GLOBAL__N_124unique_dim_cuda_templateIbEESt5tupleIJNSH_6TensorESM_SM_EERKSM_lbbbEUlllE0_EEPmJS6_EEE10hipError_tPvRmT3_T4_T5_T6_T7_T9_mT8_P12ihipStream_tbDpT10_ENKUlT_T0_E_clISt17integral_constantIbLb0EES1B_IbLb1EEEEDaS17_S18_EUlS17_E_NS1_11comp_targetILNS1_3genE2ELNS1_11target_archE906ELNS1_3gpuE6ELNS1_3repE0EEENS1_30default_config_static_selectorELNS0_4arch9wavefront6targetE0EEEvT1_
    .private_segment_fixed_size: 0
    .sgpr_count:     0
    .sgpr_spill_count: 0
    .symbol:         _ZN7rocprim17ROCPRIM_400000_NS6detail17trampoline_kernelINS0_14default_configENS1_25partition_config_selectorILNS1_17partition_subalgoE8ElNS0_10empty_typeEbEEZZNS1_14partition_implILS5_8ELb0ES3_jPlPS6_PKS6_NS0_5tupleIJS9_S6_EEENSD_IJSA_SA_EEENS0_18inequality_wrapperIZN2at6native12_GLOBAL__N_124unique_dim_cuda_templateIbEESt5tupleIJNSH_6TensorESM_SM_EERKSM_lbbbEUlllE0_EEPmJS6_EEE10hipError_tPvRmT3_T4_T5_T6_T7_T9_mT8_P12ihipStream_tbDpT10_ENKUlT_T0_E_clISt17integral_constantIbLb0EES1B_IbLb1EEEEDaS17_S18_EUlS17_E_NS1_11comp_targetILNS1_3genE2ELNS1_11target_archE906ELNS1_3gpuE6ELNS1_3repE0EEENS1_30default_config_static_selectorELNS0_4arch9wavefront6targetE0EEEvT1_.kd
    .uniform_work_group_size: 1
    .uses_dynamic_stack: false
    .vgpr_count:     0
    .vgpr_spill_count: 0
    .wavefront_size: 32
    .workgroup_processor_mode: 1
  - .args:
      - .offset:         0
        .size:           136
        .value_kind:     by_value
    .group_segment_fixed_size: 0
    .kernarg_segment_align: 8
    .kernarg_segment_size: 136
    .language:       OpenCL C
    .language_version:
      - 2
      - 0
    .max_flat_workgroup_size: 384
    .name:           _ZN7rocprim17ROCPRIM_400000_NS6detail17trampoline_kernelINS0_14default_configENS1_25partition_config_selectorILNS1_17partition_subalgoE8ElNS0_10empty_typeEbEEZZNS1_14partition_implILS5_8ELb0ES3_jPlPS6_PKS6_NS0_5tupleIJS9_S6_EEENSD_IJSA_SA_EEENS0_18inequality_wrapperIZN2at6native12_GLOBAL__N_124unique_dim_cuda_templateIbEESt5tupleIJNSH_6TensorESM_SM_EERKSM_lbbbEUlllE0_EEPmJS6_EEE10hipError_tPvRmT3_T4_T5_T6_T7_T9_mT8_P12ihipStream_tbDpT10_ENKUlT_T0_E_clISt17integral_constantIbLb0EES1B_IbLb1EEEEDaS17_S18_EUlS17_E_NS1_11comp_targetILNS1_3genE10ELNS1_11target_archE1200ELNS1_3gpuE4ELNS1_3repE0EEENS1_30default_config_static_selectorELNS0_4arch9wavefront6targetE0EEEvT1_
    .private_segment_fixed_size: 0
    .sgpr_count:     0
    .sgpr_spill_count: 0
    .symbol:         _ZN7rocprim17ROCPRIM_400000_NS6detail17trampoline_kernelINS0_14default_configENS1_25partition_config_selectorILNS1_17partition_subalgoE8ElNS0_10empty_typeEbEEZZNS1_14partition_implILS5_8ELb0ES3_jPlPS6_PKS6_NS0_5tupleIJS9_S6_EEENSD_IJSA_SA_EEENS0_18inequality_wrapperIZN2at6native12_GLOBAL__N_124unique_dim_cuda_templateIbEESt5tupleIJNSH_6TensorESM_SM_EERKSM_lbbbEUlllE0_EEPmJS6_EEE10hipError_tPvRmT3_T4_T5_T6_T7_T9_mT8_P12ihipStream_tbDpT10_ENKUlT_T0_E_clISt17integral_constantIbLb0EES1B_IbLb1EEEEDaS17_S18_EUlS17_E_NS1_11comp_targetILNS1_3genE10ELNS1_11target_archE1200ELNS1_3gpuE4ELNS1_3repE0EEENS1_30default_config_static_selectorELNS0_4arch9wavefront6targetE0EEEvT1_.kd
    .uniform_work_group_size: 1
    .uses_dynamic_stack: false
    .vgpr_count:     0
    .vgpr_spill_count: 0
    .wavefront_size: 32
    .workgroup_processor_mode: 1
  - .args:
      - .offset:         0
        .size:           136
        .value_kind:     by_value
    .group_segment_fixed_size: 33804
    .kernarg_segment_align: 8
    .kernarg_segment_size: 136
    .language:       OpenCL C
    .language_version:
      - 2
      - 0
    .max_flat_workgroup_size: 512
    .name:           _ZN7rocprim17ROCPRIM_400000_NS6detail17trampoline_kernelINS0_14default_configENS1_25partition_config_selectorILNS1_17partition_subalgoE8ElNS0_10empty_typeEbEEZZNS1_14partition_implILS5_8ELb0ES3_jPlPS6_PKS6_NS0_5tupleIJS9_S6_EEENSD_IJSA_SA_EEENS0_18inequality_wrapperIZN2at6native12_GLOBAL__N_124unique_dim_cuda_templateIbEESt5tupleIJNSH_6TensorESM_SM_EERKSM_lbbbEUlllE0_EEPmJS6_EEE10hipError_tPvRmT3_T4_T5_T6_T7_T9_mT8_P12ihipStream_tbDpT10_ENKUlT_T0_E_clISt17integral_constantIbLb0EES1B_IbLb1EEEEDaS17_S18_EUlS17_E_NS1_11comp_targetILNS1_3genE9ELNS1_11target_archE1100ELNS1_3gpuE3ELNS1_3repE0EEENS1_30default_config_static_selectorELNS0_4arch9wavefront6targetE0EEEvT1_
    .private_segment_fixed_size: 0
    .sgpr_count:     40
    .sgpr_spill_count: 0
    .symbol:         _ZN7rocprim17ROCPRIM_400000_NS6detail17trampoline_kernelINS0_14default_configENS1_25partition_config_selectorILNS1_17partition_subalgoE8ElNS0_10empty_typeEbEEZZNS1_14partition_implILS5_8ELb0ES3_jPlPS6_PKS6_NS0_5tupleIJS9_S6_EEENSD_IJSA_SA_EEENS0_18inequality_wrapperIZN2at6native12_GLOBAL__N_124unique_dim_cuda_templateIbEESt5tupleIJNSH_6TensorESM_SM_EERKSM_lbbbEUlllE0_EEPmJS6_EEE10hipError_tPvRmT3_T4_T5_T6_T7_T9_mT8_P12ihipStream_tbDpT10_ENKUlT_T0_E_clISt17integral_constantIbLb0EES1B_IbLb1EEEEDaS17_S18_EUlS17_E_NS1_11comp_targetILNS1_3genE9ELNS1_11target_archE1100ELNS1_3gpuE3ELNS1_3repE0EEENS1_30default_config_static_selectorELNS0_4arch9wavefront6targetE0EEEvT1_.kd
    .uniform_work_group_size: 1
    .uses_dynamic_stack: false
    .vgpr_count:     52
    .vgpr_spill_count: 0
    .wavefront_size: 32
    .workgroup_processor_mode: 1
  - .args:
      - .offset:         0
        .size:           136
        .value_kind:     by_value
    .group_segment_fixed_size: 0
    .kernarg_segment_align: 8
    .kernarg_segment_size: 136
    .language:       OpenCL C
    .language_version:
      - 2
      - 0
    .max_flat_workgroup_size: 512
    .name:           _ZN7rocprim17ROCPRIM_400000_NS6detail17trampoline_kernelINS0_14default_configENS1_25partition_config_selectorILNS1_17partition_subalgoE8ElNS0_10empty_typeEbEEZZNS1_14partition_implILS5_8ELb0ES3_jPlPS6_PKS6_NS0_5tupleIJS9_S6_EEENSD_IJSA_SA_EEENS0_18inequality_wrapperIZN2at6native12_GLOBAL__N_124unique_dim_cuda_templateIbEESt5tupleIJNSH_6TensorESM_SM_EERKSM_lbbbEUlllE0_EEPmJS6_EEE10hipError_tPvRmT3_T4_T5_T6_T7_T9_mT8_P12ihipStream_tbDpT10_ENKUlT_T0_E_clISt17integral_constantIbLb0EES1B_IbLb1EEEEDaS17_S18_EUlS17_E_NS1_11comp_targetILNS1_3genE8ELNS1_11target_archE1030ELNS1_3gpuE2ELNS1_3repE0EEENS1_30default_config_static_selectorELNS0_4arch9wavefront6targetE0EEEvT1_
    .private_segment_fixed_size: 0
    .sgpr_count:     0
    .sgpr_spill_count: 0
    .symbol:         _ZN7rocprim17ROCPRIM_400000_NS6detail17trampoline_kernelINS0_14default_configENS1_25partition_config_selectorILNS1_17partition_subalgoE8ElNS0_10empty_typeEbEEZZNS1_14partition_implILS5_8ELb0ES3_jPlPS6_PKS6_NS0_5tupleIJS9_S6_EEENSD_IJSA_SA_EEENS0_18inequality_wrapperIZN2at6native12_GLOBAL__N_124unique_dim_cuda_templateIbEESt5tupleIJNSH_6TensorESM_SM_EERKSM_lbbbEUlllE0_EEPmJS6_EEE10hipError_tPvRmT3_T4_T5_T6_T7_T9_mT8_P12ihipStream_tbDpT10_ENKUlT_T0_E_clISt17integral_constantIbLb0EES1B_IbLb1EEEEDaS17_S18_EUlS17_E_NS1_11comp_targetILNS1_3genE8ELNS1_11target_archE1030ELNS1_3gpuE2ELNS1_3repE0EEENS1_30default_config_static_selectorELNS0_4arch9wavefront6targetE0EEEvT1_.kd
    .uniform_work_group_size: 1
    .uses_dynamic_stack: false
    .vgpr_count:     0
    .vgpr_spill_count: 0
    .wavefront_size: 32
    .workgroup_processor_mode: 1
  - .args:
      - .offset:         0
        .size:           120
        .value_kind:     by_value
    .group_segment_fixed_size: 0
    .kernarg_segment_align: 8
    .kernarg_segment_size: 120
    .language:       OpenCL C
    .language_version:
      - 2
      - 0
    .max_flat_workgroup_size: 128
    .name:           _ZN7rocprim17ROCPRIM_400000_NS6detail17trampoline_kernelINS0_14default_configENS1_25partition_config_selectorILNS1_17partition_subalgoE9EllbEEZZNS1_14partition_implILS5_9ELb0ES3_jPlS8_PNS0_10empty_typeENS0_5tupleIJS8_S9_EEENSB_IJS8_SA_EEENS0_18inequality_wrapperIZN2at6native12_GLOBAL__N_124unique_dim_cuda_templateIbEESt5tupleIJNSF_6TensorESK_SK_EERKSK_lbbbEUlllE0_EEPmJS9_EEE10hipError_tPvRmT3_T4_T5_T6_T7_T9_mT8_P12ihipStream_tbDpT10_ENKUlT_T0_E_clISt17integral_constantIbLb0EES1A_EEDaS15_S16_EUlS15_E_NS1_11comp_targetILNS1_3genE0ELNS1_11target_archE4294967295ELNS1_3gpuE0ELNS1_3repE0EEENS1_30default_config_static_selectorELNS0_4arch9wavefront6targetE0EEEvT1_
    .private_segment_fixed_size: 0
    .sgpr_count:     0
    .sgpr_spill_count: 0
    .symbol:         _ZN7rocprim17ROCPRIM_400000_NS6detail17trampoline_kernelINS0_14default_configENS1_25partition_config_selectorILNS1_17partition_subalgoE9EllbEEZZNS1_14partition_implILS5_9ELb0ES3_jPlS8_PNS0_10empty_typeENS0_5tupleIJS8_S9_EEENSB_IJS8_SA_EEENS0_18inequality_wrapperIZN2at6native12_GLOBAL__N_124unique_dim_cuda_templateIbEESt5tupleIJNSF_6TensorESK_SK_EERKSK_lbbbEUlllE0_EEPmJS9_EEE10hipError_tPvRmT3_T4_T5_T6_T7_T9_mT8_P12ihipStream_tbDpT10_ENKUlT_T0_E_clISt17integral_constantIbLb0EES1A_EEDaS15_S16_EUlS15_E_NS1_11comp_targetILNS1_3genE0ELNS1_11target_archE4294967295ELNS1_3gpuE0ELNS1_3repE0EEENS1_30default_config_static_selectorELNS0_4arch9wavefront6targetE0EEEvT1_.kd
    .uniform_work_group_size: 1
    .uses_dynamic_stack: false
    .vgpr_count:     0
    .vgpr_spill_count: 0
    .wavefront_size: 32
    .workgroup_processor_mode: 1
  - .args:
      - .offset:         0
        .size:           120
        .value_kind:     by_value
    .group_segment_fixed_size: 0
    .kernarg_segment_align: 8
    .kernarg_segment_size: 120
    .language:       OpenCL C
    .language_version:
      - 2
      - 0
    .max_flat_workgroup_size: 512
    .name:           _ZN7rocprim17ROCPRIM_400000_NS6detail17trampoline_kernelINS0_14default_configENS1_25partition_config_selectorILNS1_17partition_subalgoE9EllbEEZZNS1_14partition_implILS5_9ELb0ES3_jPlS8_PNS0_10empty_typeENS0_5tupleIJS8_S9_EEENSB_IJS8_SA_EEENS0_18inequality_wrapperIZN2at6native12_GLOBAL__N_124unique_dim_cuda_templateIbEESt5tupleIJNSF_6TensorESK_SK_EERKSK_lbbbEUlllE0_EEPmJS9_EEE10hipError_tPvRmT3_T4_T5_T6_T7_T9_mT8_P12ihipStream_tbDpT10_ENKUlT_T0_E_clISt17integral_constantIbLb0EES1A_EEDaS15_S16_EUlS15_E_NS1_11comp_targetILNS1_3genE5ELNS1_11target_archE942ELNS1_3gpuE9ELNS1_3repE0EEENS1_30default_config_static_selectorELNS0_4arch9wavefront6targetE0EEEvT1_
    .private_segment_fixed_size: 0
    .sgpr_count:     0
    .sgpr_spill_count: 0
    .symbol:         _ZN7rocprim17ROCPRIM_400000_NS6detail17trampoline_kernelINS0_14default_configENS1_25partition_config_selectorILNS1_17partition_subalgoE9EllbEEZZNS1_14partition_implILS5_9ELb0ES3_jPlS8_PNS0_10empty_typeENS0_5tupleIJS8_S9_EEENSB_IJS8_SA_EEENS0_18inequality_wrapperIZN2at6native12_GLOBAL__N_124unique_dim_cuda_templateIbEESt5tupleIJNSF_6TensorESK_SK_EERKSK_lbbbEUlllE0_EEPmJS9_EEE10hipError_tPvRmT3_T4_T5_T6_T7_T9_mT8_P12ihipStream_tbDpT10_ENKUlT_T0_E_clISt17integral_constantIbLb0EES1A_EEDaS15_S16_EUlS15_E_NS1_11comp_targetILNS1_3genE5ELNS1_11target_archE942ELNS1_3gpuE9ELNS1_3repE0EEENS1_30default_config_static_selectorELNS0_4arch9wavefront6targetE0EEEvT1_.kd
    .uniform_work_group_size: 1
    .uses_dynamic_stack: false
    .vgpr_count:     0
    .vgpr_spill_count: 0
    .wavefront_size: 32
    .workgroup_processor_mode: 1
  - .args:
      - .offset:         0
        .size:           120
        .value_kind:     by_value
    .group_segment_fixed_size: 0
    .kernarg_segment_align: 8
    .kernarg_segment_size: 120
    .language:       OpenCL C
    .language_version:
      - 2
      - 0
    .max_flat_workgroup_size: 128
    .name:           _ZN7rocprim17ROCPRIM_400000_NS6detail17trampoline_kernelINS0_14default_configENS1_25partition_config_selectorILNS1_17partition_subalgoE9EllbEEZZNS1_14partition_implILS5_9ELb0ES3_jPlS8_PNS0_10empty_typeENS0_5tupleIJS8_S9_EEENSB_IJS8_SA_EEENS0_18inequality_wrapperIZN2at6native12_GLOBAL__N_124unique_dim_cuda_templateIbEESt5tupleIJNSF_6TensorESK_SK_EERKSK_lbbbEUlllE0_EEPmJS9_EEE10hipError_tPvRmT3_T4_T5_T6_T7_T9_mT8_P12ihipStream_tbDpT10_ENKUlT_T0_E_clISt17integral_constantIbLb0EES1A_EEDaS15_S16_EUlS15_E_NS1_11comp_targetILNS1_3genE4ELNS1_11target_archE910ELNS1_3gpuE8ELNS1_3repE0EEENS1_30default_config_static_selectorELNS0_4arch9wavefront6targetE0EEEvT1_
    .private_segment_fixed_size: 0
    .sgpr_count:     0
    .sgpr_spill_count: 0
    .symbol:         _ZN7rocprim17ROCPRIM_400000_NS6detail17trampoline_kernelINS0_14default_configENS1_25partition_config_selectorILNS1_17partition_subalgoE9EllbEEZZNS1_14partition_implILS5_9ELb0ES3_jPlS8_PNS0_10empty_typeENS0_5tupleIJS8_S9_EEENSB_IJS8_SA_EEENS0_18inequality_wrapperIZN2at6native12_GLOBAL__N_124unique_dim_cuda_templateIbEESt5tupleIJNSF_6TensorESK_SK_EERKSK_lbbbEUlllE0_EEPmJS9_EEE10hipError_tPvRmT3_T4_T5_T6_T7_T9_mT8_P12ihipStream_tbDpT10_ENKUlT_T0_E_clISt17integral_constantIbLb0EES1A_EEDaS15_S16_EUlS15_E_NS1_11comp_targetILNS1_3genE4ELNS1_11target_archE910ELNS1_3gpuE8ELNS1_3repE0EEENS1_30default_config_static_selectorELNS0_4arch9wavefront6targetE0EEEvT1_.kd
    .uniform_work_group_size: 1
    .uses_dynamic_stack: false
    .vgpr_count:     0
    .vgpr_spill_count: 0
    .wavefront_size: 32
    .workgroup_processor_mode: 1
  - .args:
      - .offset:         0
        .size:           120
        .value_kind:     by_value
    .group_segment_fixed_size: 0
    .kernarg_segment_align: 8
    .kernarg_segment_size: 120
    .language:       OpenCL C
    .language_version:
      - 2
      - 0
    .max_flat_workgroup_size: 128
    .name:           _ZN7rocprim17ROCPRIM_400000_NS6detail17trampoline_kernelINS0_14default_configENS1_25partition_config_selectorILNS1_17partition_subalgoE9EllbEEZZNS1_14partition_implILS5_9ELb0ES3_jPlS8_PNS0_10empty_typeENS0_5tupleIJS8_S9_EEENSB_IJS8_SA_EEENS0_18inequality_wrapperIZN2at6native12_GLOBAL__N_124unique_dim_cuda_templateIbEESt5tupleIJNSF_6TensorESK_SK_EERKSK_lbbbEUlllE0_EEPmJS9_EEE10hipError_tPvRmT3_T4_T5_T6_T7_T9_mT8_P12ihipStream_tbDpT10_ENKUlT_T0_E_clISt17integral_constantIbLb0EES1A_EEDaS15_S16_EUlS15_E_NS1_11comp_targetILNS1_3genE3ELNS1_11target_archE908ELNS1_3gpuE7ELNS1_3repE0EEENS1_30default_config_static_selectorELNS0_4arch9wavefront6targetE0EEEvT1_
    .private_segment_fixed_size: 0
    .sgpr_count:     0
    .sgpr_spill_count: 0
    .symbol:         _ZN7rocprim17ROCPRIM_400000_NS6detail17trampoline_kernelINS0_14default_configENS1_25partition_config_selectorILNS1_17partition_subalgoE9EllbEEZZNS1_14partition_implILS5_9ELb0ES3_jPlS8_PNS0_10empty_typeENS0_5tupleIJS8_S9_EEENSB_IJS8_SA_EEENS0_18inequality_wrapperIZN2at6native12_GLOBAL__N_124unique_dim_cuda_templateIbEESt5tupleIJNSF_6TensorESK_SK_EERKSK_lbbbEUlllE0_EEPmJS9_EEE10hipError_tPvRmT3_T4_T5_T6_T7_T9_mT8_P12ihipStream_tbDpT10_ENKUlT_T0_E_clISt17integral_constantIbLb0EES1A_EEDaS15_S16_EUlS15_E_NS1_11comp_targetILNS1_3genE3ELNS1_11target_archE908ELNS1_3gpuE7ELNS1_3repE0EEENS1_30default_config_static_selectorELNS0_4arch9wavefront6targetE0EEEvT1_.kd
    .uniform_work_group_size: 1
    .uses_dynamic_stack: false
    .vgpr_count:     0
    .vgpr_spill_count: 0
    .wavefront_size: 32
    .workgroup_processor_mode: 1
  - .args:
      - .offset:         0
        .size:           120
        .value_kind:     by_value
    .group_segment_fixed_size: 0
    .kernarg_segment_align: 8
    .kernarg_segment_size: 120
    .language:       OpenCL C
    .language_version:
      - 2
      - 0
    .max_flat_workgroup_size: 192
    .name:           _ZN7rocprim17ROCPRIM_400000_NS6detail17trampoline_kernelINS0_14default_configENS1_25partition_config_selectorILNS1_17partition_subalgoE9EllbEEZZNS1_14partition_implILS5_9ELb0ES3_jPlS8_PNS0_10empty_typeENS0_5tupleIJS8_S9_EEENSB_IJS8_SA_EEENS0_18inequality_wrapperIZN2at6native12_GLOBAL__N_124unique_dim_cuda_templateIbEESt5tupleIJNSF_6TensorESK_SK_EERKSK_lbbbEUlllE0_EEPmJS9_EEE10hipError_tPvRmT3_T4_T5_T6_T7_T9_mT8_P12ihipStream_tbDpT10_ENKUlT_T0_E_clISt17integral_constantIbLb0EES1A_EEDaS15_S16_EUlS15_E_NS1_11comp_targetILNS1_3genE2ELNS1_11target_archE906ELNS1_3gpuE6ELNS1_3repE0EEENS1_30default_config_static_selectorELNS0_4arch9wavefront6targetE0EEEvT1_
    .private_segment_fixed_size: 0
    .sgpr_count:     0
    .sgpr_spill_count: 0
    .symbol:         _ZN7rocprim17ROCPRIM_400000_NS6detail17trampoline_kernelINS0_14default_configENS1_25partition_config_selectorILNS1_17partition_subalgoE9EllbEEZZNS1_14partition_implILS5_9ELb0ES3_jPlS8_PNS0_10empty_typeENS0_5tupleIJS8_S9_EEENSB_IJS8_SA_EEENS0_18inequality_wrapperIZN2at6native12_GLOBAL__N_124unique_dim_cuda_templateIbEESt5tupleIJNSF_6TensorESK_SK_EERKSK_lbbbEUlllE0_EEPmJS9_EEE10hipError_tPvRmT3_T4_T5_T6_T7_T9_mT8_P12ihipStream_tbDpT10_ENKUlT_T0_E_clISt17integral_constantIbLb0EES1A_EEDaS15_S16_EUlS15_E_NS1_11comp_targetILNS1_3genE2ELNS1_11target_archE906ELNS1_3gpuE6ELNS1_3repE0EEENS1_30default_config_static_selectorELNS0_4arch9wavefront6targetE0EEEvT1_.kd
    .uniform_work_group_size: 1
    .uses_dynamic_stack: false
    .vgpr_count:     0
    .vgpr_spill_count: 0
    .wavefront_size: 32
    .workgroup_processor_mode: 1
  - .args:
      - .offset:         0
        .size:           120
        .value_kind:     by_value
    .group_segment_fixed_size: 0
    .kernarg_segment_align: 8
    .kernarg_segment_size: 120
    .language:       OpenCL C
    .language_version:
      - 2
      - 0
    .max_flat_workgroup_size: 384
    .name:           _ZN7rocprim17ROCPRIM_400000_NS6detail17trampoline_kernelINS0_14default_configENS1_25partition_config_selectorILNS1_17partition_subalgoE9EllbEEZZNS1_14partition_implILS5_9ELb0ES3_jPlS8_PNS0_10empty_typeENS0_5tupleIJS8_S9_EEENSB_IJS8_SA_EEENS0_18inequality_wrapperIZN2at6native12_GLOBAL__N_124unique_dim_cuda_templateIbEESt5tupleIJNSF_6TensorESK_SK_EERKSK_lbbbEUlllE0_EEPmJS9_EEE10hipError_tPvRmT3_T4_T5_T6_T7_T9_mT8_P12ihipStream_tbDpT10_ENKUlT_T0_E_clISt17integral_constantIbLb0EES1A_EEDaS15_S16_EUlS15_E_NS1_11comp_targetILNS1_3genE10ELNS1_11target_archE1200ELNS1_3gpuE4ELNS1_3repE0EEENS1_30default_config_static_selectorELNS0_4arch9wavefront6targetE0EEEvT1_
    .private_segment_fixed_size: 0
    .sgpr_count:     0
    .sgpr_spill_count: 0
    .symbol:         _ZN7rocprim17ROCPRIM_400000_NS6detail17trampoline_kernelINS0_14default_configENS1_25partition_config_selectorILNS1_17partition_subalgoE9EllbEEZZNS1_14partition_implILS5_9ELb0ES3_jPlS8_PNS0_10empty_typeENS0_5tupleIJS8_S9_EEENSB_IJS8_SA_EEENS0_18inequality_wrapperIZN2at6native12_GLOBAL__N_124unique_dim_cuda_templateIbEESt5tupleIJNSF_6TensorESK_SK_EERKSK_lbbbEUlllE0_EEPmJS9_EEE10hipError_tPvRmT3_T4_T5_T6_T7_T9_mT8_P12ihipStream_tbDpT10_ENKUlT_T0_E_clISt17integral_constantIbLb0EES1A_EEDaS15_S16_EUlS15_E_NS1_11comp_targetILNS1_3genE10ELNS1_11target_archE1200ELNS1_3gpuE4ELNS1_3repE0EEENS1_30default_config_static_selectorELNS0_4arch9wavefront6targetE0EEEvT1_.kd
    .uniform_work_group_size: 1
    .uses_dynamic_stack: false
    .vgpr_count:     0
    .vgpr_spill_count: 0
    .wavefront_size: 32
    .workgroup_processor_mode: 1
  - .args:
      - .offset:         0
        .size:           120
        .value_kind:     by_value
    .group_segment_fixed_size: 33804
    .kernarg_segment_align: 8
    .kernarg_segment_size: 120
    .language:       OpenCL C
    .language_version:
      - 2
      - 0
    .max_flat_workgroup_size: 512
    .name:           _ZN7rocprim17ROCPRIM_400000_NS6detail17trampoline_kernelINS0_14default_configENS1_25partition_config_selectorILNS1_17partition_subalgoE9EllbEEZZNS1_14partition_implILS5_9ELb0ES3_jPlS8_PNS0_10empty_typeENS0_5tupleIJS8_S9_EEENSB_IJS8_SA_EEENS0_18inequality_wrapperIZN2at6native12_GLOBAL__N_124unique_dim_cuda_templateIbEESt5tupleIJNSF_6TensorESK_SK_EERKSK_lbbbEUlllE0_EEPmJS9_EEE10hipError_tPvRmT3_T4_T5_T6_T7_T9_mT8_P12ihipStream_tbDpT10_ENKUlT_T0_E_clISt17integral_constantIbLb0EES1A_EEDaS15_S16_EUlS15_E_NS1_11comp_targetILNS1_3genE9ELNS1_11target_archE1100ELNS1_3gpuE3ELNS1_3repE0EEENS1_30default_config_static_selectorELNS0_4arch9wavefront6targetE0EEEvT1_
    .private_segment_fixed_size: 0
    .sgpr_count:     39
    .sgpr_spill_count: 0
    .symbol:         _ZN7rocprim17ROCPRIM_400000_NS6detail17trampoline_kernelINS0_14default_configENS1_25partition_config_selectorILNS1_17partition_subalgoE9EllbEEZZNS1_14partition_implILS5_9ELb0ES3_jPlS8_PNS0_10empty_typeENS0_5tupleIJS8_S9_EEENSB_IJS8_SA_EEENS0_18inequality_wrapperIZN2at6native12_GLOBAL__N_124unique_dim_cuda_templateIbEESt5tupleIJNSF_6TensorESK_SK_EERKSK_lbbbEUlllE0_EEPmJS9_EEE10hipError_tPvRmT3_T4_T5_T6_T7_T9_mT8_P12ihipStream_tbDpT10_ENKUlT_T0_E_clISt17integral_constantIbLb0EES1A_EEDaS15_S16_EUlS15_E_NS1_11comp_targetILNS1_3genE9ELNS1_11target_archE1100ELNS1_3gpuE3ELNS1_3repE0EEENS1_30default_config_static_selectorELNS0_4arch9wavefront6targetE0EEEvT1_.kd
    .uniform_work_group_size: 1
    .uses_dynamic_stack: false
    .vgpr_count:     68
    .vgpr_spill_count: 0
    .wavefront_size: 32
    .workgroup_processor_mode: 1
  - .args:
      - .offset:         0
        .size:           120
        .value_kind:     by_value
    .group_segment_fixed_size: 0
    .kernarg_segment_align: 8
    .kernarg_segment_size: 120
    .language:       OpenCL C
    .language_version:
      - 2
      - 0
    .max_flat_workgroup_size: 512
    .name:           _ZN7rocprim17ROCPRIM_400000_NS6detail17trampoline_kernelINS0_14default_configENS1_25partition_config_selectorILNS1_17partition_subalgoE9EllbEEZZNS1_14partition_implILS5_9ELb0ES3_jPlS8_PNS0_10empty_typeENS0_5tupleIJS8_S9_EEENSB_IJS8_SA_EEENS0_18inequality_wrapperIZN2at6native12_GLOBAL__N_124unique_dim_cuda_templateIbEESt5tupleIJNSF_6TensorESK_SK_EERKSK_lbbbEUlllE0_EEPmJS9_EEE10hipError_tPvRmT3_T4_T5_T6_T7_T9_mT8_P12ihipStream_tbDpT10_ENKUlT_T0_E_clISt17integral_constantIbLb0EES1A_EEDaS15_S16_EUlS15_E_NS1_11comp_targetILNS1_3genE8ELNS1_11target_archE1030ELNS1_3gpuE2ELNS1_3repE0EEENS1_30default_config_static_selectorELNS0_4arch9wavefront6targetE0EEEvT1_
    .private_segment_fixed_size: 0
    .sgpr_count:     0
    .sgpr_spill_count: 0
    .symbol:         _ZN7rocprim17ROCPRIM_400000_NS6detail17trampoline_kernelINS0_14default_configENS1_25partition_config_selectorILNS1_17partition_subalgoE9EllbEEZZNS1_14partition_implILS5_9ELb0ES3_jPlS8_PNS0_10empty_typeENS0_5tupleIJS8_S9_EEENSB_IJS8_SA_EEENS0_18inequality_wrapperIZN2at6native12_GLOBAL__N_124unique_dim_cuda_templateIbEESt5tupleIJNSF_6TensorESK_SK_EERKSK_lbbbEUlllE0_EEPmJS9_EEE10hipError_tPvRmT3_T4_T5_T6_T7_T9_mT8_P12ihipStream_tbDpT10_ENKUlT_T0_E_clISt17integral_constantIbLb0EES1A_EEDaS15_S16_EUlS15_E_NS1_11comp_targetILNS1_3genE8ELNS1_11target_archE1030ELNS1_3gpuE2ELNS1_3repE0EEENS1_30default_config_static_selectorELNS0_4arch9wavefront6targetE0EEEvT1_.kd
    .uniform_work_group_size: 1
    .uses_dynamic_stack: false
    .vgpr_count:     0
    .vgpr_spill_count: 0
    .wavefront_size: 32
    .workgroup_processor_mode: 1
  - .args:
      - .offset:         0
        .size:           136
        .value_kind:     by_value
    .group_segment_fixed_size: 0
    .kernarg_segment_align: 8
    .kernarg_segment_size: 136
    .language:       OpenCL C
    .language_version:
      - 2
      - 0
    .max_flat_workgroup_size: 128
    .name:           _ZN7rocprim17ROCPRIM_400000_NS6detail17trampoline_kernelINS0_14default_configENS1_25partition_config_selectorILNS1_17partition_subalgoE9EllbEEZZNS1_14partition_implILS5_9ELb0ES3_jPlS8_PNS0_10empty_typeENS0_5tupleIJS8_S9_EEENSB_IJS8_SA_EEENS0_18inequality_wrapperIZN2at6native12_GLOBAL__N_124unique_dim_cuda_templateIbEESt5tupleIJNSF_6TensorESK_SK_EERKSK_lbbbEUlllE0_EEPmJS9_EEE10hipError_tPvRmT3_T4_T5_T6_T7_T9_mT8_P12ihipStream_tbDpT10_ENKUlT_T0_E_clISt17integral_constantIbLb1EES1A_EEDaS15_S16_EUlS15_E_NS1_11comp_targetILNS1_3genE0ELNS1_11target_archE4294967295ELNS1_3gpuE0ELNS1_3repE0EEENS1_30default_config_static_selectorELNS0_4arch9wavefront6targetE0EEEvT1_
    .private_segment_fixed_size: 0
    .sgpr_count:     0
    .sgpr_spill_count: 0
    .symbol:         _ZN7rocprim17ROCPRIM_400000_NS6detail17trampoline_kernelINS0_14default_configENS1_25partition_config_selectorILNS1_17partition_subalgoE9EllbEEZZNS1_14partition_implILS5_9ELb0ES3_jPlS8_PNS0_10empty_typeENS0_5tupleIJS8_S9_EEENSB_IJS8_SA_EEENS0_18inequality_wrapperIZN2at6native12_GLOBAL__N_124unique_dim_cuda_templateIbEESt5tupleIJNSF_6TensorESK_SK_EERKSK_lbbbEUlllE0_EEPmJS9_EEE10hipError_tPvRmT3_T4_T5_T6_T7_T9_mT8_P12ihipStream_tbDpT10_ENKUlT_T0_E_clISt17integral_constantIbLb1EES1A_EEDaS15_S16_EUlS15_E_NS1_11comp_targetILNS1_3genE0ELNS1_11target_archE4294967295ELNS1_3gpuE0ELNS1_3repE0EEENS1_30default_config_static_selectorELNS0_4arch9wavefront6targetE0EEEvT1_.kd
    .uniform_work_group_size: 1
    .uses_dynamic_stack: false
    .vgpr_count:     0
    .vgpr_spill_count: 0
    .wavefront_size: 32
    .workgroup_processor_mode: 1
  - .args:
      - .offset:         0
        .size:           136
        .value_kind:     by_value
    .group_segment_fixed_size: 0
    .kernarg_segment_align: 8
    .kernarg_segment_size: 136
    .language:       OpenCL C
    .language_version:
      - 2
      - 0
    .max_flat_workgroup_size: 512
    .name:           _ZN7rocprim17ROCPRIM_400000_NS6detail17trampoline_kernelINS0_14default_configENS1_25partition_config_selectorILNS1_17partition_subalgoE9EllbEEZZNS1_14partition_implILS5_9ELb0ES3_jPlS8_PNS0_10empty_typeENS0_5tupleIJS8_S9_EEENSB_IJS8_SA_EEENS0_18inequality_wrapperIZN2at6native12_GLOBAL__N_124unique_dim_cuda_templateIbEESt5tupleIJNSF_6TensorESK_SK_EERKSK_lbbbEUlllE0_EEPmJS9_EEE10hipError_tPvRmT3_T4_T5_T6_T7_T9_mT8_P12ihipStream_tbDpT10_ENKUlT_T0_E_clISt17integral_constantIbLb1EES1A_EEDaS15_S16_EUlS15_E_NS1_11comp_targetILNS1_3genE5ELNS1_11target_archE942ELNS1_3gpuE9ELNS1_3repE0EEENS1_30default_config_static_selectorELNS0_4arch9wavefront6targetE0EEEvT1_
    .private_segment_fixed_size: 0
    .sgpr_count:     0
    .sgpr_spill_count: 0
    .symbol:         _ZN7rocprim17ROCPRIM_400000_NS6detail17trampoline_kernelINS0_14default_configENS1_25partition_config_selectorILNS1_17partition_subalgoE9EllbEEZZNS1_14partition_implILS5_9ELb0ES3_jPlS8_PNS0_10empty_typeENS0_5tupleIJS8_S9_EEENSB_IJS8_SA_EEENS0_18inequality_wrapperIZN2at6native12_GLOBAL__N_124unique_dim_cuda_templateIbEESt5tupleIJNSF_6TensorESK_SK_EERKSK_lbbbEUlllE0_EEPmJS9_EEE10hipError_tPvRmT3_T4_T5_T6_T7_T9_mT8_P12ihipStream_tbDpT10_ENKUlT_T0_E_clISt17integral_constantIbLb1EES1A_EEDaS15_S16_EUlS15_E_NS1_11comp_targetILNS1_3genE5ELNS1_11target_archE942ELNS1_3gpuE9ELNS1_3repE0EEENS1_30default_config_static_selectorELNS0_4arch9wavefront6targetE0EEEvT1_.kd
    .uniform_work_group_size: 1
    .uses_dynamic_stack: false
    .vgpr_count:     0
    .vgpr_spill_count: 0
    .wavefront_size: 32
    .workgroup_processor_mode: 1
  - .args:
      - .offset:         0
        .size:           136
        .value_kind:     by_value
    .group_segment_fixed_size: 0
    .kernarg_segment_align: 8
    .kernarg_segment_size: 136
    .language:       OpenCL C
    .language_version:
      - 2
      - 0
    .max_flat_workgroup_size: 128
    .name:           _ZN7rocprim17ROCPRIM_400000_NS6detail17trampoline_kernelINS0_14default_configENS1_25partition_config_selectorILNS1_17partition_subalgoE9EllbEEZZNS1_14partition_implILS5_9ELb0ES3_jPlS8_PNS0_10empty_typeENS0_5tupleIJS8_S9_EEENSB_IJS8_SA_EEENS0_18inequality_wrapperIZN2at6native12_GLOBAL__N_124unique_dim_cuda_templateIbEESt5tupleIJNSF_6TensorESK_SK_EERKSK_lbbbEUlllE0_EEPmJS9_EEE10hipError_tPvRmT3_T4_T5_T6_T7_T9_mT8_P12ihipStream_tbDpT10_ENKUlT_T0_E_clISt17integral_constantIbLb1EES1A_EEDaS15_S16_EUlS15_E_NS1_11comp_targetILNS1_3genE4ELNS1_11target_archE910ELNS1_3gpuE8ELNS1_3repE0EEENS1_30default_config_static_selectorELNS0_4arch9wavefront6targetE0EEEvT1_
    .private_segment_fixed_size: 0
    .sgpr_count:     0
    .sgpr_spill_count: 0
    .symbol:         _ZN7rocprim17ROCPRIM_400000_NS6detail17trampoline_kernelINS0_14default_configENS1_25partition_config_selectorILNS1_17partition_subalgoE9EllbEEZZNS1_14partition_implILS5_9ELb0ES3_jPlS8_PNS0_10empty_typeENS0_5tupleIJS8_S9_EEENSB_IJS8_SA_EEENS0_18inequality_wrapperIZN2at6native12_GLOBAL__N_124unique_dim_cuda_templateIbEESt5tupleIJNSF_6TensorESK_SK_EERKSK_lbbbEUlllE0_EEPmJS9_EEE10hipError_tPvRmT3_T4_T5_T6_T7_T9_mT8_P12ihipStream_tbDpT10_ENKUlT_T0_E_clISt17integral_constantIbLb1EES1A_EEDaS15_S16_EUlS15_E_NS1_11comp_targetILNS1_3genE4ELNS1_11target_archE910ELNS1_3gpuE8ELNS1_3repE0EEENS1_30default_config_static_selectorELNS0_4arch9wavefront6targetE0EEEvT1_.kd
    .uniform_work_group_size: 1
    .uses_dynamic_stack: false
    .vgpr_count:     0
    .vgpr_spill_count: 0
    .wavefront_size: 32
    .workgroup_processor_mode: 1
  - .args:
      - .offset:         0
        .size:           136
        .value_kind:     by_value
    .group_segment_fixed_size: 0
    .kernarg_segment_align: 8
    .kernarg_segment_size: 136
    .language:       OpenCL C
    .language_version:
      - 2
      - 0
    .max_flat_workgroup_size: 128
    .name:           _ZN7rocprim17ROCPRIM_400000_NS6detail17trampoline_kernelINS0_14default_configENS1_25partition_config_selectorILNS1_17partition_subalgoE9EllbEEZZNS1_14partition_implILS5_9ELb0ES3_jPlS8_PNS0_10empty_typeENS0_5tupleIJS8_S9_EEENSB_IJS8_SA_EEENS0_18inequality_wrapperIZN2at6native12_GLOBAL__N_124unique_dim_cuda_templateIbEESt5tupleIJNSF_6TensorESK_SK_EERKSK_lbbbEUlllE0_EEPmJS9_EEE10hipError_tPvRmT3_T4_T5_T6_T7_T9_mT8_P12ihipStream_tbDpT10_ENKUlT_T0_E_clISt17integral_constantIbLb1EES1A_EEDaS15_S16_EUlS15_E_NS1_11comp_targetILNS1_3genE3ELNS1_11target_archE908ELNS1_3gpuE7ELNS1_3repE0EEENS1_30default_config_static_selectorELNS0_4arch9wavefront6targetE0EEEvT1_
    .private_segment_fixed_size: 0
    .sgpr_count:     0
    .sgpr_spill_count: 0
    .symbol:         _ZN7rocprim17ROCPRIM_400000_NS6detail17trampoline_kernelINS0_14default_configENS1_25partition_config_selectorILNS1_17partition_subalgoE9EllbEEZZNS1_14partition_implILS5_9ELb0ES3_jPlS8_PNS0_10empty_typeENS0_5tupleIJS8_S9_EEENSB_IJS8_SA_EEENS0_18inequality_wrapperIZN2at6native12_GLOBAL__N_124unique_dim_cuda_templateIbEESt5tupleIJNSF_6TensorESK_SK_EERKSK_lbbbEUlllE0_EEPmJS9_EEE10hipError_tPvRmT3_T4_T5_T6_T7_T9_mT8_P12ihipStream_tbDpT10_ENKUlT_T0_E_clISt17integral_constantIbLb1EES1A_EEDaS15_S16_EUlS15_E_NS1_11comp_targetILNS1_3genE3ELNS1_11target_archE908ELNS1_3gpuE7ELNS1_3repE0EEENS1_30default_config_static_selectorELNS0_4arch9wavefront6targetE0EEEvT1_.kd
    .uniform_work_group_size: 1
    .uses_dynamic_stack: false
    .vgpr_count:     0
    .vgpr_spill_count: 0
    .wavefront_size: 32
    .workgroup_processor_mode: 1
  - .args:
      - .offset:         0
        .size:           136
        .value_kind:     by_value
    .group_segment_fixed_size: 0
    .kernarg_segment_align: 8
    .kernarg_segment_size: 136
    .language:       OpenCL C
    .language_version:
      - 2
      - 0
    .max_flat_workgroup_size: 192
    .name:           _ZN7rocprim17ROCPRIM_400000_NS6detail17trampoline_kernelINS0_14default_configENS1_25partition_config_selectorILNS1_17partition_subalgoE9EllbEEZZNS1_14partition_implILS5_9ELb0ES3_jPlS8_PNS0_10empty_typeENS0_5tupleIJS8_S9_EEENSB_IJS8_SA_EEENS0_18inequality_wrapperIZN2at6native12_GLOBAL__N_124unique_dim_cuda_templateIbEESt5tupleIJNSF_6TensorESK_SK_EERKSK_lbbbEUlllE0_EEPmJS9_EEE10hipError_tPvRmT3_T4_T5_T6_T7_T9_mT8_P12ihipStream_tbDpT10_ENKUlT_T0_E_clISt17integral_constantIbLb1EES1A_EEDaS15_S16_EUlS15_E_NS1_11comp_targetILNS1_3genE2ELNS1_11target_archE906ELNS1_3gpuE6ELNS1_3repE0EEENS1_30default_config_static_selectorELNS0_4arch9wavefront6targetE0EEEvT1_
    .private_segment_fixed_size: 0
    .sgpr_count:     0
    .sgpr_spill_count: 0
    .symbol:         _ZN7rocprim17ROCPRIM_400000_NS6detail17trampoline_kernelINS0_14default_configENS1_25partition_config_selectorILNS1_17partition_subalgoE9EllbEEZZNS1_14partition_implILS5_9ELb0ES3_jPlS8_PNS0_10empty_typeENS0_5tupleIJS8_S9_EEENSB_IJS8_SA_EEENS0_18inequality_wrapperIZN2at6native12_GLOBAL__N_124unique_dim_cuda_templateIbEESt5tupleIJNSF_6TensorESK_SK_EERKSK_lbbbEUlllE0_EEPmJS9_EEE10hipError_tPvRmT3_T4_T5_T6_T7_T9_mT8_P12ihipStream_tbDpT10_ENKUlT_T0_E_clISt17integral_constantIbLb1EES1A_EEDaS15_S16_EUlS15_E_NS1_11comp_targetILNS1_3genE2ELNS1_11target_archE906ELNS1_3gpuE6ELNS1_3repE0EEENS1_30default_config_static_selectorELNS0_4arch9wavefront6targetE0EEEvT1_.kd
    .uniform_work_group_size: 1
    .uses_dynamic_stack: false
    .vgpr_count:     0
    .vgpr_spill_count: 0
    .wavefront_size: 32
    .workgroup_processor_mode: 1
  - .args:
      - .offset:         0
        .size:           136
        .value_kind:     by_value
    .group_segment_fixed_size: 0
    .kernarg_segment_align: 8
    .kernarg_segment_size: 136
    .language:       OpenCL C
    .language_version:
      - 2
      - 0
    .max_flat_workgroup_size: 384
    .name:           _ZN7rocprim17ROCPRIM_400000_NS6detail17trampoline_kernelINS0_14default_configENS1_25partition_config_selectorILNS1_17partition_subalgoE9EllbEEZZNS1_14partition_implILS5_9ELb0ES3_jPlS8_PNS0_10empty_typeENS0_5tupleIJS8_S9_EEENSB_IJS8_SA_EEENS0_18inequality_wrapperIZN2at6native12_GLOBAL__N_124unique_dim_cuda_templateIbEESt5tupleIJNSF_6TensorESK_SK_EERKSK_lbbbEUlllE0_EEPmJS9_EEE10hipError_tPvRmT3_T4_T5_T6_T7_T9_mT8_P12ihipStream_tbDpT10_ENKUlT_T0_E_clISt17integral_constantIbLb1EES1A_EEDaS15_S16_EUlS15_E_NS1_11comp_targetILNS1_3genE10ELNS1_11target_archE1200ELNS1_3gpuE4ELNS1_3repE0EEENS1_30default_config_static_selectorELNS0_4arch9wavefront6targetE0EEEvT1_
    .private_segment_fixed_size: 0
    .sgpr_count:     0
    .sgpr_spill_count: 0
    .symbol:         _ZN7rocprim17ROCPRIM_400000_NS6detail17trampoline_kernelINS0_14default_configENS1_25partition_config_selectorILNS1_17partition_subalgoE9EllbEEZZNS1_14partition_implILS5_9ELb0ES3_jPlS8_PNS0_10empty_typeENS0_5tupleIJS8_S9_EEENSB_IJS8_SA_EEENS0_18inequality_wrapperIZN2at6native12_GLOBAL__N_124unique_dim_cuda_templateIbEESt5tupleIJNSF_6TensorESK_SK_EERKSK_lbbbEUlllE0_EEPmJS9_EEE10hipError_tPvRmT3_T4_T5_T6_T7_T9_mT8_P12ihipStream_tbDpT10_ENKUlT_T0_E_clISt17integral_constantIbLb1EES1A_EEDaS15_S16_EUlS15_E_NS1_11comp_targetILNS1_3genE10ELNS1_11target_archE1200ELNS1_3gpuE4ELNS1_3repE0EEENS1_30default_config_static_selectorELNS0_4arch9wavefront6targetE0EEEvT1_.kd
    .uniform_work_group_size: 1
    .uses_dynamic_stack: false
    .vgpr_count:     0
    .vgpr_spill_count: 0
    .wavefront_size: 32
    .workgroup_processor_mode: 1
  - .args:
      - .offset:         0
        .size:           136
        .value_kind:     by_value
    .group_segment_fixed_size: 33804
    .kernarg_segment_align: 8
    .kernarg_segment_size: 136
    .language:       OpenCL C
    .language_version:
      - 2
      - 0
    .max_flat_workgroup_size: 512
    .name:           _ZN7rocprim17ROCPRIM_400000_NS6detail17trampoline_kernelINS0_14default_configENS1_25partition_config_selectorILNS1_17partition_subalgoE9EllbEEZZNS1_14partition_implILS5_9ELb0ES3_jPlS8_PNS0_10empty_typeENS0_5tupleIJS8_S9_EEENSB_IJS8_SA_EEENS0_18inequality_wrapperIZN2at6native12_GLOBAL__N_124unique_dim_cuda_templateIbEESt5tupleIJNSF_6TensorESK_SK_EERKSK_lbbbEUlllE0_EEPmJS9_EEE10hipError_tPvRmT3_T4_T5_T6_T7_T9_mT8_P12ihipStream_tbDpT10_ENKUlT_T0_E_clISt17integral_constantIbLb1EES1A_EEDaS15_S16_EUlS15_E_NS1_11comp_targetILNS1_3genE9ELNS1_11target_archE1100ELNS1_3gpuE3ELNS1_3repE0EEENS1_30default_config_static_selectorELNS0_4arch9wavefront6targetE0EEEvT1_
    .private_segment_fixed_size: 0
    .sgpr_count:     42
    .sgpr_spill_count: 0
    .symbol:         _ZN7rocprim17ROCPRIM_400000_NS6detail17trampoline_kernelINS0_14default_configENS1_25partition_config_selectorILNS1_17partition_subalgoE9EllbEEZZNS1_14partition_implILS5_9ELb0ES3_jPlS8_PNS0_10empty_typeENS0_5tupleIJS8_S9_EEENSB_IJS8_SA_EEENS0_18inequality_wrapperIZN2at6native12_GLOBAL__N_124unique_dim_cuda_templateIbEESt5tupleIJNSF_6TensorESK_SK_EERKSK_lbbbEUlllE0_EEPmJS9_EEE10hipError_tPvRmT3_T4_T5_T6_T7_T9_mT8_P12ihipStream_tbDpT10_ENKUlT_T0_E_clISt17integral_constantIbLb1EES1A_EEDaS15_S16_EUlS15_E_NS1_11comp_targetILNS1_3genE9ELNS1_11target_archE1100ELNS1_3gpuE3ELNS1_3repE0EEENS1_30default_config_static_selectorELNS0_4arch9wavefront6targetE0EEEvT1_.kd
    .uniform_work_group_size: 1
    .uses_dynamic_stack: false
    .vgpr_count:     68
    .vgpr_spill_count: 0
    .wavefront_size: 32
    .workgroup_processor_mode: 1
  - .args:
      - .offset:         0
        .size:           136
        .value_kind:     by_value
    .group_segment_fixed_size: 0
    .kernarg_segment_align: 8
    .kernarg_segment_size: 136
    .language:       OpenCL C
    .language_version:
      - 2
      - 0
    .max_flat_workgroup_size: 512
    .name:           _ZN7rocprim17ROCPRIM_400000_NS6detail17trampoline_kernelINS0_14default_configENS1_25partition_config_selectorILNS1_17partition_subalgoE9EllbEEZZNS1_14partition_implILS5_9ELb0ES3_jPlS8_PNS0_10empty_typeENS0_5tupleIJS8_S9_EEENSB_IJS8_SA_EEENS0_18inequality_wrapperIZN2at6native12_GLOBAL__N_124unique_dim_cuda_templateIbEESt5tupleIJNSF_6TensorESK_SK_EERKSK_lbbbEUlllE0_EEPmJS9_EEE10hipError_tPvRmT3_T4_T5_T6_T7_T9_mT8_P12ihipStream_tbDpT10_ENKUlT_T0_E_clISt17integral_constantIbLb1EES1A_EEDaS15_S16_EUlS15_E_NS1_11comp_targetILNS1_3genE8ELNS1_11target_archE1030ELNS1_3gpuE2ELNS1_3repE0EEENS1_30default_config_static_selectorELNS0_4arch9wavefront6targetE0EEEvT1_
    .private_segment_fixed_size: 0
    .sgpr_count:     0
    .sgpr_spill_count: 0
    .symbol:         _ZN7rocprim17ROCPRIM_400000_NS6detail17trampoline_kernelINS0_14default_configENS1_25partition_config_selectorILNS1_17partition_subalgoE9EllbEEZZNS1_14partition_implILS5_9ELb0ES3_jPlS8_PNS0_10empty_typeENS0_5tupleIJS8_S9_EEENSB_IJS8_SA_EEENS0_18inequality_wrapperIZN2at6native12_GLOBAL__N_124unique_dim_cuda_templateIbEESt5tupleIJNSF_6TensorESK_SK_EERKSK_lbbbEUlllE0_EEPmJS9_EEE10hipError_tPvRmT3_T4_T5_T6_T7_T9_mT8_P12ihipStream_tbDpT10_ENKUlT_T0_E_clISt17integral_constantIbLb1EES1A_EEDaS15_S16_EUlS15_E_NS1_11comp_targetILNS1_3genE8ELNS1_11target_archE1030ELNS1_3gpuE2ELNS1_3repE0EEENS1_30default_config_static_selectorELNS0_4arch9wavefront6targetE0EEEvT1_.kd
    .uniform_work_group_size: 1
    .uses_dynamic_stack: false
    .vgpr_count:     0
    .vgpr_spill_count: 0
    .wavefront_size: 32
    .workgroup_processor_mode: 1
  - .args:
      - .offset:         0
        .size:           120
        .value_kind:     by_value
    .group_segment_fixed_size: 0
    .kernarg_segment_align: 8
    .kernarg_segment_size: 120
    .language:       OpenCL C
    .language_version:
      - 2
      - 0
    .max_flat_workgroup_size: 128
    .name:           _ZN7rocprim17ROCPRIM_400000_NS6detail17trampoline_kernelINS0_14default_configENS1_25partition_config_selectorILNS1_17partition_subalgoE9EllbEEZZNS1_14partition_implILS5_9ELb0ES3_jPlS8_PNS0_10empty_typeENS0_5tupleIJS8_S9_EEENSB_IJS8_SA_EEENS0_18inequality_wrapperIZN2at6native12_GLOBAL__N_124unique_dim_cuda_templateIbEESt5tupleIJNSF_6TensorESK_SK_EERKSK_lbbbEUlllE0_EEPmJS9_EEE10hipError_tPvRmT3_T4_T5_T6_T7_T9_mT8_P12ihipStream_tbDpT10_ENKUlT_T0_E_clISt17integral_constantIbLb1EES19_IbLb0EEEEDaS15_S16_EUlS15_E_NS1_11comp_targetILNS1_3genE0ELNS1_11target_archE4294967295ELNS1_3gpuE0ELNS1_3repE0EEENS1_30default_config_static_selectorELNS0_4arch9wavefront6targetE0EEEvT1_
    .private_segment_fixed_size: 0
    .sgpr_count:     0
    .sgpr_spill_count: 0
    .symbol:         _ZN7rocprim17ROCPRIM_400000_NS6detail17trampoline_kernelINS0_14default_configENS1_25partition_config_selectorILNS1_17partition_subalgoE9EllbEEZZNS1_14partition_implILS5_9ELb0ES3_jPlS8_PNS0_10empty_typeENS0_5tupleIJS8_S9_EEENSB_IJS8_SA_EEENS0_18inequality_wrapperIZN2at6native12_GLOBAL__N_124unique_dim_cuda_templateIbEESt5tupleIJNSF_6TensorESK_SK_EERKSK_lbbbEUlllE0_EEPmJS9_EEE10hipError_tPvRmT3_T4_T5_T6_T7_T9_mT8_P12ihipStream_tbDpT10_ENKUlT_T0_E_clISt17integral_constantIbLb1EES19_IbLb0EEEEDaS15_S16_EUlS15_E_NS1_11comp_targetILNS1_3genE0ELNS1_11target_archE4294967295ELNS1_3gpuE0ELNS1_3repE0EEENS1_30default_config_static_selectorELNS0_4arch9wavefront6targetE0EEEvT1_.kd
    .uniform_work_group_size: 1
    .uses_dynamic_stack: false
    .vgpr_count:     0
    .vgpr_spill_count: 0
    .wavefront_size: 32
    .workgroup_processor_mode: 1
  - .args:
      - .offset:         0
        .size:           120
        .value_kind:     by_value
    .group_segment_fixed_size: 0
    .kernarg_segment_align: 8
    .kernarg_segment_size: 120
    .language:       OpenCL C
    .language_version:
      - 2
      - 0
    .max_flat_workgroup_size: 512
    .name:           _ZN7rocprim17ROCPRIM_400000_NS6detail17trampoline_kernelINS0_14default_configENS1_25partition_config_selectorILNS1_17partition_subalgoE9EllbEEZZNS1_14partition_implILS5_9ELb0ES3_jPlS8_PNS0_10empty_typeENS0_5tupleIJS8_S9_EEENSB_IJS8_SA_EEENS0_18inequality_wrapperIZN2at6native12_GLOBAL__N_124unique_dim_cuda_templateIbEESt5tupleIJNSF_6TensorESK_SK_EERKSK_lbbbEUlllE0_EEPmJS9_EEE10hipError_tPvRmT3_T4_T5_T6_T7_T9_mT8_P12ihipStream_tbDpT10_ENKUlT_T0_E_clISt17integral_constantIbLb1EES19_IbLb0EEEEDaS15_S16_EUlS15_E_NS1_11comp_targetILNS1_3genE5ELNS1_11target_archE942ELNS1_3gpuE9ELNS1_3repE0EEENS1_30default_config_static_selectorELNS0_4arch9wavefront6targetE0EEEvT1_
    .private_segment_fixed_size: 0
    .sgpr_count:     0
    .sgpr_spill_count: 0
    .symbol:         _ZN7rocprim17ROCPRIM_400000_NS6detail17trampoline_kernelINS0_14default_configENS1_25partition_config_selectorILNS1_17partition_subalgoE9EllbEEZZNS1_14partition_implILS5_9ELb0ES3_jPlS8_PNS0_10empty_typeENS0_5tupleIJS8_S9_EEENSB_IJS8_SA_EEENS0_18inequality_wrapperIZN2at6native12_GLOBAL__N_124unique_dim_cuda_templateIbEESt5tupleIJNSF_6TensorESK_SK_EERKSK_lbbbEUlllE0_EEPmJS9_EEE10hipError_tPvRmT3_T4_T5_T6_T7_T9_mT8_P12ihipStream_tbDpT10_ENKUlT_T0_E_clISt17integral_constantIbLb1EES19_IbLb0EEEEDaS15_S16_EUlS15_E_NS1_11comp_targetILNS1_3genE5ELNS1_11target_archE942ELNS1_3gpuE9ELNS1_3repE0EEENS1_30default_config_static_selectorELNS0_4arch9wavefront6targetE0EEEvT1_.kd
    .uniform_work_group_size: 1
    .uses_dynamic_stack: false
    .vgpr_count:     0
    .vgpr_spill_count: 0
    .wavefront_size: 32
    .workgroup_processor_mode: 1
  - .args:
      - .offset:         0
        .size:           120
        .value_kind:     by_value
    .group_segment_fixed_size: 0
    .kernarg_segment_align: 8
    .kernarg_segment_size: 120
    .language:       OpenCL C
    .language_version:
      - 2
      - 0
    .max_flat_workgroup_size: 128
    .name:           _ZN7rocprim17ROCPRIM_400000_NS6detail17trampoline_kernelINS0_14default_configENS1_25partition_config_selectorILNS1_17partition_subalgoE9EllbEEZZNS1_14partition_implILS5_9ELb0ES3_jPlS8_PNS0_10empty_typeENS0_5tupleIJS8_S9_EEENSB_IJS8_SA_EEENS0_18inequality_wrapperIZN2at6native12_GLOBAL__N_124unique_dim_cuda_templateIbEESt5tupleIJNSF_6TensorESK_SK_EERKSK_lbbbEUlllE0_EEPmJS9_EEE10hipError_tPvRmT3_T4_T5_T6_T7_T9_mT8_P12ihipStream_tbDpT10_ENKUlT_T0_E_clISt17integral_constantIbLb1EES19_IbLb0EEEEDaS15_S16_EUlS15_E_NS1_11comp_targetILNS1_3genE4ELNS1_11target_archE910ELNS1_3gpuE8ELNS1_3repE0EEENS1_30default_config_static_selectorELNS0_4arch9wavefront6targetE0EEEvT1_
    .private_segment_fixed_size: 0
    .sgpr_count:     0
    .sgpr_spill_count: 0
    .symbol:         _ZN7rocprim17ROCPRIM_400000_NS6detail17trampoline_kernelINS0_14default_configENS1_25partition_config_selectorILNS1_17partition_subalgoE9EllbEEZZNS1_14partition_implILS5_9ELb0ES3_jPlS8_PNS0_10empty_typeENS0_5tupleIJS8_S9_EEENSB_IJS8_SA_EEENS0_18inequality_wrapperIZN2at6native12_GLOBAL__N_124unique_dim_cuda_templateIbEESt5tupleIJNSF_6TensorESK_SK_EERKSK_lbbbEUlllE0_EEPmJS9_EEE10hipError_tPvRmT3_T4_T5_T6_T7_T9_mT8_P12ihipStream_tbDpT10_ENKUlT_T0_E_clISt17integral_constantIbLb1EES19_IbLb0EEEEDaS15_S16_EUlS15_E_NS1_11comp_targetILNS1_3genE4ELNS1_11target_archE910ELNS1_3gpuE8ELNS1_3repE0EEENS1_30default_config_static_selectorELNS0_4arch9wavefront6targetE0EEEvT1_.kd
    .uniform_work_group_size: 1
    .uses_dynamic_stack: false
    .vgpr_count:     0
    .vgpr_spill_count: 0
    .wavefront_size: 32
    .workgroup_processor_mode: 1
  - .args:
      - .offset:         0
        .size:           120
        .value_kind:     by_value
    .group_segment_fixed_size: 0
    .kernarg_segment_align: 8
    .kernarg_segment_size: 120
    .language:       OpenCL C
    .language_version:
      - 2
      - 0
    .max_flat_workgroup_size: 128
    .name:           _ZN7rocprim17ROCPRIM_400000_NS6detail17trampoline_kernelINS0_14default_configENS1_25partition_config_selectorILNS1_17partition_subalgoE9EllbEEZZNS1_14partition_implILS5_9ELb0ES3_jPlS8_PNS0_10empty_typeENS0_5tupleIJS8_S9_EEENSB_IJS8_SA_EEENS0_18inequality_wrapperIZN2at6native12_GLOBAL__N_124unique_dim_cuda_templateIbEESt5tupleIJNSF_6TensorESK_SK_EERKSK_lbbbEUlllE0_EEPmJS9_EEE10hipError_tPvRmT3_T4_T5_T6_T7_T9_mT8_P12ihipStream_tbDpT10_ENKUlT_T0_E_clISt17integral_constantIbLb1EES19_IbLb0EEEEDaS15_S16_EUlS15_E_NS1_11comp_targetILNS1_3genE3ELNS1_11target_archE908ELNS1_3gpuE7ELNS1_3repE0EEENS1_30default_config_static_selectorELNS0_4arch9wavefront6targetE0EEEvT1_
    .private_segment_fixed_size: 0
    .sgpr_count:     0
    .sgpr_spill_count: 0
    .symbol:         _ZN7rocprim17ROCPRIM_400000_NS6detail17trampoline_kernelINS0_14default_configENS1_25partition_config_selectorILNS1_17partition_subalgoE9EllbEEZZNS1_14partition_implILS5_9ELb0ES3_jPlS8_PNS0_10empty_typeENS0_5tupleIJS8_S9_EEENSB_IJS8_SA_EEENS0_18inequality_wrapperIZN2at6native12_GLOBAL__N_124unique_dim_cuda_templateIbEESt5tupleIJNSF_6TensorESK_SK_EERKSK_lbbbEUlllE0_EEPmJS9_EEE10hipError_tPvRmT3_T4_T5_T6_T7_T9_mT8_P12ihipStream_tbDpT10_ENKUlT_T0_E_clISt17integral_constantIbLb1EES19_IbLb0EEEEDaS15_S16_EUlS15_E_NS1_11comp_targetILNS1_3genE3ELNS1_11target_archE908ELNS1_3gpuE7ELNS1_3repE0EEENS1_30default_config_static_selectorELNS0_4arch9wavefront6targetE0EEEvT1_.kd
    .uniform_work_group_size: 1
    .uses_dynamic_stack: false
    .vgpr_count:     0
    .vgpr_spill_count: 0
    .wavefront_size: 32
    .workgroup_processor_mode: 1
  - .args:
      - .offset:         0
        .size:           120
        .value_kind:     by_value
    .group_segment_fixed_size: 0
    .kernarg_segment_align: 8
    .kernarg_segment_size: 120
    .language:       OpenCL C
    .language_version:
      - 2
      - 0
    .max_flat_workgroup_size: 192
    .name:           _ZN7rocprim17ROCPRIM_400000_NS6detail17trampoline_kernelINS0_14default_configENS1_25partition_config_selectorILNS1_17partition_subalgoE9EllbEEZZNS1_14partition_implILS5_9ELb0ES3_jPlS8_PNS0_10empty_typeENS0_5tupleIJS8_S9_EEENSB_IJS8_SA_EEENS0_18inequality_wrapperIZN2at6native12_GLOBAL__N_124unique_dim_cuda_templateIbEESt5tupleIJNSF_6TensorESK_SK_EERKSK_lbbbEUlllE0_EEPmJS9_EEE10hipError_tPvRmT3_T4_T5_T6_T7_T9_mT8_P12ihipStream_tbDpT10_ENKUlT_T0_E_clISt17integral_constantIbLb1EES19_IbLb0EEEEDaS15_S16_EUlS15_E_NS1_11comp_targetILNS1_3genE2ELNS1_11target_archE906ELNS1_3gpuE6ELNS1_3repE0EEENS1_30default_config_static_selectorELNS0_4arch9wavefront6targetE0EEEvT1_
    .private_segment_fixed_size: 0
    .sgpr_count:     0
    .sgpr_spill_count: 0
    .symbol:         _ZN7rocprim17ROCPRIM_400000_NS6detail17trampoline_kernelINS0_14default_configENS1_25partition_config_selectorILNS1_17partition_subalgoE9EllbEEZZNS1_14partition_implILS5_9ELb0ES3_jPlS8_PNS0_10empty_typeENS0_5tupleIJS8_S9_EEENSB_IJS8_SA_EEENS0_18inequality_wrapperIZN2at6native12_GLOBAL__N_124unique_dim_cuda_templateIbEESt5tupleIJNSF_6TensorESK_SK_EERKSK_lbbbEUlllE0_EEPmJS9_EEE10hipError_tPvRmT3_T4_T5_T6_T7_T9_mT8_P12ihipStream_tbDpT10_ENKUlT_T0_E_clISt17integral_constantIbLb1EES19_IbLb0EEEEDaS15_S16_EUlS15_E_NS1_11comp_targetILNS1_3genE2ELNS1_11target_archE906ELNS1_3gpuE6ELNS1_3repE0EEENS1_30default_config_static_selectorELNS0_4arch9wavefront6targetE0EEEvT1_.kd
    .uniform_work_group_size: 1
    .uses_dynamic_stack: false
    .vgpr_count:     0
    .vgpr_spill_count: 0
    .wavefront_size: 32
    .workgroup_processor_mode: 1
  - .args:
      - .offset:         0
        .size:           120
        .value_kind:     by_value
    .group_segment_fixed_size: 0
    .kernarg_segment_align: 8
    .kernarg_segment_size: 120
    .language:       OpenCL C
    .language_version:
      - 2
      - 0
    .max_flat_workgroup_size: 384
    .name:           _ZN7rocprim17ROCPRIM_400000_NS6detail17trampoline_kernelINS0_14default_configENS1_25partition_config_selectorILNS1_17partition_subalgoE9EllbEEZZNS1_14partition_implILS5_9ELb0ES3_jPlS8_PNS0_10empty_typeENS0_5tupleIJS8_S9_EEENSB_IJS8_SA_EEENS0_18inequality_wrapperIZN2at6native12_GLOBAL__N_124unique_dim_cuda_templateIbEESt5tupleIJNSF_6TensorESK_SK_EERKSK_lbbbEUlllE0_EEPmJS9_EEE10hipError_tPvRmT3_T4_T5_T6_T7_T9_mT8_P12ihipStream_tbDpT10_ENKUlT_T0_E_clISt17integral_constantIbLb1EES19_IbLb0EEEEDaS15_S16_EUlS15_E_NS1_11comp_targetILNS1_3genE10ELNS1_11target_archE1200ELNS1_3gpuE4ELNS1_3repE0EEENS1_30default_config_static_selectorELNS0_4arch9wavefront6targetE0EEEvT1_
    .private_segment_fixed_size: 0
    .sgpr_count:     0
    .sgpr_spill_count: 0
    .symbol:         _ZN7rocprim17ROCPRIM_400000_NS6detail17trampoline_kernelINS0_14default_configENS1_25partition_config_selectorILNS1_17partition_subalgoE9EllbEEZZNS1_14partition_implILS5_9ELb0ES3_jPlS8_PNS0_10empty_typeENS0_5tupleIJS8_S9_EEENSB_IJS8_SA_EEENS0_18inequality_wrapperIZN2at6native12_GLOBAL__N_124unique_dim_cuda_templateIbEESt5tupleIJNSF_6TensorESK_SK_EERKSK_lbbbEUlllE0_EEPmJS9_EEE10hipError_tPvRmT3_T4_T5_T6_T7_T9_mT8_P12ihipStream_tbDpT10_ENKUlT_T0_E_clISt17integral_constantIbLb1EES19_IbLb0EEEEDaS15_S16_EUlS15_E_NS1_11comp_targetILNS1_3genE10ELNS1_11target_archE1200ELNS1_3gpuE4ELNS1_3repE0EEENS1_30default_config_static_selectorELNS0_4arch9wavefront6targetE0EEEvT1_.kd
    .uniform_work_group_size: 1
    .uses_dynamic_stack: false
    .vgpr_count:     0
    .vgpr_spill_count: 0
    .wavefront_size: 32
    .workgroup_processor_mode: 1
  - .args:
      - .offset:         0
        .size:           120
        .value_kind:     by_value
    .group_segment_fixed_size: 33804
    .kernarg_segment_align: 8
    .kernarg_segment_size: 120
    .language:       OpenCL C
    .language_version:
      - 2
      - 0
    .max_flat_workgroup_size: 512
    .name:           _ZN7rocprim17ROCPRIM_400000_NS6detail17trampoline_kernelINS0_14default_configENS1_25partition_config_selectorILNS1_17partition_subalgoE9EllbEEZZNS1_14partition_implILS5_9ELb0ES3_jPlS8_PNS0_10empty_typeENS0_5tupleIJS8_S9_EEENSB_IJS8_SA_EEENS0_18inequality_wrapperIZN2at6native12_GLOBAL__N_124unique_dim_cuda_templateIbEESt5tupleIJNSF_6TensorESK_SK_EERKSK_lbbbEUlllE0_EEPmJS9_EEE10hipError_tPvRmT3_T4_T5_T6_T7_T9_mT8_P12ihipStream_tbDpT10_ENKUlT_T0_E_clISt17integral_constantIbLb1EES19_IbLb0EEEEDaS15_S16_EUlS15_E_NS1_11comp_targetILNS1_3genE9ELNS1_11target_archE1100ELNS1_3gpuE3ELNS1_3repE0EEENS1_30default_config_static_selectorELNS0_4arch9wavefront6targetE0EEEvT1_
    .private_segment_fixed_size: 0
    .sgpr_count:     39
    .sgpr_spill_count: 0
    .symbol:         _ZN7rocprim17ROCPRIM_400000_NS6detail17trampoline_kernelINS0_14default_configENS1_25partition_config_selectorILNS1_17partition_subalgoE9EllbEEZZNS1_14partition_implILS5_9ELb0ES3_jPlS8_PNS0_10empty_typeENS0_5tupleIJS8_S9_EEENSB_IJS8_SA_EEENS0_18inequality_wrapperIZN2at6native12_GLOBAL__N_124unique_dim_cuda_templateIbEESt5tupleIJNSF_6TensorESK_SK_EERKSK_lbbbEUlllE0_EEPmJS9_EEE10hipError_tPvRmT3_T4_T5_T6_T7_T9_mT8_P12ihipStream_tbDpT10_ENKUlT_T0_E_clISt17integral_constantIbLb1EES19_IbLb0EEEEDaS15_S16_EUlS15_E_NS1_11comp_targetILNS1_3genE9ELNS1_11target_archE1100ELNS1_3gpuE3ELNS1_3repE0EEENS1_30default_config_static_selectorELNS0_4arch9wavefront6targetE0EEEvT1_.kd
    .uniform_work_group_size: 1
    .uses_dynamic_stack: false
    .vgpr_count:     68
    .vgpr_spill_count: 0
    .wavefront_size: 32
    .workgroup_processor_mode: 1
  - .args:
      - .offset:         0
        .size:           120
        .value_kind:     by_value
    .group_segment_fixed_size: 0
    .kernarg_segment_align: 8
    .kernarg_segment_size: 120
    .language:       OpenCL C
    .language_version:
      - 2
      - 0
    .max_flat_workgroup_size: 512
    .name:           _ZN7rocprim17ROCPRIM_400000_NS6detail17trampoline_kernelINS0_14default_configENS1_25partition_config_selectorILNS1_17partition_subalgoE9EllbEEZZNS1_14partition_implILS5_9ELb0ES3_jPlS8_PNS0_10empty_typeENS0_5tupleIJS8_S9_EEENSB_IJS8_SA_EEENS0_18inequality_wrapperIZN2at6native12_GLOBAL__N_124unique_dim_cuda_templateIbEESt5tupleIJNSF_6TensorESK_SK_EERKSK_lbbbEUlllE0_EEPmJS9_EEE10hipError_tPvRmT3_T4_T5_T6_T7_T9_mT8_P12ihipStream_tbDpT10_ENKUlT_T0_E_clISt17integral_constantIbLb1EES19_IbLb0EEEEDaS15_S16_EUlS15_E_NS1_11comp_targetILNS1_3genE8ELNS1_11target_archE1030ELNS1_3gpuE2ELNS1_3repE0EEENS1_30default_config_static_selectorELNS0_4arch9wavefront6targetE0EEEvT1_
    .private_segment_fixed_size: 0
    .sgpr_count:     0
    .sgpr_spill_count: 0
    .symbol:         _ZN7rocprim17ROCPRIM_400000_NS6detail17trampoline_kernelINS0_14default_configENS1_25partition_config_selectorILNS1_17partition_subalgoE9EllbEEZZNS1_14partition_implILS5_9ELb0ES3_jPlS8_PNS0_10empty_typeENS0_5tupleIJS8_S9_EEENSB_IJS8_SA_EEENS0_18inequality_wrapperIZN2at6native12_GLOBAL__N_124unique_dim_cuda_templateIbEESt5tupleIJNSF_6TensorESK_SK_EERKSK_lbbbEUlllE0_EEPmJS9_EEE10hipError_tPvRmT3_T4_T5_T6_T7_T9_mT8_P12ihipStream_tbDpT10_ENKUlT_T0_E_clISt17integral_constantIbLb1EES19_IbLb0EEEEDaS15_S16_EUlS15_E_NS1_11comp_targetILNS1_3genE8ELNS1_11target_archE1030ELNS1_3gpuE2ELNS1_3repE0EEENS1_30default_config_static_selectorELNS0_4arch9wavefront6targetE0EEEvT1_.kd
    .uniform_work_group_size: 1
    .uses_dynamic_stack: false
    .vgpr_count:     0
    .vgpr_spill_count: 0
    .wavefront_size: 32
    .workgroup_processor_mode: 1
  - .args:
      - .offset:         0
        .size:           136
        .value_kind:     by_value
    .group_segment_fixed_size: 0
    .kernarg_segment_align: 8
    .kernarg_segment_size: 136
    .language:       OpenCL C
    .language_version:
      - 2
      - 0
    .max_flat_workgroup_size: 128
    .name:           _ZN7rocprim17ROCPRIM_400000_NS6detail17trampoline_kernelINS0_14default_configENS1_25partition_config_selectorILNS1_17partition_subalgoE9EllbEEZZNS1_14partition_implILS5_9ELb0ES3_jPlS8_PNS0_10empty_typeENS0_5tupleIJS8_S9_EEENSB_IJS8_SA_EEENS0_18inequality_wrapperIZN2at6native12_GLOBAL__N_124unique_dim_cuda_templateIbEESt5tupleIJNSF_6TensorESK_SK_EERKSK_lbbbEUlllE0_EEPmJS9_EEE10hipError_tPvRmT3_T4_T5_T6_T7_T9_mT8_P12ihipStream_tbDpT10_ENKUlT_T0_E_clISt17integral_constantIbLb0EES19_IbLb1EEEEDaS15_S16_EUlS15_E_NS1_11comp_targetILNS1_3genE0ELNS1_11target_archE4294967295ELNS1_3gpuE0ELNS1_3repE0EEENS1_30default_config_static_selectorELNS0_4arch9wavefront6targetE0EEEvT1_
    .private_segment_fixed_size: 0
    .sgpr_count:     0
    .sgpr_spill_count: 0
    .symbol:         _ZN7rocprim17ROCPRIM_400000_NS6detail17trampoline_kernelINS0_14default_configENS1_25partition_config_selectorILNS1_17partition_subalgoE9EllbEEZZNS1_14partition_implILS5_9ELb0ES3_jPlS8_PNS0_10empty_typeENS0_5tupleIJS8_S9_EEENSB_IJS8_SA_EEENS0_18inequality_wrapperIZN2at6native12_GLOBAL__N_124unique_dim_cuda_templateIbEESt5tupleIJNSF_6TensorESK_SK_EERKSK_lbbbEUlllE0_EEPmJS9_EEE10hipError_tPvRmT3_T4_T5_T6_T7_T9_mT8_P12ihipStream_tbDpT10_ENKUlT_T0_E_clISt17integral_constantIbLb0EES19_IbLb1EEEEDaS15_S16_EUlS15_E_NS1_11comp_targetILNS1_3genE0ELNS1_11target_archE4294967295ELNS1_3gpuE0ELNS1_3repE0EEENS1_30default_config_static_selectorELNS0_4arch9wavefront6targetE0EEEvT1_.kd
    .uniform_work_group_size: 1
    .uses_dynamic_stack: false
    .vgpr_count:     0
    .vgpr_spill_count: 0
    .wavefront_size: 32
    .workgroup_processor_mode: 1
  - .args:
      - .offset:         0
        .size:           136
        .value_kind:     by_value
    .group_segment_fixed_size: 0
    .kernarg_segment_align: 8
    .kernarg_segment_size: 136
    .language:       OpenCL C
    .language_version:
      - 2
      - 0
    .max_flat_workgroup_size: 512
    .name:           _ZN7rocprim17ROCPRIM_400000_NS6detail17trampoline_kernelINS0_14default_configENS1_25partition_config_selectorILNS1_17partition_subalgoE9EllbEEZZNS1_14partition_implILS5_9ELb0ES3_jPlS8_PNS0_10empty_typeENS0_5tupleIJS8_S9_EEENSB_IJS8_SA_EEENS0_18inequality_wrapperIZN2at6native12_GLOBAL__N_124unique_dim_cuda_templateIbEESt5tupleIJNSF_6TensorESK_SK_EERKSK_lbbbEUlllE0_EEPmJS9_EEE10hipError_tPvRmT3_T4_T5_T6_T7_T9_mT8_P12ihipStream_tbDpT10_ENKUlT_T0_E_clISt17integral_constantIbLb0EES19_IbLb1EEEEDaS15_S16_EUlS15_E_NS1_11comp_targetILNS1_3genE5ELNS1_11target_archE942ELNS1_3gpuE9ELNS1_3repE0EEENS1_30default_config_static_selectorELNS0_4arch9wavefront6targetE0EEEvT1_
    .private_segment_fixed_size: 0
    .sgpr_count:     0
    .sgpr_spill_count: 0
    .symbol:         _ZN7rocprim17ROCPRIM_400000_NS6detail17trampoline_kernelINS0_14default_configENS1_25partition_config_selectorILNS1_17partition_subalgoE9EllbEEZZNS1_14partition_implILS5_9ELb0ES3_jPlS8_PNS0_10empty_typeENS0_5tupleIJS8_S9_EEENSB_IJS8_SA_EEENS0_18inequality_wrapperIZN2at6native12_GLOBAL__N_124unique_dim_cuda_templateIbEESt5tupleIJNSF_6TensorESK_SK_EERKSK_lbbbEUlllE0_EEPmJS9_EEE10hipError_tPvRmT3_T4_T5_T6_T7_T9_mT8_P12ihipStream_tbDpT10_ENKUlT_T0_E_clISt17integral_constantIbLb0EES19_IbLb1EEEEDaS15_S16_EUlS15_E_NS1_11comp_targetILNS1_3genE5ELNS1_11target_archE942ELNS1_3gpuE9ELNS1_3repE0EEENS1_30default_config_static_selectorELNS0_4arch9wavefront6targetE0EEEvT1_.kd
    .uniform_work_group_size: 1
    .uses_dynamic_stack: false
    .vgpr_count:     0
    .vgpr_spill_count: 0
    .wavefront_size: 32
    .workgroup_processor_mode: 1
  - .args:
      - .offset:         0
        .size:           136
        .value_kind:     by_value
    .group_segment_fixed_size: 0
    .kernarg_segment_align: 8
    .kernarg_segment_size: 136
    .language:       OpenCL C
    .language_version:
      - 2
      - 0
    .max_flat_workgroup_size: 128
    .name:           _ZN7rocprim17ROCPRIM_400000_NS6detail17trampoline_kernelINS0_14default_configENS1_25partition_config_selectorILNS1_17partition_subalgoE9EllbEEZZNS1_14partition_implILS5_9ELb0ES3_jPlS8_PNS0_10empty_typeENS0_5tupleIJS8_S9_EEENSB_IJS8_SA_EEENS0_18inequality_wrapperIZN2at6native12_GLOBAL__N_124unique_dim_cuda_templateIbEESt5tupleIJNSF_6TensorESK_SK_EERKSK_lbbbEUlllE0_EEPmJS9_EEE10hipError_tPvRmT3_T4_T5_T6_T7_T9_mT8_P12ihipStream_tbDpT10_ENKUlT_T0_E_clISt17integral_constantIbLb0EES19_IbLb1EEEEDaS15_S16_EUlS15_E_NS1_11comp_targetILNS1_3genE4ELNS1_11target_archE910ELNS1_3gpuE8ELNS1_3repE0EEENS1_30default_config_static_selectorELNS0_4arch9wavefront6targetE0EEEvT1_
    .private_segment_fixed_size: 0
    .sgpr_count:     0
    .sgpr_spill_count: 0
    .symbol:         _ZN7rocprim17ROCPRIM_400000_NS6detail17trampoline_kernelINS0_14default_configENS1_25partition_config_selectorILNS1_17partition_subalgoE9EllbEEZZNS1_14partition_implILS5_9ELb0ES3_jPlS8_PNS0_10empty_typeENS0_5tupleIJS8_S9_EEENSB_IJS8_SA_EEENS0_18inequality_wrapperIZN2at6native12_GLOBAL__N_124unique_dim_cuda_templateIbEESt5tupleIJNSF_6TensorESK_SK_EERKSK_lbbbEUlllE0_EEPmJS9_EEE10hipError_tPvRmT3_T4_T5_T6_T7_T9_mT8_P12ihipStream_tbDpT10_ENKUlT_T0_E_clISt17integral_constantIbLb0EES19_IbLb1EEEEDaS15_S16_EUlS15_E_NS1_11comp_targetILNS1_3genE4ELNS1_11target_archE910ELNS1_3gpuE8ELNS1_3repE0EEENS1_30default_config_static_selectorELNS0_4arch9wavefront6targetE0EEEvT1_.kd
    .uniform_work_group_size: 1
    .uses_dynamic_stack: false
    .vgpr_count:     0
    .vgpr_spill_count: 0
    .wavefront_size: 32
    .workgroup_processor_mode: 1
  - .args:
      - .offset:         0
        .size:           136
        .value_kind:     by_value
    .group_segment_fixed_size: 0
    .kernarg_segment_align: 8
    .kernarg_segment_size: 136
    .language:       OpenCL C
    .language_version:
      - 2
      - 0
    .max_flat_workgroup_size: 128
    .name:           _ZN7rocprim17ROCPRIM_400000_NS6detail17trampoline_kernelINS0_14default_configENS1_25partition_config_selectorILNS1_17partition_subalgoE9EllbEEZZNS1_14partition_implILS5_9ELb0ES3_jPlS8_PNS0_10empty_typeENS0_5tupleIJS8_S9_EEENSB_IJS8_SA_EEENS0_18inequality_wrapperIZN2at6native12_GLOBAL__N_124unique_dim_cuda_templateIbEESt5tupleIJNSF_6TensorESK_SK_EERKSK_lbbbEUlllE0_EEPmJS9_EEE10hipError_tPvRmT3_T4_T5_T6_T7_T9_mT8_P12ihipStream_tbDpT10_ENKUlT_T0_E_clISt17integral_constantIbLb0EES19_IbLb1EEEEDaS15_S16_EUlS15_E_NS1_11comp_targetILNS1_3genE3ELNS1_11target_archE908ELNS1_3gpuE7ELNS1_3repE0EEENS1_30default_config_static_selectorELNS0_4arch9wavefront6targetE0EEEvT1_
    .private_segment_fixed_size: 0
    .sgpr_count:     0
    .sgpr_spill_count: 0
    .symbol:         _ZN7rocprim17ROCPRIM_400000_NS6detail17trampoline_kernelINS0_14default_configENS1_25partition_config_selectorILNS1_17partition_subalgoE9EllbEEZZNS1_14partition_implILS5_9ELb0ES3_jPlS8_PNS0_10empty_typeENS0_5tupleIJS8_S9_EEENSB_IJS8_SA_EEENS0_18inequality_wrapperIZN2at6native12_GLOBAL__N_124unique_dim_cuda_templateIbEESt5tupleIJNSF_6TensorESK_SK_EERKSK_lbbbEUlllE0_EEPmJS9_EEE10hipError_tPvRmT3_T4_T5_T6_T7_T9_mT8_P12ihipStream_tbDpT10_ENKUlT_T0_E_clISt17integral_constantIbLb0EES19_IbLb1EEEEDaS15_S16_EUlS15_E_NS1_11comp_targetILNS1_3genE3ELNS1_11target_archE908ELNS1_3gpuE7ELNS1_3repE0EEENS1_30default_config_static_selectorELNS0_4arch9wavefront6targetE0EEEvT1_.kd
    .uniform_work_group_size: 1
    .uses_dynamic_stack: false
    .vgpr_count:     0
    .vgpr_spill_count: 0
    .wavefront_size: 32
    .workgroup_processor_mode: 1
  - .args:
      - .offset:         0
        .size:           136
        .value_kind:     by_value
    .group_segment_fixed_size: 0
    .kernarg_segment_align: 8
    .kernarg_segment_size: 136
    .language:       OpenCL C
    .language_version:
      - 2
      - 0
    .max_flat_workgroup_size: 192
    .name:           _ZN7rocprim17ROCPRIM_400000_NS6detail17trampoline_kernelINS0_14default_configENS1_25partition_config_selectorILNS1_17partition_subalgoE9EllbEEZZNS1_14partition_implILS5_9ELb0ES3_jPlS8_PNS0_10empty_typeENS0_5tupleIJS8_S9_EEENSB_IJS8_SA_EEENS0_18inequality_wrapperIZN2at6native12_GLOBAL__N_124unique_dim_cuda_templateIbEESt5tupleIJNSF_6TensorESK_SK_EERKSK_lbbbEUlllE0_EEPmJS9_EEE10hipError_tPvRmT3_T4_T5_T6_T7_T9_mT8_P12ihipStream_tbDpT10_ENKUlT_T0_E_clISt17integral_constantIbLb0EES19_IbLb1EEEEDaS15_S16_EUlS15_E_NS1_11comp_targetILNS1_3genE2ELNS1_11target_archE906ELNS1_3gpuE6ELNS1_3repE0EEENS1_30default_config_static_selectorELNS0_4arch9wavefront6targetE0EEEvT1_
    .private_segment_fixed_size: 0
    .sgpr_count:     0
    .sgpr_spill_count: 0
    .symbol:         _ZN7rocprim17ROCPRIM_400000_NS6detail17trampoline_kernelINS0_14default_configENS1_25partition_config_selectorILNS1_17partition_subalgoE9EllbEEZZNS1_14partition_implILS5_9ELb0ES3_jPlS8_PNS0_10empty_typeENS0_5tupleIJS8_S9_EEENSB_IJS8_SA_EEENS0_18inequality_wrapperIZN2at6native12_GLOBAL__N_124unique_dim_cuda_templateIbEESt5tupleIJNSF_6TensorESK_SK_EERKSK_lbbbEUlllE0_EEPmJS9_EEE10hipError_tPvRmT3_T4_T5_T6_T7_T9_mT8_P12ihipStream_tbDpT10_ENKUlT_T0_E_clISt17integral_constantIbLb0EES19_IbLb1EEEEDaS15_S16_EUlS15_E_NS1_11comp_targetILNS1_3genE2ELNS1_11target_archE906ELNS1_3gpuE6ELNS1_3repE0EEENS1_30default_config_static_selectorELNS0_4arch9wavefront6targetE0EEEvT1_.kd
    .uniform_work_group_size: 1
    .uses_dynamic_stack: false
    .vgpr_count:     0
    .vgpr_spill_count: 0
    .wavefront_size: 32
    .workgroup_processor_mode: 1
  - .args:
      - .offset:         0
        .size:           136
        .value_kind:     by_value
    .group_segment_fixed_size: 0
    .kernarg_segment_align: 8
    .kernarg_segment_size: 136
    .language:       OpenCL C
    .language_version:
      - 2
      - 0
    .max_flat_workgroup_size: 384
    .name:           _ZN7rocprim17ROCPRIM_400000_NS6detail17trampoline_kernelINS0_14default_configENS1_25partition_config_selectorILNS1_17partition_subalgoE9EllbEEZZNS1_14partition_implILS5_9ELb0ES3_jPlS8_PNS0_10empty_typeENS0_5tupleIJS8_S9_EEENSB_IJS8_SA_EEENS0_18inequality_wrapperIZN2at6native12_GLOBAL__N_124unique_dim_cuda_templateIbEESt5tupleIJNSF_6TensorESK_SK_EERKSK_lbbbEUlllE0_EEPmJS9_EEE10hipError_tPvRmT3_T4_T5_T6_T7_T9_mT8_P12ihipStream_tbDpT10_ENKUlT_T0_E_clISt17integral_constantIbLb0EES19_IbLb1EEEEDaS15_S16_EUlS15_E_NS1_11comp_targetILNS1_3genE10ELNS1_11target_archE1200ELNS1_3gpuE4ELNS1_3repE0EEENS1_30default_config_static_selectorELNS0_4arch9wavefront6targetE0EEEvT1_
    .private_segment_fixed_size: 0
    .sgpr_count:     0
    .sgpr_spill_count: 0
    .symbol:         _ZN7rocprim17ROCPRIM_400000_NS6detail17trampoline_kernelINS0_14default_configENS1_25partition_config_selectorILNS1_17partition_subalgoE9EllbEEZZNS1_14partition_implILS5_9ELb0ES3_jPlS8_PNS0_10empty_typeENS0_5tupleIJS8_S9_EEENSB_IJS8_SA_EEENS0_18inequality_wrapperIZN2at6native12_GLOBAL__N_124unique_dim_cuda_templateIbEESt5tupleIJNSF_6TensorESK_SK_EERKSK_lbbbEUlllE0_EEPmJS9_EEE10hipError_tPvRmT3_T4_T5_T6_T7_T9_mT8_P12ihipStream_tbDpT10_ENKUlT_T0_E_clISt17integral_constantIbLb0EES19_IbLb1EEEEDaS15_S16_EUlS15_E_NS1_11comp_targetILNS1_3genE10ELNS1_11target_archE1200ELNS1_3gpuE4ELNS1_3repE0EEENS1_30default_config_static_selectorELNS0_4arch9wavefront6targetE0EEEvT1_.kd
    .uniform_work_group_size: 1
    .uses_dynamic_stack: false
    .vgpr_count:     0
    .vgpr_spill_count: 0
    .wavefront_size: 32
    .workgroup_processor_mode: 1
  - .args:
      - .offset:         0
        .size:           136
        .value_kind:     by_value
    .group_segment_fixed_size: 33804
    .kernarg_segment_align: 8
    .kernarg_segment_size: 136
    .language:       OpenCL C
    .language_version:
      - 2
      - 0
    .max_flat_workgroup_size: 512
    .name:           _ZN7rocprim17ROCPRIM_400000_NS6detail17trampoline_kernelINS0_14default_configENS1_25partition_config_selectorILNS1_17partition_subalgoE9EllbEEZZNS1_14partition_implILS5_9ELb0ES3_jPlS8_PNS0_10empty_typeENS0_5tupleIJS8_S9_EEENSB_IJS8_SA_EEENS0_18inequality_wrapperIZN2at6native12_GLOBAL__N_124unique_dim_cuda_templateIbEESt5tupleIJNSF_6TensorESK_SK_EERKSK_lbbbEUlllE0_EEPmJS9_EEE10hipError_tPvRmT3_T4_T5_T6_T7_T9_mT8_P12ihipStream_tbDpT10_ENKUlT_T0_E_clISt17integral_constantIbLb0EES19_IbLb1EEEEDaS15_S16_EUlS15_E_NS1_11comp_targetILNS1_3genE9ELNS1_11target_archE1100ELNS1_3gpuE3ELNS1_3repE0EEENS1_30default_config_static_selectorELNS0_4arch9wavefront6targetE0EEEvT1_
    .private_segment_fixed_size: 0
    .sgpr_count:     42
    .sgpr_spill_count: 0
    .symbol:         _ZN7rocprim17ROCPRIM_400000_NS6detail17trampoline_kernelINS0_14default_configENS1_25partition_config_selectorILNS1_17partition_subalgoE9EllbEEZZNS1_14partition_implILS5_9ELb0ES3_jPlS8_PNS0_10empty_typeENS0_5tupleIJS8_S9_EEENSB_IJS8_SA_EEENS0_18inequality_wrapperIZN2at6native12_GLOBAL__N_124unique_dim_cuda_templateIbEESt5tupleIJNSF_6TensorESK_SK_EERKSK_lbbbEUlllE0_EEPmJS9_EEE10hipError_tPvRmT3_T4_T5_T6_T7_T9_mT8_P12ihipStream_tbDpT10_ENKUlT_T0_E_clISt17integral_constantIbLb0EES19_IbLb1EEEEDaS15_S16_EUlS15_E_NS1_11comp_targetILNS1_3genE9ELNS1_11target_archE1100ELNS1_3gpuE3ELNS1_3repE0EEENS1_30default_config_static_selectorELNS0_4arch9wavefront6targetE0EEEvT1_.kd
    .uniform_work_group_size: 1
    .uses_dynamic_stack: false
    .vgpr_count:     68
    .vgpr_spill_count: 0
    .wavefront_size: 32
    .workgroup_processor_mode: 1
  - .args:
      - .offset:         0
        .size:           136
        .value_kind:     by_value
    .group_segment_fixed_size: 0
    .kernarg_segment_align: 8
    .kernarg_segment_size: 136
    .language:       OpenCL C
    .language_version:
      - 2
      - 0
    .max_flat_workgroup_size: 512
    .name:           _ZN7rocprim17ROCPRIM_400000_NS6detail17trampoline_kernelINS0_14default_configENS1_25partition_config_selectorILNS1_17partition_subalgoE9EllbEEZZNS1_14partition_implILS5_9ELb0ES3_jPlS8_PNS0_10empty_typeENS0_5tupleIJS8_S9_EEENSB_IJS8_SA_EEENS0_18inequality_wrapperIZN2at6native12_GLOBAL__N_124unique_dim_cuda_templateIbEESt5tupleIJNSF_6TensorESK_SK_EERKSK_lbbbEUlllE0_EEPmJS9_EEE10hipError_tPvRmT3_T4_T5_T6_T7_T9_mT8_P12ihipStream_tbDpT10_ENKUlT_T0_E_clISt17integral_constantIbLb0EES19_IbLb1EEEEDaS15_S16_EUlS15_E_NS1_11comp_targetILNS1_3genE8ELNS1_11target_archE1030ELNS1_3gpuE2ELNS1_3repE0EEENS1_30default_config_static_selectorELNS0_4arch9wavefront6targetE0EEEvT1_
    .private_segment_fixed_size: 0
    .sgpr_count:     0
    .sgpr_spill_count: 0
    .symbol:         _ZN7rocprim17ROCPRIM_400000_NS6detail17trampoline_kernelINS0_14default_configENS1_25partition_config_selectorILNS1_17partition_subalgoE9EllbEEZZNS1_14partition_implILS5_9ELb0ES3_jPlS8_PNS0_10empty_typeENS0_5tupleIJS8_S9_EEENSB_IJS8_SA_EEENS0_18inequality_wrapperIZN2at6native12_GLOBAL__N_124unique_dim_cuda_templateIbEESt5tupleIJNSF_6TensorESK_SK_EERKSK_lbbbEUlllE0_EEPmJS9_EEE10hipError_tPvRmT3_T4_T5_T6_T7_T9_mT8_P12ihipStream_tbDpT10_ENKUlT_T0_E_clISt17integral_constantIbLb0EES19_IbLb1EEEEDaS15_S16_EUlS15_E_NS1_11comp_targetILNS1_3genE8ELNS1_11target_archE1030ELNS1_3gpuE2ELNS1_3repE0EEENS1_30default_config_static_selectorELNS0_4arch9wavefront6targetE0EEEvT1_.kd
    .uniform_work_group_size: 1
    .uses_dynamic_stack: false
    .vgpr_count:     0
    .vgpr_spill_count: 0
    .wavefront_size: 32
    .workgroup_processor_mode: 1
  - .args:
      - .offset:         0
        .size:           72
        .value_kind:     by_value
    .group_segment_fixed_size: 0
    .kernarg_segment_align: 8
    .kernarg_segment_size: 72
    .language:       OpenCL C
    .language_version:
      - 2
      - 0
    .max_flat_workgroup_size: 256
    .name:           _ZN7rocprim17ROCPRIM_400000_NS6detail17trampoline_kernelINS0_14default_configENS1_37merge_sort_block_sort_config_selectorIlNS0_10empty_typeEEEZNS1_21merge_sort_block_sortIS3_PlS8_PS5_S9_ZN2at6native12_GLOBAL__N_124unique_dim_cuda_templateIN3c108BFloat16EEESt5tupleIJNSA_6TensorESH_SH_EERKSH_lbbbEUlllE_EE10hipError_tT0_T1_T2_T3_mRjT4_P12ihipStream_tbNS1_7vsmem_tEEUlT_E_NS1_11comp_targetILNS1_3genE0ELNS1_11target_archE4294967295ELNS1_3gpuE0ELNS1_3repE0EEENS1_30default_config_static_selectorELNS0_4arch9wavefront6targetE0EEEvSO_
    .private_segment_fixed_size: 0
    .sgpr_count:     0
    .sgpr_spill_count: 0
    .symbol:         _ZN7rocprim17ROCPRIM_400000_NS6detail17trampoline_kernelINS0_14default_configENS1_37merge_sort_block_sort_config_selectorIlNS0_10empty_typeEEEZNS1_21merge_sort_block_sortIS3_PlS8_PS5_S9_ZN2at6native12_GLOBAL__N_124unique_dim_cuda_templateIN3c108BFloat16EEESt5tupleIJNSA_6TensorESH_SH_EERKSH_lbbbEUlllE_EE10hipError_tT0_T1_T2_T3_mRjT4_P12ihipStream_tbNS1_7vsmem_tEEUlT_E_NS1_11comp_targetILNS1_3genE0ELNS1_11target_archE4294967295ELNS1_3gpuE0ELNS1_3repE0EEENS1_30default_config_static_selectorELNS0_4arch9wavefront6targetE0EEEvSO_.kd
    .uniform_work_group_size: 1
    .uses_dynamic_stack: false
    .vgpr_count:     0
    .vgpr_spill_count: 0
    .wavefront_size: 32
    .workgroup_processor_mode: 1
  - .args:
      - .offset:         0
        .size:           72
        .value_kind:     by_value
    .group_segment_fixed_size: 0
    .kernarg_segment_align: 8
    .kernarg_segment_size: 72
    .language:       OpenCL C
    .language_version:
      - 2
      - 0
    .max_flat_workgroup_size: 256
    .name:           _ZN7rocprim17ROCPRIM_400000_NS6detail17trampoline_kernelINS0_14default_configENS1_37merge_sort_block_sort_config_selectorIlNS0_10empty_typeEEEZNS1_21merge_sort_block_sortIS3_PlS8_PS5_S9_ZN2at6native12_GLOBAL__N_124unique_dim_cuda_templateIN3c108BFloat16EEESt5tupleIJNSA_6TensorESH_SH_EERKSH_lbbbEUlllE_EE10hipError_tT0_T1_T2_T3_mRjT4_P12ihipStream_tbNS1_7vsmem_tEEUlT_E_NS1_11comp_targetILNS1_3genE5ELNS1_11target_archE942ELNS1_3gpuE9ELNS1_3repE0EEENS1_30default_config_static_selectorELNS0_4arch9wavefront6targetE0EEEvSO_
    .private_segment_fixed_size: 0
    .sgpr_count:     0
    .sgpr_spill_count: 0
    .symbol:         _ZN7rocprim17ROCPRIM_400000_NS6detail17trampoline_kernelINS0_14default_configENS1_37merge_sort_block_sort_config_selectorIlNS0_10empty_typeEEEZNS1_21merge_sort_block_sortIS3_PlS8_PS5_S9_ZN2at6native12_GLOBAL__N_124unique_dim_cuda_templateIN3c108BFloat16EEESt5tupleIJNSA_6TensorESH_SH_EERKSH_lbbbEUlllE_EE10hipError_tT0_T1_T2_T3_mRjT4_P12ihipStream_tbNS1_7vsmem_tEEUlT_E_NS1_11comp_targetILNS1_3genE5ELNS1_11target_archE942ELNS1_3gpuE9ELNS1_3repE0EEENS1_30default_config_static_selectorELNS0_4arch9wavefront6targetE0EEEvSO_.kd
    .uniform_work_group_size: 1
    .uses_dynamic_stack: false
    .vgpr_count:     0
    .vgpr_spill_count: 0
    .wavefront_size: 32
    .workgroup_processor_mode: 1
  - .args:
      - .offset:         0
        .size:           72
        .value_kind:     by_value
    .group_segment_fixed_size: 0
    .kernarg_segment_align: 8
    .kernarg_segment_size: 72
    .language:       OpenCL C
    .language_version:
      - 2
      - 0
    .max_flat_workgroup_size: 256
    .name:           _ZN7rocprim17ROCPRIM_400000_NS6detail17trampoline_kernelINS0_14default_configENS1_37merge_sort_block_sort_config_selectorIlNS0_10empty_typeEEEZNS1_21merge_sort_block_sortIS3_PlS8_PS5_S9_ZN2at6native12_GLOBAL__N_124unique_dim_cuda_templateIN3c108BFloat16EEESt5tupleIJNSA_6TensorESH_SH_EERKSH_lbbbEUlllE_EE10hipError_tT0_T1_T2_T3_mRjT4_P12ihipStream_tbNS1_7vsmem_tEEUlT_E_NS1_11comp_targetILNS1_3genE4ELNS1_11target_archE910ELNS1_3gpuE8ELNS1_3repE0EEENS1_30default_config_static_selectorELNS0_4arch9wavefront6targetE0EEEvSO_
    .private_segment_fixed_size: 0
    .sgpr_count:     0
    .sgpr_spill_count: 0
    .symbol:         _ZN7rocprim17ROCPRIM_400000_NS6detail17trampoline_kernelINS0_14default_configENS1_37merge_sort_block_sort_config_selectorIlNS0_10empty_typeEEEZNS1_21merge_sort_block_sortIS3_PlS8_PS5_S9_ZN2at6native12_GLOBAL__N_124unique_dim_cuda_templateIN3c108BFloat16EEESt5tupleIJNSA_6TensorESH_SH_EERKSH_lbbbEUlllE_EE10hipError_tT0_T1_T2_T3_mRjT4_P12ihipStream_tbNS1_7vsmem_tEEUlT_E_NS1_11comp_targetILNS1_3genE4ELNS1_11target_archE910ELNS1_3gpuE8ELNS1_3repE0EEENS1_30default_config_static_selectorELNS0_4arch9wavefront6targetE0EEEvSO_.kd
    .uniform_work_group_size: 1
    .uses_dynamic_stack: false
    .vgpr_count:     0
    .vgpr_spill_count: 0
    .wavefront_size: 32
    .workgroup_processor_mode: 1
  - .args:
      - .offset:         0
        .size:           72
        .value_kind:     by_value
    .group_segment_fixed_size: 0
    .kernarg_segment_align: 8
    .kernarg_segment_size: 72
    .language:       OpenCL C
    .language_version:
      - 2
      - 0
    .max_flat_workgroup_size: 256
    .name:           _ZN7rocprim17ROCPRIM_400000_NS6detail17trampoline_kernelINS0_14default_configENS1_37merge_sort_block_sort_config_selectorIlNS0_10empty_typeEEEZNS1_21merge_sort_block_sortIS3_PlS8_PS5_S9_ZN2at6native12_GLOBAL__N_124unique_dim_cuda_templateIN3c108BFloat16EEESt5tupleIJNSA_6TensorESH_SH_EERKSH_lbbbEUlllE_EE10hipError_tT0_T1_T2_T3_mRjT4_P12ihipStream_tbNS1_7vsmem_tEEUlT_E_NS1_11comp_targetILNS1_3genE3ELNS1_11target_archE908ELNS1_3gpuE7ELNS1_3repE0EEENS1_30default_config_static_selectorELNS0_4arch9wavefront6targetE0EEEvSO_
    .private_segment_fixed_size: 0
    .sgpr_count:     0
    .sgpr_spill_count: 0
    .symbol:         _ZN7rocprim17ROCPRIM_400000_NS6detail17trampoline_kernelINS0_14default_configENS1_37merge_sort_block_sort_config_selectorIlNS0_10empty_typeEEEZNS1_21merge_sort_block_sortIS3_PlS8_PS5_S9_ZN2at6native12_GLOBAL__N_124unique_dim_cuda_templateIN3c108BFloat16EEESt5tupleIJNSA_6TensorESH_SH_EERKSH_lbbbEUlllE_EE10hipError_tT0_T1_T2_T3_mRjT4_P12ihipStream_tbNS1_7vsmem_tEEUlT_E_NS1_11comp_targetILNS1_3genE3ELNS1_11target_archE908ELNS1_3gpuE7ELNS1_3repE0EEENS1_30default_config_static_selectorELNS0_4arch9wavefront6targetE0EEEvSO_.kd
    .uniform_work_group_size: 1
    .uses_dynamic_stack: false
    .vgpr_count:     0
    .vgpr_spill_count: 0
    .wavefront_size: 32
    .workgroup_processor_mode: 1
  - .args:
      - .offset:         0
        .size:           72
        .value_kind:     by_value
    .group_segment_fixed_size: 0
    .kernarg_segment_align: 8
    .kernarg_segment_size: 72
    .language:       OpenCL C
    .language_version:
      - 2
      - 0
    .max_flat_workgroup_size: 256
    .name:           _ZN7rocprim17ROCPRIM_400000_NS6detail17trampoline_kernelINS0_14default_configENS1_37merge_sort_block_sort_config_selectorIlNS0_10empty_typeEEEZNS1_21merge_sort_block_sortIS3_PlS8_PS5_S9_ZN2at6native12_GLOBAL__N_124unique_dim_cuda_templateIN3c108BFloat16EEESt5tupleIJNSA_6TensorESH_SH_EERKSH_lbbbEUlllE_EE10hipError_tT0_T1_T2_T3_mRjT4_P12ihipStream_tbNS1_7vsmem_tEEUlT_E_NS1_11comp_targetILNS1_3genE2ELNS1_11target_archE906ELNS1_3gpuE6ELNS1_3repE0EEENS1_30default_config_static_selectorELNS0_4arch9wavefront6targetE0EEEvSO_
    .private_segment_fixed_size: 0
    .sgpr_count:     0
    .sgpr_spill_count: 0
    .symbol:         _ZN7rocprim17ROCPRIM_400000_NS6detail17trampoline_kernelINS0_14default_configENS1_37merge_sort_block_sort_config_selectorIlNS0_10empty_typeEEEZNS1_21merge_sort_block_sortIS3_PlS8_PS5_S9_ZN2at6native12_GLOBAL__N_124unique_dim_cuda_templateIN3c108BFloat16EEESt5tupleIJNSA_6TensorESH_SH_EERKSH_lbbbEUlllE_EE10hipError_tT0_T1_T2_T3_mRjT4_P12ihipStream_tbNS1_7vsmem_tEEUlT_E_NS1_11comp_targetILNS1_3genE2ELNS1_11target_archE906ELNS1_3gpuE6ELNS1_3repE0EEENS1_30default_config_static_selectorELNS0_4arch9wavefront6targetE0EEEvSO_.kd
    .uniform_work_group_size: 1
    .uses_dynamic_stack: false
    .vgpr_count:     0
    .vgpr_spill_count: 0
    .wavefront_size: 32
    .workgroup_processor_mode: 1
  - .args:
      - .offset:         0
        .size:           72
        .value_kind:     by_value
    .group_segment_fixed_size: 0
    .kernarg_segment_align: 8
    .kernarg_segment_size: 72
    .language:       OpenCL C
    .language_version:
      - 2
      - 0
    .max_flat_workgroup_size: 256
    .name:           _ZN7rocprim17ROCPRIM_400000_NS6detail17trampoline_kernelINS0_14default_configENS1_37merge_sort_block_sort_config_selectorIlNS0_10empty_typeEEEZNS1_21merge_sort_block_sortIS3_PlS8_PS5_S9_ZN2at6native12_GLOBAL__N_124unique_dim_cuda_templateIN3c108BFloat16EEESt5tupleIJNSA_6TensorESH_SH_EERKSH_lbbbEUlllE_EE10hipError_tT0_T1_T2_T3_mRjT4_P12ihipStream_tbNS1_7vsmem_tEEUlT_E_NS1_11comp_targetILNS1_3genE10ELNS1_11target_archE1201ELNS1_3gpuE5ELNS1_3repE0EEENS1_30default_config_static_selectorELNS0_4arch9wavefront6targetE0EEEvSO_
    .private_segment_fixed_size: 0
    .sgpr_count:     0
    .sgpr_spill_count: 0
    .symbol:         _ZN7rocprim17ROCPRIM_400000_NS6detail17trampoline_kernelINS0_14default_configENS1_37merge_sort_block_sort_config_selectorIlNS0_10empty_typeEEEZNS1_21merge_sort_block_sortIS3_PlS8_PS5_S9_ZN2at6native12_GLOBAL__N_124unique_dim_cuda_templateIN3c108BFloat16EEESt5tupleIJNSA_6TensorESH_SH_EERKSH_lbbbEUlllE_EE10hipError_tT0_T1_T2_T3_mRjT4_P12ihipStream_tbNS1_7vsmem_tEEUlT_E_NS1_11comp_targetILNS1_3genE10ELNS1_11target_archE1201ELNS1_3gpuE5ELNS1_3repE0EEENS1_30default_config_static_selectorELNS0_4arch9wavefront6targetE0EEEvSO_.kd
    .uniform_work_group_size: 1
    .uses_dynamic_stack: false
    .vgpr_count:     0
    .vgpr_spill_count: 0
    .wavefront_size: 32
    .workgroup_processor_mode: 1
  - .args:
      - .offset:         0
        .size:           72
        .value_kind:     by_value
    .group_segment_fixed_size: 0
    .kernarg_segment_align: 8
    .kernarg_segment_size: 72
    .language:       OpenCL C
    .language_version:
      - 2
      - 0
    .max_flat_workgroup_size: 512
    .name:           _ZN7rocprim17ROCPRIM_400000_NS6detail17trampoline_kernelINS0_14default_configENS1_37merge_sort_block_sort_config_selectorIlNS0_10empty_typeEEEZNS1_21merge_sort_block_sortIS3_PlS8_PS5_S9_ZN2at6native12_GLOBAL__N_124unique_dim_cuda_templateIN3c108BFloat16EEESt5tupleIJNSA_6TensorESH_SH_EERKSH_lbbbEUlllE_EE10hipError_tT0_T1_T2_T3_mRjT4_P12ihipStream_tbNS1_7vsmem_tEEUlT_E_NS1_11comp_targetILNS1_3genE10ELNS1_11target_archE1200ELNS1_3gpuE4ELNS1_3repE0EEENS1_30default_config_static_selectorELNS0_4arch9wavefront6targetE0EEEvSO_
    .private_segment_fixed_size: 0
    .sgpr_count:     0
    .sgpr_spill_count: 0
    .symbol:         _ZN7rocprim17ROCPRIM_400000_NS6detail17trampoline_kernelINS0_14default_configENS1_37merge_sort_block_sort_config_selectorIlNS0_10empty_typeEEEZNS1_21merge_sort_block_sortIS3_PlS8_PS5_S9_ZN2at6native12_GLOBAL__N_124unique_dim_cuda_templateIN3c108BFloat16EEESt5tupleIJNSA_6TensorESH_SH_EERKSH_lbbbEUlllE_EE10hipError_tT0_T1_T2_T3_mRjT4_P12ihipStream_tbNS1_7vsmem_tEEUlT_E_NS1_11comp_targetILNS1_3genE10ELNS1_11target_archE1200ELNS1_3gpuE4ELNS1_3repE0EEENS1_30default_config_static_selectorELNS0_4arch9wavefront6targetE0EEEvSO_.kd
    .uniform_work_group_size: 1
    .uses_dynamic_stack: false
    .vgpr_count:     0
    .vgpr_spill_count: 0
    .wavefront_size: 32
    .workgroup_processor_mode: 1
  - .args:
      - .offset:         0
        .size:           72
        .value_kind:     by_value
      - .offset:         72
        .size:           4
        .value_kind:     hidden_block_count_x
      - .offset:         76
        .size:           4
        .value_kind:     hidden_block_count_y
      - .offset:         80
        .size:           4
        .value_kind:     hidden_block_count_z
      - .offset:         84
        .size:           2
        .value_kind:     hidden_group_size_x
      - .offset:         86
        .size:           2
        .value_kind:     hidden_group_size_y
      - .offset:         88
        .size:           2
        .value_kind:     hidden_group_size_z
      - .offset:         90
        .size:           2
        .value_kind:     hidden_remainder_x
      - .offset:         92
        .size:           2
        .value_kind:     hidden_remainder_y
      - .offset:         94
        .size:           2
        .value_kind:     hidden_remainder_z
      - .offset:         112
        .size:           8
        .value_kind:     hidden_global_offset_x
      - .offset:         120
        .size:           8
        .value_kind:     hidden_global_offset_y
      - .offset:         128
        .size:           8
        .value_kind:     hidden_global_offset_z
      - .offset:         136
        .size:           2
        .value_kind:     hidden_grid_dims
    .group_segment_fixed_size: 8448
    .kernarg_segment_align: 8
    .kernarg_segment_size: 328
    .language:       OpenCL C
    .language_version:
      - 2
      - 0
    .max_flat_workgroup_size: 256
    .name:           _ZN7rocprim17ROCPRIM_400000_NS6detail17trampoline_kernelINS0_14default_configENS1_37merge_sort_block_sort_config_selectorIlNS0_10empty_typeEEEZNS1_21merge_sort_block_sortIS3_PlS8_PS5_S9_ZN2at6native12_GLOBAL__N_124unique_dim_cuda_templateIN3c108BFloat16EEESt5tupleIJNSA_6TensorESH_SH_EERKSH_lbbbEUlllE_EE10hipError_tT0_T1_T2_T3_mRjT4_P12ihipStream_tbNS1_7vsmem_tEEUlT_E_NS1_11comp_targetILNS1_3genE9ELNS1_11target_archE1100ELNS1_3gpuE3ELNS1_3repE0EEENS1_30default_config_static_selectorELNS0_4arch9wavefront6targetE0EEEvSO_
    .private_segment_fixed_size: 0
    .sgpr_count:     34
    .sgpr_spill_count: 0
    .symbol:         _ZN7rocprim17ROCPRIM_400000_NS6detail17trampoline_kernelINS0_14default_configENS1_37merge_sort_block_sort_config_selectorIlNS0_10empty_typeEEEZNS1_21merge_sort_block_sortIS3_PlS8_PS5_S9_ZN2at6native12_GLOBAL__N_124unique_dim_cuda_templateIN3c108BFloat16EEESt5tupleIJNSA_6TensorESH_SH_EERKSH_lbbbEUlllE_EE10hipError_tT0_T1_T2_T3_mRjT4_P12ihipStream_tbNS1_7vsmem_tEEUlT_E_NS1_11comp_targetILNS1_3genE9ELNS1_11target_archE1100ELNS1_3gpuE3ELNS1_3repE0EEENS1_30default_config_static_selectorELNS0_4arch9wavefront6targetE0EEEvSO_.kd
    .uniform_work_group_size: 1
    .uses_dynamic_stack: false
    .vgpr_count:     47
    .vgpr_spill_count: 0
    .wavefront_size: 32
    .workgroup_processor_mode: 1
  - .args:
      - .offset:         0
        .size:           72
        .value_kind:     by_value
    .group_segment_fixed_size: 0
    .kernarg_segment_align: 8
    .kernarg_segment_size: 72
    .language:       OpenCL C
    .language_version:
      - 2
      - 0
    .max_flat_workgroup_size: 256
    .name:           _ZN7rocprim17ROCPRIM_400000_NS6detail17trampoline_kernelINS0_14default_configENS1_37merge_sort_block_sort_config_selectorIlNS0_10empty_typeEEEZNS1_21merge_sort_block_sortIS3_PlS8_PS5_S9_ZN2at6native12_GLOBAL__N_124unique_dim_cuda_templateIN3c108BFloat16EEESt5tupleIJNSA_6TensorESH_SH_EERKSH_lbbbEUlllE_EE10hipError_tT0_T1_T2_T3_mRjT4_P12ihipStream_tbNS1_7vsmem_tEEUlT_E_NS1_11comp_targetILNS1_3genE8ELNS1_11target_archE1030ELNS1_3gpuE2ELNS1_3repE0EEENS1_30default_config_static_selectorELNS0_4arch9wavefront6targetE0EEEvSO_
    .private_segment_fixed_size: 0
    .sgpr_count:     0
    .sgpr_spill_count: 0
    .symbol:         _ZN7rocprim17ROCPRIM_400000_NS6detail17trampoline_kernelINS0_14default_configENS1_37merge_sort_block_sort_config_selectorIlNS0_10empty_typeEEEZNS1_21merge_sort_block_sortIS3_PlS8_PS5_S9_ZN2at6native12_GLOBAL__N_124unique_dim_cuda_templateIN3c108BFloat16EEESt5tupleIJNSA_6TensorESH_SH_EERKSH_lbbbEUlllE_EE10hipError_tT0_T1_T2_T3_mRjT4_P12ihipStream_tbNS1_7vsmem_tEEUlT_E_NS1_11comp_targetILNS1_3genE8ELNS1_11target_archE1030ELNS1_3gpuE2ELNS1_3repE0EEENS1_30default_config_static_selectorELNS0_4arch9wavefront6targetE0EEEvSO_.kd
    .uniform_work_group_size: 1
    .uses_dynamic_stack: false
    .vgpr_count:     0
    .vgpr_spill_count: 0
    .wavefront_size: 32
    .workgroup_processor_mode: 1
  - .args:
      - .offset:         0
        .size:           56
        .value_kind:     by_value
    .group_segment_fixed_size: 0
    .kernarg_segment_align: 8
    .kernarg_segment_size: 56
    .language:       OpenCL C
    .language_version:
      - 2
      - 0
    .max_flat_workgroup_size: 128
    .name:           _ZN7rocprim17ROCPRIM_400000_NS6detail17trampoline_kernelINS0_14default_configENS1_38merge_sort_block_merge_config_selectorIlNS0_10empty_typeEEEZZNS1_27merge_sort_block_merge_implIS3_PlPS5_mZN2at6native12_GLOBAL__N_124unique_dim_cuda_templateIN3c108BFloat16EEESt5tupleIJNSA_6TensorESH_SH_EERKSH_lbbbEUlllE_EE10hipError_tT0_T1_T2_jT3_P12ihipStream_tbPNSt15iterator_traitsISN_E10value_typeEPNST_ISO_E10value_typeEPSP_NS1_7vsmem_tEENKUlT_SN_SO_SP_E_clIS8_S8_S9_S9_EESM_S12_SN_SO_SP_EUlS12_E_NS1_11comp_targetILNS1_3genE0ELNS1_11target_archE4294967295ELNS1_3gpuE0ELNS1_3repE0EEENS1_48merge_mergepath_partition_config_static_selectorELNS0_4arch9wavefront6targetE0EEEvSO_
    .private_segment_fixed_size: 0
    .sgpr_count:     0
    .sgpr_spill_count: 0
    .symbol:         _ZN7rocprim17ROCPRIM_400000_NS6detail17trampoline_kernelINS0_14default_configENS1_38merge_sort_block_merge_config_selectorIlNS0_10empty_typeEEEZZNS1_27merge_sort_block_merge_implIS3_PlPS5_mZN2at6native12_GLOBAL__N_124unique_dim_cuda_templateIN3c108BFloat16EEESt5tupleIJNSA_6TensorESH_SH_EERKSH_lbbbEUlllE_EE10hipError_tT0_T1_T2_jT3_P12ihipStream_tbPNSt15iterator_traitsISN_E10value_typeEPNST_ISO_E10value_typeEPSP_NS1_7vsmem_tEENKUlT_SN_SO_SP_E_clIS8_S8_S9_S9_EESM_S12_SN_SO_SP_EUlS12_E_NS1_11comp_targetILNS1_3genE0ELNS1_11target_archE4294967295ELNS1_3gpuE0ELNS1_3repE0EEENS1_48merge_mergepath_partition_config_static_selectorELNS0_4arch9wavefront6targetE0EEEvSO_.kd
    .uniform_work_group_size: 1
    .uses_dynamic_stack: false
    .vgpr_count:     0
    .vgpr_spill_count: 0
    .wavefront_size: 32
    .workgroup_processor_mode: 1
  - .args:
      - .offset:         0
        .size:           56
        .value_kind:     by_value
    .group_segment_fixed_size: 0
    .kernarg_segment_align: 8
    .kernarg_segment_size: 56
    .language:       OpenCL C
    .language_version:
      - 2
      - 0
    .max_flat_workgroup_size: 128
    .name:           _ZN7rocprim17ROCPRIM_400000_NS6detail17trampoline_kernelINS0_14default_configENS1_38merge_sort_block_merge_config_selectorIlNS0_10empty_typeEEEZZNS1_27merge_sort_block_merge_implIS3_PlPS5_mZN2at6native12_GLOBAL__N_124unique_dim_cuda_templateIN3c108BFloat16EEESt5tupleIJNSA_6TensorESH_SH_EERKSH_lbbbEUlllE_EE10hipError_tT0_T1_T2_jT3_P12ihipStream_tbPNSt15iterator_traitsISN_E10value_typeEPNST_ISO_E10value_typeEPSP_NS1_7vsmem_tEENKUlT_SN_SO_SP_E_clIS8_S8_S9_S9_EESM_S12_SN_SO_SP_EUlS12_E_NS1_11comp_targetILNS1_3genE10ELNS1_11target_archE1201ELNS1_3gpuE5ELNS1_3repE0EEENS1_48merge_mergepath_partition_config_static_selectorELNS0_4arch9wavefront6targetE0EEEvSO_
    .private_segment_fixed_size: 0
    .sgpr_count:     0
    .sgpr_spill_count: 0
    .symbol:         _ZN7rocprim17ROCPRIM_400000_NS6detail17trampoline_kernelINS0_14default_configENS1_38merge_sort_block_merge_config_selectorIlNS0_10empty_typeEEEZZNS1_27merge_sort_block_merge_implIS3_PlPS5_mZN2at6native12_GLOBAL__N_124unique_dim_cuda_templateIN3c108BFloat16EEESt5tupleIJNSA_6TensorESH_SH_EERKSH_lbbbEUlllE_EE10hipError_tT0_T1_T2_jT3_P12ihipStream_tbPNSt15iterator_traitsISN_E10value_typeEPNST_ISO_E10value_typeEPSP_NS1_7vsmem_tEENKUlT_SN_SO_SP_E_clIS8_S8_S9_S9_EESM_S12_SN_SO_SP_EUlS12_E_NS1_11comp_targetILNS1_3genE10ELNS1_11target_archE1201ELNS1_3gpuE5ELNS1_3repE0EEENS1_48merge_mergepath_partition_config_static_selectorELNS0_4arch9wavefront6targetE0EEEvSO_.kd
    .uniform_work_group_size: 1
    .uses_dynamic_stack: false
    .vgpr_count:     0
    .vgpr_spill_count: 0
    .wavefront_size: 32
    .workgroup_processor_mode: 1
  - .args:
      - .offset:         0
        .size:           56
        .value_kind:     by_value
    .group_segment_fixed_size: 0
    .kernarg_segment_align: 8
    .kernarg_segment_size: 56
    .language:       OpenCL C
    .language_version:
      - 2
      - 0
    .max_flat_workgroup_size: 128
    .name:           _ZN7rocprim17ROCPRIM_400000_NS6detail17trampoline_kernelINS0_14default_configENS1_38merge_sort_block_merge_config_selectorIlNS0_10empty_typeEEEZZNS1_27merge_sort_block_merge_implIS3_PlPS5_mZN2at6native12_GLOBAL__N_124unique_dim_cuda_templateIN3c108BFloat16EEESt5tupleIJNSA_6TensorESH_SH_EERKSH_lbbbEUlllE_EE10hipError_tT0_T1_T2_jT3_P12ihipStream_tbPNSt15iterator_traitsISN_E10value_typeEPNST_ISO_E10value_typeEPSP_NS1_7vsmem_tEENKUlT_SN_SO_SP_E_clIS8_S8_S9_S9_EESM_S12_SN_SO_SP_EUlS12_E_NS1_11comp_targetILNS1_3genE5ELNS1_11target_archE942ELNS1_3gpuE9ELNS1_3repE0EEENS1_48merge_mergepath_partition_config_static_selectorELNS0_4arch9wavefront6targetE0EEEvSO_
    .private_segment_fixed_size: 0
    .sgpr_count:     0
    .sgpr_spill_count: 0
    .symbol:         _ZN7rocprim17ROCPRIM_400000_NS6detail17trampoline_kernelINS0_14default_configENS1_38merge_sort_block_merge_config_selectorIlNS0_10empty_typeEEEZZNS1_27merge_sort_block_merge_implIS3_PlPS5_mZN2at6native12_GLOBAL__N_124unique_dim_cuda_templateIN3c108BFloat16EEESt5tupleIJNSA_6TensorESH_SH_EERKSH_lbbbEUlllE_EE10hipError_tT0_T1_T2_jT3_P12ihipStream_tbPNSt15iterator_traitsISN_E10value_typeEPNST_ISO_E10value_typeEPSP_NS1_7vsmem_tEENKUlT_SN_SO_SP_E_clIS8_S8_S9_S9_EESM_S12_SN_SO_SP_EUlS12_E_NS1_11comp_targetILNS1_3genE5ELNS1_11target_archE942ELNS1_3gpuE9ELNS1_3repE0EEENS1_48merge_mergepath_partition_config_static_selectorELNS0_4arch9wavefront6targetE0EEEvSO_.kd
    .uniform_work_group_size: 1
    .uses_dynamic_stack: false
    .vgpr_count:     0
    .vgpr_spill_count: 0
    .wavefront_size: 32
    .workgroup_processor_mode: 1
  - .args:
      - .offset:         0
        .size:           56
        .value_kind:     by_value
    .group_segment_fixed_size: 0
    .kernarg_segment_align: 8
    .kernarg_segment_size: 56
    .language:       OpenCL C
    .language_version:
      - 2
      - 0
    .max_flat_workgroup_size: 128
    .name:           _ZN7rocprim17ROCPRIM_400000_NS6detail17trampoline_kernelINS0_14default_configENS1_38merge_sort_block_merge_config_selectorIlNS0_10empty_typeEEEZZNS1_27merge_sort_block_merge_implIS3_PlPS5_mZN2at6native12_GLOBAL__N_124unique_dim_cuda_templateIN3c108BFloat16EEESt5tupleIJNSA_6TensorESH_SH_EERKSH_lbbbEUlllE_EE10hipError_tT0_T1_T2_jT3_P12ihipStream_tbPNSt15iterator_traitsISN_E10value_typeEPNST_ISO_E10value_typeEPSP_NS1_7vsmem_tEENKUlT_SN_SO_SP_E_clIS8_S8_S9_S9_EESM_S12_SN_SO_SP_EUlS12_E_NS1_11comp_targetILNS1_3genE4ELNS1_11target_archE910ELNS1_3gpuE8ELNS1_3repE0EEENS1_48merge_mergepath_partition_config_static_selectorELNS0_4arch9wavefront6targetE0EEEvSO_
    .private_segment_fixed_size: 0
    .sgpr_count:     0
    .sgpr_spill_count: 0
    .symbol:         _ZN7rocprim17ROCPRIM_400000_NS6detail17trampoline_kernelINS0_14default_configENS1_38merge_sort_block_merge_config_selectorIlNS0_10empty_typeEEEZZNS1_27merge_sort_block_merge_implIS3_PlPS5_mZN2at6native12_GLOBAL__N_124unique_dim_cuda_templateIN3c108BFloat16EEESt5tupleIJNSA_6TensorESH_SH_EERKSH_lbbbEUlllE_EE10hipError_tT0_T1_T2_jT3_P12ihipStream_tbPNSt15iterator_traitsISN_E10value_typeEPNST_ISO_E10value_typeEPSP_NS1_7vsmem_tEENKUlT_SN_SO_SP_E_clIS8_S8_S9_S9_EESM_S12_SN_SO_SP_EUlS12_E_NS1_11comp_targetILNS1_3genE4ELNS1_11target_archE910ELNS1_3gpuE8ELNS1_3repE0EEENS1_48merge_mergepath_partition_config_static_selectorELNS0_4arch9wavefront6targetE0EEEvSO_.kd
    .uniform_work_group_size: 1
    .uses_dynamic_stack: false
    .vgpr_count:     0
    .vgpr_spill_count: 0
    .wavefront_size: 32
    .workgroup_processor_mode: 1
  - .args:
      - .offset:         0
        .size:           56
        .value_kind:     by_value
    .group_segment_fixed_size: 0
    .kernarg_segment_align: 8
    .kernarg_segment_size: 56
    .language:       OpenCL C
    .language_version:
      - 2
      - 0
    .max_flat_workgroup_size: 128
    .name:           _ZN7rocprim17ROCPRIM_400000_NS6detail17trampoline_kernelINS0_14default_configENS1_38merge_sort_block_merge_config_selectorIlNS0_10empty_typeEEEZZNS1_27merge_sort_block_merge_implIS3_PlPS5_mZN2at6native12_GLOBAL__N_124unique_dim_cuda_templateIN3c108BFloat16EEESt5tupleIJNSA_6TensorESH_SH_EERKSH_lbbbEUlllE_EE10hipError_tT0_T1_T2_jT3_P12ihipStream_tbPNSt15iterator_traitsISN_E10value_typeEPNST_ISO_E10value_typeEPSP_NS1_7vsmem_tEENKUlT_SN_SO_SP_E_clIS8_S8_S9_S9_EESM_S12_SN_SO_SP_EUlS12_E_NS1_11comp_targetILNS1_3genE3ELNS1_11target_archE908ELNS1_3gpuE7ELNS1_3repE0EEENS1_48merge_mergepath_partition_config_static_selectorELNS0_4arch9wavefront6targetE0EEEvSO_
    .private_segment_fixed_size: 0
    .sgpr_count:     0
    .sgpr_spill_count: 0
    .symbol:         _ZN7rocprim17ROCPRIM_400000_NS6detail17trampoline_kernelINS0_14default_configENS1_38merge_sort_block_merge_config_selectorIlNS0_10empty_typeEEEZZNS1_27merge_sort_block_merge_implIS3_PlPS5_mZN2at6native12_GLOBAL__N_124unique_dim_cuda_templateIN3c108BFloat16EEESt5tupleIJNSA_6TensorESH_SH_EERKSH_lbbbEUlllE_EE10hipError_tT0_T1_T2_jT3_P12ihipStream_tbPNSt15iterator_traitsISN_E10value_typeEPNST_ISO_E10value_typeEPSP_NS1_7vsmem_tEENKUlT_SN_SO_SP_E_clIS8_S8_S9_S9_EESM_S12_SN_SO_SP_EUlS12_E_NS1_11comp_targetILNS1_3genE3ELNS1_11target_archE908ELNS1_3gpuE7ELNS1_3repE0EEENS1_48merge_mergepath_partition_config_static_selectorELNS0_4arch9wavefront6targetE0EEEvSO_.kd
    .uniform_work_group_size: 1
    .uses_dynamic_stack: false
    .vgpr_count:     0
    .vgpr_spill_count: 0
    .wavefront_size: 32
    .workgroup_processor_mode: 1
  - .args:
      - .offset:         0
        .size:           56
        .value_kind:     by_value
    .group_segment_fixed_size: 0
    .kernarg_segment_align: 8
    .kernarg_segment_size: 56
    .language:       OpenCL C
    .language_version:
      - 2
      - 0
    .max_flat_workgroup_size: 128
    .name:           _ZN7rocprim17ROCPRIM_400000_NS6detail17trampoline_kernelINS0_14default_configENS1_38merge_sort_block_merge_config_selectorIlNS0_10empty_typeEEEZZNS1_27merge_sort_block_merge_implIS3_PlPS5_mZN2at6native12_GLOBAL__N_124unique_dim_cuda_templateIN3c108BFloat16EEESt5tupleIJNSA_6TensorESH_SH_EERKSH_lbbbEUlllE_EE10hipError_tT0_T1_T2_jT3_P12ihipStream_tbPNSt15iterator_traitsISN_E10value_typeEPNST_ISO_E10value_typeEPSP_NS1_7vsmem_tEENKUlT_SN_SO_SP_E_clIS8_S8_S9_S9_EESM_S12_SN_SO_SP_EUlS12_E_NS1_11comp_targetILNS1_3genE2ELNS1_11target_archE906ELNS1_3gpuE6ELNS1_3repE0EEENS1_48merge_mergepath_partition_config_static_selectorELNS0_4arch9wavefront6targetE0EEEvSO_
    .private_segment_fixed_size: 0
    .sgpr_count:     0
    .sgpr_spill_count: 0
    .symbol:         _ZN7rocprim17ROCPRIM_400000_NS6detail17trampoline_kernelINS0_14default_configENS1_38merge_sort_block_merge_config_selectorIlNS0_10empty_typeEEEZZNS1_27merge_sort_block_merge_implIS3_PlPS5_mZN2at6native12_GLOBAL__N_124unique_dim_cuda_templateIN3c108BFloat16EEESt5tupleIJNSA_6TensorESH_SH_EERKSH_lbbbEUlllE_EE10hipError_tT0_T1_T2_jT3_P12ihipStream_tbPNSt15iterator_traitsISN_E10value_typeEPNST_ISO_E10value_typeEPSP_NS1_7vsmem_tEENKUlT_SN_SO_SP_E_clIS8_S8_S9_S9_EESM_S12_SN_SO_SP_EUlS12_E_NS1_11comp_targetILNS1_3genE2ELNS1_11target_archE906ELNS1_3gpuE6ELNS1_3repE0EEENS1_48merge_mergepath_partition_config_static_selectorELNS0_4arch9wavefront6targetE0EEEvSO_.kd
    .uniform_work_group_size: 1
    .uses_dynamic_stack: false
    .vgpr_count:     0
    .vgpr_spill_count: 0
    .wavefront_size: 32
    .workgroup_processor_mode: 1
  - .args:
      - .offset:         0
        .size:           56
        .value_kind:     by_value
    .group_segment_fixed_size: 0
    .kernarg_segment_align: 8
    .kernarg_segment_size: 56
    .language:       OpenCL C
    .language_version:
      - 2
      - 0
    .max_flat_workgroup_size: 128
    .name:           _ZN7rocprim17ROCPRIM_400000_NS6detail17trampoline_kernelINS0_14default_configENS1_38merge_sort_block_merge_config_selectorIlNS0_10empty_typeEEEZZNS1_27merge_sort_block_merge_implIS3_PlPS5_mZN2at6native12_GLOBAL__N_124unique_dim_cuda_templateIN3c108BFloat16EEESt5tupleIJNSA_6TensorESH_SH_EERKSH_lbbbEUlllE_EE10hipError_tT0_T1_T2_jT3_P12ihipStream_tbPNSt15iterator_traitsISN_E10value_typeEPNST_ISO_E10value_typeEPSP_NS1_7vsmem_tEENKUlT_SN_SO_SP_E_clIS8_S8_S9_S9_EESM_S12_SN_SO_SP_EUlS12_E_NS1_11comp_targetILNS1_3genE9ELNS1_11target_archE1100ELNS1_3gpuE3ELNS1_3repE0EEENS1_48merge_mergepath_partition_config_static_selectorELNS0_4arch9wavefront6targetE0EEEvSO_
    .private_segment_fixed_size: 0
    .sgpr_count:     23
    .sgpr_spill_count: 0
    .symbol:         _ZN7rocprim17ROCPRIM_400000_NS6detail17trampoline_kernelINS0_14default_configENS1_38merge_sort_block_merge_config_selectorIlNS0_10empty_typeEEEZZNS1_27merge_sort_block_merge_implIS3_PlPS5_mZN2at6native12_GLOBAL__N_124unique_dim_cuda_templateIN3c108BFloat16EEESt5tupleIJNSA_6TensorESH_SH_EERKSH_lbbbEUlllE_EE10hipError_tT0_T1_T2_jT3_P12ihipStream_tbPNSt15iterator_traitsISN_E10value_typeEPNST_ISO_E10value_typeEPSP_NS1_7vsmem_tEENKUlT_SN_SO_SP_E_clIS8_S8_S9_S9_EESM_S12_SN_SO_SP_EUlS12_E_NS1_11comp_targetILNS1_3genE9ELNS1_11target_archE1100ELNS1_3gpuE3ELNS1_3repE0EEENS1_48merge_mergepath_partition_config_static_selectorELNS0_4arch9wavefront6targetE0EEEvSO_.kd
    .uniform_work_group_size: 1
    .uses_dynamic_stack: false
    .vgpr_count:     22
    .vgpr_spill_count: 0
    .wavefront_size: 32
    .workgroup_processor_mode: 1
  - .args:
      - .offset:         0
        .size:           56
        .value_kind:     by_value
    .group_segment_fixed_size: 0
    .kernarg_segment_align: 8
    .kernarg_segment_size: 56
    .language:       OpenCL C
    .language_version:
      - 2
      - 0
    .max_flat_workgroup_size: 128
    .name:           _ZN7rocprim17ROCPRIM_400000_NS6detail17trampoline_kernelINS0_14default_configENS1_38merge_sort_block_merge_config_selectorIlNS0_10empty_typeEEEZZNS1_27merge_sort_block_merge_implIS3_PlPS5_mZN2at6native12_GLOBAL__N_124unique_dim_cuda_templateIN3c108BFloat16EEESt5tupleIJNSA_6TensorESH_SH_EERKSH_lbbbEUlllE_EE10hipError_tT0_T1_T2_jT3_P12ihipStream_tbPNSt15iterator_traitsISN_E10value_typeEPNST_ISO_E10value_typeEPSP_NS1_7vsmem_tEENKUlT_SN_SO_SP_E_clIS8_S8_S9_S9_EESM_S12_SN_SO_SP_EUlS12_E_NS1_11comp_targetILNS1_3genE8ELNS1_11target_archE1030ELNS1_3gpuE2ELNS1_3repE0EEENS1_48merge_mergepath_partition_config_static_selectorELNS0_4arch9wavefront6targetE0EEEvSO_
    .private_segment_fixed_size: 0
    .sgpr_count:     0
    .sgpr_spill_count: 0
    .symbol:         _ZN7rocprim17ROCPRIM_400000_NS6detail17trampoline_kernelINS0_14default_configENS1_38merge_sort_block_merge_config_selectorIlNS0_10empty_typeEEEZZNS1_27merge_sort_block_merge_implIS3_PlPS5_mZN2at6native12_GLOBAL__N_124unique_dim_cuda_templateIN3c108BFloat16EEESt5tupleIJNSA_6TensorESH_SH_EERKSH_lbbbEUlllE_EE10hipError_tT0_T1_T2_jT3_P12ihipStream_tbPNSt15iterator_traitsISN_E10value_typeEPNST_ISO_E10value_typeEPSP_NS1_7vsmem_tEENKUlT_SN_SO_SP_E_clIS8_S8_S9_S9_EESM_S12_SN_SO_SP_EUlS12_E_NS1_11comp_targetILNS1_3genE8ELNS1_11target_archE1030ELNS1_3gpuE2ELNS1_3repE0EEENS1_48merge_mergepath_partition_config_static_selectorELNS0_4arch9wavefront6targetE0EEEvSO_.kd
    .uniform_work_group_size: 1
    .uses_dynamic_stack: false
    .vgpr_count:     0
    .vgpr_spill_count: 0
    .wavefront_size: 32
    .workgroup_processor_mode: 1
  - .args:
      - .offset:         0
        .size:           88
        .value_kind:     by_value
    .group_segment_fixed_size: 0
    .kernarg_segment_align: 8
    .kernarg_segment_size: 88
    .language:       OpenCL C
    .language_version:
      - 2
      - 0
    .max_flat_workgroup_size: 128
    .name:           _ZN7rocprim17ROCPRIM_400000_NS6detail17trampoline_kernelINS0_14default_configENS1_38merge_sort_block_merge_config_selectorIlNS0_10empty_typeEEEZZNS1_27merge_sort_block_merge_implIS3_PlPS5_mZN2at6native12_GLOBAL__N_124unique_dim_cuda_templateIN3c108BFloat16EEESt5tupleIJNSA_6TensorESH_SH_EERKSH_lbbbEUlllE_EE10hipError_tT0_T1_T2_jT3_P12ihipStream_tbPNSt15iterator_traitsISN_E10value_typeEPNST_ISO_E10value_typeEPSP_NS1_7vsmem_tEENKUlT_SN_SO_SP_E_clIS8_S8_S9_S9_EESM_S12_SN_SO_SP_EUlS12_E0_NS1_11comp_targetILNS1_3genE0ELNS1_11target_archE4294967295ELNS1_3gpuE0ELNS1_3repE0EEENS1_38merge_mergepath_config_static_selectorELNS0_4arch9wavefront6targetE0EEEvSO_
    .private_segment_fixed_size: 0
    .sgpr_count:     0
    .sgpr_spill_count: 0
    .symbol:         _ZN7rocprim17ROCPRIM_400000_NS6detail17trampoline_kernelINS0_14default_configENS1_38merge_sort_block_merge_config_selectorIlNS0_10empty_typeEEEZZNS1_27merge_sort_block_merge_implIS3_PlPS5_mZN2at6native12_GLOBAL__N_124unique_dim_cuda_templateIN3c108BFloat16EEESt5tupleIJNSA_6TensorESH_SH_EERKSH_lbbbEUlllE_EE10hipError_tT0_T1_T2_jT3_P12ihipStream_tbPNSt15iterator_traitsISN_E10value_typeEPNST_ISO_E10value_typeEPSP_NS1_7vsmem_tEENKUlT_SN_SO_SP_E_clIS8_S8_S9_S9_EESM_S12_SN_SO_SP_EUlS12_E0_NS1_11comp_targetILNS1_3genE0ELNS1_11target_archE4294967295ELNS1_3gpuE0ELNS1_3repE0EEENS1_38merge_mergepath_config_static_selectorELNS0_4arch9wavefront6targetE0EEEvSO_.kd
    .uniform_work_group_size: 1
    .uses_dynamic_stack: false
    .vgpr_count:     0
    .vgpr_spill_count: 0
    .wavefront_size: 32
    .workgroup_processor_mode: 1
  - .args:
      - .offset:         0
        .size:           88
        .value_kind:     by_value
    .group_segment_fixed_size: 0
    .kernarg_segment_align: 8
    .kernarg_segment_size: 88
    .language:       OpenCL C
    .language_version:
      - 2
      - 0
    .max_flat_workgroup_size: 512
    .name:           _ZN7rocprim17ROCPRIM_400000_NS6detail17trampoline_kernelINS0_14default_configENS1_38merge_sort_block_merge_config_selectorIlNS0_10empty_typeEEEZZNS1_27merge_sort_block_merge_implIS3_PlPS5_mZN2at6native12_GLOBAL__N_124unique_dim_cuda_templateIN3c108BFloat16EEESt5tupleIJNSA_6TensorESH_SH_EERKSH_lbbbEUlllE_EE10hipError_tT0_T1_T2_jT3_P12ihipStream_tbPNSt15iterator_traitsISN_E10value_typeEPNST_ISO_E10value_typeEPSP_NS1_7vsmem_tEENKUlT_SN_SO_SP_E_clIS8_S8_S9_S9_EESM_S12_SN_SO_SP_EUlS12_E0_NS1_11comp_targetILNS1_3genE10ELNS1_11target_archE1201ELNS1_3gpuE5ELNS1_3repE0EEENS1_38merge_mergepath_config_static_selectorELNS0_4arch9wavefront6targetE0EEEvSO_
    .private_segment_fixed_size: 0
    .sgpr_count:     0
    .sgpr_spill_count: 0
    .symbol:         _ZN7rocprim17ROCPRIM_400000_NS6detail17trampoline_kernelINS0_14default_configENS1_38merge_sort_block_merge_config_selectorIlNS0_10empty_typeEEEZZNS1_27merge_sort_block_merge_implIS3_PlPS5_mZN2at6native12_GLOBAL__N_124unique_dim_cuda_templateIN3c108BFloat16EEESt5tupleIJNSA_6TensorESH_SH_EERKSH_lbbbEUlllE_EE10hipError_tT0_T1_T2_jT3_P12ihipStream_tbPNSt15iterator_traitsISN_E10value_typeEPNST_ISO_E10value_typeEPSP_NS1_7vsmem_tEENKUlT_SN_SO_SP_E_clIS8_S8_S9_S9_EESM_S12_SN_SO_SP_EUlS12_E0_NS1_11comp_targetILNS1_3genE10ELNS1_11target_archE1201ELNS1_3gpuE5ELNS1_3repE0EEENS1_38merge_mergepath_config_static_selectorELNS0_4arch9wavefront6targetE0EEEvSO_.kd
    .uniform_work_group_size: 1
    .uses_dynamic_stack: false
    .vgpr_count:     0
    .vgpr_spill_count: 0
    .wavefront_size: 32
    .workgroup_processor_mode: 1
  - .args:
      - .offset:         0
        .size:           88
        .value_kind:     by_value
    .group_segment_fixed_size: 0
    .kernarg_segment_align: 8
    .kernarg_segment_size: 88
    .language:       OpenCL C
    .language_version:
      - 2
      - 0
    .max_flat_workgroup_size: 128
    .name:           _ZN7rocprim17ROCPRIM_400000_NS6detail17trampoline_kernelINS0_14default_configENS1_38merge_sort_block_merge_config_selectorIlNS0_10empty_typeEEEZZNS1_27merge_sort_block_merge_implIS3_PlPS5_mZN2at6native12_GLOBAL__N_124unique_dim_cuda_templateIN3c108BFloat16EEESt5tupleIJNSA_6TensorESH_SH_EERKSH_lbbbEUlllE_EE10hipError_tT0_T1_T2_jT3_P12ihipStream_tbPNSt15iterator_traitsISN_E10value_typeEPNST_ISO_E10value_typeEPSP_NS1_7vsmem_tEENKUlT_SN_SO_SP_E_clIS8_S8_S9_S9_EESM_S12_SN_SO_SP_EUlS12_E0_NS1_11comp_targetILNS1_3genE5ELNS1_11target_archE942ELNS1_3gpuE9ELNS1_3repE0EEENS1_38merge_mergepath_config_static_selectorELNS0_4arch9wavefront6targetE0EEEvSO_
    .private_segment_fixed_size: 0
    .sgpr_count:     0
    .sgpr_spill_count: 0
    .symbol:         _ZN7rocprim17ROCPRIM_400000_NS6detail17trampoline_kernelINS0_14default_configENS1_38merge_sort_block_merge_config_selectorIlNS0_10empty_typeEEEZZNS1_27merge_sort_block_merge_implIS3_PlPS5_mZN2at6native12_GLOBAL__N_124unique_dim_cuda_templateIN3c108BFloat16EEESt5tupleIJNSA_6TensorESH_SH_EERKSH_lbbbEUlllE_EE10hipError_tT0_T1_T2_jT3_P12ihipStream_tbPNSt15iterator_traitsISN_E10value_typeEPNST_ISO_E10value_typeEPSP_NS1_7vsmem_tEENKUlT_SN_SO_SP_E_clIS8_S8_S9_S9_EESM_S12_SN_SO_SP_EUlS12_E0_NS1_11comp_targetILNS1_3genE5ELNS1_11target_archE942ELNS1_3gpuE9ELNS1_3repE0EEENS1_38merge_mergepath_config_static_selectorELNS0_4arch9wavefront6targetE0EEEvSO_.kd
    .uniform_work_group_size: 1
    .uses_dynamic_stack: false
    .vgpr_count:     0
    .vgpr_spill_count: 0
    .wavefront_size: 32
    .workgroup_processor_mode: 1
  - .args:
      - .offset:         0
        .size:           88
        .value_kind:     by_value
    .group_segment_fixed_size: 0
    .kernarg_segment_align: 8
    .kernarg_segment_size: 88
    .language:       OpenCL C
    .language_version:
      - 2
      - 0
    .max_flat_workgroup_size: 256
    .name:           _ZN7rocprim17ROCPRIM_400000_NS6detail17trampoline_kernelINS0_14default_configENS1_38merge_sort_block_merge_config_selectorIlNS0_10empty_typeEEEZZNS1_27merge_sort_block_merge_implIS3_PlPS5_mZN2at6native12_GLOBAL__N_124unique_dim_cuda_templateIN3c108BFloat16EEESt5tupleIJNSA_6TensorESH_SH_EERKSH_lbbbEUlllE_EE10hipError_tT0_T1_T2_jT3_P12ihipStream_tbPNSt15iterator_traitsISN_E10value_typeEPNST_ISO_E10value_typeEPSP_NS1_7vsmem_tEENKUlT_SN_SO_SP_E_clIS8_S8_S9_S9_EESM_S12_SN_SO_SP_EUlS12_E0_NS1_11comp_targetILNS1_3genE4ELNS1_11target_archE910ELNS1_3gpuE8ELNS1_3repE0EEENS1_38merge_mergepath_config_static_selectorELNS0_4arch9wavefront6targetE0EEEvSO_
    .private_segment_fixed_size: 0
    .sgpr_count:     0
    .sgpr_spill_count: 0
    .symbol:         _ZN7rocprim17ROCPRIM_400000_NS6detail17trampoline_kernelINS0_14default_configENS1_38merge_sort_block_merge_config_selectorIlNS0_10empty_typeEEEZZNS1_27merge_sort_block_merge_implIS3_PlPS5_mZN2at6native12_GLOBAL__N_124unique_dim_cuda_templateIN3c108BFloat16EEESt5tupleIJNSA_6TensorESH_SH_EERKSH_lbbbEUlllE_EE10hipError_tT0_T1_T2_jT3_P12ihipStream_tbPNSt15iterator_traitsISN_E10value_typeEPNST_ISO_E10value_typeEPSP_NS1_7vsmem_tEENKUlT_SN_SO_SP_E_clIS8_S8_S9_S9_EESM_S12_SN_SO_SP_EUlS12_E0_NS1_11comp_targetILNS1_3genE4ELNS1_11target_archE910ELNS1_3gpuE8ELNS1_3repE0EEENS1_38merge_mergepath_config_static_selectorELNS0_4arch9wavefront6targetE0EEEvSO_.kd
    .uniform_work_group_size: 1
    .uses_dynamic_stack: false
    .vgpr_count:     0
    .vgpr_spill_count: 0
    .wavefront_size: 32
    .workgroup_processor_mode: 1
  - .args:
      - .offset:         0
        .size:           88
        .value_kind:     by_value
    .group_segment_fixed_size: 0
    .kernarg_segment_align: 8
    .kernarg_segment_size: 88
    .language:       OpenCL C
    .language_version:
      - 2
      - 0
    .max_flat_workgroup_size: 128
    .name:           _ZN7rocprim17ROCPRIM_400000_NS6detail17trampoline_kernelINS0_14default_configENS1_38merge_sort_block_merge_config_selectorIlNS0_10empty_typeEEEZZNS1_27merge_sort_block_merge_implIS3_PlPS5_mZN2at6native12_GLOBAL__N_124unique_dim_cuda_templateIN3c108BFloat16EEESt5tupleIJNSA_6TensorESH_SH_EERKSH_lbbbEUlllE_EE10hipError_tT0_T1_T2_jT3_P12ihipStream_tbPNSt15iterator_traitsISN_E10value_typeEPNST_ISO_E10value_typeEPSP_NS1_7vsmem_tEENKUlT_SN_SO_SP_E_clIS8_S8_S9_S9_EESM_S12_SN_SO_SP_EUlS12_E0_NS1_11comp_targetILNS1_3genE3ELNS1_11target_archE908ELNS1_3gpuE7ELNS1_3repE0EEENS1_38merge_mergepath_config_static_selectorELNS0_4arch9wavefront6targetE0EEEvSO_
    .private_segment_fixed_size: 0
    .sgpr_count:     0
    .sgpr_spill_count: 0
    .symbol:         _ZN7rocprim17ROCPRIM_400000_NS6detail17trampoline_kernelINS0_14default_configENS1_38merge_sort_block_merge_config_selectorIlNS0_10empty_typeEEEZZNS1_27merge_sort_block_merge_implIS3_PlPS5_mZN2at6native12_GLOBAL__N_124unique_dim_cuda_templateIN3c108BFloat16EEESt5tupleIJNSA_6TensorESH_SH_EERKSH_lbbbEUlllE_EE10hipError_tT0_T1_T2_jT3_P12ihipStream_tbPNSt15iterator_traitsISN_E10value_typeEPNST_ISO_E10value_typeEPSP_NS1_7vsmem_tEENKUlT_SN_SO_SP_E_clIS8_S8_S9_S9_EESM_S12_SN_SO_SP_EUlS12_E0_NS1_11comp_targetILNS1_3genE3ELNS1_11target_archE908ELNS1_3gpuE7ELNS1_3repE0EEENS1_38merge_mergepath_config_static_selectorELNS0_4arch9wavefront6targetE0EEEvSO_.kd
    .uniform_work_group_size: 1
    .uses_dynamic_stack: false
    .vgpr_count:     0
    .vgpr_spill_count: 0
    .wavefront_size: 32
    .workgroup_processor_mode: 1
  - .args:
      - .offset:         0
        .size:           88
        .value_kind:     by_value
    .group_segment_fixed_size: 0
    .kernarg_segment_align: 8
    .kernarg_segment_size: 88
    .language:       OpenCL C
    .language_version:
      - 2
      - 0
    .max_flat_workgroup_size: 256
    .name:           _ZN7rocprim17ROCPRIM_400000_NS6detail17trampoline_kernelINS0_14default_configENS1_38merge_sort_block_merge_config_selectorIlNS0_10empty_typeEEEZZNS1_27merge_sort_block_merge_implIS3_PlPS5_mZN2at6native12_GLOBAL__N_124unique_dim_cuda_templateIN3c108BFloat16EEESt5tupleIJNSA_6TensorESH_SH_EERKSH_lbbbEUlllE_EE10hipError_tT0_T1_T2_jT3_P12ihipStream_tbPNSt15iterator_traitsISN_E10value_typeEPNST_ISO_E10value_typeEPSP_NS1_7vsmem_tEENKUlT_SN_SO_SP_E_clIS8_S8_S9_S9_EESM_S12_SN_SO_SP_EUlS12_E0_NS1_11comp_targetILNS1_3genE2ELNS1_11target_archE906ELNS1_3gpuE6ELNS1_3repE0EEENS1_38merge_mergepath_config_static_selectorELNS0_4arch9wavefront6targetE0EEEvSO_
    .private_segment_fixed_size: 0
    .sgpr_count:     0
    .sgpr_spill_count: 0
    .symbol:         _ZN7rocprim17ROCPRIM_400000_NS6detail17trampoline_kernelINS0_14default_configENS1_38merge_sort_block_merge_config_selectorIlNS0_10empty_typeEEEZZNS1_27merge_sort_block_merge_implIS3_PlPS5_mZN2at6native12_GLOBAL__N_124unique_dim_cuda_templateIN3c108BFloat16EEESt5tupleIJNSA_6TensorESH_SH_EERKSH_lbbbEUlllE_EE10hipError_tT0_T1_T2_jT3_P12ihipStream_tbPNSt15iterator_traitsISN_E10value_typeEPNST_ISO_E10value_typeEPSP_NS1_7vsmem_tEENKUlT_SN_SO_SP_E_clIS8_S8_S9_S9_EESM_S12_SN_SO_SP_EUlS12_E0_NS1_11comp_targetILNS1_3genE2ELNS1_11target_archE906ELNS1_3gpuE6ELNS1_3repE0EEENS1_38merge_mergepath_config_static_selectorELNS0_4arch9wavefront6targetE0EEEvSO_.kd
    .uniform_work_group_size: 1
    .uses_dynamic_stack: false
    .vgpr_count:     0
    .vgpr_spill_count: 0
    .wavefront_size: 32
    .workgroup_processor_mode: 1
  - .args:
      - .offset:         0
        .size:           88
        .value_kind:     by_value
      - .offset:         88
        .size:           4
        .value_kind:     hidden_block_count_x
      - .offset:         92
        .size:           4
        .value_kind:     hidden_block_count_y
      - .offset:         96
        .size:           4
        .value_kind:     hidden_block_count_z
      - .offset:         100
        .size:           2
        .value_kind:     hidden_group_size_x
      - .offset:         102
        .size:           2
        .value_kind:     hidden_group_size_y
      - .offset:         104
        .size:           2
        .value_kind:     hidden_group_size_z
      - .offset:         106
        .size:           2
        .value_kind:     hidden_remainder_x
      - .offset:         108
        .size:           2
        .value_kind:     hidden_remainder_y
      - .offset:         110
        .size:           2
        .value_kind:     hidden_remainder_z
      - .offset:         128
        .size:           8
        .value_kind:     hidden_global_offset_x
      - .offset:         136
        .size:           8
        .value_kind:     hidden_global_offset_y
      - .offset:         144
        .size:           8
        .value_kind:     hidden_global_offset_z
      - .offset:         152
        .size:           2
        .value_kind:     hidden_grid_dims
    .group_segment_fixed_size: 8448
    .kernarg_segment_align: 8
    .kernarg_segment_size: 344
    .language:       OpenCL C
    .language_version:
      - 2
      - 0
    .max_flat_workgroup_size: 512
    .name:           _ZN7rocprim17ROCPRIM_400000_NS6detail17trampoline_kernelINS0_14default_configENS1_38merge_sort_block_merge_config_selectorIlNS0_10empty_typeEEEZZNS1_27merge_sort_block_merge_implIS3_PlPS5_mZN2at6native12_GLOBAL__N_124unique_dim_cuda_templateIN3c108BFloat16EEESt5tupleIJNSA_6TensorESH_SH_EERKSH_lbbbEUlllE_EE10hipError_tT0_T1_T2_jT3_P12ihipStream_tbPNSt15iterator_traitsISN_E10value_typeEPNST_ISO_E10value_typeEPSP_NS1_7vsmem_tEENKUlT_SN_SO_SP_E_clIS8_S8_S9_S9_EESM_S12_SN_SO_SP_EUlS12_E0_NS1_11comp_targetILNS1_3genE9ELNS1_11target_archE1100ELNS1_3gpuE3ELNS1_3repE0EEENS1_38merge_mergepath_config_static_selectorELNS0_4arch9wavefront6targetE0EEEvSO_
    .private_segment_fixed_size: 0
    .sgpr_count:     36
    .sgpr_spill_count: 0
    .symbol:         _ZN7rocprim17ROCPRIM_400000_NS6detail17trampoline_kernelINS0_14default_configENS1_38merge_sort_block_merge_config_selectorIlNS0_10empty_typeEEEZZNS1_27merge_sort_block_merge_implIS3_PlPS5_mZN2at6native12_GLOBAL__N_124unique_dim_cuda_templateIN3c108BFloat16EEESt5tupleIJNSA_6TensorESH_SH_EERKSH_lbbbEUlllE_EE10hipError_tT0_T1_T2_jT3_P12ihipStream_tbPNSt15iterator_traitsISN_E10value_typeEPNST_ISO_E10value_typeEPSP_NS1_7vsmem_tEENKUlT_SN_SO_SP_E_clIS8_S8_S9_S9_EESM_S12_SN_SO_SP_EUlS12_E0_NS1_11comp_targetILNS1_3genE9ELNS1_11target_archE1100ELNS1_3gpuE3ELNS1_3repE0EEENS1_38merge_mergepath_config_static_selectorELNS0_4arch9wavefront6targetE0EEEvSO_.kd
    .uniform_work_group_size: 1
    .uses_dynamic_stack: false
    .vgpr_count:     21
    .vgpr_spill_count: 0
    .wavefront_size: 32
    .workgroup_processor_mode: 1
  - .args:
      - .offset:         0
        .size:           88
        .value_kind:     by_value
    .group_segment_fixed_size: 0
    .kernarg_segment_align: 8
    .kernarg_segment_size: 88
    .language:       OpenCL C
    .language_version:
      - 2
      - 0
    .max_flat_workgroup_size: 1024
    .name:           _ZN7rocprim17ROCPRIM_400000_NS6detail17trampoline_kernelINS0_14default_configENS1_38merge_sort_block_merge_config_selectorIlNS0_10empty_typeEEEZZNS1_27merge_sort_block_merge_implIS3_PlPS5_mZN2at6native12_GLOBAL__N_124unique_dim_cuda_templateIN3c108BFloat16EEESt5tupleIJNSA_6TensorESH_SH_EERKSH_lbbbEUlllE_EE10hipError_tT0_T1_T2_jT3_P12ihipStream_tbPNSt15iterator_traitsISN_E10value_typeEPNST_ISO_E10value_typeEPSP_NS1_7vsmem_tEENKUlT_SN_SO_SP_E_clIS8_S8_S9_S9_EESM_S12_SN_SO_SP_EUlS12_E0_NS1_11comp_targetILNS1_3genE8ELNS1_11target_archE1030ELNS1_3gpuE2ELNS1_3repE0EEENS1_38merge_mergepath_config_static_selectorELNS0_4arch9wavefront6targetE0EEEvSO_
    .private_segment_fixed_size: 0
    .sgpr_count:     0
    .sgpr_spill_count: 0
    .symbol:         _ZN7rocprim17ROCPRIM_400000_NS6detail17trampoline_kernelINS0_14default_configENS1_38merge_sort_block_merge_config_selectorIlNS0_10empty_typeEEEZZNS1_27merge_sort_block_merge_implIS3_PlPS5_mZN2at6native12_GLOBAL__N_124unique_dim_cuda_templateIN3c108BFloat16EEESt5tupleIJNSA_6TensorESH_SH_EERKSH_lbbbEUlllE_EE10hipError_tT0_T1_T2_jT3_P12ihipStream_tbPNSt15iterator_traitsISN_E10value_typeEPNST_ISO_E10value_typeEPSP_NS1_7vsmem_tEENKUlT_SN_SO_SP_E_clIS8_S8_S9_S9_EESM_S12_SN_SO_SP_EUlS12_E0_NS1_11comp_targetILNS1_3genE8ELNS1_11target_archE1030ELNS1_3gpuE2ELNS1_3repE0EEENS1_38merge_mergepath_config_static_selectorELNS0_4arch9wavefront6targetE0EEEvSO_.kd
    .uniform_work_group_size: 1
    .uses_dynamic_stack: false
    .vgpr_count:     0
    .vgpr_spill_count: 0
    .wavefront_size: 32
    .workgroup_processor_mode: 1
  - .args:
      - .offset:         0
        .size:           64
        .value_kind:     by_value
    .group_segment_fixed_size: 0
    .kernarg_segment_align: 8
    .kernarg_segment_size: 64
    .language:       OpenCL C
    .language_version:
      - 2
      - 0
    .max_flat_workgroup_size: 256
    .name:           _ZN7rocprim17ROCPRIM_400000_NS6detail17trampoline_kernelINS0_14default_configENS1_38merge_sort_block_merge_config_selectorIlNS0_10empty_typeEEEZZNS1_27merge_sort_block_merge_implIS3_PlPS5_mZN2at6native12_GLOBAL__N_124unique_dim_cuda_templateIN3c108BFloat16EEESt5tupleIJNSA_6TensorESH_SH_EERKSH_lbbbEUlllE_EE10hipError_tT0_T1_T2_jT3_P12ihipStream_tbPNSt15iterator_traitsISN_E10value_typeEPNST_ISO_E10value_typeEPSP_NS1_7vsmem_tEENKUlT_SN_SO_SP_E_clIS8_S8_S9_S9_EESM_S12_SN_SO_SP_EUlS12_E1_NS1_11comp_targetILNS1_3genE0ELNS1_11target_archE4294967295ELNS1_3gpuE0ELNS1_3repE0EEENS1_36merge_oddeven_config_static_selectorELNS0_4arch9wavefront6targetE0EEEvSO_
    .private_segment_fixed_size: 0
    .sgpr_count:     0
    .sgpr_spill_count: 0
    .symbol:         _ZN7rocprim17ROCPRIM_400000_NS6detail17trampoline_kernelINS0_14default_configENS1_38merge_sort_block_merge_config_selectorIlNS0_10empty_typeEEEZZNS1_27merge_sort_block_merge_implIS3_PlPS5_mZN2at6native12_GLOBAL__N_124unique_dim_cuda_templateIN3c108BFloat16EEESt5tupleIJNSA_6TensorESH_SH_EERKSH_lbbbEUlllE_EE10hipError_tT0_T1_T2_jT3_P12ihipStream_tbPNSt15iterator_traitsISN_E10value_typeEPNST_ISO_E10value_typeEPSP_NS1_7vsmem_tEENKUlT_SN_SO_SP_E_clIS8_S8_S9_S9_EESM_S12_SN_SO_SP_EUlS12_E1_NS1_11comp_targetILNS1_3genE0ELNS1_11target_archE4294967295ELNS1_3gpuE0ELNS1_3repE0EEENS1_36merge_oddeven_config_static_selectorELNS0_4arch9wavefront6targetE0EEEvSO_.kd
    .uniform_work_group_size: 1
    .uses_dynamic_stack: false
    .vgpr_count:     0
    .vgpr_spill_count: 0
    .wavefront_size: 32
    .workgroup_processor_mode: 1
  - .args:
      - .offset:         0
        .size:           64
        .value_kind:     by_value
    .group_segment_fixed_size: 0
    .kernarg_segment_align: 8
    .kernarg_segment_size: 64
    .language:       OpenCL C
    .language_version:
      - 2
      - 0
    .max_flat_workgroup_size: 256
    .name:           _ZN7rocprim17ROCPRIM_400000_NS6detail17trampoline_kernelINS0_14default_configENS1_38merge_sort_block_merge_config_selectorIlNS0_10empty_typeEEEZZNS1_27merge_sort_block_merge_implIS3_PlPS5_mZN2at6native12_GLOBAL__N_124unique_dim_cuda_templateIN3c108BFloat16EEESt5tupleIJNSA_6TensorESH_SH_EERKSH_lbbbEUlllE_EE10hipError_tT0_T1_T2_jT3_P12ihipStream_tbPNSt15iterator_traitsISN_E10value_typeEPNST_ISO_E10value_typeEPSP_NS1_7vsmem_tEENKUlT_SN_SO_SP_E_clIS8_S8_S9_S9_EESM_S12_SN_SO_SP_EUlS12_E1_NS1_11comp_targetILNS1_3genE10ELNS1_11target_archE1201ELNS1_3gpuE5ELNS1_3repE0EEENS1_36merge_oddeven_config_static_selectorELNS0_4arch9wavefront6targetE0EEEvSO_
    .private_segment_fixed_size: 0
    .sgpr_count:     0
    .sgpr_spill_count: 0
    .symbol:         _ZN7rocprim17ROCPRIM_400000_NS6detail17trampoline_kernelINS0_14default_configENS1_38merge_sort_block_merge_config_selectorIlNS0_10empty_typeEEEZZNS1_27merge_sort_block_merge_implIS3_PlPS5_mZN2at6native12_GLOBAL__N_124unique_dim_cuda_templateIN3c108BFloat16EEESt5tupleIJNSA_6TensorESH_SH_EERKSH_lbbbEUlllE_EE10hipError_tT0_T1_T2_jT3_P12ihipStream_tbPNSt15iterator_traitsISN_E10value_typeEPNST_ISO_E10value_typeEPSP_NS1_7vsmem_tEENKUlT_SN_SO_SP_E_clIS8_S8_S9_S9_EESM_S12_SN_SO_SP_EUlS12_E1_NS1_11comp_targetILNS1_3genE10ELNS1_11target_archE1201ELNS1_3gpuE5ELNS1_3repE0EEENS1_36merge_oddeven_config_static_selectorELNS0_4arch9wavefront6targetE0EEEvSO_.kd
    .uniform_work_group_size: 1
    .uses_dynamic_stack: false
    .vgpr_count:     0
    .vgpr_spill_count: 0
    .wavefront_size: 32
    .workgroup_processor_mode: 1
  - .args:
      - .offset:         0
        .size:           64
        .value_kind:     by_value
    .group_segment_fixed_size: 0
    .kernarg_segment_align: 8
    .kernarg_segment_size: 64
    .language:       OpenCL C
    .language_version:
      - 2
      - 0
    .max_flat_workgroup_size: 256
    .name:           _ZN7rocprim17ROCPRIM_400000_NS6detail17trampoline_kernelINS0_14default_configENS1_38merge_sort_block_merge_config_selectorIlNS0_10empty_typeEEEZZNS1_27merge_sort_block_merge_implIS3_PlPS5_mZN2at6native12_GLOBAL__N_124unique_dim_cuda_templateIN3c108BFloat16EEESt5tupleIJNSA_6TensorESH_SH_EERKSH_lbbbEUlllE_EE10hipError_tT0_T1_T2_jT3_P12ihipStream_tbPNSt15iterator_traitsISN_E10value_typeEPNST_ISO_E10value_typeEPSP_NS1_7vsmem_tEENKUlT_SN_SO_SP_E_clIS8_S8_S9_S9_EESM_S12_SN_SO_SP_EUlS12_E1_NS1_11comp_targetILNS1_3genE5ELNS1_11target_archE942ELNS1_3gpuE9ELNS1_3repE0EEENS1_36merge_oddeven_config_static_selectorELNS0_4arch9wavefront6targetE0EEEvSO_
    .private_segment_fixed_size: 0
    .sgpr_count:     0
    .sgpr_spill_count: 0
    .symbol:         _ZN7rocprim17ROCPRIM_400000_NS6detail17trampoline_kernelINS0_14default_configENS1_38merge_sort_block_merge_config_selectorIlNS0_10empty_typeEEEZZNS1_27merge_sort_block_merge_implIS3_PlPS5_mZN2at6native12_GLOBAL__N_124unique_dim_cuda_templateIN3c108BFloat16EEESt5tupleIJNSA_6TensorESH_SH_EERKSH_lbbbEUlllE_EE10hipError_tT0_T1_T2_jT3_P12ihipStream_tbPNSt15iterator_traitsISN_E10value_typeEPNST_ISO_E10value_typeEPSP_NS1_7vsmem_tEENKUlT_SN_SO_SP_E_clIS8_S8_S9_S9_EESM_S12_SN_SO_SP_EUlS12_E1_NS1_11comp_targetILNS1_3genE5ELNS1_11target_archE942ELNS1_3gpuE9ELNS1_3repE0EEENS1_36merge_oddeven_config_static_selectorELNS0_4arch9wavefront6targetE0EEEvSO_.kd
    .uniform_work_group_size: 1
    .uses_dynamic_stack: false
    .vgpr_count:     0
    .vgpr_spill_count: 0
    .wavefront_size: 32
    .workgroup_processor_mode: 1
  - .args:
      - .offset:         0
        .size:           64
        .value_kind:     by_value
    .group_segment_fixed_size: 0
    .kernarg_segment_align: 8
    .kernarg_segment_size: 64
    .language:       OpenCL C
    .language_version:
      - 2
      - 0
    .max_flat_workgroup_size: 256
    .name:           _ZN7rocprim17ROCPRIM_400000_NS6detail17trampoline_kernelINS0_14default_configENS1_38merge_sort_block_merge_config_selectorIlNS0_10empty_typeEEEZZNS1_27merge_sort_block_merge_implIS3_PlPS5_mZN2at6native12_GLOBAL__N_124unique_dim_cuda_templateIN3c108BFloat16EEESt5tupleIJNSA_6TensorESH_SH_EERKSH_lbbbEUlllE_EE10hipError_tT0_T1_T2_jT3_P12ihipStream_tbPNSt15iterator_traitsISN_E10value_typeEPNST_ISO_E10value_typeEPSP_NS1_7vsmem_tEENKUlT_SN_SO_SP_E_clIS8_S8_S9_S9_EESM_S12_SN_SO_SP_EUlS12_E1_NS1_11comp_targetILNS1_3genE4ELNS1_11target_archE910ELNS1_3gpuE8ELNS1_3repE0EEENS1_36merge_oddeven_config_static_selectorELNS0_4arch9wavefront6targetE0EEEvSO_
    .private_segment_fixed_size: 0
    .sgpr_count:     0
    .sgpr_spill_count: 0
    .symbol:         _ZN7rocprim17ROCPRIM_400000_NS6detail17trampoline_kernelINS0_14default_configENS1_38merge_sort_block_merge_config_selectorIlNS0_10empty_typeEEEZZNS1_27merge_sort_block_merge_implIS3_PlPS5_mZN2at6native12_GLOBAL__N_124unique_dim_cuda_templateIN3c108BFloat16EEESt5tupleIJNSA_6TensorESH_SH_EERKSH_lbbbEUlllE_EE10hipError_tT0_T1_T2_jT3_P12ihipStream_tbPNSt15iterator_traitsISN_E10value_typeEPNST_ISO_E10value_typeEPSP_NS1_7vsmem_tEENKUlT_SN_SO_SP_E_clIS8_S8_S9_S9_EESM_S12_SN_SO_SP_EUlS12_E1_NS1_11comp_targetILNS1_3genE4ELNS1_11target_archE910ELNS1_3gpuE8ELNS1_3repE0EEENS1_36merge_oddeven_config_static_selectorELNS0_4arch9wavefront6targetE0EEEvSO_.kd
    .uniform_work_group_size: 1
    .uses_dynamic_stack: false
    .vgpr_count:     0
    .vgpr_spill_count: 0
    .wavefront_size: 32
    .workgroup_processor_mode: 1
  - .args:
      - .offset:         0
        .size:           64
        .value_kind:     by_value
    .group_segment_fixed_size: 0
    .kernarg_segment_align: 8
    .kernarg_segment_size: 64
    .language:       OpenCL C
    .language_version:
      - 2
      - 0
    .max_flat_workgroup_size: 256
    .name:           _ZN7rocprim17ROCPRIM_400000_NS6detail17trampoline_kernelINS0_14default_configENS1_38merge_sort_block_merge_config_selectorIlNS0_10empty_typeEEEZZNS1_27merge_sort_block_merge_implIS3_PlPS5_mZN2at6native12_GLOBAL__N_124unique_dim_cuda_templateIN3c108BFloat16EEESt5tupleIJNSA_6TensorESH_SH_EERKSH_lbbbEUlllE_EE10hipError_tT0_T1_T2_jT3_P12ihipStream_tbPNSt15iterator_traitsISN_E10value_typeEPNST_ISO_E10value_typeEPSP_NS1_7vsmem_tEENKUlT_SN_SO_SP_E_clIS8_S8_S9_S9_EESM_S12_SN_SO_SP_EUlS12_E1_NS1_11comp_targetILNS1_3genE3ELNS1_11target_archE908ELNS1_3gpuE7ELNS1_3repE0EEENS1_36merge_oddeven_config_static_selectorELNS0_4arch9wavefront6targetE0EEEvSO_
    .private_segment_fixed_size: 0
    .sgpr_count:     0
    .sgpr_spill_count: 0
    .symbol:         _ZN7rocprim17ROCPRIM_400000_NS6detail17trampoline_kernelINS0_14default_configENS1_38merge_sort_block_merge_config_selectorIlNS0_10empty_typeEEEZZNS1_27merge_sort_block_merge_implIS3_PlPS5_mZN2at6native12_GLOBAL__N_124unique_dim_cuda_templateIN3c108BFloat16EEESt5tupleIJNSA_6TensorESH_SH_EERKSH_lbbbEUlllE_EE10hipError_tT0_T1_T2_jT3_P12ihipStream_tbPNSt15iterator_traitsISN_E10value_typeEPNST_ISO_E10value_typeEPSP_NS1_7vsmem_tEENKUlT_SN_SO_SP_E_clIS8_S8_S9_S9_EESM_S12_SN_SO_SP_EUlS12_E1_NS1_11comp_targetILNS1_3genE3ELNS1_11target_archE908ELNS1_3gpuE7ELNS1_3repE0EEENS1_36merge_oddeven_config_static_selectorELNS0_4arch9wavefront6targetE0EEEvSO_.kd
    .uniform_work_group_size: 1
    .uses_dynamic_stack: false
    .vgpr_count:     0
    .vgpr_spill_count: 0
    .wavefront_size: 32
    .workgroup_processor_mode: 1
  - .args:
      - .offset:         0
        .size:           64
        .value_kind:     by_value
    .group_segment_fixed_size: 0
    .kernarg_segment_align: 8
    .kernarg_segment_size: 64
    .language:       OpenCL C
    .language_version:
      - 2
      - 0
    .max_flat_workgroup_size: 256
    .name:           _ZN7rocprim17ROCPRIM_400000_NS6detail17trampoline_kernelINS0_14default_configENS1_38merge_sort_block_merge_config_selectorIlNS0_10empty_typeEEEZZNS1_27merge_sort_block_merge_implIS3_PlPS5_mZN2at6native12_GLOBAL__N_124unique_dim_cuda_templateIN3c108BFloat16EEESt5tupleIJNSA_6TensorESH_SH_EERKSH_lbbbEUlllE_EE10hipError_tT0_T1_T2_jT3_P12ihipStream_tbPNSt15iterator_traitsISN_E10value_typeEPNST_ISO_E10value_typeEPSP_NS1_7vsmem_tEENKUlT_SN_SO_SP_E_clIS8_S8_S9_S9_EESM_S12_SN_SO_SP_EUlS12_E1_NS1_11comp_targetILNS1_3genE2ELNS1_11target_archE906ELNS1_3gpuE6ELNS1_3repE0EEENS1_36merge_oddeven_config_static_selectorELNS0_4arch9wavefront6targetE0EEEvSO_
    .private_segment_fixed_size: 0
    .sgpr_count:     0
    .sgpr_spill_count: 0
    .symbol:         _ZN7rocprim17ROCPRIM_400000_NS6detail17trampoline_kernelINS0_14default_configENS1_38merge_sort_block_merge_config_selectorIlNS0_10empty_typeEEEZZNS1_27merge_sort_block_merge_implIS3_PlPS5_mZN2at6native12_GLOBAL__N_124unique_dim_cuda_templateIN3c108BFloat16EEESt5tupleIJNSA_6TensorESH_SH_EERKSH_lbbbEUlllE_EE10hipError_tT0_T1_T2_jT3_P12ihipStream_tbPNSt15iterator_traitsISN_E10value_typeEPNST_ISO_E10value_typeEPSP_NS1_7vsmem_tEENKUlT_SN_SO_SP_E_clIS8_S8_S9_S9_EESM_S12_SN_SO_SP_EUlS12_E1_NS1_11comp_targetILNS1_3genE2ELNS1_11target_archE906ELNS1_3gpuE6ELNS1_3repE0EEENS1_36merge_oddeven_config_static_selectorELNS0_4arch9wavefront6targetE0EEEvSO_.kd
    .uniform_work_group_size: 1
    .uses_dynamic_stack: false
    .vgpr_count:     0
    .vgpr_spill_count: 0
    .wavefront_size: 32
    .workgroup_processor_mode: 1
  - .args:
      - .offset:         0
        .size:           64
        .value_kind:     by_value
    .group_segment_fixed_size: 0
    .kernarg_segment_align: 8
    .kernarg_segment_size: 64
    .language:       OpenCL C
    .language_version:
      - 2
      - 0
    .max_flat_workgroup_size: 256
    .name:           _ZN7rocprim17ROCPRIM_400000_NS6detail17trampoline_kernelINS0_14default_configENS1_38merge_sort_block_merge_config_selectorIlNS0_10empty_typeEEEZZNS1_27merge_sort_block_merge_implIS3_PlPS5_mZN2at6native12_GLOBAL__N_124unique_dim_cuda_templateIN3c108BFloat16EEESt5tupleIJNSA_6TensorESH_SH_EERKSH_lbbbEUlllE_EE10hipError_tT0_T1_T2_jT3_P12ihipStream_tbPNSt15iterator_traitsISN_E10value_typeEPNST_ISO_E10value_typeEPSP_NS1_7vsmem_tEENKUlT_SN_SO_SP_E_clIS8_S8_S9_S9_EESM_S12_SN_SO_SP_EUlS12_E1_NS1_11comp_targetILNS1_3genE9ELNS1_11target_archE1100ELNS1_3gpuE3ELNS1_3repE0EEENS1_36merge_oddeven_config_static_selectorELNS0_4arch9wavefront6targetE0EEEvSO_
    .private_segment_fixed_size: 0
    .sgpr_count:     30
    .sgpr_spill_count: 0
    .symbol:         _ZN7rocprim17ROCPRIM_400000_NS6detail17trampoline_kernelINS0_14default_configENS1_38merge_sort_block_merge_config_selectorIlNS0_10empty_typeEEEZZNS1_27merge_sort_block_merge_implIS3_PlPS5_mZN2at6native12_GLOBAL__N_124unique_dim_cuda_templateIN3c108BFloat16EEESt5tupleIJNSA_6TensorESH_SH_EERKSH_lbbbEUlllE_EE10hipError_tT0_T1_T2_jT3_P12ihipStream_tbPNSt15iterator_traitsISN_E10value_typeEPNST_ISO_E10value_typeEPSP_NS1_7vsmem_tEENKUlT_SN_SO_SP_E_clIS8_S8_S9_S9_EESM_S12_SN_SO_SP_EUlS12_E1_NS1_11comp_targetILNS1_3genE9ELNS1_11target_archE1100ELNS1_3gpuE3ELNS1_3repE0EEENS1_36merge_oddeven_config_static_selectorELNS0_4arch9wavefront6targetE0EEEvSO_.kd
    .uniform_work_group_size: 1
    .uses_dynamic_stack: false
    .vgpr_count:     18
    .vgpr_spill_count: 0
    .wavefront_size: 32
    .workgroup_processor_mode: 1
  - .args:
      - .offset:         0
        .size:           64
        .value_kind:     by_value
    .group_segment_fixed_size: 0
    .kernarg_segment_align: 8
    .kernarg_segment_size: 64
    .language:       OpenCL C
    .language_version:
      - 2
      - 0
    .max_flat_workgroup_size: 256
    .name:           _ZN7rocprim17ROCPRIM_400000_NS6detail17trampoline_kernelINS0_14default_configENS1_38merge_sort_block_merge_config_selectorIlNS0_10empty_typeEEEZZNS1_27merge_sort_block_merge_implIS3_PlPS5_mZN2at6native12_GLOBAL__N_124unique_dim_cuda_templateIN3c108BFloat16EEESt5tupleIJNSA_6TensorESH_SH_EERKSH_lbbbEUlllE_EE10hipError_tT0_T1_T2_jT3_P12ihipStream_tbPNSt15iterator_traitsISN_E10value_typeEPNST_ISO_E10value_typeEPSP_NS1_7vsmem_tEENKUlT_SN_SO_SP_E_clIS8_S8_S9_S9_EESM_S12_SN_SO_SP_EUlS12_E1_NS1_11comp_targetILNS1_3genE8ELNS1_11target_archE1030ELNS1_3gpuE2ELNS1_3repE0EEENS1_36merge_oddeven_config_static_selectorELNS0_4arch9wavefront6targetE0EEEvSO_
    .private_segment_fixed_size: 0
    .sgpr_count:     0
    .sgpr_spill_count: 0
    .symbol:         _ZN7rocprim17ROCPRIM_400000_NS6detail17trampoline_kernelINS0_14default_configENS1_38merge_sort_block_merge_config_selectorIlNS0_10empty_typeEEEZZNS1_27merge_sort_block_merge_implIS3_PlPS5_mZN2at6native12_GLOBAL__N_124unique_dim_cuda_templateIN3c108BFloat16EEESt5tupleIJNSA_6TensorESH_SH_EERKSH_lbbbEUlllE_EE10hipError_tT0_T1_T2_jT3_P12ihipStream_tbPNSt15iterator_traitsISN_E10value_typeEPNST_ISO_E10value_typeEPSP_NS1_7vsmem_tEENKUlT_SN_SO_SP_E_clIS8_S8_S9_S9_EESM_S12_SN_SO_SP_EUlS12_E1_NS1_11comp_targetILNS1_3genE8ELNS1_11target_archE1030ELNS1_3gpuE2ELNS1_3repE0EEENS1_36merge_oddeven_config_static_selectorELNS0_4arch9wavefront6targetE0EEEvSO_.kd
    .uniform_work_group_size: 1
    .uses_dynamic_stack: false
    .vgpr_count:     0
    .vgpr_spill_count: 0
    .wavefront_size: 32
    .workgroup_processor_mode: 1
  - .args:
      - .offset:         0
        .size:           64
        .value_kind:     by_value
    .group_segment_fixed_size: 0
    .kernarg_segment_align: 8
    .kernarg_segment_size: 64
    .language:       OpenCL C
    .language_version:
      - 2
      - 0
    .max_flat_workgroup_size: 128
    .name:           _ZN7rocprim17ROCPRIM_400000_NS6detail17trampoline_kernelINS0_14default_configENS1_35adjacent_difference_config_selectorILb0ElEEZNS1_24adjacent_difference_implIS3_Lb0ELb0EPlS7_ZN2at6native12_GLOBAL__N_124unique_dim_cuda_templateIN3c108BFloat16EEESt5tupleIJNS8_6TensorESF_SF_EERKSF_lbbbEUlllE1_EE10hipError_tPvRmT2_T3_mT4_P12ihipStream_tbEUlT_E_NS1_11comp_targetILNS1_3genE0ELNS1_11target_archE4294967295ELNS1_3gpuE0ELNS1_3repE0EEENS1_30default_config_static_selectorELNS0_4arch9wavefront6targetE0EEEvT1_
    .private_segment_fixed_size: 0
    .sgpr_count:     0
    .sgpr_spill_count: 0
    .symbol:         _ZN7rocprim17ROCPRIM_400000_NS6detail17trampoline_kernelINS0_14default_configENS1_35adjacent_difference_config_selectorILb0ElEEZNS1_24adjacent_difference_implIS3_Lb0ELb0EPlS7_ZN2at6native12_GLOBAL__N_124unique_dim_cuda_templateIN3c108BFloat16EEESt5tupleIJNS8_6TensorESF_SF_EERKSF_lbbbEUlllE1_EE10hipError_tPvRmT2_T3_mT4_P12ihipStream_tbEUlT_E_NS1_11comp_targetILNS1_3genE0ELNS1_11target_archE4294967295ELNS1_3gpuE0ELNS1_3repE0EEENS1_30default_config_static_selectorELNS0_4arch9wavefront6targetE0EEEvT1_.kd
    .uniform_work_group_size: 1
    .uses_dynamic_stack: false
    .vgpr_count:     0
    .vgpr_spill_count: 0
    .wavefront_size: 32
    .workgroup_processor_mode: 1
  - .args:
      - .offset:         0
        .size:           64
        .value_kind:     by_value
    .group_segment_fixed_size: 0
    .kernarg_segment_align: 8
    .kernarg_segment_size: 64
    .language:       OpenCL C
    .language_version:
      - 2
      - 0
    .max_flat_workgroup_size: 128
    .name:           _ZN7rocprim17ROCPRIM_400000_NS6detail17trampoline_kernelINS0_14default_configENS1_35adjacent_difference_config_selectorILb0ElEEZNS1_24adjacent_difference_implIS3_Lb0ELb0EPlS7_ZN2at6native12_GLOBAL__N_124unique_dim_cuda_templateIN3c108BFloat16EEESt5tupleIJNS8_6TensorESF_SF_EERKSF_lbbbEUlllE1_EE10hipError_tPvRmT2_T3_mT4_P12ihipStream_tbEUlT_E_NS1_11comp_targetILNS1_3genE10ELNS1_11target_archE1201ELNS1_3gpuE5ELNS1_3repE0EEENS1_30default_config_static_selectorELNS0_4arch9wavefront6targetE0EEEvT1_
    .private_segment_fixed_size: 0
    .sgpr_count:     0
    .sgpr_spill_count: 0
    .symbol:         _ZN7rocprim17ROCPRIM_400000_NS6detail17trampoline_kernelINS0_14default_configENS1_35adjacent_difference_config_selectorILb0ElEEZNS1_24adjacent_difference_implIS3_Lb0ELb0EPlS7_ZN2at6native12_GLOBAL__N_124unique_dim_cuda_templateIN3c108BFloat16EEESt5tupleIJNS8_6TensorESF_SF_EERKSF_lbbbEUlllE1_EE10hipError_tPvRmT2_T3_mT4_P12ihipStream_tbEUlT_E_NS1_11comp_targetILNS1_3genE10ELNS1_11target_archE1201ELNS1_3gpuE5ELNS1_3repE0EEENS1_30default_config_static_selectorELNS0_4arch9wavefront6targetE0EEEvT1_.kd
    .uniform_work_group_size: 1
    .uses_dynamic_stack: false
    .vgpr_count:     0
    .vgpr_spill_count: 0
    .wavefront_size: 32
    .workgroup_processor_mode: 1
  - .args:
      - .offset:         0
        .size:           64
        .value_kind:     by_value
    .group_segment_fixed_size: 0
    .kernarg_segment_align: 8
    .kernarg_segment_size: 64
    .language:       OpenCL C
    .language_version:
      - 2
      - 0
    .max_flat_workgroup_size: 64
    .name:           _ZN7rocprim17ROCPRIM_400000_NS6detail17trampoline_kernelINS0_14default_configENS1_35adjacent_difference_config_selectorILb0ElEEZNS1_24adjacent_difference_implIS3_Lb0ELb0EPlS7_ZN2at6native12_GLOBAL__N_124unique_dim_cuda_templateIN3c108BFloat16EEESt5tupleIJNS8_6TensorESF_SF_EERKSF_lbbbEUlllE1_EE10hipError_tPvRmT2_T3_mT4_P12ihipStream_tbEUlT_E_NS1_11comp_targetILNS1_3genE5ELNS1_11target_archE942ELNS1_3gpuE9ELNS1_3repE0EEENS1_30default_config_static_selectorELNS0_4arch9wavefront6targetE0EEEvT1_
    .private_segment_fixed_size: 0
    .sgpr_count:     0
    .sgpr_spill_count: 0
    .symbol:         _ZN7rocprim17ROCPRIM_400000_NS6detail17trampoline_kernelINS0_14default_configENS1_35adjacent_difference_config_selectorILb0ElEEZNS1_24adjacent_difference_implIS3_Lb0ELb0EPlS7_ZN2at6native12_GLOBAL__N_124unique_dim_cuda_templateIN3c108BFloat16EEESt5tupleIJNS8_6TensorESF_SF_EERKSF_lbbbEUlllE1_EE10hipError_tPvRmT2_T3_mT4_P12ihipStream_tbEUlT_E_NS1_11comp_targetILNS1_3genE5ELNS1_11target_archE942ELNS1_3gpuE9ELNS1_3repE0EEENS1_30default_config_static_selectorELNS0_4arch9wavefront6targetE0EEEvT1_.kd
    .uniform_work_group_size: 1
    .uses_dynamic_stack: false
    .vgpr_count:     0
    .vgpr_spill_count: 0
    .wavefront_size: 32
    .workgroup_processor_mode: 1
  - .args:
      - .offset:         0
        .size:           64
        .value_kind:     by_value
    .group_segment_fixed_size: 0
    .kernarg_segment_align: 8
    .kernarg_segment_size: 64
    .language:       OpenCL C
    .language_version:
      - 2
      - 0
    .max_flat_workgroup_size: 256
    .name:           _ZN7rocprim17ROCPRIM_400000_NS6detail17trampoline_kernelINS0_14default_configENS1_35adjacent_difference_config_selectorILb0ElEEZNS1_24adjacent_difference_implIS3_Lb0ELb0EPlS7_ZN2at6native12_GLOBAL__N_124unique_dim_cuda_templateIN3c108BFloat16EEESt5tupleIJNS8_6TensorESF_SF_EERKSF_lbbbEUlllE1_EE10hipError_tPvRmT2_T3_mT4_P12ihipStream_tbEUlT_E_NS1_11comp_targetILNS1_3genE4ELNS1_11target_archE910ELNS1_3gpuE8ELNS1_3repE0EEENS1_30default_config_static_selectorELNS0_4arch9wavefront6targetE0EEEvT1_
    .private_segment_fixed_size: 0
    .sgpr_count:     0
    .sgpr_spill_count: 0
    .symbol:         _ZN7rocprim17ROCPRIM_400000_NS6detail17trampoline_kernelINS0_14default_configENS1_35adjacent_difference_config_selectorILb0ElEEZNS1_24adjacent_difference_implIS3_Lb0ELb0EPlS7_ZN2at6native12_GLOBAL__N_124unique_dim_cuda_templateIN3c108BFloat16EEESt5tupleIJNS8_6TensorESF_SF_EERKSF_lbbbEUlllE1_EE10hipError_tPvRmT2_T3_mT4_P12ihipStream_tbEUlT_E_NS1_11comp_targetILNS1_3genE4ELNS1_11target_archE910ELNS1_3gpuE8ELNS1_3repE0EEENS1_30default_config_static_selectorELNS0_4arch9wavefront6targetE0EEEvT1_.kd
    .uniform_work_group_size: 1
    .uses_dynamic_stack: false
    .vgpr_count:     0
    .vgpr_spill_count: 0
    .wavefront_size: 32
    .workgroup_processor_mode: 1
  - .args:
      - .offset:         0
        .size:           64
        .value_kind:     by_value
    .group_segment_fixed_size: 0
    .kernarg_segment_align: 8
    .kernarg_segment_size: 64
    .language:       OpenCL C
    .language_version:
      - 2
      - 0
    .max_flat_workgroup_size: 128
    .name:           _ZN7rocprim17ROCPRIM_400000_NS6detail17trampoline_kernelINS0_14default_configENS1_35adjacent_difference_config_selectorILb0ElEEZNS1_24adjacent_difference_implIS3_Lb0ELb0EPlS7_ZN2at6native12_GLOBAL__N_124unique_dim_cuda_templateIN3c108BFloat16EEESt5tupleIJNS8_6TensorESF_SF_EERKSF_lbbbEUlllE1_EE10hipError_tPvRmT2_T3_mT4_P12ihipStream_tbEUlT_E_NS1_11comp_targetILNS1_3genE3ELNS1_11target_archE908ELNS1_3gpuE7ELNS1_3repE0EEENS1_30default_config_static_selectorELNS0_4arch9wavefront6targetE0EEEvT1_
    .private_segment_fixed_size: 0
    .sgpr_count:     0
    .sgpr_spill_count: 0
    .symbol:         _ZN7rocprim17ROCPRIM_400000_NS6detail17trampoline_kernelINS0_14default_configENS1_35adjacent_difference_config_selectorILb0ElEEZNS1_24adjacent_difference_implIS3_Lb0ELb0EPlS7_ZN2at6native12_GLOBAL__N_124unique_dim_cuda_templateIN3c108BFloat16EEESt5tupleIJNS8_6TensorESF_SF_EERKSF_lbbbEUlllE1_EE10hipError_tPvRmT2_T3_mT4_P12ihipStream_tbEUlT_E_NS1_11comp_targetILNS1_3genE3ELNS1_11target_archE908ELNS1_3gpuE7ELNS1_3repE0EEENS1_30default_config_static_selectorELNS0_4arch9wavefront6targetE0EEEvT1_.kd
    .uniform_work_group_size: 1
    .uses_dynamic_stack: false
    .vgpr_count:     0
    .vgpr_spill_count: 0
    .wavefront_size: 32
    .workgroup_processor_mode: 1
  - .args:
      - .offset:         0
        .size:           64
        .value_kind:     by_value
    .group_segment_fixed_size: 0
    .kernarg_segment_align: 8
    .kernarg_segment_size: 64
    .language:       OpenCL C
    .language_version:
      - 2
      - 0
    .max_flat_workgroup_size: 128
    .name:           _ZN7rocprim17ROCPRIM_400000_NS6detail17trampoline_kernelINS0_14default_configENS1_35adjacent_difference_config_selectorILb0ElEEZNS1_24adjacent_difference_implIS3_Lb0ELb0EPlS7_ZN2at6native12_GLOBAL__N_124unique_dim_cuda_templateIN3c108BFloat16EEESt5tupleIJNS8_6TensorESF_SF_EERKSF_lbbbEUlllE1_EE10hipError_tPvRmT2_T3_mT4_P12ihipStream_tbEUlT_E_NS1_11comp_targetILNS1_3genE2ELNS1_11target_archE906ELNS1_3gpuE6ELNS1_3repE0EEENS1_30default_config_static_selectorELNS0_4arch9wavefront6targetE0EEEvT1_
    .private_segment_fixed_size: 0
    .sgpr_count:     0
    .sgpr_spill_count: 0
    .symbol:         _ZN7rocprim17ROCPRIM_400000_NS6detail17trampoline_kernelINS0_14default_configENS1_35adjacent_difference_config_selectorILb0ElEEZNS1_24adjacent_difference_implIS3_Lb0ELb0EPlS7_ZN2at6native12_GLOBAL__N_124unique_dim_cuda_templateIN3c108BFloat16EEESt5tupleIJNS8_6TensorESF_SF_EERKSF_lbbbEUlllE1_EE10hipError_tPvRmT2_T3_mT4_P12ihipStream_tbEUlT_E_NS1_11comp_targetILNS1_3genE2ELNS1_11target_archE906ELNS1_3gpuE6ELNS1_3repE0EEENS1_30default_config_static_selectorELNS0_4arch9wavefront6targetE0EEEvT1_.kd
    .uniform_work_group_size: 1
    .uses_dynamic_stack: false
    .vgpr_count:     0
    .vgpr_spill_count: 0
    .wavefront_size: 32
    .workgroup_processor_mode: 1
  - .args:
      - .offset:         0
        .size:           64
        .value_kind:     by_value
    .group_segment_fixed_size: 8192
    .kernarg_segment_align: 8
    .kernarg_segment_size: 64
    .language:       OpenCL C
    .language_version:
      - 2
      - 0
    .max_flat_workgroup_size: 512
    .name:           _ZN7rocprim17ROCPRIM_400000_NS6detail17trampoline_kernelINS0_14default_configENS1_35adjacent_difference_config_selectorILb0ElEEZNS1_24adjacent_difference_implIS3_Lb0ELb0EPlS7_ZN2at6native12_GLOBAL__N_124unique_dim_cuda_templateIN3c108BFloat16EEESt5tupleIJNS8_6TensorESF_SF_EERKSF_lbbbEUlllE1_EE10hipError_tPvRmT2_T3_mT4_P12ihipStream_tbEUlT_E_NS1_11comp_targetILNS1_3genE9ELNS1_11target_archE1100ELNS1_3gpuE3ELNS1_3repE0EEENS1_30default_config_static_selectorELNS0_4arch9wavefront6targetE0EEEvT1_
    .private_segment_fixed_size: 0
    .sgpr_count:     28
    .sgpr_spill_count: 0
    .symbol:         _ZN7rocprim17ROCPRIM_400000_NS6detail17trampoline_kernelINS0_14default_configENS1_35adjacent_difference_config_selectorILb0ElEEZNS1_24adjacent_difference_implIS3_Lb0ELb0EPlS7_ZN2at6native12_GLOBAL__N_124unique_dim_cuda_templateIN3c108BFloat16EEESt5tupleIJNS8_6TensorESF_SF_EERKSF_lbbbEUlllE1_EE10hipError_tPvRmT2_T3_mT4_P12ihipStream_tbEUlT_E_NS1_11comp_targetILNS1_3genE9ELNS1_11target_archE1100ELNS1_3gpuE3ELNS1_3repE0EEENS1_30default_config_static_selectorELNS0_4arch9wavefront6targetE0EEEvT1_.kd
    .uniform_work_group_size: 1
    .uses_dynamic_stack: false
    .vgpr_count:     13
    .vgpr_spill_count: 0
    .wavefront_size: 32
    .workgroup_processor_mode: 1
  - .args:
      - .offset:         0
        .size:           64
        .value_kind:     by_value
    .group_segment_fixed_size: 0
    .kernarg_segment_align: 8
    .kernarg_segment_size: 64
    .language:       OpenCL C
    .language_version:
      - 2
      - 0
    .max_flat_workgroup_size: 1024
    .name:           _ZN7rocprim17ROCPRIM_400000_NS6detail17trampoline_kernelINS0_14default_configENS1_35adjacent_difference_config_selectorILb0ElEEZNS1_24adjacent_difference_implIS3_Lb0ELb0EPlS7_ZN2at6native12_GLOBAL__N_124unique_dim_cuda_templateIN3c108BFloat16EEESt5tupleIJNS8_6TensorESF_SF_EERKSF_lbbbEUlllE1_EE10hipError_tPvRmT2_T3_mT4_P12ihipStream_tbEUlT_E_NS1_11comp_targetILNS1_3genE8ELNS1_11target_archE1030ELNS1_3gpuE2ELNS1_3repE0EEENS1_30default_config_static_selectorELNS0_4arch9wavefront6targetE0EEEvT1_
    .private_segment_fixed_size: 0
    .sgpr_count:     0
    .sgpr_spill_count: 0
    .symbol:         _ZN7rocprim17ROCPRIM_400000_NS6detail17trampoline_kernelINS0_14default_configENS1_35adjacent_difference_config_selectorILb0ElEEZNS1_24adjacent_difference_implIS3_Lb0ELb0EPlS7_ZN2at6native12_GLOBAL__N_124unique_dim_cuda_templateIN3c108BFloat16EEESt5tupleIJNS8_6TensorESF_SF_EERKSF_lbbbEUlllE1_EE10hipError_tPvRmT2_T3_mT4_P12ihipStream_tbEUlT_E_NS1_11comp_targetILNS1_3genE8ELNS1_11target_archE1030ELNS1_3gpuE2ELNS1_3repE0EEENS1_30default_config_static_selectorELNS0_4arch9wavefront6targetE0EEEvT1_.kd
    .uniform_work_group_size: 1
    .uses_dynamic_stack: false
    .vgpr_count:     0
    .vgpr_spill_count: 0
    .wavefront_size: 32
    .workgroup_processor_mode: 1
  - .args:
      - .offset:         0
        .size:           56
        .value_kind:     by_value
    .group_segment_fixed_size: 0
    .kernarg_segment_align: 8
    .kernarg_segment_size: 56
    .language:       OpenCL C
    .language_version:
      - 2
      - 0
    .max_flat_workgroup_size: 128
    .name:           _ZN7rocprim17ROCPRIM_400000_NS6detail17trampoline_kernelINS0_14default_configENS1_25transform_config_selectorIlLb0EEEZNS1_14transform_implILb0ES3_S5_NS0_18transform_iteratorINS0_17counting_iteratorImlEEZNS1_24adjacent_difference_implIS3_Lb1ELb0EPlSB_ZN2at6native12_GLOBAL__N_124unique_dim_cuda_templateIN3c108BFloat16EEESt5tupleIJNSC_6TensorESJ_SJ_EERKSJ_lbbbEUlllE1_EE10hipError_tPvRmT2_T3_mT4_P12ihipStream_tbEUlmE_lEESB_NS0_8identityIvEEEESO_SR_SS_mST_SV_bEUlT_E_NS1_11comp_targetILNS1_3genE0ELNS1_11target_archE4294967295ELNS1_3gpuE0ELNS1_3repE0EEENS1_30default_config_static_selectorELNS0_4arch9wavefront6targetE0EEEvT1_
    .private_segment_fixed_size: 0
    .sgpr_count:     0
    .sgpr_spill_count: 0
    .symbol:         _ZN7rocprim17ROCPRIM_400000_NS6detail17trampoline_kernelINS0_14default_configENS1_25transform_config_selectorIlLb0EEEZNS1_14transform_implILb0ES3_S5_NS0_18transform_iteratorINS0_17counting_iteratorImlEEZNS1_24adjacent_difference_implIS3_Lb1ELb0EPlSB_ZN2at6native12_GLOBAL__N_124unique_dim_cuda_templateIN3c108BFloat16EEESt5tupleIJNSC_6TensorESJ_SJ_EERKSJ_lbbbEUlllE1_EE10hipError_tPvRmT2_T3_mT4_P12ihipStream_tbEUlmE_lEESB_NS0_8identityIvEEEESO_SR_SS_mST_SV_bEUlT_E_NS1_11comp_targetILNS1_3genE0ELNS1_11target_archE4294967295ELNS1_3gpuE0ELNS1_3repE0EEENS1_30default_config_static_selectorELNS0_4arch9wavefront6targetE0EEEvT1_.kd
    .uniform_work_group_size: 1
    .uses_dynamic_stack: false
    .vgpr_count:     0
    .vgpr_spill_count: 0
    .wavefront_size: 32
    .workgroup_processor_mode: 1
  - .args:
      - .offset:         0
        .size:           56
        .value_kind:     by_value
    .group_segment_fixed_size: 0
    .kernarg_segment_align: 8
    .kernarg_segment_size: 56
    .language:       OpenCL C
    .language_version:
      - 2
      - 0
    .max_flat_workgroup_size: 512
    .name:           _ZN7rocprim17ROCPRIM_400000_NS6detail17trampoline_kernelINS0_14default_configENS1_25transform_config_selectorIlLb0EEEZNS1_14transform_implILb0ES3_S5_NS0_18transform_iteratorINS0_17counting_iteratorImlEEZNS1_24adjacent_difference_implIS3_Lb1ELb0EPlSB_ZN2at6native12_GLOBAL__N_124unique_dim_cuda_templateIN3c108BFloat16EEESt5tupleIJNSC_6TensorESJ_SJ_EERKSJ_lbbbEUlllE1_EE10hipError_tPvRmT2_T3_mT4_P12ihipStream_tbEUlmE_lEESB_NS0_8identityIvEEEESO_SR_SS_mST_SV_bEUlT_E_NS1_11comp_targetILNS1_3genE5ELNS1_11target_archE942ELNS1_3gpuE9ELNS1_3repE0EEENS1_30default_config_static_selectorELNS0_4arch9wavefront6targetE0EEEvT1_
    .private_segment_fixed_size: 0
    .sgpr_count:     0
    .sgpr_spill_count: 0
    .symbol:         _ZN7rocprim17ROCPRIM_400000_NS6detail17trampoline_kernelINS0_14default_configENS1_25transform_config_selectorIlLb0EEEZNS1_14transform_implILb0ES3_S5_NS0_18transform_iteratorINS0_17counting_iteratorImlEEZNS1_24adjacent_difference_implIS3_Lb1ELb0EPlSB_ZN2at6native12_GLOBAL__N_124unique_dim_cuda_templateIN3c108BFloat16EEESt5tupleIJNSC_6TensorESJ_SJ_EERKSJ_lbbbEUlllE1_EE10hipError_tPvRmT2_T3_mT4_P12ihipStream_tbEUlmE_lEESB_NS0_8identityIvEEEESO_SR_SS_mST_SV_bEUlT_E_NS1_11comp_targetILNS1_3genE5ELNS1_11target_archE942ELNS1_3gpuE9ELNS1_3repE0EEENS1_30default_config_static_selectorELNS0_4arch9wavefront6targetE0EEEvT1_.kd
    .uniform_work_group_size: 1
    .uses_dynamic_stack: false
    .vgpr_count:     0
    .vgpr_spill_count: 0
    .wavefront_size: 32
    .workgroup_processor_mode: 1
  - .args:
      - .offset:         0
        .size:           56
        .value_kind:     by_value
    .group_segment_fixed_size: 0
    .kernarg_segment_align: 8
    .kernarg_segment_size: 56
    .language:       OpenCL C
    .language_version:
      - 2
      - 0
    .max_flat_workgroup_size: 256
    .name:           _ZN7rocprim17ROCPRIM_400000_NS6detail17trampoline_kernelINS0_14default_configENS1_25transform_config_selectorIlLb0EEEZNS1_14transform_implILb0ES3_S5_NS0_18transform_iteratorINS0_17counting_iteratorImlEEZNS1_24adjacent_difference_implIS3_Lb1ELb0EPlSB_ZN2at6native12_GLOBAL__N_124unique_dim_cuda_templateIN3c108BFloat16EEESt5tupleIJNSC_6TensorESJ_SJ_EERKSJ_lbbbEUlllE1_EE10hipError_tPvRmT2_T3_mT4_P12ihipStream_tbEUlmE_lEESB_NS0_8identityIvEEEESO_SR_SS_mST_SV_bEUlT_E_NS1_11comp_targetILNS1_3genE4ELNS1_11target_archE910ELNS1_3gpuE8ELNS1_3repE0EEENS1_30default_config_static_selectorELNS0_4arch9wavefront6targetE0EEEvT1_
    .private_segment_fixed_size: 0
    .sgpr_count:     0
    .sgpr_spill_count: 0
    .symbol:         _ZN7rocprim17ROCPRIM_400000_NS6detail17trampoline_kernelINS0_14default_configENS1_25transform_config_selectorIlLb0EEEZNS1_14transform_implILb0ES3_S5_NS0_18transform_iteratorINS0_17counting_iteratorImlEEZNS1_24adjacent_difference_implIS3_Lb1ELb0EPlSB_ZN2at6native12_GLOBAL__N_124unique_dim_cuda_templateIN3c108BFloat16EEESt5tupleIJNSC_6TensorESJ_SJ_EERKSJ_lbbbEUlllE1_EE10hipError_tPvRmT2_T3_mT4_P12ihipStream_tbEUlmE_lEESB_NS0_8identityIvEEEESO_SR_SS_mST_SV_bEUlT_E_NS1_11comp_targetILNS1_3genE4ELNS1_11target_archE910ELNS1_3gpuE8ELNS1_3repE0EEENS1_30default_config_static_selectorELNS0_4arch9wavefront6targetE0EEEvT1_.kd
    .uniform_work_group_size: 1
    .uses_dynamic_stack: false
    .vgpr_count:     0
    .vgpr_spill_count: 0
    .wavefront_size: 32
    .workgroup_processor_mode: 1
  - .args:
      - .offset:         0
        .size:           56
        .value_kind:     by_value
    .group_segment_fixed_size: 0
    .kernarg_segment_align: 8
    .kernarg_segment_size: 56
    .language:       OpenCL C
    .language_version:
      - 2
      - 0
    .max_flat_workgroup_size: 128
    .name:           _ZN7rocprim17ROCPRIM_400000_NS6detail17trampoline_kernelINS0_14default_configENS1_25transform_config_selectorIlLb0EEEZNS1_14transform_implILb0ES3_S5_NS0_18transform_iteratorINS0_17counting_iteratorImlEEZNS1_24adjacent_difference_implIS3_Lb1ELb0EPlSB_ZN2at6native12_GLOBAL__N_124unique_dim_cuda_templateIN3c108BFloat16EEESt5tupleIJNSC_6TensorESJ_SJ_EERKSJ_lbbbEUlllE1_EE10hipError_tPvRmT2_T3_mT4_P12ihipStream_tbEUlmE_lEESB_NS0_8identityIvEEEESO_SR_SS_mST_SV_bEUlT_E_NS1_11comp_targetILNS1_3genE3ELNS1_11target_archE908ELNS1_3gpuE7ELNS1_3repE0EEENS1_30default_config_static_selectorELNS0_4arch9wavefront6targetE0EEEvT1_
    .private_segment_fixed_size: 0
    .sgpr_count:     0
    .sgpr_spill_count: 0
    .symbol:         _ZN7rocprim17ROCPRIM_400000_NS6detail17trampoline_kernelINS0_14default_configENS1_25transform_config_selectorIlLb0EEEZNS1_14transform_implILb0ES3_S5_NS0_18transform_iteratorINS0_17counting_iteratorImlEEZNS1_24adjacent_difference_implIS3_Lb1ELb0EPlSB_ZN2at6native12_GLOBAL__N_124unique_dim_cuda_templateIN3c108BFloat16EEESt5tupleIJNSC_6TensorESJ_SJ_EERKSJ_lbbbEUlllE1_EE10hipError_tPvRmT2_T3_mT4_P12ihipStream_tbEUlmE_lEESB_NS0_8identityIvEEEESO_SR_SS_mST_SV_bEUlT_E_NS1_11comp_targetILNS1_3genE3ELNS1_11target_archE908ELNS1_3gpuE7ELNS1_3repE0EEENS1_30default_config_static_selectorELNS0_4arch9wavefront6targetE0EEEvT1_.kd
    .uniform_work_group_size: 1
    .uses_dynamic_stack: false
    .vgpr_count:     0
    .vgpr_spill_count: 0
    .wavefront_size: 32
    .workgroup_processor_mode: 1
  - .args:
      - .offset:         0
        .size:           56
        .value_kind:     by_value
    .group_segment_fixed_size: 0
    .kernarg_segment_align: 8
    .kernarg_segment_size: 56
    .language:       OpenCL C
    .language_version:
      - 2
      - 0
    .max_flat_workgroup_size: 512
    .name:           _ZN7rocprim17ROCPRIM_400000_NS6detail17trampoline_kernelINS0_14default_configENS1_25transform_config_selectorIlLb0EEEZNS1_14transform_implILb0ES3_S5_NS0_18transform_iteratorINS0_17counting_iteratorImlEEZNS1_24adjacent_difference_implIS3_Lb1ELb0EPlSB_ZN2at6native12_GLOBAL__N_124unique_dim_cuda_templateIN3c108BFloat16EEESt5tupleIJNSC_6TensorESJ_SJ_EERKSJ_lbbbEUlllE1_EE10hipError_tPvRmT2_T3_mT4_P12ihipStream_tbEUlmE_lEESB_NS0_8identityIvEEEESO_SR_SS_mST_SV_bEUlT_E_NS1_11comp_targetILNS1_3genE2ELNS1_11target_archE906ELNS1_3gpuE6ELNS1_3repE0EEENS1_30default_config_static_selectorELNS0_4arch9wavefront6targetE0EEEvT1_
    .private_segment_fixed_size: 0
    .sgpr_count:     0
    .sgpr_spill_count: 0
    .symbol:         _ZN7rocprim17ROCPRIM_400000_NS6detail17trampoline_kernelINS0_14default_configENS1_25transform_config_selectorIlLb0EEEZNS1_14transform_implILb0ES3_S5_NS0_18transform_iteratorINS0_17counting_iteratorImlEEZNS1_24adjacent_difference_implIS3_Lb1ELb0EPlSB_ZN2at6native12_GLOBAL__N_124unique_dim_cuda_templateIN3c108BFloat16EEESt5tupleIJNSC_6TensorESJ_SJ_EERKSJ_lbbbEUlllE1_EE10hipError_tPvRmT2_T3_mT4_P12ihipStream_tbEUlmE_lEESB_NS0_8identityIvEEEESO_SR_SS_mST_SV_bEUlT_E_NS1_11comp_targetILNS1_3genE2ELNS1_11target_archE906ELNS1_3gpuE6ELNS1_3repE0EEENS1_30default_config_static_selectorELNS0_4arch9wavefront6targetE0EEEvT1_.kd
    .uniform_work_group_size: 1
    .uses_dynamic_stack: false
    .vgpr_count:     0
    .vgpr_spill_count: 0
    .wavefront_size: 32
    .workgroup_processor_mode: 1
  - .args:
      - .offset:         0
        .size:           56
        .value_kind:     by_value
    .group_segment_fixed_size: 0
    .kernarg_segment_align: 8
    .kernarg_segment_size: 56
    .language:       OpenCL C
    .language_version:
      - 2
      - 0
    .max_flat_workgroup_size: 1024
    .name:           _ZN7rocprim17ROCPRIM_400000_NS6detail17trampoline_kernelINS0_14default_configENS1_25transform_config_selectorIlLb0EEEZNS1_14transform_implILb0ES3_S5_NS0_18transform_iteratorINS0_17counting_iteratorImlEEZNS1_24adjacent_difference_implIS3_Lb1ELb0EPlSB_ZN2at6native12_GLOBAL__N_124unique_dim_cuda_templateIN3c108BFloat16EEESt5tupleIJNSC_6TensorESJ_SJ_EERKSJ_lbbbEUlllE1_EE10hipError_tPvRmT2_T3_mT4_P12ihipStream_tbEUlmE_lEESB_NS0_8identityIvEEEESO_SR_SS_mST_SV_bEUlT_E_NS1_11comp_targetILNS1_3genE10ELNS1_11target_archE1201ELNS1_3gpuE5ELNS1_3repE0EEENS1_30default_config_static_selectorELNS0_4arch9wavefront6targetE0EEEvT1_
    .private_segment_fixed_size: 0
    .sgpr_count:     0
    .sgpr_spill_count: 0
    .symbol:         _ZN7rocprim17ROCPRIM_400000_NS6detail17trampoline_kernelINS0_14default_configENS1_25transform_config_selectorIlLb0EEEZNS1_14transform_implILb0ES3_S5_NS0_18transform_iteratorINS0_17counting_iteratorImlEEZNS1_24adjacent_difference_implIS3_Lb1ELb0EPlSB_ZN2at6native12_GLOBAL__N_124unique_dim_cuda_templateIN3c108BFloat16EEESt5tupleIJNSC_6TensorESJ_SJ_EERKSJ_lbbbEUlllE1_EE10hipError_tPvRmT2_T3_mT4_P12ihipStream_tbEUlmE_lEESB_NS0_8identityIvEEEESO_SR_SS_mST_SV_bEUlT_E_NS1_11comp_targetILNS1_3genE10ELNS1_11target_archE1201ELNS1_3gpuE5ELNS1_3repE0EEENS1_30default_config_static_selectorELNS0_4arch9wavefront6targetE0EEEvT1_.kd
    .uniform_work_group_size: 1
    .uses_dynamic_stack: false
    .vgpr_count:     0
    .vgpr_spill_count: 0
    .wavefront_size: 32
    .workgroup_processor_mode: 1
  - .args:
      - .offset:         0
        .size:           56
        .value_kind:     by_value
    .group_segment_fixed_size: 0
    .kernarg_segment_align: 8
    .kernarg_segment_size: 56
    .language:       OpenCL C
    .language_version:
      - 2
      - 0
    .max_flat_workgroup_size: 512
    .name:           _ZN7rocprim17ROCPRIM_400000_NS6detail17trampoline_kernelINS0_14default_configENS1_25transform_config_selectorIlLb0EEEZNS1_14transform_implILb0ES3_S5_NS0_18transform_iteratorINS0_17counting_iteratorImlEEZNS1_24adjacent_difference_implIS3_Lb1ELb0EPlSB_ZN2at6native12_GLOBAL__N_124unique_dim_cuda_templateIN3c108BFloat16EEESt5tupleIJNSC_6TensorESJ_SJ_EERKSJ_lbbbEUlllE1_EE10hipError_tPvRmT2_T3_mT4_P12ihipStream_tbEUlmE_lEESB_NS0_8identityIvEEEESO_SR_SS_mST_SV_bEUlT_E_NS1_11comp_targetILNS1_3genE10ELNS1_11target_archE1200ELNS1_3gpuE4ELNS1_3repE0EEENS1_30default_config_static_selectorELNS0_4arch9wavefront6targetE0EEEvT1_
    .private_segment_fixed_size: 0
    .sgpr_count:     0
    .sgpr_spill_count: 0
    .symbol:         _ZN7rocprim17ROCPRIM_400000_NS6detail17trampoline_kernelINS0_14default_configENS1_25transform_config_selectorIlLb0EEEZNS1_14transform_implILb0ES3_S5_NS0_18transform_iteratorINS0_17counting_iteratorImlEEZNS1_24adjacent_difference_implIS3_Lb1ELb0EPlSB_ZN2at6native12_GLOBAL__N_124unique_dim_cuda_templateIN3c108BFloat16EEESt5tupleIJNSC_6TensorESJ_SJ_EERKSJ_lbbbEUlllE1_EE10hipError_tPvRmT2_T3_mT4_P12ihipStream_tbEUlmE_lEESB_NS0_8identityIvEEEESO_SR_SS_mST_SV_bEUlT_E_NS1_11comp_targetILNS1_3genE10ELNS1_11target_archE1200ELNS1_3gpuE4ELNS1_3repE0EEENS1_30default_config_static_selectorELNS0_4arch9wavefront6targetE0EEEvT1_.kd
    .uniform_work_group_size: 1
    .uses_dynamic_stack: false
    .vgpr_count:     0
    .vgpr_spill_count: 0
    .wavefront_size: 32
    .workgroup_processor_mode: 1
  - .args:
      - .offset:         0
        .size:           56
        .value_kind:     by_value
      - .offset:         56
        .size:           4
        .value_kind:     hidden_block_count_x
      - .offset:         60
        .size:           4
        .value_kind:     hidden_block_count_y
      - .offset:         64
        .size:           4
        .value_kind:     hidden_block_count_z
      - .offset:         68
        .size:           2
        .value_kind:     hidden_group_size_x
      - .offset:         70
        .size:           2
        .value_kind:     hidden_group_size_y
      - .offset:         72
        .size:           2
        .value_kind:     hidden_group_size_z
      - .offset:         74
        .size:           2
        .value_kind:     hidden_remainder_x
      - .offset:         76
        .size:           2
        .value_kind:     hidden_remainder_y
      - .offset:         78
        .size:           2
        .value_kind:     hidden_remainder_z
      - .offset:         96
        .size:           8
        .value_kind:     hidden_global_offset_x
      - .offset:         104
        .size:           8
        .value_kind:     hidden_global_offset_y
      - .offset:         112
        .size:           8
        .value_kind:     hidden_global_offset_z
      - .offset:         120
        .size:           2
        .value_kind:     hidden_grid_dims
    .group_segment_fixed_size: 0
    .kernarg_segment_align: 8
    .kernarg_segment_size: 312
    .language:       OpenCL C
    .language_version:
      - 2
      - 0
    .max_flat_workgroup_size: 512
    .name:           _ZN7rocprim17ROCPRIM_400000_NS6detail17trampoline_kernelINS0_14default_configENS1_25transform_config_selectorIlLb0EEEZNS1_14transform_implILb0ES3_S5_NS0_18transform_iteratorINS0_17counting_iteratorImlEEZNS1_24adjacent_difference_implIS3_Lb1ELb0EPlSB_ZN2at6native12_GLOBAL__N_124unique_dim_cuda_templateIN3c108BFloat16EEESt5tupleIJNSC_6TensorESJ_SJ_EERKSJ_lbbbEUlllE1_EE10hipError_tPvRmT2_T3_mT4_P12ihipStream_tbEUlmE_lEESB_NS0_8identityIvEEEESO_SR_SS_mST_SV_bEUlT_E_NS1_11comp_targetILNS1_3genE9ELNS1_11target_archE1100ELNS1_3gpuE3ELNS1_3repE0EEENS1_30default_config_static_selectorELNS0_4arch9wavefront6targetE0EEEvT1_
    .private_segment_fixed_size: 0
    .sgpr_count:     18
    .sgpr_spill_count: 0
    .symbol:         _ZN7rocprim17ROCPRIM_400000_NS6detail17trampoline_kernelINS0_14default_configENS1_25transform_config_selectorIlLb0EEEZNS1_14transform_implILb0ES3_S5_NS0_18transform_iteratorINS0_17counting_iteratorImlEEZNS1_24adjacent_difference_implIS3_Lb1ELb0EPlSB_ZN2at6native12_GLOBAL__N_124unique_dim_cuda_templateIN3c108BFloat16EEESt5tupleIJNSC_6TensorESJ_SJ_EERKSJ_lbbbEUlllE1_EE10hipError_tPvRmT2_T3_mT4_P12ihipStream_tbEUlmE_lEESB_NS0_8identityIvEEEESO_SR_SS_mST_SV_bEUlT_E_NS1_11comp_targetILNS1_3genE9ELNS1_11target_archE1100ELNS1_3gpuE3ELNS1_3repE0EEENS1_30default_config_static_selectorELNS0_4arch9wavefront6targetE0EEEvT1_.kd
    .uniform_work_group_size: 1
    .uses_dynamic_stack: false
    .vgpr_count:     6
    .vgpr_spill_count: 0
    .wavefront_size: 32
    .workgroup_processor_mode: 1
  - .args:
      - .offset:         0
        .size:           56
        .value_kind:     by_value
    .group_segment_fixed_size: 0
    .kernarg_segment_align: 8
    .kernarg_segment_size: 56
    .language:       OpenCL C
    .language_version:
      - 2
      - 0
    .max_flat_workgroup_size: 512
    .name:           _ZN7rocprim17ROCPRIM_400000_NS6detail17trampoline_kernelINS0_14default_configENS1_25transform_config_selectorIlLb0EEEZNS1_14transform_implILb0ES3_S5_NS0_18transform_iteratorINS0_17counting_iteratorImlEEZNS1_24adjacent_difference_implIS3_Lb1ELb0EPlSB_ZN2at6native12_GLOBAL__N_124unique_dim_cuda_templateIN3c108BFloat16EEESt5tupleIJNSC_6TensorESJ_SJ_EERKSJ_lbbbEUlllE1_EE10hipError_tPvRmT2_T3_mT4_P12ihipStream_tbEUlmE_lEESB_NS0_8identityIvEEEESO_SR_SS_mST_SV_bEUlT_E_NS1_11comp_targetILNS1_3genE8ELNS1_11target_archE1030ELNS1_3gpuE2ELNS1_3repE0EEENS1_30default_config_static_selectorELNS0_4arch9wavefront6targetE0EEEvT1_
    .private_segment_fixed_size: 0
    .sgpr_count:     0
    .sgpr_spill_count: 0
    .symbol:         _ZN7rocprim17ROCPRIM_400000_NS6detail17trampoline_kernelINS0_14default_configENS1_25transform_config_selectorIlLb0EEEZNS1_14transform_implILb0ES3_S5_NS0_18transform_iteratorINS0_17counting_iteratorImlEEZNS1_24adjacent_difference_implIS3_Lb1ELb0EPlSB_ZN2at6native12_GLOBAL__N_124unique_dim_cuda_templateIN3c108BFloat16EEESt5tupleIJNSC_6TensorESJ_SJ_EERKSJ_lbbbEUlllE1_EE10hipError_tPvRmT2_T3_mT4_P12ihipStream_tbEUlmE_lEESB_NS0_8identityIvEEEESO_SR_SS_mST_SV_bEUlT_E_NS1_11comp_targetILNS1_3genE8ELNS1_11target_archE1030ELNS1_3gpuE2ELNS1_3repE0EEENS1_30default_config_static_selectorELNS0_4arch9wavefront6targetE0EEEvT1_.kd
    .uniform_work_group_size: 1
    .uses_dynamic_stack: false
    .vgpr_count:     0
    .vgpr_spill_count: 0
    .wavefront_size: 32
    .workgroup_processor_mode: 1
  - .args:
      - .offset:         0
        .size:           64
        .value_kind:     by_value
    .group_segment_fixed_size: 0
    .kernarg_segment_align: 8
    .kernarg_segment_size: 64
    .language:       OpenCL C
    .language_version:
      - 2
      - 0
    .max_flat_workgroup_size: 512
    .name:           _ZN7rocprim17ROCPRIM_400000_NS6detail17trampoline_kernelINS0_14default_configENS1_35adjacent_difference_config_selectorILb1ElEEZNS1_24adjacent_difference_implIS3_Lb1ELb0EPlS7_ZN2at6native12_GLOBAL__N_124unique_dim_cuda_templateIN3c108BFloat16EEESt5tupleIJNS8_6TensorESF_SF_EERKSF_lbbbEUlllE1_EE10hipError_tPvRmT2_T3_mT4_P12ihipStream_tbEUlT_E_NS1_11comp_targetILNS1_3genE0ELNS1_11target_archE4294967295ELNS1_3gpuE0ELNS1_3repE0EEENS1_30default_config_static_selectorELNS0_4arch9wavefront6targetE0EEEvT1_
    .private_segment_fixed_size: 0
    .sgpr_count:     0
    .sgpr_spill_count: 0
    .symbol:         _ZN7rocprim17ROCPRIM_400000_NS6detail17trampoline_kernelINS0_14default_configENS1_35adjacent_difference_config_selectorILb1ElEEZNS1_24adjacent_difference_implIS3_Lb1ELb0EPlS7_ZN2at6native12_GLOBAL__N_124unique_dim_cuda_templateIN3c108BFloat16EEESt5tupleIJNS8_6TensorESF_SF_EERKSF_lbbbEUlllE1_EE10hipError_tPvRmT2_T3_mT4_P12ihipStream_tbEUlT_E_NS1_11comp_targetILNS1_3genE0ELNS1_11target_archE4294967295ELNS1_3gpuE0ELNS1_3repE0EEENS1_30default_config_static_selectorELNS0_4arch9wavefront6targetE0EEEvT1_.kd
    .uniform_work_group_size: 1
    .uses_dynamic_stack: false
    .vgpr_count:     0
    .vgpr_spill_count: 0
    .wavefront_size: 32
    .workgroup_processor_mode: 1
  - .args:
      - .offset:         0
        .size:           64
        .value_kind:     by_value
    .group_segment_fixed_size: 0
    .kernarg_segment_align: 8
    .kernarg_segment_size: 64
    .language:       OpenCL C
    .language_version:
      - 2
      - 0
    .max_flat_workgroup_size: 32
    .name:           _ZN7rocprim17ROCPRIM_400000_NS6detail17trampoline_kernelINS0_14default_configENS1_35adjacent_difference_config_selectorILb1ElEEZNS1_24adjacent_difference_implIS3_Lb1ELb0EPlS7_ZN2at6native12_GLOBAL__N_124unique_dim_cuda_templateIN3c108BFloat16EEESt5tupleIJNS8_6TensorESF_SF_EERKSF_lbbbEUlllE1_EE10hipError_tPvRmT2_T3_mT4_P12ihipStream_tbEUlT_E_NS1_11comp_targetILNS1_3genE10ELNS1_11target_archE1201ELNS1_3gpuE5ELNS1_3repE0EEENS1_30default_config_static_selectorELNS0_4arch9wavefront6targetE0EEEvT1_
    .private_segment_fixed_size: 0
    .sgpr_count:     0
    .sgpr_spill_count: 0
    .symbol:         _ZN7rocprim17ROCPRIM_400000_NS6detail17trampoline_kernelINS0_14default_configENS1_35adjacent_difference_config_selectorILb1ElEEZNS1_24adjacent_difference_implIS3_Lb1ELb0EPlS7_ZN2at6native12_GLOBAL__N_124unique_dim_cuda_templateIN3c108BFloat16EEESt5tupleIJNS8_6TensorESF_SF_EERKSF_lbbbEUlllE1_EE10hipError_tPvRmT2_T3_mT4_P12ihipStream_tbEUlT_E_NS1_11comp_targetILNS1_3genE10ELNS1_11target_archE1201ELNS1_3gpuE5ELNS1_3repE0EEENS1_30default_config_static_selectorELNS0_4arch9wavefront6targetE0EEEvT1_.kd
    .uniform_work_group_size: 1
    .uses_dynamic_stack: false
    .vgpr_count:     0
    .vgpr_spill_count: 0
    .wavefront_size: 32
    .workgroup_processor_mode: 1
  - .args:
      - .offset:         0
        .size:           64
        .value_kind:     by_value
    .group_segment_fixed_size: 0
    .kernarg_segment_align: 8
    .kernarg_segment_size: 64
    .language:       OpenCL C
    .language_version:
      - 2
      - 0
    .max_flat_workgroup_size: 256
    .name:           _ZN7rocprim17ROCPRIM_400000_NS6detail17trampoline_kernelINS0_14default_configENS1_35adjacent_difference_config_selectorILb1ElEEZNS1_24adjacent_difference_implIS3_Lb1ELb0EPlS7_ZN2at6native12_GLOBAL__N_124unique_dim_cuda_templateIN3c108BFloat16EEESt5tupleIJNS8_6TensorESF_SF_EERKSF_lbbbEUlllE1_EE10hipError_tPvRmT2_T3_mT4_P12ihipStream_tbEUlT_E_NS1_11comp_targetILNS1_3genE5ELNS1_11target_archE942ELNS1_3gpuE9ELNS1_3repE0EEENS1_30default_config_static_selectorELNS0_4arch9wavefront6targetE0EEEvT1_
    .private_segment_fixed_size: 0
    .sgpr_count:     0
    .sgpr_spill_count: 0
    .symbol:         _ZN7rocprim17ROCPRIM_400000_NS6detail17trampoline_kernelINS0_14default_configENS1_35adjacent_difference_config_selectorILb1ElEEZNS1_24adjacent_difference_implIS3_Lb1ELb0EPlS7_ZN2at6native12_GLOBAL__N_124unique_dim_cuda_templateIN3c108BFloat16EEESt5tupleIJNS8_6TensorESF_SF_EERKSF_lbbbEUlllE1_EE10hipError_tPvRmT2_T3_mT4_P12ihipStream_tbEUlT_E_NS1_11comp_targetILNS1_3genE5ELNS1_11target_archE942ELNS1_3gpuE9ELNS1_3repE0EEENS1_30default_config_static_selectorELNS0_4arch9wavefront6targetE0EEEvT1_.kd
    .uniform_work_group_size: 1
    .uses_dynamic_stack: false
    .vgpr_count:     0
    .vgpr_spill_count: 0
    .wavefront_size: 32
    .workgroup_processor_mode: 1
  - .args:
      - .offset:         0
        .size:           64
        .value_kind:     by_value
    .group_segment_fixed_size: 0
    .kernarg_segment_align: 8
    .kernarg_segment_size: 64
    .language:       OpenCL C
    .language_version:
      - 2
      - 0
    .max_flat_workgroup_size: 512
    .name:           _ZN7rocprim17ROCPRIM_400000_NS6detail17trampoline_kernelINS0_14default_configENS1_35adjacent_difference_config_selectorILb1ElEEZNS1_24adjacent_difference_implIS3_Lb1ELb0EPlS7_ZN2at6native12_GLOBAL__N_124unique_dim_cuda_templateIN3c108BFloat16EEESt5tupleIJNS8_6TensorESF_SF_EERKSF_lbbbEUlllE1_EE10hipError_tPvRmT2_T3_mT4_P12ihipStream_tbEUlT_E_NS1_11comp_targetILNS1_3genE4ELNS1_11target_archE910ELNS1_3gpuE8ELNS1_3repE0EEENS1_30default_config_static_selectorELNS0_4arch9wavefront6targetE0EEEvT1_
    .private_segment_fixed_size: 0
    .sgpr_count:     0
    .sgpr_spill_count: 0
    .symbol:         _ZN7rocprim17ROCPRIM_400000_NS6detail17trampoline_kernelINS0_14default_configENS1_35adjacent_difference_config_selectorILb1ElEEZNS1_24adjacent_difference_implIS3_Lb1ELb0EPlS7_ZN2at6native12_GLOBAL__N_124unique_dim_cuda_templateIN3c108BFloat16EEESt5tupleIJNS8_6TensorESF_SF_EERKSF_lbbbEUlllE1_EE10hipError_tPvRmT2_T3_mT4_P12ihipStream_tbEUlT_E_NS1_11comp_targetILNS1_3genE4ELNS1_11target_archE910ELNS1_3gpuE8ELNS1_3repE0EEENS1_30default_config_static_selectorELNS0_4arch9wavefront6targetE0EEEvT1_.kd
    .uniform_work_group_size: 1
    .uses_dynamic_stack: false
    .vgpr_count:     0
    .vgpr_spill_count: 0
    .wavefront_size: 32
    .workgroup_processor_mode: 1
  - .args:
      - .offset:         0
        .size:           64
        .value_kind:     by_value
    .group_segment_fixed_size: 0
    .kernarg_segment_align: 8
    .kernarg_segment_size: 64
    .language:       OpenCL C
    .language_version:
      - 2
      - 0
    .max_flat_workgroup_size: 512
    .name:           _ZN7rocprim17ROCPRIM_400000_NS6detail17trampoline_kernelINS0_14default_configENS1_35adjacent_difference_config_selectorILb1ElEEZNS1_24adjacent_difference_implIS3_Lb1ELb0EPlS7_ZN2at6native12_GLOBAL__N_124unique_dim_cuda_templateIN3c108BFloat16EEESt5tupleIJNS8_6TensorESF_SF_EERKSF_lbbbEUlllE1_EE10hipError_tPvRmT2_T3_mT4_P12ihipStream_tbEUlT_E_NS1_11comp_targetILNS1_3genE3ELNS1_11target_archE908ELNS1_3gpuE7ELNS1_3repE0EEENS1_30default_config_static_selectorELNS0_4arch9wavefront6targetE0EEEvT1_
    .private_segment_fixed_size: 0
    .sgpr_count:     0
    .sgpr_spill_count: 0
    .symbol:         _ZN7rocprim17ROCPRIM_400000_NS6detail17trampoline_kernelINS0_14default_configENS1_35adjacent_difference_config_selectorILb1ElEEZNS1_24adjacent_difference_implIS3_Lb1ELb0EPlS7_ZN2at6native12_GLOBAL__N_124unique_dim_cuda_templateIN3c108BFloat16EEESt5tupleIJNS8_6TensorESF_SF_EERKSF_lbbbEUlllE1_EE10hipError_tPvRmT2_T3_mT4_P12ihipStream_tbEUlT_E_NS1_11comp_targetILNS1_3genE3ELNS1_11target_archE908ELNS1_3gpuE7ELNS1_3repE0EEENS1_30default_config_static_selectorELNS0_4arch9wavefront6targetE0EEEvT1_.kd
    .uniform_work_group_size: 1
    .uses_dynamic_stack: false
    .vgpr_count:     0
    .vgpr_spill_count: 0
    .wavefront_size: 32
    .workgroup_processor_mode: 1
  - .args:
      - .offset:         0
        .size:           64
        .value_kind:     by_value
    .group_segment_fixed_size: 0
    .kernarg_segment_align: 8
    .kernarg_segment_size: 64
    .language:       OpenCL C
    .language_version:
      - 2
      - 0
    .max_flat_workgroup_size: 128
    .name:           _ZN7rocprim17ROCPRIM_400000_NS6detail17trampoline_kernelINS0_14default_configENS1_35adjacent_difference_config_selectorILb1ElEEZNS1_24adjacent_difference_implIS3_Lb1ELb0EPlS7_ZN2at6native12_GLOBAL__N_124unique_dim_cuda_templateIN3c108BFloat16EEESt5tupleIJNS8_6TensorESF_SF_EERKSF_lbbbEUlllE1_EE10hipError_tPvRmT2_T3_mT4_P12ihipStream_tbEUlT_E_NS1_11comp_targetILNS1_3genE2ELNS1_11target_archE906ELNS1_3gpuE6ELNS1_3repE0EEENS1_30default_config_static_selectorELNS0_4arch9wavefront6targetE0EEEvT1_
    .private_segment_fixed_size: 0
    .sgpr_count:     0
    .sgpr_spill_count: 0
    .symbol:         _ZN7rocprim17ROCPRIM_400000_NS6detail17trampoline_kernelINS0_14default_configENS1_35adjacent_difference_config_selectorILb1ElEEZNS1_24adjacent_difference_implIS3_Lb1ELb0EPlS7_ZN2at6native12_GLOBAL__N_124unique_dim_cuda_templateIN3c108BFloat16EEESt5tupleIJNS8_6TensorESF_SF_EERKSF_lbbbEUlllE1_EE10hipError_tPvRmT2_T3_mT4_P12ihipStream_tbEUlT_E_NS1_11comp_targetILNS1_3genE2ELNS1_11target_archE906ELNS1_3gpuE6ELNS1_3repE0EEENS1_30default_config_static_selectorELNS0_4arch9wavefront6targetE0EEEvT1_.kd
    .uniform_work_group_size: 1
    .uses_dynamic_stack: false
    .vgpr_count:     0
    .vgpr_spill_count: 0
    .wavefront_size: 32
    .workgroup_processor_mode: 1
  - .args:
      - .offset:         0
        .size:           64
        .value_kind:     by_value
    .group_segment_fixed_size: 29696
    .kernarg_segment_align: 8
    .kernarg_segment_size: 64
    .language:       OpenCL C
    .language_version:
      - 2
      - 0
    .max_flat_workgroup_size: 128
    .name:           _ZN7rocprim17ROCPRIM_400000_NS6detail17trampoline_kernelINS0_14default_configENS1_35adjacent_difference_config_selectorILb1ElEEZNS1_24adjacent_difference_implIS3_Lb1ELb0EPlS7_ZN2at6native12_GLOBAL__N_124unique_dim_cuda_templateIN3c108BFloat16EEESt5tupleIJNS8_6TensorESF_SF_EERKSF_lbbbEUlllE1_EE10hipError_tPvRmT2_T3_mT4_P12ihipStream_tbEUlT_E_NS1_11comp_targetILNS1_3genE9ELNS1_11target_archE1100ELNS1_3gpuE3ELNS1_3repE0EEENS1_30default_config_static_selectorELNS0_4arch9wavefront6targetE0EEEvT1_
    .private_segment_fixed_size: 0
    .sgpr_count:     32
    .sgpr_spill_count: 0
    .symbol:         _ZN7rocprim17ROCPRIM_400000_NS6detail17trampoline_kernelINS0_14default_configENS1_35adjacent_difference_config_selectorILb1ElEEZNS1_24adjacent_difference_implIS3_Lb1ELb0EPlS7_ZN2at6native12_GLOBAL__N_124unique_dim_cuda_templateIN3c108BFloat16EEESt5tupleIJNS8_6TensorESF_SF_EERKSF_lbbbEUlllE1_EE10hipError_tPvRmT2_T3_mT4_P12ihipStream_tbEUlT_E_NS1_11comp_targetILNS1_3genE9ELNS1_11target_archE1100ELNS1_3gpuE3ELNS1_3repE0EEENS1_30default_config_static_selectorELNS0_4arch9wavefront6targetE0EEEvT1_.kd
    .uniform_work_group_size: 1
    .uses_dynamic_stack: false
    .vgpr_count:     196
    .vgpr_spill_count: 0
    .wavefront_size: 32
    .workgroup_processor_mode: 1
  - .args:
      - .offset:         0
        .size:           64
        .value_kind:     by_value
    .group_segment_fixed_size: 0
    .kernarg_segment_align: 8
    .kernarg_segment_size: 64
    .language:       OpenCL C
    .language_version:
      - 2
      - 0
    .max_flat_workgroup_size: 32
    .name:           _ZN7rocprim17ROCPRIM_400000_NS6detail17trampoline_kernelINS0_14default_configENS1_35adjacent_difference_config_selectorILb1ElEEZNS1_24adjacent_difference_implIS3_Lb1ELb0EPlS7_ZN2at6native12_GLOBAL__N_124unique_dim_cuda_templateIN3c108BFloat16EEESt5tupleIJNS8_6TensorESF_SF_EERKSF_lbbbEUlllE1_EE10hipError_tPvRmT2_T3_mT4_P12ihipStream_tbEUlT_E_NS1_11comp_targetILNS1_3genE8ELNS1_11target_archE1030ELNS1_3gpuE2ELNS1_3repE0EEENS1_30default_config_static_selectorELNS0_4arch9wavefront6targetE0EEEvT1_
    .private_segment_fixed_size: 0
    .sgpr_count:     0
    .sgpr_spill_count: 0
    .symbol:         _ZN7rocprim17ROCPRIM_400000_NS6detail17trampoline_kernelINS0_14default_configENS1_35adjacent_difference_config_selectorILb1ElEEZNS1_24adjacent_difference_implIS3_Lb1ELb0EPlS7_ZN2at6native12_GLOBAL__N_124unique_dim_cuda_templateIN3c108BFloat16EEESt5tupleIJNS8_6TensorESF_SF_EERKSF_lbbbEUlllE1_EE10hipError_tPvRmT2_T3_mT4_P12ihipStream_tbEUlT_E_NS1_11comp_targetILNS1_3genE8ELNS1_11target_archE1030ELNS1_3gpuE2ELNS1_3repE0EEENS1_30default_config_static_selectorELNS0_4arch9wavefront6targetE0EEEvT1_.kd
    .uniform_work_group_size: 1
    .uses_dynamic_stack: false
    .vgpr_count:     0
    .vgpr_spill_count: 0
    .wavefront_size: 32
    .workgroup_processor_mode: 1
  - .args:
      - .offset:         0
        .size:           120
        .value_kind:     by_value
    .group_segment_fixed_size: 0
    .kernarg_segment_align: 8
    .kernarg_segment_size: 120
    .language:       OpenCL C
    .language_version:
      - 2
      - 0
    .max_flat_workgroup_size: 512
    .name:           _ZN7rocprim17ROCPRIM_400000_NS6detail17trampoline_kernelINS0_14default_configENS1_25partition_config_selectorILNS1_17partition_subalgoE8ElNS0_10empty_typeEbEEZZNS1_14partition_implILS5_8ELb0ES3_jPlPS6_PKS6_NS0_5tupleIJS9_S6_EEENSD_IJSA_SA_EEENS0_18inequality_wrapperIZN2at6native12_GLOBAL__N_124unique_dim_cuda_templateIN3c108BFloat16EEESt5tupleIJNSH_6TensorESO_SO_EERKSO_lbbbEUlllE0_EEPmJS6_EEE10hipError_tPvRmT3_T4_T5_T6_T7_T9_mT8_P12ihipStream_tbDpT10_ENKUlT_T0_E_clISt17integral_constantIbLb0EES1E_EEDaS19_S1A_EUlS19_E_NS1_11comp_targetILNS1_3genE0ELNS1_11target_archE4294967295ELNS1_3gpuE0ELNS1_3repE0EEENS1_30default_config_static_selectorELNS0_4arch9wavefront6targetE0EEEvT1_
    .private_segment_fixed_size: 0
    .sgpr_count:     0
    .sgpr_spill_count: 0
    .symbol:         _ZN7rocprim17ROCPRIM_400000_NS6detail17trampoline_kernelINS0_14default_configENS1_25partition_config_selectorILNS1_17partition_subalgoE8ElNS0_10empty_typeEbEEZZNS1_14partition_implILS5_8ELb0ES3_jPlPS6_PKS6_NS0_5tupleIJS9_S6_EEENSD_IJSA_SA_EEENS0_18inequality_wrapperIZN2at6native12_GLOBAL__N_124unique_dim_cuda_templateIN3c108BFloat16EEESt5tupleIJNSH_6TensorESO_SO_EERKSO_lbbbEUlllE0_EEPmJS6_EEE10hipError_tPvRmT3_T4_T5_T6_T7_T9_mT8_P12ihipStream_tbDpT10_ENKUlT_T0_E_clISt17integral_constantIbLb0EES1E_EEDaS19_S1A_EUlS19_E_NS1_11comp_targetILNS1_3genE0ELNS1_11target_archE4294967295ELNS1_3gpuE0ELNS1_3repE0EEENS1_30default_config_static_selectorELNS0_4arch9wavefront6targetE0EEEvT1_.kd
    .uniform_work_group_size: 1
    .uses_dynamic_stack: false
    .vgpr_count:     0
    .vgpr_spill_count: 0
    .wavefront_size: 32
    .workgroup_processor_mode: 1
  - .args:
      - .offset:         0
        .size:           120
        .value_kind:     by_value
    .group_segment_fixed_size: 0
    .kernarg_segment_align: 8
    .kernarg_segment_size: 120
    .language:       OpenCL C
    .language_version:
      - 2
      - 0
    .max_flat_workgroup_size: 512
    .name:           _ZN7rocprim17ROCPRIM_400000_NS6detail17trampoline_kernelINS0_14default_configENS1_25partition_config_selectorILNS1_17partition_subalgoE8ElNS0_10empty_typeEbEEZZNS1_14partition_implILS5_8ELb0ES3_jPlPS6_PKS6_NS0_5tupleIJS9_S6_EEENSD_IJSA_SA_EEENS0_18inequality_wrapperIZN2at6native12_GLOBAL__N_124unique_dim_cuda_templateIN3c108BFloat16EEESt5tupleIJNSH_6TensorESO_SO_EERKSO_lbbbEUlllE0_EEPmJS6_EEE10hipError_tPvRmT3_T4_T5_T6_T7_T9_mT8_P12ihipStream_tbDpT10_ENKUlT_T0_E_clISt17integral_constantIbLb0EES1E_EEDaS19_S1A_EUlS19_E_NS1_11comp_targetILNS1_3genE5ELNS1_11target_archE942ELNS1_3gpuE9ELNS1_3repE0EEENS1_30default_config_static_selectorELNS0_4arch9wavefront6targetE0EEEvT1_
    .private_segment_fixed_size: 0
    .sgpr_count:     0
    .sgpr_spill_count: 0
    .symbol:         _ZN7rocprim17ROCPRIM_400000_NS6detail17trampoline_kernelINS0_14default_configENS1_25partition_config_selectorILNS1_17partition_subalgoE8ElNS0_10empty_typeEbEEZZNS1_14partition_implILS5_8ELb0ES3_jPlPS6_PKS6_NS0_5tupleIJS9_S6_EEENSD_IJSA_SA_EEENS0_18inequality_wrapperIZN2at6native12_GLOBAL__N_124unique_dim_cuda_templateIN3c108BFloat16EEESt5tupleIJNSH_6TensorESO_SO_EERKSO_lbbbEUlllE0_EEPmJS6_EEE10hipError_tPvRmT3_T4_T5_T6_T7_T9_mT8_P12ihipStream_tbDpT10_ENKUlT_T0_E_clISt17integral_constantIbLb0EES1E_EEDaS19_S1A_EUlS19_E_NS1_11comp_targetILNS1_3genE5ELNS1_11target_archE942ELNS1_3gpuE9ELNS1_3repE0EEENS1_30default_config_static_selectorELNS0_4arch9wavefront6targetE0EEEvT1_.kd
    .uniform_work_group_size: 1
    .uses_dynamic_stack: false
    .vgpr_count:     0
    .vgpr_spill_count: 0
    .wavefront_size: 32
    .workgroup_processor_mode: 1
  - .args:
      - .offset:         0
        .size:           120
        .value_kind:     by_value
    .group_segment_fixed_size: 0
    .kernarg_segment_align: 8
    .kernarg_segment_size: 120
    .language:       OpenCL C
    .language_version:
      - 2
      - 0
    .max_flat_workgroup_size: 256
    .name:           _ZN7rocprim17ROCPRIM_400000_NS6detail17trampoline_kernelINS0_14default_configENS1_25partition_config_selectorILNS1_17partition_subalgoE8ElNS0_10empty_typeEbEEZZNS1_14partition_implILS5_8ELb0ES3_jPlPS6_PKS6_NS0_5tupleIJS9_S6_EEENSD_IJSA_SA_EEENS0_18inequality_wrapperIZN2at6native12_GLOBAL__N_124unique_dim_cuda_templateIN3c108BFloat16EEESt5tupleIJNSH_6TensorESO_SO_EERKSO_lbbbEUlllE0_EEPmJS6_EEE10hipError_tPvRmT3_T4_T5_T6_T7_T9_mT8_P12ihipStream_tbDpT10_ENKUlT_T0_E_clISt17integral_constantIbLb0EES1E_EEDaS19_S1A_EUlS19_E_NS1_11comp_targetILNS1_3genE4ELNS1_11target_archE910ELNS1_3gpuE8ELNS1_3repE0EEENS1_30default_config_static_selectorELNS0_4arch9wavefront6targetE0EEEvT1_
    .private_segment_fixed_size: 0
    .sgpr_count:     0
    .sgpr_spill_count: 0
    .symbol:         _ZN7rocprim17ROCPRIM_400000_NS6detail17trampoline_kernelINS0_14default_configENS1_25partition_config_selectorILNS1_17partition_subalgoE8ElNS0_10empty_typeEbEEZZNS1_14partition_implILS5_8ELb0ES3_jPlPS6_PKS6_NS0_5tupleIJS9_S6_EEENSD_IJSA_SA_EEENS0_18inequality_wrapperIZN2at6native12_GLOBAL__N_124unique_dim_cuda_templateIN3c108BFloat16EEESt5tupleIJNSH_6TensorESO_SO_EERKSO_lbbbEUlllE0_EEPmJS6_EEE10hipError_tPvRmT3_T4_T5_T6_T7_T9_mT8_P12ihipStream_tbDpT10_ENKUlT_T0_E_clISt17integral_constantIbLb0EES1E_EEDaS19_S1A_EUlS19_E_NS1_11comp_targetILNS1_3genE4ELNS1_11target_archE910ELNS1_3gpuE8ELNS1_3repE0EEENS1_30default_config_static_selectorELNS0_4arch9wavefront6targetE0EEEvT1_.kd
    .uniform_work_group_size: 1
    .uses_dynamic_stack: false
    .vgpr_count:     0
    .vgpr_spill_count: 0
    .wavefront_size: 32
    .workgroup_processor_mode: 1
  - .args:
      - .offset:         0
        .size:           120
        .value_kind:     by_value
    .group_segment_fixed_size: 0
    .kernarg_segment_align: 8
    .kernarg_segment_size: 120
    .language:       OpenCL C
    .language_version:
      - 2
      - 0
    .max_flat_workgroup_size: 512
    .name:           _ZN7rocprim17ROCPRIM_400000_NS6detail17trampoline_kernelINS0_14default_configENS1_25partition_config_selectorILNS1_17partition_subalgoE8ElNS0_10empty_typeEbEEZZNS1_14partition_implILS5_8ELb0ES3_jPlPS6_PKS6_NS0_5tupleIJS9_S6_EEENSD_IJSA_SA_EEENS0_18inequality_wrapperIZN2at6native12_GLOBAL__N_124unique_dim_cuda_templateIN3c108BFloat16EEESt5tupleIJNSH_6TensorESO_SO_EERKSO_lbbbEUlllE0_EEPmJS6_EEE10hipError_tPvRmT3_T4_T5_T6_T7_T9_mT8_P12ihipStream_tbDpT10_ENKUlT_T0_E_clISt17integral_constantIbLb0EES1E_EEDaS19_S1A_EUlS19_E_NS1_11comp_targetILNS1_3genE3ELNS1_11target_archE908ELNS1_3gpuE7ELNS1_3repE0EEENS1_30default_config_static_selectorELNS0_4arch9wavefront6targetE0EEEvT1_
    .private_segment_fixed_size: 0
    .sgpr_count:     0
    .sgpr_spill_count: 0
    .symbol:         _ZN7rocprim17ROCPRIM_400000_NS6detail17trampoline_kernelINS0_14default_configENS1_25partition_config_selectorILNS1_17partition_subalgoE8ElNS0_10empty_typeEbEEZZNS1_14partition_implILS5_8ELb0ES3_jPlPS6_PKS6_NS0_5tupleIJS9_S6_EEENSD_IJSA_SA_EEENS0_18inequality_wrapperIZN2at6native12_GLOBAL__N_124unique_dim_cuda_templateIN3c108BFloat16EEESt5tupleIJNSH_6TensorESO_SO_EERKSO_lbbbEUlllE0_EEPmJS6_EEE10hipError_tPvRmT3_T4_T5_T6_T7_T9_mT8_P12ihipStream_tbDpT10_ENKUlT_T0_E_clISt17integral_constantIbLb0EES1E_EEDaS19_S1A_EUlS19_E_NS1_11comp_targetILNS1_3genE3ELNS1_11target_archE908ELNS1_3gpuE7ELNS1_3repE0EEENS1_30default_config_static_selectorELNS0_4arch9wavefront6targetE0EEEvT1_.kd
    .uniform_work_group_size: 1
    .uses_dynamic_stack: false
    .vgpr_count:     0
    .vgpr_spill_count: 0
    .wavefront_size: 32
    .workgroup_processor_mode: 1
  - .args:
      - .offset:         0
        .size:           120
        .value_kind:     by_value
    .group_segment_fixed_size: 0
    .kernarg_segment_align: 8
    .kernarg_segment_size: 120
    .language:       OpenCL C
    .language_version:
      - 2
      - 0
    .max_flat_workgroup_size: 256
    .name:           _ZN7rocprim17ROCPRIM_400000_NS6detail17trampoline_kernelINS0_14default_configENS1_25partition_config_selectorILNS1_17partition_subalgoE8ElNS0_10empty_typeEbEEZZNS1_14partition_implILS5_8ELb0ES3_jPlPS6_PKS6_NS0_5tupleIJS9_S6_EEENSD_IJSA_SA_EEENS0_18inequality_wrapperIZN2at6native12_GLOBAL__N_124unique_dim_cuda_templateIN3c108BFloat16EEESt5tupleIJNSH_6TensorESO_SO_EERKSO_lbbbEUlllE0_EEPmJS6_EEE10hipError_tPvRmT3_T4_T5_T6_T7_T9_mT8_P12ihipStream_tbDpT10_ENKUlT_T0_E_clISt17integral_constantIbLb0EES1E_EEDaS19_S1A_EUlS19_E_NS1_11comp_targetILNS1_3genE2ELNS1_11target_archE906ELNS1_3gpuE6ELNS1_3repE0EEENS1_30default_config_static_selectorELNS0_4arch9wavefront6targetE0EEEvT1_
    .private_segment_fixed_size: 0
    .sgpr_count:     0
    .sgpr_spill_count: 0
    .symbol:         _ZN7rocprim17ROCPRIM_400000_NS6detail17trampoline_kernelINS0_14default_configENS1_25partition_config_selectorILNS1_17partition_subalgoE8ElNS0_10empty_typeEbEEZZNS1_14partition_implILS5_8ELb0ES3_jPlPS6_PKS6_NS0_5tupleIJS9_S6_EEENSD_IJSA_SA_EEENS0_18inequality_wrapperIZN2at6native12_GLOBAL__N_124unique_dim_cuda_templateIN3c108BFloat16EEESt5tupleIJNSH_6TensorESO_SO_EERKSO_lbbbEUlllE0_EEPmJS6_EEE10hipError_tPvRmT3_T4_T5_T6_T7_T9_mT8_P12ihipStream_tbDpT10_ENKUlT_T0_E_clISt17integral_constantIbLb0EES1E_EEDaS19_S1A_EUlS19_E_NS1_11comp_targetILNS1_3genE2ELNS1_11target_archE906ELNS1_3gpuE6ELNS1_3repE0EEENS1_30default_config_static_selectorELNS0_4arch9wavefront6targetE0EEEvT1_.kd
    .uniform_work_group_size: 1
    .uses_dynamic_stack: false
    .vgpr_count:     0
    .vgpr_spill_count: 0
    .wavefront_size: 32
    .workgroup_processor_mode: 1
  - .args:
      - .offset:         0
        .size:           120
        .value_kind:     by_value
    .group_segment_fixed_size: 0
    .kernarg_segment_align: 8
    .kernarg_segment_size: 120
    .language:       OpenCL C
    .language_version:
      - 2
      - 0
    .max_flat_workgroup_size: 384
    .name:           _ZN7rocprim17ROCPRIM_400000_NS6detail17trampoline_kernelINS0_14default_configENS1_25partition_config_selectorILNS1_17partition_subalgoE8ElNS0_10empty_typeEbEEZZNS1_14partition_implILS5_8ELb0ES3_jPlPS6_PKS6_NS0_5tupleIJS9_S6_EEENSD_IJSA_SA_EEENS0_18inequality_wrapperIZN2at6native12_GLOBAL__N_124unique_dim_cuda_templateIN3c108BFloat16EEESt5tupleIJNSH_6TensorESO_SO_EERKSO_lbbbEUlllE0_EEPmJS6_EEE10hipError_tPvRmT3_T4_T5_T6_T7_T9_mT8_P12ihipStream_tbDpT10_ENKUlT_T0_E_clISt17integral_constantIbLb0EES1E_EEDaS19_S1A_EUlS19_E_NS1_11comp_targetILNS1_3genE10ELNS1_11target_archE1200ELNS1_3gpuE4ELNS1_3repE0EEENS1_30default_config_static_selectorELNS0_4arch9wavefront6targetE0EEEvT1_
    .private_segment_fixed_size: 0
    .sgpr_count:     0
    .sgpr_spill_count: 0
    .symbol:         _ZN7rocprim17ROCPRIM_400000_NS6detail17trampoline_kernelINS0_14default_configENS1_25partition_config_selectorILNS1_17partition_subalgoE8ElNS0_10empty_typeEbEEZZNS1_14partition_implILS5_8ELb0ES3_jPlPS6_PKS6_NS0_5tupleIJS9_S6_EEENSD_IJSA_SA_EEENS0_18inequality_wrapperIZN2at6native12_GLOBAL__N_124unique_dim_cuda_templateIN3c108BFloat16EEESt5tupleIJNSH_6TensorESO_SO_EERKSO_lbbbEUlllE0_EEPmJS6_EEE10hipError_tPvRmT3_T4_T5_T6_T7_T9_mT8_P12ihipStream_tbDpT10_ENKUlT_T0_E_clISt17integral_constantIbLb0EES1E_EEDaS19_S1A_EUlS19_E_NS1_11comp_targetILNS1_3genE10ELNS1_11target_archE1200ELNS1_3gpuE4ELNS1_3repE0EEENS1_30default_config_static_selectorELNS0_4arch9wavefront6targetE0EEEvT1_.kd
    .uniform_work_group_size: 1
    .uses_dynamic_stack: false
    .vgpr_count:     0
    .vgpr_spill_count: 0
    .wavefront_size: 32
    .workgroup_processor_mode: 1
  - .args:
      - .offset:         0
        .size:           120
        .value_kind:     by_value
    .group_segment_fixed_size: 33804
    .kernarg_segment_align: 8
    .kernarg_segment_size: 120
    .language:       OpenCL C
    .language_version:
      - 2
      - 0
    .max_flat_workgroup_size: 512
    .name:           _ZN7rocprim17ROCPRIM_400000_NS6detail17trampoline_kernelINS0_14default_configENS1_25partition_config_selectorILNS1_17partition_subalgoE8ElNS0_10empty_typeEbEEZZNS1_14partition_implILS5_8ELb0ES3_jPlPS6_PKS6_NS0_5tupleIJS9_S6_EEENSD_IJSA_SA_EEENS0_18inequality_wrapperIZN2at6native12_GLOBAL__N_124unique_dim_cuda_templateIN3c108BFloat16EEESt5tupleIJNSH_6TensorESO_SO_EERKSO_lbbbEUlllE0_EEPmJS6_EEE10hipError_tPvRmT3_T4_T5_T6_T7_T9_mT8_P12ihipStream_tbDpT10_ENKUlT_T0_E_clISt17integral_constantIbLb0EES1E_EEDaS19_S1A_EUlS19_E_NS1_11comp_targetILNS1_3genE9ELNS1_11target_archE1100ELNS1_3gpuE3ELNS1_3repE0EEENS1_30default_config_static_selectorELNS0_4arch9wavefront6targetE0EEEvT1_
    .private_segment_fixed_size: 0
    .sgpr_count:     38
    .sgpr_spill_count: 0
    .symbol:         _ZN7rocprim17ROCPRIM_400000_NS6detail17trampoline_kernelINS0_14default_configENS1_25partition_config_selectorILNS1_17partition_subalgoE8ElNS0_10empty_typeEbEEZZNS1_14partition_implILS5_8ELb0ES3_jPlPS6_PKS6_NS0_5tupleIJS9_S6_EEENSD_IJSA_SA_EEENS0_18inequality_wrapperIZN2at6native12_GLOBAL__N_124unique_dim_cuda_templateIN3c108BFloat16EEESt5tupleIJNSH_6TensorESO_SO_EERKSO_lbbbEUlllE0_EEPmJS6_EEE10hipError_tPvRmT3_T4_T5_T6_T7_T9_mT8_P12ihipStream_tbDpT10_ENKUlT_T0_E_clISt17integral_constantIbLb0EES1E_EEDaS19_S1A_EUlS19_E_NS1_11comp_targetILNS1_3genE9ELNS1_11target_archE1100ELNS1_3gpuE3ELNS1_3repE0EEENS1_30default_config_static_selectorELNS0_4arch9wavefront6targetE0EEEvT1_.kd
    .uniform_work_group_size: 1
    .uses_dynamic_stack: false
    .vgpr_count:     52
    .vgpr_spill_count: 0
    .wavefront_size: 32
    .workgroup_processor_mode: 1
  - .args:
      - .offset:         0
        .size:           120
        .value_kind:     by_value
    .group_segment_fixed_size: 0
    .kernarg_segment_align: 8
    .kernarg_segment_size: 120
    .language:       OpenCL C
    .language_version:
      - 2
      - 0
    .max_flat_workgroup_size: 512
    .name:           _ZN7rocprim17ROCPRIM_400000_NS6detail17trampoline_kernelINS0_14default_configENS1_25partition_config_selectorILNS1_17partition_subalgoE8ElNS0_10empty_typeEbEEZZNS1_14partition_implILS5_8ELb0ES3_jPlPS6_PKS6_NS0_5tupleIJS9_S6_EEENSD_IJSA_SA_EEENS0_18inequality_wrapperIZN2at6native12_GLOBAL__N_124unique_dim_cuda_templateIN3c108BFloat16EEESt5tupleIJNSH_6TensorESO_SO_EERKSO_lbbbEUlllE0_EEPmJS6_EEE10hipError_tPvRmT3_T4_T5_T6_T7_T9_mT8_P12ihipStream_tbDpT10_ENKUlT_T0_E_clISt17integral_constantIbLb0EES1E_EEDaS19_S1A_EUlS19_E_NS1_11comp_targetILNS1_3genE8ELNS1_11target_archE1030ELNS1_3gpuE2ELNS1_3repE0EEENS1_30default_config_static_selectorELNS0_4arch9wavefront6targetE0EEEvT1_
    .private_segment_fixed_size: 0
    .sgpr_count:     0
    .sgpr_spill_count: 0
    .symbol:         _ZN7rocprim17ROCPRIM_400000_NS6detail17trampoline_kernelINS0_14default_configENS1_25partition_config_selectorILNS1_17partition_subalgoE8ElNS0_10empty_typeEbEEZZNS1_14partition_implILS5_8ELb0ES3_jPlPS6_PKS6_NS0_5tupleIJS9_S6_EEENSD_IJSA_SA_EEENS0_18inequality_wrapperIZN2at6native12_GLOBAL__N_124unique_dim_cuda_templateIN3c108BFloat16EEESt5tupleIJNSH_6TensorESO_SO_EERKSO_lbbbEUlllE0_EEPmJS6_EEE10hipError_tPvRmT3_T4_T5_T6_T7_T9_mT8_P12ihipStream_tbDpT10_ENKUlT_T0_E_clISt17integral_constantIbLb0EES1E_EEDaS19_S1A_EUlS19_E_NS1_11comp_targetILNS1_3genE8ELNS1_11target_archE1030ELNS1_3gpuE2ELNS1_3repE0EEENS1_30default_config_static_selectorELNS0_4arch9wavefront6targetE0EEEvT1_.kd
    .uniform_work_group_size: 1
    .uses_dynamic_stack: false
    .vgpr_count:     0
    .vgpr_spill_count: 0
    .wavefront_size: 32
    .workgroup_processor_mode: 1
  - .args:
      - .offset:         0
        .size:           136
        .value_kind:     by_value
    .group_segment_fixed_size: 0
    .kernarg_segment_align: 8
    .kernarg_segment_size: 136
    .language:       OpenCL C
    .language_version:
      - 2
      - 0
    .max_flat_workgroup_size: 512
    .name:           _ZN7rocprim17ROCPRIM_400000_NS6detail17trampoline_kernelINS0_14default_configENS1_25partition_config_selectorILNS1_17partition_subalgoE8ElNS0_10empty_typeEbEEZZNS1_14partition_implILS5_8ELb0ES3_jPlPS6_PKS6_NS0_5tupleIJS9_S6_EEENSD_IJSA_SA_EEENS0_18inequality_wrapperIZN2at6native12_GLOBAL__N_124unique_dim_cuda_templateIN3c108BFloat16EEESt5tupleIJNSH_6TensorESO_SO_EERKSO_lbbbEUlllE0_EEPmJS6_EEE10hipError_tPvRmT3_T4_T5_T6_T7_T9_mT8_P12ihipStream_tbDpT10_ENKUlT_T0_E_clISt17integral_constantIbLb1EES1E_EEDaS19_S1A_EUlS19_E_NS1_11comp_targetILNS1_3genE0ELNS1_11target_archE4294967295ELNS1_3gpuE0ELNS1_3repE0EEENS1_30default_config_static_selectorELNS0_4arch9wavefront6targetE0EEEvT1_
    .private_segment_fixed_size: 0
    .sgpr_count:     0
    .sgpr_spill_count: 0
    .symbol:         _ZN7rocprim17ROCPRIM_400000_NS6detail17trampoline_kernelINS0_14default_configENS1_25partition_config_selectorILNS1_17partition_subalgoE8ElNS0_10empty_typeEbEEZZNS1_14partition_implILS5_8ELb0ES3_jPlPS6_PKS6_NS0_5tupleIJS9_S6_EEENSD_IJSA_SA_EEENS0_18inequality_wrapperIZN2at6native12_GLOBAL__N_124unique_dim_cuda_templateIN3c108BFloat16EEESt5tupleIJNSH_6TensorESO_SO_EERKSO_lbbbEUlllE0_EEPmJS6_EEE10hipError_tPvRmT3_T4_T5_T6_T7_T9_mT8_P12ihipStream_tbDpT10_ENKUlT_T0_E_clISt17integral_constantIbLb1EES1E_EEDaS19_S1A_EUlS19_E_NS1_11comp_targetILNS1_3genE0ELNS1_11target_archE4294967295ELNS1_3gpuE0ELNS1_3repE0EEENS1_30default_config_static_selectorELNS0_4arch9wavefront6targetE0EEEvT1_.kd
    .uniform_work_group_size: 1
    .uses_dynamic_stack: false
    .vgpr_count:     0
    .vgpr_spill_count: 0
    .wavefront_size: 32
    .workgroup_processor_mode: 1
  - .args:
      - .offset:         0
        .size:           136
        .value_kind:     by_value
    .group_segment_fixed_size: 0
    .kernarg_segment_align: 8
    .kernarg_segment_size: 136
    .language:       OpenCL C
    .language_version:
      - 2
      - 0
    .max_flat_workgroup_size: 512
    .name:           _ZN7rocprim17ROCPRIM_400000_NS6detail17trampoline_kernelINS0_14default_configENS1_25partition_config_selectorILNS1_17partition_subalgoE8ElNS0_10empty_typeEbEEZZNS1_14partition_implILS5_8ELb0ES3_jPlPS6_PKS6_NS0_5tupleIJS9_S6_EEENSD_IJSA_SA_EEENS0_18inequality_wrapperIZN2at6native12_GLOBAL__N_124unique_dim_cuda_templateIN3c108BFloat16EEESt5tupleIJNSH_6TensorESO_SO_EERKSO_lbbbEUlllE0_EEPmJS6_EEE10hipError_tPvRmT3_T4_T5_T6_T7_T9_mT8_P12ihipStream_tbDpT10_ENKUlT_T0_E_clISt17integral_constantIbLb1EES1E_EEDaS19_S1A_EUlS19_E_NS1_11comp_targetILNS1_3genE5ELNS1_11target_archE942ELNS1_3gpuE9ELNS1_3repE0EEENS1_30default_config_static_selectorELNS0_4arch9wavefront6targetE0EEEvT1_
    .private_segment_fixed_size: 0
    .sgpr_count:     0
    .sgpr_spill_count: 0
    .symbol:         _ZN7rocprim17ROCPRIM_400000_NS6detail17trampoline_kernelINS0_14default_configENS1_25partition_config_selectorILNS1_17partition_subalgoE8ElNS0_10empty_typeEbEEZZNS1_14partition_implILS5_8ELb0ES3_jPlPS6_PKS6_NS0_5tupleIJS9_S6_EEENSD_IJSA_SA_EEENS0_18inequality_wrapperIZN2at6native12_GLOBAL__N_124unique_dim_cuda_templateIN3c108BFloat16EEESt5tupleIJNSH_6TensorESO_SO_EERKSO_lbbbEUlllE0_EEPmJS6_EEE10hipError_tPvRmT3_T4_T5_T6_T7_T9_mT8_P12ihipStream_tbDpT10_ENKUlT_T0_E_clISt17integral_constantIbLb1EES1E_EEDaS19_S1A_EUlS19_E_NS1_11comp_targetILNS1_3genE5ELNS1_11target_archE942ELNS1_3gpuE9ELNS1_3repE0EEENS1_30default_config_static_selectorELNS0_4arch9wavefront6targetE0EEEvT1_.kd
    .uniform_work_group_size: 1
    .uses_dynamic_stack: false
    .vgpr_count:     0
    .vgpr_spill_count: 0
    .wavefront_size: 32
    .workgroup_processor_mode: 1
  - .args:
      - .offset:         0
        .size:           136
        .value_kind:     by_value
    .group_segment_fixed_size: 0
    .kernarg_segment_align: 8
    .kernarg_segment_size: 136
    .language:       OpenCL C
    .language_version:
      - 2
      - 0
    .max_flat_workgroup_size: 256
    .name:           _ZN7rocprim17ROCPRIM_400000_NS6detail17trampoline_kernelINS0_14default_configENS1_25partition_config_selectorILNS1_17partition_subalgoE8ElNS0_10empty_typeEbEEZZNS1_14partition_implILS5_8ELb0ES3_jPlPS6_PKS6_NS0_5tupleIJS9_S6_EEENSD_IJSA_SA_EEENS0_18inequality_wrapperIZN2at6native12_GLOBAL__N_124unique_dim_cuda_templateIN3c108BFloat16EEESt5tupleIJNSH_6TensorESO_SO_EERKSO_lbbbEUlllE0_EEPmJS6_EEE10hipError_tPvRmT3_T4_T5_T6_T7_T9_mT8_P12ihipStream_tbDpT10_ENKUlT_T0_E_clISt17integral_constantIbLb1EES1E_EEDaS19_S1A_EUlS19_E_NS1_11comp_targetILNS1_3genE4ELNS1_11target_archE910ELNS1_3gpuE8ELNS1_3repE0EEENS1_30default_config_static_selectorELNS0_4arch9wavefront6targetE0EEEvT1_
    .private_segment_fixed_size: 0
    .sgpr_count:     0
    .sgpr_spill_count: 0
    .symbol:         _ZN7rocprim17ROCPRIM_400000_NS6detail17trampoline_kernelINS0_14default_configENS1_25partition_config_selectorILNS1_17partition_subalgoE8ElNS0_10empty_typeEbEEZZNS1_14partition_implILS5_8ELb0ES3_jPlPS6_PKS6_NS0_5tupleIJS9_S6_EEENSD_IJSA_SA_EEENS0_18inequality_wrapperIZN2at6native12_GLOBAL__N_124unique_dim_cuda_templateIN3c108BFloat16EEESt5tupleIJNSH_6TensorESO_SO_EERKSO_lbbbEUlllE0_EEPmJS6_EEE10hipError_tPvRmT3_T4_T5_T6_T7_T9_mT8_P12ihipStream_tbDpT10_ENKUlT_T0_E_clISt17integral_constantIbLb1EES1E_EEDaS19_S1A_EUlS19_E_NS1_11comp_targetILNS1_3genE4ELNS1_11target_archE910ELNS1_3gpuE8ELNS1_3repE0EEENS1_30default_config_static_selectorELNS0_4arch9wavefront6targetE0EEEvT1_.kd
    .uniform_work_group_size: 1
    .uses_dynamic_stack: false
    .vgpr_count:     0
    .vgpr_spill_count: 0
    .wavefront_size: 32
    .workgroup_processor_mode: 1
  - .args:
      - .offset:         0
        .size:           136
        .value_kind:     by_value
    .group_segment_fixed_size: 0
    .kernarg_segment_align: 8
    .kernarg_segment_size: 136
    .language:       OpenCL C
    .language_version:
      - 2
      - 0
    .max_flat_workgroup_size: 512
    .name:           _ZN7rocprim17ROCPRIM_400000_NS6detail17trampoline_kernelINS0_14default_configENS1_25partition_config_selectorILNS1_17partition_subalgoE8ElNS0_10empty_typeEbEEZZNS1_14partition_implILS5_8ELb0ES3_jPlPS6_PKS6_NS0_5tupleIJS9_S6_EEENSD_IJSA_SA_EEENS0_18inequality_wrapperIZN2at6native12_GLOBAL__N_124unique_dim_cuda_templateIN3c108BFloat16EEESt5tupleIJNSH_6TensorESO_SO_EERKSO_lbbbEUlllE0_EEPmJS6_EEE10hipError_tPvRmT3_T4_T5_T6_T7_T9_mT8_P12ihipStream_tbDpT10_ENKUlT_T0_E_clISt17integral_constantIbLb1EES1E_EEDaS19_S1A_EUlS19_E_NS1_11comp_targetILNS1_3genE3ELNS1_11target_archE908ELNS1_3gpuE7ELNS1_3repE0EEENS1_30default_config_static_selectorELNS0_4arch9wavefront6targetE0EEEvT1_
    .private_segment_fixed_size: 0
    .sgpr_count:     0
    .sgpr_spill_count: 0
    .symbol:         _ZN7rocprim17ROCPRIM_400000_NS6detail17trampoline_kernelINS0_14default_configENS1_25partition_config_selectorILNS1_17partition_subalgoE8ElNS0_10empty_typeEbEEZZNS1_14partition_implILS5_8ELb0ES3_jPlPS6_PKS6_NS0_5tupleIJS9_S6_EEENSD_IJSA_SA_EEENS0_18inequality_wrapperIZN2at6native12_GLOBAL__N_124unique_dim_cuda_templateIN3c108BFloat16EEESt5tupleIJNSH_6TensorESO_SO_EERKSO_lbbbEUlllE0_EEPmJS6_EEE10hipError_tPvRmT3_T4_T5_T6_T7_T9_mT8_P12ihipStream_tbDpT10_ENKUlT_T0_E_clISt17integral_constantIbLb1EES1E_EEDaS19_S1A_EUlS19_E_NS1_11comp_targetILNS1_3genE3ELNS1_11target_archE908ELNS1_3gpuE7ELNS1_3repE0EEENS1_30default_config_static_selectorELNS0_4arch9wavefront6targetE0EEEvT1_.kd
    .uniform_work_group_size: 1
    .uses_dynamic_stack: false
    .vgpr_count:     0
    .vgpr_spill_count: 0
    .wavefront_size: 32
    .workgroup_processor_mode: 1
  - .args:
      - .offset:         0
        .size:           136
        .value_kind:     by_value
    .group_segment_fixed_size: 0
    .kernarg_segment_align: 8
    .kernarg_segment_size: 136
    .language:       OpenCL C
    .language_version:
      - 2
      - 0
    .max_flat_workgroup_size: 256
    .name:           _ZN7rocprim17ROCPRIM_400000_NS6detail17trampoline_kernelINS0_14default_configENS1_25partition_config_selectorILNS1_17partition_subalgoE8ElNS0_10empty_typeEbEEZZNS1_14partition_implILS5_8ELb0ES3_jPlPS6_PKS6_NS0_5tupleIJS9_S6_EEENSD_IJSA_SA_EEENS0_18inequality_wrapperIZN2at6native12_GLOBAL__N_124unique_dim_cuda_templateIN3c108BFloat16EEESt5tupleIJNSH_6TensorESO_SO_EERKSO_lbbbEUlllE0_EEPmJS6_EEE10hipError_tPvRmT3_T4_T5_T6_T7_T9_mT8_P12ihipStream_tbDpT10_ENKUlT_T0_E_clISt17integral_constantIbLb1EES1E_EEDaS19_S1A_EUlS19_E_NS1_11comp_targetILNS1_3genE2ELNS1_11target_archE906ELNS1_3gpuE6ELNS1_3repE0EEENS1_30default_config_static_selectorELNS0_4arch9wavefront6targetE0EEEvT1_
    .private_segment_fixed_size: 0
    .sgpr_count:     0
    .sgpr_spill_count: 0
    .symbol:         _ZN7rocprim17ROCPRIM_400000_NS6detail17trampoline_kernelINS0_14default_configENS1_25partition_config_selectorILNS1_17partition_subalgoE8ElNS0_10empty_typeEbEEZZNS1_14partition_implILS5_8ELb0ES3_jPlPS6_PKS6_NS0_5tupleIJS9_S6_EEENSD_IJSA_SA_EEENS0_18inequality_wrapperIZN2at6native12_GLOBAL__N_124unique_dim_cuda_templateIN3c108BFloat16EEESt5tupleIJNSH_6TensorESO_SO_EERKSO_lbbbEUlllE0_EEPmJS6_EEE10hipError_tPvRmT3_T4_T5_T6_T7_T9_mT8_P12ihipStream_tbDpT10_ENKUlT_T0_E_clISt17integral_constantIbLb1EES1E_EEDaS19_S1A_EUlS19_E_NS1_11comp_targetILNS1_3genE2ELNS1_11target_archE906ELNS1_3gpuE6ELNS1_3repE0EEENS1_30default_config_static_selectorELNS0_4arch9wavefront6targetE0EEEvT1_.kd
    .uniform_work_group_size: 1
    .uses_dynamic_stack: false
    .vgpr_count:     0
    .vgpr_spill_count: 0
    .wavefront_size: 32
    .workgroup_processor_mode: 1
  - .args:
      - .offset:         0
        .size:           136
        .value_kind:     by_value
    .group_segment_fixed_size: 0
    .kernarg_segment_align: 8
    .kernarg_segment_size: 136
    .language:       OpenCL C
    .language_version:
      - 2
      - 0
    .max_flat_workgroup_size: 384
    .name:           _ZN7rocprim17ROCPRIM_400000_NS6detail17trampoline_kernelINS0_14default_configENS1_25partition_config_selectorILNS1_17partition_subalgoE8ElNS0_10empty_typeEbEEZZNS1_14partition_implILS5_8ELb0ES3_jPlPS6_PKS6_NS0_5tupleIJS9_S6_EEENSD_IJSA_SA_EEENS0_18inequality_wrapperIZN2at6native12_GLOBAL__N_124unique_dim_cuda_templateIN3c108BFloat16EEESt5tupleIJNSH_6TensorESO_SO_EERKSO_lbbbEUlllE0_EEPmJS6_EEE10hipError_tPvRmT3_T4_T5_T6_T7_T9_mT8_P12ihipStream_tbDpT10_ENKUlT_T0_E_clISt17integral_constantIbLb1EES1E_EEDaS19_S1A_EUlS19_E_NS1_11comp_targetILNS1_3genE10ELNS1_11target_archE1200ELNS1_3gpuE4ELNS1_3repE0EEENS1_30default_config_static_selectorELNS0_4arch9wavefront6targetE0EEEvT1_
    .private_segment_fixed_size: 0
    .sgpr_count:     0
    .sgpr_spill_count: 0
    .symbol:         _ZN7rocprim17ROCPRIM_400000_NS6detail17trampoline_kernelINS0_14default_configENS1_25partition_config_selectorILNS1_17partition_subalgoE8ElNS0_10empty_typeEbEEZZNS1_14partition_implILS5_8ELb0ES3_jPlPS6_PKS6_NS0_5tupleIJS9_S6_EEENSD_IJSA_SA_EEENS0_18inequality_wrapperIZN2at6native12_GLOBAL__N_124unique_dim_cuda_templateIN3c108BFloat16EEESt5tupleIJNSH_6TensorESO_SO_EERKSO_lbbbEUlllE0_EEPmJS6_EEE10hipError_tPvRmT3_T4_T5_T6_T7_T9_mT8_P12ihipStream_tbDpT10_ENKUlT_T0_E_clISt17integral_constantIbLb1EES1E_EEDaS19_S1A_EUlS19_E_NS1_11comp_targetILNS1_3genE10ELNS1_11target_archE1200ELNS1_3gpuE4ELNS1_3repE0EEENS1_30default_config_static_selectorELNS0_4arch9wavefront6targetE0EEEvT1_.kd
    .uniform_work_group_size: 1
    .uses_dynamic_stack: false
    .vgpr_count:     0
    .vgpr_spill_count: 0
    .wavefront_size: 32
    .workgroup_processor_mode: 1
  - .args:
      - .offset:         0
        .size:           136
        .value_kind:     by_value
    .group_segment_fixed_size: 33804
    .kernarg_segment_align: 8
    .kernarg_segment_size: 136
    .language:       OpenCL C
    .language_version:
      - 2
      - 0
    .max_flat_workgroup_size: 512
    .name:           _ZN7rocprim17ROCPRIM_400000_NS6detail17trampoline_kernelINS0_14default_configENS1_25partition_config_selectorILNS1_17partition_subalgoE8ElNS0_10empty_typeEbEEZZNS1_14partition_implILS5_8ELb0ES3_jPlPS6_PKS6_NS0_5tupleIJS9_S6_EEENSD_IJSA_SA_EEENS0_18inequality_wrapperIZN2at6native12_GLOBAL__N_124unique_dim_cuda_templateIN3c108BFloat16EEESt5tupleIJNSH_6TensorESO_SO_EERKSO_lbbbEUlllE0_EEPmJS6_EEE10hipError_tPvRmT3_T4_T5_T6_T7_T9_mT8_P12ihipStream_tbDpT10_ENKUlT_T0_E_clISt17integral_constantIbLb1EES1E_EEDaS19_S1A_EUlS19_E_NS1_11comp_targetILNS1_3genE9ELNS1_11target_archE1100ELNS1_3gpuE3ELNS1_3repE0EEENS1_30default_config_static_selectorELNS0_4arch9wavefront6targetE0EEEvT1_
    .private_segment_fixed_size: 0
    .sgpr_count:     40
    .sgpr_spill_count: 0
    .symbol:         _ZN7rocprim17ROCPRIM_400000_NS6detail17trampoline_kernelINS0_14default_configENS1_25partition_config_selectorILNS1_17partition_subalgoE8ElNS0_10empty_typeEbEEZZNS1_14partition_implILS5_8ELb0ES3_jPlPS6_PKS6_NS0_5tupleIJS9_S6_EEENSD_IJSA_SA_EEENS0_18inequality_wrapperIZN2at6native12_GLOBAL__N_124unique_dim_cuda_templateIN3c108BFloat16EEESt5tupleIJNSH_6TensorESO_SO_EERKSO_lbbbEUlllE0_EEPmJS6_EEE10hipError_tPvRmT3_T4_T5_T6_T7_T9_mT8_P12ihipStream_tbDpT10_ENKUlT_T0_E_clISt17integral_constantIbLb1EES1E_EEDaS19_S1A_EUlS19_E_NS1_11comp_targetILNS1_3genE9ELNS1_11target_archE1100ELNS1_3gpuE3ELNS1_3repE0EEENS1_30default_config_static_selectorELNS0_4arch9wavefront6targetE0EEEvT1_.kd
    .uniform_work_group_size: 1
    .uses_dynamic_stack: false
    .vgpr_count:     52
    .vgpr_spill_count: 0
    .wavefront_size: 32
    .workgroup_processor_mode: 1
  - .args:
      - .offset:         0
        .size:           136
        .value_kind:     by_value
    .group_segment_fixed_size: 0
    .kernarg_segment_align: 8
    .kernarg_segment_size: 136
    .language:       OpenCL C
    .language_version:
      - 2
      - 0
    .max_flat_workgroup_size: 512
    .name:           _ZN7rocprim17ROCPRIM_400000_NS6detail17trampoline_kernelINS0_14default_configENS1_25partition_config_selectorILNS1_17partition_subalgoE8ElNS0_10empty_typeEbEEZZNS1_14partition_implILS5_8ELb0ES3_jPlPS6_PKS6_NS0_5tupleIJS9_S6_EEENSD_IJSA_SA_EEENS0_18inequality_wrapperIZN2at6native12_GLOBAL__N_124unique_dim_cuda_templateIN3c108BFloat16EEESt5tupleIJNSH_6TensorESO_SO_EERKSO_lbbbEUlllE0_EEPmJS6_EEE10hipError_tPvRmT3_T4_T5_T6_T7_T9_mT8_P12ihipStream_tbDpT10_ENKUlT_T0_E_clISt17integral_constantIbLb1EES1E_EEDaS19_S1A_EUlS19_E_NS1_11comp_targetILNS1_3genE8ELNS1_11target_archE1030ELNS1_3gpuE2ELNS1_3repE0EEENS1_30default_config_static_selectorELNS0_4arch9wavefront6targetE0EEEvT1_
    .private_segment_fixed_size: 0
    .sgpr_count:     0
    .sgpr_spill_count: 0
    .symbol:         _ZN7rocprim17ROCPRIM_400000_NS6detail17trampoline_kernelINS0_14default_configENS1_25partition_config_selectorILNS1_17partition_subalgoE8ElNS0_10empty_typeEbEEZZNS1_14partition_implILS5_8ELb0ES3_jPlPS6_PKS6_NS0_5tupleIJS9_S6_EEENSD_IJSA_SA_EEENS0_18inequality_wrapperIZN2at6native12_GLOBAL__N_124unique_dim_cuda_templateIN3c108BFloat16EEESt5tupleIJNSH_6TensorESO_SO_EERKSO_lbbbEUlllE0_EEPmJS6_EEE10hipError_tPvRmT3_T4_T5_T6_T7_T9_mT8_P12ihipStream_tbDpT10_ENKUlT_T0_E_clISt17integral_constantIbLb1EES1E_EEDaS19_S1A_EUlS19_E_NS1_11comp_targetILNS1_3genE8ELNS1_11target_archE1030ELNS1_3gpuE2ELNS1_3repE0EEENS1_30default_config_static_selectorELNS0_4arch9wavefront6targetE0EEEvT1_.kd
    .uniform_work_group_size: 1
    .uses_dynamic_stack: false
    .vgpr_count:     0
    .vgpr_spill_count: 0
    .wavefront_size: 32
    .workgroup_processor_mode: 1
  - .args:
      - .offset:         0
        .size:           120
        .value_kind:     by_value
    .group_segment_fixed_size: 0
    .kernarg_segment_align: 8
    .kernarg_segment_size: 120
    .language:       OpenCL C
    .language_version:
      - 2
      - 0
    .max_flat_workgroup_size: 512
    .name:           _ZN7rocprim17ROCPRIM_400000_NS6detail17trampoline_kernelINS0_14default_configENS1_25partition_config_selectorILNS1_17partition_subalgoE8ElNS0_10empty_typeEbEEZZNS1_14partition_implILS5_8ELb0ES3_jPlPS6_PKS6_NS0_5tupleIJS9_S6_EEENSD_IJSA_SA_EEENS0_18inequality_wrapperIZN2at6native12_GLOBAL__N_124unique_dim_cuda_templateIN3c108BFloat16EEESt5tupleIJNSH_6TensorESO_SO_EERKSO_lbbbEUlllE0_EEPmJS6_EEE10hipError_tPvRmT3_T4_T5_T6_T7_T9_mT8_P12ihipStream_tbDpT10_ENKUlT_T0_E_clISt17integral_constantIbLb1EES1D_IbLb0EEEEDaS19_S1A_EUlS19_E_NS1_11comp_targetILNS1_3genE0ELNS1_11target_archE4294967295ELNS1_3gpuE0ELNS1_3repE0EEENS1_30default_config_static_selectorELNS0_4arch9wavefront6targetE0EEEvT1_
    .private_segment_fixed_size: 0
    .sgpr_count:     0
    .sgpr_spill_count: 0
    .symbol:         _ZN7rocprim17ROCPRIM_400000_NS6detail17trampoline_kernelINS0_14default_configENS1_25partition_config_selectorILNS1_17partition_subalgoE8ElNS0_10empty_typeEbEEZZNS1_14partition_implILS5_8ELb0ES3_jPlPS6_PKS6_NS0_5tupleIJS9_S6_EEENSD_IJSA_SA_EEENS0_18inequality_wrapperIZN2at6native12_GLOBAL__N_124unique_dim_cuda_templateIN3c108BFloat16EEESt5tupleIJNSH_6TensorESO_SO_EERKSO_lbbbEUlllE0_EEPmJS6_EEE10hipError_tPvRmT3_T4_T5_T6_T7_T9_mT8_P12ihipStream_tbDpT10_ENKUlT_T0_E_clISt17integral_constantIbLb1EES1D_IbLb0EEEEDaS19_S1A_EUlS19_E_NS1_11comp_targetILNS1_3genE0ELNS1_11target_archE4294967295ELNS1_3gpuE0ELNS1_3repE0EEENS1_30default_config_static_selectorELNS0_4arch9wavefront6targetE0EEEvT1_.kd
    .uniform_work_group_size: 1
    .uses_dynamic_stack: false
    .vgpr_count:     0
    .vgpr_spill_count: 0
    .wavefront_size: 32
    .workgroup_processor_mode: 1
  - .args:
      - .offset:         0
        .size:           120
        .value_kind:     by_value
    .group_segment_fixed_size: 0
    .kernarg_segment_align: 8
    .kernarg_segment_size: 120
    .language:       OpenCL C
    .language_version:
      - 2
      - 0
    .max_flat_workgroup_size: 512
    .name:           _ZN7rocprim17ROCPRIM_400000_NS6detail17trampoline_kernelINS0_14default_configENS1_25partition_config_selectorILNS1_17partition_subalgoE8ElNS0_10empty_typeEbEEZZNS1_14partition_implILS5_8ELb0ES3_jPlPS6_PKS6_NS0_5tupleIJS9_S6_EEENSD_IJSA_SA_EEENS0_18inequality_wrapperIZN2at6native12_GLOBAL__N_124unique_dim_cuda_templateIN3c108BFloat16EEESt5tupleIJNSH_6TensorESO_SO_EERKSO_lbbbEUlllE0_EEPmJS6_EEE10hipError_tPvRmT3_T4_T5_T6_T7_T9_mT8_P12ihipStream_tbDpT10_ENKUlT_T0_E_clISt17integral_constantIbLb1EES1D_IbLb0EEEEDaS19_S1A_EUlS19_E_NS1_11comp_targetILNS1_3genE5ELNS1_11target_archE942ELNS1_3gpuE9ELNS1_3repE0EEENS1_30default_config_static_selectorELNS0_4arch9wavefront6targetE0EEEvT1_
    .private_segment_fixed_size: 0
    .sgpr_count:     0
    .sgpr_spill_count: 0
    .symbol:         _ZN7rocprim17ROCPRIM_400000_NS6detail17trampoline_kernelINS0_14default_configENS1_25partition_config_selectorILNS1_17partition_subalgoE8ElNS0_10empty_typeEbEEZZNS1_14partition_implILS5_8ELb0ES3_jPlPS6_PKS6_NS0_5tupleIJS9_S6_EEENSD_IJSA_SA_EEENS0_18inequality_wrapperIZN2at6native12_GLOBAL__N_124unique_dim_cuda_templateIN3c108BFloat16EEESt5tupleIJNSH_6TensorESO_SO_EERKSO_lbbbEUlllE0_EEPmJS6_EEE10hipError_tPvRmT3_T4_T5_T6_T7_T9_mT8_P12ihipStream_tbDpT10_ENKUlT_T0_E_clISt17integral_constantIbLb1EES1D_IbLb0EEEEDaS19_S1A_EUlS19_E_NS1_11comp_targetILNS1_3genE5ELNS1_11target_archE942ELNS1_3gpuE9ELNS1_3repE0EEENS1_30default_config_static_selectorELNS0_4arch9wavefront6targetE0EEEvT1_.kd
    .uniform_work_group_size: 1
    .uses_dynamic_stack: false
    .vgpr_count:     0
    .vgpr_spill_count: 0
    .wavefront_size: 32
    .workgroup_processor_mode: 1
  - .args:
      - .offset:         0
        .size:           120
        .value_kind:     by_value
    .group_segment_fixed_size: 0
    .kernarg_segment_align: 8
    .kernarg_segment_size: 120
    .language:       OpenCL C
    .language_version:
      - 2
      - 0
    .max_flat_workgroup_size: 256
    .name:           _ZN7rocprim17ROCPRIM_400000_NS6detail17trampoline_kernelINS0_14default_configENS1_25partition_config_selectorILNS1_17partition_subalgoE8ElNS0_10empty_typeEbEEZZNS1_14partition_implILS5_8ELb0ES3_jPlPS6_PKS6_NS0_5tupleIJS9_S6_EEENSD_IJSA_SA_EEENS0_18inequality_wrapperIZN2at6native12_GLOBAL__N_124unique_dim_cuda_templateIN3c108BFloat16EEESt5tupleIJNSH_6TensorESO_SO_EERKSO_lbbbEUlllE0_EEPmJS6_EEE10hipError_tPvRmT3_T4_T5_T6_T7_T9_mT8_P12ihipStream_tbDpT10_ENKUlT_T0_E_clISt17integral_constantIbLb1EES1D_IbLb0EEEEDaS19_S1A_EUlS19_E_NS1_11comp_targetILNS1_3genE4ELNS1_11target_archE910ELNS1_3gpuE8ELNS1_3repE0EEENS1_30default_config_static_selectorELNS0_4arch9wavefront6targetE0EEEvT1_
    .private_segment_fixed_size: 0
    .sgpr_count:     0
    .sgpr_spill_count: 0
    .symbol:         _ZN7rocprim17ROCPRIM_400000_NS6detail17trampoline_kernelINS0_14default_configENS1_25partition_config_selectorILNS1_17partition_subalgoE8ElNS0_10empty_typeEbEEZZNS1_14partition_implILS5_8ELb0ES3_jPlPS6_PKS6_NS0_5tupleIJS9_S6_EEENSD_IJSA_SA_EEENS0_18inequality_wrapperIZN2at6native12_GLOBAL__N_124unique_dim_cuda_templateIN3c108BFloat16EEESt5tupleIJNSH_6TensorESO_SO_EERKSO_lbbbEUlllE0_EEPmJS6_EEE10hipError_tPvRmT3_T4_T5_T6_T7_T9_mT8_P12ihipStream_tbDpT10_ENKUlT_T0_E_clISt17integral_constantIbLb1EES1D_IbLb0EEEEDaS19_S1A_EUlS19_E_NS1_11comp_targetILNS1_3genE4ELNS1_11target_archE910ELNS1_3gpuE8ELNS1_3repE0EEENS1_30default_config_static_selectorELNS0_4arch9wavefront6targetE0EEEvT1_.kd
    .uniform_work_group_size: 1
    .uses_dynamic_stack: false
    .vgpr_count:     0
    .vgpr_spill_count: 0
    .wavefront_size: 32
    .workgroup_processor_mode: 1
  - .args:
      - .offset:         0
        .size:           120
        .value_kind:     by_value
    .group_segment_fixed_size: 0
    .kernarg_segment_align: 8
    .kernarg_segment_size: 120
    .language:       OpenCL C
    .language_version:
      - 2
      - 0
    .max_flat_workgroup_size: 512
    .name:           _ZN7rocprim17ROCPRIM_400000_NS6detail17trampoline_kernelINS0_14default_configENS1_25partition_config_selectorILNS1_17partition_subalgoE8ElNS0_10empty_typeEbEEZZNS1_14partition_implILS5_8ELb0ES3_jPlPS6_PKS6_NS0_5tupleIJS9_S6_EEENSD_IJSA_SA_EEENS0_18inequality_wrapperIZN2at6native12_GLOBAL__N_124unique_dim_cuda_templateIN3c108BFloat16EEESt5tupleIJNSH_6TensorESO_SO_EERKSO_lbbbEUlllE0_EEPmJS6_EEE10hipError_tPvRmT3_T4_T5_T6_T7_T9_mT8_P12ihipStream_tbDpT10_ENKUlT_T0_E_clISt17integral_constantIbLb1EES1D_IbLb0EEEEDaS19_S1A_EUlS19_E_NS1_11comp_targetILNS1_3genE3ELNS1_11target_archE908ELNS1_3gpuE7ELNS1_3repE0EEENS1_30default_config_static_selectorELNS0_4arch9wavefront6targetE0EEEvT1_
    .private_segment_fixed_size: 0
    .sgpr_count:     0
    .sgpr_spill_count: 0
    .symbol:         _ZN7rocprim17ROCPRIM_400000_NS6detail17trampoline_kernelINS0_14default_configENS1_25partition_config_selectorILNS1_17partition_subalgoE8ElNS0_10empty_typeEbEEZZNS1_14partition_implILS5_8ELb0ES3_jPlPS6_PKS6_NS0_5tupleIJS9_S6_EEENSD_IJSA_SA_EEENS0_18inequality_wrapperIZN2at6native12_GLOBAL__N_124unique_dim_cuda_templateIN3c108BFloat16EEESt5tupleIJNSH_6TensorESO_SO_EERKSO_lbbbEUlllE0_EEPmJS6_EEE10hipError_tPvRmT3_T4_T5_T6_T7_T9_mT8_P12ihipStream_tbDpT10_ENKUlT_T0_E_clISt17integral_constantIbLb1EES1D_IbLb0EEEEDaS19_S1A_EUlS19_E_NS1_11comp_targetILNS1_3genE3ELNS1_11target_archE908ELNS1_3gpuE7ELNS1_3repE0EEENS1_30default_config_static_selectorELNS0_4arch9wavefront6targetE0EEEvT1_.kd
    .uniform_work_group_size: 1
    .uses_dynamic_stack: false
    .vgpr_count:     0
    .vgpr_spill_count: 0
    .wavefront_size: 32
    .workgroup_processor_mode: 1
  - .args:
      - .offset:         0
        .size:           120
        .value_kind:     by_value
    .group_segment_fixed_size: 0
    .kernarg_segment_align: 8
    .kernarg_segment_size: 120
    .language:       OpenCL C
    .language_version:
      - 2
      - 0
    .max_flat_workgroup_size: 256
    .name:           _ZN7rocprim17ROCPRIM_400000_NS6detail17trampoline_kernelINS0_14default_configENS1_25partition_config_selectorILNS1_17partition_subalgoE8ElNS0_10empty_typeEbEEZZNS1_14partition_implILS5_8ELb0ES3_jPlPS6_PKS6_NS0_5tupleIJS9_S6_EEENSD_IJSA_SA_EEENS0_18inequality_wrapperIZN2at6native12_GLOBAL__N_124unique_dim_cuda_templateIN3c108BFloat16EEESt5tupleIJNSH_6TensorESO_SO_EERKSO_lbbbEUlllE0_EEPmJS6_EEE10hipError_tPvRmT3_T4_T5_T6_T7_T9_mT8_P12ihipStream_tbDpT10_ENKUlT_T0_E_clISt17integral_constantIbLb1EES1D_IbLb0EEEEDaS19_S1A_EUlS19_E_NS1_11comp_targetILNS1_3genE2ELNS1_11target_archE906ELNS1_3gpuE6ELNS1_3repE0EEENS1_30default_config_static_selectorELNS0_4arch9wavefront6targetE0EEEvT1_
    .private_segment_fixed_size: 0
    .sgpr_count:     0
    .sgpr_spill_count: 0
    .symbol:         _ZN7rocprim17ROCPRIM_400000_NS6detail17trampoline_kernelINS0_14default_configENS1_25partition_config_selectorILNS1_17partition_subalgoE8ElNS0_10empty_typeEbEEZZNS1_14partition_implILS5_8ELb0ES3_jPlPS6_PKS6_NS0_5tupleIJS9_S6_EEENSD_IJSA_SA_EEENS0_18inequality_wrapperIZN2at6native12_GLOBAL__N_124unique_dim_cuda_templateIN3c108BFloat16EEESt5tupleIJNSH_6TensorESO_SO_EERKSO_lbbbEUlllE0_EEPmJS6_EEE10hipError_tPvRmT3_T4_T5_T6_T7_T9_mT8_P12ihipStream_tbDpT10_ENKUlT_T0_E_clISt17integral_constantIbLb1EES1D_IbLb0EEEEDaS19_S1A_EUlS19_E_NS1_11comp_targetILNS1_3genE2ELNS1_11target_archE906ELNS1_3gpuE6ELNS1_3repE0EEENS1_30default_config_static_selectorELNS0_4arch9wavefront6targetE0EEEvT1_.kd
    .uniform_work_group_size: 1
    .uses_dynamic_stack: false
    .vgpr_count:     0
    .vgpr_spill_count: 0
    .wavefront_size: 32
    .workgroup_processor_mode: 1
  - .args:
      - .offset:         0
        .size:           120
        .value_kind:     by_value
    .group_segment_fixed_size: 0
    .kernarg_segment_align: 8
    .kernarg_segment_size: 120
    .language:       OpenCL C
    .language_version:
      - 2
      - 0
    .max_flat_workgroup_size: 384
    .name:           _ZN7rocprim17ROCPRIM_400000_NS6detail17trampoline_kernelINS0_14default_configENS1_25partition_config_selectorILNS1_17partition_subalgoE8ElNS0_10empty_typeEbEEZZNS1_14partition_implILS5_8ELb0ES3_jPlPS6_PKS6_NS0_5tupleIJS9_S6_EEENSD_IJSA_SA_EEENS0_18inequality_wrapperIZN2at6native12_GLOBAL__N_124unique_dim_cuda_templateIN3c108BFloat16EEESt5tupleIJNSH_6TensorESO_SO_EERKSO_lbbbEUlllE0_EEPmJS6_EEE10hipError_tPvRmT3_T4_T5_T6_T7_T9_mT8_P12ihipStream_tbDpT10_ENKUlT_T0_E_clISt17integral_constantIbLb1EES1D_IbLb0EEEEDaS19_S1A_EUlS19_E_NS1_11comp_targetILNS1_3genE10ELNS1_11target_archE1200ELNS1_3gpuE4ELNS1_3repE0EEENS1_30default_config_static_selectorELNS0_4arch9wavefront6targetE0EEEvT1_
    .private_segment_fixed_size: 0
    .sgpr_count:     0
    .sgpr_spill_count: 0
    .symbol:         _ZN7rocprim17ROCPRIM_400000_NS6detail17trampoline_kernelINS0_14default_configENS1_25partition_config_selectorILNS1_17partition_subalgoE8ElNS0_10empty_typeEbEEZZNS1_14partition_implILS5_8ELb0ES3_jPlPS6_PKS6_NS0_5tupleIJS9_S6_EEENSD_IJSA_SA_EEENS0_18inequality_wrapperIZN2at6native12_GLOBAL__N_124unique_dim_cuda_templateIN3c108BFloat16EEESt5tupleIJNSH_6TensorESO_SO_EERKSO_lbbbEUlllE0_EEPmJS6_EEE10hipError_tPvRmT3_T4_T5_T6_T7_T9_mT8_P12ihipStream_tbDpT10_ENKUlT_T0_E_clISt17integral_constantIbLb1EES1D_IbLb0EEEEDaS19_S1A_EUlS19_E_NS1_11comp_targetILNS1_3genE10ELNS1_11target_archE1200ELNS1_3gpuE4ELNS1_3repE0EEENS1_30default_config_static_selectorELNS0_4arch9wavefront6targetE0EEEvT1_.kd
    .uniform_work_group_size: 1
    .uses_dynamic_stack: false
    .vgpr_count:     0
    .vgpr_spill_count: 0
    .wavefront_size: 32
    .workgroup_processor_mode: 1
  - .args:
      - .offset:         0
        .size:           120
        .value_kind:     by_value
    .group_segment_fixed_size: 33804
    .kernarg_segment_align: 8
    .kernarg_segment_size: 120
    .language:       OpenCL C
    .language_version:
      - 2
      - 0
    .max_flat_workgroup_size: 512
    .name:           _ZN7rocprim17ROCPRIM_400000_NS6detail17trampoline_kernelINS0_14default_configENS1_25partition_config_selectorILNS1_17partition_subalgoE8ElNS0_10empty_typeEbEEZZNS1_14partition_implILS5_8ELb0ES3_jPlPS6_PKS6_NS0_5tupleIJS9_S6_EEENSD_IJSA_SA_EEENS0_18inequality_wrapperIZN2at6native12_GLOBAL__N_124unique_dim_cuda_templateIN3c108BFloat16EEESt5tupleIJNSH_6TensorESO_SO_EERKSO_lbbbEUlllE0_EEPmJS6_EEE10hipError_tPvRmT3_T4_T5_T6_T7_T9_mT8_P12ihipStream_tbDpT10_ENKUlT_T0_E_clISt17integral_constantIbLb1EES1D_IbLb0EEEEDaS19_S1A_EUlS19_E_NS1_11comp_targetILNS1_3genE9ELNS1_11target_archE1100ELNS1_3gpuE3ELNS1_3repE0EEENS1_30default_config_static_selectorELNS0_4arch9wavefront6targetE0EEEvT1_
    .private_segment_fixed_size: 0
    .sgpr_count:     38
    .sgpr_spill_count: 0
    .symbol:         _ZN7rocprim17ROCPRIM_400000_NS6detail17trampoline_kernelINS0_14default_configENS1_25partition_config_selectorILNS1_17partition_subalgoE8ElNS0_10empty_typeEbEEZZNS1_14partition_implILS5_8ELb0ES3_jPlPS6_PKS6_NS0_5tupleIJS9_S6_EEENSD_IJSA_SA_EEENS0_18inequality_wrapperIZN2at6native12_GLOBAL__N_124unique_dim_cuda_templateIN3c108BFloat16EEESt5tupleIJNSH_6TensorESO_SO_EERKSO_lbbbEUlllE0_EEPmJS6_EEE10hipError_tPvRmT3_T4_T5_T6_T7_T9_mT8_P12ihipStream_tbDpT10_ENKUlT_T0_E_clISt17integral_constantIbLb1EES1D_IbLb0EEEEDaS19_S1A_EUlS19_E_NS1_11comp_targetILNS1_3genE9ELNS1_11target_archE1100ELNS1_3gpuE3ELNS1_3repE0EEENS1_30default_config_static_selectorELNS0_4arch9wavefront6targetE0EEEvT1_.kd
    .uniform_work_group_size: 1
    .uses_dynamic_stack: false
    .vgpr_count:     52
    .vgpr_spill_count: 0
    .wavefront_size: 32
    .workgroup_processor_mode: 1
  - .args:
      - .offset:         0
        .size:           120
        .value_kind:     by_value
    .group_segment_fixed_size: 0
    .kernarg_segment_align: 8
    .kernarg_segment_size: 120
    .language:       OpenCL C
    .language_version:
      - 2
      - 0
    .max_flat_workgroup_size: 512
    .name:           _ZN7rocprim17ROCPRIM_400000_NS6detail17trampoline_kernelINS0_14default_configENS1_25partition_config_selectorILNS1_17partition_subalgoE8ElNS0_10empty_typeEbEEZZNS1_14partition_implILS5_8ELb0ES3_jPlPS6_PKS6_NS0_5tupleIJS9_S6_EEENSD_IJSA_SA_EEENS0_18inequality_wrapperIZN2at6native12_GLOBAL__N_124unique_dim_cuda_templateIN3c108BFloat16EEESt5tupleIJNSH_6TensorESO_SO_EERKSO_lbbbEUlllE0_EEPmJS6_EEE10hipError_tPvRmT3_T4_T5_T6_T7_T9_mT8_P12ihipStream_tbDpT10_ENKUlT_T0_E_clISt17integral_constantIbLb1EES1D_IbLb0EEEEDaS19_S1A_EUlS19_E_NS1_11comp_targetILNS1_3genE8ELNS1_11target_archE1030ELNS1_3gpuE2ELNS1_3repE0EEENS1_30default_config_static_selectorELNS0_4arch9wavefront6targetE0EEEvT1_
    .private_segment_fixed_size: 0
    .sgpr_count:     0
    .sgpr_spill_count: 0
    .symbol:         _ZN7rocprim17ROCPRIM_400000_NS6detail17trampoline_kernelINS0_14default_configENS1_25partition_config_selectorILNS1_17partition_subalgoE8ElNS0_10empty_typeEbEEZZNS1_14partition_implILS5_8ELb0ES3_jPlPS6_PKS6_NS0_5tupleIJS9_S6_EEENSD_IJSA_SA_EEENS0_18inequality_wrapperIZN2at6native12_GLOBAL__N_124unique_dim_cuda_templateIN3c108BFloat16EEESt5tupleIJNSH_6TensorESO_SO_EERKSO_lbbbEUlllE0_EEPmJS6_EEE10hipError_tPvRmT3_T4_T5_T6_T7_T9_mT8_P12ihipStream_tbDpT10_ENKUlT_T0_E_clISt17integral_constantIbLb1EES1D_IbLb0EEEEDaS19_S1A_EUlS19_E_NS1_11comp_targetILNS1_3genE8ELNS1_11target_archE1030ELNS1_3gpuE2ELNS1_3repE0EEENS1_30default_config_static_selectorELNS0_4arch9wavefront6targetE0EEEvT1_.kd
    .uniform_work_group_size: 1
    .uses_dynamic_stack: false
    .vgpr_count:     0
    .vgpr_spill_count: 0
    .wavefront_size: 32
    .workgroup_processor_mode: 1
  - .args:
      - .offset:         0
        .size:           136
        .value_kind:     by_value
    .group_segment_fixed_size: 0
    .kernarg_segment_align: 8
    .kernarg_segment_size: 136
    .language:       OpenCL C
    .language_version:
      - 2
      - 0
    .max_flat_workgroup_size: 512
    .name:           _ZN7rocprim17ROCPRIM_400000_NS6detail17trampoline_kernelINS0_14default_configENS1_25partition_config_selectorILNS1_17partition_subalgoE8ElNS0_10empty_typeEbEEZZNS1_14partition_implILS5_8ELb0ES3_jPlPS6_PKS6_NS0_5tupleIJS9_S6_EEENSD_IJSA_SA_EEENS0_18inequality_wrapperIZN2at6native12_GLOBAL__N_124unique_dim_cuda_templateIN3c108BFloat16EEESt5tupleIJNSH_6TensorESO_SO_EERKSO_lbbbEUlllE0_EEPmJS6_EEE10hipError_tPvRmT3_T4_T5_T6_T7_T9_mT8_P12ihipStream_tbDpT10_ENKUlT_T0_E_clISt17integral_constantIbLb0EES1D_IbLb1EEEEDaS19_S1A_EUlS19_E_NS1_11comp_targetILNS1_3genE0ELNS1_11target_archE4294967295ELNS1_3gpuE0ELNS1_3repE0EEENS1_30default_config_static_selectorELNS0_4arch9wavefront6targetE0EEEvT1_
    .private_segment_fixed_size: 0
    .sgpr_count:     0
    .sgpr_spill_count: 0
    .symbol:         _ZN7rocprim17ROCPRIM_400000_NS6detail17trampoline_kernelINS0_14default_configENS1_25partition_config_selectorILNS1_17partition_subalgoE8ElNS0_10empty_typeEbEEZZNS1_14partition_implILS5_8ELb0ES3_jPlPS6_PKS6_NS0_5tupleIJS9_S6_EEENSD_IJSA_SA_EEENS0_18inequality_wrapperIZN2at6native12_GLOBAL__N_124unique_dim_cuda_templateIN3c108BFloat16EEESt5tupleIJNSH_6TensorESO_SO_EERKSO_lbbbEUlllE0_EEPmJS6_EEE10hipError_tPvRmT3_T4_T5_T6_T7_T9_mT8_P12ihipStream_tbDpT10_ENKUlT_T0_E_clISt17integral_constantIbLb0EES1D_IbLb1EEEEDaS19_S1A_EUlS19_E_NS1_11comp_targetILNS1_3genE0ELNS1_11target_archE4294967295ELNS1_3gpuE0ELNS1_3repE0EEENS1_30default_config_static_selectorELNS0_4arch9wavefront6targetE0EEEvT1_.kd
    .uniform_work_group_size: 1
    .uses_dynamic_stack: false
    .vgpr_count:     0
    .vgpr_spill_count: 0
    .wavefront_size: 32
    .workgroup_processor_mode: 1
  - .args:
      - .offset:         0
        .size:           136
        .value_kind:     by_value
    .group_segment_fixed_size: 0
    .kernarg_segment_align: 8
    .kernarg_segment_size: 136
    .language:       OpenCL C
    .language_version:
      - 2
      - 0
    .max_flat_workgroup_size: 512
    .name:           _ZN7rocprim17ROCPRIM_400000_NS6detail17trampoline_kernelINS0_14default_configENS1_25partition_config_selectorILNS1_17partition_subalgoE8ElNS0_10empty_typeEbEEZZNS1_14partition_implILS5_8ELb0ES3_jPlPS6_PKS6_NS0_5tupleIJS9_S6_EEENSD_IJSA_SA_EEENS0_18inequality_wrapperIZN2at6native12_GLOBAL__N_124unique_dim_cuda_templateIN3c108BFloat16EEESt5tupleIJNSH_6TensorESO_SO_EERKSO_lbbbEUlllE0_EEPmJS6_EEE10hipError_tPvRmT3_T4_T5_T6_T7_T9_mT8_P12ihipStream_tbDpT10_ENKUlT_T0_E_clISt17integral_constantIbLb0EES1D_IbLb1EEEEDaS19_S1A_EUlS19_E_NS1_11comp_targetILNS1_3genE5ELNS1_11target_archE942ELNS1_3gpuE9ELNS1_3repE0EEENS1_30default_config_static_selectorELNS0_4arch9wavefront6targetE0EEEvT1_
    .private_segment_fixed_size: 0
    .sgpr_count:     0
    .sgpr_spill_count: 0
    .symbol:         _ZN7rocprim17ROCPRIM_400000_NS6detail17trampoline_kernelINS0_14default_configENS1_25partition_config_selectorILNS1_17partition_subalgoE8ElNS0_10empty_typeEbEEZZNS1_14partition_implILS5_8ELb0ES3_jPlPS6_PKS6_NS0_5tupleIJS9_S6_EEENSD_IJSA_SA_EEENS0_18inequality_wrapperIZN2at6native12_GLOBAL__N_124unique_dim_cuda_templateIN3c108BFloat16EEESt5tupleIJNSH_6TensorESO_SO_EERKSO_lbbbEUlllE0_EEPmJS6_EEE10hipError_tPvRmT3_T4_T5_T6_T7_T9_mT8_P12ihipStream_tbDpT10_ENKUlT_T0_E_clISt17integral_constantIbLb0EES1D_IbLb1EEEEDaS19_S1A_EUlS19_E_NS1_11comp_targetILNS1_3genE5ELNS1_11target_archE942ELNS1_3gpuE9ELNS1_3repE0EEENS1_30default_config_static_selectorELNS0_4arch9wavefront6targetE0EEEvT1_.kd
    .uniform_work_group_size: 1
    .uses_dynamic_stack: false
    .vgpr_count:     0
    .vgpr_spill_count: 0
    .wavefront_size: 32
    .workgroup_processor_mode: 1
  - .args:
      - .offset:         0
        .size:           136
        .value_kind:     by_value
    .group_segment_fixed_size: 0
    .kernarg_segment_align: 8
    .kernarg_segment_size: 136
    .language:       OpenCL C
    .language_version:
      - 2
      - 0
    .max_flat_workgroup_size: 256
    .name:           _ZN7rocprim17ROCPRIM_400000_NS6detail17trampoline_kernelINS0_14default_configENS1_25partition_config_selectorILNS1_17partition_subalgoE8ElNS0_10empty_typeEbEEZZNS1_14partition_implILS5_8ELb0ES3_jPlPS6_PKS6_NS0_5tupleIJS9_S6_EEENSD_IJSA_SA_EEENS0_18inequality_wrapperIZN2at6native12_GLOBAL__N_124unique_dim_cuda_templateIN3c108BFloat16EEESt5tupleIJNSH_6TensorESO_SO_EERKSO_lbbbEUlllE0_EEPmJS6_EEE10hipError_tPvRmT3_T4_T5_T6_T7_T9_mT8_P12ihipStream_tbDpT10_ENKUlT_T0_E_clISt17integral_constantIbLb0EES1D_IbLb1EEEEDaS19_S1A_EUlS19_E_NS1_11comp_targetILNS1_3genE4ELNS1_11target_archE910ELNS1_3gpuE8ELNS1_3repE0EEENS1_30default_config_static_selectorELNS0_4arch9wavefront6targetE0EEEvT1_
    .private_segment_fixed_size: 0
    .sgpr_count:     0
    .sgpr_spill_count: 0
    .symbol:         _ZN7rocprim17ROCPRIM_400000_NS6detail17trampoline_kernelINS0_14default_configENS1_25partition_config_selectorILNS1_17partition_subalgoE8ElNS0_10empty_typeEbEEZZNS1_14partition_implILS5_8ELb0ES3_jPlPS6_PKS6_NS0_5tupleIJS9_S6_EEENSD_IJSA_SA_EEENS0_18inequality_wrapperIZN2at6native12_GLOBAL__N_124unique_dim_cuda_templateIN3c108BFloat16EEESt5tupleIJNSH_6TensorESO_SO_EERKSO_lbbbEUlllE0_EEPmJS6_EEE10hipError_tPvRmT3_T4_T5_T6_T7_T9_mT8_P12ihipStream_tbDpT10_ENKUlT_T0_E_clISt17integral_constantIbLb0EES1D_IbLb1EEEEDaS19_S1A_EUlS19_E_NS1_11comp_targetILNS1_3genE4ELNS1_11target_archE910ELNS1_3gpuE8ELNS1_3repE0EEENS1_30default_config_static_selectorELNS0_4arch9wavefront6targetE0EEEvT1_.kd
    .uniform_work_group_size: 1
    .uses_dynamic_stack: false
    .vgpr_count:     0
    .vgpr_spill_count: 0
    .wavefront_size: 32
    .workgroup_processor_mode: 1
  - .args:
      - .offset:         0
        .size:           136
        .value_kind:     by_value
    .group_segment_fixed_size: 0
    .kernarg_segment_align: 8
    .kernarg_segment_size: 136
    .language:       OpenCL C
    .language_version:
      - 2
      - 0
    .max_flat_workgroup_size: 512
    .name:           _ZN7rocprim17ROCPRIM_400000_NS6detail17trampoline_kernelINS0_14default_configENS1_25partition_config_selectorILNS1_17partition_subalgoE8ElNS0_10empty_typeEbEEZZNS1_14partition_implILS5_8ELb0ES3_jPlPS6_PKS6_NS0_5tupleIJS9_S6_EEENSD_IJSA_SA_EEENS0_18inequality_wrapperIZN2at6native12_GLOBAL__N_124unique_dim_cuda_templateIN3c108BFloat16EEESt5tupleIJNSH_6TensorESO_SO_EERKSO_lbbbEUlllE0_EEPmJS6_EEE10hipError_tPvRmT3_T4_T5_T6_T7_T9_mT8_P12ihipStream_tbDpT10_ENKUlT_T0_E_clISt17integral_constantIbLb0EES1D_IbLb1EEEEDaS19_S1A_EUlS19_E_NS1_11comp_targetILNS1_3genE3ELNS1_11target_archE908ELNS1_3gpuE7ELNS1_3repE0EEENS1_30default_config_static_selectorELNS0_4arch9wavefront6targetE0EEEvT1_
    .private_segment_fixed_size: 0
    .sgpr_count:     0
    .sgpr_spill_count: 0
    .symbol:         _ZN7rocprim17ROCPRIM_400000_NS6detail17trampoline_kernelINS0_14default_configENS1_25partition_config_selectorILNS1_17partition_subalgoE8ElNS0_10empty_typeEbEEZZNS1_14partition_implILS5_8ELb0ES3_jPlPS6_PKS6_NS0_5tupleIJS9_S6_EEENSD_IJSA_SA_EEENS0_18inequality_wrapperIZN2at6native12_GLOBAL__N_124unique_dim_cuda_templateIN3c108BFloat16EEESt5tupleIJNSH_6TensorESO_SO_EERKSO_lbbbEUlllE0_EEPmJS6_EEE10hipError_tPvRmT3_T4_T5_T6_T7_T9_mT8_P12ihipStream_tbDpT10_ENKUlT_T0_E_clISt17integral_constantIbLb0EES1D_IbLb1EEEEDaS19_S1A_EUlS19_E_NS1_11comp_targetILNS1_3genE3ELNS1_11target_archE908ELNS1_3gpuE7ELNS1_3repE0EEENS1_30default_config_static_selectorELNS0_4arch9wavefront6targetE0EEEvT1_.kd
    .uniform_work_group_size: 1
    .uses_dynamic_stack: false
    .vgpr_count:     0
    .vgpr_spill_count: 0
    .wavefront_size: 32
    .workgroup_processor_mode: 1
  - .args:
      - .offset:         0
        .size:           136
        .value_kind:     by_value
    .group_segment_fixed_size: 0
    .kernarg_segment_align: 8
    .kernarg_segment_size: 136
    .language:       OpenCL C
    .language_version:
      - 2
      - 0
    .max_flat_workgroup_size: 256
    .name:           _ZN7rocprim17ROCPRIM_400000_NS6detail17trampoline_kernelINS0_14default_configENS1_25partition_config_selectorILNS1_17partition_subalgoE8ElNS0_10empty_typeEbEEZZNS1_14partition_implILS5_8ELb0ES3_jPlPS6_PKS6_NS0_5tupleIJS9_S6_EEENSD_IJSA_SA_EEENS0_18inequality_wrapperIZN2at6native12_GLOBAL__N_124unique_dim_cuda_templateIN3c108BFloat16EEESt5tupleIJNSH_6TensorESO_SO_EERKSO_lbbbEUlllE0_EEPmJS6_EEE10hipError_tPvRmT3_T4_T5_T6_T7_T9_mT8_P12ihipStream_tbDpT10_ENKUlT_T0_E_clISt17integral_constantIbLb0EES1D_IbLb1EEEEDaS19_S1A_EUlS19_E_NS1_11comp_targetILNS1_3genE2ELNS1_11target_archE906ELNS1_3gpuE6ELNS1_3repE0EEENS1_30default_config_static_selectorELNS0_4arch9wavefront6targetE0EEEvT1_
    .private_segment_fixed_size: 0
    .sgpr_count:     0
    .sgpr_spill_count: 0
    .symbol:         _ZN7rocprim17ROCPRIM_400000_NS6detail17trampoline_kernelINS0_14default_configENS1_25partition_config_selectorILNS1_17partition_subalgoE8ElNS0_10empty_typeEbEEZZNS1_14partition_implILS5_8ELb0ES3_jPlPS6_PKS6_NS0_5tupleIJS9_S6_EEENSD_IJSA_SA_EEENS0_18inequality_wrapperIZN2at6native12_GLOBAL__N_124unique_dim_cuda_templateIN3c108BFloat16EEESt5tupleIJNSH_6TensorESO_SO_EERKSO_lbbbEUlllE0_EEPmJS6_EEE10hipError_tPvRmT3_T4_T5_T6_T7_T9_mT8_P12ihipStream_tbDpT10_ENKUlT_T0_E_clISt17integral_constantIbLb0EES1D_IbLb1EEEEDaS19_S1A_EUlS19_E_NS1_11comp_targetILNS1_3genE2ELNS1_11target_archE906ELNS1_3gpuE6ELNS1_3repE0EEENS1_30default_config_static_selectorELNS0_4arch9wavefront6targetE0EEEvT1_.kd
    .uniform_work_group_size: 1
    .uses_dynamic_stack: false
    .vgpr_count:     0
    .vgpr_spill_count: 0
    .wavefront_size: 32
    .workgroup_processor_mode: 1
  - .args:
      - .offset:         0
        .size:           136
        .value_kind:     by_value
    .group_segment_fixed_size: 0
    .kernarg_segment_align: 8
    .kernarg_segment_size: 136
    .language:       OpenCL C
    .language_version:
      - 2
      - 0
    .max_flat_workgroup_size: 384
    .name:           _ZN7rocprim17ROCPRIM_400000_NS6detail17trampoline_kernelINS0_14default_configENS1_25partition_config_selectorILNS1_17partition_subalgoE8ElNS0_10empty_typeEbEEZZNS1_14partition_implILS5_8ELb0ES3_jPlPS6_PKS6_NS0_5tupleIJS9_S6_EEENSD_IJSA_SA_EEENS0_18inequality_wrapperIZN2at6native12_GLOBAL__N_124unique_dim_cuda_templateIN3c108BFloat16EEESt5tupleIJNSH_6TensorESO_SO_EERKSO_lbbbEUlllE0_EEPmJS6_EEE10hipError_tPvRmT3_T4_T5_T6_T7_T9_mT8_P12ihipStream_tbDpT10_ENKUlT_T0_E_clISt17integral_constantIbLb0EES1D_IbLb1EEEEDaS19_S1A_EUlS19_E_NS1_11comp_targetILNS1_3genE10ELNS1_11target_archE1200ELNS1_3gpuE4ELNS1_3repE0EEENS1_30default_config_static_selectorELNS0_4arch9wavefront6targetE0EEEvT1_
    .private_segment_fixed_size: 0
    .sgpr_count:     0
    .sgpr_spill_count: 0
    .symbol:         _ZN7rocprim17ROCPRIM_400000_NS6detail17trampoline_kernelINS0_14default_configENS1_25partition_config_selectorILNS1_17partition_subalgoE8ElNS0_10empty_typeEbEEZZNS1_14partition_implILS5_8ELb0ES3_jPlPS6_PKS6_NS0_5tupleIJS9_S6_EEENSD_IJSA_SA_EEENS0_18inequality_wrapperIZN2at6native12_GLOBAL__N_124unique_dim_cuda_templateIN3c108BFloat16EEESt5tupleIJNSH_6TensorESO_SO_EERKSO_lbbbEUlllE0_EEPmJS6_EEE10hipError_tPvRmT3_T4_T5_T6_T7_T9_mT8_P12ihipStream_tbDpT10_ENKUlT_T0_E_clISt17integral_constantIbLb0EES1D_IbLb1EEEEDaS19_S1A_EUlS19_E_NS1_11comp_targetILNS1_3genE10ELNS1_11target_archE1200ELNS1_3gpuE4ELNS1_3repE0EEENS1_30default_config_static_selectorELNS0_4arch9wavefront6targetE0EEEvT1_.kd
    .uniform_work_group_size: 1
    .uses_dynamic_stack: false
    .vgpr_count:     0
    .vgpr_spill_count: 0
    .wavefront_size: 32
    .workgroup_processor_mode: 1
  - .args:
      - .offset:         0
        .size:           136
        .value_kind:     by_value
    .group_segment_fixed_size: 33804
    .kernarg_segment_align: 8
    .kernarg_segment_size: 136
    .language:       OpenCL C
    .language_version:
      - 2
      - 0
    .max_flat_workgroup_size: 512
    .name:           _ZN7rocprim17ROCPRIM_400000_NS6detail17trampoline_kernelINS0_14default_configENS1_25partition_config_selectorILNS1_17partition_subalgoE8ElNS0_10empty_typeEbEEZZNS1_14partition_implILS5_8ELb0ES3_jPlPS6_PKS6_NS0_5tupleIJS9_S6_EEENSD_IJSA_SA_EEENS0_18inequality_wrapperIZN2at6native12_GLOBAL__N_124unique_dim_cuda_templateIN3c108BFloat16EEESt5tupleIJNSH_6TensorESO_SO_EERKSO_lbbbEUlllE0_EEPmJS6_EEE10hipError_tPvRmT3_T4_T5_T6_T7_T9_mT8_P12ihipStream_tbDpT10_ENKUlT_T0_E_clISt17integral_constantIbLb0EES1D_IbLb1EEEEDaS19_S1A_EUlS19_E_NS1_11comp_targetILNS1_3genE9ELNS1_11target_archE1100ELNS1_3gpuE3ELNS1_3repE0EEENS1_30default_config_static_selectorELNS0_4arch9wavefront6targetE0EEEvT1_
    .private_segment_fixed_size: 0
    .sgpr_count:     40
    .sgpr_spill_count: 0
    .symbol:         _ZN7rocprim17ROCPRIM_400000_NS6detail17trampoline_kernelINS0_14default_configENS1_25partition_config_selectorILNS1_17partition_subalgoE8ElNS0_10empty_typeEbEEZZNS1_14partition_implILS5_8ELb0ES3_jPlPS6_PKS6_NS0_5tupleIJS9_S6_EEENSD_IJSA_SA_EEENS0_18inequality_wrapperIZN2at6native12_GLOBAL__N_124unique_dim_cuda_templateIN3c108BFloat16EEESt5tupleIJNSH_6TensorESO_SO_EERKSO_lbbbEUlllE0_EEPmJS6_EEE10hipError_tPvRmT3_T4_T5_T6_T7_T9_mT8_P12ihipStream_tbDpT10_ENKUlT_T0_E_clISt17integral_constantIbLb0EES1D_IbLb1EEEEDaS19_S1A_EUlS19_E_NS1_11comp_targetILNS1_3genE9ELNS1_11target_archE1100ELNS1_3gpuE3ELNS1_3repE0EEENS1_30default_config_static_selectorELNS0_4arch9wavefront6targetE0EEEvT1_.kd
    .uniform_work_group_size: 1
    .uses_dynamic_stack: false
    .vgpr_count:     52
    .vgpr_spill_count: 0
    .wavefront_size: 32
    .workgroup_processor_mode: 1
  - .args:
      - .offset:         0
        .size:           136
        .value_kind:     by_value
    .group_segment_fixed_size: 0
    .kernarg_segment_align: 8
    .kernarg_segment_size: 136
    .language:       OpenCL C
    .language_version:
      - 2
      - 0
    .max_flat_workgroup_size: 512
    .name:           _ZN7rocprim17ROCPRIM_400000_NS6detail17trampoline_kernelINS0_14default_configENS1_25partition_config_selectorILNS1_17partition_subalgoE8ElNS0_10empty_typeEbEEZZNS1_14partition_implILS5_8ELb0ES3_jPlPS6_PKS6_NS0_5tupleIJS9_S6_EEENSD_IJSA_SA_EEENS0_18inequality_wrapperIZN2at6native12_GLOBAL__N_124unique_dim_cuda_templateIN3c108BFloat16EEESt5tupleIJNSH_6TensorESO_SO_EERKSO_lbbbEUlllE0_EEPmJS6_EEE10hipError_tPvRmT3_T4_T5_T6_T7_T9_mT8_P12ihipStream_tbDpT10_ENKUlT_T0_E_clISt17integral_constantIbLb0EES1D_IbLb1EEEEDaS19_S1A_EUlS19_E_NS1_11comp_targetILNS1_3genE8ELNS1_11target_archE1030ELNS1_3gpuE2ELNS1_3repE0EEENS1_30default_config_static_selectorELNS0_4arch9wavefront6targetE0EEEvT1_
    .private_segment_fixed_size: 0
    .sgpr_count:     0
    .sgpr_spill_count: 0
    .symbol:         _ZN7rocprim17ROCPRIM_400000_NS6detail17trampoline_kernelINS0_14default_configENS1_25partition_config_selectorILNS1_17partition_subalgoE8ElNS0_10empty_typeEbEEZZNS1_14partition_implILS5_8ELb0ES3_jPlPS6_PKS6_NS0_5tupleIJS9_S6_EEENSD_IJSA_SA_EEENS0_18inequality_wrapperIZN2at6native12_GLOBAL__N_124unique_dim_cuda_templateIN3c108BFloat16EEESt5tupleIJNSH_6TensorESO_SO_EERKSO_lbbbEUlllE0_EEPmJS6_EEE10hipError_tPvRmT3_T4_T5_T6_T7_T9_mT8_P12ihipStream_tbDpT10_ENKUlT_T0_E_clISt17integral_constantIbLb0EES1D_IbLb1EEEEDaS19_S1A_EUlS19_E_NS1_11comp_targetILNS1_3genE8ELNS1_11target_archE1030ELNS1_3gpuE2ELNS1_3repE0EEENS1_30default_config_static_selectorELNS0_4arch9wavefront6targetE0EEEvT1_.kd
    .uniform_work_group_size: 1
    .uses_dynamic_stack: false
    .vgpr_count:     0
    .vgpr_spill_count: 0
    .wavefront_size: 32
    .workgroup_processor_mode: 1
  - .args:
      - .offset:         0
        .size:           120
        .value_kind:     by_value
    .group_segment_fixed_size: 0
    .kernarg_segment_align: 8
    .kernarg_segment_size: 120
    .language:       OpenCL C
    .language_version:
      - 2
      - 0
    .max_flat_workgroup_size: 128
    .name:           _ZN7rocprim17ROCPRIM_400000_NS6detail17trampoline_kernelINS0_14default_configENS1_25partition_config_selectorILNS1_17partition_subalgoE9EllbEEZZNS1_14partition_implILS5_9ELb0ES3_jPlS8_PNS0_10empty_typeENS0_5tupleIJS8_S9_EEENSB_IJS8_SA_EEENS0_18inequality_wrapperIZN2at6native12_GLOBAL__N_124unique_dim_cuda_templateIN3c108BFloat16EEESt5tupleIJNSF_6TensorESM_SM_EERKSM_lbbbEUlllE0_EEPmJS9_EEE10hipError_tPvRmT3_T4_T5_T6_T7_T9_mT8_P12ihipStream_tbDpT10_ENKUlT_T0_E_clISt17integral_constantIbLb0EES1C_EEDaS17_S18_EUlS17_E_NS1_11comp_targetILNS1_3genE0ELNS1_11target_archE4294967295ELNS1_3gpuE0ELNS1_3repE0EEENS1_30default_config_static_selectorELNS0_4arch9wavefront6targetE0EEEvT1_
    .private_segment_fixed_size: 0
    .sgpr_count:     0
    .sgpr_spill_count: 0
    .symbol:         _ZN7rocprim17ROCPRIM_400000_NS6detail17trampoline_kernelINS0_14default_configENS1_25partition_config_selectorILNS1_17partition_subalgoE9EllbEEZZNS1_14partition_implILS5_9ELb0ES3_jPlS8_PNS0_10empty_typeENS0_5tupleIJS8_S9_EEENSB_IJS8_SA_EEENS0_18inequality_wrapperIZN2at6native12_GLOBAL__N_124unique_dim_cuda_templateIN3c108BFloat16EEESt5tupleIJNSF_6TensorESM_SM_EERKSM_lbbbEUlllE0_EEPmJS9_EEE10hipError_tPvRmT3_T4_T5_T6_T7_T9_mT8_P12ihipStream_tbDpT10_ENKUlT_T0_E_clISt17integral_constantIbLb0EES1C_EEDaS17_S18_EUlS17_E_NS1_11comp_targetILNS1_3genE0ELNS1_11target_archE4294967295ELNS1_3gpuE0ELNS1_3repE0EEENS1_30default_config_static_selectorELNS0_4arch9wavefront6targetE0EEEvT1_.kd
    .uniform_work_group_size: 1
    .uses_dynamic_stack: false
    .vgpr_count:     0
    .vgpr_spill_count: 0
    .wavefront_size: 32
    .workgroup_processor_mode: 1
  - .args:
      - .offset:         0
        .size:           120
        .value_kind:     by_value
    .group_segment_fixed_size: 0
    .kernarg_segment_align: 8
    .kernarg_segment_size: 120
    .language:       OpenCL C
    .language_version:
      - 2
      - 0
    .max_flat_workgroup_size: 512
    .name:           _ZN7rocprim17ROCPRIM_400000_NS6detail17trampoline_kernelINS0_14default_configENS1_25partition_config_selectorILNS1_17partition_subalgoE9EllbEEZZNS1_14partition_implILS5_9ELb0ES3_jPlS8_PNS0_10empty_typeENS0_5tupleIJS8_S9_EEENSB_IJS8_SA_EEENS0_18inequality_wrapperIZN2at6native12_GLOBAL__N_124unique_dim_cuda_templateIN3c108BFloat16EEESt5tupleIJNSF_6TensorESM_SM_EERKSM_lbbbEUlllE0_EEPmJS9_EEE10hipError_tPvRmT3_T4_T5_T6_T7_T9_mT8_P12ihipStream_tbDpT10_ENKUlT_T0_E_clISt17integral_constantIbLb0EES1C_EEDaS17_S18_EUlS17_E_NS1_11comp_targetILNS1_3genE5ELNS1_11target_archE942ELNS1_3gpuE9ELNS1_3repE0EEENS1_30default_config_static_selectorELNS0_4arch9wavefront6targetE0EEEvT1_
    .private_segment_fixed_size: 0
    .sgpr_count:     0
    .sgpr_spill_count: 0
    .symbol:         _ZN7rocprim17ROCPRIM_400000_NS6detail17trampoline_kernelINS0_14default_configENS1_25partition_config_selectorILNS1_17partition_subalgoE9EllbEEZZNS1_14partition_implILS5_9ELb0ES3_jPlS8_PNS0_10empty_typeENS0_5tupleIJS8_S9_EEENSB_IJS8_SA_EEENS0_18inequality_wrapperIZN2at6native12_GLOBAL__N_124unique_dim_cuda_templateIN3c108BFloat16EEESt5tupleIJNSF_6TensorESM_SM_EERKSM_lbbbEUlllE0_EEPmJS9_EEE10hipError_tPvRmT3_T4_T5_T6_T7_T9_mT8_P12ihipStream_tbDpT10_ENKUlT_T0_E_clISt17integral_constantIbLb0EES1C_EEDaS17_S18_EUlS17_E_NS1_11comp_targetILNS1_3genE5ELNS1_11target_archE942ELNS1_3gpuE9ELNS1_3repE0EEENS1_30default_config_static_selectorELNS0_4arch9wavefront6targetE0EEEvT1_.kd
    .uniform_work_group_size: 1
    .uses_dynamic_stack: false
    .vgpr_count:     0
    .vgpr_spill_count: 0
    .wavefront_size: 32
    .workgroup_processor_mode: 1
  - .args:
      - .offset:         0
        .size:           120
        .value_kind:     by_value
    .group_segment_fixed_size: 0
    .kernarg_segment_align: 8
    .kernarg_segment_size: 120
    .language:       OpenCL C
    .language_version:
      - 2
      - 0
    .max_flat_workgroup_size: 128
    .name:           _ZN7rocprim17ROCPRIM_400000_NS6detail17trampoline_kernelINS0_14default_configENS1_25partition_config_selectorILNS1_17partition_subalgoE9EllbEEZZNS1_14partition_implILS5_9ELb0ES3_jPlS8_PNS0_10empty_typeENS0_5tupleIJS8_S9_EEENSB_IJS8_SA_EEENS0_18inequality_wrapperIZN2at6native12_GLOBAL__N_124unique_dim_cuda_templateIN3c108BFloat16EEESt5tupleIJNSF_6TensorESM_SM_EERKSM_lbbbEUlllE0_EEPmJS9_EEE10hipError_tPvRmT3_T4_T5_T6_T7_T9_mT8_P12ihipStream_tbDpT10_ENKUlT_T0_E_clISt17integral_constantIbLb0EES1C_EEDaS17_S18_EUlS17_E_NS1_11comp_targetILNS1_3genE4ELNS1_11target_archE910ELNS1_3gpuE8ELNS1_3repE0EEENS1_30default_config_static_selectorELNS0_4arch9wavefront6targetE0EEEvT1_
    .private_segment_fixed_size: 0
    .sgpr_count:     0
    .sgpr_spill_count: 0
    .symbol:         _ZN7rocprim17ROCPRIM_400000_NS6detail17trampoline_kernelINS0_14default_configENS1_25partition_config_selectorILNS1_17partition_subalgoE9EllbEEZZNS1_14partition_implILS5_9ELb0ES3_jPlS8_PNS0_10empty_typeENS0_5tupleIJS8_S9_EEENSB_IJS8_SA_EEENS0_18inequality_wrapperIZN2at6native12_GLOBAL__N_124unique_dim_cuda_templateIN3c108BFloat16EEESt5tupleIJNSF_6TensorESM_SM_EERKSM_lbbbEUlllE0_EEPmJS9_EEE10hipError_tPvRmT3_T4_T5_T6_T7_T9_mT8_P12ihipStream_tbDpT10_ENKUlT_T0_E_clISt17integral_constantIbLb0EES1C_EEDaS17_S18_EUlS17_E_NS1_11comp_targetILNS1_3genE4ELNS1_11target_archE910ELNS1_3gpuE8ELNS1_3repE0EEENS1_30default_config_static_selectorELNS0_4arch9wavefront6targetE0EEEvT1_.kd
    .uniform_work_group_size: 1
    .uses_dynamic_stack: false
    .vgpr_count:     0
    .vgpr_spill_count: 0
    .wavefront_size: 32
    .workgroup_processor_mode: 1
  - .args:
      - .offset:         0
        .size:           120
        .value_kind:     by_value
    .group_segment_fixed_size: 0
    .kernarg_segment_align: 8
    .kernarg_segment_size: 120
    .language:       OpenCL C
    .language_version:
      - 2
      - 0
    .max_flat_workgroup_size: 128
    .name:           _ZN7rocprim17ROCPRIM_400000_NS6detail17trampoline_kernelINS0_14default_configENS1_25partition_config_selectorILNS1_17partition_subalgoE9EllbEEZZNS1_14partition_implILS5_9ELb0ES3_jPlS8_PNS0_10empty_typeENS0_5tupleIJS8_S9_EEENSB_IJS8_SA_EEENS0_18inequality_wrapperIZN2at6native12_GLOBAL__N_124unique_dim_cuda_templateIN3c108BFloat16EEESt5tupleIJNSF_6TensorESM_SM_EERKSM_lbbbEUlllE0_EEPmJS9_EEE10hipError_tPvRmT3_T4_T5_T6_T7_T9_mT8_P12ihipStream_tbDpT10_ENKUlT_T0_E_clISt17integral_constantIbLb0EES1C_EEDaS17_S18_EUlS17_E_NS1_11comp_targetILNS1_3genE3ELNS1_11target_archE908ELNS1_3gpuE7ELNS1_3repE0EEENS1_30default_config_static_selectorELNS0_4arch9wavefront6targetE0EEEvT1_
    .private_segment_fixed_size: 0
    .sgpr_count:     0
    .sgpr_spill_count: 0
    .symbol:         _ZN7rocprim17ROCPRIM_400000_NS6detail17trampoline_kernelINS0_14default_configENS1_25partition_config_selectorILNS1_17partition_subalgoE9EllbEEZZNS1_14partition_implILS5_9ELb0ES3_jPlS8_PNS0_10empty_typeENS0_5tupleIJS8_S9_EEENSB_IJS8_SA_EEENS0_18inequality_wrapperIZN2at6native12_GLOBAL__N_124unique_dim_cuda_templateIN3c108BFloat16EEESt5tupleIJNSF_6TensorESM_SM_EERKSM_lbbbEUlllE0_EEPmJS9_EEE10hipError_tPvRmT3_T4_T5_T6_T7_T9_mT8_P12ihipStream_tbDpT10_ENKUlT_T0_E_clISt17integral_constantIbLb0EES1C_EEDaS17_S18_EUlS17_E_NS1_11comp_targetILNS1_3genE3ELNS1_11target_archE908ELNS1_3gpuE7ELNS1_3repE0EEENS1_30default_config_static_selectorELNS0_4arch9wavefront6targetE0EEEvT1_.kd
    .uniform_work_group_size: 1
    .uses_dynamic_stack: false
    .vgpr_count:     0
    .vgpr_spill_count: 0
    .wavefront_size: 32
    .workgroup_processor_mode: 1
  - .args:
      - .offset:         0
        .size:           120
        .value_kind:     by_value
    .group_segment_fixed_size: 0
    .kernarg_segment_align: 8
    .kernarg_segment_size: 120
    .language:       OpenCL C
    .language_version:
      - 2
      - 0
    .max_flat_workgroup_size: 192
    .name:           _ZN7rocprim17ROCPRIM_400000_NS6detail17trampoline_kernelINS0_14default_configENS1_25partition_config_selectorILNS1_17partition_subalgoE9EllbEEZZNS1_14partition_implILS5_9ELb0ES3_jPlS8_PNS0_10empty_typeENS0_5tupleIJS8_S9_EEENSB_IJS8_SA_EEENS0_18inequality_wrapperIZN2at6native12_GLOBAL__N_124unique_dim_cuda_templateIN3c108BFloat16EEESt5tupleIJNSF_6TensorESM_SM_EERKSM_lbbbEUlllE0_EEPmJS9_EEE10hipError_tPvRmT3_T4_T5_T6_T7_T9_mT8_P12ihipStream_tbDpT10_ENKUlT_T0_E_clISt17integral_constantIbLb0EES1C_EEDaS17_S18_EUlS17_E_NS1_11comp_targetILNS1_3genE2ELNS1_11target_archE906ELNS1_3gpuE6ELNS1_3repE0EEENS1_30default_config_static_selectorELNS0_4arch9wavefront6targetE0EEEvT1_
    .private_segment_fixed_size: 0
    .sgpr_count:     0
    .sgpr_spill_count: 0
    .symbol:         _ZN7rocprim17ROCPRIM_400000_NS6detail17trampoline_kernelINS0_14default_configENS1_25partition_config_selectorILNS1_17partition_subalgoE9EllbEEZZNS1_14partition_implILS5_9ELb0ES3_jPlS8_PNS0_10empty_typeENS0_5tupleIJS8_S9_EEENSB_IJS8_SA_EEENS0_18inequality_wrapperIZN2at6native12_GLOBAL__N_124unique_dim_cuda_templateIN3c108BFloat16EEESt5tupleIJNSF_6TensorESM_SM_EERKSM_lbbbEUlllE0_EEPmJS9_EEE10hipError_tPvRmT3_T4_T5_T6_T7_T9_mT8_P12ihipStream_tbDpT10_ENKUlT_T0_E_clISt17integral_constantIbLb0EES1C_EEDaS17_S18_EUlS17_E_NS1_11comp_targetILNS1_3genE2ELNS1_11target_archE906ELNS1_3gpuE6ELNS1_3repE0EEENS1_30default_config_static_selectorELNS0_4arch9wavefront6targetE0EEEvT1_.kd
    .uniform_work_group_size: 1
    .uses_dynamic_stack: false
    .vgpr_count:     0
    .vgpr_spill_count: 0
    .wavefront_size: 32
    .workgroup_processor_mode: 1
  - .args:
      - .offset:         0
        .size:           120
        .value_kind:     by_value
    .group_segment_fixed_size: 0
    .kernarg_segment_align: 8
    .kernarg_segment_size: 120
    .language:       OpenCL C
    .language_version:
      - 2
      - 0
    .max_flat_workgroup_size: 384
    .name:           _ZN7rocprim17ROCPRIM_400000_NS6detail17trampoline_kernelINS0_14default_configENS1_25partition_config_selectorILNS1_17partition_subalgoE9EllbEEZZNS1_14partition_implILS5_9ELb0ES3_jPlS8_PNS0_10empty_typeENS0_5tupleIJS8_S9_EEENSB_IJS8_SA_EEENS0_18inequality_wrapperIZN2at6native12_GLOBAL__N_124unique_dim_cuda_templateIN3c108BFloat16EEESt5tupleIJNSF_6TensorESM_SM_EERKSM_lbbbEUlllE0_EEPmJS9_EEE10hipError_tPvRmT3_T4_T5_T6_T7_T9_mT8_P12ihipStream_tbDpT10_ENKUlT_T0_E_clISt17integral_constantIbLb0EES1C_EEDaS17_S18_EUlS17_E_NS1_11comp_targetILNS1_3genE10ELNS1_11target_archE1200ELNS1_3gpuE4ELNS1_3repE0EEENS1_30default_config_static_selectorELNS0_4arch9wavefront6targetE0EEEvT1_
    .private_segment_fixed_size: 0
    .sgpr_count:     0
    .sgpr_spill_count: 0
    .symbol:         _ZN7rocprim17ROCPRIM_400000_NS6detail17trampoline_kernelINS0_14default_configENS1_25partition_config_selectorILNS1_17partition_subalgoE9EllbEEZZNS1_14partition_implILS5_9ELb0ES3_jPlS8_PNS0_10empty_typeENS0_5tupleIJS8_S9_EEENSB_IJS8_SA_EEENS0_18inequality_wrapperIZN2at6native12_GLOBAL__N_124unique_dim_cuda_templateIN3c108BFloat16EEESt5tupleIJNSF_6TensorESM_SM_EERKSM_lbbbEUlllE0_EEPmJS9_EEE10hipError_tPvRmT3_T4_T5_T6_T7_T9_mT8_P12ihipStream_tbDpT10_ENKUlT_T0_E_clISt17integral_constantIbLb0EES1C_EEDaS17_S18_EUlS17_E_NS1_11comp_targetILNS1_3genE10ELNS1_11target_archE1200ELNS1_3gpuE4ELNS1_3repE0EEENS1_30default_config_static_selectorELNS0_4arch9wavefront6targetE0EEEvT1_.kd
    .uniform_work_group_size: 1
    .uses_dynamic_stack: false
    .vgpr_count:     0
    .vgpr_spill_count: 0
    .wavefront_size: 32
    .workgroup_processor_mode: 1
  - .args:
      - .offset:         0
        .size:           120
        .value_kind:     by_value
    .group_segment_fixed_size: 33804
    .kernarg_segment_align: 8
    .kernarg_segment_size: 120
    .language:       OpenCL C
    .language_version:
      - 2
      - 0
    .max_flat_workgroup_size: 512
    .name:           _ZN7rocprim17ROCPRIM_400000_NS6detail17trampoline_kernelINS0_14default_configENS1_25partition_config_selectorILNS1_17partition_subalgoE9EllbEEZZNS1_14partition_implILS5_9ELb0ES3_jPlS8_PNS0_10empty_typeENS0_5tupleIJS8_S9_EEENSB_IJS8_SA_EEENS0_18inequality_wrapperIZN2at6native12_GLOBAL__N_124unique_dim_cuda_templateIN3c108BFloat16EEESt5tupleIJNSF_6TensorESM_SM_EERKSM_lbbbEUlllE0_EEPmJS9_EEE10hipError_tPvRmT3_T4_T5_T6_T7_T9_mT8_P12ihipStream_tbDpT10_ENKUlT_T0_E_clISt17integral_constantIbLb0EES1C_EEDaS17_S18_EUlS17_E_NS1_11comp_targetILNS1_3genE9ELNS1_11target_archE1100ELNS1_3gpuE3ELNS1_3repE0EEENS1_30default_config_static_selectorELNS0_4arch9wavefront6targetE0EEEvT1_
    .private_segment_fixed_size: 0
    .sgpr_count:     38
    .sgpr_spill_count: 0
    .symbol:         _ZN7rocprim17ROCPRIM_400000_NS6detail17trampoline_kernelINS0_14default_configENS1_25partition_config_selectorILNS1_17partition_subalgoE9EllbEEZZNS1_14partition_implILS5_9ELb0ES3_jPlS8_PNS0_10empty_typeENS0_5tupleIJS8_S9_EEENSB_IJS8_SA_EEENS0_18inequality_wrapperIZN2at6native12_GLOBAL__N_124unique_dim_cuda_templateIN3c108BFloat16EEESt5tupleIJNSF_6TensorESM_SM_EERKSM_lbbbEUlllE0_EEPmJS9_EEE10hipError_tPvRmT3_T4_T5_T6_T7_T9_mT8_P12ihipStream_tbDpT10_ENKUlT_T0_E_clISt17integral_constantIbLb0EES1C_EEDaS17_S18_EUlS17_E_NS1_11comp_targetILNS1_3genE9ELNS1_11target_archE1100ELNS1_3gpuE3ELNS1_3repE0EEENS1_30default_config_static_selectorELNS0_4arch9wavefront6targetE0EEEvT1_.kd
    .uniform_work_group_size: 1
    .uses_dynamic_stack: false
    .vgpr_count:     68
    .vgpr_spill_count: 0
    .wavefront_size: 32
    .workgroup_processor_mode: 1
  - .args:
      - .offset:         0
        .size:           120
        .value_kind:     by_value
    .group_segment_fixed_size: 0
    .kernarg_segment_align: 8
    .kernarg_segment_size: 120
    .language:       OpenCL C
    .language_version:
      - 2
      - 0
    .max_flat_workgroup_size: 512
    .name:           _ZN7rocprim17ROCPRIM_400000_NS6detail17trampoline_kernelINS0_14default_configENS1_25partition_config_selectorILNS1_17partition_subalgoE9EllbEEZZNS1_14partition_implILS5_9ELb0ES3_jPlS8_PNS0_10empty_typeENS0_5tupleIJS8_S9_EEENSB_IJS8_SA_EEENS0_18inequality_wrapperIZN2at6native12_GLOBAL__N_124unique_dim_cuda_templateIN3c108BFloat16EEESt5tupleIJNSF_6TensorESM_SM_EERKSM_lbbbEUlllE0_EEPmJS9_EEE10hipError_tPvRmT3_T4_T5_T6_T7_T9_mT8_P12ihipStream_tbDpT10_ENKUlT_T0_E_clISt17integral_constantIbLb0EES1C_EEDaS17_S18_EUlS17_E_NS1_11comp_targetILNS1_3genE8ELNS1_11target_archE1030ELNS1_3gpuE2ELNS1_3repE0EEENS1_30default_config_static_selectorELNS0_4arch9wavefront6targetE0EEEvT1_
    .private_segment_fixed_size: 0
    .sgpr_count:     0
    .sgpr_spill_count: 0
    .symbol:         _ZN7rocprim17ROCPRIM_400000_NS6detail17trampoline_kernelINS0_14default_configENS1_25partition_config_selectorILNS1_17partition_subalgoE9EllbEEZZNS1_14partition_implILS5_9ELb0ES3_jPlS8_PNS0_10empty_typeENS0_5tupleIJS8_S9_EEENSB_IJS8_SA_EEENS0_18inequality_wrapperIZN2at6native12_GLOBAL__N_124unique_dim_cuda_templateIN3c108BFloat16EEESt5tupleIJNSF_6TensorESM_SM_EERKSM_lbbbEUlllE0_EEPmJS9_EEE10hipError_tPvRmT3_T4_T5_T6_T7_T9_mT8_P12ihipStream_tbDpT10_ENKUlT_T0_E_clISt17integral_constantIbLb0EES1C_EEDaS17_S18_EUlS17_E_NS1_11comp_targetILNS1_3genE8ELNS1_11target_archE1030ELNS1_3gpuE2ELNS1_3repE0EEENS1_30default_config_static_selectorELNS0_4arch9wavefront6targetE0EEEvT1_.kd
    .uniform_work_group_size: 1
    .uses_dynamic_stack: false
    .vgpr_count:     0
    .vgpr_spill_count: 0
    .wavefront_size: 32
    .workgroup_processor_mode: 1
  - .args:
      - .offset:         0
        .size:           136
        .value_kind:     by_value
    .group_segment_fixed_size: 0
    .kernarg_segment_align: 8
    .kernarg_segment_size: 136
    .language:       OpenCL C
    .language_version:
      - 2
      - 0
    .max_flat_workgroup_size: 128
    .name:           _ZN7rocprim17ROCPRIM_400000_NS6detail17trampoline_kernelINS0_14default_configENS1_25partition_config_selectorILNS1_17partition_subalgoE9EllbEEZZNS1_14partition_implILS5_9ELb0ES3_jPlS8_PNS0_10empty_typeENS0_5tupleIJS8_S9_EEENSB_IJS8_SA_EEENS0_18inequality_wrapperIZN2at6native12_GLOBAL__N_124unique_dim_cuda_templateIN3c108BFloat16EEESt5tupleIJNSF_6TensorESM_SM_EERKSM_lbbbEUlllE0_EEPmJS9_EEE10hipError_tPvRmT3_T4_T5_T6_T7_T9_mT8_P12ihipStream_tbDpT10_ENKUlT_T0_E_clISt17integral_constantIbLb1EES1C_EEDaS17_S18_EUlS17_E_NS1_11comp_targetILNS1_3genE0ELNS1_11target_archE4294967295ELNS1_3gpuE0ELNS1_3repE0EEENS1_30default_config_static_selectorELNS0_4arch9wavefront6targetE0EEEvT1_
    .private_segment_fixed_size: 0
    .sgpr_count:     0
    .sgpr_spill_count: 0
    .symbol:         _ZN7rocprim17ROCPRIM_400000_NS6detail17trampoline_kernelINS0_14default_configENS1_25partition_config_selectorILNS1_17partition_subalgoE9EllbEEZZNS1_14partition_implILS5_9ELb0ES3_jPlS8_PNS0_10empty_typeENS0_5tupleIJS8_S9_EEENSB_IJS8_SA_EEENS0_18inequality_wrapperIZN2at6native12_GLOBAL__N_124unique_dim_cuda_templateIN3c108BFloat16EEESt5tupleIJNSF_6TensorESM_SM_EERKSM_lbbbEUlllE0_EEPmJS9_EEE10hipError_tPvRmT3_T4_T5_T6_T7_T9_mT8_P12ihipStream_tbDpT10_ENKUlT_T0_E_clISt17integral_constantIbLb1EES1C_EEDaS17_S18_EUlS17_E_NS1_11comp_targetILNS1_3genE0ELNS1_11target_archE4294967295ELNS1_3gpuE0ELNS1_3repE0EEENS1_30default_config_static_selectorELNS0_4arch9wavefront6targetE0EEEvT1_.kd
    .uniform_work_group_size: 1
    .uses_dynamic_stack: false
    .vgpr_count:     0
    .vgpr_spill_count: 0
    .wavefront_size: 32
    .workgroup_processor_mode: 1
  - .args:
      - .offset:         0
        .size:           136
        .value_kind:     by_value
    .group_segment_fixed_size: 0
    .kernarg_segment_align: 8
    .kernarg_segment_size: 136
    .language:       OpenCL C
    .language_version:
      - 2
      - 0
    .max_flat_workgroup_size: 512
    .name:           _ZN7rocprim17ROCPRIM_400000_NS6detail17trampoline_kernelINS0_14default_configENS1_25partition_config_selectorILNS1_17partition_subalgoE9EllbEEZZNS1_14partition_implILS5_9ELb0ES3_jPlS8_PNS0_10empty_typeENS0_5tupleIJS8_S9_EEENSB_IJS8_SA_EEENS0_18inequality_wrapperIZN2at6native12_GLOBAL__N_124unique_dim_cuda_templateIN3c108BFloat16EEESt5tupleIJNSF_6TensorESM_SM_EERKSM_lbbbEUlllE0_EEPmJS9_EEE10hipError_tPvRmT3_T4_T5_T6_T7_T9_mT8_P12ihipStream_tbDpT10_ENKUlT_T0_E_clISt17integral_constantIbLb1EES1C_EEDaS17_S18_EUlS17_E_NS1_11comp_targetILNS1_3genE5ELNS1_11target_archE942ELNS1_3gpuE9ELNS1_3repE0EEENS1_30default_config_static_selectorELNS0_4arch9wavefront6targetE0EEEvT1_
    .private_segment_fixed_size: 0
    .sgpr_count:     0
    .sgpr_spill_count: 0
    .symbol:         _ZN7rocprim17ROCPRIM_400000_NS6detail17trampoline_kernelINS0_14default_configENS1_25partition_config_selectorILNS1_17partition_subalgoE9EllbEEZZNS1_14partition_implILS5_9ELb0ES3_jPlS8_PNS0_10empty_typeENS0_5tupleIJS8_S9_EEENSB_IJS8_SA_EEENS0_18inequality_wrapperIZN2at6native12_GLOBAL__N_124unique_dim_cuda_templateIN3c108BFloat16EEESt5tupleIJNSF_6TensorESM_SM_EERKSM_lbbbEUlllE0_EEPmJS9_EEE10hipError_tPvRmT3_T4_T5_T6_T7_T9_mT8_P12ihipStream_tbDpT10_ENKUlT_T0_E_clISt17integral_constantIbLb1EES1C_EEDaS17_S18_EUlS17_E_NS1_11comp_targetILNS1_3genE5ELNS1_11target_archE942ELNS1_3gpuE9ELNS1_3repE0EEENS1_30default_config_static_selectorELNS0_4arch9wavefront6targetE0EEEvT1_.kd
    .uniform_work_group_size: 1
    .uses_dynamic_stack: false
    .vgpr_count:     0
    .vgpr_spill_count: 0
    .wavefront_size: 32
    .workgroup_processor_mode: 1
  - .args:
      - .offset:         0
        .size:           136
        .value_kind:     by_value
    .group_segment_fixed_size: 0
    .kernarg_segment_align: 8
    .kernarg_segment_size: 136
    .language:       OpenCL C
    .language_version:
      - 2
      - 0
    .max_flat_workgroup_size: 128
    .name:           _ZN7rocprim17ROCPRIM_400000_NS6detail17trampoline_kernelINS0_14default_configENS1_25partition_config_selectorILNS1_17partition_subalgoE9EllbEEZZNS1_14partition_implILS5_9ELb0ES3_jPlS8_PNS0_10empty_typeENS0_5tupleIJS8_S9_EEENSB_IJS8_SA_EEENS0_18inequality_wrapperIZN2at6native12_GLOBAL__N_124unique_dim_cuda_templateIN3c108BFloat16EEESt5tupleIJNSF_6TensorESM_SM_EERKSM_lbbbEUlllE0_EEPmJS9_EEE10hipError_tPvRmT3_T4_T5_T6_T7_T9_mT8_P12ihipStream_tbDpT10_ENKUlT_T0_E_clISt17integral_constantIbLb1EES1C_EEDaS17_S18_EUlS17_E_NS1_11comp_targetILNS1_3genE4ELNS1_11target_archE910ELNS1_3gpuE8ELNS1_3repE0EEENS1_30default_config_static_selectorELNS0_4arch9wavefront6targetE0EEEvT1_
    .private_segment_fixed_size: 0
    .sgpr_count:     0
    .sgpr_spill_count: 0
    .symbol:         _ZN7rocprim17ROCPRIM_400000_NS6detail17trampoline_kernelINS0_14default_configENS1_25partition_config_selectorILNS1_17partition_subalgoE9EllbEEZZNS1_14partition_implILS5_9ELb0ES3_jPlS8_PNS0_10empty_typeENS0_5tupleIJS8_S9_EEENSB_IJS8_SA_EEENS0_18inequality_wrapperIZN2at6native12_GLOBAL__N_124unique_dim_cuda_templateIN3c108BFloat16EEESt5tupleIJNSF_6TensorESM_SM_EERKSM_lbbbEUlllE0_EEPmJS9_EEE10hipError_tPvRmT3_T4_T5_T6_T7_T9_mT8_P12ihipStream_tbDpT10_ENKUlT_T0_E_clISt17integral_constantIbLb1EES1C_EEDaS17_S18_EUlS17_E_NS1_11comp_targetILNS1_3genE4ELNS1_11target_archE910ELNS1_3gpuE8ELNS1_3repE0EEENS1_30default_config_static_selectorELNS0_4arch9wavefront6targetE0EEEvT1_.kd
    .uniform_work_group_size: 1
    .uses_dynamic_stack: false
    .vgpr_count:     0
    .vgpr_spill_count: 0
    .wavefront_size: 32
    .workgroup_processor_mode: 1
  - .args:
      - .offset:         0
        .size:           136
        .value_kind:     by_value
    .group_segment_fixed_size: 0
    .kernarg_segment_align: 8
    .kernarg_segment_size: 136
    .language:       OpenCL C
    .language_version:
      - 2
      - 0
    .max_flat_workgroup_size: 128
    .name:           _ZN7rocprim17ROCPRIM_400000_NS6detail17trampoline_kernelINS0_14default_configENS1_25partition_config_selectorILNS1_17partition_subalgoE9EllbEEZZNS1_14partition_implILS5_9ELb0ES3_jPlS8_PNS0_10empty_typeENS0_5tupleIJS8_S9_EEENSB_IJS8_SA_EEENS0_18inequality_wrapperIZN2at6native12_GLOBAL__N_124unique_dim_cuda_templateIN3c108BFloat16EEESt5tupleIJNSF_6TensorESM_SM_EERKSM_lbbbEUlllE0_EEPmJS9_EEE10hipError_tPvRmT3_T4_T5_T6_T7_T9_mT8_P12ihipStream_tbDpT10_ENKUlT_T0_E_clISt17integral_constantIbLb1EES1C_EEDaS17_S18_EUlS17_E_NS1_11comp_targetILNS1_3genE3ELNS1_11target_archE908ELNS1_3gpuE7ELNS1_3repE0EEENS1_30default_config_static_selectorELNS0_4arch9wavefront6targetE0EEEvT1_
    .private_segment_fixed_size: 0
    .sgpr_count:     0
    .sgpr_spill_count: 0
    .symbol:         _ZN7rocprim17ROCPRIM_400000_NS6detail17trampoline_kernelINS0_14default_configENS1_25partition_config_selectorILNS1_17partition_subalgoE9EllbEEZZNS1_14partition_implILS5_9ELb0ES3_jPlS8_PNS0_10empty_typeENS0_5tupleIJS8_S9_EEENSB_IJS8_SA_EEENS0_18inequality_wrapperIZN2at6native12_GLOBAL__N_124unique_dim_cuda_templateIN3c108BFloat16EEESt5tupleIJNSF_6TensorESM_SM_EERKSM_lbbbEUlllE0_EEPmJS9_EEE10hipError_tPvRmT3_T4_T5_T6_T7_T9_mT8_P12ihipStream_tbDpT10_ENKUlT_T0_E_clISt17integral_constantIbLb1EES1C_EEDaS17_S18_EUlS17_E_NS1_11comp_targetILNS1_3genE3ELNS1_11target_archE908ELNS1_3gpuE7ELNS1_3repE0EEENS1_30default_config_static_selectorELNS0_4arch9wavefront6targetE0EEEvT1_.kd
    .uniform_work_group_size: 1
    .uses_dynamic_stack: false
    .vgpr_count:     0
    .vgpr_spill_count: 0
    .wavefront_size: 32
    .workgroup_processor_mode: 1
  - .args:
      - .offset:         0
        .size:           136
        .value_kind:     by_value
    .group_segment_fixed_size: 0
    .kernarg_segment_align: 8
    .kernarg_segment_size: 136
    .language:       OpenCL C
    .language_version:
      - 2
      - 0
    .max_flat_workgroup_size: 192
    .name:           _ZN7rocprim17ROCPRIM_400000_NS6detail17trampoline_kernelINS0_14default_configENS1_25partition_config_selectorILNS1_17partition_subalgoE9EllbEEZZNS1_14partition_implILS5_9ELb0ES3_jPlS8_PNS0_10empty_typeENS0_5tupleIJS8_S9_EEENSB_IJS8_SA_EEENS0_18inequality_wrapperIZN2at6native12_GLOBAL__N_124unique_dim_cuda_templateIN3c108BFloat16EEESt5tupleIJNSF_6TensorESM_SM_EERKSM_lbbbEUlllE0_EEPmJS9_EEE10hipError_tPvRmT3_T4_T5_T6_T7_T9_mT8_P12ihipStream_tbDpT10_ENKUlT_T0_E_clISt17integral_constantIbLb1EES1C_EEDaS17_S18_EUlS17_E_NS1_11comp_targetILNS1_3genE2ELNS1_11target_archE906ELNS1_3gpuE6ELNS1_3repE0EEENS1_30default_config_static_selectorELNS0_4arch9wavefront6targetE0EEEvT1_
    .private_segment_fixed_size: 0
    .sgpr_count:     0
    .sgpr_spill_count: 0
    .symbol:         _ZN7rocprim17ROCPRIM_400000_NS6detail17trampoline_kernelINS0_14default_configENS1_25partition_config_selectorILNS1_17partition_subalgoE9EllbEEZZNS1_14partition_implILS5_9ELb0ES3_jPlS8_PNS0_10empty_typeENS0_5tupleIJS8_S9_EEENSB_IJS8_SA_EEENS0_18inequality_wrapperIZN2at6native12_GLOBAL__N_124unique_dim_cuda_templateIN3c108BFloat16EEESt5tupleIJNSF_6TensorESM_SM_EERKSM_lbbbEUlllE0_EEPmJS9_EEE10hipError_tPvRmT3_T4_T5_T6_T7_T9_mT8_P12ihipStream_tbDpT10_ENKUlT_T0_E_clISt17integral_constantIbLb1EES1C_EEDaS17_S18_EUlS17_E_NS1_11comp_targetILNS1_3genE2ELNS1_11target_archE906ELNS1_3gpuE6ELNS1_3repE0EEENS1_30default_config_static_selectorELNS0_4arch9wavefront6targetE0EEEvT1_.kd
    .uniform_work_group_size: 1
    .uses_dynamic_stack: false
    .vgpr_count:     0
    .vgpr_spill_count: 0
    .wavefront_size: 32
    .workgroup_processor_mode: 1
  - .args:
      - .offset:         0
        .size:           136
        .value_kind:     by_value
    .group_segment_fixed_size: 0
    .kernarg_segment_align: 8
    .kernarg_segment_size: 136
    .language:       OpenCL C
    .language_version:
      - 2
      - 0
    .max_flat_workgroup_size: 384
    .name:           _ZN7rocprim17ROCPRIM_400000_NS6detail17trampoline_kernelINS0_14default_configENS1_25partition_config_selectorILNS1_17partition_subalgoE9EllbEEZZNS1_14partition_implILS5_9ELb0ES3_jPlS8_PNS0_10empty_typeENS0_5tupleIJS8_S9_EEENSB_IJS8_SA_EEENS0_18inequality_wrapperIZN2at6native12_GLOBAL__N_124unique_dim_cuda_templateIN3c108BFloat16EEESt5tupleIJNSF_6TensorESM_SM_EERKSM_lbbbEUlllE0_EEPmJS9_EEE10hipError_tPvRmT3_T4_T5_T6_T7_T9_mT8_P12ihipStream_tbDpT10_ENKUlT_T0_E_clISt17integral_constantIbLb1EES1C_EEDaS17_S18_EUlS17_E_NS1_11comp_targetILNS1_3genE10ELNS1_11target_archE1200ELNS1_3gpuE4ELNS1_3repE0EEENS1_30default_config_static_selectorELNS0_4arch9wavefront6targetE0EEEvT1_
    .private_segment_fixed_size: 0
    .sgpr_count:     0
    .sgpr_spill_count: 0
    .symbol:         _ZN7rocprim17ROCPRIM_400000_NS6detail17trampoline_kernelINS0_14default_configENS1_25partition_config_selectorILNS1_17partition_subalgoE9EllbEEZZNS1_14partition_implILS5_9ELb0ES3_jPlS8_PNS0_10empty_typeENS0_5tupleIJS8_S9_EEENSB_IJS8_SA_EEENS0_18inequality_wrapperIZN2at6native12_GLOBAL__N_124unique_dim_cuda_templateIN3c108BFloat16EEESt5tupleIJNSF_6TensorESM_SM_EERKSM_lbbbEUlllE0_EEPmJS9_EEE10hipError_tPvRmT3_T4_T5_T6_T7_T9_mT8_P12ihipStream_tbDpT10_ENKUlT_T0_E_clISt17integral_constantIbLb1EES1C_EEDaS17_S18_EUlS17_E_NS1_11comp_targetILNS1_3genE10ELNS1_11target_archE1200ELNS1_3gpuE4ELNS1_3repE0EEENS1_30default_config_static_selectorELNS0_4arch9wavefront6targetE0EEEvT1_.kd
    .uniform_work_group_size: 1
    .uses_dynamic_stack: false
    .vgpr_count:     0
    .vgpr_spill_count: 0
    .wavefront_size: 32
    .workgroup_processor_mode: 1
  - .args:
      - .offset:         0
        .size:           136
        .value_kind:     by_value
    .group_segment_fixed_size: 33804
    .kernarg_segment_align: 8
    .kernarg_segment_size: 136
    .language:       OpenCL C
    .language_version:
      - 2
      - 0
    .max_flat_workgroup_size: 512
    .name:           _ZN7rocprim17ROCPRIM_400000_NS6detail17trampoline_kernelINS0_14default_configENS1_25partition_config_selectorILNS1_17partition_subalgoE9EllbEEZZNS1_14partition_implILS5_9ELb0ES3_jPlS8_PNS0_10empty_typeENS0_5tupleIJS8_S9_EEENSB_IJS8_SA_EEENS0_18inequality_wrapperIZN2at6native12_GLOBAL__N_124unique_dim_cuda_templateIN3c108BFloat16EEESt5tupleIJNSF_6TensorESM_SM_EERKSM_lbbbEUlllE0_EEPmJS9_EEE10hipError_tPvRmT3_T4_T5_T6_T7_T9_mT8_P12ihipStream_tbDpT10_ENKUlT_T0_E_clISt17integral_constantIbLb1EES1C_EEDaS17_S18_EUlS17_E_NS1_11comp_targetILNS1_3genE9ELNS1_11target_archE1100ELNS1_3gpuE3ELNS1_3repE0EEENS1_30default_config_static_selectorELNS0_4arch9wavefront6targetE0EEEvT1_
    .private_segment_fixed_size: 0
    .sgpr_count:     42
    .sgpr_spill_count: 0
    .symbol:         _ZN7rocprim17ROCPRIM_400000_NS6detail17trampoline_kernelINS0_14default_configENS1_25partition_config_selectorILNS1_17partition_subalgoE9EllbEEZZNS1_14partition_implILS5_9ELb0ES3_jPlS8_PNS0_10empty_typeENS0_5tupleIJS8_S9_EEENSB_IJS8_SA_EEENS0_18inequality_wrapperIZN2at6native12_GLOBAL__N_124unique_dim_cuda_templateIN3c108BFloat16EEESt5tupleIJNSF_6TensorESM_SM_EERKSM_lbbbEUlllE0_EEPmJS9_EEE10hipError_tPvRmT3_T4_T5_T6_T7_T9_mT8_P12ihipStream_tbDpT10_ENKUlT_T0_E_clISt17integral_constantIbLb1EES1C_EEDaS17_S18_EUlS17_E_NS1_11comp_targetILNS1_3genE9ELNS1_11target_archE1100ELNS1_3gpuE3ELNS1_3repE0EEENS1_30default_config_static_selectorELNS0_4arch9wavefront6targetE0EEEvT1_.kd
    .uniform_work_group_size: 1
    .uses_dynamic_stack: false
    .vgpr_count:     68
    .vgpr_spill_count: 0
    .wavefront_size: 32
    .workgroup_processor_mode: 1
  - .args:
      - .offset:         0
        .size:           136
        .value_kind:     by_value
    .group_segment_fixed_size: 0
    .kernarg_segment_align: 8
    .kernarg_segment_size: 136
    .language:       OpenCL C
    .language_version:
      - 2
      - 0
    .max_flat_workgroup_size: 512
    .name:           _ZN7rocprim17ROCPRIM_400000_NS6detail17trampoline_kernelINS0_14default_configENS1_25partition_config_selectorILNS1_17partition_subalgoE9EllbEEZZNS1_14partition_implILS5_9ELb0ES3_jPlS8_PNS0_10empty_typeENS0_5tupleIJS8_S9_EEENSB_IJS8_SA_EEENS0_18inequality_wrapperIZN2at6native12_GLOBAL__N_124unique_dim_cuda_templateIN3c108BFloat16EEESt5tupleIJNSF_6TensorESM_SM_EERKSM_lbbbEUlllE0_EEPmJS9_EEE10hipError_tPvRmT3_T4_T5_T6_T7_T9_mT8_P12ihipStream_tbDpT10_ENKUlT_T0_E_clISt17integral_constantIbLb1EES1C_EEDaS17_S18_EUlS17_E_NS1_11comp_targetILNS1_3genE8ELNS1_11target_archE1030ELNS1_3gpuE2ELNS1_3repE0EEENS1_30default_config_static_selectorELNS0_4arch9wavefront6targetE0EEEvT1_
    .private_segment_fixed_size: 0
    .sgpr_count:     0
    .sgpr_spill_count: 0
    .symbol:         _ZN7rocprim17ROCPRIM_400000_NS6detail17trampoline_kernelINS0_14default_configENS1_25partition_config_selectorILNS1_17partition_subalgoE9EllbEEZZNS1_14partition_implILS5_9ELb0ES3_jPlS8_PNS0_10empty_typeENS0_5tupleIJS8_S9_EEENSB_IJS8_SA_EEENS0_18inequality_wrapperIZN2at6native12_GLOBAL__N_124unique_dim_cuda_templateIN3c108BFloat16EEESt5tupleIJNSF_6TensorESM_SM_EERKSM_lbbbEUlllE0_EEPmJS9_EEE10hipError_tPvRmT3_T4_T5_T6_T7_T9_mT8_P12ihipStream_tbDpT10_ENKUlT_T0_E_clISt17integral_constantIbLb1EES1C_EEDaS17_S18_EUlS17_E_NS1_11comp_targetILNS1_3genE8ELNS1_11target_archE1030ELNS1_3gpuE2ELNS1_3repE0EEENS1_30default_config_static_selectorELNS0_4arch9wavefront6targetE0EEEvT1_.kd
    .uniform_work_group_size: 1
    .uses_dynamic_stack: false
    .vgpr_count:     0
    .vgpr_spill_count: 0
    .wavefront_size: 32
    .workgroup_processor_mode: 1
  - .args:
      - .offset:         0
        .size:           120
        .value_kind:     by_value
    .group_segment_fixed_size: 0
    .kernarg_segment_align: 8
    .kernarg_segment_size: 120
    .language:       OpenCL C
    .language_version:
      - 2
      - 0
    .max_flat_workgroup_size: 128
    .name:           _ZN7rocprim17ROCPRIM_400000_NS6detail17trampoline_kernelINS0_14default_configENS1_25partition_config_selectorILNS1_17partition_subalgoE9EllbEEZZNS1_14partition_implILS5_9ELb0ES3_jPlS8_PNS0_10empty_typeENS0_5tupleIJS8_S9_EEENSB_IJS8_SA_EEENS0_18inequality_wrapperIZN2at6native12_GLOBAL__N_124unique_dim_cuda_templateIN3c108BFloat16EEESt5tupleIJNSF_6TensorESM_SM_EERKSM_lbbbEUlllE0_EEPmJS9_EEE10hipError_tPvRmT3_T4_T5_T6_T7_T9_mT8_P12ihipStream_tbDpT10_ENKUlT_T0_E_clISt17integral_constantIbLb1EES1B_IbLb0EEEEDaS17_S18_EUlS17_E_NS1_11comp_targetILNS1_3genE0ELNS1_11target_archE4294967295ELNS1_3gpuE0ELNS1_3repE0EEENS1_30default_config_static_selectorELNS0_4arch9wavefront6targetE0EEEvT1_
    .private_segment_fixed_size: 0
    .sgpr_count:     0
    .sgpr_spill_count: 0
    .symbol:         _ZN7rocprim17ROCPRIM_400000_NS6detail17trampoline_kernelINS0_14default_configENS1_25partition_config_selectorILNS1_17partition_subalgoE9EllbEEZZNS1_14partition_implILS5_9ELb0ES3_jPlS8_PNS0_10empty_typeENS0_5tupleIJS8_S9_EEENSB_IJS8_SA_EEENS0_18inequality_wrapperIZN2at6native12_GLOBAL__N_124unique_dim_cuda_templateIN3c108BFloat16EEESt5tupleIJNSF_6TensorESM_SM_EERKSM_lbbbEUlllE0_EEPmJS9_EEE10hipError_tPvRmT3_T4_T5_T6_T7_T9_mT8_P12ihipStream_tbDpT10_ENKUlT_T0_E_clISt17integral_constantIbLb1EES1B_IbLb0EEEEDaS17_S18_EUlS17_E_NS1_11comp_targetILNS1_3genE0ELNS1_11target_archE4294967295ELNS1_3gpuE0ELNS1_3repE0EEENS1_30default_config_static_selectorELNS0_4arch9wavefront6targetE0EEEvT1_.kd
    .uniform_work_group_size: 1
    .uses_dynamic_stack: false
    .vgpr_count:     0
    .vgpr_spill_count: 0
    .wavefront_size: 32
    .workgroup_processor_mode: 1
  - .args:
      - .offset:         0
        .size:           120
        .value_kind:     by_value
    .group_segment_fixed_size: 0
    .kernarg_segment_align: 8
    .kernarg_segment_size: 120
    .language:       OpenCL C
    .language_version:
      - 2
      - 0
    .max_flat_workgroup_size: 512
    .name:           _ZN7rocprim17ROCPRIM_400000_NS6detail17trampoline_kernelINS0_14default_configENS1_25partition_config_selectorILNS1_17partition_subalgoE9EllbEEZZNS1_14partition_implILS5_9ELb0ES3_jPlS8_PNS0_10empty_typeENS0_5tupleIJS8_S9_EEENSB_IJS8_SA_EEENS0_18inequality_wrapperIZN2at6native12_GLOBAL__N_124unique_dim_cuda_templateIN3c108BFloat16EEESt5tupleIJNSF_6TensorESM_SM_EERKSM_lbbbEUlllE0_EEPmJS9_EEE10hipError_tPvRmT3_T4_T5_T6_T7_T9_mT8_P12ihipStream_tbDpT10_ENKUlT_T0_E_clISt17integral_constantIbLb1EES1B_IbLb0EEEEDaS17_S18_EUlS17_E_NS1_11comp_targetILNS1_3genE5ELNS1_11target_archE942ELNS1_3gpuE9ELNS1_3repE0EEENS1_30default_config_static_selectorELNS0_4arch9wavefront6targetE0EEEvT1_
    .private_segment_fixed_size: 0
    .sgpr_count:     0
    .sgpr_spill_count: 0
    .symbol:         _ZN7rocprim17ROCPRIM_400000_NS6detail17trampoline_kernelINS0_14default_configENS1_25partition_config_selectorILNS1_17partition_subalgoE9EllbEEZZNS1_14partition_implILS5_9ELb0ES3_jPlS8_PNS0_10empty_typeENS0_5tupleIJS8_S9_EEENSB_IJS8_SA_EEENS0_18inequality_wrapperIZN2at6native12_GLOBAL__N_124unique_dim_cuda_templateIN3c108BFloat16EEESt5tupleIJNSF_6TensorESM_SM_EERKSM_lbbbEUlllE0_EEPmJS9_EEE10hipError_tPvRmT3_T4_T5_T6_T7_T9_mT8_P12ihipStream_tbDpT10_ENKUlT_T0_E_clISt17integral_constantIbLb1EES1B_IbLb0EEEEDaS17_S18_EUlS17_E_NS1_11comp_targetILNS1_3genE5ELNS1_11target_archE942ELNS1_3gpuE9ELNS1_3repE0EEENS1_30default_config_static_selectorELNS0_4arch9wavefront6targetE0EEEvT1_.kd
    .uniform_work_group_size: 1
    .uses_dynamic_stack: false
    .vgpr_count:     0
    .vgpr_spill_count: 0
    .wavefront_size: 32
    .workgroup_processor_mode: 1
  - .args:
      - .offset:         0
        .size:           120
        .value_kind:     by_value
    .group_segment_fixed_size: 0
    .kernarg_segment_align: 8
    .kernarg_segment_size: 120
    .language:       OpenCL C
    .language_version:
      - 2
      - 0
    .max_flat_workgroup_size: 128
    .name:           _ZN7rocprim17ROCPRIM_400000_NS6detail17trampoline_kernelINS0_14default_configENS1_25partition_config_selectorILNS1_17partition_subalgoE9EllbEEZZNS1_14partition_implILS5_9ELb0ES3_jPlS8_PNS0_10empty_typeENS0_5tupleIJS8_S9_EEENSB_IJS8_SA_EEENS0_18inequality_wrapperIZN2at6native12_GLOBAL__N_124unique_dim_cuda_templateIN3c108BFloat16EEESt5tupleIJNSF_6TensorESM_SM_EERKSM_lbbbEUlllE0_EEPmJS9_EEE10hipError_tPvRmT3_T4_T5_T6_T7_T9_mT8_P12ihipStream_tbDpT10_ENKUlT_T0_E_clISt17integral_constantIbLb1EES1B_IbLb0EEEEDaS17_S18_EUlS17_E_NS1_11comp_targetILNS1_3genE4ELNS1_11target_archE910ELNS1_3gpuE8ELNS1_3repE0EEENS1_30default_config_static_selectorELNS0_4arch9wavefront6targetE0EEEvT1_
    .private_segment_fixed_size: 0
    .sgpr_count:     0
    .sgpr_spill_count: 0
    .symbol:         _ZN7rocprim17ROCPRIM_400000_NS6detail17trampoline_kernelINS0_14default_configENS1_25partition_config_selectorILNS1_17partition_subalgoE9EllbEEZZNS1_14partition_implILS5_9ELb0ES3_jPlS8_PNS0_10empty_typeENS0_5tupleIJS8_S9_EEENSB_IJS8_SA_EEENS0_18inequality_wrapperIZN2at6native12_GLOBAL__N_124unique_dim_cuda_templateIN3c108BFloat16EEESt5tupleIJNSF_6TensorESM_SM_EERKSM_lbbbEUlllE0_EEPmJS9_EEE10hipError_tPvRmT3_T4_T5_T6_T7_T9_mT8_P12ihipStream_tbDpT10_ENKUlT_T0_E_clISt17integral_constantIbLb1EES1B_IbLb0EEEEDaS17_S18_EUlS17_E_NS1_11comp_targetILNS1_3genE4ELNS1_11target_archE910ELNS1_3gpuE8ELNS1_3repE0EEENS1_30default_config_static_selectorELNS0_4arch9wavefront6targetE0EEEvT1_.kd
    .uniform_work_group_size: 1
    .uses_dynamic_stack: false
    .vgpr_count:     0
    .vgpr_spill_count: 0
    .wavefront_size: 32
    .workgroup_processor_mode: 1
  - .args:
      - .offset:         0
        .size:           120
        .value_kind:     by_value
    .group_segment_fixed_size: 0
    .kernarg_segment_align: 8
    .kernarg_segment_size: 120
    .language:       OpenCL C
    .language_version:
      - 2
      - 0
    .max_flat_workgroup_size: 128
    .name:           _ZN7rocprim17ROCPRIM_400000_NS6detail17trampoline_kernelINS0_14default_configENS1_25partition_config_selectorILNS1_17partition_subalgoE9EllbEEZZNS1_14partition_implILS5_9ELb0ES3_jPlS8_PNS0_10empty_typeENS0_5tupleIJS8_S9_EEENSB_IJS8_SA_EEENS0_18inequality_wrapperIZN2at6native12_GLOBAL__N_124unique_dim_cuda_templateIN3c108BFloat16EEESt5tupleIJNSF_6TensorESM_SM_EERKSM_lbbbEUlllE0_EEPmJS9_EEE10hipError_tPvRmT3_T4_T5_T6_T7_T9_mT8_P12ihipStream_tbDpT10_ENKUlT_T0_E_clISt17integral_constantIbLb1EES1B_IbLb0EEEEDaS17_S18_EUlS17_E_NS1_11comp_targetILNS1_3genE3ELNS1_11target_archE908ELNS1_3gpuE7ELNS1_3repE0EEENS1_30default_config_static_selectorELNS0_4arch9wavefront6targetE0EEEvT1_
    .private_segment_fixed_size: 0
    .sgpr_count:     0
    .sgpr_spill_count: 0
    .symbol:         _ZN7rocprim17ROCPRIM_400000_NS6detail17trampoline_kernelINS0_14default_configENS1_25partition_config_selectorILNS1_17partition_subalgoE9EllbEEZZNS1_14partition_implILS5_9ELb0ES3_jPlS8_PNS0_10empty_typeENS0_5tupleIJS8_S9_EEENSB_IJS8_SA_EEENS0_18inequality_wrapperIZN2at6native12_GLOBAL__N_124unique_dim_cuda_templateIN3c108BFloat16EEESt5tupleIJNSF_6TensorESM_SM_EERKSM_lbbbEUlllE0_EEPmJS9_EEE10hipError_tPvRmT3_T4_T5_T6_T7_T9_mT8_P12ihipStream_tbDpT10_ENKUlT_T0_E_clISt17integral_constantIbLb1EES1B_IbLb0EEEEDaS17_S18_EUlS17_E_NS1_11comp_targetILNS1_3genE3ELNS1_11target_archE908ELNS1_3gpuE7ELNS1_3repE0EEENS1_30default_config_static_selectorELNS0_4arch9wavefront6targetE0EEEvT1_.kd
    .uniform_work_group_size: 1
    .uses_dynamic_stack: false
    .vgpr_count:     0
    .vgpr_spill_count: 0
    .wavefront_size: 32
    .workgroup_processor_mode: 1
  - .args:
      - .offset:         0
        .size:           120
        .value_kind:     by_value
    .group_segment_fixed_size: 0
    .kernarg_segment_align: 8
    .kernarg_segment_size: 120
    .language:       OpenCL C
    .language_version:
      - 2
      - 0
    .max_flat_workgroup_size: 192
    .name:           _ZN7rocprim17ROCPRIM_400000_NS6detail17trampoline_kernelINS0_14default_configENS1_25partition_config_selectorILNS1_17partition_subalgoE9EllbEEZZNS1_14partition_implILS5_9ELb0ES3_jPlS8_PNS0_10empty_typeENS0_5tupleIJS8_S9_EEENSB_IJS8_SA_EEENS0_18inequality_wrapperIZN2at6native12_GLOBAL__N_124unique_dim_cuda_templateIN3c108BFloat16EEESt5tupleIJNSF_6TensorESM_SM_EERKSM_lbbbEUlllE0_EEPmJS9_EEE10hipError_tPvRmT3_T4_T5_T6_T7_T9_mT8_P12ihipStream_tbDpT10_ENKUlT_T0_E_clISt17integral_constantIbLb1EES1B_IbLb0EEEEDaS17_S18_EUlS17_E_NS1_11comp_targetILNS1_3genE2ELNS1_11target_archE906ELNS1_3gpuE6ELNS1_3repE0EEENS1_30default_config_static_selectorELNS0_4arch9wavefront6targetE0EEEvT1_
    .private_segment_fixed_size: 0
    .sgpr_count:     0
    .sgpr_spill_count: 0
    .symbol:         _ZN7rocprim17ROCPRIM_400000_NS6detail17trampoline_kernelINS0_14default_configENS1_25partition_config_selectorILNS1_17partition_subalgoE9EllbEEZZNS1_14partition_implILS5_9ELb0ES3_jPlS8_PNS0_10empty_typeENS0_5tupleIJS8_S9_EEENSB_IJS8_SA_EEENS0_18inequality_wrapperIZN2at6native12_GLOBAL__N_124unique_dim_cuda_templateIN3c108BFloat16EEESt5tupleIJNSF_6TensorESM_SM_EERKSM_lbbbEUlllE0_EEPmJS9_EEE10hipError_tPvRmT3_T4_T5_T6_T7_T9_mT8_P12ihipStream_tbDpT10_ENKUlT_T0_E_clISt17integral_constantIbLb1EES1B_IbLb0EEEEDaS17_S18_EUlS17_E_NS1_11comp_targetILNS1_3genE2ELNS1_11target_archE906ELNS1_3gpuE6ELNS1_3repE0EEENS1_30default_config_static_selectorELNS0_4arch9wavefront6targetE0EEEvT1_.kd
    .uniform_work_group_size: 1
    .uses_dynamic_stack: false
    .vgpr_count:     0
    .vgpr_spill_count: 0
    .wavefront_size: 32
    .workgroup_processor_mode: 1
  - .args:
      - .offset:         0
        .size:           120
        .value_kind:     by_value
    .group_segment_fixed_size: 0
    .kernarg_segment_align: 8
    .kernarg_segment_size: 120
    .language:       OpenCL C
    .language_version:
      - 2
      - 0
    .max_flat_workgroup_size: 384
    .name:           _ZN7rocprim17ROCPRIM_400000_NS6detail17trampoline_kernelINS0_14default_configENS1_25partition_config_selectorILNS1_17partition_subalgoE9EllbEEZZNS1_14partition_implILS5_9ELb0ES3_jPlS8_PNS0_10empty_typeENS0_5tupleIJS8_S9_EEENSB_IJS8_SA_EEENS0_18inequality_wrapperIZN2at6native12_GLOBAL__N_124unique_dim_cuda_templateIN3c108BFloat16EEESt5tupleIJNSF_6TensorESM_SM_EERKSM_lbbbEUlllE0_EEPmJS9_EEE10hipError_tPvRmT3_T4_T5_T6_T7_T9_mT8_P12ihipStream_tbDpT10_ENKUlT_T0_E_clISt17integral_constantIbLb1EES1B_IbLb0EEEEDaS17_S18_EUlS17_E_NS1_11comp_targetILNS1_3genE10ELNS1_11target_archE1200ELNS1_3gpuE4ELNS1_3repE0EEENS1_30default_config_static_selectorELNS0_4arch9wavefront6targetE0EEEvT1_
    .private_segment_fixed_size: 0
    .sgpr_count:     0
    .sgpr_spill_count: 0
    .symbol:         _ZN7rocprim17ROCPRIM_400000_NS6detail17trampoline_kernelINS0_14default_configENS1_25partition_config_selectorILNS1_17partition_subalgoE9EllbEEZZNS1_14partition_implILS5_9ELb0ES3_jPlS8_PNS0_10empty_typeENS0_5tupleIJS8_S9_EEENSB_IJS8_SA_EEENS0_18inequality_wrapperIZN2at6native12_GLOBAL__N_124unique_dim_cuda_templateIN3c108BFloat16EEESt5tupleIJNSF_6TensorESM_SM_EERKSM_lbbbEUlllE0_EEPmJS9_EEE10hipError_tPvRmT3_T4_T5_T6_T7_T9_mT8_P12ihipStream_tbDpT10_ENKUlT_T0_E_clISt17integral_constantIbLb1EES1B_IbLb0EEEEDaS17_S18_EUlS17_E_NS1_11comp_targetILNS1_3genE10ELNS1_11target_archE1200ELNS1_3gpuE4ELNS1_3repE0EEENS1_30default_config_static_selectorELNS0_4arch9wavefront6targetE0EEEvT1_.kd
    .uniform_work_group_size: 1
    .uses_dynamic_stack: false
    .vgpr_count:     0
    .vgpr_spill_count: 0
    .wavefront_size: 32
    .workgroup_processor_mode: 1
  - .args:
      - .offset:         0
        .size:           120
        .value_kind:     by_value
    .group_segment_fixed_size: 33804
    .kernarg_segment_align: 8
    .kernarg_segment_size: 120
    .language:       OpenCL C
    .language_version:
      - 2
      - 0
    .max_flat_workgroup_size: 512
    .name:           _ZN7rocprim17ROCPRIM_400000_NS6detail17trampoline_kernelINS0_14default_configENS1_25partition_config_selectorILNS1_17partition_subalgoE9EllbEEZZNS1_14partition_implILS5_9ELb0ES3_jPlS8_PNS0_10empty_typeENS0_5tupleIJS8_S9_EEENSB_IJS8_SA_EEENS0_18inequality_wrapperIZN2at6native12_GLOBAL__N_124unique_dim_cuda_templateIN3c108BFloat16EEESt5tupleIJNSF_6TensorESM_SM_EERKSM_lbbbEUlllE0_EEPmJS9_EEE10hipError_tPvRmT3_T4_T5_T6_T7_T9_mT8_P12ihipStream_tbDpT10_ENKUlT_T0_E_clISt17integral_constantIbLb1EES1B_IbLb0EEEEDaS17_S18_EUlS17_E_NS1_11comp_targetILNS1_3genE9ELNS1_11target_archE1100ELNS1_3gpuE3ELNS1_3repE0EEENS1_30default_config_static_selectorELNS0_4arch9wavefront6targetE0EEEvT1_
    .private_segment_fixed_size: 0
    .sgpr_count:     38
    .sgpr_spill_count: 0
    .symbol:         _ZN7rocprim17ROCPRIM_400000_NS6detail17trampoline_kernelINS0_14default_configENS1_25partition_config_selectorILNS1_17partition_subalgoE9EllbEEZZNS1_14partition_implILS5_9ELb0ES3_jPlS8_PNS0_10empty_typeENS0_5tupleIJS8_S9_EEENSB_IJS8_SA_EEENS0_18inequality_wrapperIZN2at6native12_GLOBAL__N_124unique_dim_cuda_templateIN3c108BFloat16EEESt5tupleIJNSF_6TensorESM_SM_EERKSM_lbbbEUlllE0_EEPmJS9_EEE10hipError_tPvRmT3_T4_T5_T6_T7_T9_mT8_P12ihipStream_tbDpT10_ENKUlT_T0_E_clISt17integral_constantIbLb1EES1B_IbLb0EEEEDaS17_S18_EUlS17_E_NS1_11comp_targetILNS1_3genE9ELNS1_11target_archE1100ELNS1_3gpuE3ELNS1_3repE0EEENS1_30default_config_static_selectorELNS0_4arch9wavefront6targetE0EEEvT1_.kd
    .uniform_work_group_size: 1
    .uses_dynamic_stack: false
    .vgpr_count:     68
    .vgpr_spill_count: 0
    .wavefront_size: 32
    .workgroup_processor_mode: 1
  - .args:
      - .offset:         0
        .size:           120
        .value_kind:     by_value
    .group_segment_fixed_size: 0
    .kernarg_segment_align: 8
    .kernarg_segment_size: 120
    .language:       OpenCL C
    .language_version:
      - 2
      - 0
    .max_flat_workgroup_size: 512
    .name:           _ZN7rocprim17ROCPRIM_400000_NS6detail17trampoline_kernelINS0_14default_configENS1_25partition_config_selectorILNS1_17partition_subalgoE9EllbEEZZNS1_14partition_implILS5_9ELb0ES3_jPlS8_PNS0_10empty_typeENS0_5tupleIJS8_S9_EEENSB_IJS8_SA_EEENS0_18inequality_wrapperIZN2at6native12_GLOBAL__N_124unique_dim_cuda_templateIN3c108BFloat16EEESt5tupleIJNSF_6TensorESM_SM_EERKSM_lbbbEUlllE0_EEPmJS9_EEE10hipError_tPvRmT3_T4_T5_T6_T7_T9_mT8_P12ihipStream_tbDpT10_ENKUlT_T0_E_clISt17integral_constantIbLb1EES1B_IbLb0EEEEDaS17_S18_EUlS17_E_NS1_11comp_targetILNS1_3genE8ELNS1_11target_archE1030ELNS1_3gpuE2ELNS1_3repE0EEENS1_30default_config_static_selectorELNS0_4arch9wavefront6targetE0EEEvT1_
    .private_segment_fixed_size: 0
    .sgpr_count:     0
    .sgpr_spill_count: 0
    .symbol:         _ZN7rocprim17ROCPRIM_400000_NS6detail17trampoline_kernelINS0_14default_configENS1_25partition_config_selectorILNS1_17partition_subalgoE9EllbEEZZNS1_14partition_implILS5_9ELb0ES3_jPlS8_PNS0_10empty_typeENS0_5tupleIJS8_S9_EEENSB_IJS8_SA_EEENS0_18inequality_wrapperIZN2at6native12_GLOBAL__N_124unique_dim_cuda_templateIN3c108BFloat16EEESt5tupleIJNSF_6TensorESM_SM_EERKSM_lbbbEUlllE0_EEPmJS9_EEE10hipError_tPvRmT3_T4_T5_T6_T7_T9_mT8_P12ihipStream_tbDpT10_ENKUlT_T0_E_clISt17integral_constantIbLb1EES1B_IbLb0EEEEDaS17_S18_EUlS17_E_NS1_11comp_targetILNS1_3genE8ELNS1_11target_archE1030ELNS1_3gpuE2ELNS1_3repE0EEENS1_30default_config_static_selectorELNS0_4arch9wavefront6targetE0EEEvT1_.kd
    .uniform_work_group_size: 1
    .uses_dynamic_stack: false
    .vgpr_count:     0
    .vgpr_spill_count: 0
    .wavefront_size: 32
    .workgroup_processor_mode: 1
  - .args:
      - .offset:         0
        .size:           136
        .value_kind:     by_value
    .group_segment_fixed_size: 0
    .kernarg_segment_align: 8
    .kernarg_segment_size: 136
    .language:       OpenCL C
    .language_version:
      - 2
      - 0
    .max_flat_workgroup_size: 128
    .name:           _ZN7rocprim17ROCPRIM_400000_NS6detail17trampoline_kernelINS0_14default_configENS1_25partition_config_selectorILNS1_17partition_subalgoE9EllbEEZZNS1_14partition_implILS5_9ELb0ES3_jPlS8_PNS0_10empty_typeENS0_5tupleIJS8_S9_EEENSB_IJS8_SA_EEENS0_18inequality_wrapperIZN2at6native12_GLOBAL__N_124unique_dim_cuda_templateIN3c108BFloat16EEESt5tupleIJNSF_6TensorESM_SM_EERKSM_lbbbEUlllE0_EEPmJS9_EEE10hipError_tPvRmT3_T4_T5_T6_T7_T9_mT8_P12ihipStream_tbDpT10_ENKUlT_T0_E_clISt17integral_constantIbLb0EES1B_IbLb1EEEEDaS17_S18_EUlS17_E_NS1_11comp_targetILNS1_3genE0ELNS1_11target_archE4294967295ELNS1_3gpuE0ELNS1_3repE0EEENS1_30default_config_static_selectorELNS0_4arch9wavefront6targetE0EEEvT1_
    .private_segment_fixed_size: 0
    .sgpr_count:     0
    .sgpr_spill_count: 0
    .symbol:         _ZN7rocprim17ROCPRIM_400000_NS6detail17trampoline_kernelINS0_14default_configENS1_25partition_config_selectorILNS1_17partition_subalgoE9EllbEEZZNS1_14partition_implILS5_9ELb0ES3_jPlS8_PNS0_10empty_typeENS0_5tupleIJS8_S9_EEENSB_IJS8_SA_EEENS0_18inequality_wrapperIZN2at6native12_GLOBAL__N_124unique_dim_cuda_templateIN3c108BFloat16EEESt5tupleIJNSF_6TensorESM_SM_EERKSM_lbbbEUlllE0_EEPmJS9_EEE10hipError_tPvRmT3_T4_T5_T6_T7_T9_mT8_P12ihipStream_tbDpT10_ENKUlT_T0_E_clISt17integral_constantIbLb0EES1B_IbLb1EEEEDaS17_S18_EUlS17_E_NS1_11comp_targetILNS1_3genE0ELNS1_11target_archE4294967295ELNS1_3gpuE0ELNS1_3repE0EEENS1_30default_config_static_selectorELNS0_4arch9wavefront6targetE0EEEvT1_.kd
    .uniform_work_group_size: 1
    .uses_dynamic_stack: false
    .vgpr_count:     0
    .vgpr_spill_count: 0
    .wavefront_size: 32
    .workgroup_processor_mode: 1
  - .args:
      - .offset:         0
        .size:           136
        .value_kind:     by_value
    .group_segment_fixed_size: 0
    .kernarg_segment_align: 8
    .kernarg_segment_size: 136
    .language:       OpenCL C
    .language_version:
      - 2
      - 0
    .max_flat_workgroup_size: 512
    .name:           _ZN7rocprim17ROCPRIM_400000_NS6detail17trampoline_kernelINS0_14default_configENS1_25partition_config_selectorILNS1_17partition_subalgoE9EllbEEZZNS1_14partition_implILS5_9ELb0ES3_jPlS8_PNS0_10empty_typeENS0_5tupleIJS8_S9_EEENSB_IJS8_SA_EEENS0_18inequality_wrapperIZN2at6native12_GLOBAL__N_124unique_dim_cuda_templateIN3c108BFloat16EEESt5tupleIJNSF_6TensorESM_SM_EERKSM_lbbbEUlllE0_EEPmJS9_EEE10hipError_tPvRmT3_T4_T5_T6_T7_T9_mT8_P12ihipStream_tbDpT10_ENKUlT_T0_E_clISt17integral_constantIbLb0EES1B_IbLb1EEEEDaS17_S18_EUlS17_E_NS1_11comp_targetILNS1_3genE5ELNS1_11target_archE942ELNS1_3gpuE9ELNS1_3repE0EEENS1_30default_config_static_selectorELNS0_4arch9wavefront6targetE0EEEvT1_
    .private_segment_fixed_size: 0
    .sgpr_count:     0
    .sgpr_spill_count: 0
    .symbol:         _ZN7rocprim17ROCPRIM_400000_NS6detail17trampoline_kernelINS0_14default_configENS1_25partition_config_selectorILNS1_17partition_subalgoE9EllbEEZZNS1_14partition_implILS5_9ELb0ES3_jPlS8_PNS0_10empty_typeENS0_5tupleIJS8_S9_EEENSB_IJS8_SA_EEENS0_18inequality_wrapperIZN2at6native12_GLOBAL__N_124unique_dim_cuda_templateIN3c108BFloat16EEESt5tupleIJNSF_6TensorESM_SM_EERKSM_lbbbEUlllE0_EEPmJS9_EEE10hipError_tPvRmT3_T4_T5_T6_T7_T9_mT8_P12ihipStream_tbDpT10_ENKUlT_T0_E_clISt17integral_constantIbLb0EES1B_IbLb1EEEEDaS17_S18_EUlS17_E_NS1_11comp_targetILNS1_3genE5ELNS1_11target_archE942ELNS1_3gpuE9ELNS1_3repE0EEENS1_30default_config_static_selectorELNS0_4arch9wavefront6targetE0EEEvT1_.kd
    .uniform_work_group_size: 1
    .uses_dynamic_stack: false
    .vgpr_count:     0
    .vgpr_spill_count: 0
    .wavefront_size: 32
    .workgroup_processor_mode: 1
  - .args:
      - .offset:         0
        .size:           136
        .value_kind:     by_value
    .group_segment_fixed_size: 0
    .kernarg_segment_align: 8
    .kernarg_segment_size: 136
    .language:       OpenCL C
    .language_version:
      - 2
      - 0
    .max_flat_workgroup_size: 128
    .name:           _ZN7rocprim17ROCPRIM_400000_NS6detail17trampoline_kernelINS0_14default_configENS1_25partition_config_selectorILNS1_17partition_subalgoE9EllbEEZZNS1_14partition_implILS5_9ELb0ES3_jPlS8_PNS0_10empty_typeENS0_5tupleIJS8_S9_EEENSB_IJS8_SA_EEENS0_18inequality_wrapperIZN2at6native12_GLOBAL__N_124unique_dim_cuda_templateIN3c108BFloat16EEESt5tupleIJNSF_6TensorESM_SM_EERKSM_lbbbEUlllE0_EEPmJS9_EEE10hipError_tPvRmT3_T4_T5_T6_T7_T9_mT8_P12ihipStream_tbDpT10_ENKUlT_T0_E_clISt17integral_constantIbLb0EES1B_IbLb1EEEEDaS17_S18_EUlS17_E_NS1_11comp_targetILNS1_3genE4ELNS1_11target_archE910ELNS1_3gpuE8ELNS1_3repE0EEENS1_30default_config_static_selectorELNS0_4arch9wavefront6targetE0EEEvT1_
    .private_segment_fixed_size: 0
    .sgpr_count:     0
    .sgpr_spill_count: 0
    .symbol:         _ZN7rocprim17ROCPRIM_400000_NS6detail17trampoline_kernelINS0_14default_configENS1_25partition_config_selectorILNS1_17partition_subalgoE9EllbEEZZNS1_14partition_implILS5_9ELb0ES3_jPlS8_PNS0_10empty_typeENS0_5tupleIJS8_S9_EEENSB_IJS8_SA_EEENS0_18inequality_wrapperIZN2at6native12_GLOBAL__N_124unique_dim_cuda_templateIN3c108BFloat16EEESt5tupleIJNSF_6TensorESM_SM_EERKSM_lbbbEUlllE0_EEPmJS9_EEE10hipError_tPvRmT3_T4_T5_T6_T7_T9_mT8_P12ihipStream_tbDpT10_ENKUlT_T0_E_clISt17integral_constantIbLb0EES1B_IbLb1EEEEDaS17_S18_EUlS17_E_NS1_11comp_targetILNS1_3genE4ELNS1_11target_archE910ELNS1_3gpuE8ELNS1_3repE0EEENS1_30default_config_static_selectorELNS0_4arch9wavefront6targetE0EEEvT1_.kd
    .uniform_work_group_size: 1
    .uses_dynamic_stack: false
    .vgpr_count:     0
    .vgpr_spill_count: 0
    .wavefront_size: 32
    .workgroup_processor_mode: 1
  - .args:
      - .offset:         0
        .size:           136
        .value_kind:     by_value
    .group_segment_fixed_size: 0
    .kernarg_segment_align: 8
    .kernarg_segment_size: 136
    .language:       OpenCL C
    .language_version:
      - 2
      - 0
    .max_flat_workgroup_size: 128
    .name:           _ZN7rocprim17ROCPRIM_400000_NS6detail17trampoline_kernelINS0_14default_configENS1_25partition_config_selectorILNS1_17partition_subalgoE9EllbEEZZNS1_14partition_implILS5_9ELb0ES3_jPlS8_PNS0_10empty_typeENS0_5tupleIJS8_S9_EEENSB_IJS8_SA_EEENS0_18inequality_wrapperIZN2at6native12_GLOBAL__N_124unique_dim_cuda_templateIN3c108BFloat16EEESt5tupleIJNSF_6TensorESM_SM_EERKSM_lbbbEUlllE0_EEPmJS9_EEE10hipError_tPvRmT3_T4_T5_T6_T7_T9_mT8_P12ihipStream_tbDpT10_ENKUlT_T0_E_clISt17integral_constantIbLb0EES1B_IbLb1EEEEDaS17_S18_EUlS17_E_NS1_11comp_targetILNS1_3genE3ELNS1_11target_archE908ELNS1_3gpuE7ELNS1_3repE0EEENS1_30default_config_static_selectorELNS0_4arch9wavefront6targetE0EEEvT1_
    .private_segment_fixed_size: 0
    .sgpr_count:     0
    .sgpr_spill_count: 0
    .symbol:         _ZN7rocprim17ROCPRIM_400000_NS6detail17trampoline_kernelINS0_14default_configENS1_25partition_config_selectorILNS1_17partition_subalgoE9EllbEEZZNS1_14partition_implILS5_9ELb0ES3_jPlS8_PNS0_10empty_typeENS0_5tupleIJS8_S9_EEENSB_IJS8_SA_EEENS0_18inequality_wrapperIZN2at6native12_GLOBAL__N_124unique_dim_cuda_templateIN3c108BFloat16EEESt5tupleIJNSF_6TensorESM_SM_EERKSM_lbbbEUlllE0_EEPmJS9_EEE10hipError_tPvRmT3_T4_T5_T6_T7_T9_mT8_P12ihipStream_tbDpT10_ENKUlT_T0_E_clISt17integral_constantIbLb0EES1B_IbLb1EEEEDaS17_S18_EUlS17_E_NS1_11comp_targetILNS1_3genE3ELNS1_11target_archE908ELNS1_3gpuE7ELNS1_3repE0EEENS1_30default_config_static_selectorELNS0_4arch9wavefront6targetE0EEEvT1_.kd
    .uniform_work_group_size: 1
    .uses_dynamic_stack: false
    .vgpr_count:     0
    .vgpr_spill_count: 0
    .wavefront_size: 32
    .workgroup_processor_mode: 1
  - .args:
      - .offset:         0
        .size:           136
        .value_kind:     by_value
    .group_segment_fixed_size: 0
    .kernarg_segment_align: 8
    .kernarg_segment_size: 136
    .language:       OpenCL C
    .language_version:
      - 2
      - 0
    .max_flat_workgroup_size: 192
    .name:           _ZN7rocprim17ROCPRIM_400000_NS6detail17trampoline_kernelINS0_14default_configENS1_25partition_config_selectorILNS1_17partition_subalgoE9EllbEEZZNS1_14partition_implILS5_9ELb0ES3_jPlS8_PNS0_10empty_typeENS0_5tupleIJS8_S9_EEENSB_IJS8_SA_EEENS0_18inequality_wrapperIZN2at6native12_GLOBAL__N_124unique_dim_cuda_templateIN3c108BFloat16EEESt5tupleIJNSF_6TensorESM_SM_EERKSM_lbbbEUlllE0_EEPmJS9_EEE10hipError_tPvRmT3_T4_T5_T6_T7_T9_mT8_P12ihipStream_tbDpT10_ENKUlT_T0_E_clISt17integral_constantIbLb0EES1B_IbLb1EEEEDaS17_S18_EUlS17_E_NS1_11comp_targetILNS1_3genE2ELNS1_11target_archE906ELNS1_3gpuE6ELNS1_3repE0EEENS1_30default_config_static_selectorELNS0_4arch9wavefront6targetE0EEEvT1_
    .private_segment_fixed_size: 0
    .sgpr_count:     0
    .sgpr_spill_count: 0
    .symbol:         _ZN7rocprim17ROCPRIM_400000_NS6detail17trampoline_kernelINS0_14default_configENS1_25partition_config_selectorILNS1_17partition_subalgoE9EllbEEZZNS1_14partition_implILS5_9ELb0ES3_jPlS8_PNS0_10empty_typeENS0_5tupleIJS8_S9_EEENSB_IJS8_SA_EEENS0_18inequality_wrapperIZN2at6native12_GLOBAL__N_124unique_dim_cuda_templateIN3c108BFloat16EEESt5tupleIJNSF_6TensorESM_SM_EERKSM_lbbbEUlllE0_EEPmJS9_EEE10hipError_tPvRmT3_T4_T5_T6_T7_T9_mT8_P12ihipStream_tbDpT10_ENKUlT_T0_E_clISt17integral_constantIbLb0EES1B_IbLb1EEEEDaS17_S18_EUlS17_E_NS1_11comp_targetILNS1_3genE2ELNS1_11target_archE906ELNS1_3gpuE6ELNS1_3repE0EEENS1_30default_config_static_selectorELNS0_4arch9wavefront6targetE0EEEvT1_.kd
    .uniform_work_group_size: 1
    .uses_dynamic_stack: false
    .vgpr_count:     0
    .vgpr_spill_count: 0
    .wavefront_size: 32
    .workgroup_processor_mode: 1
  - .args:
      - .offset:         0
        .size:           136
        .value_kind:     by_value
    .group_segment_fixed_size: 0
    .kernarg_segment_align: 8
    .kernarg_segment_size: 136
    .language:       OpenCL C
    .language_version:
      - 2
      - 0
    .max_flat_workgroup_size: 384
    .name:           _ZN7rocprim17ROCPRIM_400000_NS6detail17trampoline_kernelINS0_14default_configENS1_25partition_config_selectorILNS1_17partition_subalgoE9EllbEEZZNS1_14partition_implILS5_9ELb0ES3_jPlS8_PNS0_10empty_typeENS0_5tupleIJS8_S9_EEENSB_IJS8_SA_EEENS0_18inequality_wrapperIZN2at6native12_GLOBAL__N_124unique_dim_cuda_templateIN3c108BFloat16EEESt5tupleIJNSF_6TensorESM_SM_EERKSM_lbbbEUlllE0_EEPmJS9_EEE10hipError_tPvRmT3_T4_T5_T6_T7_T9_mT8_P12ihipStream_tbDpT10_ENKUlT_T0_E_clISt17integral_constantIbLb0EES1B_IbLb1EEEEDaS17_S18_EUlS17_E_NS1_11comp_targetILNS1_3genE10ELNS1_11target_archE1200ELNS1_3gpuE4ELNS1_3repE0EEENS1_30default_config_static_selectorELNS0_4arch9wavefront6targetE0EEEvT1_
    .private_segment_fixed_size: 0
    .sgpr_count:     0
    .sgpr_spill_count: 0
    .symbol:         _ZN7rocprim17ROCPRIM_400000_NS6detail17trampoline_kernelINS0_14default_configENS1_25partition_config_selectorILNS1_17partition_subalgoE9EllbEEZZNS1_14partition_implILS5_9ELb0ES3_jPlS8_PNS0_10empty_typeENS0_5tupleIJS8_S9_EEENSB_IJS8_SA_EEENS0_18inequality_wrapperIZN2at6native12_GLOBAL__N_124unique_dim_cuda_templateIN3c108BFloat16EEESt5tupleIJNSF_6TensorESM_SM_EERKSM_lbbbEUlllE0_EEPmJS9_EEE10hipError_tPvRmT3_T4_T5_T6_T7_T9_mT8_P12ihipStream_tbDpT10_ENKUlT_T0_E_clISt17integral_constantIbLb0EES1B_IbLb1EEEEDaS17_S18_EUlS17_E_NS1_11comp_targetILNS1_3genE10ELNS1_11target_archE1200ELNS1_3gpuE4ELNS1_3repE0EEENS1_30default_config_static_selectorELNS0_4arch9wavefront6targetE0EEEvT1_.kd
    .uniform_work_group_size: 1
    .uses_dynamic_stack: false
    .vgpr_count:     0
    .vgpr_spill_count: 0
    .wavefront_size: 32
    .workgroup_processor_mode: 1
  - .args:
      - .offset:         0
        .size:           136
        .value_kind:     by_value
    .group_segment_fixed_size: 33804
    .kernarg_segment_align: 8
    .kernarg_segment_size: 136
    .language:       OpenCL C
    .language_version:
      - 2
      - 0
    .max_flat_workgroup_size: 512
    .name:           _ZN7rocprim17ROCPRIM_400000_NS6detail17trampoline_kernelINS0_14default_configENS1_25partition_config_selectorILNS1_17partition_subalgoE9EllbEEZZNS1_14partition_implILS5_9ELb0ES3_jPlS8_PNS0_10empty_typeENS0_5tupleIJS8_S9_EEENSB_IJS8_SA_EEENS0_18inequality_wrapperIZN2at6native12_GLOBAL__N_124unique_dim_cuda_templateIN3c108BFloat16EEESt5tupleIJNSF_6TensorESM_SM_EERKSM_lbbbEUlllE0_EEPmJS9_EEE10hipError_tPvRmT3_T4_T5_T6_T7_T9_mT8_P12ihipStream_tbDpT10_ENKUlT_T0_E_clISt17integral_constantIbLb0EES1B_IbLb1EEEEDaS17_S18_EUlS17_E_NS1_11comp_targetILNS1_3genE9ELNS1_11target_archE1100ELNS1_3gpuE3ELNS1_3repE0EEENS1_30default_config_static_selectorELNS0_4arch9wavefront6targetE0EEEvT1_
    .private_segment_fixed_size: 0
    .sgpr_count:     42
    .sgpr_spill_count: 0
    .symbol:         _ZN7rocprim17ROCPRIM_400000_NS6detail17trampoline_kernelINS0_14default_configENS1_25partition_config_selectorILNS1_17partition_subalgoE9EllbEEZZNS1_14partition_implILS5_9ELb0ES3_jPlS8_PNS0_10empty_typeENS0_5tupleIJS8_S9_EEENSB_IJS8_SA_EEENS0_18inequality_wrapperIZN2at6native12_GLOBAL__N_124unique_dim_cuda_templateIN3c108BFloat16EEESt5tupleIJNSF_6TensorESM_SM_EERKSM_lbbbEUlllE0_EEPmJS9_EEE10hipError_tPvRmT3_T4_T5_T6_T7_T9_mT8_P12ihipStream_tbDpT10_ENKUlT_T0_E_clISt17integral_constantIbLb0EES1B_IbLb1EEEEDaS17_S18_EUlS17_E_NS1_11comp_targetILNS1_3genE9ELNS1_11target_archE1100ELNS1_3gpuE3ELNS1_3repE0EEENS1_30default_config_static_selectorELNS0_4arch9wavefront6targetE0EEEvT1_.kd
    .uniform_work_group_size: 1
    .uses_dynamic_stack: false
    .vgpr_count:     68
    .vgpr_spill_count: 0
    .wavefront_size: 32
    .workgroup_processor_mode: 1
  - .args:
      - .offset:         0
        .size:           136
        .value_kind:     by_value
    .group_segment_fixed_size: 0
    .kernarg_segment_align: 8
    .kernarg_segment_size: 136
    .language:       OpenCL C
    .language_version:
      - 2
      - 0
    .max_flat_workgroup_size: 512
    .name:           _ZN7rocprim17ROCPRIM_400000_NS6detail17trampoline_kernelINS0_14default_configENS1_25partition_config_selectorILNS1_17partition_subalgoE9EllbEEZZNS1_14partition_implILS5_9ELb0ES3_jPlS8_PNS0_10empty_typeENS0_5tupleIJS8_S9_EEENSB_IJS8_SA_EEENS0_18inequality_wrapperIZN2at6native12_GLOBAL__N_124unique_dim_cuda_templateIN3c108BFloat16EEESt5tupleIJNSF_6TensorESM_SM_EERKSM_lbbbEUlllE0_EEPmJS9_EEE10hipError_tPvRmT3_T4_T5_T6_T7_T9_mT8_P12ihipStream_tbDpT10_ENKUlT_T0_E_clISt17integral_constantIbLb0EES1B_IbLb1EEEEDaS17_S18_EUlS17_E_NS1_11comp_targetILNS1_3genE8ELNS1_11target_archE1030ELNS1_3gpuE2ELNS1_3repE0EEENS1_30default_config_static_selectorELNS0_4arch9wavefront6targetE0EEEvT1_
    .private_segment_fixed_size: 0
    .sgpr_count:     0
    .sgpr_spill_count: 0
    .symbol:         _ZN7rocprim17ROCPRIM_400000_NS6detail17trampoline_kernelINS0_14default_configENS1_25partition_config_selectorILNS1_17partition_subalgoE9EllbEEZZNS1_14partition_implILS5_9ELb0ES3_jPlS8_PNS0_10empty_typeENS0_5tupleIJS8_S9_EEENSB_IJS8_SA_EEENS0_18inequality_wrapperIZN2at6native12_GLOBAL__N_124unique_dim_cuda_templateIN3c108BFloat16EEESt5tupleIJNSF_6TensorESM_SM_EERKSM_lbbbEUlllE0_EEPmJS9_EEE10hipError_tPvRmT3_T4_T5_T6_T7_T9_mT8_P12ihipStream_tbDpT10_ENKUlT_T0_E_clISt17integral_constantIbLb0EES1B_IbLb1EEEEDaS17_S18_EUlS17_E_NS1_11comp_targetILNS1_3genE8ELNS1_11target_archE1030ELNS1_3gpuE2ELNS1_3repE0EEENS1_30default_config_static_selectorELNS0_4arch9wavefront6targetE0EEEvT1_.kd
    .uniform_work_group_size: 1
    .uses_dynamic_stack: false
    .vgpr_count:     0
    .vgpr_spill_count: 0
    .wavefront_size: 32
    .workgroup_processor_mode: 1
  - .args:
      - .offset:         0
        .size:           72
        .value_kind:     by_value
    .group_segment_fixed_size: 0
    .kernarg_segment_align: 8
    .kernarg_segment_size: 72
    .language:       OpenCL C
    .language_version:
      - 2
      - 0
    .max_flat_workgroup_size: 256
    .name:           _ZN7rocprim17ROCPRIM_400000_NS6detail17trampoline_kernelINS0_14default_configENS1_37merge_sort_block_sort_config_selectorIlNS0_10empty_typeEEEZNS1_21merge_sort_block_sortIS3_PlS8_PS5_S9_ZN2at6native12_GLOBAL__N_124unique_dim_cuda_templateIN3c104HalfEEESt5tupleIJNSA_6TensorESH_SH_EERKSH_lbbbEUlllE_EE10hipError_tT0_T1_T2_T3_mRjT4_P12ihipStream_tbNS1_7vsmem_tEEUlT_E_NS1_11comp_targetILNS1_3genE0ELNS1_11target_archE4294967295ELNS1_3gpuE0ELNS1_3repE0EEENS1_30default_config_static_selectorELNS0_4arch9wavefront6targetE0EEEvSO_
    .private_segment_fixed_size: 0
    .sgpr_count:     0
    .sgpr_spill_count: 0
    .symbol:         _ZN7rocprim17ROCPRIM_400000_NS6detail17trampoline_kernelINS0_14default_configENS1_37merge_sort_block_sort_config_selectorIlNS0_10empty_typeEEEZNS1_21merge_sort_block_sortIS3_PlS8_PS5_S9_ZN2at6native12_GLOBAL__N_124unique_dim_cuda_templateIN3c104HalfEEESt5tupleIJNSA_6TensorESH_SH_EERKSH_lbbbEUlllE_EE10hipError_tT0_T1_T2_T3_mRjT4_P12ihipStream_tbNS1_7vsmem_tEEUlT_E_NS1_11comp_targetILNS1_3genE0ELNS1_11target_archE4294967295ELNS1_3gpuE0ELNS1_3repE0EEENS1_30default_config_static_selectorELNS0_4arch9wavefront6targetE0EEEvSO_.kd
    .uniform_work_group_size: 1
    .uses_dynamic_stack: false
    .vgpr_count:     0
    .vgpr_spill_count: 0
    .wavefront_size: 32
    .workgroup_processor_mode: 1
  - .args:
      - .offset:         0
        .size:           72
        .value_kind:     by_value
    .group_segment_fixed_size: 0
    .kernarg_segment_align: 8
    .kernarg_segment_size: 72
    .language:       OpenCL C
    .language_version:
      - 2
      - 0
    .max_flat_workgroup_size: 256
    .name:           _ZN7rocprim17ROCPRIM_400000_NS6detail17trampoline_kernelINS0_14default_configENS1_37merge_sort_block_sort_config_selectorIlNS0_10empty_typeEEEZNS1_21merge_sort_block_sortIS3_PlS8_PS5_S9_ZN2at6native12_GLOBAL__N_124unique_dim_cuda_templateIN3c104HalfEEESt5tupleIJNSA_6TensorESH_SH_EERKSH_lbbbEUlllE_EE10hipError_tT0_T1_T2_T3_mRjT4_P12ihipStream_tbNS1_7vsmem_tEEUlT_E_NS1_11comp_targetILNS1_3genE5ELNS1_11target_archE942ELNS1_3gpuE9ELNS1_3repE0EEENS1_30default_config_static_selectorELNS0_4arch9wavefront6targetE0EEEvSO_
    .private_segment_fixed_size: 0
    .sgpr_count:     0
    .sgpr_spill_count: 0
    .symbol:         _ZN7rocprim17ROCPRIM_400000_NS6detail17trampoline_kernelINS0_14default_configENS1_37merge_sort_block_sort_config_selectorIlNS0_10empty_typeEEEZNS1_21merge_sort_block_sortIS3_PlS8_PS5_S9_ZN2at6native12_GLOBAL__N_124unique_dim_cuda_templateIN3c104HalfEEESt5tupleIJNSA_6TensorESH_SH_EERKSH_lbbbEUlllE_EE10hipError_tT0_T1_T2_T3_mRjT4_P12ihipStream_tbNS1_7vsmem_tEEUlT_E_NS1_11comp_targetILNS1_3genE5ELNS1_11target_archE942ELNS1_3gpuE9ELNS1_3repE0EEENS1_30default_config_static_selectorELNS0_4arch9wavefront6targetE0EEEvSO_.kd
    .uniform_work_group_size: 1
    .uses_dynamic_stack: false
    .vgpr_count:     0
    .vgpr_spill_count: 0
    .wavefront_size: 32
    .workgroup_processor_mode: 1
  - .args:
      - .offset:         0
        .size:           72
        .value_kind:     by_value
    .group_segment_fixed_size: 0
    .kernarg_segment_align: 8
    .kernarg_segment_size: 72
    .language:       OpenCL C
    .language_version:
      - 2
      - 0
    .max_flat_workgroup_size: 256
    .name:           _ZN7rocprim17ROCPRIM_400000_NS6detail17trampoline_kernelINS0_14default_configENS1_37merge_sort_block_sort_config_selectorIlNS0_10empty_typeEEEZNS1_21merge_sort_block_sortIS3_PlS8_PS5_S9_ZN2at6native12_GLOBAL__N_124unique_dim_cuda_templateIN3c104HalfEEESt5tupleIJNSA_6TensorESH_SH_EERKSH_lbbbEUlllE_EE10hipError_tT0_T1_T2_T3_mRjT4_P12ihipStream_tbNS1_7vsmem_tEEUlT_E_NS1_11comp_targetILNS1_3genE4ELNS1_11target_archE910ELNS1_3gpuE8ELNS1_3repE0EEENS1_30default_config_static_selectorELNS0_4arch9wavefront6targetE0EEEvSO_
    .private_segment_fixed_size: 0
    .sgpr_count:     0
    .sgpr_spill_count: 0
    .symbol:         _ZN7rocprim17ROCPRIM_400000_NS6detail17trampoline_kernelINS0_14default_configENS1_37merge_sort_block_sort_config_selectorIlNS0_10empty_typeEEEZNS1_21merge_sort_block_sortIS3_PlS8_PS5_S9_ZN2at6native12_GLOBAL__N_124unique_dim_cuda_templateIN3c104HalfEEESt5tupleIJNSA_6TensorESH_SH_EERKSH_lbbbEUlllE_EE10hipError_tT0_T1_T2_T3_mRjT4_P12ihipStream_tbNS1_7vsmem_tEEUlT_E_NS1_11comp_targetILNS1_3genE4ELNS1_11target_archE910ELNS1_3gpuE8ELNS1_3repE0EEENS1_30default_config_static_selectorELNS0_4arch9wavefront6targetE0EEEvSO_.kd
    .uniform_work_group_size: 1
    .uses_dynamic_stack: false
    .vgpr_count:     0
    .vgpr_spill_count: 0
    .wavefront_size: 32
    .workgroup_processor_mode: 1
  - .args:
      - .offset:         0
        .size:           72
        .value_kind:     by_value
    .group_segment_fixed_size: 0
    .kernarg_segment_align: 8
    .kernarg_segment_size: 72
    .language:       OpenCL C
    .language_version:
      - 2
      - 0
    .max_flat_workgroup_size: 256
    .name:           _ZN7rocprim17ROCPRIM_400000_NS6detail17trampoline_kernelINS0_14default_configENS1_37merge_sort_block_sort_config_selectorIlNS0_10empty_typeEEEZNS1_21merge_sort_block_sortIS3_PlS8_PS5_S9_ZN2at6native12_GLOBAL__N_124unique_dim_cuda_templateIN3c104HalfEEESt5tupleIJNSA_6TensorESH_SH_EERKSH_lbbbEUlllE_EE10hipError_tT0_T1_T2_T3_mRjT4_P12ihipStream_tbNS1_7vsmem_tEEUlT_E_NS1_11comp_targetILNS1_3genE3ELNS1_11target_archE908ELNS1_3gpuE7ELNS1_3repE0EEENS1_30default_config_static_selectorELNS0_4arch9wavefront6targetE0EEEvSO_
    .private_segment_fixed_size: 0
    .sgpr_count:     0
    .sgpr_spill_count: 0
    .symbol:         _ZN7rocprim17ROCPRIM_400000_NS6detail17trampoline_kernelINS0_14default_configENS1_37merge_sort_block_sort_config_selectorIlNS0_10empty_typeEEEZNS1_21merge_sort_block_sortIS3_PlS8_PS5_S9_ZN2at6native12_GLOBAL__N_124unique_dim_cuda_templateIN3c104HalfEEESt5tupleIJNSA_6TensorESH_SH_EERKSH_lbbbEUlllE_EE10hipError_tT0_T1_T2_T3_mRjT4_P12ihipStream_tbNS1_7vsmem_tEEUlT_E_NS1_11comp_targetILNS1_3genE3ELNS1_11target_archE908ELNS1_3gpuE7ELNS1_3repE0EEENS1_30default_config_static_selectorELNS0_4arch9wavefront6targetE0EEEvSO_.kd
    .uniform_work_group_size: 1
    .uses_dynamic_stack: false
    .vgpr_count:     0
    .vgpr_spill_count: 0
    .wavefront_size: 32
    .workgroup_processor_mode: 1
  - .args:
      - .offset:         0
        .size:           72
        .value_kind:     by_value
    .group_segment_fixed_size: 0
    .kernarg_segment_align: 8
    .kernarg_segment_size: 72
    .language:       OpenCL C
    .language_version:
      - 2
      - 0
    .max_flat_workgroup_size: 256
    .name:           _ZN7rocprim17ROCPRIM_400000_NS6detail17trampoline_kernelINS0_14default_configENS1_37merge_sort_block_sort_config_selectorIlNS0_10empty_typeEEEZNS1_21merge_sort_block_sortIS3_PlS8_PS5_S9_ZN2at6native12_GLOBAL__N_124unique_dim_cuda_templateIN3c104HalfEEESt5tupleIJNSA_6TensorESH_SH_EERKSH_lbbbEUlllE_EE10hipError_tT0_T1_T2_T3_mRjT4_P12ihipStream_tbNS1_7vsmem_tEEUlT_E_NS1_11comp_targetILNS1_3genE2ELNS1_11target_archE906ELNS1_3gpuE6ELNS1_3repE0EEENS1_30default_config_static_selectorELNS0_4arch9wavefront6targetE0EEEvSO_
    .private_segment_fixed_size: 0
    .sgpr_count:     0
    .sgpr_spill_count: 0
    .symbol:         _ZN7rocprim17ROCPRIM_400000_NS6detail17trampoline_kernelINS0_14default_configENS1_37merge_sort_block_sort_config_selectorIlNS0_10empty_typeEEEZNS1_21merge_sort_block_sortIS3_PlS8_PS5_S9_ZN2at6native12_GLOBAL__N_124unique_dim_cuda_templateIN3c104HalfEEESt5tupleIJNSA_6TensorESH_SH_EERKSH_lbbbEUlllE_EE10hipError_tT0_T1_T2_T3_mRjT4_P12ihipStream_tbNS1_7vsmem_tEEUlT_E_NS1_11comp_targetILNS1_3genE2ELNS1_11target_archE906ELNS1_3gpuE6ELNS1_3repE0EEENS1_30default_config_static_selectorELNS0_4arch9wavefront6targetE0EEEvSO_.kd
    .uniform_work_group_size: 1
    .uses_dynamic_stack: false
    .vgpr_count:     0
    .vgpr_spill_count: 0
    .wavefront_size: 32
    .workgroup_processor_mode: 1
  - .args:
      - .offset:         0
        .size:           72
        .value_kind:     by_value
    .group_segment_fixed_size: 0
    .kernarg_segment_align: 8
    .kernarg_segment_size: 72
    .language:       OpenCL C
    .language_version:
      - 2
      - 0
    .max_flat_workgroup_size: 256
    .name:           _ZN7rocprim17ROCPRIM_400000_NS6detail17trampoline_kernelINS0_14default_configENS1_37merge_sort_block_sort_config_selectorIlNS0_10empty_typeEEEZNS1_21merge_sort_block_sortIS3_PlS8_PS5_S9_ZN2at6native12_GLOBAL__N_124unique_dim_cuda_templateIN3c104HalfEEESt5tupleIJNSA_6TensorESH_SH_EERKSH_lbbbEUlllE_EE10hipError_tT0_T1_T2_T3_mRjT4_P12ihipStream_tbNS1_7vsmem_tEEUlT_E_NS1_11comp_targetILNS1_3genE10ELNS1_11target_archE1201ELNS1_3gpuE5ELNS1_3repE0EEENS1_30default_config_static_selectorELNS0_4arch9wavefront6targetE0EEEvSO_
    .private_segment_fixed_size: 0
    .sgpr_count:     0
    .sgpr_spill_count: 0
    .symbol:         _ZN7rocprim17ROCPRIM_400000_NS6detail17trampoline_kernelINS0_14default_configENS1_37merge_sort_block_sort_config_selectorIlNS0_10empty_typeEEEZNS1_21merge_sort_block_sortIS3_PlS8_PS5_S9_ZN2at6native12_GLOBAL__N_124unique_dim_cuda_templateIN3c104HalfEEESt5tupleIJNSA_6TensorESH_SH_EERKSH_lbbbEUlllE_EE10hipError_tT0_T1_T2_T3_mRjT4_P12ihipStream_tbNS1_7vsmem_tEEUlT_E_NS1_11comp_targetILNS1_3genE10ELNS1_11target_archE1201ELNS1_3gpuE5ELNS1_3repE0EEENS1_30default_config_static_selectorELNS0_4arch9wavefront6targetE0EEEvSO_.kd
    .uniform_work_group_size: 1
    .uses_dynamic_stack: false
    .vgpr_count:     0
    .vgpr_spill_count: 0
    .wavefront_size: 32
    .workgroup_processor_mode: 1
  - .args:
      - .offset:         0
        .size:           72
        .value_kind:     by_value
    .group_segment_fixed_size: 0
    .kernarg_segment_align: 8
    .kernarg_segment_size: 72
    .language:       OpenCL C
    .language_version:
      - 2
      - 0
    .max_flat_workgroup_size: 512
    .name:           _ZN7rocprim17ROCPRIM_400000_NS6detail17trampoline_kernelINS0_14default_configENS1_37merge_sort_block_sort_config_selectorIlNS0_10empty_typeEEEZNS1_21merge_sort_block_sortIS3_PlS8_PS5_S9_ZN2at6native12_GLOBAL__N_124unique_dim_cuda_templateIN3c104HalfEEESt5tupleIJNSA_6TensorESH_SH_EERKSH_lbbbEUlllE_EE10hipError_tT0_T1_T2_T3_mRjT4_P12ihipStream_tbNS1_7vsmem_tEEUlT_E_NS1_11comp_targetILNS1_3genE10ELNS1_11target_archE1200ELNS1_3gpuE4ELNS1_3repE0EEENS1_30default_config_static_selectorELNS0_4arch9wavefront6targetE0EEEvSO_
    .private_segment_fixed_size: 0
    .sgpr_count:     0
    .sgpr_spill_count: 0
    .symbol:         _ZN7rocprim17ROCPRIM_400000_NS6detail17trampoline_kernelINS0_14default_configENS1_37merge_sort_block_sort_config_selectorIlNS0_10empty_typeEEEZNS1_21merge_sort_block_sortIS3_PlS8_PS5_S9_ZN2at6native12_GLOBAL__N_124unique_dim_cuda_templateIN3c104HalfEEESt5tupleIJNSA_6TensorESH_SH_EERKSH_lbbbEUlllE_EE10hipError_tT0_T1_T2_T3_mRjT4_P12ihipStream_tbNS1_7vsmem_tEEUlT_E_NS1_11comp_targetILNS1_3genE10ELNS1_11target_archE1200ELNS1_3gpuE4ELNS1_3repE0EEENS1_30default_config_static_selectorELNS0_4arch9wavefront6targetE0EEEvSO_.kd
    .uniform_work_group_size: 1
    .uses_dynamic_stack: false
    .vgpr_count:     0
    .vgpr_spill_count: 0
    .wavefront_size: 32
    .workgroup_processor_mode: 1
  - .args:
      - .offset:         0
        .size:           72
        .value_kind:     by_value
      - .offset:         72
        .size:           4
        .value_kind:     hidden_block_count_x
      - .offset:         76
        .size:           4
        .value_kind:     hidden_block_count_y
      - .offset:         80
        .size:           4
        .value_kind:     hidden_block_count_z
      - .offset:         84
        .size:           2
        .value_kind:     hidden_group_size_x
      - .offset:         86
        .size:           2
        .value_kind:     hidden_group_size_y
      - .offset:         88
        .size:           2
        .value_kind:     hidden_group_size_z
      - .offset:         90
        .size:           2
        .value_kind:     hidden_remainder_x
      - .offset:         92
        .size:           2
        .value_kind:     hidden_remainder_y
      - .offset:         94
        .size:           2
        .value_kind:     hidden_remainder_z
      - .offset:         112
        .size:           8
        .value_kind:     hidden_global_offset_x
      - .offset:         120
        .size:           8
        .value_kind:     hidden_global_offset_y
      - .offset:         128
        .size:           8
        .value_kind:     hidden_global_offset_z
      - .offset:         136
        .size:           2
        .value_kind:     hidden_grid_dims
    .group_segment_fixed_size: 8448
    .kernarg_segment_align: 8
    .kernarg_segment_size: 328
    .language:       OpenCL C
    .language_version:
      - 2
      - 0
    .max_flat_workgroup_size: 256
    .name:           _ZN7rocprim17ROCPRIM_400000_NS6detail17trampoline_kernelINS0_14default_configENS1_37merge_sort_block_sort_config_selectorIlNS0_10empty_typeEEEZNS1_21merge_sort_block_sortIS3_PlS8_PS5_S9_ZN2at6native12_GLOBAL__N_124unique_dim_cuda_templateIN3c104HalfEEESt5tupleIJNSA_6TensorESH_SH_EERKSH_lbbbEUlllE_EE10hipError_tT0_T1_T2_T3_mRjT4_P12ihipStream_tbNS1_7vsmem_tEEUlT_E_NS1_11comp_targetILNS1_3genE9ELNS1_11target_archE1100ELNS1_3gpuE3ELNS1_3repE0EEENS1_30default_config_static_selectorELNS0_4arch9wavefront6targetE0EEEvSO_
    .private_segment_fixed_size: 0
    .sgpr_count:     34
    .sgpr_spill_count: 0
    .symbol:         _ZN7rocprim17ROCPRIM_400000_NS6detail17trampoline_kernelINS0_14default_configENS1_37merge_sort_block_sort_config_selectorIlNS0_10empty_typeEEEZNS1_21merge_sort_block_sortIS3_PlS8_PS5_S9_ZN2at6native12_GLOBAL__N_124unique_dim_cuda_templateIN3c104HalfEEESt5tupleIJNSA_6TensorESH_SH_EERKSH_lbbbEUlllE_EE10hipError_tT0_T1_T2_T3_mRjT4_P12ihipStream_tbNS1_7vsmem_tEEUlT_E_NS1_11comp_targetILNS1_3genE9ELNS1_11target_archE1100ELNS1_3gpuE3ELNS1_3repE0EEENS1_30default_config_static_selectorELNS0_4arch9wavefront6targetE0EEEvSO_.kd
    .uniform_work_group_size: 1
    .uses_dynamic_stack: false
    .vgpr_count:     47
    .vgpr_spill_count: 0
    .wavefront_size: 32
    .workgroup_processor_mode: 1
  - .args:
      - .offset:         0
        .size:           72
        .value_kind:     by_value
    .group_segment_fixed_size: 0
    .kernarg_segment_align: 8
    .kernarg_segment_size: 72
    .language:       OpenCL C
    .language_version:
      - 2
      - 0
    .max_flat_workgroup_size: 256
    .name:           _ZN7rocprim17ROCPRIM_400000_NS6detail17trampoline_kernelINS0_14default_configENS1_37merge_sort_block_sort_config_selectorIlNS0_10empty_typeEEEZNS1_21merge_sort_block_sortIS3_PlS8_PS5_S9_ZN2at6native12_GLOBAL__N_124unique_dim_cuda_templateIN3c104HalfEEESt5tupleIJNSA_6TensorESH_SH_EERKSH_lbbbEUlllE_EE10hipError_tT0_T1_T2_T3_mRjT4_P12ihipStream_tbNS1_7vsmem_tEEUlT_E_NS1_11comp_targetILNS1_3genE8ELNS1_11target_archE1030ELNS1_3gpuE2ELNS1_3repE0EEENS1_30default_config_static_selectorELNS0_4arch9wavefront6targetE0EEEvSO_
    .private_segment_fixed_size: 0
    .sgpr_count:     0
    .sgpr_spill_count: 0
    .symbol:         _ZN7rocprim17ROCPRIM_400000_NS6detail17trampoline_kernelINS0_14default_configENS1_37merge_sort_block_sort_config_selectorIlNS0_10empty_typeEEEZNS1_21merge_sort_block_sortIS3_PlS8_PS5_S9_ZN2at6native12_GLOBAL__N_124unique_dim_cuda_templateIN3c104HalfEEESt5tupleIJNSA_6TensorESH_SH_EERKSH_lbbbEUlllE_EE10hipError_tT0_T1_T2_T3_mRjT4_P12ihipStream_tbNS1_7vsmem_tEEUlT_E_NS1_11comp_targetILNS1_3genE8ELNS1_11target_archE1030ELNS1_3gpuE2ELNS1_3repE0EEENS1_30default_config_static_selectorELNS0_4arch9wavefront6targetE0EEEvSO_.kd
    .uniform_work_group_size: 1
    .uses_dynamic_stack: false
    .vgpr_count:     0
    .vgpr_spill_count: 0
    .wavefront_size: 32
    .workgroup_processor_mode: 1
  - .args:
      - .offset:         0
        .size:           56
        .value_kind:     by_value
    .group_segment_fixed_size: 0
    .kernarg_segment_align: 8
    .kernarg_segment_size: 56
    .language:       OpenCL C
    .language_version:
      - 2
      - 0
    .max_flat_workgroup_size: 128
    .name:           _ZN7rocprim17ROCPRIM_400000_NS6detail17trampoline_kernelINS0_14default_configENS1_38merge_sort_block_merge_config_selectorIlNS0_10empty_typeEEEZZNS1_27merge_sort_block_merge_implIS3_PlPS5_mZN2at6native12_GLOBAL__N_124unique_dim_cuda_templateIN3c104HalfEEESt5tupleIJNSA_6TensorESH_SH_EERKSH_lbbbEUlllE_EE10hipError_tT0_T1_T2_jT3_P12ihipStream_tbPNSt15iterator_traitsISN_E10value_typeEPNST_ISO_E10value_typeEPSP_NS1_7vsmem_tEENKUlT_SN_SO_SP_E_clIS8_S8_S9_S9_EESM_S12_SN_SO_SP_EUlS12_E_NS1_11comp_targetILNS1_3genE0ELNS1_11target_archE4294967295ELNS1_3gpuE0ELNS1_3repE0EEENS1_48merge_mergepath_partition_config_static_selectorELNS0_4arch9wavefront6targetE0EEEvSO_
    .private_segment_fixed_size: 0
    .sgpr_count:     0
    .sgpr_spill_count: 0
    .symbol:         _ZN7rocprim17ROCPRIM_400000_NS6detail17trampoline_kernelINS0_14default_configENS1_38merge_sort_block_merge_config_selectorIlNS0_10empty_typeEEEZZNS1_27merge_sort_block_merge_implIS3_PlPS5_mZN2at6native12_GLOBAL__N_124unique_dim_cuda_templateIN3c104HalfEEESt5tupleIJNSA_6TensorESH_SH_EERKSH_lbbbEUlllE_EE10hipError_tT0_T1_T2_jT3_P12ihipStream_tbPNSt15iterator_traitsISN_E10value_typeEPNST_ISO_E10value_typeEPSP_NS1_7vsmem_tEENKUlT_SN_SO_SP_E_clIS8_S8_S9_S9_EESM_S12_SN_SO_SP_EUlS12_E_NS1_11comp_targetILNS1_3genE0ELNS1_11target_archE4294967295ELNS1_3gpuE0ELNS1_3repE0EEENS1_48merge_mergepath_partition_config_static_selectorELNS0_4arch9wavefront6targetE0EEEvSO_.kd
    .uniform_work_group_size: 1
    .uses_dynamic_stack: false
    .vgpr_count:     0
    .vgpr_spill_count: 0
    .wavefront_size: 32
    .workgroup_processor_mode: 1
  - .args:
      - .offset:         0
        .size:           56
        .value_kind:     by_value
    .group_segment_fixed_size: 0
    .kernarg_segment_align: 8
    .kernarg_segment_size: 56
    .language:       OpenCL C
    .language_version:
      - 2
      - 0
    .max_flat_workgroup_size: 128
    .name:           _ZN7rocprim17ROCPRIM_400000_NS6detail17trampoline_kernelINS0_14default_configENS1_38merge_sort_block_merge_config_selectorIlNS0_10empty_typeEEEZZNS1_27merge_sort_block_merge_implIS3_PlPS5_mZN2at6native12_GLOBAL__N_124unique_dim_cuda_templateIN3c104HalfEEESt5tupleIJNSA_6TensorESH_SH_EERKSH_lbbbEUlllE_EE10hipError_tT0_T1_T2_jT3_P12ihipStream_tbPNSt15iterator_traitsISN_E10value_typeEPNST_ISO_E10value_typeEPSP_NS1_7vsmem_tEENKUlT_SN_SO_SP_E_clIS8_S8_S9_S9_EESM_S12_SN_SO_SP_EUlS12_E_NS1_11comp_targetILNS1_3genE10ELNS1_11target_archE1201ELNS1_3gpuE5ELNS1_3repE0EEENS1_48merge_mergepath_partition_config_static_selectorELNS0_4arch9wavefront6targetE0EEEvSO_
    .private_segment_fixed_size: 0
    .sgpr_count:     0
    .sgpr_spill_count: 0
    .symbol:         _ZN7rocprim17ROCPRIM_400000_NS6detail17trampoline_kernelINS0_14default_configENS1_38merge_sort_block_merge_config_selectorIlNS0_10empty_typeEEEZZNS1_27merge_sort_block_merge_implIS3_PlPS5_mZN2at6native12_GLOBAL__N_124unique_dim_cuda_templateIN3c104HalfEEESt5tupleIJNSA_6TensorESH_SH_EERKSH_lbbbEUlllE_EE10hipError_tT0_T1_T2_jT3_P12ihipStream_tbPNSt15iterator_traitsISN_E10value_typeEPNST_ISO_E10value_typeEPSP_NS1_7vsmem_tEENKUlT_SN_SO_SP_E_clIS8_S8_S9_S9_EESM_S12_SN_SO_SP_EUlS12_E_NS1_11comp_targetILNS1_3genE10ELNS1_11target_archE1201ELNS1_3gpuE5ELNS1_3repE0EEENS1_48merge_mergepath_partition_config_static_selectorELNS0_4arch9wavefront6targetE0EEEvSO_.kd
    .uniform_work_group_size: 1
    .uses_dynamic_stack: false
    .vgpr_count:     0
    .vgpr_spill_count: 0
    .wavefront_size: 32
    .workgroup_processor_mode: 1
  - .args:
      - .offset:         0
        .size:           56
        .value_kind:     by_value
    .group_segment_fixed_size: 0
    .kernarg_segment_align: 8
    .kernarg_segment_size: 56
    .language:       OpenCL C
    .language_version:
      - 2
      - 0
    .max_flat_workgroup_size: 128
    .name:           _ZN7rocprim17ROCPRIM_400000_NS6detail17trampoline_kernelINS0_14default_configENS1_38merge_sort_block_merge_config_selectorIlNS0_10empty_typeEEEZZNS1_27merge_sort_block_merge_implIS3_PlPS5_mZN2at6native12_GLOBAL__N_124unique_dim_cuda_templateIN3c104HalfEEESt5tupleIJNSA_6TensorESH_SH_EERKSH_lbbbEUlllE_EE10hipError_tT0_T1_T2_jT3_P12ihipStream_tbPNSt15iterator_traitsISN_E10value_typeEPNST_ISO_E10value_typeEPSP_NS1_7vsmem_tEENKUlT_SN_SO_SP_E_clIS8_S8_S9_S9_EESM_S12_SN_SO_SP_EUlS12_E_NS1_11comp_targetILNS1_3genE5ELNS1_11target_archE942ELNS1_3gpuE9ELNS1_3repE0EEENS1_48merge_mergepath_partition_config_static_selectorELNS0_4arch9wavefront6targetE0EEEvSO_
    .private_segment_fixed_size: 0
    .sgpr_count:     0
    .sgpr_spill_count: 0
    .symbol:         _ZN7rocprim17ROCPRIM_400000_NS6detail17trampoline_kernelINS0_14default_configENS1_38merge_sort_block_merge_config_selectorIlNS0_10empty_typeEEEZZNS1_27merge_sort_block_merge_implIS3_PlPS5_mZN2at6native12_GLOBAL__N_124unique_dim_cuda_templateIN3c104HalfEEESt5tupleIJNSA_6TensorESH_SH_EERKSH_lbbbEUlllE_EE10hipError_tT0_T1_T2_jT3_P12ihipStream_tbPNSt15iterator_traitsISN_E10value_typeEPNST_ISO_E10value_typeEPSP_NS1_7vsmem_tEENKUlT_SN_SO_SP_E_clIS8_S8_S9_S9_EESM_S12_SN_SO_SP_EUlS12_E_NS1_11comp_targetILNS1_3genE5ELNS1_11target_archE942ELNS1_3gpuE9ELNS1_3repE0EEENS1_48merge_mergepath_partition_config_static_selectorELNS0_4arch9wavefront6targetE0EEEvSO_.kd
    .uniform_work_group_size: 1
    .uses_dynamic_stack: false
    .vgpr_count:     0
    .vgpr_spill_count: 0
    .wavefront_size: 32
    .workgroup_processor_mode: 1
  - .args:
      - .offset:         0
        .size:           56
        .value_kind:     by_value
    .group_segment_fixed_size: 0
    .kernarg_segment_align: 8
    .kernarg_segment_size: 56
    .language:       OpenCL C
    .language_version:
      - 2
      - 0
    .max_flat_workgroup_size: 128
    .name:           _ZN7rocprim17ROCPRIM_400000_NS6detail17trampoline_kernelINS0_14default_configENS1_38merge_sort_block_merge_config_selectorIlNS0_10empty_typeEEEZZNS1_27merge_sort_block_merge_implIS3_PlPS5_mZN2at6native12_GLOBAL__N_124unique_dim_cuda_templateIN3c104HalfEEESt5tupleIJNSA_6TensorESH_SH_EERKSH_lbbbEUlllE_EE10hipError_tT0_T1_T2_jT3_P12ihipStream_tbPNSt15iterator_traitsISN_E10value_typeEPNST_ISO_E10value_typeEPSP_NS1_7vsmem_tEENKUlT_SN_SO_SP_E_clIS8_S8_S9_S9_EESM_S12_SN_SO_SP_EUlS12_E_NS1_11comp_targetILNS1_3genE4ELNS1_11target_archE910ELNS1_3gpuE8ELNS1_3repE0EEENS1_48merge_mergepath_partition_config_static_selectorELNS0_4arch9wavefront6targetE0EEEvSO_
    .private_segment_fixed_size: 0
    .sgpr_count:     0
    .sgpr_spill_count: 0
    .symbol:         _ZN7rocprim17ROCPRIM_400000_NS6detail17trampoline_kernelINS0_14default_configENS1_38merge_sort_block_merge_config_selectorIlNS0_10empty_typeEEEZZNS1_27merge_sort_block_merge_implIS3_PlPS5_mZN2at6native12_GLOBAL__N_124unique_dim_cuda_templateIN3c104HalfEEESt5tupleIJNSA_6TensorESH_SH_EERKSH_lbbbEUlllE_EE10hipError_tT0_T1_T2_jT3_P12ihipStream_tbPNSt15iterator_traitsISN_E10value_typeEPNST_ISO_E10value_typeEPSP_NS1_7vsmem_tEENKUlT_SN_SO_SP_E_clIS8_S8_S9_S9_EESM_S12_SN_SO_SP_EUlS12_E_NS1_11comp_targetILNS1_3genE4ELNS1_11target_archE910ELNS1_3gpuE8ELNS1_3repE0EEENS1_48merge_mergepath_partition_config_static_selectorELNS0_4arch9wavefront6targetE0EEEvSO_.kd
    .uniform_work_group_size: 1
    .uses_dynamic_stack: false
    .vgpr_count:     0
    .vgpr_spill_count: 0
    .wavefront_size: 32
    .workgroup_processor_mode: 1
  - .args:
      - .offset:         0
        .size:           56
        .value_kind:     by_value
    .group_segment_fixed_size: 0
    .kernarg_segment_align: 8
    .kernarg_segment_size: 56
    .language:       OpenCL C
    .language_version:
      - 2
      - 0
    .max_flat_workgroup_size: 128
    .name:           _ZN7rocprim17ROCPRIM_400000_NS6detail17trampoline_kernelINS0_14default_configENS1_38merge_sort_block_merge_config_selectorIlNS0_10empty_typeEEEZZNS1_27merge_sort_block_merge_implIS3_PlPS5_mZN2at6native12_GLOBAL__N_124unique_dim_cuda_templateIN3c104HalfEEESt5tupleIJNSA_6TensorESH_SH_EERKSH_lbbbEUlllE_EE10hipError_tT0_T1_T2_jT3_P12ihipStream_tbPNSt15iterator_traitsISN_E10value_typeEPNST_ISO_E10value_typeEPSP_NS1_7vsmem_tEENKUlT_SN_SO_SP_E_clIS8_S8_S9_S9_EESM_S12_SN_SO_SP_EUlS12_E_NS1_11comp_targetILNS1_3genE3ELNS1_11target_archE908ELNS1_3gpuE7ELNS1_3repE0EEENS1_48merge_mergepath_partition_config_static_selectorELNS0_4arch9wavefront6targetE0EEEvSO_
    .private_segment_fixed_size: 0
    .sgpr_count:     0
    .sgpr_spill_count: 0
    .symbol:         _ZN7rocprim17ROCPRIM_400000_NS6detail17trampoline_kernelINS0_14default_configENS1_38merge_sort_block_merge_config_selectorIlNS0_10empty_typeEEEZZNS1_27merge_sort_block_merge_implIS3_PlPS5_mZN2at6native12_GLOBAL__N_124unique_dim_cuda_templateIN3c104HalfEEESt5tupleIJNSA_6TensorESH_SH_EERKSH_lbbbEUlllE_EE10hipError_tT0_T1_T2_jT3_P12ihipStream_tbPNSt15iterator_traitsISN_E10value_typeEPNST_ISO_E10value_typeEPSP_NS1_7vsmem_tEENKUlT_SN_SO_SP_E_clIS8_S8_S9_S9_EESM_S12_SN_SO_SP_EUlS12_E_NS1_11comp_targetILNS1_3genE3ELNS1_11target_archE908ELNS1_3gpuE7ELNS1_3repE0EEENS1_48merge_mergepath_partition_config_static_selectorELNS0_4arch9wavefront6targetE0EEEvSO_.kd
    .uniform_work_group_size: 1
    .uses_dynamic_stack: false
    .vgpr_count:     0
    .vgpr_spill_count: 0
    .wavefront_size: 32
    .workgroup_processor_mode: 1
  - .args:
      - .offset:         0
        .size:           56
        .value_kind:     by_value
    .group_segment_fixed_size: 0
    .kernarg_segment_align: 8
    .kernarg_segment_size: 56
    .language:       OpenCL C
    .language_version:
      - 2
      - 0
    .max_flat_workgroup_size: 128
    .name:           _ZN7rocprim17ROCPRIM_400000_NS6detail17trampoline_kernelINS0_14default_configENS1_38merge_sort_block_merge_config_selectorIlNS0_10empty_typeEEEZZNS1_27merge_sort_block_merge_implIS3_PlPS5_mZN2at6native12_GLOBAL__N_124unique_dim_cuda_templateIN3c104HalfEEESt5tupleIJNSA_6TensorESH_SH_EERKSH_lbbbEUlllE_EE10hipError_tT0_T1_T2_jT3_P12ihipStream_tbPNSt15iterator_traitsISN_E10value_typeEPNST_ISO_E10value_typeEPSP_NS1_7vsmem_tEENKUlT_SN_SO_SP_E_clIS8_S8_S9_S9_EESM_S12_SN_SO_SP_EUlS12_E_NS1_11comp_targetILNS1_3genE2ELNS1_11target_archE906ELNS1_3gpuE6ELNS1_3repE0EEENS1_48merge_mergepath_partition_config_static_selectorELNS0_4arch9wavefront6targetE0EEEvSO_
    .private_segment_fixed_size: 0
    .sgpr_count:     0
    .sgpr_spill_count: 0
    .symbol:         _ZN7rocprim17ROCPRIM_400000_NS6detail17trampoline_kernelINS0_14default_configENS1_38merge_sort_block_merge_config_selectorIlNS0_10empty_typeEEEZZNS1_27merge_sort_block_merge_implIS3_PlPS5_mZN2at6native12_GLOBAL__N_124unique_dim_cuda_templateIN3c104HalfEEESt5tupleIJNSA_6TensorESH_SH_EERKSH_lbbbEUlllE_EE10hipError_tT0_T1_T2_jT3_P12ihipStream_tbPNSt15iterator_traitsISN_E10value_typeEPNST_ISO_E10value_typeEPSP_NS1_7vsmem_tEENKUlT_SN_SO_SP_E_clIS8_S8_S9_S9_EESM_S12_SN_SO_SP_EUlS12_E_NS1_11comp_targetILNS1_3genE2ELNS1_11target_archE906ELNS1_3gpuE6ELNS1_3repE0EEENS1_48merge_mergepath_partition_config_static_selectorELNS0_4arch9wavefront6targetE0EEEvSO_.kd
    .uniform_work_group_size: 1
    .uses_dynamic_stack: false
    .vgpr_count:     0
    .vgpr_spill_count: 0
    .wavefront_size: 32
    .workgroup_processor_mode: 1
  - .args:
      - .offset:         0
        .size:           56
        .value_kind:     by_value
    .group_segment_fixed_size: 0
    .kernarg_segment_align: 8
    .kernarg_segment_size: 56
    .language:       OpenCL C
    .language_version:
      - 2
      - 0
    .max_flat_workgroup_size: 128
    .name:           _ZN7rocprim17ROCPRIM_400000_NS6detail17trampoline_kernelINS0_14default_configENS1_38merge_sort_block_merge_config_selectorIlNS0_10empty_typeEEEZZNS1_27merge_sort_block_merge_implIS3_PlPS5_mZN2at6native12_GLOBAL__N_124unique_dim_cuda_templateIN3c104HalfEEESt5tupleIJNSA_6TensorESH_SH_EERKSH_lbbbEUlllE_EE10hipError_tT0_T1_T2_jT3_P12ihipStream_tbPNSt15iterator_traitsISN_E10value_typeEPNST_ISO_E10value_typeEPSP_NS1_7vsmem_tEENKUlT_SN_SO_SP_E_clIS8_S8_S9_S9_EESM_S12_SN_SO_SP_EUlS12_E_NS1_11comp_targetILNS1_3genE9ELNS1_11target_archE1100ELNS1_3gpuE3ELNS1_3repE0EEENS1_48merge_mergepath_partition_config_static_selectorELNS0_4arch9wavefront6targetE0EEEvSO_
    .private_segment_fixed_size: 0
    .sgpr_count:     23
    .sgpr_spill_count: 0
    .symbol:         _ZN7rocprim17ROCPRIM_400000_NS6detail17trampoline_kernelINS0_14default_configENS1_38merge_sort_block_merge_config_selectorIlNS0_10empty_typeEEEZZNS1_27merge_sort_block_merge_implIS3_PlPS5_mZN2at6native12_GLOBAL__N_124unique_dim_cuda_templateIN3c104HalfEEESt5tupleIJNSA_6TensorESH_SH_EERKSH_lbbbEUlllE_EE10hipError_tT0_T1_T2_jT3_P12ihipStream_tbPNSt15iterator_traitsISN_E10value_typeEPNST_ISO_E10value_typeEPSP_NS1_7vsmem_tEENKUlT_SN_SO_SP_E_clIS8_S8_S9_S9_EESM_S12_SN_SO_SP_EUlS12_E_NS1_11comp_targetILNS1_3genE9ELNS1_11target_archE1100ELNS1_3gpuE3ELNS1_3repE0EEENS1_48merge_mergepath_partition_config_static_selectorELNS0_4arch9wavefront6targetE0EEEvSO_.kd
    .uniform_work_group_size: 1
    .uses_dynamic_stack: false
    .vgpr_count:     22
    .vgpr_spill_count: 0
    .wavefront_size: 32
    .workgroup_processor_mode: 1
  - .args:
      - .offset:         0
        .size:           56
        .value_kind:     by_value
    .group_segment_fixed_size: 0
    .kernarg_segment_align: 8
    .kernarg_segment_size: 56
    .language:       OpenCL C
    .language_version:
      - 2
      - 0
    .max_flat_workgroup_size: 128
    .name:           _ZN7rocprim17ROCPRIM_400000_NS6detail17trampoline_kernelINS0_14default_configENS1_38merge_sort_block_merge_config_selectorIlNS0_10empty_typeEEEZZNS1_27merge_sort_block_merge_implIS3_PlPS5_mZN2at6native12_GLOBAL__N_124unique_dim_cuda_templateIN3c104HalfEEESt5tupleIJNSA_6TensorESH_SH_EERKSH_lbbbEUlllE_EE10hipError_tT0_T1_T2_jT3_P12ihipStream_tbPNSt15iterator_traitsISN_E10value_typeEPNST_ISO_E10value_typeEPSP_NS1_7vsmem_tEENKUlT_SN_SO_SP_E_clIS8_S8_S9_S9_EESM_S12_SN_SO_SP_EUlS12_E_NS1_11comp_targetILNS1_3genE8ELNS1_11target_archE1030ELNS1_3gpuE2ELNS1_3repE0EEENS1_48merge_mergepath_partition_config_static_selectorELNS0_4arch9wavefront6targetE0EEEvSO_
    .private_segment_fixed_size: 0
    .sgpr_count:     0
    .sgpr_spill_count: 0
    .symbol:         _ZN7rocprim17ROCPRIM_400000_NS6detail17trampoline_kernelINS0_14default_configENS1_38merge_sort_block_merge_config_selectorIlNS0_10empty_typeEEEZZNS1_27merge_sort_block_merge_implIS3_PlPS5_mZN2at6native12_GLOBAL__N_124unique_dim_cuda_templateIN3c104HalfEEESt5tupleIJNSA_6TensorESH_SH_EERKSH_lbbbEUlllE_EE10hipError_tT0_T1_T2_jT3_P12ihipStream_tbPNSt15iterator_traitsISN_E10value_typeEPNST_ISO_E10value_typeEPSP_NS1_7vsmem_tEENKUlT_SN_SO_SP_E_clIS8_S8_S9_S9_EESM_S12_SN_SO_SP_EUlS12_E_NS1_11comp_targetILNS1_3genE8ELNS1_11target_archE1030ELNS1_3gpuE2ELNS1_3repE0EEENS1_48merge_mergepath_partition_config_static_selectorELNS0_4arch9wavefront6targetE0EEEvSO_.kd
    .uniform_work_group_size: 1
    .uses_dynamic_stack: false
    .vgpr_count:     0
    .vgpr_spill_count: 0
    .wavefront_size: 32
    .workgroup_processor_mode: 1
  - .args:
      - .offset:         0
        .size:           88
        .value_kind:     by_value
    .group_segment_fixed_size: 0
    .kernarg_segment_align: 8
    .kernarg_segment_size: 88
    .language:       OpenCL C
    .language_version:
      - 2
      - 0
    .max_flat_workgroup_size: 128
    .name:           _ZN7rocprim17ROCPRIM_400000_NS6detail17trampoline_kernelINS0_14default_configENS1_38merge_sort_block_merge_config_selectorIlNS0_10empty_typeEEEZZNS1_27merge_sort_block_merge_implIS3_PlPS5_mZN2at6native12_GLOBAL__N_124unique_dim_cuda_templateIN3c104HalfEEESt5tupleIJNSA_6TensorESH_SH_EERKSH_lbbbEUlllE_EE10hipError_tT0_T1_T2_jT3_P12ihipStream_tbPNSt15iterator_traitsISN_E10value_typeEPNST_ISO_E10value_typeEPSP_NS1_7vsmem_tEENKUlT_SN_SO_SP_E_clIS8_S8_S9_S9_EESM_S12_SN_SO_SP_EUlS12_E0_NS1_11comp_targetILNS1_3genE0ELNS1_11target_archE4294967295ELNS1_3gpuE0ELNS1_3repE0EEENS1_38merge_mergepath_config_static_selectorELNS0_4arch9wavefront6targetE0EEEvSO_
    .private_segment_fixed_size: 0
    .sgpr_count:     0
    .sgpr_spill_count: 0
    .symbol:         _ZN7rocprim17ROCPRIM_400000_NS6detail17trampoline_kernelINS0_14default_configENS1_38merge_sort_block_merge_config_selectorIlNS0_10empty_typeEEEZZNS1_27merge_sort_block_merge_implIS3_PlPS5_mZN2at6native12_GLOBAL__N_124unique_dim_cuda_templateIN3c104HalfEEESt5tupleIJNSA_6TensorESH_SH_EERKSH_lbbbEUlllE_EE10hipError_tT0_T1_T2_jT3_P12ihipStream_tbPNSt15iterator_traitsISN_E10value_typeEPNST_ISO_E10value_typeEPSP_NS1_7vsmem_tEENKUlT_SN_SO_SP_E_clIS8_S8_S9_S9_EESM_S12_SN_SO_SP_EUlS12_E0_NS1_11comp_targetILNS1_3genE0ELNS1_11target_archE4294967295ELNS1_3gpuE0ELNS1_3repE0EEENS1_38merge_mergepath_config_static_selectorELNS0_4arch9wavefront6targetE0EEEvSO_.kd
    .uniform_work_group_size: 1
    .uses_dynamic_stack: false
    .vgpr_count:     0
    .vgpr_spill_count: 0
    .wavefront_size: 32
    .workgroup_processor_mode: 1
  - .args:
      - .offset:         0
        .size:           88
        .value_kind:     by_value
    .group_segment_fixed_size: 0
    .kernarg_segment_align: 8
    .kernarg_segment_size: 88
    .language:       OpenCL C
    .language_version:
      - 2
      - 0
    .max_flat_workgroup_size: 512
    .name:           _ZN7rocprim17ROCPRIM_400000_NS6detail17trampoline_kernelINS0_14default_configENS1_38merge_sort_block_merge_config_selectorIlNS0_10empty_typeEEEZZNS1_27merge_sort_block_merge_implIS3_PlPS5_mZN2at6native12_GLOBAL__N_124unique_dim_cuda_templateIN3c104HalfEEESt5tupleIJNSA_6TensorESH_SH_EERKSH_lbbbEUlllE_EE10hipError_tT0_T1_T2_jT3_P12ihipStream_tbPNSt15iterator_traitsISN_E10value_typeEPNST_ISO_E10value_typeEPSP_NS1_7vsmem_tEENKUlT_SN_SO_SP_E_clIS8_S8_S9_S9_EESM_S12_SN_SO_SP_EUlS12_E0_NS1_11comp_targetILNS1_3genE10ELNS1_11target_archE1201ELNS1_3gpuE5ELNS1_3repE0EEENS1_38merge_mergepath_config_static_selectorELNS0_4arch9wavefront6targetE0EEEvSO_
    .private_segment_fixed_size: 0
    .sgpr_count:     0
    .sgpr_spill_count: 0
    .symbol:         _ZN7rocprim17ROCPRIM_400000_NS6detail17trampoline_kernelINS0_14default_configENS1_38merge_sort_block_merge_config_selectorIlNS0_10empty_typeEEEZZNS1_27merge_sort_block_merge_implIS3_PlPS5_mZN2at6native12_GLOBAL__N_124unique_dim_cuda_templateIN3c104HalfEEESt5tupleIJNSA_6TensorESH_SH_EERKSH_lbbbEUlllE_EE10hipError_tT0_T1_T2_jT3_P12ihipStream_tbPNSt15iterator_traitsISN_E10value_typeEPNST_ISO_E10value_typeEPSP_NS1_7vsmem_tEENKUlT_SN_SO_SP_E_clIS8_S8_S9_S9_EESM_S12_SN_SO_SP_EUlS12_E0_NS1_11comp_targetILNS1_3genE10ELNS1_11target_archE1201ELNS1_3gpuE5ELNS1_3repE0EEENS1_38merge_mergepath_config_static_selectorELNS0_4arch9wavefront6targetE0EEEvSO_.kd
    .uniform_work_group_size: 1
    .uses_dynamic_stack: false
    .vgpr_count:     0
    .vgpr_spill_count: 0
    .wavefront_size: 32
    .workgroup_processor_mode: 1
  - .args:
      - .offset:         0
        .size:           88
        .value_kind:     by_value
    .group_segment_fixed_size: 0
    .kernarg_segment_align: 8
    .kernarg_segment_size: 88
    .language:       OpenCL C
    .language_version:
      - 2
      - 0
    .max_flat_workgroup_size: 128
    .name:           _ZN7rocprim17ROCPRIM_400000_NS6detail17trampoline_kernelINS0_14default_configENS1_38merge_sort_block_merge_config_selectorIlNS0_10empty_typeEEEZZNS1_27merge_sort_block_merge_implIS3_PlPS5_mZN2at6native12_GLOBAL__N_124unique_dim_cuda_templateIN3c104HalfEEESt5tupleIJNSA_6TensorESH_SH_EERKSH_lbbbEUlllE_EE10hipError_tT0_T1_T2_jT3_P12ihipStream_tbPNSt15iterator_traitsISN_E10value_typeEPNST_ISO_E10value_typeEPSP_NS1_7vsmem_tEENKUlT_SN_SO_SP_E_clIS8_S8_S9_S9_EESM_S12_SN_SO_SP_EUlS12_E0_NS1_11comp_targetILNS1_3genE5ELNS1_11target_archE942ELNS1_3gpuE9ELNS1_3repE0EEENS1_38merge_mergepath_config_static_selectorELNS0_4arch9wavefront6targetE0EEEvSO_
    .private_segment_fixed_size: 0
    .sgpr_count:     0
    .sgpr_spill_count: 0
    .symbol:         _ZN7rocprim17ROCPRIM_400000_NS6detail17trampoline_kernelINS0_14default_configENS1_38merge_sort_block_merge_config_selectorIlNS0_10empty_typeEEEZZNS1_27merge_sort_block_merge_implIS3_PlPS5_mZN2at6native12_GLOBAL__N_124unique_dim_cuda_templateIN3c104HalfEEESt5tupleIJNSA_6TensorESH_SH_EERKSH_lbbbEUlllE_EE10hipError_tT0_T1_T2_jT3_P12ihipStream_tbPNSt15iterator_traitsISN_E10value_typeEPNST_ISO_E10value_typeEPSP_NS1_7vsmem_tEENKUlT_SN_SO_SP_E_clIS8_S8_S9_S9_EESM_S12_SN_SO_SP_EUlS12_E0_NS1_11comp_targetILNS1_3genE5ELNS1_11target_archE942ELNS1_3gpuE9ELNS1_3repE0EEENS1_38merge_mergepath_config_static_selectorELNS0_4arch9wavefront6targetE0EEEvSO_.kd
    .uniform_work_group_size: 1
    .uses_dynamic_stack: false
    .vgpr_count:     0
    .vgpr_spill_count: 0
    .wavefront_size: 32
    .workgroup_processor_mode: 1
  - .args:
      - .offset:         0
        .size:           88
        .value_kind:     by_value
    .group_segment_fixed_size: 0
    .kernarg_segment_align: 8
    .kernarg_segment_size: 88
    .language:       OpenCL C
    .language_version:
      - 2
      - 0
    .max_flat_workgroup_size: 256
    .name:           _ZN7rocprim17ROCPRIM_400000_NS6detail17trampoline_kernelINS0_14default_configENS1_38merge_sort_block_merge_config_selectorIlNS0_10empty_typeEEEZZNS1_27merge_sort_block_merge_implIS3_PlPS5_mZN2at6native12_GLOBAL__N_124unique_dim_cuda_templateIN3c104HalfEEESt5tupleIJNSA_6TensorESH_SH_EERKSH_lbbbEUlllE_EE10hipError_tT0_T1_T2_jT3_P12ihipStream_tbPNSt15iterator_traitsISN_E10value_typeEPNST_ISO_E10value_typeEPSP_NS1_7vsmem_tEENKUlT_SN_SO_SP_E_clIS8_S8_S9_S9_EESM_S12_SN_SO_SP_EUlS12_E0_NS1_11comp_targetILNS1_3genE4ELNS1_11target_archE910ELNS1_3gpuE8ELNS1_3repE0EEENS1_38merge_mergepath_config_static_selectorELNS0_4arch9wavefront6targetE0EEEvSO_
    .private_segment_fixed_size: 0
    .sgpr_count:     0
    .sgpr_spill_count: 0
    .symbol:         _ZN7rocprim17ROCPRIM_400000_NS6detail17trampoline_kernelINS0_14default_configENS1_38merge_sort_block_merge_config_selectorIlNS0_10empty_typeEEEZZNS1_27merge_sort_block_merge_implIS3_PlPS5_mZN2at6native12_GLOBAL__N_124unique_dim_cuda_templateIN3c104HalfEEESt5tupleIJNSA_6TensorESH_SH_EERKSH_lbbbEUlllE_EE10hipError_tT0_T1_T2_jT3_P12ihipStream_tbPNSt15iterator_traitsISN_E10value_typeEPNST_ISO_E10value_typeEPSP_NS1_7vsmem_tEENKUlT_SN_SO_SP_E_clIS8_S8_S9_S9_EESM_S12_SN_SO_SP_EUlS12_E0_NS1_11comp_targetILNS1_3genE4ELNS1_11target_archE910ELNS1_3gpuE8ELNS1_3repE0EEENS1_38merge_mergepath_config_static_selectorELNS0_4arch9wavefront6targetE0EEEvSO_.kd
    .uniform_work_group_size: 1
    .uses_dynamic_stack: false
    .vgpr_count:     0
    .vgpr_spill_count: 0
    .wavefront_size: 32
    .workgroup_processor_mode: 1
  - .args:
      - .offset:         0
        .size:           88
        .value_kind:     by_value
    .group_segment_fixed_size: 0
    .kernarg_segment_align: 8
    .kernarg_segment_size: 88
    .language:       OpenCL C
    .language_version:
      - 2
      - 0
    .max_flat_workgroup_size: 128
    .name:           _ZN7rocprim17ROCPRIM_400000_NS6detail17trampoline_kernelINS0_14default_configENS1_38merge_sort_block_merge_config_selectorIlNS0_10empty_typeEEEZZNS1_27merge_sort_block_merge_implIS3_PlPS5_mZN2at6native12_GLOBAL__N_124unique_dim_cuda_templateIN3c104HalfEEESt5tupleIJNSA_6TensorESH_SH_EERKSH_lbbbEUlllE_EE10hipError_tT0_T1_T2_jT3_P12ihipStream_tbPNSt15iterator_traitsISN_E10value_typeEPNST_ISO_E10value_typeEPSP_NS1_7vsmem_tEENKUlT_SN_SO_SP_E_clIS8_S8_S9_S9_EESM_S12_SN_SO_SP_EUlS12_E0_NS1_11comp_targetILNS1_3genE3ELNS1_11target_archE908ELNS1_3gpuE7ELNS1_3repE0EEENS1_38merge_mergepath_config_static_selectorELNS0_4arch9wavefront6targetE0EEEvSO_
    .private_segment_fixed_size: 0
    .sgpr_count:     0
    .sgpr_spill_count: 0
    .symbol:         _ZN7rocprim17ROCPRIM_400000_NS6detail17trampoline_kernelINS0_14default_configENS1_38merge_sort_block_merge_config_selectorIlNS0_10empty_typeEEEZZNS1_27merge_sort_block_merge_implIS3_PlPS5_mZN2at6native12_GLOBAL__N_124unique_dim_cuda_templateIN3c104HalfEEESt5tupleIJNSA_6TensorESH_SH_EERKSH_lbbbEUlllE_EE10hipError_tT0_T1_T2_jT3_P12ihipStream_tbPNSt15iterator_traitsISN_E10value_typeEPNST_ISO_E10value_typeEPSP_NS1_7vsmem_tEENKUlT_SN_SO_SP_E_clIS8_S8_S9_S9_EESM_S12_SN_SO_SP_EUlS12_E0_NS1_11comp_targetILNS1_3genE3ELNS1_11target_archE908ELNS1_3gpuE7ELNS1_3repE0EEENS1_38merge_mergepath_config_static_selectorELNS0_4arch9wavefront6targetE0EEEvSO_.kd
    .uniform_work_group_size: 1
    .uses_dynamic_stack: false
    .vgpr_count:     0
    .vgpr_spill_count: 0
    .wavefront_size: 32
    .workgroup_processor_mode: 1
  - .args:
      - .offset:         0
        .size:           88
        .value_kind:     by_value
    .group_segment_fixed_size: 0
    .kernarg_segment_align: 8
    .kernarg_segment_size: 88
    .language:       OpenCL C
    .language_version:
      - 2
      - 0
    .max_flat_workgroup_size: 256
    .name:           _ZN7rocprim17ROCPRIM_400000_NS6detail17trampoline_kernelINS0_14default_configENS1_38merge_sort_block_merge_config_selectorIlNS0_10empty_typeEEEZZNS1_27merge_sort_block_merge_implIS3_PlPS5_mZN2at6native12_GLOBAL__N_124unique_dim_cuda_templateIN3c104HalfEEESt5tupleIJNSA_6TensorESH_SH_EERKSH_lbbbEUlllE_EE10hipError_tT0_T1_T2_jT3_P12ihipStream_tbPNSt15iterator_traitsISN_E10value_typeEPNST_ISO_E10value_typeEPSP_NS1_7vsmem_tEENKUlT_SN_SO_SP_E_clIS8_S8_S9_S9_EESM_S12_SN_SO_SP_EUlS12_E0_NS1_11comp_targetILNS1_3genE2ELNS1_11target_archE906ELNS1_3gpuE6ELNS1_3repE0EEENS1_38merge_mergepath_config_static_selectorELNS0_4arch9wavefront6targetE0EEEvSO_
    .private_segment_fixed_size: 0
    .sgpr_count:     0
    .sgpr_spill_count: 0
    .symbol:         _ZN7rocprim17ROCPRIM_400000_NS6detail17trampoline_kernelINS0_14default_configENS1_38merge_sort_block_merge_config_selectorIlNS0_10empty_typeEEEZZNS1_27merge_sort_block_merge_implIS3_PlPS5_mZN2at6native12_GLOBAL__N_124unique_dim_cuda_templateIN3c104HalfEEESt5tupleIJNSA_6TensorESH_SH_EERKSH_lbbbEUlllE_EE10hipError_tT0_T1_T2_jT3_P12ihipStream_tbPNSt15iterator_traitsISN_E10value_typeEPNST_ISO_E10value_typeEPSP_NS1_7vsmem_tEENKUlT_SN_SO_SP_E_clIS8_S8_S9_S9_EESM_S12_SN_SO_SP_EUlS12_E0_NS1_11comp_targetILNS1_3genE2ELNS1_11target_archE906ELNS1_3gpuE6ELNS1_3repE0EEENS1_38merge_mergepath_config_static_selectorELNS0_4arch9wavefront6targetE0EEEvSO_.kd
    .uniform_work_group_size: 1
    .uses_dynamic_stack: false
    .vgpr_count:     0
    .vgpr_spill_count: 0
    .wavefront_size: 32
    .workgroup_processor_mode: 1
  - .args:
      - .offset:         0
        .size:           88
        .value_kind:     by_value
      - .offset:         88
        .size:           4
        .value_kind:     hidden_block_count_x
      - .offset:         92
        .size:           4
        .value_kind:     hidden_block_count_y
      - .offset:         96
        .size:           4
        .value_kind:     hidden_block_count_z
      - .offset:         100
        .size:           2
        .value_kind:     hidden_group_size_x
      - .offset:         102
        .size:           2
        .value_kind:     hidden_group_size_y
      - .offset:         104
        .size:           2
        .value_kind:     hidden_group_size_z
      - .offset:         106
        .size:           2
        .value_kind:     hidden_remainder_x
      - .offset:         108
        .size:           2
        .value_kind:     hidden_remainder_y
      - .offset:         110
        .size:           2
        .value_kind:     hidden_remainder_z
      - .offset:         128
        .size:           8
        .value_kind:     hidden_global_offset_x
      - .offset:         136
        .size:           8
        .value_kind:     hidden_global_offset_y
      - .offset:         144
        .size:           8
        .value_kind:     hidden_global_offset_z
      - .offset:         152
        .size:           2
        .value_kind:     hidden_grid_dims
    .group_segment_fixed_size: 8448
    .kernarg_segment_align: 8
    .kernarg_segment_size: 344
    .language:       OpenCL C
    .language_version:
      - 2
      - 0
    .max_flat_workgroup_size: 512
    .name:           _ZN7rocprim17ROCPRIM_400000_NS6detail17trampoline_kernelINS0_14default_configENS1_38merge_sort_block_merge_config_selectorIlNS0_10empty_typeEEEZZNS1_27merge_sort_block_merge_implIS3_PlPS5_mZN2at6native12_GLOBAL__N_124unique_dim_cuda_templateIN3c104HalfEEESt5tupleIJNSA_6TensorESH_SH_EERKSH_lbbbEUlllE_EE10hipError_tT0_T1_T2_jT3_P12ihipStream_tbPNSt15iterator_traitsISN_E10value_typeEPNST_ISO_E10value_typeEPSP_NS1_7vsmem_tEENKUlT_SN_SO_SP_E_clIS8_S8_S9_S9_EESM_S12_SN_SO_SP_EUlS12_E0_NS1_11comp_targetILNS1_3genE9ELNS1_11target_archE1100ELNS1_3gpuE3ELNS1_3repE0EEENS1_38merge_mergepath_config_static_selectorELNS0_4arch9wavefront6targetE0EEEvSO_
    .private_segment_fixed_size: 0
    .sgpr_count:     36
    .sgpr_spill_count: 0
    .symbol:         _ZN7rocprim17ROCPRIM_400000_NS6detail17trampoline_kernelINS0_14default_configENS1_38merge_sort_block_merge_config_selectorIlNS0_10empty_typeEEEZZNS1_27merge_sort_block_merge_implIS3_PlPS5_mZN2at6native12_GLOBAL__N_124unique_dim_cuda_templateIN3c104HalfEEESt5tupleIJNSA_6TensorESH_SH_EERKSH_lbbbEUlllE_EE10hipError_tT0_T1_T2_jT3_P12ihipStream_tbPNSt15iterator_traitsISN_E10value_typeEPNST_ISO_E10value_typeEPSP_NS1_7vsmem_tEENKUlT_SN_SO_SP_E_clIS8_S8_S9_S9_EESM_S12_SN_SO_SP_EUlS12_E0_NS1_11comp_targetILNS1_3genE9ELNS1_11target_archE1100ELNS1_3gpuE3ELNS1_3repE0EEENS1_38merge_mergepath_config_static_selectorELNS0_4arch9wavefront6targetE0EEEvSO_.kd
    .uniform_work_group_size: 1
    .uses_dynamic_stack: false
    .vgpr_count:     21
    .vgpr_spill_count: 0
    .wavefront_size: 32
    .workgroup_processor_mode: 1
  - .args:
      - .offset:         0
        .size:           88
        .value_kind:     by_value
    .group_segment_fixed_size: 0
    .kernarg_segment_align: 8
    .kernarg_segment_size: 88
    .language:       OpenCL C
    .language_version:
      - 2
      - 0
    .max_flat_workgroup_size: 1024
    .name:           _ZN7rocprim17ROCPRIM_400000_NS6detail17trampoline_kernelINS0_14default_configENS1_38merge_sort_block_merge_config_selectorIlNS0_10empty_typeEEEZZNS1_27merge_sort_block_merge_implIS3_PlPS5_mZN2at6native12_GLOBAL__N_124unique_dim_cuda_templateIN3c104HalfEEESt5tupleIJNSA_6TensorESH_SH_EERKSH_lbbbEUlllE_EE10hipError_tT0_T1_T2_jT3_P12ihipStream_tbPNSt15iterator_traitsISN_E10value_typeEPNST_ISO_E10value_typeEPSP_NS1_7vsmem_tEENKUlT_SN_SO_SP_E_clIS8_S8_S9_S9_EESM_S12_SN_SO_SP_EUlS12_E0_NS1_11comp_targetILNS1_3genE8ELNS1_11target_archE1030ELNS1_3gpuE2ELNS1_3repE0EEENS1_38merge_mergepath_config_static_selectorELNS0_4arch9wavefront6targetE0EEEvSO_
    .private_segment_fixed_size: 0
    .sgpr_count:     0
    .sgpr_spill_count: 0
    .symbol:         _ZN7rocprim17ROCPRIM_400000_NS6detail17trampoline_kernelINS0_14default_configENS1_38merge_sort_block_merge_config_selectorIlNS0_10empty_typeEEEZZNS1_27merge_sort_block_merge_implIS3_PlPS5_mZN2at6native12_GLOBAL__N_124unique_dim_cuda_templateIN3c104HalfEEESt5tupleIJNSA_6TensorESH_SH_EERKSH_lbbbEUlllE_EE10hipError_tT0_T1_T2_jT3_P12ihipStream_tbPNSt15iterator_traitsISN_E10value_typeEPNST_ISO_E10value_typeEPSP_NS1_7vsmem_tEENKUlT_SN_SO_SP_E_clIS8_S8_S9_S9_EESM_S12_SN_SO_SP_EUlS12_E0_NS1_11comp_targetILNS1_3genE8ELNS1_11target_archE1030ELNS1_3gpuE2ELNS1_3repE0EEENS1_38merge_mergepath_config_static_selectorELNS0_4arch9wavefront6targetE0EEEvSO_.kd
    .uniform_work_group_size: 1
    .uses_dynamic_stack: false
    .vgpr_count:     0
    .vgpr_spill_count: 0
    .wavefront_size: 32
    .workgroup_processor_mode: 1
  - .args:
      - .offset:         0
        .size:           64
        .value_kind:     by_value
    .group_segment_fixed_size: 0
    .kernarg_segment_align: 8
    .kernarg_segment_size: 64
    .language:       OpenCL C
    .language_version:
      - 2
      - 0
    .max_flat_workgroup_size: 256
    .name:           _ZN7rocprim17ROCPRIM_400000_NS6detail17trampoline_kernelINS0_14default_configENS1_38merge_sort_block_merge_config_selectorIlNS0_10empty_typeEEEZZNS1_27merge_sort_block_merge_implIS3_PlPS5_mZN2at6native12_GLOBAL__N_124unique_dim_cuda_templateIN3c104HalfEEESt5tupleIJNSA_6TensorESH_SH_EERKSH_lbbbEUlllE_EE10hipError_tT0_T1_T2_jT3_P12ihipStream_tbPNSt15iterator_traitsISN_E10value_typeEPNST_ISO_E10value_typeEPSP_NS1_7vsmem_tEENKUlT_SN_SO_SP_E_clIS8_S8_S9_S9_EESM_S12_SN_SO_SP_EUlS12_E1_NS1_11comp_targetILNS1_3genE0ELNS1_11target_archE4294967295ELNS1_3gpuE0ELNS1_3repE0EEENS1_36merge_oddeven_config_static_selectorELNS0_4arch9wavefront6targetE0EEEvSO_
    .private_segment_fixed_size: 0
    .sgpr_count:     0
    .sgpr_spill_count: 0
    .symbol:         _ZN7rocprim17ROCPRIM_400000_NS6detail17trampoline_kernelINS0_14default_configENS1_38merge_sort_block_merge_config_selectorIlNS0_10empty_typeEEEZZNS1_27merge_sort_block_merge_implIS3_PlPS5_mZN2at6native12_GLOBAL__N_124unique_dim_cuda_templateIN3c104HalfEEESt5tupleIJNSA_6TensorESH_SH_EERKSH_lbbbEUlllE_EE10hipError_tT0_T1_T2_jT3_P12ihipStream_tbPNSt15iterator_traitsISN_E10value_typeEPNST_ISO_E10value_typeEPSP_NS1_7vsmem_tEENKUlT_SN_SO_SP_E_clIS8_S8_S9_S9_EESM_S12_SN_SO_SP_EUlS12_E1_NS1_11comp_targetILNS1_3genE0ELNS1_11target_archE4294967295ELNS1_3gpuE0ELNS1_3repE0EEENS1_36merge_oddeven_config_static_selectorELNS0_4arch9wavefront6targetE0EEEvSO_.kd
    .uniform_work_group_size: 1
    .uses_dynamic_stack: false
    .vgpr_count:     0
    .vgpr_spill_count: 0
    .wavefront_size: 32
    .workgroup_processor_mode: 1
  - .args:
      - .offset:         0
        .size:           64
        .value_kind:     by_value
    .group_segment_fixed_size: 0
    .kernarg_segment_align: 8
    .kernarg_segment_size: 64
    .language:       OpenCL C
    .language_version:
      - 2
      - 0
    .max_flat_workgroup_size: 256
    .name:           _ZN7rocprim17ROCPRIM_400000_NS6detail17trampoline_kernelINS0_14default_configENS1_38merge_sort_block_merge_config_selectorIlNS0_10empty_typeEEEZZNS1_27merge_sort_block_merge_implIS3_PlPS5_mZN2at6native12_GLOBAL__N_124unique_dim_cuda_templateIN3c104HalfEEESt5tupleIJNSA_6TensorESH_SH_EERKSH_lbbbEUlllE_EE10hipError_tT0_T1_T2_jT3_P12ihipStream_tbPNSt15iterator_traitsISN_E10value_typeEPNST_ISO_E10value_typeEPSP_NS1_7vsmem_tEENKUlT_SN_SO_SP_E_clIS8_S8_S9_S9_EESM_S12_SN_SO_SP_EUlS12_E1_NS1_11comp_targetILNS1_3genE10ELNS1_11target_archE1201ELNS1_3gpuE5ELNS1_3repE0EEENS1_36merge_oddeven_config_static_selectorELNS0_4arch9wavefront6targetE0EEEvSO_
    .private_segment_fixed_size: 0
    .sgpr_count:     0
    .sgpr_spill_count: 0
    .symbol:         _ZN7rocprim17ROCPRIM_400000_NS6detail17trampoline_kernelINS0_14default_configENS1_38merge_sort_block_merge_config_selectorIlNS0_10empty_typeEEEZZNS1_27merge_sort_block_merge_implIS3_PlPS5_mZN2at6native12_GLOBAL__N_124unique_dim_cuda_templateIN3c104HalfEEESt5tupleIJNSA_6TensorESH_SH_EERKSH_lbbbEUlllE_EE10hipError_tT0_T1_T2_jT3_P12ihipStream_tbPNSt15iterator_traitsISN_E10value_typeEPNST_ISO_E10value_typeEPSP_NS1_7vsmem_tEENKUlT_SN_SO_SP_E_clIS8_S8_S9_S9_EESM_S12_SN_SO_SP_EUlS12_E1_NS1_11comp_targetILNS1_3genE10ELNS1_11target_archE1201ELNS1_3gpuE5ELNS1_3repE0EEENS1_36merge_oddeven_config_static_selectorELNS0_4arch9wavefront6targetE0EEEvSO_.kd
    .uniform_work_group_size: 1
    .uses_dynamic_stack: false
    .vgpr_count:     0
    .vgpr_spill_count: 0
    .wavefront_size: 32
    .workgroup_processor_mode: 1
  - .args:
      - .offset:         0
        .size:           64
        .value_kind:     by_value
    .group_segment_fixed_size: 0
    .kernarg_segment_align: 8
    .kernarg_segment_size: 64
    .language:       OpenCL C
    .language_version:
      - 2
      - 0
    .max_flat_workgroup_size: 256
    .name:           _ZN7rocprim17ROCPRIM_400000_NS6detail17trampoline_kernelINS0_14default_configENS1_38merge_sort_block_merge_config_selectorIlNS0_10empty_typeEEEZZNS1_27merge_sort_block_merge_implIS3_PlPS5_mZN2at6native12_GLOBAL__N_124unique_dim_cuda_templateIN3c104HalfEEESt5tupleIJNSA_6TensorESH_SH_EERKSH_lbbbEUlllE_EE10hipError_tT0_T1_T2_jT3_P12ihipStream_tbPNSt15iterator_traitsISN_E10value_typeEPNST_ISO_E10value_typeEPSP_NS1_7vsmem_tEENKUlT_SN_SO_SP_E_clIS8_S8_S9_S9_EESM_S12_SN_SO_SP_EUlS12_E1_NS1_11comp_targetILNS1_3genE5ELNS1_11target_archE942ELNS1_3gpuE9ELNS1_3repE0EEENS1_36merge_oddeven_config_static_selectorELNS0_4arch9wavefront6targetE0EEEvSO_
    .private_segment_fixed_size: 0
    .sgpr_count:     0
    .sgpr_spill_count: 0
    .symbol:         _ZN7rocprim17ROCPRIM_400000_NS6detail17trampoline_kernelINS0_14default_configENS1_38merge_sort_block_merge_config_selectorIlNS0_10empty_typeEEEZZNS1_27merge_sort_block_merge_implIS3_PlPS5_mZN2at6native12_GLOBAL__N_124unique_dim_cuda_templateIN3c104HalfEEESt5tupleIJNSA_6TensorESH_SH_EERKSH_lbbbEUlllE_EE10hipError_tT0_T1_T2_jT3_P12ihipStream_tbPNSt15iterator_traitsISN_E10value_typeEPNST_ISO_E10value_typeEPSP_NS1_7vsmem_tEENKUlT_SN_SO_SP_E_clIS8_S8_S9_S9_EESM_S12_SN_SO_SP_EUlS12_E1_NS1_11comp_targetILNS1_3genE5ELNS1_11target_archE942ELNS1_3gpuE9ELNS1_3repE0EEENS1_36merge_oddeven_config_static_selectorELNS0_4arch9wavefront6targetE0EEEvSO_.kd
    .uniform_work_group_size: 1
    .uses_dynamic_stack: false
    .vgpr_count:     0
    .vgpr_spill_count: 0
    .wavefront_size: 32
    .workgroup_processor_mode: 1
  - .args:
      - .offset:         0
        .size:           64
        .value_kind:     by_value
    .group_segment_fixed_size: 0
    .kernarg_segment_align: 8
    .kernarg_segment_size: 64
    .language:       OpenCL C
    .language_version:
      - 2
      - 0
    .max_flat_workgroup_size: 256
    .name:           _ZN7rocprim17ROCPRIM_400000_NS6detail17trampoline_kernelINS0_14default_configENS1_38merge_sort_block_merge_config_selectorIlNS0_10empty_typeEEEZZNS1_27merge_sort_block_merge_implIS3_PlPS5_mZN2at6native12_GLOBAL__N_124unique_dim_cuda_templateIN3c104HalfEEESt5tupleIJNSA_6TensorESH_SH_EERKSH_lbbbEUlllE_EE10hipError_tT0_T1_T2_jT3_P12ihipStream_tbPNSt15iterator_traitsISN_E10value_typeEPNST_ISO_E10value_typeEPSP_NS1_7vsmem_tEENKUlT_SN_SO_SP_E_clIS8_S8_S9_S9_EESM_S12_SN_SO_SP_EUlS12_E1_NS1_11comp_targetILNS1_3genE4ELNS1_11target_archE910ELNS1_3gpuE8ELNS1_3repE0EEENS1_36merge_oddeven_config_static_selectorELNS0_4arch9wavefront6targetE0EEEvSO_
    .private_segment_fixed_size: 0
    .sgpr_count:     0
    .sgpr_spill_count: 0
    .symbol:         _ZN7rocprim17ROCPRIM_400000_NS6detail17trampoline_kernelINS0_14default_configENS1_38merge_sort_block_merge_config_selectorIlNS0_10empty_typeEEEZZNS1_27merge_sort_block_merge_implIS3_PlPS5_mZN2at6native12_GLOBAL__N_124unique_dim_cuda_templateIN3c104HalfEEESt5tupleIJNSA_6TensorESH_SH_EERKSH_lbbbEUlllE_EE10hipError_tT0_T1_T2_jT3_P12ihipStream_tbPNSt15iterator_traitsISN_E10value_typeEPNST_ISO_E10value_typeEPSP_NS1_7vsmem_tEENKUlT_SN_SO_SP_E_clIS8_S8_S9_S9_EESM_S12_SN_SO_SP_EUlS12_E1_NS1_11comp_targetILNS1_3genE4ELNS1_11target_archE910ELNS1_3gpuE8ELNS1_3repE0EEENS1_36merge_oddeven_config_static_selectorELNS0_4arch9wavefront6targetE0EEEvSO_.kd
    .uniform_work_group_size: 1
    .uses_dynamic_stack: false
    .vgpr_count:     0
    .vgpr_spill_count: 0
    .wavefront_size: 32
    .workgroup_processor_mode: 1
  - .args:
      - .offset:         0
        .size:           64
        .value_kind:     by_value
    .group_segment_fixed_size: 0
    .kernarg_segment_align: 8
    .kernarg_segment_size: 64
    .language:       OpenCL C
    .language_version:
      - 2
      - 0
    .max_flat_workgroup_size: 256
    .name:           _ZN7rocprim17ROCPRIM_400000_NS6detail17trampoline_kernelINS0_14default_configENS1_38merge_sort_block_merge_config_selectorIlNS0_10empty_typeEEEZZNS1_27merge_sort_block_merge_implIS3_PlPS5_mZN2at6native12_GLOBAL__N_124unique_dim_cuda_templateIN3c104HalfEEESt5tupleIJNSA_6TensorESH_SH_EERKSH_lbbbEUlllE_EE10hipError_tT0_T1_T2_jT3_P12ihipStream_tbPNSt15iterator_traitsISN_E10value_typeEPNST_ISO_E10value_typeEPSP_NS1_7vsmem_tEENKUlT_SN_SO_SP_E_clIS8_S8_S9_S9_EESM_S12_SN_SO_SP_EUlS12_E1_NS1_11comp_targetILNS1_3genE3ELNS1_11target_archE908ELNS1_3gpuE7ELNS1_3repE0EEENS1_36merge_oddeven_config_static_selectorELNS0_4arch9wavefront6targetE0EEEvSO_
    .private_segment_fixed_size: 0
    .sgpr_count:     0
    .sgpr_spill_count: 0
    .symbol:         _ZN7rocprim17ROCPRIM_400000_NS6detail17trampoline_kernelINS0_14default_configENS1_38merge_sort_block_merge_config_selectorIlNS0_10empty_typeEEEZZNS1_27merge_sort_block_merge_implIS3_PlPS5_mZN2at6native12_GLOBAL__N_124unique_dim_cuda_templateIN3c104HalfEEESt5tupleIJNSA_6TensorESH_SH_EERKSH_lbbbEUlllE_EE10hipError_tT0_T1_T2_jT3_P12ihipStream_tbPNSt15iterator_traitsISN_E10value_typeEPNST_ISO_E10value_typeEPSP_NS1_7vsmem_tEENKUlT_SN_SO_SP_E_clIS8_S8_S9_S9_EESM_S12_SN_SO_SP_EUlS12_E1_NS1_11comp_targetILNS1_3genE3ELNS1_11target_archE908ELNS1_3gpuE7ELNS1_3repE0EEENS1_36merge_oddeven_config_static_selectorELNS0_4arch9wavefront6targetE0EEEvSO_.kd
    .uniform_work_group_size: 1
    .uses_dynamic_stack: false
    .vgpr_count:     0
    .vgpr_spill_count: 0
    .wavefront_size: 32
    .workgroup_processor_mode: 1
  - .args:
      - .offset:         0
        .size:           64
        .value_kind:     by_value
    .group_segment_fixed_size: 0
    .kernarg_segment_align: 8
    .kernarg_segment_size: 64
    .language:       OpenCL C
    .language_version:
      - 2
      - 0
    .max_flat_workgroup_size: 256
    .name:           _ZN7rocprim17ROCPRIM_400000_NS6detail17trampoline_kernelINS0_14default_configENS1_38merge_sort_block_merge_config_selectorIlNS0_10empty_typeEEEZZNS1_27merge_sort_block_merge_implIS3_PlPS5_mZN2at6native12_GLOBAL__N_124unique_dim_cuda_templateIN3c104HalfEEESt5tupleIJNSA_6TensorESH_SH_EERKSH_lbbbEUlllE_EE10hipError_tT0_T1_T2_jT3_P12ihipStream_tbPNSt15iterator_traitsISN_E10value_typeEPNST_ISO_E10value_typeEPSP_NS1_7vsmem_tEENKUlT_SN_SO_SP_E_clIS8_S8_S9_S9_EESM_S12_SN_SO_SP_EUlS12_E1_NS1_11comp_targetILNS1_3genE2ELNS1_11target_archE906ELNS1_3gpuE6ELNS1_3repE0EEENS1_36merge_oddeven_config_static_selectorELNS0_4arch9wavefront6targetE0EEEvSO_
    .private_segment_fixed_size: 0
    .sgpr_count:     0
    .sgpr_spill_count: 0
    .symbol:         _ZN7rocprim17ROCPRIM_400000_NS6detail17trampoline_kernelINS0_14default_configENS1_38merge_sort_block_merge_config_selectorIlNS0_10empty_typeEEEZZNS1_27merge_sort_block_merge_implIS3_PlPS5_mZN2at6native12_GLOBAL__N_124unique_dim_cuda_templateIN3c104HalfEEESt5tupleIJNSA_6TensorESH_SH_EERKSH_lbbbEUlllE_EE10hipError_tT0_T1_T2_jT3_P12ihipStream_tbPNSt15iterator_traitsISN_E10value_typeEPNST_ISO_E10value_typeEPSP_NS1_7vsmem_tEENKUlT_SN_SO_SP_E_clIS8_S8_S9_S9_EESM_S12_SN_SO_SP_EUlS12_E1_NS1_11comp_targetILNS1_3genE2ELNS1_11target_archE906ELNS1_3gpuE6ELNS1_3repE0EEENS1_36merge_oddeven_config_static_selectorELNS0_4arch9wavefront6targetE0EEEvSO_.kd
    .uniform_work_group_size: 1
    .uses_dynamic_stack: false
    .vgpr_count:     0
    .vgpr_spill_count: 0
    .wavefront_size: 32
    .workgroup_processor_mode: 1
  - .args:
      - .offset:         0
        .size:           64
        .value_kind:     by_value
    .group_segment_fixed_size: 0
    .kernarg_segment_align: 8
    .kernarg_segment_size: 64
    .language:       OpenCL C
    .language_version:
      - 2
      - 0
    .max_flat_workgroup_size: 256
    .name:           _ZN7rocprim17ROCPRIM_400000_NS6detail17trampoline_kernelINS0_14default_configENS1_38merge_sort_block_merge_config_selectorIlNS0_10empty_typeEEEZZNS1_27merge_sort_block_merge_implIS3_PlPS5_mZN2at6native12_GLOBAL__N_124unique_dim_cuda_templateIN3c104HalfEEESt5tupleIJNSA_6TensorESH_SH_EERKSH_lbbbEUlllE_EE10hipError_tT0_T1_T2_jT3_P12ihipStream_tbPNSt15iterator_traitsISN_E10value_typeEPNST_ISO_E10value_typeEPSP_NS1_7vsmem_tEENKUlT_SN_SO_SP_E_clIS8_S8_S9_S9_EESM_S12_SN_SO_SP_EUlS12_E1_NS1_11comp_targetILNS1_3genE9ELNS1_11target_archE1100ELNS1_3gpuE3ELNS1_3repE0EEENS1_36merge_oddeven_config_static_selectorELNS0_4arch9wavefront6targetE0EEEvSO_
    .private_segment_fixed_size: 0
    .sgpr_count:     30
    .sgpr_spill_count: 0
    .symbol:         _ZN7rocprim17ROCPRIM_400000_NS6detail17trampoline_kernelINS0_14default_configENS1_38merge_sort_block_merge_config_selectorIlNS0_10empty_typeEEEZZNS1_27merge_sort_block_merge_implIS3_PlPS5_mZN2at6native12_GLOBAL__N_124unique_dim_cuda_templateIN3c104HalfEEESt5tupleIJNSA_6TensorESH_SH_EERKSH_lbbbEUlllE_EE10hipError_tT0_T1_T2_jT3_P12ihipStream_tbPNSt15iterator_traitsISN_E10value_typeEPNST_ISO_E10value_typeEPSP_NS1_7vsmem_tEENKUlT_SN_SO_SP_E_clIS8_S8_S9_S9_EESM_S12_SN_SO_SP_EUlS12_E1_NS1_11comp_targetILNS1_3genE9ELNS1_11target_archE1100ELNS1_3gpuE3ELNS1_3repE0EEENS1_36merge_oddeven_config_static_selectorELNS0_4arch9wavefront6targetE0EEEvSO_.kd
    .uniform_work_group_size: 1
    .uses_dynamic_stack: false
    .vgpr_count:     18
    .vgpr_spill_count: 0
    .wavefront_size: 32
    .workgroup_processor_mode: 1
  - .args:
      - .offset:         0
        .size:           64
        .value_kind:     by_value
    .group_segment_fixed_size: 0
    .kernarg_segment_align: 8
    .kernarg_segment_size: 64
    .language:       OpenCL C
    .language_version:
      - 2
      - 0
    .max_flat_workgroup_size: 256
    .name:           _ZN7rocprim17ROCPRIM_400000_NS6detail17trampoline_kernelINS0_14default_configENS1_38merge_sort_block_merge_config_selectorIlNS0_10empty_typeEEEZZNS1_27merge_sort_block_merge_implIS3_PlPS5_mZN2at6native12_GLOBAL__N_124unique_dim_cuda_templateIN3c104HalfEEESt5tupleIJNSA_6TensorESH_SH_EERKSH_lbbbEUlllE_EE10hipError_tT0_T1_T2_jT3_P12ihipStream_tbPNSt15iterator_traitsISN_E10value_typeEPNST_ISO_E10value_typeEPSP_NS1_7vsmem_tEENKUlT_SN_SO_SP_E_clIS8_S8_S9_S9_EESM_S12_SN_SO_SP_EUlS12_E1_NS1_11comp_targetILNS1_3genE8ELNS1_11target_archE1030ELNS1_3gpuE2ELNS1_3repE0EEENS1_36merge_oddeven_config_static_selectorELNS0_4arch9wavefront6targetE0EEEvSO_
    .private_segment_fixed_size: 0
    .sgpr_count:     0
    .sgpr_spill_count: 0
    .symbol:         _ZN7rocprim17ROCPRIM_400000_NS6detail17trampoline_kernelINS0_14default_configENS1_38merge_sort_block_merge_config_selectorIlNS0_10empty_typeEEEZZNS1_27merge_sort_block_merge_implIS3_PlPS5_mZN2at6native12_GLOBAL__N_124unique_dim_cuda_templateIN3c104HalfEEESt5tupleIJNSA_6TensorESH_SH_EERKSH_lbbbEUlllE_EE10hipError_tT0_T1_T2_jT3_P12ihipStream_tbPNSt15iterator_traitsISN_E10value_typeEPNST_ISO_E10value_typeEPSP_NS1_7vsmem_tEENKUlT_SN_SO_SP_E_clIS8_S8_S9_S9_EESM_S12_SN_SO_SP_EUlS12_E1_NS1_11comp_targetILNS1_3genE8ELNS1_11target_archE1030ELNS1_3gpuE2ELNS1_3repE0EEENS1_36merge_oddeven_config_static_selectorELNS0_4arch9wavefront6targetE0EEEvSO_.kd
    .uniform_work_group_size: 1
    .uses_dynamic_stack: false
    .vgpr_count:     0
    .vgpr_spill_count: 0
    .wavefront_size: 32
    .workgroup_processor_mode: 1
  - .args:
      - .offset:         0
        .size:           64
        .value_kind:     by_value
    .group_segment_fixed_size: 0
    .kernarg_segment_align: 8
    .kernarg_segment_size: 64
    .language:       OpenCL C
    .language_version:
      - 2
      - 0
    .max_flat_workgroup_size: 128
    .name:           _ZN7rocprim17ROCPRIM_400000_NS6detail17trampoline_kernelINS0_14default_configENS1_35adjacent_difference_config_selectorILb0ElEEZNS1_24adjacent_difference_implIS3_Lb0ELb0EPlS7_ZN2at6native12_GLOBAL__N_124unique_dim_cuda_templateIN3c104HalfEEESt5tupleIJNS8_6TensorESF_SF_EERKSF_lbbbEUlllE1_EE10hipError_tPvRmT2_T3_mT4_P12ihipStream_tbEUlT_E_NS1_11comp_targetILNS1_3genE0ELNS1_11target_archE4294967295ELNS1_3gpuE0ELNS1_3repE0EEENS1_30default_config_static_selectorELNS0_4arch9wavefront6targetE0EEEvT1_
    .private_segment_fixed_size: 0
    .sgpr_count:     0
    .sgpr_spill_count: 0
    .symbol:         _ZN7rocprim17ROCPRIM_400000_NS6detail17trampoline_kernelINS0_14default_configENS1_35adjacent_difference_config_selectorILb0ElEEZNS1_24adjacent_difference_implIS3_Lb0ELb0EPlS7_ZN2at6native12_GLOBAL__N_124unique_dim_cuda_templateIN3c104HalfEEESt5tupleIJNS8_6TensorESF_SF_EERKSF_lbbbEUlllE1_EE10hipError_tPvRmT2_T3_mT4_P12ihipStream_tbEUlT_E_NS1_11comp_targetILNS1_3genE0ELNS1_11target_archE4294967295ELNS1_3gpuE0ELNS1_3repE0EEENS1_30default_config_static_selectorELNS0_4arch9wavefront6targetE0EEEvT1_.kd
    .uniform_work_group_size: 1
    .uses_dynamic_stack: false
    .vgpr_count:     0
    .vgpr_spill_count: 0
    .wavefront_size: 32
    .workgroup_processor_mode: 1
  - .args:
      - .offset:         0
        .size:           64
        .value_kind:     by_value
    .group_segment_fixed_size: 0
    .kernarg_segment_align: 8
    .kernarg_segment_size: 64
    .language:       OpenCL C
    .language_version:
      - 2
      - 0
    .max_flat_workgroup_size: 128
    .name:           _ZN7rocprim17ROCPRIM_400000_NS6detail17trampoline_kernelINS0_14default_configENS1_35adjacent_difference_config_selectorILb0ElEEZNS1_24adjacent_difference_implIS3_Lb0ELb0EPlS7_ZN2at6native12_GLOBAL__N_124unique_dim_cuda_templateIN3c104HalfEEESt5tupleIJNS8_6TensorESF_SF_EERKSF_lbbbEUlllE1_EE10hipError_tPvRmT2_T3_mT4_P12ihipStream_tbEUlT_E_NS1_11comp_targetILNS1_3genE10ELNS1_11target_archE1201ELNS1_3gpuE5ELNS1_3repE0EEENS1_30default_config_static_selectorELNS0_4arch9wavefront6targetE0EEEvT1_
    .private_segment_fixed_size: 0
    .sgpr_count:     0
    .sgpr_spill_count: 0
    .symbol:         _ZN7rocprim17ROCPRIM_400000_NS6detail17trampoline_kernelINS0_14default_configENS1_35adjacent_difference_config_selectorILb0ElEEZNS1_24adjacent_difference_implIS3_Lb0ELb0EPlS7_ZN2at6native12_GLOBAL__N_124unique_dim_cuda_templateIN3c104HalfEEESt5tupleIJNS8_6TensorESF_SF_EERKSF_lbbbEUlllE1_EE10hipError_tPvRmT2_T3_mT4_P12ihipStream_tbEUlT_E_NS1_11comp_targetILNS1_3genE10ELNS1_11target_archE1201ELNS1_3gpuE5ELNS1_3repE0EEENS1_30default_config_static_selectorELNS0_4arch9wavefront6targetE0EEEvT1_.kd
    .uniform_work_group_size: 1
    .uses_dynamic_stack: false
    .vgpr_count:     0
    .vgpr_spill_count: 0
    .wavefront_size: 32
    .workgroup_processor_mode: 1
  - .args:
      - .offset:         0
        .size:           64
        .value_kind:     by_value
    .group_segment_fixed_size: 0
    .kernarg_segment_align: 8
    .kernarg_segment_size: 64
    .language:       OpenCL C
    .language_version:
      - 2
      - 0
    .max_flat_workgroup_size: 64
    .name:           _ZN7rocprim17ROCPRIM_400000_NS6detail17trampoline_kernelINS0_14default_configENS1_35adjacent_difference_config_selectorILb0ElEEZNS1_24adjacent_difference_implIS3_Lb0ELb0EPlS7_ZN2at6native12_GLOBAL__N_124unique_dim_cuda_templateIN3c104HalfEEESt5tupleIJNS8_6TensorESF_SF_EERKSF_lbbbEUlllE1_EE10hipError_tPvRmT2_T3_mT4_P12ihipStream_tbEUlT_E_NS1_11comp_targetILNS1_3genE5ELNS1_11target_archE942ELNS1_3gpuE9ELNS1_3repE0EEENS1_30default_config_static_selectorELNS0_4arch9wavefront6targetE0EEEvT1_
    .private_segment_fixed_size: 0
    .sgpr_count:     0
    .sgpr_spill_count: 0
    .symbol:         _ZN7rocprim17ROCPRIM_400000_NS6detail17trampoline_kernelINS0_14default_configENS1_35adjacent_difference_config_selectorILb0ElEEZNS1_24adjacent_difference_implIS3_Lb0ELb0EPlS7_ZN2at6native12_GLOBAL__N_124unique_dim_cuda_templateIN3c104HalfEEESt5tupleIJNS8_6TensorESF_SF_EERKSF_lbbbEUlllE1_EE10hipError_tPvRmT2_T3_mT4_P12ihipStream_tbEUlT_E_NS1_11comp_targetILNS1_3genE5ELNS1_11target_archE942ELNS1_3gpuE9ELNS1_3repE0EEENS1_30default_config_static_selectorELNS0_4arch9wavefront6targetE0EEEvT1_.kd
    .uniform_work_group_size: 1
    .uses_dynamic_stack: false
    .vgpr_count:     0
    .vgpr_spill_count: 0
    .wavefront_size: 32
    .workgroup_processor_mode: 1
  - .args:
      - .offset:         0
        .size:           64
        .value_kind:     by_value
    .group_segment_fixed_size: 0
    .kernarg_segment_align: 8
    .kernarg_segment_size: 64
    .language:       OpenCL C
    .language_version:
      - 2
      - 0
    .max_flat_workgroup_size: 256
    .name:           _ZN7rocprim17ROCPRIM_400000_NS6detail17trampoline_kernelINS0_14default_configENS1_35adjacent_difference_config_selectorILb0ElEEZNS1_24adjacent_difference_implIS3_Lb0ELb0EPlS7_ZN2at6native12_GLOBAL__N_124unique_dim_cuda_templateIN3c104HalfEEESt5tupleIJNS8_6TensorESF_SF_EERKSF_lbbbEUlllE1_EE10hipError_tPvRmT2_T3_mT4_P12ihipStream_tbEUlT_E_NS1_11comp_targetILNS1_3genE4ELNS1_11target_archE910ELNS1_3gpuE8ELNS1_3repE0EEENS1_30default_config_static_selectorELNS0_4arch9wavefront6targetE0EEEvT1_
    .private_segment_fixed_size: 0
    .sgpr_count:     0
    .sgpr_spill_count: 0
    .symbol:         _ZN7rocprim17ROCPRIM_400000_NS6detail17trampoline_kernelINS0_14default_configENS1_35adjacent_difference_config_selectorILb0ElEEZNS1_24adjacent_difference_implIS3_Lb0ELb0EPlS7_ZN2at6native12_GLOBAL__N_124unique_dim_cuda_templateIN3c104HalfEEESt5tupleIJNS8_6TensorESF_SF_EERKSF_lbbbEUlllE1_EE10hipError_tPvRmT2_T3_mT4_P12ihipStream_tbEUlT_E_NS1_11comp_targetILNS1_3genE4ELNS1_11target_archE910ELNS1_3gpuE8ELNS1_3repE0EEENS1_30default_config_static_selectorELNS0_4arch9wavefront6targetE0EEEvT1_.kd
    .uniform_work_group_size: 1
    .uses_dynamic_stack: false
    .vgpr_count:     0
    .vgpr_spill_count: 0
    .wavefront_size: 32
    .workgroup_processor_mode: 1
  - .args:
      - .offset:         0
        .size:           64
        .value_kind:     by_value
    .group_segment_fixed_size: 0
    .kernarg_segment_align: 8
    .kernarg_segment_size: 64
    .language:       OpenCL C
    .language_version:
      - 2
      - 0
    .max_flat_workgroup_size: 128
    .name:           _ZN7rocprim17ROCPRIM_400000_NS6detail17trampoline_kernelINS0_14default_configENS1_35adjacent_difference_config_selectorILb0ElEEZNS1_24adjacent_difference_implIS3_Lb0ELb0EPlS7_ZN2at6native12_GLOBAL__N_124unique_dim_cuda_templateIN3c104HalfEEESt5tupleIJNS8_6TensorESF_SF_EERKSF_lbbbEUlllE1_EE10hipError_tPvRmT2_T3_mT4_P12ihipStream_tbEUlT_E_NS1_11comp_targetILNS1_3genE3ELNS1_11target_archE908ELNS1_3gpuE7ELNS1_3repE0EEENS1_30default_config_static_selectorELNS0_4arch9wavefront6targetE0EEEvT1_
    .private_segment_fixed_size: 0
    .sgpr_count:     0
    .sgpr_spill_count: 0
    .symbol:         _ZN7rocprim17ROCPRIM_400000_NS6detail17trampoline_kernelINS0_14default_configENS1_35adjacent_difference_config_selectorILb0ElEEZNS1_24adjacent_difference_implIS3_Lb0ELb0EPlS7_ZN2at6native12_GLOBAL__N_124unique_dim_cuda_templateIN3c104HalfEEESt5tupleIJNS8_6TensorESF_SF_EERKSF_lbbbEUlllE1_EE10hipError_tPvRmT2_T3_mT4_P12ihipStream_tbEUlT_E_NS1_11comp_targetILNS1_3genE3ELNS1_11target_archE908ELNS1_3gpuE7ELNS1_3repE0EEENS1_30default_config_static_selectorELNS0_4arch9wavefront6targetE0EEEvT1_.kd
    .uniform_work_group_size: 1
    .uses_dynamic_stack: false
    .vgpr_count:     0
    .vgpr_spill_count: 0
    .wavefront_size: 32
    .workgroup_processor_mode: 1
  - .args:
      - .offset:         0
        .size:           64
        .value_kind:     by_value
    .group_segment_fixed_size: 0
    .kernarg_segment_align: 8
    .kernarg_segment_size: 64
    .language:       OpenCL C
    .language_version:
      - 2
      - 0
    .max_flat_workgroup_size: 128
    .name:           _ZN7rocprim17ROCPRIM_400000_NS6detail17trampoline_kernelINS0_14default_configENS1_35adjacent_difference_config_selectorILb0ElEEZNS1_24adjacent_difference_implIS3_Lb0ELb0EPlS7_ZN2at6native12_GLOBAL__N_124unique_dim_cuda_templateIN3c104HalfEEESt5tupleIJNS8_6TensorESF_SF_EERKSF_lbbbEUlllE1_EE10hipError_tPvRmT2_T3_mT4_P12ihipStream_tbEUlT_E_NS1_11comp_targetILNS1_3genE2ELNS1_11target_archE906ELNS1_3gpuE6ELNS1_3repE0EEENS1_30default_config_static_selectorELNS0_4arch9wavefront6targetE0EEEvT1_
    .private_segment_fixed_size: 0
    .sgpr_count:     0
    .sgpr_spill_count: 0
    .symbol:         _ZN7rocprim17ROCPRIM_400000_NS6detail17trampoline_kernelINS0_14default_configENS1_35adjacent_difference_config_selectorILb0ElEEZNS1_24adjacent_difference_implIS3_Lb0ELb0EPlS7_ZN2at6native12_GLOBAL__N_124unique_dim_cuda_templateIN3c104HalfEEESt5tupleIJNS8_6TensorESF_SF_EERKSF_lbbbEUlllE1_EE10hipError_tPvRmT2_T3_mT4_P12ihipStream_tbEUlT_E_NS1_11comp_targetILNS1_3genE2ELNS1_11target_archE906ELNS1_3gpuE6ELNS1_3repE0EEENS1_30default_config_static_selectorELNS0_4arch9wavefront6targetE0EEEvT1_.kd
    .uniform_work_group_size: 1
    .uses_dynamic_stack: false
    .vgpr_count:     0
    .vgpr_spill_count: 0
    .wavefront_size: 32
    .workgroup_processor_mode: 1
  - .args:
      - .offset:         0
        .size:           64
        .value_kind:     by_value
    .group_segment_fixed_size: 8192
    .kernarg_segment_align: 8
    .kernarg_segment_size: 64
    .language:       OpenCL C
    .language_version:
      - 2
      - 0
    .max_flat_workgroup_size: 512
    .name:           _ZN7rocprim17ROCPRIM_400000_NS6detail17trampoline_kernelINS0_14default_configENS1_35adjacent_difference_config_selectorILb0ElEEZNS1_24adjacent_difference_implIS3_Lb0ELb0EPlS7_ZN2at6native12_GLOBAL__N_124unique_dim_cuda_templateIN3c104HalfEEESt5tupleIJNS8_6TensorESF_SF_EERKSF_lbbbEUlllE1_EE10hipError_tPvRmT2_T3_mT4_P12ihipStream_tbEUlT_E_NS1_11comp_targetILNS1_3genE9ELNS1_11target_archE1100ELNS1_3gpuE3ELNS1_3repE0EEENS1_30default_config_static_selectorELNS0_4arch9wavefront6targetE0EEEvT1_
    .private_segment_fixed_size: 0
    .sgpr_count:     28
    .sgpr_spill_count: 0
    .symbol:         _ZN7rocprim17ROCPRIM_400000_NS6detail17trampoline_kernelINS0_14default_configENS1_35adjacent_difference_config_selectorILb0ElEEZNS1_24adjacent_difference_implIS3_Lb0ELb0EPlS7_ZN2at6native12_GLOBAL__N_124unique_dim_cuda_templateIN3c104HalfEEESt5tupleIJNS8_6TensorESF_SF_EERKSF_lbbbEUlllE1_EE10hipError_tPvRmT2_T3_mT4_P12ihipStream_tbEUlT_E_NS1_11comp_targetILNS1_3genE9ELNS1_11target_archE1100ELNS1_3gpuE3ELNS1_3repE0EEENS1_30default_config_static_selectorELNS0_4arch9wavefront6targetE0EEEvT1_.kd
    .uniform_work_group_size: 1
    .uses_dynamic_stack: false
    .vgpr_count:     13
    .vgpr_spill_count: 0
    .wavefront_size: 32
    .workgroup_processor_mode: 1
  - .args:
      - .offset:         0
        .size:           64
        .value_kind:     by_value
    .group_segment_fixed_size: 0
    .kernarg_segment_align: 8
    .kernarg_segment_size: 64
    .language:       OpenCL C
    .language_version:
      - 2
      - 0
    .max_flat_workgroup_size: 1024
    .name:           _ZN7rocprim17ROCPRIM_400000_NS6detail17trampoline_kernelINS0_14default_configENS1_35adjacent_difference_config_selectorILb0ElEEZNS1_24adjacent_difference_implIS3_Lb0ELb0EPlS7_ZN2at6native12_GLOBAL__N_124unique_dim_cuda_templateIN3c104HalfEEESt5tupleIJNS8_6TensorESF_SF_EERKSF_lbbbEUlllE1_EE10hipError_tPvRmT2_T3_mT4_P12ihipStream_tbEUlT_E_NS1_11comp_targetILNS1_3genE8ELNS1_11target_archE1030ELNS1_3gpuE2ELNS1_3repE0EEENS1_30default_config_static_selectorELNS0_4arch9wavefront6targetE0EEEvT1_
    .private_segment_fixed_size: 0
    .sgpr_count:     0
    .sgpr_spill_count: 0
    .symbol:         _ZN7rocprim17ROCPRIM_400000_NS6detail17trampoline_kernelINS0_14default_configENS1_35adjacent_difference_config_selectorILb0ElEEZNS1_24adjacent_difference_implIS3_Lb0ELb0EPlS7_ZN2at6native12_GLOBAL__N_124unique_dim_cuda_templateIN3c104HalfEEESt5tupleIJNS8_6TensorESF_SF_EERKSF_lbbbEUlllE1_EE10hipError_tPvRmT2_T3_mT4_P12ihipStream_tbEUlT_E_NS1_11comp_targetILNS1_3genE8ELNS1_11target_archE1030ELNS1_3gpuE2ELNS1_3repE0EEENS1_30default_config_static_selectorELNS0_4arch9wavefront6targetE0EEEvT1_.kd
    .uniform_work_group_size: 1
    .uses_dynamic_stack: false
    .vgpr_count:     0
    .vgpr_spill_count: 0
    .wavefront_size: 32
    .workgroup_processor_mode: 1
  - .args:
      - .offset:         0
        .size:           56
        .value_kind:     by_value
    .group_segment_fixed_size: 0
    .kernarg_segment_align: 8
    .kernarg_segment_size: 56
    .language:       OpenCL C
    .language_version:
      - 2
      - 0
    .max_flat_workgroup_size: 128
    .name:           _ZN7rocprim17ROCPRIM_400000_NS6detail17trampoline_kernelINS0_14default_configENS1_25transform_config_selectorIlLb0EEEZNS1_14transform_implILb0ES3_S5_NS0_18transform_iteratorINS0_17counting_iteratorImlEEZNS1_24adjacent_difference_implIS3_Lb1ELb0EPlSB_ZN2at6native12_GLOBAL__N_124unique_dim_cuda_templateIN3c104HalfEEESt5tupleIJNSC_6TensorESJ_SJ_EERKSJ_lbbbEUlllE1_EE10hipError_tPvRmT2_T3_mT4_P12ihipStream_tbEUlmE_lEESB_NS0_8identityIvEEEESO_SR_SS_mST_SV_bEUlT_E_NS1_11comp_targetILNS1_3genE0ELNS1_11target_archE4294967295ELNS1_3gpuE0ELNS1_3repE0EEENS1_30default_config_static_selectorELNS0_4arch9wavefront6targetE0EEEvT1_
    .private_segment_fixed_size: 0
    .sgpr_count:     0
    .sgpr_spill_count: 0
    .symbol:         _ZN7rocprim17ROCPRIM_400000_NS6detail17trampoline_kernelINS0_14default_configENS1_25transform_config_selectorIlLb0EEEZNS1_14transform_implILb0ES3_S5_NS0_18transform_iteratorINS0_17counting_iteratorImlEEZNS1_24adjacent_difference_implIS3_Lb1ELb0EPlSB_ZN2at6native12_GLOBAL__N_124unique_dim_cuda_templateIN3c104HalfEEESt5tupleIJNSC_6TensorESJ_SJ_EERKSJ_lbbbEUlllE1_EE10hipError_tPvRmT2_T3_mT4_P12ihipStream_tbEUlmE_lEESB_NS0_8identityIvEEEESO_SR_SS_mST_SV_bEUlT_E_NS1_11comp_targetILNS1_3genE0ELNS1_11target_archE4294967295ELNS1_3gpuE0ELNS1_3repE0EEENS1_30default_config_static_selectorELNS0_4arch9wavefront6targetE0EEEvT1_.kd
    .uniform_work_group_size: 1
    .uses_dynamic_stack: false
    .vgpr_count:     0
    .vgpr_spill_count: 0
    .wavefront_size: 32
    .workgroup_processor_mode: 1
  - .args:
      - .offset:         0
        .size:           56
        .value_kind:     by_value
    .group_segment_fixed_size: 0
    .kernarg_segment_align: 8
    .kernarg_segment_size: 56
    .language:       OpenCL C
    .language_version:
      - 2
      - 0
    .max_flat_workgroup_size: 512
    .name:           _ZN7rocprim17ROCPRIM_400000_NS6detail17trampoline_kernelINS0_14default_configENS1_25transform_config_selectorIlLb0EEEZNS1_14transform_implILb0ES3_S5_NS0_18transform_iteratorINS0_17counting_iteratorImlEEZNS1_24adjacent_difference_implIS3_Lb1ELb0EPlSB_ZN2at6native12_GLOBAL__N_124unique_dim_cuda_templateIN3c104HalfEEESt5tupleIJNSC_6TensorESJ_SJ_EERKSJ_lbbbEUlllE1_EE10hipError_tPvRmT2_T3_mT4_P12ihipStream_tbEUlmE_lEESB_NS0_8identityIvEEEESO_SR_SS_mST_SV_bEUlT_E_NS1_11comp_targetILNS1_3genE5ELNS1_11target_archE942ELNS1_3gpuE9ELNS1_3repE0EEENS1_30default_config_static_selectorELNS0_4arch9wavefront6targetE0EEEvT1_
    .private_segment_fixed_size: 0
    .sgpr_count:     0
    .sgpr_spill_count: 0
    .symbol:         _ZN7rocprim17ROCPRIM_400000_NS6detail17trampoline_kernelINS0_14default_configENS1_25transform_config_selectorIlLb0EEEZNS1_14transform_implILb0ES3_S5_NS0_18transform_iteratorINS0_17counting_iteratorImlEEZNS1_24adjacent_difference_implIS3_Lb1ELb0EPlSB_ZN2at6native12_GLOBAL__N_124unique_dim_cuda_templateIN3c104HalfEEESt5tupleIJNSC_6TensorESJ_SJ_EERKSJ_lbbbEUlllE1_EE10hipError_tPvRmT2_T3_mT4_P12ihipStream_tbEUlmE_lEESB_NS0_8identityIvEEEESO_SR_SS_mST_SV_bEUlT_E_NS1_11comp_targetILNS1_3genE5ELNS1_11target_archE942ELNS1_3gpuE9ELNS1_3repE0EEENS1_30default_config_static_selectorELNS0_4arch9wavefront6targetE0EEEvT1_.kd
    .uniform_work_group_size: 1
    .uses_dynamic_stack: false
    .vgpr_count:     0
    .vgpr_spill_count: 0
    .wavefront_size: 32
    .workgroup_processor_mode: 1
  - .args:
      - .offset:         0
        .size:           56
        .value_kind:     by_value
    .group_segment_fixed_size: 0
    .kernarg_segment_align: 8
    .kernarg_segment_size: 56
    .language:       OpenCL C
    .language_version:
      - 2
      - 0
    .max_flat_workgroup_size: 256
    .name:           _ZN7rocprim17ROCPRIM_400000_NS6detail17trampoline_kernelINS0_14default_configENS1_25transform_config_selectorIlLb0EEEZNS1_14transform_implILb0ES3_S5_NS0_18transform_iteratorINS0_17counting_iteratorImlEEZNS1_24adjacent_difference_implIS3_Lb1ELb0EPlSB_ZN2at6native12_GLOBAL__N_124unique_dim_cuda_templateIN3c104HalfEEESt5tupleIJNSC_6TensorESJ_SJ_EERKSJ_lbbbEUlllE1_EE10hipError_tPvRmT2_T3_mT4_P12ihipStream_tbEUlmE_lEESB_NS0_8identityIvEEEESO_SR_SS_mST_SV_bEUlT_E_NS1_11comp_targetILNS1_3genE4ELNS1_11target_archE910ELNS1_3gpuE8ELNS1_3repE0EEENS1_30default_config_static_selectorELNS0_4arch9wavefront6targetE0EEEvT1_
    .private_segment_fixed_size: 0
    .sgpr_count:     0
    .sgpr_spill_count: 0
    .symbol:         _ZN7rocprim17ROCPRIM_400000_NS6detail17trampoline_kernelINS0_14default_configENS1_25transform_config_selectorIlLb0EEEZNS1_14transform_implILb0ES3_S5_NS0_18transform_iteratorINS0_17counting_iteratorImlEEZNS1_24adjacent_difference_implIS3_Lb1ELb0EPlSB_ZN2at6native12_GLOBAL__N_124unique_dim_cuda_templateIN3c104HalfEEESt5tupleIJNSC_6TensorESJ_SJ_EERKSJ_lbbbEUlllE1_EE10hipError_tPvRmT2_T3_mT4_P12ihipStream_tbEUlmE_lEESB_NS0_8identityIvEEEESO_SR_SS_mST_SV_bEUlT_E_NS1_11comp_targetILNS1_3genE4ELNS1_11target_archE910ELNS1_3gpuE8ELNS1_3repE0EEENS1_30default_config_static_selectorELNS0_4arch9wavefront6targetE0EEEvT1_.kd
    .uniform_work_group_size: 1
    .uses_dynamic_stack: false
    .vgpr_count:     0
    .vgpr_spill_count: 0
    .wavefront_size: 32
    .workgroup_processor_mode: 1
  - .args:
      - .offset:         0
        .size:           56
        .value_kind:     by_value
    .group_segment_fixed_size: 0
    .kernarg_segment_align: 8
    .kernarg_segment_size: 56
    .language:       OpenCL C
    .language_version:
      - 2
      - 0
    .max_flat_workgroup_size: 128
    .name:           _ZN7rocprim17ROCPRIM_400000_NS6detail17trampoline_kernelINS0_14default_configENS1_25transform_config_selectorIlLb0EEEZNS1_14transform_implILb0ES3_S5_NS0_18transform_iteratorINS0_17counting_iteratorImlEEZNS1_24adjacent_difference_implIS3_Lb1ELb0EPlSB_ZN2at6native12_GLOBAL__N_124unique_dim_cuda_templateIN3c104HalfEEESt5tupleIJNSC_6TensorESJ_SJ_EERKSJ_lbbbEUlllE1_EE10hipError_tPvRmT2_T3_mT4_P12ihipStream_tbEUlmE_lEESB_NS0_8identityIvEEEESO_SR_SS_mST_SV_bEUlT_E_NS1_11comp_targetILNS1_3genE3ELNS1_11target_archE908ELNS1_3gpuE7ELNS1_3repE0EEENS1_30default_config_static_selectorELNS0_4arch9wavefront6targetE0EEEvT1_
    .private_segment_fixed_size: 0
    .sgpr_count:     0
    .sgpr_spill_count: 0
    .symbol:         _ZN7rocprim17ROCPRIM_400000_NS6detail17trampoline_kernelINS0_14default_configENS1_25transform_config_selectorIlLb0EEEZNS1_14transform_implILb0ES3_S5_NS0_18transform_iteratorINS0_17counting_iteratorImlEEZNS1_24adjacent_difference_implIS3_Lb1ELb0EPlSB_ZN2at6native12_GLOBAL__N_124unique_dim_cuda_templateIN3c104HalfEEESt5tupleIJNSC_6TensorESJ_SJ_EERKSJ_lbbbEUlllE1_EE10hipError_tPvRmT2_T3_mT4_P12ihipStream_tbEUlmE_lEESB_NS0_8identityIvEEEESO_SR_SS_mST_SV_bEUlT_E_NS1_11comp_targetILNS1_3genE3ELNS1_11target_archE908ELNS1_3gpuE7ELNS1_3repE0EEENS1_30default_config_static_selectorELNS0_4arch9wavefront6targetE0EEEvT1_.kd
    .uniform_work_group_size: 1
    .uses_dynamic_stack: false
    .vgpr_count:     0
    .vgpr_spill_count: 0
    .wavefront_size: 32
    .workgroup_processor_mode: 1
  - .args:
      - .offset:         0
        .size:           56
        .value_kind:     by_value
    .group_segment_fixed_size: 0
    .kernarg_segment_align: 8
    .kernarg_segment_size: 56
    .language:       OpenCL C
    .language_version:
      - 2
      - 0
    .max_flat_workgroup_size: 512
    .name:           _ZN7rocprim17ROCPRIM_400000_NS6detail17trampoline_kernelINS0_14default_configENS1_25transform_config_selectorIlLb0EEEZNS1_14transform_implILb0ES3_S5_NS0_18transform_iteratorINS0_17counting_iteratorImlEEZNS1_24adjacent_difference_implIS3_Lb1ELb0EPlSB_ZN2at6native12_GLOBAL__N_124unique_dim_cuda_templateIN3c104HalfEEESt5tupleIJNSC_6TensorESJ_SJ_EERKSJ_lbbbEUlllE1_EE10hipError_tPvRmT2_T3_mT4_P12ihipStream_tbEUlmE_lEESB_NS0_8identityIvEEEESO_SR_SS_mST_SV_bEUlT_E_NS1_11comp_targetILNS1_3genE2ELNS1_11target_archE906ELNS1_3gpuE6ELNS1_3repE0EEENS1_30default_config_static_selectorELNS0_4arch9wavefront6targetE0EEEvT1_
    .private_segment_fixed_size: 0
    .sgpr_count:     0
    .sgpr_spill_count: 0
    .symbol:         _ZN7rocprim17ROCPRIM_400000_NS6detail17trampoline_kernelINS0_14default_configENS1_25transform_config_selectorIlLb0EEEZNS1_14transform_implILb0ES3_S5_NS0_18transform_iteratorINS0_17counting_iteratorImlEEZNS1_24adjacent_difference_implIS3_Lb1ELb0EPlSB_ZN2at6native12_GLOBAL__N_124unique_dim_cuda_templateIN3c104HalfEEESt5tupleIJNSC_6TensorESJ_SJ_EERKSJ_lbbbEUlllE1_EE10hipError_tPvRmT2_T3_mT4_P12ihipStream_tbEUlmE_lEESB_NS0_8identityIvEEEESO_SR_SS_mST_SV_bEUlT_E_NS1_11comp_targetILNS1_3genE2ELNS1_11target_archE906ELNS1_3gpuE6ELNS1_3repE0EEENS1_30default_config_static_selectorELNS0_4arch9wavefront6targetE0EEEvT1_.kd
    .uniform_work_group_size: 1
    .uses_dynamic_stack: false
    .vgpr_count:     0
    .vgpr_spill_count: 0
    .wavefront_size: 32
    .workgroup_processor_mode: 1
  - .args:
      - .offset:         0
        .size:           56
        .value_kind:     by_value
    .group_segment_fixed_size: 0
    .kernarg_segment_align: 8
    .kernarg_segment_size: 56
    .language:       OpenCL C
    .language_version:
      - 2
      - 0
    .max_flat_workgroup_size: 1024
    .name:           _ZN7rocprim17ROCPRIM_400000_NS6detail17trampoline_kernelINS0_14default_configENS1_25transform_config_selectorIlLb0EEEZNS1_14transform_implILb0ES3_S5_NS0_18transform_iteratorINS0_17counting_iteratorImlEEZNS1_24adjacent_difference_implIS3_Lb1ELb0EPlSB_ZN2at6native12_GLOBAL__N_124unique_dim_cuda_templateIN3c104HalfEEESt5tupleIJNSC_6TensorESJ_SJ_EERKSJ_lbbbEUlllE1_EE10hipError_tPvRmT2_T3_mT4_P12ihipStream_tbEUlmE_lEESB_NS0_8identityIvEEEESO_SR_SS_mST_SV_bEUlT_E_NS1_11comp_targetILNS1_3genE10ELNS1_11target_archE1201ELNS1_3gpuE5ELNS1_3repE0EEENS1_30default_config_static_selectorELNS0_4arch9wavefront6targetE0EEEvT1_
    .private_segment_fixed_size: 0
    .sgpr_count:     0
    .sgpr_spill_count: 0
    .symbol:         _ZN7rocprim17ROCPRIM_400000_NS6detail17trampoline_kernelINS0_14default_configENS1_25transform_config_selectorIlLb0EEEZNS1_14transform_implILb0ES3_S5_NS0_18transform_iteratorINS0_17counting_iteratorImlEEZNS1_24adjacent_difference_implIS3_Lb1ELb0EPlSB_ZN2at6native12_GLOBAL__N_124unique_dim_cuda_templateIN3c104HalfEEESt5tupleIJNSC_6TensorESJ_SJ_EERKSJ_lbbbEUlllE1_EE10hipError_tPvRmT2_T3_mT4_P12ihipStream_tbEUlmE_lEESB_NS0_8identityIvEEEESO_SR_SS_mST_SV_bEUlT_E_NS1_11comp_targetILNS1_3genE10ELNS1_11target_archE1201ELNS1_3gpuE5ELNS1_3repE0EEENS1_30default_config_static_selectorELNS0_4arch9wavefront6targetE0EEEvT1_.kd
    .uniform_work_group_size: 1
    .uses_dynamic_stack: false
    .vgpr_count:     0
    .vgpr_spill_count: 0
    .wavefront_size: 32
    .workgroup_processor_mode: 1
  - .args:
      - .offset:         0
        .size:           56
        .value_kind:     by_value
    .group_segment_fixed_size: 0
    .kernarg_segment_align: 8
    .kernarg_segment_size: 56
    .language:       OpenCL C
    .language_version:
      - 2
      - 0
    .max_flat_workgroup_size: 512
    .name:           _ZN7rocprim17ROCPRIM_400000_NS6detail17trampoline_kernelINS0_14default_configENS1_25transform_config_selectorIlLb0EEEZNS1_14transform_implILb0ES3_S5_NS0_18transform_iteratorINS0_17counting_iteratorImlEEZNS1_24adjacent_difference_implIS3_Lb1ELb0EPlSB_ZN2at6native12_GLOBAL__N_124unique_dim_cuda_templateIN3c104HalfEEESt5tupleIJNSC_6TensorESJ_SJ_EERKSJ_lbbbEUlllE1_EE10hipError_tPvRmT2_T3_mT4_P12ihipStream_tbEUlmE_lEESB_NS0_8identityIvEEEESO_SR_SS_mST_SV_bEUlT_E_NS1_11comp_targetILNS1_3genE10ELNS1_11target_archE1200ELNS1_3gpuE4ELNS1_3repE0EEENS1_30default_config_static_selectorELNS0_4arch9wavefront6targetE0EEEvT1_
    .private_segment_fixed_size: 0
    .sgpr_count:     0
    .sgpr_spill_count: 0
    .symbol:         _ZN7rocprim17ROCPRIM_400000_NS6detail17trampoline_kernelINS0_14default_configENS1_25transform_config_selectorIlLb0EEEZNS1_14transform_implILb0ES3_S5_NS0_18transform_iteratorINS0_17counting_iteratorImlEEZNS1_24adjacent_difference_implIS3_Lb1ELb0EPlSB_ZN2at6native12_GLOBAL__N_124unique_dim_cuda_templateIN3c104HalfEEESt5tupleIJNSC_6TensorESJ_SJ_EERKSJ_lbbbEUlllE1_EE10hipError_tPvRmT2_T3_mT4_P12ihipStream_tbEUlmE_lEESB_NS0_8identityIvEEEESO_SR_SS_mST_SV_bEUlT_E_NS1_11comp_targetILNS1_3genE10ELNS1_11target_archE1200ELNS1_3gpuE4ELNS1_3repE0EEENS1_30default_config_static_selectorELNS0_4arch9wavefront6targetE0EEEvT1_.kd
    .uniform_work_group_size: 1
    .uses_dynamic_stack: false
    .vgpr_count:     0
    .vgpr_spill_count: 0
    .wavefront_size: 32
    .workgroup_processor_mode: 1
  - .args:
      - .offset:         0
        .size:           56
        .value_kind:     by_value
      - .offset:         56
        .size:           4
        .value_kind:     hidden_block_count_x
      - .offset:         60
        .size:           4
        .value_kind:     hidden_block_count_y
      - .offset:         64
        .size:           4
        .value_kind:     hidden_block_count_z
      - .offset:         68
        .size:           2
        .value_kind:     hidden_group_size_x
      - .offset:         70
        .size:           2
        .value_kind:     hidden_group_size_y
      - .offset:         72
        .size:           2
        .value_kind:     hidden_group_size_z
      - .offset:         74
        .size:           2
        .value_kind:     hidden_remainder_x
      - .offset:         76
        .size:           2
        .value_kind:     hidden_remainder_y
      - .offset:         78
        .size:           2
        .value_kind:     hidden_remainder_z
      - .offset:         96
        .size:           8
        .value_kind:     hidden_global_offset_x
      - .offset:         104
        .size:           8
        .value_kind:     hidden_global_offset_y
      - .offset:         112
        .size:           8
        .value_kind:     hidden_global_offset_z
      - .offset:         120
        .size:           2
        .value_kind:     hidden_grid_dims
    .group_segment_fixed_size: 0
    .kernarg_segment_align: 8
    .kernarg_segment_size: 312
    .language:       OpenCL C
    .language_version:
      - 2
      - 0
    .max_flat_workgroup_size: 512
    .name:           _ZN7rocprim17ROCPRIM_400000_NS6detail17trampoline_kernelINS0_14default_configENS1_25transform_config_selectorIlLb0EEEZNS1_14transform_implILb0ES3_S5_NS0_18transform_iteratorINS0_17counting_iteratorImlEEZNS1_24adjacent_difference_implIS3_Lb1ELb0EPlSB_ZN2at6native12_GLOBAL__N_124unique_dim_cuda_templateIN3c104HalfEEESt5tupleIJNSC_6TensorESJ_SJ_EERKSJ_lbbbEUlllE1_EE10hipError_tPvRmT2_T3_mT4_P12ihipStream_tbEUlmE_lEESB_NS0_8identityIvEEEESO_SR_SS_mST_SV_bEUlT_E_NS1_11comp_targetILNS1_3genE9ELNS1_11target_archE1100ELNS1_3gpuE3ELNS1_3repE0EEENS1_30default_config_static_selectorELNS0_4arch9wavefront6targetE0EEEvT1_
    .private_segment_fixed_size: 0
    .sgpr_count:     18
    .sgpr_spill_count: 0
    .symbol:         _ZN7rocprim17ROCPRIM_400000_NS6detail17trampoline_kernelINS0_14default_configENS1_25transform_config_selectorIlLb0EEEZNS1_14transform_implILb0ES3_S5_NS0_18transform_iteratorINS0_17counting_iteratorImlEEZNS1_24adjacent_difference_implIS3_Lb1ELb0EPlSB_ZN2at6native12_GLOBAL__N_124unique_dim_cuda_templateIN3c104HalfEEESt5tupleIJNSC_6TensorESJ_SJ_EERKSJ_lbbbEUlllE1_EE10hipError_tPvRmT2_T3_mT4_P12ihipStream_tbEUlmE_lEESB_NS0_8identityIvEEEESO_SR_SS_mST_SV_bEUlT_E_NS1_11comp_targetILNS1_3genE9ELNS1_11target_archE1100ELNS1_3gpuE3ELNS1_3repE0EEENS1_30default_config_static_selectorELNS0_4arch9wavefront6targetE0EEEvT1_.kd
    .uniform_work_group_size: 1
    .uses_dynamic_stack: false
    .vgpr_count:     6
    .vgpr_spill_count: 0
    .wavefront_size: 32
    .workgroup_processor_mode: 1
  - .args:
      - .offset:         0
        .size:           56
        .value_kind:     by_value
    .group_segment_fixed_size: 0
    .kernarg_segment_align: 8
    .kernarg_segment_size: 56
    .language:       OpenCL C
    .language_version:
      - 2
      - 0
    .max_flat_workgroup_size: 512
    .name:           _ZN7rocprim17ROCPRIM_400000_NS6detail17trampoline_kernelINS0_14default_configENS1_25transform_config_selectorIlLb0EEEZNS1_14transform_implILb0ES3_S5_NS0_18transform_iteratorINS0_17counting_iteratorImlEEZNS1_24adjacent_difference_implIS3_Lb1ELb0EPlSB_ZN2at6native12_GLOBAL__N_124unique_dim_cuda_templateIN3c104HalfEEESt5tupleIJNSC_6TensorESJ_SJ_EERKSJ_lbbbEUlllE1_EE10hipError_tPvRmT2_T3_mT4_P12ihipStream_tbEUlmE_lEESB_NS0_8identityIvEEEESO_SR_SS_mST_SV_bEUlT_E_NS1_11comp_targetILNS1_3genE8ELNS1_11target_archE1030ELNS1_3gpuE2ELNS1_3repE0EEENS1_30default_config_static_selectorELNS0_4arch9wavefront6targetE0EEEvT1_
    .private_segment_fixed_size: 0
    .sgpr_count:     0
    .sgpr_spill_count: 0
    .symbol:         _ZN7rocprim17ROCPRIM_400000_NS6detail17trampoline_kernelINS0_14default_configENS1_25transform_config_selectorIlLb0EEEZNS1_14transform_implILb0ES3_S5_NS0_18transform_iteratorINS0_17counting_iteratorImlEEZNS1_24adjacent_difference_implIS3_Lb1ELb0EPlSB_ZN2at6native12_GLOBAL__N_124unique_dim_cuda_templateIN3c104HalfEEESt5tupleIJNSC_6TensorESJ_SJ_EERKSJ_lbbbEUlllE1_EE10hipError_tPvRmT2_T3_mT4_P12ihipStream_tbEUlmE_lEESB_NS0_8identityIvEEEESO_SR_SS_mST_SV_bEUlT_E_NS1_11comp_targetILNS1_3genE8ELNS1_11target_archE1030ELNS1_3gpuE2ELNS1_3repE0EEENS1_30default_config_static_selectorELNS0_4arch9wavefront6targetE0EEEvT1_.kd
    .uniform_work_group_size: 1
    .uses_dynamic_stack: false
    .vgpr_count:     0
    .vgpr_spill_count: 0
    .wavefront_size: 32
    .workgroup_processor_mode: 1
  - .args:
      - .offset:         0
        .size:           64
        .value_kind:     by_value
    .group_segment_fixed_size: 0
    .kernarg_segment_align: 8
    .kernarg_segment_size: 64
    .language:       OpenCL C
    .language_version:
      - 2
      - 0
    .max_flat_workgroup_size: 512
    .name:           _ZN7rocprim17ROCPRIM_400000_NS6detail17trampoline_kernelINS0_14default_configENS1_35adjacent_difference_config_selectorILb1ElEEZNS1_24adjacent_difference_implIS3_Lb1ELb0EPlS7_ZN2at6native12_GLOBAL__N_124unique_dim_cuda_templateIN3c104HalfEEESt5tupleIJNS8_6TensorESF_SF_EERKSF_lbbbEUlllE1_EE10hipError_tPvRmT2_T3_mT4_P12ihipStream_tbEUlT_E_NS1_11comp_targetILNS1_3genE0ELNS1_11target_archE4294967295ELNS1_3gpuE0ELNS1_3repE0EEENS1_30default_config_static_selectorELNS0_4arch9wavefront6targetE0EEEvT1_
    .private_segment_fixed_size: 0
    .sgpr_count:     0
    .sgpr_spill_count: 0
    .symbol:         _ZN7rocprim17ROCPRIM_400000_NS6detail17trampoline_kernelINS0_14default_configENS1_35adjacent_difference_config_selectorILb1ElEEZNS1_24adjacent_difference_implIS3_Lb1ELb0EPlS7_ZN2at6native12_GLOBAL__N_124unique_dim_cuda_templateIN3c104HalfEEESt5tupleIJNS8_6TensorESF_SF_EERKSF_lbbbEUlllE1_EE10hipError_tPvRmT2_T3_mT4_P12ihipStream_tbEUlT_E_NS1_11comp_targetILNS1_3genE0ELNS1_11target_archE4294967295ELNS1_3gpuE0ELNS1_3repE0EEENS1_30default_config_static_selectorELNS0_4arch9wavefront6targetE0EEEvT1_.kd
    .uniform_work_group_size: 1
    .uses_dynamic_stack: false
    .vgpr_count:     0
    .vgpr_spill_count: 0
    .wavefront_size: 32
    .workgroup_processor_mode: 1
  - .args:
      - .offset:         0
        .size:           64
        .value_kind:     by_value
    .group_segment_fixed_size: 0
    .kernarg_segment_align: 8
    .kernarg_segment_size: 64
    .language:       OpenCL C
    .language_version:
      - 2
      - 0
    .max_flat_workgroup_size: 32
    .name:           _ZN7rocprim17ROCPRIM_400000_NS6detail17trampoline_kernelINS0_14default_configENS1_35adjacent_difference_config_selectorILb1ElEEZNS1_24adjacent_difference_implIS3_Lb1ELb0EPlS7_ZN2at6native12_GLOBAL__N_124unique_dim_cuda_templateIN3c104HalfEEESt5tupleIJNS8_6TensorESF_SF_EERKSF_lbbbEUlllE1_EE10hipError_tPvRmT2_T3_mT4_P12ihipStream_tbEUlT_E_NS1_11comp_targetILNS1_3genE10ELNS1_11target_archE1201ELNS1_3gpuE5ELNS1_3repE0EEENS1_30default_config_static_selectorELNS0_4arch9wavefront6targetE0EEEvT1_
    .private_segment_fixed_size: 0
    .sgpr_count:     0
    .sgpr_spill_count: 0
    .symbol:         _ZN7rocprim17ROCPRIM_400000_NS6detail17trampoline_kernelINS0_14default_configENS1_35adjacent_difference_config_selectorILb1ElEEZNS1_24adjacent_difference_implIS3_Lb1ELb0EPlS7_ZN2at6native12_GLOBAL__N_124unique_dim_cuda_templateIN3c104HalfEEESt5tupleIJNS8_6TensorESF_SF_EERKSF_lbbbEUlllE1_EE10hipError_tPvRmT2_T3_mT4_P12ihipStream_tbEUlT_E_NS1_11comp_targetILNS1_3genE10ELNS1_11target_archE1201ELNS1_3gpuE5ELNS1_3repE0EEENS1_30default_config_static_selectorELNS0_4arch9wavefront6targetE0EEEvT1_.kd
    .uniform_work_group_size: 1
    .uses_dynamic_stack: false
    .vgpr_count:     0
    .vgpr_spill_count: 0
    .wavefront_size: 32
    .workgroup_processor_mode: 1
  - .args:
      - .offset:         0
        .size:           64
        .value_kind:     by_value
    .group_segment_fixed_size: 0
    .kernarg_segment_align: 8
    .kernarg_segment_size: 64
    .language:       OpenCL C
    .language_version:
      - 2
      - 0
    .max_flat_workgroup_size: 256
    .name:           _ZN7rocprim17ROCPRIM_400000_NS6detail17trampoline_kernelINS0_14default_configENS1_35adjacent_difference_config_selectorILb1ElEEZNS1_24adjacent_difference_implIS3_Lb1ELb0EPlS7_ZN2at6native12_GLOBAL__N_124unique_dim_cuda_templateIN3c104HalfEEESt5tupleIJNS8_6TensorESF_SF_EERKSF_lbbbEUlllE1_EE10hipError_tPvRmT2_T3_mT4_P12ihipStream_tbEUlT_E_NS1_11comp_targetILNS1_3genE5ELNS1_11target_archE942ELNS1_3gpuE9ELNS1_3repE0EEENS1_30default_config_static_selectorELNS0_4arch9wavefront6targetE0EEEvT1_
    .private_segment_fixed_size: 0
    .sgpr_count:     0
    .sgpr_spill_count: 0
    .symbol:         _ZN7rocprim17ROCPRIM_400000_NS6detail17trampoline_kernelINS0_14default_configENS1_35adjacent_difference_config_selectorILb1ElEEZNS1_24adjacent_difference_implIS3_Lb1ELb0EPlS7_ZN2at6native12_GLOBAL__N_124unique_dim_cuda_templateIN3c104HalfEEESt5tupleIJNS8_6TensorESF_SF_EERKSF_lbbbEUlllE1_EE10hipError_tPvRmT2_T3_mT4_P12ihipStream_tbEUlT_E_NS1_11comp_targetILNS1_3genE5ELNS1_11target_archE942ELNS1_3gpuE9ELNS1_3repE0EEENS1_30default_config_static_selectorELNS0_4arch9wavefront6targetE0EEEvT1_.kd
    .uniform_work_group_size: 1
    .uses_dynamic_stack: false
    .vgpr_count:     0
    .vgpr_spill_count: 0
    .wavefront_size: 32
    .workgroup_processor_mode: 1
  - .args:
      - .offset:         0
        .size:           64
        .value_kind:     by_value
    .group_segment_fixed_size: 0
    .kernarg_segment_align: 8
    .kernarg_segment_size: 64
    .language:       OpenCL C
    .language_version:
      - 2
      - 0
    .max_flat_workgroup_size: 512
    .name:           _ZN7rocprim17ROCPRIM_400000_NS6detail17trampoline_kernelINS0_14default_configENS1_35adjacent_difference_config_selectorILb1ElEEZNS1_24adjacent_difference_implIS3_Lb1ELb0EPlS7_ZN2at6native12_GLOBAL__N_124unique_dim_cuda_templateIN3c104HalfEEESt5tupleIJNS8_6TensorESF_SF_EERKSF_lbbbEUlllE1_EE10hipError_tPvRmT2_T3_mT4_P12ihipStream_tbEUlT_E_NS1_11comp_targetILNS1_3genE4ELNS1_11target_archE910ELNS1_3gpuE8ELNS1_3repE0EEENS1_30default_config_static_selectorELNS0_4arch9wavefront6targetE0EEEvT1_
    .private_segment_fixed_size: 0
    .sgpr_count:     0
    .sgpr_spill_count: 0
    .symbol:         _ZN7rocprim17ROCPRIM_400000_NS6detail17trampoline_kernelINS0_14default_configENS1_35adjacent_difference_config_selectorILb1ElEEZNS1_24adjacent_difference_implIS3_Lb1ELb0EPlS7_ZN2at6native12_GLOBAL__N_124unique_dim_cuda_templateIN3c104HalfEEESt5tupleIJNS8_6TensorESF_SF_EERKSF_lbbbEUlllE1_EE10hipError_tPvRmT2_T3_mT4_P12ihipStream_tbEUlT_E_NS1_11comp_targetILNS1_3genE4ELNS1_11target_archE910ELNS1_3gpuE8ELNS1_3repE0EEENS1_30default_config_static_selectorELNS0_4arch9wavefront6targetE0EEEvT1_.kd
    .uniform_work_group_size: 1
    .uses_dynamic_stack: false
    .vgpr_count:     0
    .vgpr_spill_count: 0
    .wavefront_size: 32
    .workgroup_processor_mode: 1
  - .args:
      - .offset:         0
        .size:           64
        .value_kind:     by_value
    .group_segment_fixed_size: 0
    .kernarg_segment_align: 8
    .kernarg_segment_size: 64
    .language:       OpenCL C
    .language_version:
      - 2
      - 0
    .max_flat_workgroup_size: 512
    .name:           _ZN7rocprim17ROCPRIM_400000_NS6detail17trampoline_kernelINS0_14default_configENS1_35adjacent_difference_config_selectorILb1ElEEZNS1_24adjacent_difference_implIS3_Lb1ELb0EPlS7_ZN2at6native12_GLOBAL__N_124unique_dim_cuda_templateIN3c104HalfEEESt5tupleIJNS8_6TensorESF_SF_EERKSF_lbbbEUlllE1_EE10hipError_tPvRmT2_T3_mT4_P12ihipStream_tbEUlT_E_NS1_11comp_targetILNS1_3genE3ELNS1_11target_archE908ELNS1_3gpuE7ELNS1_3repE0EEENS1_30default_config_static_selectorELNS0_4arch9wavefront6targetE0EEEvT1_
    .private_segment_fixed_size: 0
    .sgpr_count:     0
    .sgpr_spill_count: 0
    .symbol:         _ZN7rocprim17ROCPRIM_400000_NS6detail17trampoline_kernelINS0_14default_configENS1_35adjacent_difference_config_selectorILb1ElEEZNS1_24adjacent_difference_implIS3_Lb1ELb0EPlS7_ZN2at6native12_GLOBAL__N_124unique_dim_cuda_templateIN3c104HalfEEESt5tupleIJNS8_6TensorESF_SF_EERKSF_lbbbEUlllE1_EE10hipError_tPvRmT2_T3_mT4_P12ihipStream_tbEUlT_E_NS1_11comp_targetILNS1_3genE3ELNS1_11target_archE908ELNS1_3gpuE7ELNS1_3repE0EEENS1_30default_config_static_selectorELNS0_4arch9wavefront6targetE0EEEvT1_.kd
    .uniform_work_group_size: 1
    .uses_dynamic_stack: false
    .vgpr_count:     0
    .vgpr_spill_count: 0
    .wavefront_size: 32
    .workgroup_processor_mode: 1
  - .args:
      - .offset:         0
        .size:           64
        .value_kind:     by_value
    .group_segment_fixed_size: 0
    .kernarg_segment_align: 8
    .kernarg_segment_size: 64
    .language:       OpenCL C
    .language_version:
      - 2
      - 0
    .max_flat_workgroup_size: 128
    .name:           _ZN7rocprim17ROCPRIM_400000_NS6detail17trampoline_kernelINS0_14default_configENS1_35adjacent_difference_config_selectorILb1ElEEZNS1_24adjacent_difference_implIS3_Lb1ELb0EPlS7_ZN2at6native12_GLOBAL__N_124unique_dim_cuda_templateIN3c104HalfEEESt5tupleIJNS8_6TensorESF_SF_EERKSF_lbbbEUlllE1_EE10hipError_tPvRmT2_T3_mT4_P12ihipStream_tbEUlT_E_NS1_11comp_targetILNS1_3genE2ELNS1_11target_archE906ELNS1_3gpuE6ELNS1_3repE0EEENS1_30default_config_static_selectorELNS0_4arch9wavefront6targetE0EEEvT1_
    .private_segment_fixed_size: 0
    .sgpr_count:     0
    .sgpr_spill_count: 0
    .symbol:         _ZN7rocprim17ROCPRIM_400000_NS6detail17trampoline_kernelINS0_14default_configENS1_35adjacent_difference_config_selectorILb1ElEEZNS1_24adjacent_difference_implIS3_Lb1ELb0EPlS7_ZN2at6native12_GLOBAL__N_124unique_dim_cuda_templateIN3c104HalfEEESt5tupleIJNS8_6TensorESF_SF_EERKSF_lbbbEUlllE1_EE10hipError_tPvRmT2_T3_mT4_P12ihipStream_tbEUlT_E_NS1_11comp_targetILNS1_3genE2ELNS1_11target_archE906ELNS1_3gpuE6ELNS1_3repE0EEENS1_30default_config_static_selectorELNS0_4arch9wavefront6targetE0EEEvT1_.kd
    .uniform_work_group_size: 1
    .uses_dynamic_stack: false
    .vgpr_count:     0
    .vgpr_spill_count: 0
    .wavefront_size: 32
    .workgroup_processor_mode: 1
  - .args:
      - .offset:         0
        .size:           64
        .value_kind:     by_value
    .group_segment_fixed_size: 29696
    .kernarg_segment_align: 8
    .kernarg_segment_size: 64
    .language:       OpenCL C
    .language_version:
      - 2
      - 0
    .max_flat_workgroup_size: 128
    .name:           _ZN7rocprim17ROCPRIM_400000_NS6detail17trampoline_kernelINS0_14default_configENS1_35adjacent_difference_config_selectorILb1ElEEZNS1_24adjacent_difference_implIS3_Lb1ELb0EPlS7_ZN2at6native12_GLOBAL__N_124unique_dim_cuda_templateIN3c104HalfEEESt5tupleIJNS8_6TensorESF_SF_EERKSF_lbbbEUlllE1_EE10hipError_tPvRmT2_T3_mT4_P12ihipStream_tbEUlT_E_NS1_11comp_targetILNS1_3genE9ELNS1_11target_archE1100ELNS1_3gpuE3ELNS1_3repE0EEENS1_30default_config_static_selectorELNS0_4arch9wavefront6targetE0EEEvT1_
    .private_segment_fixed_size: 0
    .sgpr_count:     32
    .sgpr_spill_count: 0
    .symbol:         _ZN7rocprim17ROCPRIM_400000_NS6detail17trampoline_kernelINS0_14default_configENS1_35adjacent_difference_config_selectorILb1ElEEZNS1_24adjacent_difference_implIS3_Lb1ELb0EPlS7_ZN2at6native12_GLOBAL__N_124unique_dim_cuda_templateIN3c104HalfEEESt5tupleIJNS8_6TensorESF_SF_EERKSF_lbbbEUlllE1_EE10hipError_tPvRmT2_T3_mT4_P12ihipStream_tbEUlT_E_NS1_11comp_targetILNS1_3genE9ELNS1_11target_archE1100ELNS1_3gpuE3ELNS1_3repE0EEENS1_30default_config_static_selectorELNS0_4arch9wavefront6targetE0EEEvT1_.kd
    .uniform_work_group_size: 1
    .uses_dynamic_stack: false
    .vgpr_count:     196
    .vgpr_spill_count: 0
    .wavefront_size: 32
    .workgroup_processor_mode: 1
  - .args:
      - .offset:         0
        .size:           64
        .value_kind:     by_value
    .group_segment_fixed_size: 0
    .kernarg_segment_align: 8
    .kernarg_segment_size: 64
    .language:       OpenCL C
    .language_version:
      - 2
      - 0
    .max_flat_workgroup_size: 32
    .name:           _ZN7rocprim17ROCPRIM_400000_NS6detail17trampoline_kernelINS0_14default_configENS1_35adjacent_difference_config_selectorILb1ElEEZNS1_24adjacent_difference_implIS3_Lb1ELb0EPlS7_ZN2at6native12_GLOBAL__N_124unique_dim_cuda_templateIN3c104HalfEEESt5tupleIJNS8_6TensorESF_SF_EERKSF_lbbbEUlllE1_EE10hipError_tPvRmT2_T3_mT4_P12ihipStream_tbEUlT_E_NS1_11comp_targetILNS1_3genE8ELNS1_11target_archE1030ELNS1_3gpuE2ELNS1_3repE0EEENS1_30default_config_static_selectorELNS0_4arch9wavefront6targetE0EEEvT1_
    .private_segment_fixed_size: 0
    .sgpr_count:     0
    .sgpr_spill_count: 0
    .symbol:         _ZN7rocprim17ROCPRIM_400000_NS6detail17trampoline_kernelINS0_14default_configENS1_35adjacent_difference_config_selectorILb1ElEEZNS1_24adjacent_difference_implIS3_Lb1ELb0EPlS7_ZN2at6native12_GLOBAL__N_124unique_dim_cuda_templateIN3c104HalfEEESt5tupleIJNS8_6TensorESF_SF_EERKSF_lbbbEUlllE1_EE10hipError_tPvRmT2_T3_mT4_P12ihipStream_tbEUlT_E_NS1_11comp_targetILNS1_3genE8ELNS1_11target_archE1030ELNS1_3gpuE2ELNS1_3repE0EEENS1_30default_config_static_selectorELNS0_4arch9wavefront6targetE0EEEvT1_.kd
    .uniform_work_group_size: 1
    .uses_dynamic_stack: false
    .vgpr_count:     0
    .vgpr_spill_count: 0
    .wavefront_size: 32
    .workgroup_processor_mode: 1
  - .args:
      - .offset:         0
        .size:           120
        .value_kind:     by_value
    .group_segment_fixed_size: 0
    .kernarg_segment_align: 8
    .kernarg_segment_size: 120
    .language:       OpenCL C
    .language_version:
      - 2
      - 0
    .max_flat_workgroup_size: 512
    .name:           _ZN7rocprim17ROCPRIM_400000_NS6detail17trampoline_kernelINS0_14default_configENS1_25partition_config_selectorILNS1_17partition_subalgoE8ElNS0_10empty_typeEbEEZZNS1_14partition_implILS5_8ELb0ES3_jPlPS6_PKS6_NS0_5tupleIJS9_S6_EEENSD_IJSA_SA_EEENS0_18inequality_wrapperIZN2at6native12_GLOBAL__N_124unique_dim_cuda_templateIN3c104HalfEEESt5tupleIJNSH_6TensorESO_SO_EERKSO_lbbbEUlllE0_EEPmJS6_EEE10hipError_tPvRmT3_T4_T5_T6_T7_T9_mT8_P12ihipStream_tbDpT10_ENKUlT_T0_E_clISt17integral_constantIbLb0EES1E_EEDaS19_S1A_EUlS19_E_NS1_11comp_targetILNS1_3genE0ELNS1_11target_archE4294967295ELNS1_3gpuE0ELNS1_3repE0EEENS1_30default_config_static_selectorELNS0_4arch9wavefront6targetE0EEEvT1_
    .private_segment_fixed_size: 0
    .sgpr_count:     0
    .sgpr_spill_count: 0
    .symbol:         _ZN7rocprim17ROCPRIM_400000_NS6detail17trampoline_kernelINS0_14default_configENS1_25partition_config_selectorILNS1_17partition_subalgoE8ElNS0_10empty_typeEbEEZZNS1_14partition_implILS5_8ELb0ES3_jPlPS6_PKS6_NS0_5tupleIJS9_S6_EEENSD_IJSA_SA_EEENS0_18inequality_wrapperIZN2at6native12_GLOBAL__N_124unique_dim_cuda_templateIN3c104HalfEEESt5tupleIJNSH_6TensorESO_SO_EERKSO_lbbbEUlllE0_EEPmJS6_EEE10hipError_tPvRmT3_T4_T5_T6_T7_T9_mT8_P12ihipStream_tbDpT10_ENKUlT_T0_E_clISt17integral_constantIbLb0EES1E_EEDaS19_S1A_EUlS19_E_NS1_11comp_targetILNS1_3genE0ELNS1_11target_archE4294967295ELNS1_3gpuE0ELNS1_3repE0EEENS1_30default_config_static_selectorELNS0_4arch9wavefront6targetE0EEEvT1_.kd
    .uniform_work_group_size: 1
    .uses_dynamic_stack: false
    .vgpr_count:     0
    .vgpr_spill_count: 0
    .wavefront_size: 32
    .workgroup_processor_mode: 1
  - .args:
      - .offset:         0
        .size:           120
        .value_kind:     by_value
    .group_segment_fixed_size: 0
    .kernarg_segment_align: 8
    .kernarg_segment_size: 120
    .language:       OpenCL C
    .language_version:
      - 2
      - 0
    .max_flat_workgroup_size: 512
    .name:           _ZN7rocprim17ROCPRIM_400000_NS6detail17trampoline_kernelINS0_14default_configENS1_25partition_config_selectorILNS1_17partition_subalgoE8ElNS0_10empty_typeEbEEZZNS1_14partition_implILS5_8ELb0ES3_jPlPS6_PKS6_NS0_5tupleIJS9_S6_EEENSD_IJSA_SA_EEENS0_18inequality_wrapperIZN2at6native12_GLOBAL__N_124unique_dim_cuda_templateIN3c104HalfEEESt5tupleIJNSH_6TensorESO_SO_EERKSO_lbbbEUlllE0_EEPmJS6_EEE10hipError_tPvRmT3_T4_T5_T6_T7_T9_mT8_P12ihipStream_tbDpT10_ENKUlT_T0_E_clISt17integral_constantIbLb0EES1E_EEDaS19_S1A_EUlS19_E_NS1_11comp_targetILNS1_3genE5ELNS1_11target_archE942ELNS1_3gpuE9ELNS1_3repE0EEENS1_30default_config_static_selectorELNS0_4arch9wavefront6targetE0EEEvT1_
    .private_segment_fixed_size: 0
    .sgpr_count:     0
    .sgpr_spill_count: 0
    .symbol:         _ZN7rocprim17ROCPRIM_400000_NS6detail17trampoline_kernelINS0_14default_configENS1_25partition_config_selectorILNS1_17partition_subalgoE8ElNS0_10empty_typeEbEEZZNS1_14partition_implILS5_8ELb0ES3_jPlPS6_PKS6_NS0_5tupleIJS9_S6_EEENSD_IJSA_SA_EEENS0_18inequality_wrapperIZN2at6native12_GLOBAL__N_124unique_dim_cuda_templateIN3c104HalfEEESt5tupleIJNSH_6TensorESO_SO_EERKSO_lbbbEUlllE0_EEPmJS6_EEE10hipError_tPvRmT3_T4_T5_T6_T7_T9_mT8_P12ihipStream_tbDpT10_ENKUlT_T0_E_clISt17integral_constantIbLb0EES1E_EEDaS19_S1A_EUlS19_E_NS1_11comp_targetILNS1_3genE5ELNS1_11target_archE942ELNS1_3gpuE9ELNS1_3repE0EEENS1_30default_config_static_selectorELNS0_4arch9wavefront6targetE0EEEvT1_.kd
    .uniform_work_group_size: 1
    .uses_dynamic_stack: false
    .vgpr_count:     0
    .vgpr_spill_count: 0
    .wavefront_size: 32
    .workgroup_processor_mode: 1
  - .args:
      - .offset:         0
        .size:           120
        .value_kind:     by_value
    .group_segment_fixed_size: 0
    .kernarg_segment_align: 8
    .kernarg_segment_size: 120
    .language:       OpenCL C
    .language_version:
      - 2
      - 0
    .max_flat_workgroup_size: 256
    .name:           _ZN7rocprim17ROCPRIM_400000_NS6detail17trampoline_kernelINS0_14default_configENS1_25partition_config_selectorILNS1_17partition_subalgoE8ElNS0_10empty_typeEbEEZZNS1_14partition_implILS5_8ELb0ES3_jPlPS6_PKS6_NS0_5tupleIJS9_S6_EEENSD_IJSA_SA_EEENS0_18inequality_wrapperIZN2at6native12_GLOBAL__N_124unique_dim_cuda_templateIN3c104HalfEEESt5tupleIJNSH_6TensorESO_SO_EERKSO_lbbbEUlllE0_EEPmJS6_EEE10hipError_tPvRmT3_T4_T5_T6_T7_T9_mT8_P12ihipStream_tbDpT10_ENKUlT_T0_E_clISt17integral_constantIbLb0EES1E_EEDaS19_S1A_EUlS19_E_NS1_11comp_targetILNS1_3genE4ELNS1_11target_archE910ELNS1_3gpuE8ELNS1_3repE0EEENS1_30default_config_static_selectorELNS0_4arch9wavefront6targetE0EEEvT1_
    .private_segment_fixed_size: 0
    .sgpr_count:     0
    .sgpr_spill_count: 0
    .symbol:         _ZN7rocprim17ROCPRIM_400000_NS6detail17trampoline_kernelINS0_14default_configENS1_25partition_config_selectorILNS1_17partition_subalgoE8ElNS0_10empty_typeEbEEZZNS1_14partition_implILS5_8ELb0ES3_jPlPS6_PKS6_NS0_5tupleIJS9_S6_EEENSD_IJSA_SA_EEENS0_18inequality_wrapperIZN2at6native12_GLOBAL__N_124unique_dim_cuda_templateIN3c104HalfEEESt5tupleIJNSH_6TensorESO_SO_EERKSO_lbbbEUlllE0_EEPmJS6_EEE10hipError_tPvRmT3_T4_T5_T6_T7_T9_mT8_P12ihipStream_tbDpT10_ENKUlT_T0_E_clISt17integral_constantIbLb0EES1E_EEDaS19_S1A_EUlS19_E_NS1_11comp_targetILNS1_3genE4ELNS1_11target_archE910ELNS1_3gpuE8ELNS1_3repE0EEENS1_30default_config_static_selectorELNS0_4arch9wavefront6targetE0EEEvT1_.kd
    .uniform_work_group_size: 1
    .uses_dynamic_stack: false
    .vgpr_count:     0
    .vgpr_spill_count: 0
    .wavefront_size: 32
    .workgroup_processor_mode: 1
  - .args:
      - .offset:         0
        .size:           120
        .value_kind:     by_value
    .group_segment_fixed_size: 0
    .kernarg_segment_align: 8
    .kernarg_segment_size: 120
    .language:       OpenCL C
    .language_version:
      - 2
      - 0
    .max_flat_workgroup_size: 512
    .name:           _ZN7rocprim17ROCPRIM_400000_NS6detail17trampoline_kernelINS0_14default_configENS1_25partition_config_selectorILNS1_17partition_subalgoE8ElNS0_10empty_typeEbEEZZNS1_14partition_implILS5_8ELb0ES3_jPlPS6_PKS6_NS0_5tupleIJS9_S6_EEENSD_IJSA_SA_EEENS0_18inequality_wrapperIZN2at6native12_GLOBAL__N_124unique_dim_cuda_templateIN3c104HalfEEESt5tupleIJNSH_6TensorESO_SO_EERKSO_lbbbEUlllE0_EEPmJS6_EEE10hipError_tPvRmT3_T4_T5_T6_T7_T9_mT8_P12ihipStream_tbDpT10_ENKUlT_T0_E_clISt17integral_constantIbLb0EES1E_EEDaS19_S1A_EUlS19_E_NS1_11comp_targetILNS1_3genE3ELNS1_11target_archE908ELNS1_3gpuE7ELNS1_3repE0EEENS1_30default_config_static_selectorELNS0_4arch9wavefront6targetE0EEEvT1_
    .private_segment_fixed_size: 0
    .sgpr_count:     0
    .sgpr_spill_count: 0
    .symbol:         _ZN7rocprim17ROCPRIM_400000_NS6detail17trampoline_kernelINS0_14default_configENS1_25partition_config_selectorILNS1_17partition_subalgoE8ElNS0_10empty_typeEbEEZZNS1_14partition_implILS5_8ELb0ES3_jPlPS6_PKS6_NS0_5tupleIJS9_S6_EEENSD_IJSA_SA_EEENS0_18inequality_wrapperIZN2at6native12_GLOBAL__N_124unique_dim_cuda_templateIN3c104HalfEEESt5tupleIJNSH_6TensorESO_SO_EERKSO_lbbbEUlllE0_EEPmJS6_EEE10hipError_tPvRmT3_T4_T5_T6_T7_T9_mT8_P12ihipStream_tbDpT10_ENKUlT_T0_E_clISt17integral_constantIbLb0EES1E_EEDaS19_S1A_EUlS19_E_NS1_11comp_targetILNS1_3genE3ELNS1_11target_archE908ELNS1_3gpuE7ELNS1_3repE0EEENS1_30default_config_static_selectorELNS0_4arch9wavefront6targetE0EEEvT1_.kd
    .uniform_work_group_size: 1
    .uses_dynamic_stack: false
    .vgpr_count:     0
    .vgpr_spill_count: 0
    .wavefront_size: 32
    .workgroup_processor_mode: 1
  - .args:
      - .offset:         0
        .size:           120
        .value_kind:     by_value
    .group_segment_fixed_size: 0
    .kernarg_segment_align: 8
    .kernarg_segment_size: 120
    .language:       OpenCL C
    .language_version:
      - 2
      - 0
    .max_flat_workgroup_size: 256
    .name:           _ZN7rocprim17ROCPRIM_400000_NS6detail17trampoline_kernelINS0_14default_configENS1_25partition_config_selectorILNS1_17partition_subalgoE8ElNS0_10empty_typeEbEEZZNS1_14partition_implILS5_8ELb0ES3_jPlPS6_PKS6_NS0_5tupleIJS9_S6_EEENSD_IJSA_SA_EEENS0_18inequality_wrapperIZN2at6native12_GLOBAL__N_124unique_dim_cuda_templateIN3c104HalfEEESt5tupleIJNSH_6TensorESO_SO_EERKSO_lbbbEUlllE0_EEPmJS6_EEE10hipError_tPvRmT3_T4_T5_T6_T7_T9_mT8_P12ihipStream_tbDpT10_ENKUlT_T0_E_clISt17integral_constantIbLb0EES1E_EEDaS19_S1A_EUlS19_E_NS1_11comp_targetILNS1_3genE2ELNS1_11target_archE906ELNS1_3gpuE6ELNS1_3repE0EEENS1_30default_config_static_selectorELNS0_4arch9wavefront6targetE0EEEvT1_
    .private_segment_fixed_size: 0
    .sgpr_count:     0
    .sgpr_spill_count: 0
    .symbol:         _ZN7rocprim17ROCPRIM_400000_NS6detail17trampoline_kernelINS0_14default_configENS1_25partition_config_selectorILNS1_17partition_subalgoE8ElNS0_10empty_typeEbEEZZNS1_14partition_implILS5_8ELb0ES3_jPlPS6_PKS6_NS0_5tupleIJS9_S6_EEENSD_IJSA_SA_EEENS0_18inequality_wrapperIZN2at6native12_GLOBAL__N_124unique_dim_cuda_templateIN3c104HalfEEESt5tupleIJNSH_6TensorESO_SO_EERKSO_lbbbEUlllE0_EEPmJS6_EEE10hipError_tPvRmT3_T4_T5_T6_T7_T9_mT8_P12ihipStream_tbDpT10_ENKUlT_T0_E_clISt17integral_constantIbLb0EES1E_EEDaS19_S1A_EUlS19_E_NS1_11comp_targetILNS1_3genE2ELNS1_11target_archE906ELNS1_3gpuE6ELNS1_3repE0EEENS1_30default_config_static_selectorELNS0_4arch9wavefront6targetE0EEEvT1_.kd
    .uniform_work_group_size: 1
    .uses_dynamic_stack: false
    .vgpr_count:     0
    .vgpr_spill_count: 0
    .wavefront_size: 32
    .workgroup_processor_mode: 1
  - .args:
      - .offset:         0
        .size:           120
        .value_kind:     by_value
    .group_segment_fixed_size: 0
    .kernarg_segment_align: 8
    .kernarg_segment_size: 120
    .language:       OpenCL C
    .language_version:
      - 2
      - 0
    .max_flat_workgroup_size: 384
    .name:           _ZN7rocprim17ROCPRIM_400000_NS6detail17trampoline_kernelINS0_14default_configENS1_25partition_config_selectorILNS1_17partition_subalgoE8ElNS0_10empty_typeEbEEZZNS1_14partition_implILS5_8ELb0ES3_jPlPS6_PKS6_NS0_5tupleIJS9_S6_EEENSD_IJSA_SA_EEENS0_18inequality_wrapperIZN2at6native12_GLOBAL__N_124unique_dim_cuda_templateIN3c104HalfEEESt5tupleIJNSH_6TensorESO_SO_EERKSO_lbbbEUlllE0_EEPmJS6_EEE10hipError_tPvRmT3_T4_T5_T6_T7_T9_mT8_P12ihipStream_tbDpT10_ENKUlT_T0_E_clISt17integral_constantIbLb0EES1E_EEDaS19_S1A_EUlS19_E_NS1_11comp_targetILNS1_3genE10ELNS1_11target_archE1200ELNS1_3gpuE4ELNS1_3repE0EEENS1_30default_config_static_selectorELNS0_4arch9wavefront6targetE0EEEvT1_
    .private_segment_fixed_size: 0
    .sgpr_count:     0
    .sgpr_spill_count: 0
    .symbol:         _ZN7rocprim17ROCPRIM_400000_NS6detail17trampoline_kernelINS0_14default_configENS1_25partition_config_selectorILNS1_17partition_subalgoE8ElNS0_10empty_typeEbEEZZNS1_14partition_implILS5_8ELb0ES3_jPlPS6_PKS6_NS0_5tupleIJS9_S6_EEENSD_IJSA_SA_EEENS0_18inequality_wrapperIZN2at6native12_GLOBAL__N_124unique_dim_cuda_templateIN3c104HalfEEESt5tupleIJNSH_6TensorESO_SO_EERKSO_lbbbEUlllE0_EEPmJS6_EEE10hipError_tPvRmT3_T4_T5_T6_T7_T9_mT8_P12ihipStream_tbDpT10_ENKUlT_T0_E_clISt17integral_constantIbLb0EES1E_EEDaS19_S1A_EUlS19_E_NS1_11comp_targetILNS1_3genE10ELNS1_11target_archE1200ELNS1_3gpuE4ELNS1_3repE0EEENS1_30default_config_static_selectorELNS0_4arch9wavefront6targetE0EEEvT1_.kd
    .uniform_work_group_size: 1
    .uses_dynamic_stack: false
    .vgpr_count:     0
    .vgpr_spill_count: 0
    .wavefront_size: 32
    .workgroup_processor_mode: 1
  - .args:
      - .offset:         0
        .size:           120
        .value_kind:     by_value
    .group_segment_fixed_size: 33804
    .kernarg_segment_align: 8
    .kernarg_segment_size: 120
    .language:       OpenCL C
    .language_version:
      - 2
      - 0
    .max_flat_workgroup_size: 512
    .name:           _ZN7rocprim17ROCPRIM_400000_NS6detail17trampoline_kernelINS0_14default_configENS1_25partition_config_selectorILNS1_17partition_subalgoE8ElNS0_10empty_typeEbEEZZNS1_14partition_implILS5_8ELb0ES3_jPlPS6_PKS6_NS0_5tupleIJS9_S6_EEENSD_IJSA_SA_EEENS0_18inequality_wrapperIZN2at6native12_GLOBAL__N_124unique_dim_cuda_templateIN3c104HalfEEESt5tupleIJNSH_6TensorESO_SO_EERKSO_lbbbEUlllE0_EEPmJS6_EEE10hipError_tPvRmT3_T4_T5_T6_T7_T9_mT8_P12ihipStream_tbDpT10_ENKUlT_T0_E_clISt17integral_constantIbLb0EES1E_EEDaS19_S1A_EUlS19_E_NS1_11comp_targetILNS1_3genE9ELNS1_11target_archE1100ELNS1_3gpuE3ELNS1_3repE0EEENS1_30default_config_static_selectorELNS0_4arch9wavefront6targetE0EEEvT1_
    .private_segment_fixed_size: 0
    .sgpr_count:     38
    .sgpr_spill_count: 0
    .symbol:         _ZN7rocprim17ROCPRIM_400000_NS6detail17trampoline_kernelINS0_14default_configENS1_25partition_config_selectorILNS1_17partition_subalgoE8ElNS0_10empty_typeEbEEZZNS1_14partition_implILS5_8ELb0ES3_jPlPS6_PKS6_NS0_5tupleIJS9_S6_EEENSD_IJSA_SA_EEENS0_18inequality_wrapperIZN2at6native12_GLOBAL__N_124unique_dim_cuda_templateIN3c104HalfEEESt5tupleIJNSH_6TensorESO_SO_EERKSO_lbbbEUlllE0_EEPmJS6_EEE10hipError_tPvRmT3_T4_T5_T6_T7_T9_mT8_P12ihipStream_tbDpT10_ENKUlT_T0_E_clISt17integral_constantIbLb0EES1E_EEDaS19_S1A_EUlS19_E_NS1_11comp_targetILNS1_3genE9ELNS1_11target_archE1100ELNS1_3gpuE3ELNS1_3repE0EEENS1_30default_config_static_selectorELNS0_4arch9wavefront6targetE0EEEvT1_.kd
    .uniform_work_group_size: 1
    .uses_dynamic_stack: false
    .vgpr_count:     52
    .vgpr_spill_count: 0
    .wavefront_size: 32
    .workgroup_processor_mode: 1
  - .args:
      - .offset:         0
        .size:           120
        .value_kind:     by_value
    .group_segment_fixed_size: 0
    .kernarg_segment_align: 8
    .kernarg_segment_size: 120
    .language:       OpenCL C
    .language_version:
      - 2
      - 0
    .max_flat_workgroup_size: 512
    .name:           _ZN7rocprim17ROCPRIM_400000_NS6detail17trampoline_kernelINS0_14default_configENS1_25partition_config_selectorILNS1_17partition_subalgoE8ElNS0_10empty_typeEbEEZZNS1_14partition_implILS5_8ELb0ES3_jPlPS6_PKS6_NS0_5tupleIJS9_S6_EEENSD_IJSA_SA_EEENS0_18inequality_wrapperIZN2at6native12_GLOBAL__N_124unique_dim_cuda_templateIN3c104HalfEEESt5tupleIJNSH_6TensorESO_SO_EERKSO_lbbbEUlllE0_EEPmJS6_EEE10hipError_tPvRmT3_T4_T5_T6_T7_T9_mT8_P12ihipStream_tbDpT10_ENKUlT_T0_E_clISt17integral_constantIbLb0EES1E_EEDaS19_S1A_EUlS19_E_NS1_11comp_targetILNS1_3genE8ELNS1_11target_archE1030ELNS1_3gpuE2ELNS1_3repE0EEENS1_30default_config_static_selectorELNS0_4arch9wavefront6targetE0EEEvT1_
    .private_segment_fixed_size: 0
    .sgpr_count:     0
    .sgpr_spill_count: 0
    .symbol:         _ZN7rocprim17ROCPRIM_400000_NS6detail17trampoline_kernelINS0_14default_configENS1_25partition_config_selectorILNS1_17partition_subalgoE8ElNS0_10empty_typeEbEEZZNS1_14partition_implILS5_8ELb0ES3_jPlPS6_PKS6_NS0_5tupleIJS9_S6_EEENSD_IJSA_SA_EEENS0_18inequality_wrapperIZN2at6native12_GLOBAL__N_124unique_dim_cuda_templateIN3c104HalfEEESt5tupleIJNSH_6TensorESO_SO_EERKSO_lbbbEUlllE0_EEPmJS6_EEE10hipError_tPvRmT3_T4_T5_T6_T7_T9_mT8_P12ihipStream_tbDpT10_ENKUlT_T0_E_clISt17integral_constantIbLb0EES1E_EEDaS19_S1A_EUlS19_E_NS1_11comp_targetILNS1_3genE8ELNS1_11target_archE1030ELNS1_3gpuE2ELNS1_3repE0EEENS1_30default_config_static_selectorELNS0_4arch9wavefront6targetE0EEEvT1_.kd
    .uniform_work_group_size: 1
    .uses_dynamic_stack: false
    .vgpr_count:     0
    .vgpr_spill_count: 0
    .wavefront_size: 32
    .workgroup_processor_mode: 1
  - .args:
      - .offset:         0
        .size:           136
        .value_kind:     by_value
    .group_segment_fixed_size: 0
    .kernarg_segment_align: 8
    .kernarg_segment_size: 136
    .language:       OpenCL C
    .language_version:
      - 2
      - 0
    .max_flat_workgroup_size: 512
    .name:           _ZN7rocprim17ROCPRIM_400000_NS6detail17trampoline_kernelINS0_14default_configENS1_25partition_config_selectorILNS1_17partition_subalgoE8ElNS0_10empty_typeEbEEZZNS1_14partition_implILS5_8ELb0ES3_jPlPS6_PKS6_NS0_5tupleIJS9_S6_EEENSD_IJSA_SA_EEENS0_18inequality_wrapperIZN2at6native12_GLOBAL__N_124unique_dim_cuda_templateIN3c104HalfEEESt5tupleIJNSH_6TensorESO_SO_EERKSO_lbbbEUlllE0_EEPmJS6_EEE10hipError_tPvRmT3_T4_T5_T6_T7_T9_mT8_P12ihipStream_tbDpT10_ENKUlT_T0_E_clISt17integral_constantIbLb1EES1E_EEDaS19_S1A_EUlS19_E_NS1_11comp_targetILNS1_3genE0ELNS1_11target_archE4294967295ELNS1_3gpuE0ELNS1_3repE0EEENS1_30default_config_static_selectorELNS0_4arch9wavefront6targetE0EEEvT1_
    .private_segment_fixed_size: 0
    .sgpr_count:     0
    .sgpr_spill_count: 0
    .symbol:         _ZN7rocprim17ROCPRIM_400000_NS6detail17trampoline_kernelINS0_14default_configENS1_25partition_config_selectorILNS1_17partition_subalgoE8ElNS0_10empty_typeEbEEZZNS1_14partition_implILS5_8ELb0ES3_jPlPS6_PKS6_NS0_5tupleIJS9_S6_EEENSD_IJSA_SA_EEENS0_18inequality_wrapperIZN2at6native12_GLOBAL__N_124unique_dim_cuda_templateIN3c104HalfEEESt5tupleIJNSH_6TensorESO_SO_EERKSO_lbbbEUlllE0_EEPmJS6_EEE10hipError_tPvRmT3_T4_T5_T6_T7_T9_mT8_P12ihipStream_tbDpT10_ENKUlT_T0_E_clISt17integral_constantIbLb1EES1E_EEDaS19_S1A_EUlS19_E_NS1_11comp_targetILNS1_3genE0ELNS1_11target_archE4294967295ELNS1_3gpuE0ELNS1_3repE0EEENS1_30default_config_static_selectorELNS0_4arch9wavefront6targetE0EEEvT1_.kd
    .uniform_work_group_size: 1
    .uses_dynamic_stack: false
    .vgpr_count:     0
    .vgpr_spill_count: 0
    .wavefront_size: 32
    .workgroup_processor_mode: 1
  - .args:
      - .offset:         0
        .size:           136
        .value_kind:     by_value
    .group_segment_fixed_size: 0
    .kernarg_segment_align: 8
    .kernarg_segment_size: 136
    .language:       OpenCL C
    .language_version:
      - 2
      - 0
    .max_flat_workgroup_size: 512
    .name:           _ZN7rocprim17ROCPRIM_400000_NS6detail17trampoline_kernelINS0_14default_configENS1_25partition_config_selectorILNS1_17partition_subalgoE8ElNS0_10empty_typeEbEEZZNS1_14partition_implILS5_8ELb0ES3_jPlPS6_PKS6_NS0_5tupleIJS9_S6_EEENSD_IJSA_SA_EEENS0_18inequality_wrapperIZN2at6native12_GLOBAL__N_124unique_dim_cuda_templateIN3c104HalfEEESt5tupleIJNSH_6TensorESO_SO_EERKSO_lbbbEUlllE0_EEPmJS6_EEE10hipError_tPvRmT3_T4_T5_T6_T7_T9_mT8_P12ihipStream_tbDpT10_ENKUlT_T0_E_clISt17integral_constantIbLb1EES1E_EEDaS19_S1A_EUlS19_E_NS1_11comp_targetILNS1_3genE5ELNS1_11target_archE942ELNS1_3gpuE9ELNS1_3repE0EEENS1_30default_config_static_selectorELNS0_4arch9wavefront6targetE0EEEvT1_
    .private_segment_fixed_size: 0
    .sgpr_count:     0
    .sgpr_spill_count: 0
    .symbol:         _ZN7rocprim17ROCPRIM_400000_NS6detail17trampoline_kernelINS0_14default_configENS1_25partition_config_selectorILNS1_17partition_subalgoE8ElNS0_10empty_typeEbEEZZNS1_14partition_implILS5_8ELb0ES3_jPlPS6_PKS6_NS0_5tupleIJS9_S6_EEENSD_IJSA_SA_EEENS0_18inequality_wrapperIZN2at6native12_GLOBAL__N_124unique_dim_cuda_templateIN3c104HalfEEESt5tupleIJNSH_6TensorESO_SO_EERKSO_lbbbEUlllE0_EEPmJS6_EEE10hipError_tPvRmT3_T4_T5_T6_T7_T9_mT8_P12ihipStream_tbDpT10_ENKUlT_T0_E_clISt17integral_constantIbLb1EES1E_EEDaS19_S1A_EUlS19_E_NS1_11comp_targetILNS1_3genE5ELNS1_11target_archE942ELNS1_3gpuE9ELNS1_3repE0EEENS1_30default_config_static_selectorELNS0_4arch9wavefront6targetE0EEEvT1_.kd
    .uniform_work_group_size: 1
    .uses_dynamic_stack: false
    .vgpr_count:     0
    .vgpr_spill_count: 0
    .wavefront_size: 32
    .workgroup_processor_mode: 1
  - .args:
      - .offset:         0
        .size:           136
        .value_kind:     by_value
    .group_segment_fixed_size: 0
    .kernarg_segment_align: 8
    .kernarg_segment_size: 136
    .language:       OpenCL C
    .language_version:
      - 2
      - 0
    .max_flat_workgroup_size: 256
    .name:           _ZN7rocprim17ROCPRIM_400000_NS6detail17trampoline_kernelINS0_14default_configENS1_25partition_config_selectorILNS1_17partition_subalgoE8ElNS0_10empty_typeEbEEZZNS1_14partition_implILS5_8ELb0ES3_jPlPS6_PKS6_NS0_5tupleIJS9_S6_EEENSD_IJSA_SA_EEENS0_18inequality_wrapperIZN2at6native12_GLOBAL__N_124unique_dim_cuda_templateIN3c104HalfEEESt5tupleIJNSH_6TensorESO_SO_EERKSO_lbbbEUlllE0_EEPmJS6_EEE10hipError_tPvRmT3_T4_T5_T6_T7_T9_mT8_P12ihipStream_tbDpT10_ENKUlT_T0_E_clISt17integral_constantIbLb1EES1E_EEDaS19_S1A_EUlS19_E_NS1_11comp_targetILNS1_3genE4ELNS1_11target_archE910ELNS1_3gpuE8ELNS1_3repE0EEENS1_30default_config_static_selectorELNS0_4arch9wavefront6targetE0EEEvT1_
    .private_segment_fixed_size: 0
    .sgpr_count:     0
    .sgpr_spill_count: 0
    .symbol:         _ZN7rocprim17ROCPRIM_400000_NS6detail17trampoline_kernelINS0_14default_configENS1_25partition_config_selectorILNS1_17partition_subalgoE8ElNS0_10empty_typeEbEEZZNS1_14partition_implILS5_8ELb0ES3_jPlPS6_PKS6_NS0_5tupleIJS9_S6_EEENSD_IJSA_SA_EEENS0_18inequality_wrapperIZN2at6native12_GLOBAL__N_124unique_dim_cuda_templateIN3c104HalfEEESt5tupleIJNSH_6TensorESO_SO_EERKSO_lbbbEUlllE0_EEPmJS6_EEE10hipError_tPvRmT3_T4_T5_T6_T7_T9_mT8_P12ihipStream_tbDpT10_ENKUlT_T0_E_clISt17integral_constantIbLb1EES1E_EEDaS19_S1A_EUlS19_E_NS1_11comp_targetILNS1_3genE4ELNS1_11target_archE910ELNS1_3gpuE8ELNS1_3repE0EEENS1_30default_config_static_selectorELNS0_4arch9wavefront6targetE0EEEvT1_.kd
    .uniform_work_group_size: 1
    .uses_dynamic_stack: false
    .vgpr_count:     0
    .vgpr_spill_count: 0
    .wavefront_size: 32
    .workgroup_processor_mode: 1
  - .args:
      - .offset:         0
        .size:           136
        .value_kind:     by_value
    .group_segment_fixed_size: 0
    .kernarg_segment_align: 8
    .kernarg_segment_size: 136
    .language:       OpenCL C
    .language_version:
      - 2
      - 0
    .max_flat_workgroup_size: 512
    .name:           _ZN7rocprim17ROCPRIM_400000_NS6detail17trampoline_kernelINS0_14default_configENS1_25partition_config_selectorILNS1_17partition_subalgoE8ElNS0_10empty_typeEbEEZZNS1_14partition_implILS5_8ELb0ES3_jPlPS6_PKS6_NS0_5tupleIJS9_S6_EEENSD_IJSA_SA_EEENS0_18inequality_wrapperIZN2at6native12_GLOBAL__N_124unique_dim_cuda_templateIN3c104HalfEEESt5tupleIJNSH_6TensorESO_SO_EERKSO_lbbbEUlllE0_EEPmJS6_EEE10hipError_tPvRmT3_T4_T5_T6_T7_T9_mT8_P12ihipStream_tbDpT10_ENKUlT_T0_E_clISt17integral_constantIbLb1EES1E_EEDaS19_S1A_EUlS19_E_NS1_11comp_targetILNS1_3genE3ELNS1_11target_archE908ELNS1_3gpuE7ELNS1_3repE0EEENS1_30default_config_static_selectorELNS0_4arch9wavefront6targetE0EEEvT1_
    .private_segment_fixed_size: 0
    .sgpr_count:     0
    .sgpr_spill_count: 0
    .symbol:         _ZN7rocprim17ROCPRIM_400000_NS6detail17trampoline_kernelINS0_14default_configENS1_25partition_config_selectorILNS1_17partition_subalgoE8ElNS0_10empty_typeEbEEZZNS1_14partition_implILS5_8ELb0ES3_jPlPS6_PKS6_NS0_5tupleIJS9_S6_EEENSD_IJSA_SA_EEENS0_18inequality_wrapperIZN2at6native12_GLOBAL__N_124unique_dim_cuda_templateIN3c104HalfEEESt5tupleIJNSH_6TensorESO_SO_EERKSO_lbbbEUlllE0_EEPmJS6_EEE10hipError_tPvRmT3_T4_T5_T6_T7_T9_mT8_P12ihipStream_tbDpT10_ENKUlT_T0_E_clISt17integral_constantIbLb1EES1E_EEDaS19_S1A_EUlS19_E_NS1_11comp_targetILNS1_3genE3ELNS1_11target_archE908ELNS1_3gpuE7ELNS1_3repE0EEENS1_30default_config_static_selectorELNS0_4arch9wavefront6targetE0EEEvT1_.kd
    .uniform_work_group_size: 1
    .uses_dynamic_stack: false
    .vgpr_count:     0
    .vgpr_spill_count: 0
    .wavefront_size: 32
    .workgroup_processor_mode: 1
  - .args:
      - .offset:         0
        .size:           136
        .value_kind:     by_value
    .group_segment_fixed_size: 0
    .kernarg_segment_align: 8
    .kernarg_segment_size: 136
    .language:       OpenCL C
    .language_version:
      - 2
      - 0
    .max_flat_workgroup_size: 256
    .name:           _ZN7rocprim17ROCPRIM_400000_NS6detail17trampoline_kernelINS0_14default_configENS1_25partition_config_selectorILNS1_17partition_subalgoE8ElNS0_10empty_typeEbEEZZNS1_14partition_implILS5_8ELb0ES3_jPlPS6_PKS6_NS0_5tupleIJS9_S6_EEENSD_IJSA_SA_EEENS0_18inequality_wrapperIZN2at6native12_GLOBAL__N_124unique_dim_cuda_templateIN3c104HalfEEESt5tupleIJNSH_6TensorESO_SO_EERKSO_lbbbEUlllE0_EEPmJS6_EEE10hipError_tPvRmT3_T4_T5_T6_T7_T9_mT8_P12ihipStream_tbDpT10_ENKUlT_T0_E_clISt17integral_constantIbLb1EES1E_EEDaS19_S1A_EUlS19_E_NS1_11comp_targetILNS1_3genE2ELNS1_11target_archE906ELNS1_3gpuE6ELNS1_3repE0EEENS1_30default_config_static_selectorELNS0_4arch9wavefront6targetE0EEEvT1_
    .private_segment_fixed_size: 0
    .sgpr_count:     0
    .sgpr_spill_count: 0
    .symbol:         _ZN7rocprim17ROCPRIM_400000_NS6detail17trampoline_kernelINS0_14default_configENS1_25partition_config_selectorILNS1_17partition_subalgoE8ElNS0_10empty_typeEbEEZZNS1_14partition_implILS5_8ELb0ES3_jPlPS6_PKS6_NS0_5tupleIJS9_S6_EEENSD_IJSA_SA_EEENS0_18inequality_wrapperIZN2at6native12_GLOBAL__N_124unique_dim_cuda_templateIN3c104HalfEEESt5tupleIJNSH_6TensorESO_SO_EERKSO_lbbbEUlllE0_EEPmJS6_EEE10hipError_tPvRmT3_T4_T5_T6_T7_T9_mT8_P12ihipStream_tbDpT10_ENKUlT_T0_E_clISt17integral_constantIbLb1EES1E_EEDaS19_S1A_EUlS19_E_NS1_11comp_targetILNS1_3genE2ELNS1_11target_archE906ELNS1_3gpuE6ELNS1_3repE0EEENS1_30default_config_static_selectorELNS0_4arch9wavefront6targetE0EEEvT1_.kd
    .uniform_work_group_size: 1
    .uses_dynamic_stack: false
    .vgpr_count:     0
    .vgpr_spill_count: 0
    .wavefront_size: 32
    .workgroup_processor_mode: 1
  - .args:
      - .offset:         0
        .size:           136
        .value_kind:     by_value
    .group_segment_fixed_size: 0
    .kernarg_segment_align: 8
    .kernarg_segment_size: 136
    .language:       OpenCL C
    .language_version:
      - 2
      - 0
    .max_flat_workgroup_size: 384
    .name:           _ZN7rocprim17ROCPRIM_400000_NS6detail17trampoline_kernelINS0_14default_configENS1_25partition_config_selectorILNS1_17partition_subalgoE8ElNS0_10empty_typeEbEEZZNS1_14partition_implILS5_8ELb0ES3_jPlPS6_PKS6_NS0_5tupleIJS9_S6_EEENSD_IJSA_SA_EEENS0_18inequality_wrapperIZN2at6native12_GLOBAL__N_124unique_dim_cuda_templateIN3c104HalfEEESt5tupleIJNSH_6TensorESO_SO_EERKSO_lbbbEUlllE0_EEPmJS6_EEE10hipError_tPvRmT3_T4_T5_T6_T7_T9_mT8_P12ihipStream_tbDpT10_ENKUlT_T0_E_clISt17integral_constantIbLb1EES1E_EEDaS19_S1A_EUlS19_E_NS1_11comp_targetILNS1_3genE10ELNS1_11target_archE1200ELNS1_3gpuE4ELNS1_3repE0EEENS1_30default_config_static_selectorELNS0_4arch9wavefront6targetE0EEEvT1_
    .private_segment_fixed_size: 0
    .sgpr_count:     0
    .sgpr_spill_count: 0
    .symbol:         _ZN7rocprim17ROCPRIM_400000_NS6detail17trampoline_kernelINS0_14default_configENS1_25partition_config_selectorILNS1_17partition_subalgoE8ElNS0_10empty_typeEbEEZZNS1_14partition_implILS5_8ELb0ES3_jPlPS6_PKS6_NS0_5tupleIJS9_S6_EEENSD_IJSA_SA_EEENS0_18inequality_wrapperIZN2at6native12_GLOBAL__N_124unique_dim_cuda_templateIN3c104HalfEEESt5tupleIJNSH_6TensorESO_SO_EERKSO_lbbbEUlllE0_EEPmJS6_EEE10hipError_tPvRmT3_T4_T5_T6_T7_T9_mT8_P12ihipStream_tbDpT10_ENKUlT_T0_E_clISt17integral_constantIbLb1EES1E_EEDaS19_S1A_EUlS19_E_NS1_11comp_targetILNS1_3genE10ELNS1_11target_archE1200ELNS1_3gpuE4ELNS1_3repE0EEENS1_30default_config_static_selectorELNS0_4arch9wavefront6targetE0EEEvT1_.kd
    .uniform_work_group_size: 1
    .uses_dynamic_stack: false
    .vgpr_count:     0
    .vgpr_spill_count: 0
    .wavefront_size: 32
    .workgroup_processor_mode: 1
  - .args:
      - .offset:         0
        .size:           136
        .value_kind:     by_value
    .group_segment_fixed_size: 33804
    .kernarg_segment_align: 8
    .kernarg_segment_size: 136
    .language:       OpenCL C
    .language_version:
      - 2
      - 0
    .max_flat_workgroup_size: 512
    .name:           _ZN7rocprim17ROCPRIM_400000_NS6detail17trampoline_kernelINS0_14default_configENS1_25partition_config_selectorILNS1_17partition_subalgoE8ElNS0_10empty_typeEbEEZZNS1_14partition_implILS5_8ELb0ES3_jPlPS6_PKS6_NS0_5tupleIJS9_S6_EEENSD_IJSA_SA_EEENS0_18inequality_wrapperIZN2at6native12_GLOBAL__N_124unique_dim_cuda_templateIN3c104HalfEEESt5tupleIJNSH_6TensorESO_SO_EERKSO_lbbbEUlllE0_EEPmJS6_EEE10hipError_tPvRmT3_T4_T5_T6_T7_T9_mT8_P12ihipStream_tbDpT10_ENKUlT_T0_E_clISt17integral_constantIbLb1EES1E_EEDaS19_S1A_EUlS19_E_NS1_11comp_targetILNS1_3genE9ELNS1_11target_archE1100ELNS1_3gpuE3ELNS1_3repE0EEENS1_30default_config_static_selectorELNS0_4arch9wavefront6targetE0EEEvT1_
    .private_segment_fixed_size: 0
    .sgpr_count:     40
    .sgpr_spill_count: 0
    .symbol:         _ZN7rocprim17ROCPRIM_400000_NS6detail17trampoline_kernelINS0_14default_configENS1_25partition_config_selectorILNS1_17partition_subalgoE8ElNS0_10empty_typeEbEEZZNS1_14partition_implILS5_8ELb0ES3_jPlPS6_PKS6_NS0_5tupleIJS9_S6_EEENSD_IJSA_SA_EEENS0_18inequality_wrapperIZN2at6native12_GLOBAL__N_124unique_dim_cuda_templateIN3c104HalfEEESt5tupleIJNSH_6TensorESO_SO_EERKSO_lbbbEUlllE0_EEPmJS6_EEE10hipError_tPvRmT3_T4_T5_T6_T7_T9_mT8_P12ihipStream_tbDpT10_ENKUlT_T0_E_clISt17integral_constantIbLb1EES1E_EEDaS19_S1A_EUlS19_E_NS1_11comp_targetILNS1_3genE9ELNS1_11target_archE1100ELNS1_3gpuE3ELNS1_3repE0EEENS1_30default_config_static_selectorELNS0_4arch9wavefront6targetE0EEEvT1_.kd
    .uniform_work_group_size: 1
    .uses_dynamic_stack: false
    .vgpr_count:     52
    .vgpr_spill_count: 0
    .wavefront_size: 32
    .workgroup_processor_mode: 1
  - .args:
      - .offset:         0
        .size:           136
        .value_kind:     by_value
    .group_segment_fixed_size: 0
    .kernarg_segment_align: 8
    .kernarg_segment_size: 136
    .language:       OpenCL C
    .language_version:
      - 2
      - 0
    .max_flat_workgroup_size: 512
    .name:           _ZN7rocprim17ROCPRIM_400000_NS6detail17trampoline_kernelINS0_14default_configENS1_25partition_config_selectorILNS1_17partition_subalgoE8ElNS0_10empty_typeEbEEZZNS1_14partition_implILS5_8ELb0ES3_jPlPS6_PKS6_NS0_5tupleIJS9_S6_EEENSD_IJSA_SA_EEENS0_18inequality_wrapperIZN2at6native12_GLOBAL__N_124unique_dim_cuda_templateIN3c104HalfEEESt5tupleIJNSH_6TensorESO_SO_EERKSO_lbbbEUlllE0_EEPmJS6_EEE10hipError_tPvRmT3_T4_T5_T6_T7_T9_mT8_P12ihipStream_tbDpT10_ENKUlT_T0_E_clISt17integral_constantIbLb1EES1E_EEDaS19_S1A_EUlS19_E_NS1_11comp_targetILNS1_3genE8ELNS1_11target_archE1030ELNS1_3gpuE2ELNS1_3repE0EEENS1_30default_config_static_selectorELNS0_4arch9wavefront6targetE0EEEvT1_
    .private_segment_fixed_size: 0
    .sgpr_count:     0
    .sgpr_spill_count: 0
    .symbol:         _ZN7rocprim17ROCPRIM_400000_NS6detail17trampoline_kernelINS0_14default_configENS1_25partition_config_selectorILNS1_17partition_subalgoE8ElNS0_10empty_typeEbEEZZNS1_14partition_implILS5_8ELb0ES3_jPlPS6_PKS6_NS0_5tupleIJS9_S6_EEENSD_IJSA_SA_EEENS0_18inequality_wrapperIZN2at6native12_GLOBAL__N_124unique_dim_cuda_templateIN3c104HalfEEESt5tupleIJNSH_6TensorESO_SO_EERKSO_lbbbEUlllE0_EEPmJS6_EEE10hipError_tPvRmT3_T4_T5_T6_T7_T9_mT8_P12ihipStream_tbDpT10_ENKUlT_T0_E_clISt17integral_constantIbLb1EES1E_EEDaS19_S1A_EUlS19_E_NS1_11comp_targetILNS1_3genE8ELNS1_11target_archE1030ELNS1_3gpuE2ELNS1_3repE0EEENS1_30default_config_static_selectorELNS0_4arch9wavefront6targetE0EEEvT1_.kd
    .uniform_work_group_size: 1
    .uses_dynamic_stack: false
    .vgpr_count:     0
    .vgpr_spill_count: 0
    .wavefront_size: 32
    .workgroup_processor_mode: 1
  - .args:
      - .offset:         0
        .size:           120
        .value_kind:     by_value
    .group_segment_fixed_size: 0
    .kernarg_segment_align: 8
    .kernarg_segment_size: 120
    .language:       OpenCL C
    .language_version:
      - 2
      - 0
    .max_flat_workgroup_size: 512
    .name:           _ZN7rocprim17ROCPRIM_400000_NS6detail17trampoline_kernelINS0_14default_configENS1_25partition_config_selectorILNS1_17partition_subalgoE8ElNS0_10empty_typeEbEEZZNS1_14partition_implILS5_8ELb0ES3_jPlPS6_PKS6_NS0_5tupleIJS9_S6_EEENSD_IJSA_SA_EEENS0_18inequality_wrapperIZN2at6native12_GLOBAL__N_124unique_dim_cuda_templateIN3c104HalfEEESt5tupleIJNSH_6TensorESO_SO_EERKSO_lbbbEUlllE0_EEPmJS6_EEE10hipError_tPvRmT3_T4_T5_T6_T7_T9_mT8_P12ihipStream_tbDpT10_ENKUlT_T0_E_clISt17integral_constantIbLb1EES1D_IbLb0EEEEDaS19_S1A_EUlS19_E_NS1_11comp_targetILNS1_3genE0ELNS1_11target_archE4294967295ELNS1_3gpuE0ELNS1_3repE0EEENS1_30default_config_static_selectorELNS0_4arch9wavefront6targetE0EEEvT1_
    .private_segment_fixed_size: 0
    .sgpr_count:     0
    .sgpr_spill_count: 0
    .symbol:         _ZN7rocprim17ROCPRIM_400000_NS6detail17trampoline_kernelINS0_14default_configENS1_25partition_config_selectorILNS1_17partition_subalgoE8ElNS0_10empty_typeEbEEZZNS1_14partition_implILS5_8ELb0ES3_jPlPS6_PKS6_NS0_5tupleIJS9_S6_EEENSD_IJSA_SA_EEENS0_18inequality_wrapperIZN2at6native12_GLOBAL__N_124unique_dim_cuda_templateIN3c104HalfEEESt5tupleIJNSH_6TensorESO_SO_EERKSO_lbbbEUlllE0_EEPmJS6_EEE10hipError_tPvRmT3_T4_T5_T6_T7_T9_mT8_P12ihipStream_tbDpT10_ENKUlT_T0_E_clISt17integral_constantIbLb1EES1D_IbLb0EEEEDaS19_S1A_EUlS19_E_NS1_11comp_targetILNS1_3genE0ELNS1_11target_archE4294967295ELNS1_3gpuE0ELNS1_3repE0EEENS1_30default_config_static_selectorELNS0_4arch9wavefront6targetE0EEEvT1_.kd
    .uniform_work_group_size: 1
    .uses_dynamic_stack: false
    .vgpr_count:     0
    .vgpr_spill_count: 0
    .wavefront_size: 32
    .workgroup_processor_mode: 1
  - .args:
      - .offset:         0
        .size:           120
        .value_kind:     by_value
    .group_segment_fixed_size: 0
    .kernarg_segment_align: 8
    .kernarg_segment_size: 120
    .language:       OpenCL C
    .language_version:
      - 2
      - 0
    .max_flat_workgroup_size: 512
    .name:           _ZN7rocprim17ROCPRIM_400000_NS6detail17trampoline_kernelINS0_14default_configENS1_25partition_config_selectorILNS1_17partition_subalgoE8ElNS0_10empty_typeEbEEZZNS1_14partition_implILS5_8ELb0ES3_jPlPS6_PKS6_NS0_5tupleIJS9_S6_EEENSD_IJSA_SA_EEENS0_18inequality_wrapperIZN2at6native12_GLOBAL__N_124unique_dim_cuda_templateIN3c104HalfEEESt5tupleIJNSH_6TensorESO_SO_EERKSO_lbbbEUlllE0_EEPmJS6_EEE10hipError_tPvRmT3_T4_T5_T6_T7_T9_mT8_P12ihipStream_tbDpT10_ENKUlT_T0_E_clISt17integral_constantIbLb1EES1D_IbLb0EEEEDaS19_S1A_EUlS19_E_NS1_11comp_targetILNS1_3genE5ELNS1_11target_archE942ELNS1_3gpuE9ELNS1_3repE0EEENS1_30default_config_static_selectorELNS0_4arch9wavefront6targetE0EEEvT1_
    .private_segment_fixed_size: 0
    .sgpr_count:     0
    .sgpr_spill_count: 0
    .symbol:         _ZN7rocprim17ROCPRIM_400000_NS6detail17trampoline_kernelINS0_14default_configENS1_25partition_config_selectorILNS1_17partition_subalgoE8ElNS0_10empty_typeEbEEZZNS1_14partition_implILS5_8ELb0ES3_jPlPS6_PKS6_NS0_5tupleIJS9_S6_EEENSD_IJSA_SA_EEENS0_18inequality_wrapperIZN2at6native12_GLOBAL__N_124unique_dim_cuda_templateIN3c104HalfEEESt5tupleIJNSH_6TensorESO_SO_EERKSO_lbbbEUlllE0_EEPmJS6_EEE10hipError_tPvRmT3_T4_T5_T6_T7_T9_mT8_P12ihipStream_tbDpT10_ENKUlT_T0_E_clISt17integral_constantIbLb1EES1D_IbLb0EEEEDaS19_S1A_EUlS19_E_NS1_11comp_targetILNS1_3genE5ELNS1_11target_archE942ELNS1_3gpuE9ELNS1_3repE0EEENS1_30default_config_static_selectorELNS0_4arch9wavefront6targetE0EEEvT1_.kd
    .uniform_work_group_size: 1
    .uses_dynamic_stack: false
    .vgpr_count:     0
    .vgpr_spill_count: 0
    .wavefront_size: 32
    .workgroup_processor_mode: 1
  - .args:
      - .offset:         0
        .size:           120
        .value_kind:     by_value
    .group_segment_fixed_size: 0
    .kernarg_segment_align: 8
    .kernarg_segment_size: 120
    .language:       OpenCL C
    .language_version:
      - 2
      - 0
    .max_flat_workgroup_size: 256
    .name:           _ZN7rocprim17ROCPRIM_400000_NS6detail17trampoline_kernelINS0_14default_configENS1_25partition_config_selectorILNS1_17partition_subalgoE8ElNS0_10empty_typeEbEEZZNS1_14partition_implILS5_8ELb0ES3_jPlPS6_PKS6_NS0_5tupleIJS9_S6_EEENSD_IJSA_SA_EEENS0_18inequality_wrapperIZN2at6native12_GLOBAL__N_124unique_dim_cuda_templateIN3c104HalfEEESt5tupleIJNSH_6TensorESO_SO_EERKSO_lbbbEUlllE0_EEPmJS6_EEE10hipError_tPvRmT3_T4_T5_T6_T7_T9_mT8_P12ihipStream_tbDpT10_ENKUlT_T0_E_clISt17integral_constantIbLb1EES1D_IbLb0EEEEDaS19_S1A_EUlS19_E_NS1_11comp_targetILNS1_3genE4ELNS1_11target_archE910ELNS1_3gpuE8ELNS1_3repE0EEENS1_30default_config_static_selectorELNS0_4arch9wavefront6targetE0EEEvT1_
    .private_segment_fixed_size: 0
    .sgpr_count:     0
    .sgpr_spill_count: 0
    .symbol:         _ZN7rocprim17ROCPRIM_400000_NS6detail17trampoline_kernelINS0_14default_configENS1_25partition_config_selectorILNS1_17partition_subalgoE8ElNS0_10empty_typeEbEEZZNS1_14partition_implILS5_8ELb0ES3_jPlPS6_PKS6_NS0_5tupleIJS9_S6_EEENSD_IJSA_SA_EEENS0_18inequality_wrapperIZN2at6native12_GLOBAL__N_124unique_dim_cuda_templateIN3c104HalfEEESt5tupleIJNSH_6TensorESO_SO_EERKSO_lbbbEUlllE0_EEPmJS6_EEE10hipError_tPvRmT3_T4_T5_T6_T7_T9_mT8_P12ihipStream_tbDpT10_ENKUlT_T0_E_clISt17integral_constantIbLb1EES1D_IbLb0EEEEDaS19_S1A_EUlS19_E_NS1_11comp_targetILNS1_3genE4ELNS1_11target_archE910ELNS1_3gpuE8ELNS1_3repE0EEENS1_30default_config_static_selectorELNS0_4arch9wavefront6targetE0EEEvT1_.kd
    .uniform_work_group_size: 1
    .uses_dynamic_stack: false
    .vgpr_count:     0
    .vgpr_spill_count: 0
    .wavefront_size: 32
    .workgroup_processor_mode: 1
  - .args:
      - .offset:         0
        .size:           120
        .value_kind:     by_value
    .group_segment_fixed_size: 0
    .kernarg_segment_align: 8
    .kernarg_segment_size: 120
    .language:       OpenCL C
    .language_version:
      - 2
      - 0
    .max_flat_workgroup_size: 512
    .name:           _ZN7rocprim17ROCPRIM_400000_NS6detail17trampoline_kernelINS0_14default_configENS1_25partition_config_selectorILNS1_17partition_subalgoE8ElNS0_10empty_typeEbEEZZNS1_14partition_implILS5_8ELb0ES3_jPlPS6_PKS6_NS0_5tupleIJS9_S6_EEENSD_IJSA_SA_EEENS0_18inequality_wrapperIZN2at6native12_GLOBAL__N_124unique_dim_cuda_templateIN3c104HalfEEESt5tupleIJNSH_6TensorESO_SO_EERKSO_lbbbEUlllE0_EEPmJS6_EEE10hipError_tPvRmT3_T4_T5_T6_T7_T9_mT8_P12ihipStream_tbDpT10_ENKUlT_T0_E_clISt17integral_constantIbLb1EES1D_IbLb0EEEEDaS19_S1A_EUlS19_E_NS1_11comp_targetILNS1_3genE3ELNS1_11target_archE908ELNS1_3gpuE7ELNS1_3repE0EEENS1_30default_config_static_selectorELNS0_4arch9wavefront6targetE0EEEvT1_
    .private_segment_fixed_size: 0
    .sgpr_count:     0
    .sgpr_spill_count: 0
    .symbol:         _ZN7rocprim17ROCPRIM_400000_NS6detail17trampoline_kernelINS0_14default_configENS1_25partition_config_selectorILNS1_17partition_subalgoE8ElNS0_10empty_typeEbEEZZNS1_14partition_implILS5_8ELb0ES3_jPlPS6_PKS6_NS0_5tupleIJS9_S6_EEENSD_IJSA_SA_EEENS0_18inequality_wrapperIZN2at6native12_GLOBAL__N_124unique_dim_cuda_templateIN3c104HalfEEESt5tupleIJNSH_6TensorESO_SO_EERKSO_lbbbEUlllE0_EEPmJS6_EEE10hipError_tPvRmT3_T4_T5_T6_T7_T9_mT8_P12ihipStream_tbDpT10_ENKUlT_T0_E_clISt17integral_constantIbLb1EES1D_IbLb0EEEEDaS19_S1A_EUlS19_E_NS1_11comp_targetILNS1_3genE3ELNS1_11target_archE908ELNS1_3gpuE7ELNS1_3repE0EEENS1_30default_config_static_selectorELNS0_4arch9wavefront6targetE0EEEvT1_.kd
    .uniform_work_group_size: 1
    .uses_dynamic_stack: false
    .vgpr_count:     0
    .vgpr_spill_count: 0
    .wavefront_size: 32
    .workgroup_processor_mode: 1
  - .args:
      - .offset:         0
        .size:           120
        .value_kind:     by_value
    .group_segment_fixed_size: 0
    .kernarg_segment_align: 8
    .kernarg_segment_size: 120
    .language:       OpenCL C
    .language_version:
      - 2
      - 0
    .max_flat_workgroup_size: 256
    .name:           _ZN7rocprim17ROCPRIM_400000_NS6detail17trampoline_kernelINS0_14default_configENS1_25partition_config_selectorILNS1_17partition_subalgoE8ElNS0_10empty_typeEbEEZZNS1_14partition_implILS5_8ELb0ES3_jPlPS6_PKS6_NS0_5tupleIJS9_S6_EEENSD_IJSA_SA_EEENS0_18inequality_wrapperIZN2at6native12_GLOBAL__N_124unique_dim_cuda_templateIN3c104HalfEEESt5tupleIJNSH_6TensorESO_SO_EERKSO_lbbbEUlllE0_EEPmJS6_EEE10hipError_tPvRmT3_T4_T5_T6_T7_T9_mT8_P12ihipStream_tbDpT10_ENKUlT_T0_E_clISt17integral_constantIbLb1EES1D_IbLb0EEEEDaS19_S1A_EUlS19_E_NS1_11comp_targetILNS1_3genE2ELNS1_11target_archE906ELNS1_3gpuE6ELNS1_3repE0EEENS1_30default_config_static_selectorELNS0_4arch9wavefront6targetE0EEEvT1_
    .private_segment_fixed_size: 0
    .sgpr_count:     0
    .sgpr_spill_count: 0
    .symbol:         _ZN7rocprim17ROCPRIM_400000_NS6detail17trampoline_kernelINS0_14default_configENS1_25partition_config_selectorILNS1_17partition_subalgoE8ElNS0_10empty_typeEbEEZZNS1_14partition_implILS5_8ELb0ES3_jPlPS6_PKS6_NS0_5tupleIJS9_S6_EEENSD_IJSA_SA_EEENS0_18inequality_wrapperIZN2at6native12_GLOBAL__N_124unique_dim_cuda_templateIN3c104HalfEEESt5tupleIJNSH_6TensorESO_SO_EERKSO_lbbbEUlllE0_EEPmJS6_EEE10hipError_tPvRmT3_T4_T5_T6_T7_T9_mT8_P12ihipStream_tbDpT10_ENKUlT_T0_E_clISt17integral_constantIbLb1EES1D_IbLb0EEEEDaS19_S1A_EUlS19_E_NS1_11comp_targetILNS1_3genE2ELNS1_11target_archE906ELNS1_3gpuE6ELNS1_3repE0EEENS1_30default_config_static_selectorELNS0_4arch9wavefront6targetE0EEEvT1_.kd
    .uniform_work_group_size: 1
    .uses_dynamic_stack: false
    .vgpr_count:     0
    .vgpr_spill_count: 0
    .wavefront_size: 32
    .workgroup_processor_mode: 1
  - .args:
      - .offset:         0
        .size:           120
        .value_kind:     by_value
    .group_segment_fixed_size: 0
    .kernarg_segment_align: 8
    .kernarg_segment_size: 120
    .language:       OpenCL C
    .language_version:
      - 2
      - 0
    .max_flat_workgroup_size: 384
    .name:           _ZN7rocprim17ROCPRIM_400000_NS6detail17trampoline_kernelINS0_14default_configENS1_25partition_config_selectorILNS1_17partition_subalgoE8ElNS0_10empty_typeEbEEZZNS1_14partition_implILS5_8ELb0ES3_jPlPS6_PKS6_NS0_5tupleIJS9_S6_EEENSD_IJSA_SA_EEENS0_18inequality_wrapperIZN2at6native12_GLOBAL__N_124unique_dim_cuda_templateIN3c104HalfEEESt5tupleIJNSH_6TensorESO_SO_EERKSO_lbbbEUlllE0_EEPmJS6_EEE10hipError_tPvRmT3_T4_T5_T6_T7_T9_mT8_P12ihipStream_tbDpT10_ENKUlT_T0_E_clISt17integral_constantIbLb1EES1D_IbLb0EEEEDaS19_S1A_EUlS19_E_NS1_11comp_targetILNS1_3genE10ELNS1_11target_archE1200ELNS1_3gpuE4ELNS1_3repE0EEENS1_30default_config_static_selectorELNS0_4arch9wavefront6targetE0EEEvT1_
    .private_segment_fixed_size: 0
    .sgpr_count:     0
    .sgpr_spill_count: 0
    .symbol:         _ZN7rocprim17ROCPRIM_400000_NS6detail17trampoline_kernelINS0_14default_configENS1_25partition_config_selectorILNS1_17partition_subalgoE8ElNS0_10empty_typeEbEEZZNS1_14partition_implILS5_8ELb0ES3_jPlPS6_PKS6_NS0_5tupleIJS9_S6_EEENSD_IJSA_SA_EEENS0_18inequality_wrapperIZN2at6native12_GLOBAL__N_124unique_dim_cuda_templateIN3c104HalfEEESt5tupleIJNSH_6TensorESO_SO_EERKSO_lbbbEUlllE0_EEPmJS6_EEE10hipError_tPvRmT3_T4_T5_T6_T7_T9_mT8_P12ihipStream_tbDpT10_ENKUlT_T0_E_clISt17integral_constantIbLb1EES1D_IbLb0EEEEDaS19_S1A_EUlS19_E_NS1_11comp_targetILNS1_3genE10ELNS1_11target_archE1200ELNS1_3gpuE4ELNS1_3repE0EEENS1_30default_config_static_selectorELNS0_4arch9wavefront6targetE0EEEvT1_.kd
    .uniform_work_group_size: 1
    .uses_dynamic_stack: false
    .vgpr_count:     0
    .vgpr_spill_count: 0
    .wavefront_size: 32
    .workgroup_processor_mode: 1
  - .args:
      - .offset:         0
        .size:           120
        .value_kind:     by_value
    .group_segment_fixed_size: 33804
    .kernarg_segment_align: 8
    .kernarg_segment_size: 120
    .language:       OpenCL C
    .language_version:
      - 2
      - 0
    .max_flat_workgroup_size: 512
    .name:           _ZN7rocprim17ROCPRIM_400000_NS6detail17trampoline_kernelINS0_14default_configENS1_25partition_config_selectorILNS1_17partition_subalgoE8ElNS0_10empty_typeEbEEZZNS1_14partition_implILS5_8ELb0ES3_jPlPS6_PKS6_NS0_5tupleIJS9_S6_EEENSD_IJSA_SA_EEENS0_18inequality_wrapperIZN2at6native12_GLOBAL__N_124unique_dim_cuda_templateIN3c104HalfEEESt5tupleIJNSH_6TensorESO_SO_EERKSO_lbbbEUlllE0_EEPmJS6_EEE10hipError_tPvRmT3_T4_T5_T6_T7_T9_mT8_P12ihipStream_tbDpT10_ENKUlT_T0_E_clISt17integral_constantIbLb1EES1D_IbLb0EEEEDaS19_S1A_EUlS19_E_NS1_11comp_targetILNS1_3genE9ELNS1_11target_archE1100ELNS1_3gpuE3ELNS1_3repE0EEENS1_30default_config_static_selectorELNS0_4arch9wavefront6targetE0EEEvT1_
    .private_segment_fixed_size: 0
    .sgpr_count:     38
    .sgpr_spill_count: 0
    .symbol:         _ZN7rocprim17ROCPRIM_400000_NS6detail17trampoline_kernelINS0_14default_configENS1_25partition_config_selectorILNS1_17partition_subalgoE8ElNS0_10empty_typeEbEEZZNS1_14partition_implILS5_8ELb0ES3_jPlPS6_PKS6_NS0_5tupleIJS9_S6_EEENSD_IJSA_SA_EEENS0_18inequality_wrapperIZN2at6native12_GLOBAL__N_124unique_dim_cuda_templateIN3c104HalfEEESt5tupleIJNSH_6TensorESO_SO_EERKSO_lbbbEUlllE0_EEPmJS6_EEE10hipError_tPvRmT3_T4_T5_T6_T7_T9_mT8_P12ihipStream_tbDpT10_ENKUlT_T0_E_clISt17integral_constantIbLb1EES1D_IbLb0EEEEDaS19_S1A_EUlS19_E_NS1_11comp_targetILNS1_3genE9ELNS1_11target_archE1100ELNS1_3gpuE3ELNS1_3repE0EEENS1_30default_config_static_selectorELNS0_4arch9wavefront6targetE0EEEvT1_.kd
    .uniform_work_group_size: 1
    .uses_dynamic_stack: false
    .vgpr_count:     52
    .vgpr_spill_count: 0
    .wavefront_size: 32
    .workgroup_processor_mode: 1
  - .args:
      - .offset:         0
        .size:           120
        .value_kind:     by_value
    .group_segment_fixed_size: 0
    .kernarg_segment_align: 8
    .kernarg_segment_size: 120
    .language:       OpenCL C
    .language_version:
      - 2
      - 0
    .max_flat_workgroup_size: 512
    .name:           _ZN7rocprim17ROCPRIM_400000_NS6detail17trampoline_kernelINS0_14default_configENS1_25partition_config_selectorILNS1_17partition_subalgoE8ElNS0_10empty_typeEbEEZZNS1_14partition_implILS5_8ELb0ES3_jPlPS6_PKS6_NS0_5tupleIJS9_S6_EEENSD_IJSA_SA_EEENS0_18inequality_wrapperIZN2at6native12_GLOBAL__N_124unique_dim_cuda_templateIN3c104HalfEEESt5tupleIJNSH_6TensorESO_SO_EERKSO_lbbbEUlllE0_EEPmJS6_EEE10hipError_tPvRmT3_T4_T5_T6_T7_T9_mT8_P12ihipStream_tbDpT10_ENKUlT_T0_E_clISt17integral_constantIbLb1EES1D_IbLb0EEEEDaS19_S1A_EUlS19_E_NS1_11comp_targetILNS1_3genE8ELNS1_11target_archE1030ELNS1_3gpuE2ELNS1_3repE0EEENS1_30default_config_static_selectorELNS0_4arch9wavefront6targetE0EEEvT1_
    .private_segment_fixed_size: 0
    .sgpr_count:     0
    .sgpr_spill_count: 0
    .symbol:         _ZN7rocprim17ROCPRIM_400000_NS6detail17trampoline_kernelINS0_14default_configENS1_25partition_config_selectorILNS1_17partition_subalgoE8ElNS0_10empty_typeEbEEZZNS1_14partition_implILS5_8ELb0ES3_jPlPS6_PKS6_NS0_5tupleIJS9_S6_EEENSD_IJSA_SA_EEENS0_18inequality_wrapperIZN2at6native12_GLOBAL__N_124unique_dim_cuda_templateIN3c104HalfEEESt5tupleIJNSH_6TensorESO_SO_EERKSO_lbbbEUlllE0_EEPmJS6_EEE10hipError_tPvRmT3_T4_T5_T6_T7_T9_mT8_P12ihipStream_tbDpT10_ENKUlT_T0_E_clISt17integral_constantIbLb1EES1D_IbLb0EEEEDaS19_S1A_EUlS19_E_NS1_11comp_targetILNS1_3genE8ELNS1_11target_archE1030ELNS1_3gpuE2ELNS1_3repE0EEENS1_30default_config_static_selectorELNS0_4arch9wavefront6targetE0EEEvT1_.kd
    .uniform_work_group_size: 1
    .uses_dynamic_stack: false
    .vgpr_count:     0
    .vgpr_spill_count: 0
    .wavefront_size: 32
    .workgroup_processor_mode: 1
  - .args:
      - .offset:         0
        .size:           136
        .value_kind:     by_value
    .group_segment_fixed_size: 0
    .kernarg_segment_align: 8
    .kernarg_segment_size: 136
    .language:       OpenCL C
    .language_version:
      - 2
      - 0
    .max_flat_workgroup_size: 512
    .name:           _ZN7rocprim17ROCPRIM_400000_NS6detail17trampoline_kernelINS0_14default_configENS1_25partition_config_selectorILNS1_17partition_subalgoE8ElNS0_10empty_typeEbEEZZNS1_14partition_implILS5_8ELb0ES3_jPlPS6_PKS6_NS0_5tupleIJS9_S6_EEENSD_IJSA_SA_EEENS0_18inequality_wrapperIZN2at6native12_GLOBAL__N_124unique_dim_cuda_templateIN3c104HalfEEESt5tupleIJNSH_6TensorESO_SO_EERKSO_lbbbEUlllE0_EEPmJS6_EEE10hipError_tPvRmT3_T4_T5_T6_T7_T9_mT8_P12ihipStream_tbDpT10_ENKUlT_T0_E_clISt17integral_constantIbLb0EES1D_IbLb1EEEEDaS19_S1A_EUlS19_E_NS1_11comp_targetILNS1_3genE0ELNS1_11target_archE4294967295ELNS1_3gpuE0ELNS1_3repE0EEENS1_30default_config_static_selectorELNS0_4arch9wavefront6targetE0EEEvT1_
    .private_segment_fixed_size: 0
    .sgpr_count:     0
    .sgpr_spill_count: 0
    .symbol:         _ZN7rocprim17ROCPRIM_400000_NS6detail17trampoline_kernelINS0_14default_configENS1_25partition_config_selectorILNS1_17partition_subalgoE8ElNS0_10empty_typeEbEEZZNS1_14partition_implILS5_8ELb0ES3_jPlPS6_PKS6_NS0_5tupleIJS9_S6_EEENSD_IJSA_SA_EEENS0_18inequality_wrapperIZN2at6native12_GLOBAL__N_124unique_dim_cuda_templateIN3c104HalfEEESt5tupleIJNSH_6TensorESO_SO_EERKSO_lbbbEUlllE0_EEPmJS6_EEE10hipError_tPvRmT3_T4_T5_T6_T7_T9_mT8_P12ihipStream_tbDpT10_ENKUlT_T0_E_clISt17integral_constantIbLb0EES1D_IbLb1EEEEDaS19_S1A_EUlS19_E_NS1_11comp_targetILNS1_3genE0ELNS1_11target_archE4294967295ELNS1_3gpuE0ELNS1_3repE0EEENS1_30default_config_static_selectorELNS0_4arch9wavefront6targetE0EEEvT1_.kd
    .uniform_work_group_size: 1
    .uses_dynamic_stack: false
    .vgpr_count:     0
    .vgpr_spill_count: 0
    .wavefront_size: 32
    .workgroup_processor_mode: 1
  - .args:
      - .offset:         0
        .size:           136
        .value_kind:     by_value
    .group_segment_fixed_size: 0
    .kernarg_segment_align: 8
    .kernarg_segment_size: 136
    .language:       OpenCL C
    .language_version:
      - 2
      - 0
    .max_flat_workgroup_size: 512
    .name:           _ZN7rocprim17ROCPRIM_400000_NS6detail17trampoline_kernelINS0_14default_configENS1_25partition_config_selectorILNS1_17partition_subalgoE8ElNS0_10empty_typeEbEEZZNS1_14partition_implILS5_8ELb0ES3_jPlPS6_PKS6_NS0_5tupleIJS9_S6_EEENSD_IJSA_SA_EEENS0_18inequality_wrapperIZN2at6native12_GLOBAL__N_124unique_dim_cuda_templateIN3c104HalfEEESt5tupleIJNSH_6TensorESO_SO_EERKSO_lbbbEUlllE0_EEPmJS6_EEE10hipError_tPvRmT3_T4_T5_T6_T7_T9_mT8_P12ihipStream_tbDpT10_ENKUlT_T0_E_clISt17integral_constantIbLb0EES1D_IbLb1EEEEDaS19_S1A_EUlS19_E_NS1_11comp_targetILNS1_3genE5ELNS1_11target_archE942ELNS1_3gpuE9ELNS1_3repE0EEENS1_30default_config_static_selectorELNS0_4arch9wavefront6targetE0EEEvT1_
    .private_segment_fixed_size: 0
    .sgpr_count:     0
    .sgpr_spill_count: 0
    .symbol:         _ZN7rocprim17ROCPRIM_400000_NS6detail17trampoline_kernelINS0_14default_configENS1_25partition_config_selectorILNS1_17partition_subalgoE8ElNS0_10empty_typeEbEEZZNS1_14partition_implILS5_8ELb0ES3_jPlPS6_PKS6_NS0_5tupleIJS9_S6_EEENSD_IJSA_SA_EEENS0_18inequality_wrapperIZN2at6native12_GLOBAL__N_124unique_dim_cuda_templateIN3c104HalfEEESt5tupleIJNSH_6TensorESO_SO_EERKSO_lbbbEUlllE0_EEPmJS6_EEE10hipError_tPvRmT3_T4_T5_T6_T7_T9_mT8_P12ihipStream_tbDpT10_ENKUlT_T0_E_clISt17integral_constantIbLb0EES1D_IbLb1EEEEDaS19_S1A_EUlS19_E_NS1_11comp_targetILNS1_3genE5ELNS1_11target_archE942ELNS1_3gpuE9ELNS1_3repE0EEENS1_30default_config_static_selectorELNS0_4arch9wavefront6targetE0EEEvT1_.kd
    .uniform_work_group_size: 1
    .uses_dynamic_stack: false
    .vgpr_count:     0
    .vgpr_spill_count: 0
    .wavefront_size: 32
    .workgroup_processor_mode: 1
  - .args:
      - .offset:         0
        .size:           136
        .value_kind:     by_value
    .group_segment_fixed_size: 0
    .kernarg_segment_align: 8
    .kernarg_segment_size: 136
    .language:       OpenCL C
    .language_version:
      - 2
      - 0
    .max_flat_workgroup_size: 256
    .name:           _ZN7rocprim17ROCPRIM_400000_NS6detail17trampoline_kernelINS0_14default_configENS1_25partition_config_selectorILNS1_17partition_subalgoE8ElNS0_10empty_typeEbEEZZNS1_14partition_implILS5_8ELb0ES3_jPlPS6_PKS6_NS0_5tupleIJS9_S6_EEENSD_IJSA_SA_EEENS0_18inequality_wrapperIZN2at6native12_GLOBAL__N_124unique_dim_cuda_templateIN3c104HalfEEESt5tupleIJNSH_6TensorESO_SO_EERKSO_lbbbEUlllE0_EEPmJS6_EEE10hipError_tPvRmT3_T4_T5_T6_T7_T9_mT8_P12ihipStream_tbDpT10_ENKUlT_T0_E_clISt17integral_constantIbLb0EES1D_IbLb1EEEEDaS19_S1A_EUlS19_E_NS1_11comp_targetILNS1_3genE4ELNS1_11target_archE910ELNS1_3gpuE8ELNS1_3repE0EEENS1_30default_config_static_selectorELNS0_4arch9wavefront6targetE0EEEvT1_
    .private_segment_fixed_size: 0
    .sgpr_count:     0
    .sgpr_spill_count: 0
    .symbol:         _ZN7rocprim17ROCPRIM_400000_NS6detail17trampoline_kernelINS0_14default_configENS1_25partition_config_selectorILNS1_17partition_subalgoE8ElNS0_10empty_typeEbEEZZNS1_14partition_implILS5_8ELb0ES3_jPlPS6_PKS6_NS0_5tupleIJS9_S6_EEENSD_IJSA_SA_EEENS0_18inequality_wrapperIZN2at6native12_GLOBAL__N_124unique_dim_cuda_templateIN3c104HalfEEESt5tupleIJNSH_6TensorESO_SO_EERKSO_lbbbEUlllE0_EEPmJS6_EEE10hipError_tPvRmT3_T4_T5_T6_T7_T9_mT8_P12ihipStream_tbDpT10_ENKUlT_T0_E_clISt17integral_constantIbLb0EES1D_IbLb1EEEEDaS19_S1A_EUlS19_E_NS1_11comp_targetILNS1_3genE4ELNS1_11target_archE910ELNS1_3gpuE8ELNS1_3repE0EEENS1_30default_config_static_selectorELNS0_4arch9wavefront6targetE0EEEvT1_.kd
    .uniform_work_group_size: 1
    .uses_dynamic_stack: false
    .vgpr_count:     0
    .vgpr_spill_count: 0
    .wavefront_size: 32
    .workgroup_processor_mode: 1
  - .args:
      - .offset:         0
        .size:           136
        .value_kind:     by_value
    .group_segment_fixed_size: 0
    .kernarg_segment_align: 8
    .kernarg_segment_size: 136
    .language:       OpenCL C
    .language_version:
      - 2
      - 0
    .max_flat_workgroup_size: 512
    .name:           _ZN7rocprim17ROCPRIM_400000_NS6detail17trampoline_kernelINS0_14default_configENS1_25partition_config_selectorILNS1_17partition_subalgoE8ElNS0_10empty_typeEbEEZZNS1_14partition_implILS5_8ELb0ES3_jPlPS6_PKS6_NS0_5tupleIJS9_S6_EEENSD_IJSA_SA_EEENS0_18inequality_wrapperIZN2at6native12_GLOBAL__N_124unique_dim_cuda_templateIN3c104HalfEEESt5tupleIJNSH_6TensorESO_SO_EERKSO_lbbbEUlllE0_EEPmJS6_EEE10hipError_tPvRmT3_T4_T5_T6_T7_T9_mT8_P12ihipStream_tbDpT10_ENKUlT_T0_E_clISt17integral_constantIbLb0EES1D_IbLb1EEEEDaS19_S1A_EUlS19_E_NS1_11comp_targetILNS1_3genE3ELNS1_11target_archE908ELNS1_3gpuE7ELNS1_3repE0EEENS1_30default_config_static_selectorELNS0_4arch9wavefront6targetE0EEEvT1_
    .private_segment_fixed_size: 0
    .sgpr_count:     0
    .sgpr_spill_count: 0
    .symbol:         _ZN7rocprim17ROCPRIM_400000_NS6detail17trampoline_kernelINS0_14default_configENS1_25partition_config_selectorILNS1_17partition_subalgoE8ElNS0_10empty_typeEbEEZZNS1_14partition_implILS5_8ELb0ES3_jPlPS6_PKS6_NS0_5tupleIJS9_S6_EEENSD_IJSA_SA_EEENS0_18inequality_wrapperIZN2at6native12_GLOBAL__N_124unique_dim_cuda_templateIN3c104HalfEEESt5tupleIJNSH_6TensorESO_SO_EERKSO_lbbbEUlllE0_EEPmJS6_EEE10hipError_tPvRmT3_T4_T5_T6_T7_T9_mT8_P12ihipStream_tbDpT10_ENKUlT_T0_E_clISt17integral_constantIbLb0EES1D_IbLb1EEEEDaS19_S1A_EUlS19_E_NS1_11comp_targetILNS1_3genE3ELNS1_11target_archE908ELNS1_3gpuE7ELNS1_3repE0EEENS1_30default_config_static_selectorELNS0_4arch9wavefront6targetE0EEEvT1_.kd
    .uniform_work_group_size: 1
    .uses_dynamic_stack: false
    .vgpr_count:     0
    .vgpr_spill_count: 0
    .wavefront_size: 32
    .workgroup_processor_mode: 1
  - .args:
      - .offset:         0
        .size:           136
        .value_kind:     by_value
    .group_segment_fixed_size: 0
    .kernarg_segment_align: 8
    .kernarg_segment_size: 136
    .language:       OpenCL C
    .language_version:
      - 2
      - 0
    .max_flat_workgroup_size: 256
    .name:           _ZN7rocprim17ROCPRIM_400000_NS6detail17trampoline_kernelINS0_14default_configENS1_25partition_config_selectorILNS1_17partition_subalgoE8ElNS0_10empty_typeEbEEZZNS1_14partition_implILS5_8ELb0ES3_jPlPS6_PKS6_NS0_5tupleIJS9_S6_EEENSD_IJSA_SA_EEENS0_18inequality_wrapperIZN2at6native12_GLOBAL__N_124unique_dim_cuda_templateIN3c104HalfEEESt5tupleIJNSH_6TensorESO_SO_EERKSO_lbbbEUlllE0_EEPmJS6_EEE10hipError_tPvRmT3_T4_T5_T6_T7_T9_mT8_P12ihipStream_tbDpT10_ENKUlT_T0_E_clISt17integral_constantIbLb0EES1D_IbLb1EEEEDaS19_S1A_EUlS19_E_NS1_11comp_targetILNS1_3genE2ELNS1_11target_archE906ELNS1_3gpuE6ELNS1_3repE0EEENS1_30default_config_static_selectorELNS0_4arch9wavefront6targetE0EEEvT1_
    .private_segment_fixed_size: 0
    .sgpr_count:     0
    .sgpr_spill_count: 0
    .symbol:         _ZN7rocprim17ROCPRIM_400000_NS6detail17trampoline_kernelINS0_14default_configENS1_25partition_config_selectorILNS1_17partition_subalgoE8ElNS0_10empty_typeEbEEZZNS1_14partition_implILS5_8ELb0ES3_jPlPS6_PKS6_NS0_5tupleIJS9_S6_EEENSD_IJSA_SA_EEENS0_18inequality_wrapperIZN2at6native12_GLOBAL__N_124unique_dim_cuda_templateIN3c104HalfEEESt5tupleIJNSH_6TensorESO_SO_EERKSO_lbbbEUlllE0_EEPmJS6_EEE10hipError_tPvRmT3_T4_T5_T6_T7_T9_mT8_P12ihipStream_tbDpT10_ENKUlT_T0_E_clISt17integral_constantIbLb0EES1D_IbLb1EEEEDaS19_S1A_EUlS19_E_NS1_11comp_targetILNS1_3genE2ELNS1_11target_archE906ELNS1_3gpuE6ELNS1_3repE0EEENS1_30default_config_static_selectorELNS0_4arch9wavefront6targetE0EEEvT1_.kd
    .uniform_work_group_size: 1
    .uses_dynamic_stack: false
    .vgpr_count:     0
    .vgpr_spill_count: 0
    .wavefront_size: 32
    .workgroup_processor_mode: 1
  - .args:
      - .offset:         0
        .size:           136
        .value_kind:     by_value
    .group_segment_fixed_size: 0
    .kernarg_segment_align: 8
    .kernarg_segment_size: 136
    .language:       OpenCL C
    .language_version:
      - 2
      - 0
    .max_flat_workgroup_size: 384
    .name:           _ZN7rocprim17ROCPRIM_400000_NS6detail17trampoline_kernelINS0_14default_configENS1_25partition_config_selectorILNS1_17partition_subalgoE8ElNS0_10empty_typeEbEEZZNS1_14partition_implILS5_8ELb0ES3_jPlPS6_PKS6_NS0_5tupleIJS9_S6_EEENSD_IJSA_SA_EEENS0_18inequality_wrapperIZN2at6native12_GLOBAL__N_124unique_dim_cuda_templateIN3c104HalfEEESt5tupleIJNSH_6TensorESO_SO_EERKSO_lbbbEUlllE0_EEPmJS6_EEE10hipError_tPvRmT3_T4_T5_T6_T7_T9_mT8_P12ihipStream_tbDpT10_ENKUlT_T0_E_clISt17integral_constantIbLb0EES1D_IbLb1EEEEDaS19_S1A_EUlS19_E_NS1_11comp_targetILNS1_3genE10ELNS1_11target_archE1200ELNS1_3gpuE4ELNS1_3repE0EEENS1_30default_config_static_selectorELNS0_4arch9wavefront6targetE0EEEvT1_
    .private_segment_fixed_size: 0
    .sgpr_count:     0
    .sgpr_spill_count: 0
    .symbol:         _ZN7rocprim17ROCPRIM_400000_NS6detail17trampoline_kernelINS0_14default_configENS1_25partition_config_selectorILNS1_17partition_subalgoE8ElNS0_10empty_typeEbEEZZNS1_14partition_implILS5_8ELb0ES3_jPlPS6_PKS6_NS0_5tupleIJS9_S6_EEENSD_IJSA_SA_EEENS0_18inequality_wrapperIZN2at6native12_GLOBAL__N_124unique_dim_cuda_templateIN3c104HalfEEESt5tupleIJNSH_6TensorESO_SO_EERKSO_lbbbEUlllE0_EEPmJS6_EEE10hipError_tPvRmT3_T4_T5_T6_T7_T9_mT8_P12ihipStream_tbDpT10_ENKUlT_T0_E_clISt17integral_constantIbLb0EES1D_IbLb1EEEEDaS19_S1A_EUlS19_E_NS1_11comp_targetILNS1_3genE10ELNS1_11target_archE1200ELNS1_3gpuE4ELNS1_3repE0EEENS1_30default_config_static_selectorELNS0_4arch9wavefront6targetE0EEEvT1_.kd
    .uniform_work_group_size: 1
    .uses_dynamic_stack: false
    .vgpr_count:     0
    .vgpr_spill_count: 0
    .wavefront_size: 32
    .workgroup_processor_mode: 1
  - .args:
      - .offset:         0
        .size:           136
        .value_kind:     by_value
    .group_segment_fixed_size: 33804
    .kernarg_segment_align: 8
    .kernarg_segment_size: 136
    .language:       OpenCL C
    .language_version:
      - 2
      - 0
    .max_flat_workgroup_size: 512
    .name:           _ZN7rocprim17ROCPRIM_400000_NS6detail17trampoline_kernelINS0_14default_configENS1_25partition_config_selectorILNS1_17partition_subalgoE8ElNS0_10empty_typeEbEEZZNS1_14partition_implILS5_8ELb0ES3_jPlPS6_PKS6_NS0_5tupleIJS9_S6_EEENSD_IJSA_SA_EEENS0_18inequality_wrapperIZN2at6native12_GLOBAL__N_124unique_dim_cuda_templateIN3c104HalfEEESt5tupleIJNSH_6TensorESO_SO_EERKSO_lbbbEUlllE0_EEPmJS6_EEE10hipError_tPvRmT3_T4_T5_T6_T7_T9_mT8_P12ihipStream_tbDpT10_ENKUlT_T0_E_clISt17integral_constantIbLb0EES1D_IbLb1EEEEDaS19_S1A_EUlS19_E_NS1_11comp_targetILNS1_3genE9ELNS1_11target_archE1100ELNS1_3gpuE3ELNS1_3repE0EEENS1_30default_config_static_selectorELNS0_4arch9wavefront6targetE0EEEvT1_
    .private_segment_fixed_size: 0
    .sgpr_count:     40
    .sgpr_spill_count: 0
    .symbol:         _ZN7rocprim17ROCPRIM_400000_NS6detail17trampoline_kernelINS0_14default_configENS1_25partition_config_selectorILNS1_17partition_subalgoE8ElNS0_10empty_typeEbEEZZNS1_14partition_implILS5_8ELb0ES3_jPlPS6_PKS6_NS0_5tupleIJS9_S6_EEENSD_IJSA_SA_EEENS0_18inequality_wrapperIZN2at6native12_GLOBAL__N_124unique_dim_cuda_templateIN3c104HalfEEESt5tupleIJNSH_6TensorESO_SO_EERKSO_lbbbEUlllE0_EEPmJS6_EEE10hipError_tPvRmT3_T4_T5_T6_T7_T9_mT8_P12ihipStream_tbDpT10_ENKUlT_T0_E_clISt17integral_constantIbLb0EES1D_IbLb1EEEEDaS19_S1A_EUlS19_E_NS1_11comp_targetILNS1_3genE9ELNS1_11target_archE1100ELNS1_3gpuE3ELNS1_3repE0EEENS1_30default_config_static_selectorELNS0_4arch9wavefront6targetE0EEEvT1_.kd
    .uniform_work_group_size: 1
    .uses_dynamic_stack: false
    .vgpr_count:     52
    .vgpr_spill_count: 0
    .wavefront_size: 32
    .workgroup_processor_mode: 1
  - .args:
      - .offset:         0
        .size:           136
        .value_kind:     by_value
    .group_segment_fixed_size: 0
    .kernarg_segment_align: 8
    .kernarg_segment_size: 136
    .language:       OpenCL C
    .language_version:
      - 2
      - 0
    .max_flat_workgroup_size: 512
    .name:           _ZN7rocprim17ROCPRIM_400000_NS6detail17trampoline_kernelINS0_14default_configENS1_25partition_config_selectorILNS1_17partition_subalgoE8ElNS0_10empty_typeEbEEZZNS1_14partition_implILS5_8ELb0ES3_jPlPS6_PKS6_NS0_5tupleIJS9_S6_EEENSD_IJSA_SA_EEENS0_18inequality_wrapperIZN2at6native12_GLOBAL__N_124unique_dim_cuda_templateIN3c104HalfEEESt5tupleIJNSH_6TensorESO_SO_EERKSO_lbbbEUlllE0_EEPmJS6_EEE10hipError_tPvRmT3_T4_T5_T6_T7_T9_mT8_P12ihipStream_tbDpT10_ENKUlT_T0_E_clISt17integral_constantIbLb0EES1D_IbLb1EEEEDaS19_S1A_EUlS19_E_NS1_11comp_targetILNS1_3genE8ELNS1_11target_archE1030ELNS1_3gpuE2ELNS1_3repE0EEENS1_30default_config_static_selectorELNS0_4arch9wavefront6targetE0EEEvT1_
    .private_segment_fixed_size: 0
    .sgpr_count:     0
    .sgpr_spill_count: 0
    .symbol:         _ZN7rocprim17ROCPRIM_400000_NS6detail17trampoline_kernelINS0_14default_configENS1_25partition_config_selectorILNS1_17partition_subalgoE8ElNS0_10empty_typeEbEEZZNS1_14partition_implILS5_8ELb0ES3_jPlPS6_PKS6_NS0_5tupleIJS9_S6_EEENSD_IJSA_SA_EEENS0_18inequality_wrapperIZN2at6native12_GLOBAL__N_124unique_dim_cuda_templateIN3c104HalfEEESt5tupleIJNSH_6TensorESO_SO_EERKSO_lbbbEUlllE0_EEPmJS6_EEE10hipError_tPvRmT3_T4_T5_T6_T7_T9_mT8_P12ihipStream_tbDpT10_ENKUlT_T0_E_clISt17integral_constantIbLb0EES1D_IbLb1EEEEDaS19_S1A_EUlS19_E_NS1_11comp_targetILNS1_3genE8ELNS1_11target_archE1030ELNS1_3gpuE2ELNS1_3repE0EEENS1_30default_config_static_selectorELNS0_4arch9wavefront6targetE0EEEvT1_.kd
    .uniform_work_group_size: 1
    .uses_dynamic_stack: false
    .vgpr_count:     0
    .vgpr_spill_count: 0
    .wavefront_size: 32
    .workgroup_processor_mode: 1
  - .args:
      - .offset:         0
        .size:           120
        .value_kind:     by_value
    .group_segment_fixed_size: 0
    .kernarg_segment_align: 8
    .kernarg_segment_size: 120
    .language:       OpenCL C
    .language_version:
      - 2
      - 0
    .max_flat_workgroup_size: 128
    .name:           _ZN7rocprim17ROCPRIM_400000_NS6detail17trampoline_kernelINS0_14default_configENS1_25partition_config_selectorILNS1_17partition_subalgoE9EllbEEZZNS1_14partition_implILS5_9ELb0ES3_jPlS8_PNS0_10empty_typeENS0_5tupleIJS8_S9_EEENSB_IJS8_SA_EEENS0_18inequality_wrapperIZN2at6native12_GLOBAL__N_124unique_dim_cuda_templateIN3c104HalfEEESt5tupleIJNSF_6TensorESM_SM_EERKSM_lbbbEUlllE0_EEPmJS9_EEE10hipError_tPvRmT3_T4_T5_T6_T7_T9_mT8_P12ihipStream_tbDpT10_ENKUlT_T0_E_clISt17integral_constantIbLb0EES1C_EEDaS17_S18_EUlS17_E_NS1_11comp_targetILNS1_3genE0ELNS1_11target_archE4294967295ELNS1_3gpuE0ELNS1_3repE0EEENS1_30default_config_static_selectorELNS0_4arch9wavefront6targetE0EEEvT1_
    .private_segment_fixed_size: 0
    .sgpr_count:     0
    .sgpr_spill_count: 0
    .symbol:         _ZN7rocprim17ROCPRIM_400000_NS6detail17trampoline_kernelINS0_14default_configENS1_25partition_config_selectorILNS1_17partition_subalgoE9EllbEEZZNS1_14partition_implILS5_9ELb0ES3_jPlS8_PNS0_10empty_typeENS0_5tupleIJS8_S9_EEENSB_IJS8_SA_EEENS0_18inequality_wrapperIZN2at6native12_GLOBAL__N_124unique_dim_cuda_templateIN3c104HalfEEESt5tupleIJNSF_6TensorESM_SM_EERKSM_lbbbEUlllE0_EEPmJS9_EEE10hipError_tPvRmT3_T4_T5_T6_T7_T9_mT8_P12ihipStream_tbDpT10_ENKUlT_T0_E_clISt17integral_constantIbLb0EES1C_EEDaS17_S18_EUlS17_E_NS1_11comp_targetILNS1_3genE0ELNS1_11target_archE4294967295ELNS1_3gpuE0ELNS1_3repE0EEENS1_30default_config_static_selectorELNS0_4arch9wavefront6targetE0EEEvT1_.kd
    .uniform_work_group_size: 1
    .uses_dynamic_stack: false
    .vgpr_count:     0
    .vgpr_spill_count: 0
    .wavefront_size: 32
    .workgroup_processor_mode: 1
  - .args:
      - .offset:         0
        .size:           120
        .value_kind:     by_value
    .group_segment_fixed_size: 0
    .kernarg_segment_align: 8
    .kernarg_segment_size: 120
    .language:       OpenCL C
    .language_version:
      - 2
      - 0
    .max_flat_workgroup_size: 512
    .name:           _ZN7rocprim17ROCPRIM_400000_NS6detail17trampoline_kernelINS0_14default_configENS1_25partition_config_selectorILNS1_17partition_subalgoE9EllbEEZZNS1_14partition_implILS5_9ELb0ES3_jPlS8_PNS0_10empty_typeENS0_5tupleIJS8_S9_EEENSB_IJS8_SA_EEENS0_18inequality_wrapperIZN2at6native12_GLOBAL__N_124unique_dim_cuda_templateIN3c104HalfEEESt5tupleIJNSF_6TensorESM_SM_EERKSM_lbbbEUlllE0_EEPmJS9_EEE10hipError_tPvRmT3_T4_T5_T6_T7_T9_mT8_P12ihipStream_tbDpT10_ENKUlT_T0_E_clISt17integral_constantIbLb0EES1C_EEDaS17_S18_EUlS17_E_NS1_11comp_targetILNS1_3genE5ELNS1_11target_archE942ELNS1_3gpuE9ELNS1_3repE0EEENS1_30default_config_static_selectorELNS0_4arch9wavefront6targetE0EEEvT1_
    .private_segment_fixed_size: 0
    .sgpr_count:     0
    .sgpr_spill_count: 0
    .symbol:         _ZN7rocprim17ROCPRIM_400000_NS6detail17trampoline_kernelINS0_14default_configENS1_25partition_config_selectorILNS1_17partition_subalgoE9EllbEEZZNS1_14partition_implILS5_9ELb0ES3_jPlS8_PNS0_10empty_typeENS0_5tupleIJS8_S9_EEENSB_IJS8_SA_EEENS0_18inequality_wrapperIZN2at6native12_GLOBAL__N_124unique_dim_cuda_templateIN3c104HalfEEESt5tupleIJNSF_6TensorESM_SM_EERKSM_lbbbEUlllE0_EEPmJS9_EEE10hipError_tPvRmT3_T4_T5_T6_T7_T9_mT8_P12ihipStream_tbDpT10_ENKUlT_T0_E_clISt17integral_constantIbLb0EES1C_EEDaS17_S18_EUlS17_E_NS1_11comp_targetILNS1_3genE5ELNS1_11target_archE942ELNS1_3gpuE9ELNS1_3repE0EEENS1_30default_config_static_selectorELNS0_4arch9wavefront6targetE0EEEvT1_.kd
    .uniform_work_group_size: 1
    .uses_dynamic_stack: false
    .vgpr_count:     0
    .vgpr_spill_count: 0
    .wavefront_size: 32
    .workgroup_processor_mode: 1
  - .args:
      - .offset:         0
        .size:           120
        .value_kind:     by_value
    .group_segment_fixed_size: 0
    .kernarg_segment_align: 8
    .kernarg_segment_size: 120
    .language:       OpenCL C
    .language_version:
      - 2
      - 0
    .max_flat_workgroup_size: 128
    .name:           _ZN7rocprim17ROCPRIM_400000_NS6detail17trampoline_kernelINS0_14default_configENS1_25partition_config_selectorILNS1_17partition_subalgoE9EllbEEZZNS1_14partition_implILS5_9ELb0ES3_jPlS8_PNS0_10empty_typeENS0_5tupleIJS8_S9_EEENSB_IJS8_SA_EEENS0_18inequality_wrapperIZN2at6native12_GLOBAL__N_124unique_dim_cuda_templateIN3c104HalfEEESt5tupleIJNSF_6TensorESM_SM_EERKSM_lbbbEUlllE0_EEPmJS9_EEE10hipError_tPvRmT3_T4_T5_T6_T7_T9_mT8_P12ihipStream_tbDpT10_ENKUlT_T0_E_clISt17integral_constantIbLb0EES1C_EEDaS17_S18_EUlS17_E_NS1_11comp_targetILNS1_3genE4ELNS1_11target_archE910ELNS1_3gpuE8ELNS1_3repE0EEENS1_30default_config_static_selectorELNS0_4arch9wavefront6targetE0EEEvT1_
    .private_segment_fixed_size: 0
    .sgpr_count:     0
    .sgpr_spill_count: 0
    .symbol:         _ZN7rocprim17ROCPRIM_400000_NS6detail17trampoline_kernelINS0_14default_configENS1_25partition_config_selectorILNS1_17partition_subalgoE9EllbEEZZNS1_14partition_implILS5_9ELb0ES3_jPlS8_PNS0_10empty_typeENS0_5tupleIJS8_S9_EEENSB_IJS8_SA_EEENS0_18inequality_wrapperIZN2at6native12_GLOBAL__N_124unique_dim_cuda_templateIN3c104HalfEEESt5tupleIJNSF_6TensorESM_SM_EERKSM_lbbbEUlllE0_EEPmJS9_EEE10hipError_tPvRmT3_T4_T5_T6_T7_T9_mT8_P12ihipStream_tbDpT10_ENKUlT_T0_E_clISt17integral_constantIbLb0EES1C_EEDaS17_S18_EUlS17_E_NS1_11comp_targetILNS1_3genE4ELNS1_11target_archE910ELNS1_3gpuE8ELNS1_3repE0EEENS1_30default_config_static_selectorELNS0_4arch9wavefront6targetE0EEEvT1_.kd
    .uniform_work_group_size: 1
    .uses_dynamic_stack: false
    .vgpr_count:     0
    .vgpr_spill_count: 0
    .wavefront_size: 32
    .workgroup_processor_mode: 1
  - .args:
      - .offset:         0
        .size:           120
        .value_kind:     by_value
    .group_segment_fixed_size: 0
    .kernarg_segment_align: 8
    .kernarg_segment_size: 120
    .language:       OpenCL C
    .language_version:
      - 2
      - 0
    .max_flat_workgroup_size: 128
    .name:           _ZN7rocprim17ROCPRIM_400000_NS6detail17trampoline_kernelINS0_14default_configENS1_25partition_config_selectorILNS1_17partition_subalgoE9EllbEEZZNS1_14partition_implILS5_9ELb0ES3_jPlS8_PNS0_10empty_typeENS0_5tupleIJS8_S9_EEENSB_IJS8_SA_EEENS0_18inequality_wrapperIZN2at6native12_GLOBAL__N_124unique_dim_cuda_templateIN3c104HalfEEESt5tupleIJNSF_6TensorESM_SM_EERKSM_lbbbEUlllE0_EEPmJS9_EEE10hipError_tPvRmT3_T4_T5_T6_T7_T9_mT8_P12ihipStream_tbDpT10_ENKUlT_T0_E_clISt17integral_constantIbLb0EES1C_EEDaS17_S18_EUlS17_E_NS1_11comp_targetILNS1_3genE3ELNS1_11target_archE908ELNS1_3gpuE7ELNS1_3repE0EEENS1_30default_config_static_selectorELNS0_4arch9wavefront6targetE0EEEvT1_
    .private_segment_fixed_size: 0
    .sgpr_count:     0
    .sgpr_spill_count: 0
    .symbol:         _ZN7rocprim17ROCPRIM_400000_NS6detail17trampoline_kernelINS0_14default_configENS1_25partition_config_selectorILNS1_17partition_subalgoE9EllbEEZZNS1_14partition_implILS5_9ELb0ES3_jPlS8_PNS0_10empty_typeENS0_5tupleIJS8_S9_EEENSB_IJS8_SA_EEENS0_18inequality_wrapperIZN2at6native12_GLOBAL__N_124unique_dim_cuda_templateIN3c104HalfEEESt5tupleIJNSF_6TensorESM_SM_EERKSM_lbbbEUlllE0_EEPmJS9_EEE10hipError_tPvRmT3_T4_T5_T6_T7_T9_mT8_P12ihipStream_tbDpT10_ENKUlT_T0_E_clISt17integral_constantIbLb0EES1C_EEDaS17_S18_EUlS17_E_NS1_11comp_targetILNS1_3genE3ELNS1_11target_archE908ELNS1_3gpuE7ELNS1_3repE0EEENS1_30default_config_static_selectorELNS0_4arch9wavefront6targetE0EEEvT1_.kd
    .uniform_work_group_size: 1
    .uses_dynamic_stack: false
    .vgpr_count:     0
    .vgpr_spill_count: 0
    .wavefront_size: 32
    .workgroup_processor_mode: 1
  - .args:
      - .offset:         0
        .size:           120
        .value_kind:     by_value
    .group_segment_fixed_size: 0
    .kernarg_segment_align: 8
    .kernarg_segment_size: 120
    .language:       OpenCL C
    .language_version:
      - 2
      - 0
    .max_flat_workgroup_size: 192
    .name:           _ZN7rocprim17ROCPRIM_400000_NS6detail17trampoline_kernelINS0_14default_configENS1_25partition_config_selectorILNS1_17partition_subalgoE9EllbEEZZNS1_14partition_implILS5_9ELb0ES3_jPlS8_PNS0_10empty_typeENS0_5tupleIJS8_S9_EEENSB_IJS8_SA_EEENS0_18inequality_wrapperIZN2at6native12_GLOBAL__N_124unique_dim_cuda_templateIN3c104HalfEEESt5tupleIJNSF_6TensorESM_SM_EERKSM_lbbbEUlllE0_EEPmJS9_EEE10hipError_tPvRmT3_T4_T5_T6_T7_T9_mT8_P12ihipStream_tbDpT10_ENKUlT_T0_E_clISt17integral_constantIbLb0EES1C_EEDaS17_S18_EUlS17_E_NS1_11comp_targetILNS1_3genE2ELNS1_11target_archE906ELNS1_3gpuE6ELNS1_3repE0EEENS1_30default_config_static_selectorELNS0_4arch9wavefront6targetE0EEEvT1_
    .private_segment_fixed_size: 0
    .sgpr_count:     0
    .sgpr_spill_count: 0
    .symbol:         _ZN7rocprim17ROCPRIM_400000_NS6detail17trampoline_kernelINS0_14default_configENS1_25partition_config_selectorILNS1_17partition_subalgoE9EllbEEZZNS1_14partition_implILS5_9ELb0ES3_jPlS8_PNS0_10empty_typeENS0_5tupleIJS8_S9_EEENSB_IJS8_SA_EEENS0_18inequality_wrapperIZN2at6native12_GLOBAL__N_124unique_dim_cuda_templateIN3c104HalfEEESt5tupleIJNSF_6TensorESM_SM_EERKSM_lbbbEUlllE0_EEPmJS9_EEE10hipError_tPvRmT3_T4_T5_T6_T7_T9_mT8_P12ihipStream_tbDpT10_ENKUlT_T0_E_clISt17integral_constantIbLb0EES1C_EEDaS17_S18_EUlS17_E_NS1_11comp_targetILNS1_3genE2ELNS1_11target_archE906ELNS1_3gpuE6ELNS1_3repE0EEENS1_30default_config_static_selectorELNS0_4arch9wavefront6targetE0EEEvT1_.kd
    .uniform_work_group_size: 1
    .uses_dynamic_stack: false
    .vgpr_count:     0
    .vgpr_spill_count: 0
    .wavefront_size: 32
    .workgroup_processor_mode: 1
  - .args:
      - .offset:         0
        .size:           120
        .value_kind:     by_value
    .group_segment_fixed_size: 0
    .kernarg_segment_align: 8
    .kernarg_segment_size: 120
    .language:       OpenCL C
    .language_version:
      - 2
      - 0
    .max_flat_workgroup_size: 384
    .name:           _ZN7rocprim17ROCPRIM_400000_NS6detail17trampoline_kernelINS0_14default_configENS1_25partition_config_selectorILNS1_17partition_subalgoE9EllbEEZZNS1_14partition_implILS5_9ELb0ES3_jPlS8_PNS0_10empty_typeENS0_5tupleIJS8_S9_EEENSB_IJS8_SA_EEENS0_18inequality_wrapperIZN2at6native12_GLOBAL__N_124unique_dim_cuda_templateIN3c104HalfEEESt5tupleIJNSF_6TensorESM_SM_EERKSM_lbbbEUlllE0_EEPmJS9_EEE10hipError_tPvRmT3_T4_T5_T6_T7_T9_mT8_P12ihipStream_tbDpT10_ENKUlT_T0_E_clISt17integral_constantIbLb0EES1C_EEDaS17_S18_EUlS17_E_NS1_11comp_targetILNS1_3genE10ELNS1_11target_archE1200ELNS1_3gpuE4ELNS1_3repE0EEENS1_30default_config_static_selectorELNS0_4arch9wavefront6targetE0EEEvT1_
    .private_segment_fixed_size: 0
    .sgpr_count:     0
    .sgpr_spill_count: 0
    .symbol:         _ZN7rocprim17ROCPRIM_400000_NS6detail17trampoline_kernelINS0_14default_configENS1_25partition_config_selectorILNS1_17partition_subalgoE9EllbEEZZNS1_14partition_implILS5_9ELb0ES3_jPlS8_PNS0_10empty_typeENS0_5tupleIJS8_S9_EEENSB_IJS8_SA_EEENS0_18inequality_wrapperIZN2at6native12_GLOBAL__N_124unique_dim_cuda_templateIN3c104HalfEEESt5tupleIJNSF_6TensorESM_SM_EERKSM_lbbbEUlllE0_EEPmJS9_EEE10hipError_tPvRmT3_T4_T5_T6_T7_T9_mT8_P12ihipStream_tbDpT10_ENKUlT_T0_E_clISt17integral_constantIbLb0EES1C_EEDaS17_S18_EUlS17_E_NS1_11comp_targetILNS1_3genE10ELNS1_11target_archE1200ELNS1_3gpuE4ELNS1_3repE0EEENS1_30default_config_static_selectorELNS0_4arch9wavefront6targetE0EEEvT1_.kd
    .uniform_work_group_size: 1
    .uses_dynamic_stack: false
    .vgpr_count:     0
    .vgpr_spill_count: 0
    .wavefront_size: 32
    .workgroup_processor_mode: 1
  - .args:
      - .offset:         0
        .size:           120
        .value_kind:     by_value
    .group_segment_fixed_size: 33804
    .kernarg_segment_align: 8
    .kernarg_segment_size: 120
    .language:       OpenCL C
    .language_version:
      - 2
      - 0
    .max_flat_workgroup_size: 512
    .name:           _ZN7rocprim17ROCPRIM_400000_NS6detail17trampoline_kernelINS0_14default_configENS1_25partition_config_selectorILNS1_17partition_subalgoE9EllbEEZZNS1_14partition_implILS5_9ELb0ES3_jPlS8_PNS0_10empty_typeENS0_5tupleIJS8_S9_EEENSB_IJS8_SA_EEENS0_18inequality_wrapperIZN2at6native12_GLOBAL__N_124unique_dim_cuda_templateIN3c104HalfEEESt5tupleIJNSF_6TensorESM_SM_EERKSM_lbbbEUlllE0_EEPmJS9_EEE10hipError_tPvRmT3_T4_T5_T6_T7_T9_mT8_P12ihipStream_tbDpT10_ENKUlT_T0_E_clISt17integral_constantIbLb0EES1C_EEDaS17_S18_EUlS17_E_NS1_11comp_targetILNS1_3genE9ELNS1_11target_archE1100ELNS1_3gpuE3ELNS1_3repE0EEENS1_30default_config_static_selectorELNS0_4arch9wavefront6targetE0EEEvT1_
    .private_segment_fixed_size: 0
    .sgpr_count:     38
    .sgpr_spill_count: 0
    .symbol:         _ZN7rocprim17ROCPRIM_400000_NS6detail17trampoline_kernelINS0_14default_configENS1_25partition_config_selectorILNS1_17partition_subalgoE9EllbEEZZNS1_14partition_implILS5_9ELb0ES3_jPlS8_PNS0_10empty_typeENS0_5tupleIJS8_S9_EEENSB_IJS8_SA_EEENS0_18inequality_wrapperIZN2at6native12_GLOBAL__N_124unique_dim_cuda_templateIN3c104HalfEEESt5tupleIJNSF_6TensorESM_SM_EERKSM_lbbbEUlllE0_EEPmJS9_EEE10hipError_tPvRmT3_T4_T5_T6_T7_T9_mT8_P12ihipStream_tbDpT10_ENKUlT_T0_E_clISt17integral_constantIbLb0EES1C_EEDaS17_S18_EUlS17_E_NS1_11comp_targetILNS1_3genE9ELNS1_11target_archE1100ELNS1_3gpuE3ELNS1_3repE0EEENS1_30default_config_static_selectorELNS0_4arch9wavefront6targetE0EEEvT1_.kd
    .uniform_work_group_size: 1
    .uses_dynamic_stack: false
    .vgpr_count:     68
    .vgpr_spill_count: 0
    .wavefront_size: 32
    .workgroup_processor_mode: 1
  - .args:
      - .offset:         0
        .size:           120
        .value_kind:     by_value
    .group_segment_fixed_size: 0
    .kernarg_segment_align: 8
    .kernarg_segment_size: 120
    .language:       OpenCL C
    .language_version:
      - 2
      - 0
    .max_flat_workgroup_size: 512
    .name:           _ZN7rocprim17ROCPRIM_400000_NS6detail17trampoline_kernelINS0_14default_configENS1_25partition_config_selectorILNS1_17partition_subalgoE9EllbEEZZNS1_14partition_implILS5_9ELb0ES3_jPlS8_PNS0_10empty_typeENS0_5tupleIJS8_S9_EEENSB_IJS8_SA_EEENS0_18inequality_wrapperIZN2at6native12_GLOBAL__N_124unique_dim_cuda_templateIN3c104HalfEEESt5tupleIJNSF_6TensorESM_SM_EERKSM_lbbbEUlllE0_EEPmJS9_EEE10hipError_tPvRmT3_T4_T5_T6_T7_T9_mT8_P12ihipStream_tbDpT10_ENKUlT_T0_E_clISt17integral_constantIbLb0EES1C_EEDaS17_S18_EUlS17_E_NS1_11comp_targetILNS1_3genE8ELNS1_11target_archE1030ELNS1_3gpuE2ELNS1_3repE0EEENS1_30default_config_static_selectorELNS0_4arch9wavefront6targetE0EEEvT1_
    .private_segment_fixed_size: 0
    .sgpr_count:     0
    .sgpr_spill_count: 0
    .symbol:         _ZN7rocprim17ROCPRIM_400000_NS6detail17trampoline_kernelINS0_14default_configENS1_25partition_config_selectorILNS1_17partition_subalgoE9EllbEEZZNS1_14partition_implILS5_9ELb0ES3_jPlS8_PNS0_10empty_typeENS0_5tupleIJS8_S9_EEENSB_IJS8_SA_EEENS0_18inequality_wrapperIZN2at6native12_GLOBAL__N_124unique_dim_cuda_templateIN3c104HalfEEESt5tupleIJNSF_6TensorESM_SM_EERKSM_lbbbEUlllE0_EEPmJS9_EEE10hipError_tPvRmT3_T4_T5_T6_T7_T9_mT8_P12ihipStream_tbDpT10_ENKUlT_T0_E_clISt17integral_constantIbLb0EES1C_EEDaS17_S18_EUlS17_E_NS1_11comp_targetILNS1_3genE8ELNS1_11target_archE1030ELNS1_3gpuE2ELNS1_3repE0EEENS1_30default_config_static_selectorELNS0_4arch9wavefront6targetE0EEEvT1_.kd
    .uniform_work_group_size: 1
    .uses_dynamic_stack: false
    .vgpr_count:     0
    .vgpr_spill_count: 0
    .wavefront_size: 32
    .workgroup_processor_mode: 1
  - .args:
      - .offset:         0
        .size:           136
        .value_kind:     by_value
    .group_segment_fixed_size: 0
    .kernarg_segment_align: 8
    .kernarg_segment_size: 136
    .language:       OpenCL C
    .language_version:
      - 2
      - 0
    .max_flat_workgroup_size: 128
    .name:           _ZN7rocprim17ROCPRIM_400000_NS6detail17trampoline_kernelINS0_14default_configENS1_25partition_config_selectorILNS1_17partition_subalgoE9EllbEEZZNS1_14partition_implILS5_9ELb0ES3_jPlS8_PNS0_10empty_typeENS0_5tupleIJS8_S9_EEENSB_IJS8_SA_EEENS0_18inequality_wrapperIZN2at6native12_GLOBAL__N_124unique_dim_cuda_templateIN3c104HalfEEESt5tupleIJNSF_6TensorESM_SM_EERKSM_lbbbEUlllE0_EEPmJS9_EEE10hipError_tPvRmT3_T4_T5_T6_T7_T9_mT8_P12ihipStream_tbDpT10_ENKUlT_T0_E_clISt17integral_constantIbLb1EES1C_EEDaS17_S18_EUlS17_E_NS1_11comp_targetILNS1_3genE0ELNS1_11target_archE4294967295ELNS1_3gpuE0ELNS1_3repE0EEENS1_30default_config_static_selectorELNS0_4arch9wavefront6targetE0EEEvT1_
    .private_segment_fixed_size: 0
    .sgpr_count:     0
    .sgpr_spill_count: 0
    .symbol:         _ZN7rocprim17ROCPRIM_400000_NS6detail17trampoline_kernelINS0_14default_configENS1_25partition_config_selectorILNS1_17partition_subalgoE9EllbEEZZNS1_14partition_implILS5_9ELb0ES3_jPlS8_PNS0_10empty_typeENS0_5tupleIJS8_S9_EEENSB_IJS8_SA_EEENS0_18inequality_wrapperIZN2at6native12_GLOBAL__N_124unique_dim_cuda_templateIN3c104HalfEEESt5tupleIJNSF_6TensorESM_SM_EERKSM_lbbbEUlllE0_EEPmJS9_EEE10hipError_tPvRmT3_T4_T5_T6_T7_T9_mT8_P12ihipStream_tbDpT10_ENKUlT_T0_E_clISt17integral_constantIbLb1EES1C_EEDaS17_S18_EUlS17_E_NS1_11comp_targetILNS1_3genE0ELNS1_11target_archE4294967295ELNS1_3gpuE0ELNS1_3repE0EEENS1_30default_config_static_selectorELNS0_4arch9wavefront6targetE0EEEvT1_.kd
    .uniform_work_group_size: 1
    .uses_dynamic_stack: false
    .vgpr_count:     0
    .vgpr_spill_count: 0
    .wavefront_size: 32
    .workgroup_processor_mode: 1
  - .args:
      - .offset:         0
        .size:           136
        .value_kind:     by_value
    .group_segment_fixed_size: 0
    .kernarg_segment_align: 8
    .kernarg_segment_size: 136
    .language:       OpenCL C
    .language_version:
      - 2
      - 0
    .max_flat_workgroup_size: 512
    .name:           _ZN7rocprim17ROCPRIM_400000_NS6detail17trampoline_kernelINS0_14default_configENS1_25partition_config_selectorILNS1_17partition_subalgoE9EllbEEZZNS1_14partition_implILS5_9ELb0ES3_jPlS8_PNS0_10empty_typeENS0_5tupleIJS8_S9_EEENSB_IJS8_SA_EEENS0_18inequality_wrapperIZN2at6native12_GLOBAL__N_124unique_dim_cuda_templateIN3c104HalfEEESt5tupleIJNSF_6TensorESM_SM_EERKSM_lbbbEUlllE0_EEPmJS9_EEE10hipError_tPvRmT3_T4_T5_T6_T7_T9_mT8_P12ihipStream_tbDpT10_ENKUlT_T0_E_clISt17integral_constantIbLb1EES1C_EEDaS17_S18_EUlS17_E_NS1_11comp_targetILNS1_3genE5ELNS1_11target_archE942ELNS1_3gpuE9ELNS1_3repE0EEENS1_30default_config_static_selectorELNS0_4arch9wavefront6targetE0EEEvT1_
    .private_segment_fixed_size: 0
    .sgpr_count:     0
    .sgpr_spill_count: 0
    .symbol:         _ZN7rocprim17ROCPRIM_400000_NS6detail17trampoline_kernelINS0_14default_configENS1_25partition_config_selectorILNS1_17partition_subalgoE9EllbEEZZNS1_14partition_implILS5_9ELb0ES3_jPlS8_PNS0_10empty_typeENS0_5tupleIJS8_S9_EEENSB_IJS8_SA_EEENS0_18inequality_wrapperIZN2at6native12_GLOBAL__N_124unique_dim_cuda_templateIN3c104HalfEEESt5tupleIJNSF_6TensorESM_SM_EERKSM_lbbbEUlllE0_EEPmJS9_EEE10hipError_tPvRmT3_T4_T5_T6_T7_T9_mT8_P12ihipStream_tbDpT10_ENKUlT_T0_E_clISt17integral_constantIbLb1EES1C_EEDaS17_S18_EUlS17_E_NS1_11comp_targetILNS1_3genE5ELNS1_11target_archE942ELNS1_3gpuE9ELNS1_3repE0EEENS1_30default_config_static_selectorELNS0_4arch9wavefront6targetE0EEEvT1_.kd
    .uniform_work_group_size: 1
    .uses_dynamic_stack: false
    .vgpr_count:     0
    .vgpr_spill_count: 0
    .wavefront_size: 32
    .workgroup_processor_mode: 1
  - .args:
      - .offset:         0
        .size:           136
        .value_kind:     by_value
    .group_segment_fixed_size: 0
    .kernarg_segment_align: 8
    .kernarg_segment_size: 136
    .language:       OpenCL C
    .language_version:
      - 2
      - 0
    .max_flat_workgroup_size: 128
    .name:           _ZN7rocprim17ROCPRIM_400000_NS6detail17trampoline_kernelINS0_14default_configENS1_25partition_config_selectorILNS1_17partition_subalgoE9EllbEEZZNS1_14partition_implILS5_9ELb0ES3_jPlS8_PNS0_10empty_typeENS0_5tupleIJS8_S9_EEENSB_IJS8_SA_EEENS0_18inequality_wrapperIZN2at6native12_GLOBAL__N_124unique_dim_cuda_templateIN3c104HalfEEESt5tupleIJNSF_6TensorESM_SM_EERKSM_lbbbEUlllE0_EEPmJS9_EEE10hipError_tPvRmT3_T4_T5_T6_T7_T9_mT8_P12ihipStream_tbDpT10_ENKUlT_T0_E_clISt17integral_constantIbLb1EES1C_EEDaS17_S18_EUlS17_E_NS1_11comp_targetILNS1_3genE4ELNS1_11target_archE910ELNS1_3gpuE8ELNS1_3repE0EEENS1_30default_config_static_selectorELNS0_4arch9wavefront6targetE0EEEvT1_
    .private_segment_fixed_size: 0
    .sgpr_count:     0
    .sgpr_spill_count: 0
    .symbol:         _ZN7rocprim17ROCPRIM_400000_NS6detail17trampoline_kernelINS0_14default_configENS1_25partition_config_selectorILNS1_17partition_subalgoE9EllbEEZZNS1_14partition_implILS5_9ELb0ES3_jPlS8_PNS0_10empty_typeENS0_5tupleIJS8_S9_EEENSB_IJS8_SA_EEENS0_18inequality_wrapperIZN2at6native12_GLOBAL__N_124unique_dim_cuda_templateIN3c104HalfEEESt5tupleIJNSF_6TensorESM_SM_EERKSM_lbbbEUlllE0_EEPmJS9_EEE10hipError_tPvRmT3_T4_T5_T6_T7_T9_mT8_P12ihipStream_tbDpT10_ENKUlT_T0_E_clISt17integral_constantIbLb1EES1C_EEDaS17_S18_EUlS17_E_NS1_11comp_targetILNS1_3genE4ELNS1_11target_archE910ELNS1_3gpuE8ELNS1_3repE0EEENS1_30default_config_static_selectorELNS0_4arch9wavefront6targetE0EEEvT1_.kd
    .uniform_work_group_size: 1
    .uses_dynamic_stack: false
    .vgpr_count:     0
    .vgpr_spill_count: 0
    .wavefront_size: 32
    .workgroup_processor_mode: 1
  - .args:
      - .offset:         0
        .size:           136
        .value_kind:     by_value
    .group_segment_fixed_size: 0
    .kernarg_segment_align: 8
    .kernarg_segment_size: 136
    .language:       OpenCL C
    .language_version:
      - 2
      - 0
    .max_flat_workgroup_size: 128
    .name:           _ZN7rocprim17ROCPRIM_400000_NS6detail17trampoline_kernelINS0_14default_configENS1_25partition_config_selectorILNS1_17partition_subalgoE9EllbEEZZNS1_14partition_implILS5_9ELb0ES3_jPlS8_PNS0_10empty_typeENS0_5tupleIJS8_S9_EEENSB_IJS8_SA_EEENS0_18inequality_wrapperIZN2at6native12_GLOBAL__N_124unique_dim_cuda_templateIN3c104HalfEEESt5tupleIJNSF_6TensorESM_SM_EERKSM_lbbbEUlllE0_EEPmJS9_EEE10hipError_tPvRmT3_T4_T5_T6_T7_T9_mT8_P12ihipStream_tbDpT10_ENKUlT_T0_E_clISt17integral_constantIbLb1EES1C_EEDaS17_S18_EUlS17_E_NS1_11comp_targetILNS1_3genE3ELNS1_11target_archE908ELNS1_3gpuE7ELNS1_3repE0EEENS1_30default_config_static_selectorELNS0_4arch9wavefront6targetE0EEEvT1_
    .private_segment_fixed_size: 0
    .sgpr_count:     0
    .sgpr_spill_count: 0
    .symbol:         _ZN7rocprim17ROCPRIM_400000_NS6detail17trampoline_kernelINS0_14default_configENS1_25partition_config_selectorILNS1_17partition_subalgoE9EllbEEZZNS1_14partition_implILS5_9ELb0ES3_jPlS8_PNS0_10empty_typeENS0_5tupleIJS8_S9_EEENSB_IJS8_SA_EEENS0_18inequality_wrapperIZN2at6native12_GLOBAL__N_124unique_dim_cuda_templateIN3c104HalfEEESt5tupleIJNSF_6TensorESM_SM_EERKSM_lbbbEUlllE0_EEPmJS9_EEE10hipError_tPvRmT3_T4_T5_T6_T7_T9_mT8_P12ihipStream_tbDpT10_ENKUlT_T0_E_clISt17integral_constantIbLb1EES1C_EEDaS17_S18_EUlS17_E_NS1_11comp_targetILNS1_3genE3ELNS1_11target_archE908ELNS1_3gpuE7ELNS1_3repE0EEENS1_30default_config_static_selectorELNS0_4arch9wavefront6targetE0EEEvT1_.kd
    .uniform_work_group_size: 1
    .uses_dynamic_stack: false
    .vgpr_count:     0
    .vgpr_spill_count: 0
    .wavefront_size: 32
    .workgroup_processor_mode: 1
  - .args:
      - .offset:         0
        .size:           136
        .value_kind:     by_value
    .group_segment_fixed_size: 0
    .kernarg_segment_align: 8
    .kernarg_segment_size: 136
    .language:       OpenCL C
    .language_version:
      - 2
      - 0
    .max_flat_workgroup_size: 192
    .name:           _ZN7rocprim17ROCPRIM_400000_NS6detail17trampoline_kernelINS0_14default_configENS1_25partition_config_selectorILNS1_17partition_subalgoE9EllbEEZZNS1_14partition_implILS5_9ELb0ES3_jPlS8_PNS0_10empty_typeENS0_5tupleIJS8_S9_EEENSB_IJS8_SA_EEENS0_18inequality_wrapperIZN2at6native12_GLOBAL__N_124unique_dim_cuda_templateIN3c104HalfEEESt5tupleIJNSF_6TensorESM_SM_EERKSM_lbbbEUlllE0_EEPmJS9_EEE10hipError_tPvRmT3_T4_T5_T6_T7_T9_mT8_P12ihipStream_tbDpT10_ENKUlT_T0_E_clISt17integral_constantIbLb1EES1C_EEDaS17_S18_EUlS17_E_NS1_11comp_targetILNS1_3genE2ELNS1_11target_archE906ELNS1_3gpuE6ELNS1_3repE0EEENS1_30default_config_static_selectorELNS0_4arch9wavefront6targetE0EEEvT1_
    .private_segment_fixed_size: 0
    .sgpr_count:     0
    .sgpr_spill_count: 0
    .symbol:         _ZN7rocprim17ROCPRIM_400000_NS6detail17trampoline_kernelINS0_14default_configENS1_25partition_config_selectorILNS1_17partition_subalgoE9EllbEEZZNS1_14partition_implILS5_9ELb0ES3_jPlS8_PNS0_10empty_typeENS0_5tupleIJS8_S9_EEENSB_IJS8_SA_EEENS0_18inequality_wrapperIZN2at6native12_GLOBAL__N_124unique_dim_cuda_templateIN3c104HalfEEESt5tupleIJNSF_6TensorESM_SM_EERKSM_lbbbEUlllE0_EEPmJS9_EEE10hipError_tPvRmT3_T4_T5_T6_T7_T9_mT8_P12ihipStream_tbDpT10_ENKUlT_T0_E_clISt17integral_constantIbLb1EES1C_EEDaS17_S18_EUlS17_E_NS1_11comp_targetILNS1_3genE2ELNS1_11target_archE906ELNS1_3gpuE6ELNS1_3repE0EEENS1_30default_config_static_selectorELNS0_4arch9wavefront6targetE0EEEvT1_.kd
    .uniform_work_group_size: 1
    .uses_dynamic_stack: false
    .vgpr_count:     0
    .vgpr_spill_count: 0
    .wavefront_size: 32
    .workgroup_processor_mode: 1
  - .args:
      - .offset:         0
        .size:           136
        .value_kind:     by_value
    .group_segment_fixed_size: 0
    .kernarg_segment_align: 8
    .kernarg_segment_size: 136
    .language:       OpenCL C
    .language_version:
      - 2
      - 0
    .max_flat_workgroup_size: 384
    .name:           _ZN7rocprim17ROCPRIM_400000_NS6detail17trampoline_kernelINS0_14default_configENS1_25partition_config_selectorILNS1_17partition_subalgoE9EllbEEZZNS1_14partition_implILS5_9ELb0ES3_jPlS8_PNS0_10empty_typeENS0_5tupleIJS8_S9_EEENSB_IJS8_SA_EEENS0_18inequality_wrapperIZN2at6native12_GLOBAL__N_124unique_dim_cuda_templateIN3c104HalfEEESt5tupleIJNSF_6TensorESM_SM_EERKSM_lbbbEUlllE0_EEPmJS9_EEE10hipError_tPvRmT3_T4_T5_T6_T7_T9_mT8_P12ihipStream_tbDpT10_ENKUlT_T0_E_clISt17integral_constantIbLb1EES1C_EEDaS17_S18_EUlS17_E_NS1_11comp_targetILNS1_3genE10ELNS1_11target_archE1200ELNS1_3gpuE4ELNS1_3repE0EEENS1_30default_config_static_selectorELNS0_4arch9wavefront6targetE0EEEvT1_
    .private_segment_fixed_size: 0
    .sgpr_count:     0
    .sgpr_spill_count: 0
    .symbol:         _ZN7rocprim17ROCPRIM_400000_NS6detail17trampoline_kernelINS0_14default_configENS1_25partition_config_selectorILNS1_17partition_subalgoE9EllbEEZZNS1_14partition_implILS5_9ELb0ES3_jPlS8_PNS0_10empty_typeENS0_5tupleIJS8_S9_EEENSB_IJS8_SA_EEENS0_18inequality_wrapperIZN2at6native12_GLOBAL__N_124unique_dim_cuda_templateIN3c104HalfEEESt5tupleIJNSF_6TensorESM_SM_EERKSM_lbbbEUlllE0_EEPmJS9_EEE10hipError_tPvRmT3_T4_T5_T6_T7_T9_mT8_P12ihipStream_tbDpT10_ENKUlT_T0_E_clISt17integral_constantIbLb1EES1C_EEDaS17_S18_EUlS17_E_NS1_11comp_targetILNS1_3genE10ELNS1_11target_archE1200ELNS1_3gpuE4ELNS1_3repE0EEENS1_30default_config_static_selectorELNS0_4arch9wavefront6targetE0EEEvT1_.kd
    .uniform_work_group_size: 1
    .uses_dynamic_stack: false
    .vgpr_count:     0
    .vgpr_spill_count: 0
    .wavefront_size: 32
    .workgroup_processor_mode: 1
  - .args:
      - .offset:         0
        .size:           136
        .value_kind:     by_value
    .group_segment_fixed_size: 33804
    .kernarg_segment_align: 8
    .kernarg_segment_size: 136
    .language:       OpenCL C
    .language_version:
      - 2
      - 0
    .max_flat_workgroup_size: 512
    .name:           _ZN7rocprim17ROCPRIM_400000_NS6detail17trampoline_kernelINS0_14default_configENS1_25partition_config_selectorILNS1_17partition_subalgoE9EllbEEZZNS1_14partition_implILS5_9ELb0ES3_jPlS8_PNS0_10empty_typeENS0_5tupleIJS8_S9_EEENSB_IJS8_SA_EEENS0_18inequality_wrapperIZN2at6native12_GLOBAL__N_124unique_dim_cuda_templateIN3c104HalfEEESt5tupleIJNSF_6TensorESM_SM_EERKSM_lbbbEUlllE0_EEPmJS9_EEE10hipError_tPvRmT3_T4_T5_T6_T7_T9_mT8_P12ihipStream_tbDpT10_ENKUlT_T0_E_clISt17integral_constantIbLb1EES1C_EEDaS17_S18_EUlS17_E_NS1_11comp_targetILNS1_3genE9ELNS1_11target_archE1100ELNS1_3gpuE3ELNS1_3repE0EEENS1_30default_config_static_selectorELNS0_4arch9wavefront6targetE0EEEvT1_
    .private_segment_fixed_size: 0
    .sgpr_count:     42
    .sgpr_spill_count: 0
    .symbol:         _ZN7rocprim17ROCPRIM_400000_NS6detail17trampoline_kernelINS0_14default_configENS1_25partition_config_selectorILNS1_17partition_subalgoE9EllbEEZZNS1_14partition_implILS5_9ELb0ES3_jPlS8_PNS0_10empty_typeENS0_5tupleIJS8_S9_EEENSB_IJS8_SA_EEENS0_18inequality_wrapperIZN2at6native12_GLOBAL__N_124unique_dim_cuda_templateIN3c104HalfEEESt5tupleIJNSF_6TensorESM_SM_EERKSM_lbbbEUlllE0_EEPmJS9_EEE10hipError_tPvRmT3_T4_T5_T6_T7_T9_mT8_P12ihipStream_tbDpT10_ENKUlT_T0_E_clISt17integral_constantIbLb1EES1C_EEDaS17_S18_EUlS17_E_NS1_11comp_targetILNS1_3genE9ELNS1_11target_archE1100ELNS1_3gpuE3ELNS1_3repE0EEENS1_30default_config_static_selectorELNS0_4arch9wavefront6targetE0EEEvT1_.kd
    .uniform_work_group_size: 1
    .uses_dynamic_stack: false
    .vgpr_count:     68
    .vgpr_spill_count: 0
    .wavefront_size: 32
    .workgroup_processor_mode: 1
  - .args:
      - .offset:         0
        .size:           136
        .value_kind:     by_value
    .group_segment_fixed_size: 0
    .kernarg_segment_align: 8
    .kernarg_segment_size: 136
    .language:       OpenCL C
    .language_version:
      - 2
      - 0
    .max_flat_workgroup_size: 512
    .name:           _ZN7rocprim17ROCPRIM_400000_NS6detail17trampoline_kernelINS0_14default_configENS1_25partition_config_selectorILNS1_17partition_subalgoE9EllbEEZZNS1_14partition_implILS5_9ELb0ES3_jPlS8_PNS0_10empty_typeENS0_5tupleIJS8_S9_EEENSB_IJS8_SA_EEENS0_18inequality_wrapperIZN2at6native12_GLOBAL__N_124unique_dim_cuda_templateIN3c104HalfEEESt5tupleIJNSF_6TensorESM_SM_EERKSM_lbbbEUlllE0_EEPmJS9_EEE10hipError_tPvRmT3_T4_T5_T6_T7_T9_mT8_P12ihipStream_tbDpT10_ENKUlT_T0_E_clISt17integral_constantIbLb1EES1C_EEDaS17_S18_EUlS17_E_NS1_11comp_targetILNS1_3genE8ELNS1_11target_archE1030ELNS1_3gpuE2ELNS1_3repE0EEENS1_30default_config_static_selectorELNS0_4arch9wavefront6targetE0EEEvT1_
    .private_segment_fixed_size: 0
    .sgpr_count:     0
    .sgpr_spill_count: 0
    .symbol:         _ZN7rocprim17ROCPRIM_400000_NS6detail17trampoline_kernelINS0_14default_configENS1_25partition_config_selectorILNS1_17partition_subalgoE9EllbEEZZNS1_14partition_implILS5_9ELb0ES3_jPlS8_PNS0_10empty_typeENS0_5tupleIJS8_S9_EEENSB_IJS8_SA_EEENS0_18inequality_wrapperIZN2at6native12_GLOBAL__N_124unique_dim_cuda_templateIN3c104HalfEEESt5tupleIJNSF_6TensorESM_SM_EERKSM_lbbbEUlllE0_EEPmJS9_EEE10hipError_tPvRmT3_T4_T5_T6_T7_T9_mT8_P12ihipStream_tbDpT10_ENKUlT_T0_E_clISt17integral_constantIbLb1EES1C_EEDaS17_S18_EUlS17_E_NS1_11comp_targetILNS1_3genE8ELNS1_11target_archE1030ELNS1_3gpuE2ELNS1_3repE0EEENS1_30default_config_static_selectorELNS0_4arch9wavefront6targetE0EEEvT1_.kd
    .uniform_work_group_size: 1
    .uses_dynamic_stack: false
    .vgpr_count:     0
    .vgpr_spill_count: 0
    .wavefront_size: 32
    .workgroup_processor_mode: 1
  - .args:
      - .offset:         0
        .size:           120
        .value_kind:     by_value
    .group_segment_fixed_size: 0
    .kernarg_segment_align: 8
    .kernarg_segment_size: 120
    .language:       OpenCL C
    .language_version:
      - 2
      - 0
    .max_flat_workgroup_size: 128
    .name:           _ZN7rocprim17ROCPRIM_400000_NS6detail17trampoline_kernelINS0_14default_configENS1_25partition_config_selectorILNS1_17partition_subalgoE9EllbEEZZNS1_14partition_implILS5_9ELb0ES3_jPlS8_PNS0_10empty_typeENS0_5tupleIJS8_S9_EEENSB_IJS8_SA_EEENS0_18inequality_wrapperIZN2at6native12_GLOBAL__N_124unique_dim_cuda_templateIN3c104HalfEEESt5tupleIJNSF_6TensorESM_SM_EERKSM_lbbbEUlllE0_EEPmJS9_EEE10hipError_tPvRmT3_T4_T5_T6_T7_T9_mT8_P12ihipStream_tbDpT10_ENKUlT_T0_E_clISt17integral_constantIbLb1EES1B_IbLb0EEEEDaS17_S18_EUlS17_E_NS1_11comp_targetILNS1_3genE0ELNS1_11target_archE4294967295ELNS1_3gpuE0ELNS1_3repE0EEENS1_30default_config_static_selectorELNS0_4arch9wavefront6targetE0EEEvT1_
    .private_segment_fixed_size: 0
    .sgpr_count:     0
    .sgpr_spill_count: 0
    .symbol:         _ZN7rocprim17ROCPRIM_400000_NS6detail17trampoline_kernelINS0_14default_configENS1_25partition_config_selectorILNS1_17partition_subalgoE9EllbEEZZNS1_14partition_implILS5_9ELb0ES3_jPlS8_PNS0_10empty_typeENS0_5tupleIJS8_S9_EEENSB_IJS8_SA_EEENS0_18inequality_wrapperIZN2at6native12_GLOBAL__N_124unique_dim_cuda_templateIN3c104HalfEEESt5tupleIJNSF_6TensorESM_SM_EERKSM_lbbbEUlllE0_EEPmJS9_EEE10hipError_tPvRmT3_T4_T5_T6_T7_T9_mT8_P12ihipStream_tbDpT10_ENKUlT_T0_E_clISt17integral_constantIbLb1EES1B_IbLb0EEEEDaS17_S18_EUlS17_E_NS1_11comp_targetILNS1_3genE0ELNS1_11target_archE4294967295ELNS1_3gpuE0ELNS1_3repE0EEENS1_30default_config_static_selectorELNS0_4arch9wavefront6targetE0EEEvT1_.kd
    .uniform_work_group_size: 1
    .uses_dynamic_stack: false
    .vgpr_count:     0
    .vgpr_spill_count: 0
    .wavefront_size: 32
    .workgroup_processor_mode: 1
  - .args:
      - .offset:         0
        .size:           120
        .value_kind:     by_value
    .group_segment_fixed_size: 0
    .kernarg_segment_align: 8
    .kernarg_segment_size: 120
    .language:       OpenCL C
    .language_version:
      - 2
      - 0
    .max_flat_workgroup_size: 512
    .name:           _ZN7rocprim17ROCPRIM_400000_NS6detail17trampoline_kernelINS0_14default_configENS1_25partition_config_selectorILNS1_17partition_subalgoE9EllbEEZZNS1_14partition_implILS5_9ELb0ES3_jPlS8_PNS0_10empty_typeENS0_5tupleIJS8_S9_EEENSB_IJS8_SA_EEENS0_18inequality_wrapperIZN2at6native12_GLOBAL__N_124unique_dim_cuda_templateIN3c104HalfEEESt5tupleIJNSF_6TensorESM_SM_EERKSM_lbbbEUlllE0_EEPmJS9_EEE10hipError_tPvRmT3_T4_T5_T6_T7_T9_mT8_P12ihipStream_tbDpT10_ENKUlT_T0_E_clISt17integral_constantIbLb1EES1B_IbLb0EEEEDaS17_S18_EUlS17_E_NS1_11comp_targetILNS1_3genE5ELNS1_11target_archE942ELNS1_3gpuE9ELNS1_3repE0EEENS1_30default_config_static_selectorELNS0_4arch9wavefront6targetE0EEEvT1_
    .private_segment_fixed_size: 0
    .sgpr_count:     0
    .sgpr_spill_count: 0
    .symbol:         _ZN7rocprim17ROCPRIM_400000_NS6detail17trampoline_kernelINS0_14default_configENS1_25partition_config_selectorILNS1_17partition_subalgoE9EllbEEZZNS1_14partition_implILS5_9ELb0ES3_jPlS8_PNS0_10empty_typeENS0_5tupleIJS8_S9_EEENSB_IJS8_SA_EEENS0_18inequality_wrapperIZN2at6native12_GLOBAL__N_124unique_dim_cuda_templateIN3c104HalfEEESt5tupleIJNSF_6TensorESM_SM_EERKSM_lbbbEUlllE0_EEPmJS9_EEE10hipError_tPvRmT3_T4_T5_T6_T7_T9_mT8_P12ihipStream_tbDpT10_ENKUlT_T0_E_clISt17integral_constantIbLb1EES1B_IbLb0EEEEDaS17_S18_EUlS17_E_NS1_11comp_targetILNS1_3genE5ELNS1_11target_archE942ELNS1_3gpuE9ELNS1_3repE0EEENS1_30default_config_static_selectorELNS0_4arch9wavefront6targetE0EEEvT1_.kd
    .uniform_work_group_size: 1
    .uses_dynamic_stack: false
    .vgpr_count:     0
    .vgpr_spill_count: 0
    .wavefront_size: 32
    .workgroup_processor_mode: 1
  - .args:
      - .offset:         0
        .size:           120
        .value_kind:     by_value
    .group_segment_fixed_size: 0
    .kernarg_segment_align: 8
    .kernarg_segment_size: 120
    .language:       OpenCL C
    .language_version:
      - 2
      - 0
    .max_flat_workgroup_size: 128
    .name:           _ZN7rocprim17ROCPRIM_400000_NS6detail17trampoline_kernelINS0_14default_configENS1_25partition_config_selectorILNS1_17partition_subalgoE9EllbEEZZNS1_14partition_implILS5_9ELb0ES3_jPlS8_PNS0_10empty_typeENS0_5tupleIJS8_S9_EEENSB_IJS8_SA_EEENS0_18inequality_wrapperIZN2at6native12_GLOBAL__N_124unique_dim_cuda_templateIN3c104HalfEEESt5tupleIJNSF_6TensorESM_SM_EERKSM_lbbbEUlllE0_EEPmJS9_EEE10hipError_tPvRmT3_T4_T5_T6_T7_T9_mT8_P12ihipStream_tbDpT10_ENKUlT_T0_E_clISt17integral_constantIbLb1EES1B_IbLb0EEEEDaS17_S18_EUlS17_E_NS1_11comp_targetILNS1_3genE4ELNS1_11target_archE910ELNS1_3gpuE8ELNS1_3repE0EEENS1_30default_config_static_selectorELNS0_4arch9wavefront6targetE0EEEvT1_
    .private_segment_fixed_size: 0
    .sgpr_count:     0
    .sgpr_spill_count: 0
    .symbol:         _ZN7rocprim17ROCPRIM_400000_NS6detail17trampoline_kernelINS0_14default_configENS1_25partition_config_selectorILNS1_17partition_subalgoE9EllbEEZZNS1_14partition_implILS5_9ELb0ES3_jPlS8_PNS0_10empty_typeENS0_5tupleIJS8_S9_EEENSB_IJS8_SA_EEENS0_18inequality_wrapperIZN2at6native12_GLOBAL__N_124unique_dim_cuda_templateIN3c104HalfEEESt5tupleIJNSF_6TensorESM_SM_EERKSM_lbbbEUlllE0_EEPmJS9_EEE10hipError_tPvRmT3_T4_T5_T6_T7_T9_mT8_P12ihipStream_tbDpT10_ENKUlT_T0_E_clISt17integral_constantIbLb1EES1B_IbLb0EEEEDaS17_S18_EUlS17_E_NS1_11comp_targetILNS1_3genE4ELNS1_11target_archE910ELNS1_3gpuE8ELNS1_3repE0EEENS1_30default_config_static_selectorELNS0_4arch9wavefront6targetE0EEEvT1_.kd
    .uniform_work_group_size: 1
    .uses_dynamic_stack: false
    .vgpr_count:     0
    .vgpr_spill_count: 0
    .wavefront_size: 32
    .workgroup_processor_mode: 1
  - .args:
      - .offset:         0
        .size:           120
        .value_kind:     by_value
    .group_segment_fixed_size: 0
    .kernarg_segment_align: 8
    .kernarg_segment_size: 120
    .language:       OpenCL C
    .language_version:
      - 2
      - 0
    .max_flat_workgroup_size: 128
    .name:           _ZN7rocprim17ROCPRIM_400000_NS6detail17trampoline_kernelINS0_14default_configENS1_25partition_config_selectorILNS1_17partition_subalgoE9EllbEEZZNS1_14partition_implILS5_9ELb0ES3_jPlS8_PNS0_10empty_typeENS0_5tupleIJS8_S9_EEENSB_IJS8_SA_EEENS0_18inequality_wrapperIZN2at6native12_GLOBAL__N_124unique_dim_cuda_templateIN3c104HalfEEESt5tupleIJNSF_6TensorESM_SM_EERKSM_lbbbEUlllE0_EEPmJS9_EEE10hipError_tPvRmT3_T4_T5_T6_T7_T9_mT8_P12ihipStream_tbDpT10_ENKUlT_T0_E_clISt17integral_constantIbLb1EES1B_IbLb0EEEEDaS17_S18_EUlS17_E_NS1_11comp_targetILNS1_3genE3ELNS1_11target_archE908ELNS1_3gpuE7ELNS1_3repE0EEENS1_30default_config_static_selectorELNS0_4arch9wavefront6targetE0EEEvT1_
    .private_segment_fixed_size: 0
    .sgpr_count:     0
    .sgpr_spill_count: 0
    .symbol:         _ZN7rocprim17ROCPRIM_400000_NS6detail17trampoline_kernelINS0_14default_configENS1_25partition_config_selectorILNS1_17partition_subalgoE9EllbEEZZNS1_14partition_implILS5_9ELb0ES3_jPlS8_PNS0_10empty_typeENS0_5tupleIJS8_S9_EEENSB_IJS8_SA_EEENS0_18inequality_wrapperIZN2at6native12_GLOBAL__N_124unique_dim_cuda_templateIN3c104HalfEEESt5tupleIJNSF_6TensorESM_SM_EERKSM_lbbbEUlllE0_EEPmJS9_EEE10hipError_tPvRmT3_T4_T5_T6_T7_T9_mT8_P12ihipStream_tbDpT10_ENKUlT_T0_E_clISt17integral_constantIbLb1EES1B_IbLb0EEEEDaS17_S18_EUlS17_E_NS1_11comp_targetILNS1_3genE3ELNS1_11target_archE908ELNS1_3gpuE7ELNS1_3repE0EEENS1_30default_config_static_selectorELNS0_4arch9wavefront6targetE0EEEvT1_.kd
    .uniform_work_group_size: 1
    .uses_dynamic_stack: false
    .vgpr_count:     0
    .vgpr_spill_count: 0
    .wavefront_size: 32
    .workgroup_processor_mode: 1
  - .args:
      - .offset:         0
        .size:           120
        .value_kind:     by_value
    .group_segment_fixed_size: 0
    .kernarg_segment_align: 8
    .kernarg_segment_size: 120
    .language:       OpenCL C
    .language_version:
      - 2
      - 0
    .max_flat_workgroup_size: 192
    .name:           _ZN7rocprim17ROCPRIM_400000_NS6detail17trampoline_kernelINS0_14default_configENS1_25partition_config_selectorILNS1_17partition_subalgoE9EllbEEZZNS1_14partition_implILS5_9ELb0ES3_jPlS8_PNS0_10empty_typeENS0_5tupleIJS8_S9_EEENSB_IJS8_SA_EEENS0_18inequality_wrapperIZN2at6native12_GLOBAL__N_124unique_dim_cuda_templateIN3c104HalfEEESt5tupleIJNSF_6TensorESM_SM_EERKSM_lbbbEUlllE0_EEPmJS9_EEE10hipError_tPvRmT3_T4_T5_T6_T7_T9_mT8_P12ihipStream_tbDpT10_ENKUlT_T0_E_clISt17integral_constantIbLb1EES1B_IbLb0EEEEDaS17_S18_EUlS17_E_NS1_11comp_targetILNS1_3genE2ELNS1_11target_archE906ELNS1_3gpuE6ELNS1_3repE0EEENS1_30default_config_static_selectorELNS0_4arch9wavefront6targetE0EEEvT1_
    .private_segment_fixed_size: 0
    .sgpr_count:     0
    .sgpr_spill_count: 0
    .symbol:         _ZN7rocprim17ROCPRIM_400000_NS6detail17trampoline_kernelINS0_14default_configENS1_25partition_config_selectorILNS1_17partition_subalgoE9EllbEEZZNS1_14partition_implILS5_9ELb0ES3_jPlS8_PNS0_10empty_typeENS0_5tupleIJS8_S9_EEENSB_IJS8_SA_EEENS0_18inequality_wrapperIZN2at6native12_GLOBAL__N_124unique_dim_cuda_templateIN3c104HalfEEESt5tupleIJNSF_6TensorESM_SM_EERKSM_lbbbEUlllE0_EEPmJS9_EEE10hipError_tPvRmT3_T4_T5_T6_T7_T9_mT8_P12ihipStream_tbDpT10_ENKUlT_T0_E_clISt17integral_constantIbLb1EES1B_IbLb0EEEEDaS17_S18_EUlS17_E_NS1_11comp_targetILNS1_3genE2ELNS1_11target_archE906ELNS1_3gpuE6ELNS1_3repE0EEENS1_30default_config_static_selectorELNS0_4arch9wavefront6targetE0EEEvT1_.kd
    .uniform_work_group_size: 1
    .uses_dynamic_stack: false
    .vgpr_count:     0
    .vgpr_spill_count: 0
    .wavefront_size: 32
    .workgroup_processor_mode: 1
  - .args:
      - .offset:         0
        .size:           120
        .value_kind:     by_value
    .group_segment_fixed_size: 0
    .kernarg_segment_align: 8
    .kernarg_segment_size: 120
    .language:       OpenCL C
    .language_version:
      - 2
      - 0
    .max_flat_workgroup_size: 384
    .name:           _ZN7rocprim17ROCPRIM_400000_NS6detail17trampoline_kernelINS0_14default_configENS1_25partition_config_selectorILNS1_17partition_subalgoE9EllbEEZZNS1_14partition_implILS5_9ELb0ES3_jPlS8_PNS0_10empty_typeENS0_5tupleIJS8_S9_EEENSB_IJS8_SA_EEENS0_18inequality_wrapperIZN2at6native12_GLOBAL__N_124unique_dim_cuda_templateIN3c104HalfEEESt5tupleIJNSF_6TensorESM_SM_EERKSM_lbbbEUlllE0_EEPmJS9_EEE10hipError_tPvRmT3_T4_T5_T6_T7_T9_mT8_P12ihipStream_tbDpT10_ENKUlT_T0_E_clISt17integral_constantIbLb1EES1B_IbLb0EEEEDaS17_S18_EUlS17_E_NS1_11comp_targetILNS1_3genE10ELNS1_11target_archE1200ELNS1_3gpuE4ELNS1_3repE0EEENS1_30default_config_static_selectorELNS0_4arch9wavefront6targetE0EEEvT1_
    .private_segment_fixed_size: 0
    .sgpr_count:     0
    .sgpr_spill_count: 0
    .symbol:         _ZN7rocprim17ROCPRIM_400000_NS6detail17trampoline_kernelINS0_14default_configENS1_25partition_config_selectorILNS1_17partition_subalgoE9EllbEEZZNS1_14partition_implILS5_9ELb0ES3_jPlS8_PNS0_10empty_typeENS0_5tupleIJS8_S9_EEENSB_IJS8_SA_EEENS0_18inequality_wrapperIZN2at6native12_GLOBAL__N_124unique_dim_cuda_templateIN3c104HalfEEESt5tupleIJNSF_6TensorESM_SM_EERKSM_lbbbEUlllE0_EEPmJS9_EEE10hipError_tPvRmT3_T4_T5_T6_T7_T9_mT8_P12ihipStream_tbDpT10_ENKUlT_T0_E_clISt17integral_constantIbLb1EES1B_IbLb0EEEEDaS17_S18_EUlS17_E_NS1_11comp_targetILNS1_3genE10ELNS1_11target_archE1200ELNS1_3gpuE4ELNS1_3repE0EEENS1_30default_config_static_selectorELNS0_4arch9wavefront6targetE0EEEvT1_.kd
    .uniform_work_group_size: 1
    .uses_dynamic_stack: false
    .vgpr_count:     0
    .vgpr_spill_count: 0
    .wavefront_size: 32
    .workgroup_processor_mode: 1
  - .args:
      - .offset:         0
        .size:           120
        .value_kind:     by_value
    .group_segment_fixed_size: 33804
    .kernarg_segment_align: 8
    .kernarg_segment_size: 120
    .language:       OpenCL C
    .language_version:
      - 2
      - 0
    .max_flat_workgroup_size: 512
    .name:           _ZN7rocprim17ROCPRIM_400000_NS6detail17trampoline_kernelINS0_14default_configENS1_25partition_config_selectorILNS1_17partition_subalgoE9EllbEEZZNS1_14partition_implILS5_9ELb0ES3_jPlS8_PNS0_10empty_typeENS0_5tupleIJS8_S9_EEENSB_IJS8_SA_EEENS0_18inequality_wrapperIZN2at6native12_GLOBAL__N_124unique_dim_cuda_templateIN3c104HalfEEESt5tupleIJNSF_6TensorESM_SM_EERKSM_lbbbEUlllE0_EEPmJS9_EEE10hipError_tPvRmT3_T4_T5_T6_T7_T9_mT8_P12ihipStream_tbDpT10_ENKUlT_T0_E_clISt17integral_constantIbLb1EES1B_IbLb0EEEEDaS17_S18_EUlS17_E_NS1_11comp_targetILNS1_3genE9ELNS1_11target_archE1100ELNS1_3gpuE3ELNS1_3repE0EEENS1_30default_config_static_selectorELNS0_4arch9wavefront6targetE0EEEvT1_
    .private_segment_fixed_size: 0
    .sgpr_count:     38
    .sgpr_spill_count: 0
    .symbol:         _ZN7rocprim17ROCPRIM_400000_NS6detail17trampoline_kernelINS0_14default_configENS1_25partition_config_selectorILNS1_17partition_subalgoE9EllbEEZZNS1_14partition_implILS5_9ELb0ES3_jPlS8_PNS0_10empty_typeENS0_5tupleIJS8_S9_EEENSB_IJS8_SA_EEENS0_18inequality_wrapperIZN2at6native12_GLOBAL__N_124unique_dim_cuda_templateIN3c104HalfEEESt5tupleIJNSF_6TensorESM_SM_EERKSM_lbbbEUlllE0_EEPmJS9_EEE10hipError_tPvRmT3_T4_T5_T6_T7_T9_mT8_P12ihipStream_tbDpT10_ENKUlT_T0_E_clISt17integral_constantIbLb1EES1B_IbLb0EEEEDaS17_S18_EUlS17_E_NS1_11comp_targetILNS1_3genE9ELNS1_11target_archE1100ELNS1_3gpuE3ELNS1_3repE0EEENS1_30default_config_static_selectorELNS0_4arch9wavefront6targetE0EEEvT1_.kd
    .uniform_work_group_size: 1
    .uses_dynamic_stack: false
    .vgpr_count:     68
    .vgpr_spill_count: 0
    .wavefront_size: 32
    .workgroup_processor_mode: 1
  - .args:
      - .offset:         0
        .size:           120
        .value_kind:     by_value
    .group_segment_fixed_size: 0
    .kernarg_segment_align: 8
    .kernarg_segment_size: 120
    .language:       OpenCL C
    .language_version:
      - 2
      - 0
    .max_flat_workgroup_size: 512
    .name:           _ZN7rocprim17ROCPRIM_400000_NS6detail17trampoline_kernelINS0_14default_configENS1_25partition_config_selectorILNS1_17partition_subalgoE9EllbEEZZNS1_14partition_implILS5_9ELb0ES3_jPlS8_PNS0_10empty_typeENS0_5tupleIJS8_S9_EEENSB_IJS8_SA_EEENS0_18inequality_wrapperIZN2at6native12_GLOBAL__N_124unique_dim_cuda_templateIN3c104HalfEEESt5tupleIJNSF_6TensorESM_SM_EERKSM_lbbbEUlllE0_EEPmJS9_EEE10hipError_tPvRmT3_T4_T5_T6_T7_T9_mT8_P12ihipStream_tbDpT10_ENKUlT_T0_E_clISt17integral_constantIbLb1EES1B_IbLb0EEEEDaS17_S18_EUlS17_E_NS1_11comp_targetILNS1_3genE8ELNS1_11target_archE1030ELNS1_3gpuE2ELNS1_3repE0EEENS1_30default_config_static_selectorELNS0_4arch9wavefront6targetE0EEEvT1_
    .private_segment_fixed_size: 0
    .sgpr_count:     0
    .sgpr_spill_count: 0
    .symbol:         _ZN7rocprim17ROCPRIM_400000_NS6detail17trampoline_kernelINS0_14default_configENS1_25partition_config_selectorILNS1_17partition_subalgoE9EllbEEZZNS1_14partition_implILS5_9ELb0ES3_jPlS8_PNS0_10empty_typeENS0_5tupleIJS8_S9_EEENSB_IJS8_SA_EEENS0_18inequality_wrapperIZN2at6native12_GLOBAL__N_124unique_dim_cuda_templateIN3c104HalfEEESt5tupleIJNSF_6TensorESM_SM_EERKSM_lbbbEUlllE0_EEPmJS9_EEE10hipError_tPvRmT3_T4_T5_T6_T7_T9_mT8_P12ihipStream_tbDpT10_ENKUlT_T0_E_clISt17integral_constantIbLb1EES1B_IbLb0EEEEDaS17_S18_EUlS17_E_NS1_11comp_targetILNS1_3genE8ELNS1_11target_archE1030ELNS1_3gpuE2ELNS1_3repE0EEENS1_30default_config_static_selectorELNS0_4arch9wavefront6targetE0EEEvT1_.kd
    .uniform_work_group_size: 1
    .uses_dynamic_stack: false
    .vgpr_count:     0
    .vgpr_spill_count: 0
    .wavefront_size: 32
    .workgroup_processor_mode: 1
  - .args:
      - .offset:         0
        .size:           136
        .value_kind:     by_value
    .group_segment_fixed_size: 0
    .kernarg_segment_align: 8
    .kernarg_segment_size: 136
    .language:       OpenCL C
    .language_version:
      - 2
      - 0
    .max_flat_workgroup_size: 128
    .name:           _ZN7rocprim17ROCPRIM_400000_NS6detail17trampoline_kernelINS0_14default_configENS1_25partition_config_selectorILNS1_17partition_subalgoE9EllbEEZZNS1_14partition_implILS5_9ELb0ES3_jPlS8_PNS0_10empty_typeENS0_5tupleIJS8_S9_EEENSB_IJS8_SA_EEENS0_18inequality_wrapperIZN2at6native12_GLOBAL__N_124unique_dim_cuda_templateIN3c104HalfEEESt5tupleIJNSF_6TensorESM_SM_EERKSM_lbbbEUlllE0_EEPmJS9_EEE10hipError_tPvRmT3_T4_T5_T6_T7_T9_mT8_P12ihipStream_tbDpT10_ENKUlT_T0_E_clISt17integral_constantIbLb0EES1B_IbLb1EEEEDaS17_S18_EUlS17_E_NS1_11comp_targetILNS1_3genE0ELNS1_11target_archE4294967295ELNS1_3gpuE0ELNS1_3repE0EEENS1_30default_config_static_selectorELNS0_4arch9wavefront6targetE0EEEvT1_
    .private_segment_fixed_size: 0
    .sgpr_count:     0
    .sgpr_spill_count: 0
    .symbol:         _ZN7rocprim17ROCPRIM_400000_NS6detail17trampoline_kernelINS0_14default_configENS1_25partition_config_selectorILNS1_17partition_subalgoE9EllbEEZZNS1_14partition_implILS5_9ELb0ES3_jPlS8_PNS0_10empty_typeENS0_5tupleIJS8_S9_EEENSB_IJS8_SA_EEENS0_18inequality_wrapperIZN2at6native12_GLOBAL__N_124unique_dim_cuda_templateIN3c104HalfEEESt5tupleIJNSF_6TensorESM_SM_EERKSM_lbbbEUlllE0_EEPmJS9_EEE10hipError_tPvRmT3_T4_T5_T6_T7_T9_mT8_P12ihipStream_tbDpT10_ENKUlT_T0_E_clISt17integral_constantIbLb0EES1B_IbLb1EEEEDaS17_S18_EUlS17_E_NS1_11comp_targetILNS1_3genE0ELNS1_11target_archE4294967295ELNS1_3gpuE0ELNS1_3repE0EEENS1_30default_config_static_selectorELNS0_4arch9wavefront6targetE0EEEvT1_.kd
    .uniform_work_group_size: 1
    .uses_dynamic_stack: false
    .vgpr_count:     0
    .vgpr_spill_count: 0
    .wavefront_size: 32
    .workgroup_processor_mode: 1
  - .args:
      - .offset:         0
        .size:           136
        .value_kind:     by_value
    .group_segment_fixed_size: 0
    .kernarg_segment_align: 8
    .kernarg_segment_size: 136
    .language:       OpenCL C
    .language_version:
      - 2
      - 0
    .max_flat_workgroup_size: 512
    .name:           _ZN7rocprim17ROCPRIM_400000_NS6detail17trampoline_kernelINS0_14default_configENS1_25partition_config_selectorILNS1_17partition_subalgoE9EllbEEZZNS1_14partition_implILS5_9ELb0ES3_jPlS8_PNS0_10empty_typeENS0_5tupleIJS8_S9_EEENSB_IJS8_SA_EEENS0_18inequality_wrapperIZN2at6native12_GLOBAL__N_124unique_dim_cuda_templateIN3c104HalfEEESt5tupleIJNSF_6TensorESM_SM_EERKSM_lbbbEUlllE0_EEPmJS9_EEE10hipError_tPvRmT3_T4_T5_T6_T7_T9_mT8_P12ihipStream_tbDpT10_ENKUlT_T0_E_clISt17integral_constantIbLb0EES1B_IbLb1EEEEDaS17_S18_EUlS17_E_NS1_11comp_targetILNS1_3genE5ELNS1_11target_archE942ELNS1_3gpuE9ELNS1_3repE0EEENS1_30default_config_static_selectorELNS0_4arch9wavefront6targetE0EEEvT1_
    .private_segment_fixed_size: 0
    .sgpr_count:     0
    .sgpr_spill_count: 0
    .symbol:         _ZN7rocprim17ROCPRIM_400000_NS6detail17trampoline_kernelINS0_14default_configENS1_25partition_config_selectorILNS1_17partition_subalgoE9EllbEEZZNS1_14partition_implILS5_9ELb0ES3_jPlS8_PNS0_10empty_typeENS0_5tupleIJS8_S9_EEENSB_IJS8_SA_EEENS0_18inequality_wrapperIZN2at6native12_GLOBAL__N_124unique_dim_cuda_templateIN3c104HalfEEESt5tupleIJNSF_6TensorESM_SM_EERKSM_lbbbEUlllE0_EEPmJS9_EEE10hipError_tPvRmT3_T4_T5_T6_T7_T9_mT8_P12ihipStream_tbDpT10_ENKUlT_T0_E_clISt17integral_constantIbLb0EES1B_IbLb1EEEEDaS17_S18_EUlS17_E_NS1_11comp_targetILNS1_3genE5ELNS1_11target_archE942ELNS1_3gpuE9ELNS1_3repE0EEENS1_30default_config_static_selectorELNS0_4arch9wavefront6targetE0EEEvT1_.kd
    .uniform_work_group_size: 1
    .uses_dynamic_stack: false
    .vgpr_count:     0
    .vgpr_spill_count: 0
    .wavefront_size: 32
    .workgroup_processor_mode: 1
  - .args:
      - .offset:         0
        .size:           136
        .value_kind:     by_value
    .group_segment_fixed_size: 0
    .kernarg_segment_align: 8
    .kernarg_segment_size: 136
    .language:       OpenCL C
    .language_version:
      - 2
      - 0
    .max_flat_workgroup_size: 128
    .name:           _ZN7rocprim17ROCPRIM_400000_NS6detail17trampoline_kernelINS0_14default_configENS1_25partition_config_selectorILNS1_17partition_subalgoE9EllbEEZZNS1_14partition_implILS5_9ELb0ES3_jPlS8_PNS0_10empty_typeENS0_5tupleIJS8_S9_EEENSB_IJS8_SA_EEENS0_18inequality_wrapperIZN2at6native12_GLOBAL__N_124unique_dim_cuda_templateIN3c104HalfEEESt5tupleIJNSF_6TensorESM_SM_EERKSM_lbbbEUlllE0_EEPmJS9_EEE10hipError_tPvRmT3_T4_T5_T6_T7_T9_mT8_P12ihipStream_tbDpT10_ENKUlT_T0_E_clISt17integral_constantIbLb0EES1B_IbLb1EEEEDaS17_S18_EUlS17_E_NS1_11comp_targetILNS1_3genE4ELNS1_11target_archE910ELNS1_3gpuE8ELNS1_3repE0EEENS1_30default_config_static_selectorELNS0_4arch9wavefront6targetE0EEEvT1_
    .private_segment_fixed_size: 0
    .sgpr_count:     0
    .sgpr_spill_count: 0
    .symbol:         _ZN7rocprim17ROCPRIM_400000_NS6detail17trampoline_kernelINS0_14default_configENS1_25partition_config_selectorILNS1_17partition_subalgoE9EllbEEZZNS1_14partition_implILS5_9ELb0ES3_jPlS8_PNS0_10empty_typeENS0_5tupleIJS8_S9_EEENSB_IJS8_SA_EEENS0_18inequality_wrapperIZN2at6native12_GLOBAL__N_124unique_dim_cuda_templateIN3c104HalfEEESt5tupleIJNSF_6TensorESM_SM_EERKSM_lbbbEUlllE0_EEPmJS9_EEE10hipError_tPvRmT3_T4_T5_T6_T7_T9_mT8_P12ihipStream_tbDpT10_ENKUlT_T0_E_clISt17integral_constantIbLb0EES1B_IbLb1EEEEDaS17_S18_EUlS17_E_NS1_11comp_targetILNS1_3genE4ELNS1_11target_archE910ELNS1_3gpuE8ELNS1_3repE0EEENS1_30default_config_static_selectorELNS0_4arch9wavefront6targetE0EEEvT1_.kd
    .uniform_work_group_size: 1
    .uses_dynamic_stack: false
    .vgpr_count:     0
    .vgpr_spill_count: 0
    .wavefront_size: 32
    .workgroup_processor_mode: 1
  - .args:
      - .offset:         0
        .size:           136
        .value_kind:     by_value
    .group_segment_fixed_size: 0
    .kernarg_segment_align: 8
    .kernarg_segment_size: 136
    .language:       OpenCL C
    .language_version:
      - 2
      - 0
    .max_flat_workgroup_size: 128
    .name:           _ZN7rocprim17ROCPRIM_400000_NS6detail17trampoline_kernelINS0_14default_configENS1_25partition_config_selectorILNS1_17partition_subalgoE9EllbEEZZNS1_14partition_implILS5_9ELb0ES3_jPlS8_PNS0_10empty_typeENS0_5tupleIJS8_S9_EEENSB_IJS8_SA_EEENS0_18inequality_wrapperIZN2at6native12_GLOBAL__N_124unique_dim_cuda_templateIN3c104HalfEEESt5tupleIJNSF_6TensorESM_SM_EERKSM_lbbbEUlllE0_EEPmJS9_EEE10hipError_tPvRmT3_T4_T5_T6_T7_T9_mT8_P12ihipStream_tbDpT10_ENKUlT_T0_E_clISt17integral_constantIbLb0EES1B_IbLb1EEEEDaS17_S18_EUlS17_E_NS1_11comp_targetILNS1_3genE3ELNS1_11target_archE908ELNS1_3gpuE7ELNS1_3repE0EEENS1_30default_config_static_selectorELNS0_4arch9wavefront6targetE0EEEvT1_
    .private_segment_fixed_size: 0
    .sgpr_count:     0
    .sgpr_spill_count: 0
    .symbol:         _ZN7rocprim17ROCPRIM_400000_NS6detail17trampoline_kernelINS0_14default_configENS1_25partition_config_selectorILNS1_17partition_subalgoE9EllbEEZZNS1_14partition_implILS5_9ELb0ES3_jPlS8_PNS0_10empty_typeENS0_5tupleIJS8_S9_EEENSB_IJS8_SA_EEENS0_18inequality_wrapperIZN2at6native12_GLOBAL__N_124unique_dim_cuda_templateIN3c104HalfEEESt5tupleIJNSF_6TensorESM_SM_EERKSM_lbbbEUlllE0_EEPmJS9_EEE10hipError_tPvRmT3_T4_T5_T6_T7_T9_mT8_P12ihipStream_tbDpT10_ENKUlT_T0_E_clISt17integral_constantIbLb0EES1B_IbLb1EEEEDaS17_S18_EUlS17_E_NS1_11comp_targetILNS1_3genE3ELNS1_11target_archE908ELNS1_3gpuE7ELNS1_3repE0EEENS1_30default_config_static_selectorELNS0_4arch9wavefront6targetE0EEEvT1_.kd
    .uniform_work_group_size: 1
    .uses_dynamic_stack: false
    .vgpr_count:     0
    .vgpr_spill_count: 0
    .wavefront_size: 32
    .workgroup_processor_mode: 1
  - .args:
      - .offset:         0
        .size:           136
        .value_kind:     by_value
    .group_segment_fixed_size: 0
    .kernarg_segment_align: 8
    .kernarg_segment_size: 136
    .language:       OpenCL C
    .language_version:
      - 2
      - 0
    .max_flat_workgroup_size: 192
    .name:           _ZN7rocprim17ROCPRIM_400000_NS6detail17trampoline_kernelINS0_14default_configENS1_25partition_config_selectorILNS1_17partition_subalgoE9EllbEEZZNS1_14partition_implILS5_9ELb0ES3_jPlS8_PNS0_10empty_typeENS0_5tupleIJS8_S9_EEENSB_IJS8_SA_EEENS0_18inequality_wrapperIZN2at6native12_GLOBAL__N_124unique_dim_cuda_templateIN3c104HalfEEESt5tupleIJNSF_6TensorESM_SM_EERKSM_lbbbEUlllE0_EEPmJS9_EEE10hipError_tPvRmT3_T4_T5_T6_T7_T9_mT8_P12ihipStream_tbDpT10_ENKUlT_T0_E_clISt17integral_constantIbLb0EES1B_IbLb1EEEEDaS17_S18_EUlS17_E_NS1_11comp_targetILNS1_3genE2ELNS1_11target_archE906ELNS1_3gpuE6ELNS1_3repE0EEENS1_30default_config_static_selectorELNS0_4arch9wavefront6targetE0EEEvT1_
    .private_segment_fixed_size: 0
    .sgpr_count:     0
    .sgpr_spill_count: 0
    .symbol:         _ZN7rocprim17ROCPRIM_400000_NS6detail17trampoline_kernelINS0_14default_configENS1_25partition_config_selectorILNS1_17partition_subalgoE9EllbEEZZNS1_14partition_implILS5_9ELb0ES3_jPlS8_PNS0_10empty_typeENS0_5tupleIJS8_S9_EEENSB_IJS8_SA_EEENS0_18inequality_wrapperIZN2at6native12_GLOBAL__N_124unique_dim_cuda_templateIN3c104HalfEEESt5tupleIJNSF_6TensorESM_SM_EERKSM_lbbbEUlllE0_EEPmJS9_EEE10hipError_tPvRmT3_T4_T5_T6_T7_T9_mT8_P12ihipStream_tbDpT10_ENKUlT_T0_E_clISt17integral_constantIbLb0EES1B_IbLb1EEEEDaS17_S18_EUlS17_E_NS1_11comp_targetILNS1_3genE2ELNS1_11target_archE906ELNS1_3gpuE6ELNS1_3repE0EEENS1_30default_config_static_selectorELNS0_4arch9wavefront6targetE0EEEvT1_.kd
    .uniform_work_group_size: 1
    .uses_dynamic_stack: false
    .vgpr_count:     0
    .vgpr_spill_count: 0
    .wavefront_size: 32
    .workgroup_processor_mode: 1
  - .args:
      - .offset:         0
        .size:           136
        .value_kind:     by_value
    .group_segment_fixed_size: 0
    .kernarg_segment_align: 8
    .kernarg_segment_size: 136
    .language:       OpenCL C
    .language_version:
      - 2
      - 0
    .max_flat_workgroup_size: 384
    .name:           _ZN7rocprim17ROCPRIM_400000_NS6detail17trampoline_kernelINS0_14default_configENS1_25partition_config_selectorILNS1_17partition_subalgoE9EllbEEZZNS1_14partition_implILS5_9ELb0ES3_jPlS8_PNS0_10empty_typeENS0_5tupleIJS8_S9_EEENSB_IJS8_SA_EEENS0_18inequality_wrapperIZN2at6native12_GLOBAL__N_124unique_dim_cuda_templateIN3c104HalfEEESt5tupleIJNSF_6TensorESM_SM_EERKSM_lbbbEUlllE0_EEPmJS9_EEE10hipError_tPvRmT3_T4_T5_T6_T7_T9_mT8_P12ihipStream_tbDpT10_ENKUlT_T0_E_clISt17integral_constantIbLb0EES1B_IbLb1EEEEDaS17_S18_EUlS17_E_NS1_11comp_targetILNS1_3genE10ELNS1_11target_archE1200ELNS1_3gpuE4ELNS1_3repE0EEENS1_30default_config_static_selectorELNS0_4arch9wavefront6targetE0EEEvT1_
    .private_segment_fixed_size: 0
    .sgpr_count:     0
    .sgpr_spill_count: 0
    .symbol:         _ZN7rocprim17ROCPRIM_400000_NS6detail17trampoline_kernelINS0_14default_configENS1_25partition_config_selectorILNS1_17partition_subalgoE9EllbEEZZNS1_14partition_implILS5_9ELb0ES3_jPlS8_PNS0_10empty_typeENS0_5tupleIJS8_S9_EEENSB_IJS8_SA_EEENS0_18inequality_wrapperIZN2at6native12_GLOBAL__N_124unique_dim_cuda_templateIN3c104HalfEEESt5tupleIJNSF_6TensorESM_SM_EERKSM_lbbbEUlllE0_EEPmJS9_EEE10hipError_tPvRmT3_T4_T5_T6_T7_T9_mT8_P12ihipStream_tbDpT10_ENKUlT_T0_E_clISt17integral_constantIbLb0EES1B_IbLb1EEEEDaS17_S18_EUlS17_E_NS1_11comp_targetILNS1_3genE10ELNS1_11target_archE1200ELNS1_3gpuE4ELNS1_3repE0EEENS1_30default_config_static_selectorELNS0_4arch9wavefront6targetE0EEEvT1_.kd
    .uniform_work_group_size: 1
    .uses_dynamic_stack: false
    .vgpr_count:     0
    .vgpr_spill_count: 0
    .wavefront_size: 32
    .workgroup_processor_mode: 1
  - .args:
      - .offset:         0
        .size:           136
        .value_kind:     by_value
    .group_segment_fixed_size: 33804
    .kernarg_segment_align: 8
    .kernarg_segment_size: 136
    .language:       OpenCL C
    .language_version:
      - 2
      - 0
    .max_flat_workgroup_size: 512
    .name:           _ZN7rocprim17ROCPRIM_400000_NS6detail17trampoline_kernelINS0_14default_configENS1_25partition_config_selectorILNS1_17partition_subalgoE9EllbEEZZNS1_14partition_implILS5_9ELb0ES3_jPlS8_PNS0_10empty_typeENS0_5tupleIJS8_S9_EEENSB_IJS8_SA_EEENS0_18inequality_wrapperIZN2at6native12_GLOBAL__N_124unique_dim_cuda_templateIN3c104HalfEEESt5tupleIJNSF_6TensorESM_SM_EERKSM_lbbbEUlllE0_EEPmJS9_EEE10hipError_tPvRmT3_T4_T5_T6_T7_T9_mT8_P12ihipStream_tbDpT10_ENKUlT_T0_E_clISt17integral_constantIbLb0EES1B_IbLb1EEEEDaS17_S18_EUlS17_E_NS1_11comp_targetILNS1_3genE9ELNS1_11target_archE1100ELNS1_3gpuE3ELNS1_3repE0EEENS1_30default_config_static_selectorELNS0_4arch9wavefront6targetE0EEEvT1_
    .private_segment_fixed_size: 0
    .sgpr_count:     42
    .sgpr_spill_count: 0
    .symbol:         _ZN7rocprim17ROCPRIM_400000_NS6detail17trampoline_kernelINS0_14default_configENS1_25partition_config_selectorILNS1_17partition_subalgoE9EllbEEZZNS1_14partition_implILS5_9ELb0ES3_jPlS8_PNS0_10empty_typeENS0_5tupleIJS8_S9_EEENSB_IJS8_SA_EEENS0_18inequality_wrapperIZN2at6native12_GLOBAL__N_124unique_dim_cuda_templateIN3c104HalfEEESt5tupleIJNSF_6TensorESM_SM_EERKSM_lbbbEUlllE0_EEPmJS9_EEE10hipError_tPvRmT3_T4_T5_T6_T7_T9_mT8_P12ihipStream_tbDpT10_ENKUlT_T0_E_clISt17integral_constantIbLb0EES1B_IbLb1EEEEDaS17_S18_EUlS17_E_NS1_11comp_targetILNS1_3genE9ELNS1_11target_archE1100ELNS1_3gpuE3ELNS1_3repE0EEENS1_30default_config_static_selectorELNS0_4arch9wavefront6targetE0EEEvT1_.kd
    .uniform_work_group_size: 1
    .uses_dynamic_stack: false
    .vgpr_count:     68
    .vgpr_spill_count: 0
    .wavefront_size: 32
    .workgroup_processor_mode: 1
  - .args:
      - .offset:         0
        .size:           136
        .value_kind:     by_value
    .group_segment_fixed_size: 0
    .kernarg_segment_align: 8
    .kernarg_segment_size: 136
    .language:       OpenCL C
    .language_version:
      - 2
      - 0
    .max_flat_workgroup_size: 512
    .name:           _ZN7rocprim17ROCPRIM_400000_NS6detail17trampoline_kernelINS0_14default_configENS1_25partition_config_selectorILNS1_17partition_subalgoE9EllbEEZZNS1_14partition_implILS5_9ELb0ES3_jPlS8_PNS0_10empty_typeENS0_5tupleIJS8_S9_EEENSB_IJS8_SA_EEENS0_18inequality_wrapperIZN2at6native12_GLOBAL__N_124unique_dim_cuda_templateIN3c104HalfEEESt5tupleIJNSF_6TensorESM_SM_EERKSM_lbbbEUlllE0_EEPmJS9_EEE10hipError_tPvRmT3_T4_T5_T6_T7_T9_mT8_P12ihipStream_tbDpT10_ENKUlT_T0_E_clISt17integral_constantIbLb0EES1B_IbLb1EEEEDaS17_S18_EUlS17_E_NS1_11comp_targetILNS1_3genE8ELNS1_11target_archE1030ELNS1_3gpuE2ELNS1_3repE0EEENS1_30default_config_static_selectorELNS0_4arch9wavefront6targetE0EEEvT1_
    .private_segment_fixed_size: 0
    .sgpr_count:     0
    .sgpr_spill_count: 0
    .symbol:         _ZN7rocprim17ROCPRIM_400000_NS6detail17trampoline_kernelINS0_14default_configENS1_25partition_config_selectorILNS1_17partition_subalgoE9EllbEEZZNS1_14partition_implILS5_9ELb0ES3_jPlS8_PNS0_10empty_typeENS0_5tupleIJS8_S9_EEENSB_IJS8_SA_EEENS0_18inequality_wrapperIZN2at6native12_GLOBAL__N_124unique_dim_cuda_templateIN3c104HalfEEESt5tupleIJNSF_6TensorESM_SM_EERKSM_lbbbEUlllE0_EEPmJS9_EEE10hipError_tPvRmT3_T4_T5_T6_T7_T9_mT8_P12ihipStream_tbDpT10_ENKUlT_T0_E_clISt17integral_constantIbLb0EES1B_IbLb1EEEEDaS17_S18_EUlS17_E_NS1_11comp_targetILNS1_3genE8ELNS1_11target_archE1030ELNS1_3gpuE2ELNS1_3repE0EEENS1_30default_config_static_selectorELNS0_4arch9wavefront6targetE0EEEvT1_.kd
    .uniform_work_group_size: 1
    .uses_dynamic_stack: false
    .vgpr_count:     0
    .vgpr_spill_count: 0
    .wavefront_size: 32
    .workgroup_processor_mode: 1
  - .args:
      - .offset:         0
        .size:           72
        .value_kind:     by_value
    .group_segment_fixed_size: 0
    .kernarg_segment_align: 8
    .kernarg_segment_size: 72
    .language:       OpenCL C
    .language_version:
      - 2
      - 0
    .max_flat_workgroup_size: 256
    .name:           _ZN7rocprim17ROCPRIM_400000_NS6detail17trampoline_kernelINS0_14default_configENS1_37merge_sort_block_sort_config_selectorIlNS0_10empty_typeEEEZNS1_21merge_sort_block_sortIS3_PlS8_PS5_S9_ZN2at6native12_GLOBAL__N_124unique_dim_cuda_templateItEESt5tupleIJNSA_6TensorESF_SF_EERKSF_lbbbEUlllE_EE10hipError_tT0_T1_T2_T3_mRjT4_P12ihipStream_tbNS1_7vsmem_tEEUlT_E_NS1_11comp_targetILNS1_3genE0ELNS1_11target_archE4294967295ELNS1_3gpuE0ELNS1_3repE0EEENS1_30default_config_static_selectorELNS0_4arch9wavefront6targetE0EEEvSM_
    .private_segment_fixed_size: 0
    .sgpr_count:     0
    .sgpr_spill_count: 0
    .symbol:         _ZN7rocprim17ROCPRIM_400000_NS6detail17trampoline_kernelINS0_14default_configENS1_37merge_sort_block_sort_config_selectorIlNS0_10empty_typeEEEZNS1_21merge_sort_block_sortIS3_PlS8_PS5_S9_ZN2at6native12_GLOBAL__N_124unique_dim_cuda_templateItEESt5tupleIJNSA_6TensorESF_SF_EERKSF_lbbbEUlllE_EE10hipError_tT0_T1_T2_T3_mRjT4_P12ihipStream_tbNS1_7vsmem_tEEUlT_E_NS1_11comp_targetILNS1_3genE0ELNS1_11target_archE4294967295ELNS1_3gpuE0ELNS1_3repE0EEENS1_30default_config_static_selectorELNS0_4arch9wavefront6targetE0EEEvSM_.kd
    .uniform_work_group_size: 1
    .uses_dynamic_stack: false
    .vgpr_count:     0
    .vgpr_spill_count: 0
    .wavefront_size: 32
    .workgroup_processor_mode: 1
  - .args:
      - .offset:         0
        .size:           72
        .value_kind:     by_value
    .group_segment_fixed_size: 0
    .kernarg_segment_align: 8
    .kernarg_segment_size: 72
    .language:       OpenCL C
    .language_version:
      - 2
      - 0
    .max_flat_workgroup_size: 256
    .name:           _ZN7rocprim17ROCPRIM_400000_NS6detail17trampoline_kernelINS0_14default_configENS1_37merge_sort_block_sort_config_selectorIlNS0_10empty_typeEEEZNS1_21merge_sort_block_sortIS3_PlS8_PS5_S9_ZN2at6native12_GLOBAL__N_124unique_dim_cuda_templateItEESt5tupleIJNSA_6TensorESF_SF_EERKSF_lbbbEUlllE_EE10hipError_tT0_T1_T2_T3_mRjT4_P12ihipStream_tbNS1_7vsmem_tEEUlT_E_NS1_11comp_targetILNS1_3genE5ELNS1_11target_archE942ELNS1_3gpuE9ELNS1_3repE0EEENS1_30default_config_static_selectorELNS0_4arch9wavefront6targetE0EEEvSM_
    .private_segment_fixed_size: 0
    .sgpr_count:     0
    .sgpr_spill_count: 0
    .symbol:         _ZN7rocprim17ROCPRIM_400000_NS6detail17trampoline_kernelINS0_14default_configENS1_37merge_sort_block_sort_config_selectorIlNS0_10empty_typeEEEZNS1_21merge_sort_block_sortIS3_PlS8_PS5_S9_ZN2at6native12_GLOBAL__N_124unique_dim_cuda_templateItEESt5tupleIJNSA_6TensorESF_SF_EERKSF_lbbbEUlllE_EE10hipError_tT0_T1_T2_T3_mRjT4_P12ihipStream_tbNS1_7vsmem_tEEUlT_E_NS1_11comp_targetILNS1_3genE5ELNS1_11target_archE942ELNS1_3gpuE9ELNS1_3repE0EEENS1_30default_config_static_selectorELNS0_4arch9wavefront6targetE0EEEvSM_.kd
    .uniform_work_group_size: 1
    .uses_dynamic_stack: false
    .vgpr_count:     0
    .vgpr_spill_count: 0
    .wavefront_size: 32
    .workgroup_processor_mode: 1
  - .args:
      - .offset:         0
        .size:           72
        .value_kind:     by_value
    .group_segment_fixed_size: 0
    .kernarg_segment_align: 8
    .kernarg_segment_size: 72
    .language:       OpenCL C
    .language_version:
      - 2
      - 0
    .max_flat_workgroup_size: 256
    .name:           _ZN7rocprim17ROCPRIM_400000_NS6detail17trampoline_kernelINS0_14default_configENS1_37merge_sort_block_sort_config_selectorIlNS0_10empty_typeEEEZNS1_21merge_sort_block_sortIS3_PlS8_PS5_S9_ZN2at6native12_GLOBAL__N_124unique_dim_cuda_templateItEESt5tupleIJNSA_6TensorESF_SF_EERKSF_lbbbEUlllE_EE10hipError_tT0_T1_T2_T3_mRjT4_P12ihipStream_tbNS1_7vsmem_tEEUlT_E_NS1_11comp_targetILNS1_3genE4ELNS1_11target_archE910ELNS1_3gpuE8ELNS1_3repE0EEENS1_30default_config_static_selectorELNS0_4arch9wavefront6targetE0EEEvSM_
    .private_segment_fixed_size: 0
    .sgpr_count:     0
    .sgpr_spill_count: 0
    .symbol:         _ZN7rocprim17ROCPRIM_400000_NS6detail17trampoline_kernelINS0_14default_configENS1_37merge_sort_block_sort_config_selectorIlNS0_10empty_typeEEEZNS1_21merge_sort_block_sortIS3_PlS8_PS5_S9_ZN2at6native12_GLOBAL__N_124unique_dim_cuda_templateItEESt5tupleIJNSA_6TensorESF_SF_EERKSF_lbbbEUlllE_EE10hipError_tT0_T1_T2_T3_mRjT4_P12ihipStream_tbNS1_7vsmem_tEEUlT_E_NS1_11comp_targetILNS1_3genE4ELNS1_11target_archE910ELNS1_3gpuE8ELNS1_3repE0EEENS1_30default_config_static_selectorELNS0_4arch9wavefront6targetE0EEEvSM_.kd
    .uniform_work_group_size: 1
    .uses_dynamic_stack: false
    .vgpr_count:     0
    .vgpr_spill_count: 0
    .wavefront_size: 32
    .workgroup_processor_mode: 1
  - .args:
      - .offset:         0
        .size:           72
        .value_kind:     by_value
    .group_segment_fixed_size: 0
    .kernarg_segment_align: 8
    .kernarg_segment_size: 72
    .language:       OpenCL C
    .language_version:
      - 2
      - 0
    .max_flat_workgroup_size: 256
    .name:           _ZN7rocprim17ROCPRIM_400000_NS6detail17trampoline_kernelINS0_14default_configENS1_37merge_sort_block_sort_config_selectorIlNS0_10empty_typeEEEZNS1_21merge_sort_block_sortIS3_PlS8_PS5_S9_ZN2at6native12_GLOBAL__N_124unique_dim_cuda_templateItEESt5tupleIJNSA_6TensorESF_SF_EERKSF_lbbbEUlllE_EE10hipError_tT0_T1_T2_T3_mRjT4_P12ihipStream_tbNS1_7vsmem_tEEUlT_E_NS1_11comp_targetILNS1_3genE3ELNS1_11target_archE908ELNS1_3gpuE7ELNS1_3repE0EEENS1_30default_config_static_selectorELNS0_4arch9wavefront6targetE0EEEvSM_
    .private_segment_fixed_size: 0
    .sgpr_count:     0
    .sgpr_spill_count: 0
    .symbol:         _ZN7rocprim17ROCPRIM_400000_NS6detail17trampoline_kernelINS0_14default_configENS1_37merge_sort_block_sort_config_selectorIlNS0_10empty_typeEEEZNS1_21merge_sort_block_sortIS3_PlS8_PS5_S9_ZN2at6native12_GLOBAL__N_124unique_dim_cuda_templateItEESt5tupleIJNSA_6TensorESF_SF_EERKSF_lbbbEUlllE_EE10hipError_tT0_T1_T2_T3_mRjT4_P12ihipStream_tbNS1_7vsmem_tEEUlT_E_NS1_11comp_targetILNS1_3genE3ELNS1_11target_archE908ELNS1_3gpuE7ELNS1_3repE0EEENS1_30default_config_static_selectorELNS0_4arch9wavefront6targetE0EEEvSM_.kd
    .uniform_work_group_size: 1
    .uses_dynamic_stack: false
    .vgpr_count:     0
    .vgpr_spill_count: 0
    .wavefront_size: 32
    .workgroup_processor_mode: 1
  - .args:
      - .offset:         0
        .size:           72
        .value_kind:     by_value
    .group_segment_fixed_size: 0
    .kernarg_segment_align: 8
    .kernarg_segment_size: 72
    .language:       OpenCL C
    .language_version:
      - 2
      - 0
    .max_flat_workgroup_size: 256
    .name:           _ZN7rocprim17ROCPRIM_400000_NS6detail17trampoline_kernelINS0_14default_configENS1_37merge_sort_block_sort_config_selectorIlNS0_10empty_typeEEEZNS1_21merge_sort_block_sortIS3_PlS8_PS5_S9_ZN2at6native12_GLOBAL__N_124unique_dim_cuda_templateItEESt5tupleIJNSA_6TensorESF_SF_EERKSF_lbbbEUlllE_EE10hipError_tT0_T1_T2_T3_mRjT4_P12ihipStream_tbNS1_7vsmem_tEEUlT_E_NS1_11comp_targetILNS1_3genE2ELNS1_11target_archE906ELNS1_3gpuE6ELNS1_3repE0EEENS1_30default_config_static_selectorELNS0_4arch9wavefront6targetE0EEEvSM_
    .private_segment_fixed_size: 0
    .sgpr_count:     0
    .sgpr_spill_count: 0
    .symbol:         _ZN7rocprim17ROCPRIM_400000_NS6detail17trampoline_kernelINS0_14default_configENS1_37merge_sort_block_sort_config_selectorIlNS0_10empty_typeEEEZNS1_21merge_sort_block_sortIS3_PlS8_PS5_S9_ZN2at6native12_GLOBAL__N_124unique_dim_cuda_templateItEESt5tupleIJNSA_6TensorESF_SF_EERKSF_lbbbEUlllE_EE10hipError_tT0_T1_T2_T3_mRjT4_P12ihipStream_tbNS1_7vsmem_tEEUlT_E_NS1_11comp_targetILNS1_3genE2ELNS1_11target_archE906ELNS1_3gpuE6ELNS1_3repE0EEENS1_30default_config_static_selectorELNS0_4arch9wavefront6targetE0EEEvSM_.kd
    .uniform_work_group_size: 1
    .uses_dynamic_stack: false
    .vgpr_count:     0
    .vgpr_spill_count: 0
    .wavefront_size: 32
    .workgroup_processor_mode: 1
  - .args:
      - .offset:         0
        .size:           72
        .value_kind:     by_value
    .group_segment_fixed_size: 0
    .kernarg_segment_align: 8
    .kernarg_segment_size: 72
    .language:       OpenCL C
    .language_version:
      - 2
      - 0
    .max_flat_workgroup_size: 256
    .name:           _ZN7rocprim17ROCPRIM_400000_NS6detail17trampoline_kernelINS0_14default_configENS1_37merge_sort_block_sort_config_selectorIlNS0_10empty_typeEEEZNS1_21merge_sort_block_sortIS3_PlS8_PS5_S9_ZN2at6native12_GLOBAL__N_124unique_dim_cuda_templateItEESt5tupleIJNSA_6TensorESF_SF_EERKSF_lbbbEUlllE_EE10hipError_tT0_T1_T2_T3_mRjT4_P12ihipStream_tbNS1_7vsmem_tEEUlT_E_NS1_11comp_targetILNS1_3genE10ELNS1_11target_archE1201ELNS1_3gpuE5ELNS1_3repE0EEENS1_30default_config_static_selectorELNS0_4arch9wavefront6targetE0EEEvSM_
    .private_segment_fixed_size: 0
    .sgpr_count:     0
    .sgpr_spill_count: 0
    .symbol:         _ZN7rocprim17ROCPRIM_400000_NS6detail17trampoline_kernelINS0_14default_configENS1_37merge_sort_block_sort_config_selectorIlNS0_10empty_typeEEEZNS1_21merge_sort_block_sortIS3_PlS8_PS5_S9_ZN2at6native12_GLOBAL__N_124unique_dim_cuda_templateItEESt5tupleIJNSA_6TensorESF_SF_EERKSF_lbbbEUlllE_EE10hipError_tT0_T1_T2_T3_mRjT4_P12ihipStream_tbNS1_7vsmem_tEEUlT_E_NS1_11comp_targetILNS1_3genE10ELNS1_11target_archE1201ELNS1_3gpuE5ELNS1_3repE0EEENS1_30default_config_static_selectorELNS0_4arch9wavefront6targetE0EEEvSM_.kd
    .uniform_work_group_size: 1
    .uses_dynamic_stack: false
    .vgpr_count:     0
    .vgpr_spill_count: 0
    .wavefront_size: 32
    .workgroup_processor_mode: 1
  - .args:
      - .offset:         0
        .size:           72
        .value_kind:     by_value
    .group_segment_fixed_size: 0
    .kernarg_segment_align: 8
    .kernarg_segment_size: 72
    .language:       OpenCL C
    .language_version:
      - 2
      - 0
    .max_flat_workgroup_size: 512
    .name:           _ZN7rocprim17ROCPRIM_400000_NS6detail17trampoline_kernelINS0_14default_configENS1_37merge_sort_block_sort_config_selectorIlNS0_10empty_typeEEEZNS1_21merge_sort_block_sortIS3_PlS8_PS5_S9_ZN2at6native12_GLOBAL__N_124unique_dim_cuda_templateItEESt5tupleIJNSA_6TensorESF_SF_EERKSF_lbbbEUlllE_EE10hipError_tT0_T1_T2_T3_mRjT4_P12ihipStream_tbNS1_7vsmem_tEEUlT_E_NS1_11comp_targetILNS1_3genE10ELNS1_11target_archE1200ELNS1_3gpuE4ELNS1_3repE0EEENS1_30default_config_static_selectorELNS0_4arch9wavefront6targetE0EEEvSM_
    .private_segment_fixed_size: 0
    .sgpr_count:     0
    .sgpr_spill_count: 0
    .symbol:         _ZN7rocprim17ROCPRIM_400000_NS6detail17trampoline_kernelINS0_14default_configENS1_37merge_sort_block_sort_config_selectorIlNS0_10empty_typeEEEZNS1_21merge_sort_block_sortIS3_PlS8_PS5_S9_ZN2at6native12_GLOBAL__N_124unique_dim_cuda_templateItEESt5tupleIJNSA_6TensorESF_SF_EERKSF_lbbbEUlllE_EE10hipError_tT0_T1_T2_T3_mRjT4_P12ihipStream_tbNS1_7vsmem_tEEUlT_E_NS1_11comp_targetILNS1_3genE10ELNS1_11target_archE1200ELNS1_3gpuE4ELNS1_3repE0EEENS1_30default_config_static_selectorELNS0_4arch9wavefront6targetE0EEEvSM_.kd
    .uniform_work_group_size: 1
    .uses_dynamic_stack: false
    .vgpr_count:     0
    .vgpr_spill_count: 0
    .wavefront_size: 32
    .workgroup_processor_mode: 1
  - .args:
      - .offset:         0
        .size:           72
        .value_kind:     by_value
      - .offset:         72
        .size:           4
        .value_kind:     hidden_block_count_x
      - .offset:         76
        .size:           4
        .value_kind:     hidden_block_count_y
      - .offset:         80
        .size:           4
        .value_kind:     hidden_block_count_z
      - .offset:         84
        .size:           2
        .value_kind:     hidden_group_size_x
      - .offset:         86
        .size:           2
        .value_kind:     hidden_group_size_y
      - .offset:         88
        .size:           2
        .value_kind:     hidden_group_size_z
      - .offset:         90
        .size:           2
        .value_kind:     hidden_remainder_x
      - .offset:         92
        .size:           2
        .value_kind:     hidden_remainder_y
      - .offset:         94
        .size:           2
        .value_kind:     hidden_remainder_z
      - .offset:         112
        .size:           8
        .value_kind:     hidden_global_offset_x
      - .offset:         120
        .size:           8
        .value_kind:     hidden_global_offset_y
      - .offset:         128
        .size:           8
        .value_kind:     hidden_global_offset_z
      - .offset:         136
        .size:           2
        .value_kind:     hidden_grid_dims
    .group_segment_fixed_size: 8448
    .kernarg_segment_align: 8
    .kernarg_segment_size: 328
    .language:       OpenCL C
    .language_version:
      - 2
      - 0
    .max_flat_workgroup_size: 256
    .name:           _ZN7rocprim17ROCPRIM_400000_NS6detail17trampoline_kernelINS0_14default_configENS1_37merge_sort_block_sort_config_selectorIlNS0_10empty_typeEEEZNS1_21merge_sort_block_sortIS3_PlS8_PS5_S9_ZN2at6native12_GLOBAL__N_124unique_dim_cuda_templateItEESt5tupleIJNSA_6TensorESF_SF_EERKSF_lbbbEUlllE_EE10hipError_tT0_T1_T2_T3_mRjT4_P12ihipStream_tbNS1_7vsmem_tEEUlT_E_NS1_11comp_targetILNS1_3genE9ELNS1_11target_archE1100ELNS1_3gpuE3ELNS1_3repE0EEENS1_30default_config_static_selectorELNS0_4arch9wavefront6targetE0EEEvSM_
    .private_segment_fixed_size: 0
    .sgpr_count:     34
    .sgpr_spill_count: 0
    .symbol:         _ZN7rocprim17ROCPRIM_400000_NS6detail17trampoline_kernelINS0_14default_configENS1_37merge_sort_block_sort_config_selectorIlNS0_10empty_typeEEEZNS1_21merge_sort_block_sortIS3_PlS8_PS5_S9_ZN2at6native12_GLOBAL__N_124unique_dim_cuda_templateItEESt5tupleIJNSA_6TensorESF_SF_EERKSF_lbbbEUlllE_EE10hipError_tT0_T1_T2_T3_mRjT4_P12ihipStream_tbNS1_7vsmem_tEEUlT_E_NS1_11comp_targetILNS1_3genE9ELNS1_11target_archE1100ELNS1_3gpuE3ELNS1_3repE0EEENS1_30default_config_static_selectorELNS0_4arch9wavefront6targetE0EEEvSM_.kd
    .uniform_work_group_size: 1
    .uses_dynamic_stack: false
    .vgpr_count:     49
    .vgpr_spill_count: 0
    .wavefront_size: 32
    .workgroup_processor_mode: 1
  - .args:
      - .offset:         0
        .size:           72
        .value_kind:     by_value
    .group_segment_fixed_size: 0
    .kernarg_segment_align: 8
    .kernarg_segment_size: 72
    .language:       OpenCL C
    .language_version:
      - 2
      - 0
    .max_flat_workgroup_size: 256
    .name:           _ZN7rocprim17ROCPRIM_400000_NS6detail17trampoline_kernelINS0_14default_configENS1_37merge_sort_block_sort_config_selectorIlNS0_10empty_typeEEEZNS1_21merge_sort_block_sortIS3_PlS8_PS5_S9_ZN2at6native12_GLOBAL__N_124unique_dim_cuda_templateItEESt5tupleIJNSA_6TensorESF_SF_EERKSF_lbbbEUlllE_EE10hipError_tT0_T1_T2_T3_mRjT4_P12ihipStream_tbNS1_7vsmem_tEEUlT_E_NS1_11comp_targetILNS1_3genE8ELNS1_11target_archE1030ELNS1_3gpuE2ELNS1_3repE0EEENS1_30default_config_static_selectorELNS0_4arch9wavefront6targetE0EEEvSM_
    .private_segment_fixed_size: 0
    .sgpr_count:     0
    .sgpr_spill_count: 0
    .symbol:         _ZN7rocprim17ROCPRIM_400000_NS6detail17trampoline_kernelINS0_14default_configENS1_37merge_sort_block_sort_config_selectorIlNS0_10empty_typeEEEZNS1_21merge_sort_block_sortIS3_PlS8_PS5_S9_ZN2at6native12_GLOBAL__N_124unique_dim_cuda_templateItEESt5tupleIJNSA_6TensorESF_SF_EERKSF_lbbbEUlllE_EE10hipError_tT0_T1_T2_T3_mRjT4_P12ihipStream_tbNS1_7vsmem_tEEUlT_E_NS1_11comp_targetILNS1_3genE8ELNS1_11target_archE1030ELNS1_3gpuE2ELNS1_3repE0EEENS1_30default_config_static_selectorELNS0_4arch9wavefront6targetE0EEEvSM_.kd
    .uniform_work_group_size: 1
    .uses_dynamic_stack: false
    .vgpr_count:     0
    .vgpr_spill_count: 0
    .wavefront_size: 32
    .workgroup_processor_mode: 1
  - .args:
      - .offset:         0
        .size:           56
        .value_kind:     by_value
    .group_segment_fixed_size: 0
    .kernarg_segment_align: 8
    .kernarg_segment_size: 56
    .language:       OpenCL C
    .language_version:
      - 2
      - 0
    .max_flat_workgroup_size: 128
    .name:           _ZN7rocprim17ROCPRIM_400000_NS6detail17trampoline_kernelINS0_14default_configENS1_38merge_sort_block_merge_config_selectorIlNS0_10empty_typeEEEZZNS1_27merge_sort_block_merge_implIS3_PlPS5_mZN2at6native12_GLOBAL__N_124unique_dim_cuda_templateItEESt5tupleIJNSA_6TensorESF_SF_EERKSF_lbbbEUlllE_EE10hipError_tT0_T1_T2_jT3_P12ihipStream_tbPNSt15iterator_traitsISL_E10value_typeEPNSR_ISM_E10value_typeEPSN_NS1_7vsmem_tEENKUlT_SL_SM_SN_E_clIS8_S8_S9_S9_EESK_S10_SL_SM_SN_EUlS10_E_NS1_11comp_targetILNS1_3genE0ELNS1_11target_archE4294967295ELNS1_3gpuE0ELNS1_3repE0EEENS1_48merge_mergepath_partition_config_static_selectorELNS0_4arch9wavefront6targetE0EEEvSM_
    .private_segment_fixed_size: 0
    .sgpr_count:     0
    .sgpr_spill_count: 0
    .symbol:         _ZN7rocprim17ROCPRIM_400000_NS6detail17trampoline_kernelINS0_14default_configENS1_38merge_sort_block_merge_config_selectorIlNS0_10empty_typeEEEZZNS1_27merge_sort_block_merge_implIS3_PlPS5_mZN2at6native12_GLOBAL__N_124unique_dim_cuda_templateItEESt5tupleIJNSA_6TensorESF_SF_EERKSF_lbbbEUlllE_EE10hipError_tT0_T1_T2_jT3_P12ihipStream_tbPNSt15iterator_traitsISL_E10value_typeEPNSR_ISM_E10value_typeEPSN_NS1_7vsmem_tEENKUlT_SL_SM_SN_E_clIS8_S8_S9_S9_EESK_S10_SL_SM_SN_EUlS10_E_NS1_11comp_targetILNS1_3genE0ELNS1_11target_archE4294967295ELNS1_3gpuE0ELNS1_3repE0EEENS1_48merge_mergepath_partition_config_static_selectorELNS0_4arch9wavefront6targetE0EEEvSM_.kd
    .uniform_work_group_size: 1
    .uses_dynamic_stack: false
    .vgpr_count:     0
    .vgpr_spill_count: 0
    .wavefront_size: 32
    .workgroup_processor_mode: 1
  - .args:
      - .offset:         0
        .size:           56
        .value_kind:     by_value
    .group_segment_fixed_size: 0
    .kernarg_segment_align: 8
    .kernarg_segment_size: 56
    .language:       OpenCL C
    .language_version:
      - 2
      - 0
    .max_flat_workgroup_size: 128
    .name:           _ZN7rocprim17ROCPRIM_400000_NS6detail17trampoline_kernelINS0_14default_configENS1_38merge_sort_block_merge_config_selectorIlNS0_10empty_typeEEEZZNS1_27merge_sort_block_merge_implIS3_PlPS5_mZN2at6native12_GLOBAL__N_124unique_dim_cuda_templateItEESt5tupleIJNSA_6TensorESF_SF_EERKSF_lbbbEUlllE_EE10hipError_tT0_T1_T2_jT3_P12ihipStream_tbPNSt15iterator_traitsISL_E10value_typeEPNSR_ISM_E10value_typeEPSN_NS1_7vsmem_tEENKUlT_SL_SM_SN_E_clIS8_S8_S9_S9_EESK_S10_SL_SM_SN_EUlS10_E_NS1_11comp_targetILNS1_3genE10ELNS1_11target_archE1201ELNS1_3gpuE5ELNS1_3repE0EEENS1_48merge_mergepath_partition_config_static_selectorELNS0_4arch9wavefront6targetE0EEEvSM_
    .private_segment_fixed_size: 0
    .sgpr_count:     0
    .sgpr_spill_count: 0
    .symbol:         _ZN7rocprim17ROCPRIM_400000_NS6detail17trampoline_kernelINS0_14default_configENS1_38merge_sort_block_merge_config_selectorIlNS0_10empty_typeEEEZZNS1_27merge_sort_block_merge_implIS3_PlPS5_mZN2at6native12_GLOBAL__N_124unique_dim_cuda_templateItEESt5tupleIJNSA_6TensorESF_SF_EERKSF_lbbbEUlllE_EE10hipError_tT0_T1_T2_jT3_P12ihipStream_tbPNSt15iterator_traitsISL_E10value_typeEPNSR_ISM_E10value_typeEPSN_NS1_7vsmem_tEENKUlT_SL_SM_SN_E_clIS8_S8_S9_S9_EESK_S10_SL_SM_SN_EUlS10_E_NS1_11comp_targetILNS1_3genE10ELNS1_11target_archE1201ELNS1_3gpuE5ELNS1_3repE0EEENS1_48merge_mergepath_partition_config_static_selectorELNS0_4arch9wavefront6targetE0EEEvSM_.kd
    .uniform_work_group_size: 1
    .uses_dynamic_stack: false
    .vgpr_count:     0
    .vgpr_spill_count: 0
    .wavefront_size: 32
    .workgroup_processor_mode: 1
  - .args:
      - .offset:         0
        .size:           56
        .value_kind:     by_value
    .group_segment_fixed_size: 0
    .kernarg_segment_align: 8
    .kernarg_segment_size: 56
    .language:       OpenCL C
    .language_version:
      - 2
      - 0
    .max_flat_workgroup_size: 128
    .name:           _ZN7rocprim17ROCPRIM_400000_NS6detail17trampoline_kernelINS0_14default_configENS1_38merge_sort_block_merge_config_selectorIlNS0_10empty_typeEEEZZNS1_27merge_sort_block_merge_implIS3_PlPS5_mZN2at6native12_GLOBAL__N_124unique_dim_cuda_templateItEESt5tupleIJNSA_6TensorESF_SF_EERKSF_lbbbEUlllE_EE10hipError_tT0_T1_T2_jT3_P12ihipStream_tbPNSt15iterator_traitsISL_E10value_typeEPNSR_ISM_E10value_typeEPSN_NS1_7vsmem_tEENKUlT_SL_SM_SN_E_clIS8_S8_S9_S9_EESK_S10_SL_SM_SN_EUlS10_E_NS1_11comp_targetILNS1_3genE5ELNS1_11target_archE942ELNS1_3gpuE9ELNS1_3repE0EEENS1_48merge_mergepath_partition_config_static_selectorELNS0_4arch9wavefront6targetE0EEEvSM_
    .private_segment_fixed_size: 0
    .sgpr_count:     0
    .sgpr_spill_count: 0
    .symbol:         _ZN7rocprim17ROCPRIM_400000_NS6detail17trampoline_kernelINS0_14default_configENS1_38merge_sort_block_merge_config_selectorIlNS0_10empty_typeEEEZZNS1_27merge_sort_block_merge_implIS3_PlPS5_mZN2at6native12_GLOBAL__N_124unique_dim_cuda_templateItEESt5tupleIJNSA_6TensorESF_SF_EERKSF_lbbbEUlllE_EE10hipError_tT0_T1_T2_jT3_P12ihipStream_tbPNSt15iterator_traitsISL_E10value_typeEPNSR_ISM_E10value_typeEPSN_NS1_7vsmem_tEENKUlT_SL_SM_SN_E_clIS8_S8_S9_S9_EESK_S10_SL_SM_SN_EUlS10_E_NS1_11comp_targetILNS1_3genE5ELNS1_11target_archE942ELNS1_3gpuE9ELNS1_3repE0EEENS1_48merge_mergepath_partition_config_static_selectorELNS0_4arch9wavefront6targetE0EEEvSM_.kd
    .uniform_work_group_size: 1
    .uses_dynamic_stack: false
    .vgpr_count:     0
    .vgpr_spill_count: 0
    .wavefront_size: 32
    .workgroup_processor_mode: 1
  - .args:
      - .offset:         0
        .size:           56
        .value_kind:     by_value
    .group_segment_fixed_size: 0
    .kernarg_segment_align: 8
    .kernarg_segment_size: 56
    .language:       OpenCL C
    .language_version:
      - 2
      - 0
    .max_flat_workgroup_size: 128
    .name:           _ZN7rocprim17ROCPRIM_400000_NS6detail17trampoline_kernelINS0_14default_configENS1_38merge_sort_block_merge_config_selectorIlNS0_10empty_typeEEEZZNS1_27merge_sort_block_merge_implIS3_PlPS5_mZN2at6native12_GLOBAL__N_124unique_dim_cuda_templateItEESt5tupleIJNSA_6TensorESF_SF_EERKSF_lbbbEUlllE_EE10hipError_tT0_T1_T2_jT3_P12ihipStream_tbPNSt15iterator_traitsISL_E10value_typeEPNSR_ISM_E10value_typeEPSN_NS1_7vsmem_tEENKUlT_SL_SM_SN_E_clIS8_S8_S9_S9_EESK_S10_SL_SM_SN_EUlS10_E_NS1_11comp_targetILNS1_3genE4ELNS1_11target_archE910ELNS1_3gpuE8ELNS1_3repE0EEENS1_48merge_mergepath_partition_config_static_selectorELNS0_4arch9wavefront6targetE0EEEvSM_
    .private_segment_fixed_size: 0
    .sgpr_count:     0
    .sgpr_spill_count: 0
    .symbol:         _ZN7rocprim17ROCPRIM_400000_NS6detail17trampoline_kernelINS0_14default_configENS1_38merge_sort_block_merge_config_selectorIlNS0_10empty_typeEEEZZNS1_27merge_sort_block_merge_implIS3_PlPS5_mZN2at6native12_GLOBAL__N_124unique_dim_cuda_templateItEESt5tupleIJNSA_6TensorESF_SF_EERKSF_lbbbEUlllE_EE10hipError_tT0_T1_T2_jT3_P12ihipStream_tbPNSt15iterator_traitsISL_E10value_typeEPNSR_ISM_E10value_typeEPSN_NS1_7vsmem_tEENKUlT_SL_SM_SN_E_clIS8_S8_S9_S9_EESK_S10_SL_SM_SN_EUlS10_E_NS1_11comp_targetILNS1_3genE4ELNS1_11target_archE910ELNS1_3gpuE8ELNS1_3repE0EEENS1_48merge_mergepath_partition_config_static_selectorELNS0_4arch9wavefront6targetE0EEEvSM_.kd
    .uniform_work_group_size: 1
    .uses_dynamic_stack: false
    .vgpr_count:     0
    .vgpr_spill_count: 0
    .wavefront_size: 32
    .workgroup_processor_mode: 1
  - .args:
      - .offset:         0
        .size:           56
        .value_kind:     by_value
    .group_segment_fixed_size: 0
    .kernarg_segment_align: 8
    .kernarg_segment_size: 56
    .language:       OpenCL C
    .language_version:
      - 2
      - 0
    .max_flat_workgroup_size: 128
    .name:           _ZN7rocprim17ROCPRIM_400000_NS6detail17trampoline_kernelINS0_14default_configENS1_38merge_sort_block_merge_config_selectorIlNS0_10empty_typeEEEZZNS1_27merge_sort_block_merge_implIS3_PlPS5_mZN2at6native12_GLOBAL__N_124unique_dim_cuda_templateItEESt5tupleIJNSA_6TensorESF_SF_EERKSF_lbbbEUlllE_EE10hipError_tT0_T1_T2_jT3_P12ihipStream_tbPNSt15iterator_traitsISL_E10value_typeEPNSR_ISM_E10value_typeEPSN_NS1_7vsmem_tEENKUlT_SL_SM_SN_E_clIS8_S8_S9_S9_EESK_S10_SL_SM_SN_EUlS10_E_NS1_11comp_targetILNS1_3genE3ELNS1_11target_archE908ELNS1_3gpuE7ELNS1_3repE0EEENS1_48merge_mergepath_partition_config_static_selectorELNS0_4arch9wavefront6targetE0EEEvSM_
    .private_segment_fixed_size: 0
    .sgpr_count:     0
    .sgpr_spill_count: 0
    .symbol:         _ZN7rocprim17ROCPRIM_400000_NS6detail17trampoline_kernelINS0_14default_configENS1_38merge_sort_block_merge_config_selectorIlNS0_10empty_typeEEEZZNS1_27merge_sort_block_merge_implIS3_PlPS5_mZN2at6native12_GLOBAL__N_124unique_dim_cuda_templateItEESt5tupleIJNSA_6TensorESF_SF_EERKSF_lbbbEUlllE_EE10hipError_tT0_T1_T2_jT3_P12ihipStream_tbPNSt15iterator_traitsISL_E10value_typeEPNSR_ISM_E10value_typeEPSN_NS1_7vsmem_tEENKUlT_SL_SM_SN_E_clIS8_S8_S9_S9_EESK_S10_SL_SM_SN_EUlS10_E_NS1_11comp_targetILNS1_3genE3ELNS1_11target_archE908ELNS1_3gpuE7ELNS1_3repE0EEENS1_48merge_mergepath_partition_config_static_selectorELNS0_4arch9wavefront6targetE0EEEvSM_.kd
    .uniform_work_group_size: 1
    .uses_dynamic_stack: false
    .vgpr_count:     0
    .vgpr_spill_count: 0
    .wavefront_size: 32
    .workgroup_processor_mode: 1
  - .args:
      - .offset:         0
        .size:           56
        .value_kind:     by_value
    .group_segment_fixed_size: 0
    .kernarg_segment_align: 8
    .kernarg_segment_size: 56
    .language:       OpenCL C
    .language_version:
      - 2
      - 0
    .max_flat_workgroup_size: 128
    .name:           _ZN7rocprim17ROCPRIM_400000_NS6detail17trampoline_kernelINS0_14default_configENS1_38merge_sort_block_merge_config_selectorIlNS0_10empty_typeEEEZZNS1_27merge_sort_block_merge_implIS3_PlPS5_mZN2at6native12_GLOBAL__N_124unique_dim_cuda_templateItEESt5tupleIJNSA_6TensorESF_SF_EERKSF_lbbbEUlllE_EE10hipError_tT0_T1_T2_jT3_P12ihipStream_tbPNSt15iterator_traitsISL_E10value_typeEPNSR_ISM_E10value_typeEPSN_NS1_7vsmem_tEENKUlT_SL_SM_SN_E_clIS8_S8_S9_S9_EESK_S10_SL_SM_SN_EUlS10_E_NS1_11comp_targetILNS1_3genE2ELNS1_11target_archE906ELNS1_3gpuE6ELNS1_3repE0EEENS1_48merge_mergepath_partition_config_static_selectorELNS0_4arch9wavefront6targetE0EEEvSM_
    .private_segment_fixed_size: 0
    .sgpr_count:     0
    .sgpr_spill_count: 0
    .symbol:         _ZN7rocprim17ROCPRIM_400000_NS6detail17trampoline_kernelINS0_14default_configENS1_38merge_sort_block_merge_config_selectorIlNS0_10empty_typeEEEZZNS1_27merge_sort_block_merge_implIS3_PlPS5_mZN2at6native12_GLOBAL__N_124unique_dim_cuda_templateItEESt5tupleIJNSA_6TensorESF_SF_EERKSF_lbbbEUlllE_EE10hipError_tT0_T1_T2_jT3_P12ihipStream_tbPNSt15iterator_traitsISL_E10value_typeEPNSR_ISM_E10value_typeEPSN_NS1_7vsmem_tEENKUlT_SL_SM_SN_E_clIS8_S8_S9_S9_EESK_S10_SL_SM_SN_EUlS10_E_NS1_11comp_targetILNS1_3genE2ELNS1_11target_archE906ELNS1_3gpuE6ELNS1_3repE0EEENS1_48merge_mergepath_partition_config_static_selectorELNS0_4arch9wavefront6targetE0EEEvSM_.kd
    .uniform_work_group_size: 1
    .uses_dynamic_stack: false
    .vgpr_count:     0
    .vgpr_spill_count: 0
    .wavefront_size: 32
    .workgroup_processor_mode: 1
  - .args:
      - .offset:         0
        .size:           56
        .value_kind:     by_value
    .group_segment_fixed_size: 0
    .kernarg_segment_align: 8
    .kernarg_segment_size: 56
    .language:       OpenCL C
    .language_version:
      - 2
      - 0
    .max_flat_workgroup_size: 128
    .name:           _ZN7rocprim17ROCPRIM_400000_NS6detail17trampoline_kernelINS0_14default_configENS1_38merge_sort_block_merge_config_selectorIlNS0_10empty_typeEEEZZNS1_27merge_sort_block_merge_implIS3_PlPS5_mZN2at6native12_GLOBAL__N_124unique_dim_cuda_templateItEESt5tupleIJNSA_6TensorESF_SF_EERKSF_lbbbEUlllE_EE10hipError_tT0_T1_T2_jT3_P12ihipStream_tbPNSt15iterator_traitsISL_E10value_typeEPNSR_ISM_E10value_typeEPSN_NS1_7vsmem_tEENKUlT_SL_SM_SN_E_clIS8_S8_S9_S9_EESK_S10_SL_SM_SN_EUlS10_E_NS1_11comp_targetILNS1_3genE9ELNS1_11target_archE1100ELNS1_3gpuE3ELNS1_3repE0EEENS1_48merge_mergepath_partition_config_static_selectorELNS0_4arch9wavefront6targetE0EEEvSM_
    .private_segment_fixed_size: 0
    .sgpr_count:     23
    .sgpr_spill_count: 0
    .symbol:         _ZN7rocprim17ROCPRIM_400000_NS6detail17trampoline_kernelINS0_14default_configENS1_38merge_sort_block_merge_config_selectorIlNS0_10empty_typeEEEZZNS1_27merge_sort_block_merge_implIS3_PlPS5_mZN2at6native12_GLOBAL__N_124unique_dim_cuda_templateItEESt5tupleIJNSA_6TensorESF_SF_EERKSF_lbbbEUlllE_EE10hipError_tT0_T1_T2_jT3_P12ihipStream_tbPNSt15iterator_traitsISL_E10value_typeEPNSR_ISM_E10value_typeEPSN_NS1_7vsmem_tEENKUlT_SL_SM_SN_E_clIS8_S8_S9_S9_EESK_S10_SL_SM_SN_EUlS10_E_NS1_11comp_targetILNS1_3genE9ELNS1_11target_archE1100ELNS1_3gpuE3ELNS1_3repE0EEENS1_48merge_mergepath_partition_config_static_selectorELNS0_4arch9wavefront6targetE0EEEvSM_.kd
    .uniform_work_group_size: 1
    .uses_dynamic_stack: false
    .vgpr_count:     22
    .vgpr_spill_count: 0
    .wavefront_size: 32
    .workgroup_processor_mode: 1
  - .args:
      - .offset:         0
        .size:           56
        .value_kind:     by_value
    .group_segment_fixed_size: 0
    .kernarg_segment_align: 8
    .kernarg_segment_size: 56
    .language:       OpenCL C
    .language_version:
      - 2
      - 0
    .max_flat_workgroup_size: 128
    .name:           _ZN7rocprim17ROCPRIM_400000_NS6detail17trampoline_kernelINS0_14default_configENS1_38merge_sort_block_merge_config_selectorIlNS0_10empty_typeEEEZZNS1_27merge_sort_block_merge_implIS3_PlPS5_mZN2at6native12_GLOBAL__N_124unique_dim_cuda_templateItEESt5tupleIJNSA_6TensorESF_SF_EERKSF_lbbbEUlllE_EE10hipError_tT0_T1_T2_jT3_P12ihipStream_tbPNSt15iterator_traitsISL_E10value_typeEPNSR_ISM_E10value_typeEPSN_NS1_7vsmem_tEENKUlT_SL_SM_SN_E_clIS8_S8_S9_S9_EESK_S10_SL_SM_SN_EUlS10_E_NS1_11comp_targetILNS1_3genE8ELNS1_11target_archE1030ELNS1_3gpuE2ELNS1_3repE0EEENS1_48merge_mergepath_partition_config_static_selectorELNS0_4arch9wavefront6targetE0EEEvSM_
    .private_segment_fixed_size: 0
    .sgpr_count:     0
    .sgpr_spill_count: 0
    .symbol:         _ZN7rocprim17ROCPRIM_400000_NS6detail17trampoline_kernelINS0_14default_configENS1_38merge_sort_block_merge_config_selectorIlNS0_10empty_typeEEEZZNS1_27merge_sort_block_merge_implIS3_PlPS5_mZN2at6native12_GLOBAL__N_124unique_dim_cuda_templateItEESt5tupleIJNSA_6TensorESF_SF_EERKSF_lbbbEUlllE_EE10hipError_tT0_T1_T2_jT3_P12ihipStream_tbPNSt15iterator_traitsISL_E10value_typeEPNSR_ISM_E10value_typeEPSN_NS1_7vsmem_tEENKUlT_SL_SM_SN_E_clIS8_S8_S9_S9_EESK_S10_SL_SM_SN_EUlS10_E_NS1_11comp_targetILNS1_3genE8ELNS1_11target_archE1030ELNS1_3gpuE2ELNS1_3repE0EEENS1_48merge_mergepath_partition_config_static_selectorELNS0_4arch9wavefront6targetE0EEEvSM_.kd
    .uniform_work_group_size: 1
    .uses_dynamic_stack: false
    .vgpr_count:     0
    .vgpr_spill_count: 0
    .wavefront_size: 32
    .workgroup_processor_mode: 1
  - .args:
      - .offset:         0
        .size:           88
        .value_kind:     by_value
    .group_segment_fixed_size: 0
    .kernarg_segment_align: 8
    .kernarg_segment_size: 88
    .language:       OpenCL C
    .language_version:
      - 2
      - 0
    .max_flat_workgroup_size: 128
    .name:           _ZN7rocprim17ROCPRIM_400000_NS6detail17trampoline_kernelINS0_14default_configENS1_38merge_sort_block_merge_config_selectorIlNS0_10empty_typeEEEZZNS1_27merge_sort_block_merge_implIS3_PlPS5_mZN2at6native12_GLOBAL__N_124unique_dim_cuda_templateItEESt5tupleIJNSA_6TensorESF_SF_EERKSF_lbbbEUlllE_EE10hipError_tT0_T1_T2_jT3_P12ihipStream_tbPNSt15iterator_traitsISL_E10value_typeEPNSR_ISM_E10value_typeEPSN_NS1_7vsmem_tEENKUlT_SL_SM_SN_E_clIS8_S8_S9_S9_EESK_S10_SL_SM_SN_EUlS10_E0_NS1_11comp_targetILNS1_3genE0ELNS1_11target_archE4294967295ELNS1_3gpuE0ELNS1_3repE0EEENS1_38merge_mergepath_config_static_selectorELNS0_4arch9wavefront6targetE0EEEvSM_
    .private_segment_fixed_size: 0
    .sgpr_count:     0
    .sgpr_spill_count: 0
    .symbol:         _ZN7rocprim17ROCPRIM_400000_NS6detail17trampoline_kernelINS0_14default_configENS1_38merge_sort_block_merge_config_selectorIlNS0_10empty_typeEEEZZNS1_27merge_sort_block_merge_implIS3_PlPS5_mZN2at6native12_GLOBAL__N_124unique_dim_cuda_templateItEESt5tupleIJNSA_6TensorESF_SF_EERKSF_lbbbEUlllE_EE10hipError_tT0_T1_T2_jT3_P12ihipStream_tbPNSt15iterator_traitsISL_E10value_typeEPNSR_ISM_E10value_typeEPSN_NS1_7vsmem_tEENKUlT_SL_SM_SN_E_clIS8_S8_S9_S9_EESK_S10_SL_SM_SN_EUlS10_E0_NS1_11comp_targetILNS1_3genE0ELNS1_11target_archE4294967295ELNS1_3gpuE0ELNS1_3repE0EEENS1_38merge_mergepath_config_static_selectorELNS0_4arch9wavefront6targetE0EEEvSM_.kd
    .uniform_work_group_size: 1
    .uses_dynamic_stack: false
    .vgpr_count:     0
    .vgpr_spill_count: 0
    .wavefront_size: 32
    .workgroup_processor_mode: 1
  - .args:
      - .offset:         0
        .size:           88
        .value_kind:     by_value
    .group_segment_fixed_size: 0
    .kernarg_segment_align: 8
    .kernarg_segment_size: 88
    .language:       OpenCL C
    .language_version:
      - 2
      - 0
    .max_flat_workgroup_size: 512
    .name:           _ZN7rocprim17ROCPRIM_400000_NS6detail17trampoline_kernelINS0_14default_configENS1_38merge_sort_block_merge_config_selectorIlNS0_10empty_typeEEEZZNS1_27merge_sort_block_merge_implIS3_PlPS5_mZN2at6native12_GLOBAL__N_124unique_dim_cuda_templateItEESt5tupleIJNSA_6TensorESF_SF_EERKSF_lbbbEUlllE_EE10hipError_tT0_T1_T2_jT3_P12ihipStream_tbPNSt15iterator_traitsISL_E10value_typeEPNSR_ISM_E10value_typeEPSN_NS1_7vsmem_tEENKUlT_SL_SM_SN_E_clIS8_S8_S9_S9_EESK_S10_SL_SM_SN_EUlS10_E0_NS1_11comp_targetILNS1_3genE10ELNS1_11target_archE1201ELNS1_3gpuE5ELNS1_3repE0EEENS1_38merge_mergepath_config_static_selectorELNS0_4arch9wavefront6targetE0EEEvSM_
    .private_segment_fixed_size: 0
    .sgpr_count:     0
    .sgpr_spill_count: 0
    .symbol:         _ZN7rocprim17ROCPRIM_400000_NS6detail17trampoline_kernelINS0_14default_configENS1_38merge_sort_block_merge_config_selectorIlNS0_10empty_typeEEEZZNS1_27merge_sort_block_merge_implIS3_PlPS5_mZN2at6native12_GLOBAL__N_124unique_dim_cuda_templateItEESt5tupleIJNSA_6TensorESF_SF_EERKSF_lbbbEUlllE_EE10hipError_tT0_T1_T2_jT3_P12ihipStream_tbPNSt15iterator_traitsISL_E10value_typeEPNSR_ISM_E10value_typeEPSN_NS1_7vsmem_tEENKUlT_SL_SM_SN_E_clIS8_S8_S9_S9_EESK_S10_SL_SM_SN_EUlS10_E0_NS1_11comp_targetILNS1_3genE10ELNS1_11target_archE1201ELNS1_3gpuE5ELNS1_3repE0EEENS1_38merge_mergepath_config_static_selectorELNS0_4arch9wavefront6targetE0EEEvSM_.kd
    .uniform_work_group_size: 1
    .uses_dynamic_stack: false
    .vgpr_count:     0
    .vgpr_spill_count: 0
    .wavefront_size: 32
    .workgroup_processor_mode: 1
  - .args:
      - .offset:         0
        .size:           88
        .value_kind:     by_value
    .group_segment_fixed_size: 0
    .kernarg_segment_align: 8
    .kernarg_segment_size: 88
    .language:       OpenCL C
    .language_version:
      - 2
      - 0
    .max_flat_workgroup_size: 128
    .name:           _ZN7rocprim17ROCPRIM_400000_NS6detail17trampoline_kernelINS0_14default_configENS1_38merge_sort_block_merge_config_selectorIlNS0_10empty_typeEEEZZNS1_27merge_sort_block_merge_implIS3_PlPS5_mZN2at6native12_GLOBAL__N_124unique_dim_cuda_templateItEESt5tupleIJNSA_6TensorESF_SF_EERKSF_lbbbEUlllE_EE10hipError_tT0_T1_T2_jT3_P12ihipStream_tbPNSt15iterator_traitsISL_E10value_typeEPNSR_ISM_E10value_typeEPSN_NS1_7vsmem_tEENKUlT_SL_SM_SN_E_clIS8_S8_S9_S9_EESK_S10_SL_SM_SN_EUlS10_E0_NS1_11comp_targetILNS1_3genE5ELNS1_11target_archE942ELNS1_3gpuE9ELNS1_3repE0EEENS1_38merge_mergepath_config_static_selectorELNS0_4arch9wavefront6targetE0EEEvSM_
    .private_segment_fixed_size: 0
    .sgpr_count:     0
    .sgpr_spill_count: 0
    .symbol:         _ZN7rocprim17ROCPRIM_400000_NS6detail17trampoline_kernelINS0_14default_configENS1_38merge_sort_block_merge_config_selectorIlNS0_10empty_typeEEEZZNS1_27merge_sort_block_merge_implIS3_PlPS5_mZN2at6native12_GLOBAL__N_124unique_dim_cuda_templateItEESt5tupleIJNSA_6TensorESF_SF_EERKSF_lbbbEUlllE_EE10hipError_tT0_T1_T2_jT3_P12ihipStream_tbPNSt15iterator_traitsISL_E10value_typeEPNSR_ISM_E10value_typeEPSN_NS1_7vsmem_tEENKUlT_SL_SM_SN_E_clIS8_S8_S9_S9_EESK_S10_SL_SM_SN_EUlS10_E0_NS1_11comp_targetILNS1_3genE5ELNS1_11target_archE942ELNS1_3gpuE9ELNS1_3repE0EEENS1_38merge_mergepath_config_static_selectorELNS0_4arch9wavefront6targetE0EEEvSM_.kd
    .uniform_work_group_size: 1
    .uses_dynamic_stack: false
    .vgpr_count:     0
    .vgpr_spill_count: 0
    .wavefront_size: 32
    .workgroup_processor_mode: 1
  - .args:
      - .offset:         0
        .size:           88
        .value_kind:     by_value
    .group_segment_fixed_size: 0
    .kernarg_segment_align: 8
    .kernarg_segment_size: 88
    .language:       OpenCL C
    .language_version:
      - 2
      - 0
    .max_flat_workgroup_size: 256
    .name:           _ZN7rocprim17ROCPRIM_400000_NS6detail17trampoline_kernelINS0_14default_configENS1_38merge_sort_block_merge_config_selectorIlNS0_10empty_typeEEEZZNS1_27merge_sort_block_merge_implIS3_PlPS5_mZN2at6native12_GLOBAL__N_124unique_dim_cuda_templateItEESt5tupleIJNSA_6TensorESF_SF_EERKSF_lbbbEUlllE_EE10hipError_tT0_T1_T2_jT3_P12ihipStream_tbPNSt15iterator_traitsISL_E10value_typeEPNSR_ISM_E10value_typeEPSN_NS1_7vsmem_tEENKUlT_SL_SM_SN_E_clIS8_S8_S9_S9_EESK_S10_SL_SM_SN_EUlS10_E0_NS1_11comp_targetILNS1_3genE4ELNS1_11target_archE910ELNS1_3gpuE8ELNS1_3repE0EEENS1_38merge_mergepath_config_static_selectorELNS0_4arch9wavefront6targetE0EEEvSM_
    .private_segment_fixed_size: 0
    .sgpr_count:     0
    .sgpr_spill_count: 0
    .symbol:         _ZN7rocprim17ROCPRIM_400000_NS6detail17trampoline_kernelINS0_14default_configENS1_38merge_sort_block_merge_config_selectorIlNS0_10empty_typeEEEZZNS1_27merge_sort_block_merge_implIS3_PlPS5_mZN2at6native12_GLOBAL__N_124unique_dim_cuda_templateItEESt5tupleIJNSA_6TensorESF_SF_EERKSF_lbbbEUlllE_EE10hipError_tT0_T1_T2_jT3_P12ihipStream_tbPNSt15iterator_traitsISL_E10value_typeEPNSR_ISM_E10value_typeEPSN_NS1_7vsmem_tEENKUlT_SL_SM_SN_E_clIS8_S8_S9_S9_EESK_S10_SL_SM_SN_EUlS10_E0_NS1_11comp_targetILNS1_3genE4ELNS1_11target_archE910ELNS1_3gpuE8ELNS1_3repE0EEENS1_38merge_mergepath_config_static_selectorELNS0_4arch9wavefront6targetE0EEEvSM_.kd
    .uniform_work_group_size: 1
    .uses_dynamic_stack: false
    .vgpr_count:     0
    .vgpr_spill_count: 0
    .wavefront_size: 32
    .workgroup_processor_mode: 1
  - .args:
      - .offset:         0
        .size:           88
        .value_kind:     by_value
    .group_segment_fixed_size: 0
    .kernarg_segment_align: 8
    .kernarg_segment_size: 88
    .language:       OpenCL C
    .language_version:
      - 2
      - 0
    .max_flat_workgroup_size: 128
    .name:           _ZN7rocprim17ROCPRIM_400000_NS6detail17trampoline_kernelINS0_14default_configENS1_38merge_sort_block_merge_config_selectorIlNS0_10empty_typeEEEZZNS1_27merge_sort_block_merge_implIS3_PlPS5_mZN2at6native12_GLOBAL__N_124unique_dim_cuda_templateItEESt5tupleIJNSA_6TensorESF_SF_EERKSF_lbbbEUlllE_EE10hipError_tT0_T1_T2_jT3_P12ihipStream_tbPNSt15iterator_traitsISL_E10value_typeEPNSR_ISM_E10value_typeEPSN_NS1_7vsmem_tEENKUlT_SL_SM_SN_E_clIS8_S8_S9_S9_EESK_S10_SL_SM_SN_EUlS10_E0_NS1_11comp_targetILNS1_3genE3ELNS1_11target_archE908ELNS1_3gpuE7ELNS1_3repE0EEENS1_38merge_mergepath_config_static_selectorELNS0_4arch9wavefront6targetE0EEEvSM_
    .private_segment_fixed_size: 0
    .sgpr_count:     0
    .sgpr_spill_count: 0
    .symbol:         _ZN7rocprim17ROCPRIM_400000_NS6detail17trampoline_kernelINS0_14default_configENS1_38merge_sort_block_merge_config_selectorIlNS0_10empty_typeEEEZZNS1_27merge_sort_block_merge_implIS3_PlPS5_mZN2at6native12_GLOBAL__N_124unique_dim_cuda_templateItEESt5tupleIJNSA_6TensorESF_SF_EERKSF_lbbbEUlllE_EE10hipError_tT0_T1_T2_jT3_P12ihipStream_tbPNSt15iterator_traitsISL_E10value_typeEPNSR_ISM_E10value_typeEPSN_NS1_7vsmem_tEENKUlT_SL_SM_SN_E_clIS8_S8_S9_S9_EESK_S10_SL_SM_SN_EUlS10_E0_NS1_11comp_targetILNS1_3genE3ELNS1_11target_archE908ELNS1_3gpuE7ELNS1_3repE0EEENS1_38merge_mergepath_config_static_selectorELNS0_4arch9wavefront6targetE0EEEvSM_.kd
    .uniform_work_group_size: 1
    .uses_dynamic_stack: false
    .vgpr_count:     0
    .vgpr_spill_count: 0
    .wavefront_size: 32
    .workgroup_processor_mode: 1
  - .args:
      - .offset:         0
        .size:           88
        .value_kind:     by_value
    .group_segment_fixed_size: 0
    .kernarg_segment_align: 8
    .kernarg_segment_size: 88
    .language:       OpenCL C
    .language_version:
      - 2
      - 0
    .max_flat_workgroup_size: 256
    .name:           _ZN7rocprim17ROCPRIM_400000_NS6detail17trampoline_kernelINS0_14default_configENS1_38merge_sort_block_merge_config_selectorIlNS0_10empty_typeEEEZZNS1_27merge_sort_block_merge_implIS3_PlPS5_mZN2at6native12_GLOBAL__N_124unique_dim_cuda_templateItEESt5tupleIJNSA_6TensorESF_SF_EERKSF_lbbbEUlllE_EE10hipError_tT0_T1_T2_jT3_P12ihipStream_tbPNSt15iterator_traitsISL_E10value_typeEPNSR_ISM_E10value_typeEPSN_NS1_7vsmem_tEENKUlT_SL_SM_SN_E_clIS8_S8_S9_S9_EESK_S10_SL_SM_SN_EUlS10_E0_NS1_11comp_targetILNS1_3genE2ELNS1_11target_archE906ELNS1_3gpuE6ELNS1_3repE0EEENS1_38merge_mergepath_config_static_selectorELNS0_4arch9wavefront6targetE0EEEvSM_
    .private_segment_fixed_size: 0
    .sgpr_count:     0
    .sgpr_spill_count: 0
    .symbol:         _ZN7rocprim17ROCPRIM_400000_NS6detail17trampoline_kernelINS0_14default_configENS1_38merge_sort_block_merge_config_selectorIlNS0_10empty_typeEEEZZNS1_27merge_sort_block_merge_implIS3_PlPS5_mZN2at6native12_GLOBAL__N_124unique_dim_cuda_templateItEESt5tupleIJNSA_6TensorESF_SF_EERKSF_lbbbEUlllE_EE10hipError_tT0_T1_T2_jT3_P12ihipStream_tbPNSt15iterator_traitsISL_E10value_typeEPNSR_ISM_E10value_typeEPSN_NS1_7vsmem_tEENKUlT_SL_SM_SN_E_clIS8_S8_S9_S9_EESK_S10_SL_SM_SN_EUlS10_E0_NS1_11comp_targetILNS1_3genE2ELNS1_11target_archE906ELNS1_3gpuE6ELNS1_3repE0EEENS1_38merge_mergepath_config_static_selectorELNS0_4arch9wavefront6targetE0EEEvSM_.kd
    .uniform_work_group_size: 1
    .uses_dynamic_stack: false
    .vgpr_count:     0
    .vgpr_spill_count: 0
    .wavefront_size: 32
    .workgroup_processor_mode: 1
  - .args:
      - .offset:         0
        .size:           88
        .value_kind:     by_value
      - .offset:         88
        .size:           4
        .value_kind:     hidden_block_count_x
      - .offset:         92
        .size:           4
        .value_kind:     hidden_block_count_y
      - .offset:         96
        .size:           4
        .value_kind:     hidden_block_count_z
      - .offset:         100
        .size:           2
        .value_kind:     hidden_group_size_x
      - .offset:         102
        .size:           2
        .value_kind:     hidden_group_size_y
      - .offset:         104
        .size:           2
        .value_kind:     hidden_group_size_z
      - .offset:         106
        .size:           2
        .value_kind:     hidden_remainder_x
      - .offset:         108
        .size:           2
        .value_kind:     hidden_remainder_y
      - .offset:         110
        .size:           2
        .value_kind:     hidden_remainder_z
      - .offset:         128
        .size:           8
        .value_kind:     hidden_global_offset_x
      - .offset:         136
        .size:           8
        .value_kind:     hidden_global_offset_y
      - .offset:         144
        .size:           8
        .value_kind:     hidden_global_offset_z
      - .offset:         152
        .size:           2
        .value_kind:     hidden_grid_dims
    .group_segment_fixed_size: 8448
    .kernarg_segment_align: 8
    .kernarg_segment_size: 344
    .language:       OpenCL C
    .language_version:
      - 2
      - 0
    .max_flat_workgroup_size: 512
    .name:           _ZN7rocprim17ROCPRIM_400000_NS6detail17trampoline_kernelINS0_14default_configENS1_38merge_sort_block_merge_config_selectorIlNS0_10empty_typeEEEZZNS1_27merge_sort_block_merge_implIS3_PlPS5_mZN2at6native12_GLOBAL__N_124unique_dim_cuda_templateItEESt5tupleIJNSA_6TensorESF_SF_EERKSF_lbbbEUlllE_EE10hipError_tT0_T1_T2_jT3_P12ihipStream_tbPNSt15iterator_traitsISL_E10value_typeEPNSR_ISM_E10value_typeEPSN_NS1_7vsmem_tEENKUlT_SL_SM_SN_E_clIS8_S8_S9_S9_EESK_S10_SL_SM_SN_EUlS10_E0_NS1_11comp_targetILNS1_3genE9ELNS1_11target_archE1100ELNS1_3gpuE3ELNS1_3repE0EEENS1_38merge_mergepath_config_static_selectorELNS0_4arch9wavefront6targetE0EEEvSM_
    .private_segment_fixed_size: 0
    .sgpr_count:     34
    .sgpr_spill_count: 0
    .symbol:         _ZN7rocprim17ROCPRIM_400000_NS6detail17trampoline_kernelINS0_14default_configENS1_38merge_sort_block_merge_config_selectorIlNS0_10empty_typeEEEZZNS1_27merge_sort_block_merge_implIS3_PlPS5_mZN2at6native12_GLOBAL__N_124unique_dim_cuda_templateItEESt5tupleIJNSA_6TensorESF_SF_EERKSF_lbbbEUlllE_EE10hipError_tT0_T1_T2_jT3_P12ihipStream_tbPNSt15iterator_traitsISL_E10value_typeEPNSR_ISM_E10value_typeEPSN_NS1_7vsmem_tEENKUlT_SL_SM_SN_E_clIS8_S8_S9_S9_EESK_S10_SL_SM_SN_EUlS10_E0_NS1_11comp_targetILNS1_3genE9ELNS1_11target_archE1100ELNS1_3gpuE3ELNS1_3repE0EEENS1_38merge_mergepath_config_static_selectorELNS0_4arch9wavefront6targetE0EEEvSM_.kd
    .uniform_work_group_size: 1
    .uses_dynamic_stack: false
    .vgpr_count:     21
    .vgpr_spill_count: 0
    .wavefront_size: 32
    .workgroup_processor_mode: 1
  - .args:
      - .offset:         0
        .size:           88
        .value_kind:     by_value
    .group_segment_fixed_size: 0
    .kernarg_segment_align: 8
    .kernarg_segment_size: 88
    .language:       OpenCL C
    .language_version:
      - 2
      - 0
    .max_flat_workgroup_size: 1024
    .name:           _ZN7rocprim17ROCPRIM_400000_NS6detail17trampoline_kernelINS0_14default_configENS1_38merge_sort_block_merge_config_selectorIlNS0_10empty_typeEEEZZNS1_27merge_sort_block_merge_implIS3_PlPS5_mZN2at6native12_GLOBAL__N_124unique_dim_cuda_templateItEESt5tupleIJNSA_6TensorESF_SF_EERKSF_lbbbEUlllE_EE10hipError_tT0_T1_T2_jT3_P12ihipStream_tbPNSt15iterator_traitsISL_E10value_typeEPNSR_ISM_E10value_typeEPSN_NS1_7vsmem_tEENKUlT_SL_SM_SN_E_clIS8_S8_S9_S9_EESK_S10_SL_SM_SN_EUlS10_E0_NS1_11comp_targetILNS1_3genE8ELNS1_11target_archE1030ELNS1_3gpuE2ELNS1_3repE0EEENS1_38merge_mergepath_config_static_selectorELNS0_4arch9wavefront6targetE0EEEvSM_
    .private_segment_fixed_size: 0
    .sgpr_count:     0
    .sgpr_spill_count: 0
    .symbol:         _ZN7rocprim17ROCPRIM_400000_NS6detail17trampoline_kernelINS0_14default_configENS1_38merge_sort_block_merge_config_selectorIlNS0_10empty_typeEEEZZNS1_27merge_sort_block_merge_implIS3_PlPS5_mZN2at6native12_GLOBAL__N_124unique_dim_cuda_templateItEESt5tupleIJNSA_6TensorESF_SF_EERKSF_lbbbEUlllE_EE10hipError_tT0_T1_T2_jT3_P12ihipStream_tbPNSt15iterator_traitsISL_E10value_typeEPNSR_ISM_E10value_typeEPSN_NS1_7vsmem_tEENKUlT_SL_SM_SN_E_clIS8_S8_S9_S9_EESK_S10_SL_SM_SN_EUlS10_E0_NS1_11comp_targetILNS1_3genE8ELNS1_11target_archE1030ELNS1_3gpuE2ELNS1_3repE0EEENS1_38merge_mergepath_config_static_selectorELNS0_4arch9wavefront6targetE0EEEvSM_.kd
    .uniform_work_group_size: 1
    .uses_dynamic_stack: false
    .vgpr_count:     0
    .vgpr_spill_count: 0
    .wavefront_size: 32
    .workgroup_processor_mode: 1
  - .args:
      - .offset:         0
        .size:           64
        .value_kind:     by_value
    .group_segment_fixed_size: 0
    .kernarg_segment_align: 8
    .kernarg_segment_size: 64
    .language:       OpenCL C
    .language_version:
      - 2
      - 0
    .max_flat_workgroup_size: 256
    .name:           _ZN7rocprim17ROCPRIM_400000_NS6detail17trampoline_kernelINS0_14default_configENS1_38merge_sort_block_merge_config_selectorIlNS0_10empty_typeEEEZZNS1_27merge_sort_block_merge_implIS3_PlPS5_mZN2at6native12_GLOBAL__N_124unique_dim_cuda_templateItEESt5tupleIJNSA_6TensorESF_SF_EERKSF_lbbbEUlllE_EE10hipError_tT0_T1_T2_jT3_P12ihipStream_tbPNSt15iterator_traitsISL_E10value_typeEPNSR_ISM_E10value_typeEPSN_NS1_7vsmem_tEENKUlT_SL_SM_SN_E_clIS8_S8_S9_S9_EESK_S10_SL_SM_SN_EUlS10_E1_NS1_11comp_targetILNS1_3genE0ELNS1_11target_archE4294967295ELNS1_3gpuE0ELNS1_3repE0EEENS1_36merge_oddeven_config_static_selectorELNS0_4arch9wavefront6targetE0EEEvSM_
    .private_segment_fixed_size: 0
    .sgpr_count:     0
    .sgpr_spill_count: 0
    .symbol:         _ZN7rocprim17ROCPRIM_400000_NS6detail17trampoline_kernelINS0_14default_configENS1_38merge_sort_block_merge_config_selectorIlNS0_10empty_typeEEEZZNS1_27merge_sort_block_merge_implIS3_PlPS5_mZN2at6native12_GLOBAL__N_124unique_dim_cuda_templateItEESt5tupleIJNSA_6TensorESF_SF_EERKSF_lbbbEUlllE_EE10hipError_tT0_T1_T2_jT3_P12ihipStream_tbPNSt15iterator_traitsISL_E10value_typeEPNSR_ISM_E10value_typeEPSN_NS1_7vsmem_tEENKUlT_SL_SM_SN_E_clIS8_S8_S9_S9_EESK_S10_SL_SM_SN_EUlS10_E1_NS1_11comp_targetILNS1_3genE0ELNS1_11target_archE4294967295ELNS1_3gpuE0ELNS1_3repE0EEENS1_36merge_oddeven_config_static_selectorELNS0_4arch9wavefront6targetE0EEEvSM_.kd
    .uniform_work_group_size: 1
    .uses_dynamic_stack: false
    .vgpr_count:     0
    .vgpr_spill_count: 0
    .wavefront_size: 32
    .workgroup_processor_mode: 1
  - .args:
      - .offset:         0
        .size:           64
        .value_kind:     by_value
    .group_segment_fixed_size: 0
    .kernarg_segment_align: 8
    .kernarg_segment_size: 64
    .language:       OpenCL C
    .language_version:
      - 2
      - 0
    .max_flat_workgroup_size: 256
    .name:           _ZN7rocprim17ROCPRIM_400000_NS6detail17trampoline_kernelINS0_14default_configENS1_38merge_sort_block_merge_config_selectorIlNS0_10empty_typeEEEZZNS1_27merge_sort_block_merge_implIS3_PlPS5_mZN2at6native12_GLOBAL__N_124unique_dim_cuda_templateItEESt5tupleIJNSA_6TensorESF_SF_EERKSF_lbbbEUlllE_EE10hipError_tT0_T1_T2_jT3_P12ihipStream_tbPNSt15iterator_traitsISL_E10value_typeEPNSR_ISM_E10value_typeEPSN_NS1_7vsmem_tEENKUlT_SL_SM_SN_E_clIS8_S8_S9_S9_EESK_S10_SL_SM_SN_EUlS10_E1_NS1_11comp_targetILNS1_3genE10ELNS1_11target_archE1201ELNS1_3gpuE5ELNS1_3repE0EEENS1_36merge_oddeven_config_static_selectorELNS0_4arch9wavefront6targetE0EEEvSM_
    .private_segment_fixed_size: 0
    .sgpr_count:     0
    .sgpr_spill_count: 0
    .symbol:         _ZN7rocprim17ROCPRIM_400000_NS6detail17trampoline_kernelINS0_14default_configENS1_38merge_sort_block_merge_config_selectorIlNS0_10empty_typeEEEZZNS1_27merge_sort_block_merge_implIS3_PlPS5_mZN2at6native12_GLOBAL__N_124unique_dim_cuda_templateItEESt5tupleIJNSA_6TensorESF_SF_EERKSF_lbbbEUlllE_EE10hipError_tT0_T1_T2_jT3_P12ihipStream_tbPNSt15iterator_traitsISL_E10value_typeEPNSR_ISM_E10value_typeEPSN_NS1_7vsmem_tEENKUlT_SL_SM_SN_E_clIS8_S8_S9_S9_EESK_S10_SL_SM_SN_EUlS10_E1_NS1_11comp_targetILNS1_3genE10ELNS1_11target_archE1201ELNS1_3gpuE5ELNS1_3repE0EEENS1_36merge_oddeven_config_static_selectorELNS0_4arch9wavefront6targetE0EEEvSM_.kd
    .uniform_work_group_size: 1
    .uses_dynamic_stack: false
    .vgpr_count:     0
    .vgpr_spill_count: 0
    .wavefront_size: 32
    .workgroup_processor_mode: 1
  - .args:
      - .offset:         0
        .size:           64
        .value_kind:     by_value
    .group_segment_fixed_size: 0
    .kernarg_segment_align: 8
    .kernarg_segment_size: 64
    .language:       OpenCL C
    .language_version:
      - 2
      - 0
    .max_flat_workgroup_size: 256
    .name:           _ZN7rocprim17ROCPRIM_400000_NS6detail17trampoline_kernelINS0_14default_configENS1_38merge_sort_block_merge_config_selectorIlNS0_10empty_typeEEEZZNS1_27merge_sort_block_merge_implIS3_PlPS5_mZN2at6native12_GLOBAL__N_124unique_dim_cuda_templateItEESt5tupleIJNSA_6TensorESF_SF_EERKSF_lbbbEUlllE_EE10hipError_tT0_T1_T2_jT3_P12ihipStream_tbPNSt15iterator_traitsISL_E10value_typeEPNSR_ISM_E10value_typeEPSN_NS1_7vsmem_tEENKUlT_SL_SM_SN_E_clIS8_S8_S9_S9_EESK_S10_SL_SM_SN_EUlS10_E1_NS1_11comp_targetILNS1_3genE5ELNS1_11target_archE942ELNS1_3gpuE9ELNS1_3repE0EEENS1_36merge_oddeven_config_static_selectorELNS0_4arch9wavefront6targetE0EEEvSM_
    .private_segment_fixed_size: 0
    .sgpr_count:     0
    .sgpr_spill_count: 0
    .symbol:         _ZN7rocprim17ROCPRIM_400000_NS6detail17trampoline_kernelINS0_14default_configENS1_38merge_sort_block_merge_config_selectorIlNS0_10empty_typeEEEZZNS1_27merge_sort_block_merge_implIS3_PlPS5_mZN2at6native12_GLOBAL__N_124unique_dim_cuda_templateItEESt5tupleIJNSA_6TensorESF_SF_EERKSF_lbbbEUlllE_EE10hipError_tT0_T1_T2_jT3_P12ihipStream_tbPNSt15iterator_traitsISL_E10value_typeEPNSR_ISM_E10value_typeEPSN_NS1_7vsmem_tEENKUlT_SL_SM_SN_E_clIS8_S8_S9_S9_EESK_S10_SL_SM_SN_EUlS10_E1_NS1_11comp_targetILNS1_3genE5ELNS1_11target_archE942ELNS1_3gpuE9ELNS1_3repE0EEENS1_36merge_oddeven_config_static_selectorELNS0_4arch9wavefront6targetE0EEEvSM_.kd
    .uniform_work_group_size: 1
    .uses_dynamic_stack: false
    .vgpr_count:     0
    .vgpr_spill_count: 0
    .wavefront_size: 32
    .workgroup_processor_mode: 1
  - .args:
      - .offset:         0
        .size:           64
        .value_kind:     by_value
    .group_segment_fixed_size: 0
    .kernarg_segment_align: 8
    .kernarg_segment_size: 64
    .language:       OpenCL C
    .language_version:
      - 2
      - 0
    .max_flat_workgroup_size: 256
    .name:           _ZN7rocprim17ROCPRIM_400000_NS6detail17trampoline_kernelINS0_14default_configENS1_38merge_sort_block_merge_config_selectorIlNS0_10empty_typeEEEZZNS1_27merge_sort_block_merge_implIS3_PlPS5_mZN2at6native12_GLOBAL__N_124unique_dim_cuda_templateItEESt5tupleIJNSA_6TensorESF_SF_EERKSF_lbbbEUlllE_EE10hipError_tT0_T1_T2_jT3_P12ihipStream_tbPNSt15iterator_traitsISL_E10value_typeEPNSR_ISM_E10value_typeEPSN_NS1_7vsmem_tEENKUlT_SL_SM_SN_E_clIS8_S8_S9_S9_EESK_S10_SL_SM_SN_EUlS10_E1_NS1_11comp_targetILNS1_3genE4ELNS1_11target_archE910ELNS1_3gpuE8ELNS1_3repE0EEENS1_36merge_oddeven_config_static_selectorELNS0_4arch9wavefront6targetE0EEEvSM_
    .private_segment_fixed_size: 0
    .sgpr_count:     0
    .sgpr_spill_count: 0
    .symbol:         _ZN7rocprim17ROCPRIM_400000_NS6detail17trampoline_kernelINS0_14default_configENS1_38merge_sort_block_merge_config_selectorIlNS0_10empty_typeEEEZZNS1_27merge_sort_block_merge_implIS3_PlPS5_mZN2at6native12_GLOBAL__N_124unique_dim_cuda_templateItEESt5tupleIJNSA_6TensorESF_SF_EERKSF_lbbbEUlllE_EE10hipError_tT0_T1_T2_jT3_P12ihipStream_tbPNSt15iterator_traitsISL_E10value_typeEPNSR_ISM_E10value_typeEPSN_NS1_7vsmem_tEENKUlT_SL_SM_SN_E_clIS8_S8_S9_S9_EESK_S10_SL_SM_SN_EUlS10_E1_NS1_11comp_targetILNS1_3genE4ELNS1_11target_archE910ELNS1_3gpuE8ELNS1_3repE0EEENS1_36merge_oddeven_config_static_selectorELNS0_4arch9wavefront6targetE0EEEvSM_.kd
    .uniform_work_group_size: 1
    .uses_dynamic_stack: false
    .vgpr_count:     0
    .vgpr_spill_count: 0
    .wavefront_size: 32
    .workgroup_processor_mode: 1
  - .args:
      - .offset:         0
        .size:           64
        .value_kind:     by_value
    .group_segment_fixed_size: 0
    .kernarg_segment_align: 8
    .kernarg_segment_size: 64
    .language:       OpenCL C
    .language_version:
      - 2
      - 0
    .max_flat_workgroup_size: 256
    .name:           _ZN7rocprim17ROCPRIM_400000_NS6detail17trampoline_kernelINS0_14default_configENS1_38merge_sort_block_merge_config_selectorIlNS0_10empty_typeEEEZZNS1_27merge_sort_block_merge_implIS3_PlPS5_mZN2at6native12_GLOBAL__N_124unique_dim_cuda_templateItEESt5tupleIJNSA_6TensorESF_SF_EERKSF_lbbbEUlllE_EE10hipError_tT0_T1_T2_jT3_P12ihipStream_tbPNSt15iterator_traitsISL_E10value_typeEPNSR_ISM_E10value_typeEPSN_NS1_7vsmem_tEENKUlT_SL_SM_SN_E_clIS8_S8_S9_S9_EESK_S10_SL_SM_SN_EUlS10_E1_NS1_11comp_targetILNS1_3genE3ELNS1_11target_archE908ELNS1_3gpuE7ELNS1_3repE0EEENS1_36merge_oddeven_config_static_selectorELNS0_4arch9wavefront6targetE0EEEvSM_
    .private_segment_fixed_size: 0
    .sgpr_count:     0
    .sgpr_spill_count: 0
    .symbol:         _ZN7rocprim17ROCPRIM_400000_NS6detail17trampoline_kernelINS0_14default_configENS1_38merge_sort_block_merge_config_selectorIlNS0_10empty_typeEEEZZNS1_27merge_sort_block_merge_implIS3_PlPS5_mZN2at6native12_GLOBAL__N_124unique_dim_cuda_templateItEESt5tupleIJNSA_6TensorESF_SF_EERKSF_lbbbEUlllE_EE10hipError_tT0_T1_T2_jT3_P12ihipStream_tbPNSt15iterator_traitsISL_E10value_typeEPNSR_ISM_E10value_typeEPSN_NS1_7vsmem_tEENKUlT_SL_SM_SN_E_clIS8_S8_S9_S9_EESK_S10_SL_SM_SN_EUlS10_E1_NS1_11comp_targetILNS1_3genE3ELNS1_11target_archE908ELNS1_3gpuE7ELNS1_3repE0EEENS1_36merge_oddeven_config_static_selectorELNS0_4arch9wavefront6targetE0EEEvSM_.kd
    .uniform_work_group_size: 1
    .uses_dynamic_stack: false
    .vgpr_count:     0
    .vgpr_spill_count: 0
    .wavefront_size: 32
    .workgroup_processor_mode: 1
  - .args:
      - .offset:         0
        .size:           64
        .value_kind:     by_value
    .group_segment_fixed_size: 0
    .kernarg_segment_align: 8
    .kernarg_segment_size: 64
    .language:       OpenCL C
    .language_version:
      - 2
      - 0
    .max_flat_workgroup_size: 256
    .name:           _ZN7rocprim17ROCPRIM_400000_NS6detail17trampoline_kernelINS0_14default_configENS1_38merge_sort_block_merge_config_selectorIlNS0_10empty_typeEEEZZNS1_27merge_sort_block_merge_implIS3_PlPS5_mZN2at6native12_GLOBAL__N_124unique_dim_cuda_templateItEESt5tupleIJNSA_6TensorESF_SF_EERKSF_lbbbEUlllE_EE10hipError_tT0_T1_T2_jT3_P12ihipStream_tbPNSt15iterator_traitsISL_E10value_typeEPNSR_ISM_E10value_typeEPSN_NS1_7vsmem_tEENKUlT_SL_SM_SN_E_clIS8_S8_S9_S9_EESK_S10_SL_SM_SN_EUlS10_E1_NS1_11comp_targetILNS1_3genE2ELNS1_11target_archE906ELNS1_3gpuE6ELNS1_3repE0EEENS1_36merge_oddeven_config_static_selectorELNS0_4arch9wavefront6targetE0EEEvSM_
    .private_segment_fixed_size: 0
    .sgpr_count:     0
    .sgpr_spill_count: 0
    .symbol:         _ZN7rocprim17ROCPRIM_400000_NS6detail17trampoline_kernelINS0_14default_configENS1_38merge_sort_block_merge_config_selectorIlNS0_10empty_typeEEEZZNS1_27merge_sort_block_merge_implIS3_PlPS5_mZN2at6native12_GLOBAL__N_124unique_dim_cuda_templateItEESt5tupleIJNSA_6TensorESF_SF_EERKSF_lbbbEUlllE_EE10hipError_tT0_T1_T2_jT3_P12ihipStream_tbPNSt15iterator_traitsISL_E10value_typeEPNSR_ISM_E10value_typeEPSN_NS1_7vsmem_tEENKUlT_SL_SM_SN_E_clIS8_S8_S9_S9_EESK_S10_SL_SM_SN_EUlS10_E1_NS1_11comp_targetILNS1_3genE2ELNS1_11target_archE906ELNS1_3gpuE6ELNS1_3repE0EEENS1_36merge_oddeven_config_static_selectorELNS0_4arch9wavefront6targetE0EEEvSM_.kd
    .uniform_work_group_size: 1
    .uses_dynamic_stack: false
    .vgpr_count:     0
    .vgpr_spill_count: 0
    .wavefront_size: 32
    .workgroup_processor_mode: 1
  - .args:
      - .offset:         0
        .size:           64
        .value_kind:     by_value
    .group_segment_fixed_size: 0
    .kernarg_segment_align: 8
    .kernarg_segment_size: 64
    .language:       OpenCL C
    .language_version:
      - 2
      - 0
    .max_flat_workgroup_size: 256
    .name:           _ZN7rocprim17ROCPRIM_400000_NS6detail17trampoline_kernelINS0_14default_configENS1_38merge_sort_block_merge_config_selectorIlNS0_10empty_typeEEEZZNS1_27merge_sort_block_merge_implIS3_PlPS5_mZN2at6native12_GLOBAL__N_124unique_dim_cuda_templateItEESt5tupleIJNSA_6TensorESF_SF_EERKSF_lbbbEUlllE_EE10hipError_tT0_T1_T2_jT3_P12ihipStream_tbPNSt15iterator_traitsISL_E10value_typeEPNSR_ISM_E10value_typeEPSN_NS1_7vsmem_tEENKUlT_SL_SM_SN_E_clIS8_S8_S9_S9_EESK_S10_SL_SM_SN_EUlS10_E1_NS1_11comp_targetILNS1_3genE9ELNS1_11target_archE1100ELNS1_3gpuE3ELNS1_3repE0EEENS1_36merge_oddeven_config_static_selectorELNS0_4arch9wavefront6targetE0EEEvSM_
    .private_segment_fixed_size: 0
    .sgpr_count:     30
    .sgpr_spill_count: 0
    .symbol:         _ZN7rocprim17ROCPRIM_400000_NS6detail17trampoline_kernelINS0_14default_configENS1_38merge_sort_block_merge_config_selectorIlNS0_10empty_typeEEEZZNS1_27merge_sort_block_merge_implIS3_PlPS5_mZN2at6native12_GLOBAL__N_124unique_dim_cuda_templateItEESt5tupleIJNSA_6TensorESF_SF_EERKSF_lbbbEUlllE_EE10hipError_tT0_T1_T2_jT3_P12ihipStream_tbPNSt15iterator_traitsISL_E10value_typeEPNSR_ISM_E10value_typeEPSN_NS1_7vsmem_tEENKUlT_SL_SM_SN_E_clIS8_S8_S9_S9_EESK_S10_SL_SM_SN_EUlS10_E1_NS1_11comp_targetILNS1_3genE9ELNS1_11target_archE1100ELNS1_3gpuE3ELNS1_3repE0EEENS1_36merge_oddeven_config_static_selectorELNS0_4arch9wavefront6targetE0EEEvSM_.kd
    .uniform_work_group_size: 1
    .uses_dynamic_stack: false
    .vgpr_count:     18
    .vgpr_spill_count: 0
    .wavefront_size: 32
    .workgroup_processor_mode: 1
  - .args:
      - .offset:         0
        .size:           64
        .value_kind:     by_value
    .group_segment_fixed_size: 0
    .kernarg_segment_align: 8
    .kernarg_segment_size: 64
    .language:       OpenCL C
    .language_version:
      - 2
      - 0
    .max_flat_workgroup_size: 256
    .name:           _ZN7rocprim17ROCPRIM_400000_NS6detail17trampoline_kernelINS0_14default_configENS1_38merge_sort_block_merge_config_selectorIlNS0_10empty_typeEEEZZNS1_27merge_sort_block_merge_implIS3_PlPS5_mZN2at6native12_GLOBAL__N_124unique_dim_cuda_templateItEESt5tupleIJNSA_6TensorESF_SF_EERKSF_lbbbEUlllE_EE10hipError_tT0_T1_T2_jT3_P12ihipStream_tbPNSt15iterator_traitsISL_E10value_typeEPNSR_ISM_E10value_typeEPSN_NS1_7vsmem_tEENKUlT_SL_SM_SN_E_clIS8_S8_S9_S9_EESK_S10_SL_SM_SN_EUlS10_E1_NS1_11comp_targetILNS1_3genE8ELNS1_11target_archE1030ELNS1_3gpuE2ELNS1_3repE0EEENS1_36merge_oddeven_config_static_selectorELNS0_4arch9wavefront6targetE0EEEvSM_
    .private_segment_fixed_size: 0
    .sgpr_count:     0
    .sgpr_spill_count: 0
    .symbol:         _ZN7rocprim17ROCPRIM_400000_NS6detail17trampoline_kernelINS0_14default_configENS1_38merge_sort_block_merge_config_selectorIlNS0_10empty_typeEEEZZNS1_27merge_sort_block_merge_implIS3_PlPS5_mZN2at6native12_GLOBAL__N_124unique_dim_cuda_templateItEESt5tupleIJNSA_6TensorESF_SF_EERKSF_lbbbEUlllE_EE10hipError_tT0_T1_T2_jT3_P12ihipStream_tbPNSt15iterator_traitsISL_E10value_typeEPNSR_ISM_E10value_typeEPSN_NS1_7vsmem_tEENKUlT_SL_SM_SN_E_clIS8_S8_S9_S9_EESK_S10_SL_SM_SN_EUlS10_E1_NS1_11comp_targetILNS1_3genE8ELNS1_11target_archE1030ELNS1_3gpuE2ELNS1_3repE0EEENS1_36merge_oddeven_config_static_selectorELNS0_4arch9wavefront6targetE0EEEvSM_.kd
    .uniform_work_group_size: 1
    .uses_dynamic_stack: false
    .vgpr_count:     0
    .vgpr_spill_count: 0
    .wavefront_size: 32
    .workgroup_processor_mode: 1
  - .args:
      - .offset:         0
        .size:           64
        .value_kind:     by_value
    .group_segment_fixed_size: 0
    .kernarg_segment_align: 8
    .kernarg_segment_size: 64
    .language:       OpenCL C
    .language_version:
      - 2
      - 0
    .max_flat_workgroup_size: 128
    .name:           _ZN7rocprim17ROCPRIM_400000_NS6detail17trampoline_kernelINS0_14default_configENS1_35adjacent_difference_config_selectorILb0ElEEZNS1_24adjacent_difference_implIS3_Lb0ELb0EPlS7_ZN2at6native12_GLOBAL__N_124unique_dim_cuda_templateItEESt5tupleIJNS8_6TensorESD_SD_EERKSD_lbbbEUlllE1_EE10hipError_tPvRmT2_T3_mT4_P12ihipStream_tbEUlT_E_NS1_11comp_targetILNS1_3genE0ELNS1_11target_archE4294967295ELNS1_3gpuE0ELNS1_3repE0EEENS1_30default_config_static_selectorELNS0_4arch9wavefront6targetE0EEEvT1_
    .private_segment_fixed_size: 0
    .sgpr_count:     0
    .sgpr_spill_count: 0
    .symbol:         _ZN7rocprim17ROCPRIM_400000_NS6detail17trampoline_kernelINS0_14default_configENS1_35adjacent_difference_config_selectorILb0ElEEZNS1_24adjacent_difference_implIS3_Lb0ELb0EPlS7_ZN2at6native12_GLOBAL__N_124unique_dim_cuda_templateItEESt5tupleIJNS8_6TensorESD_SD_EERKSD_lbbbEUlllE1_EE10hipError_tPvRmT2_T3_mT4_P12ihipStream_tbEUlT_E_NS1_11comp_targetILNS1_3genE0ELNS1_11target_archE4294967295ELNS1_3gpuE0ELNS1_3repE0EEENS1_30default_config_static_selectorELNS0_4arch9wavefront6targetE0EEEvT1_.kd
    .uniform_work_group_size: 1
    .uses_dynamic_stack: false
    .vgpr_count:     0
    .vgpr_spill_count: 0
    .wavefront_size: 32
    .workgroup_processor_mode: 1
  - .args:
      - .offset:         0
        .size:           64
        .value_kind:     by_value
    .group_segment_fixed_size: 0
    .kernarg_segment_align: 8
    .kernarg_segment_size: 64
    .language:       OpenCL C
    .language_version:
      - 2
      - 0
    .max_flat_workgroup_size: 128
    .name:           _ZN7rocprim17ROCPRIM_400000_NS6detail17trampoline_kernelINS0_14default_configENS1_35adjacent_difference_config_selectorILb0ElEEZNS1_24adjacent_difference_implIS3_Lb0ELb0EPlS7_ZN2at6native12_GLOBAL__N_124unique_dim_cuda_templateItEESt5tupleIJNS8_6TensorESD_SD_EERKSD_lbbbEUlllE1_EE10hipError_tPvRmT2_T3_mT4_P12ihipStream_tbEUlT_E_NS1_11comp_targetILNS1_3genE10ELNS1_11target_archE1201ELNS1_3gpuE5ELNS1_3repE0EEENS1_30default_config_static_selectorELNS0_4arch9wavefront6targetE0EEEvT1_
    .private_segment_fixed_size: 0
    .sgpr_count:     0
    .sgpr_spill_count: 0
    .symbol:         _ZN7rocprim17ROCPRIM_400000_NS6detail17trampoline_kernelINS0_14default_configENS1_35adjacent_difference_config_selectorILb0ElEEZNS1_24adjacent_difference_implIS3_Lb0ELb0EPlS7_ZN2at6native12_GLOBAL__N_124unique_dim_cuda_templateItEESt5tupleIJNS8_6TensorESD_SD_EERKSD_lbbbEUlllE1_EE10hipError_tPvRmT2_T3_mT4_P12ihipStream_tbEUlT_E_NS1_11comp_targetILNS1_3genE10ELNS1_11target_archE1201ELNS1_3gpuE5ELNS1_3repE0EEENS1_30default_config_static_selectorELNS0_4arch9wavefront6targetE0EEEvT1_.kd
    .uniform_work_group_size: 1
    .uses_dynamic_stack: false
    .vgpr_count:     0
    .vgpr_spill_count: 0
    .wavefront_size: 32
    .workgroup_processor_mode: 1
  - .args:
      - .offset:         0
        .size:           64
        .value_kind:     by_value
    .group_segment_fixed_size: 0
    .kernarg_segment_align: 8
    .kernarg_segment_size: 64
    .language:       OpenCL C
    .language_version:
      - 2
      - 0
    .max_flat_workgroup_size: 64
    .name:           _ZN7rocprim17ROCPRIM_400000_NS6detail17trampoline_kernelINS0_14default_configENS1_35adjacent_difference_config_selectorILb0ElEEZNS1_24adjacent_difference_implIS3_Lb0ELb0EPlS7_ZN2at6native12_GLOBAL__N_124unique_dim_cuda_templateItEESt5tupleIJNS8_6TensorESD_SD_EERKSD_lbbbEUlllE1_EE10hipError_tPvRmT2_T3_mT4_P12ihipStream_tbEUlT_E_NS1_11comp_targetILNS1_3genE5ELNS1_11target_archE942ELNS1_3gpuE9ELNS1_3repE0EEENS1_30default_config_static_selectorELNS0_4arch9wavefront6targetE0EEEvT1_
    .private_segment_fixed_size: 0
    .sgpr_count:     0
    .sgpr_spill_count: 0
    .symbol:         _ZN7rocprim17ROCPRIM_400000_NS6detail17trampoline_kernelINS0_14default_configENS1_35adjacent_difference_config_selectorILb0ElEEZNS1_24adjacent_difference_implIS3_Lb0ELb0EPlS7_ZN2at6native12_GLOBAL__N_124unique_dim_cuda_templateItEESt5tupleIJNS8_6TensorESD_SD_EERKSD_lbbbEUlllE1_EE10hipError_tPvRmT2_T3_mT4_P12ihipStream_tbEUlT_E_NS1_11comp_targetILNS1_3genE5ELNS1_11target_archE942ELNS1_3gpuE9ELNS1_3repE0EEENS1_30default_config_static_selectorELNS0_4arch9wavefront6targetE0EEEvT1_.kd
    .uniform_work_group_size: 1
    .uses_dynamic_stack: false
    .vgpr_count:     0
    .vgpr_spill_count: 0
    .wavefront_size: 32
    .workgroup_processor_mode: 1
  - .args:
      - .offset:         0
        .size:           64
        .value_kind:     by_value
    .group_segment_fixed_size: 0
    .kernarg_segment_align: 8
    .kernarg_segment_size: 64
    .language:       OpenCL C
    .language_version:
      - 2
      - 0
    .max_flat_workgroup_size: 256
    .name:           _ZN7rocprim17ROCPRIM_400000_NS6detail17trampoline_kernelINS0_14default_configENS1_35adjacent_difference_config_selectorILb0ElEEZNS1_24adjacent_difference_implIS3_Lb0ELb0EPlS7_ZN2at6native12_GLOBAL__N_124unique_dim_cuda_templateItEESt5tupleIJNS8_6TensorESD_SD_EERKSD_lbbbEUlllE1_EE10hipError_tPvRmT2_T3_mT4_P12ihipStream_tbEUlT_E_NS1_11comp_targetILNS1_3genE4ELNS1_11target_archE910ELNS1_3gpuE8ELNS1_3repE0EEENS1_30default_config_static_selectorELNS0_4arch9wavefront6targetE0EEEvT1_
    .private_segment_fixed_size: 0
    .sgpr_count:     0
    .sgpr_spill_count: 0
    .symbol:         _ZN7rocprim17ROCPRIM_400000_NS6detail17trampoline_kernelINS0_14default_configENS1_35adjacent_difference_config_selectorILb0ElEEZNS1_24adjacent_difference_implIS3_Lb0ELb0EPlS7_ZN2at6native12_GLOBAL__N_124unique_dim_cuda_templateItEESt5tupleIJNS8_6TensorESD_SD_EERKSD_lbbbEUlllE1_EE10hipError_tPvRmT2_T3_mT4_P12ihipStream_tbEUlT_E_NS1_11comp_targetILNS1_3genE4ELNS1_11target_archE910ELNS1_3gpuE8ELNS1_3repE0EEENS1_30default_config_static_selectorELNS0_4arch9wavefront6targetE0EEEvT1_.kd
    .uniform_work_group_size: 1
    .uses_dynamic_stack: false
    .vgpr_count:     0
    .vgpr_spill_count: 0
    .wavefront_size: 32
    .workgroup_processor_mode: 1
  - .args:
      - .offset:         0
        .size:           64
        .value_kind:     by_value
    .group_segment_fixed_size: 0
    .kernarg_segment_align: 8
    .kernarg_segment_size: 64
    .language:       OpenCL C
    .language_version:
      - 2
      - 0
    .max_flat_workgroup_size: 128
    .name:           _ZN7rocprim17ROCPRIM_400000_NS6detail17trampoline_kernelINS0_14default_configENS1_35adjacent_difference_config_selectorILb0ElEEZNS1_24adjacent_difference_implIS3_Lb0ELb0EPlS7_ZN2at6native12_GLOBAL__N_124unique_dim_cuda_templateItEESt5tupleIJNS8_6TensorESD_SD_EERKSD_lbbbEUlllE1_EE10hipError_tPvRmT2_T3_mT4_P12ihipStream_tbEUlT_E_NS1_11comp_targetILNS1_3genE3ELNS1_11target_archE908ELNS1_3gpuE7ELNS1_3repE0EEENS1_30default_config_static_selectorELNS0_4arch9wavefront6targetE0EEEvT1_
    .private_segment_fixed_size: 0
    .sgpr_count:     0
    .sgpr_spill_count: 0
    .symbol:         _ZN7rocprim17ROCPRIM_400000_NS6detail17trampoline_kernelINS0_14default_configENS1_35adjacent_difference_config_selectorILb0ElEEZNS1_24adjacent_difference_implIS3_Lb0ELb0EPlS7_ZN2at6native12_GLOBAL__N_124unique_dim_cuda_templateItEESt5tupleIJNS8_6TensorESD_SD_EERKSD_lbbbEUlllE1_EE10hipError_tPvRmT2_T3_mT4_P12ihipStream_tbEUlT_E_NS1_11comp_targetILNS1_3genE3ELNS1_11target_archE908ELNS1_3gpuE7ELNS1_3repE0EEENS1_30default_config_static_selectorELNS0_4arch9wavefront6targetE0EEEvT1_.kd
    .uniform_work_group_size: 1
    .uses_dynamic_stack: false
    .vgpr_count:     0
    .vgpr_spill_count: 0
    .wavefront_size: 32
    .workgroup_processor_mode: 1
  - .args:
      - .offset:         0
        .size:           64
        .value_kind:     by_value
    .group_segment_fixed_size: 0
    .kernarg_segment_align: 8
    .kernarg_segment_size: 64
    .language:       OpenCL C
    .language_version:
      - 2
      - 0
    .max_flat_workgroup_size: 128
    .name:           _ZN7rocprim17ROCPRIM_400000_NS6detail17trampoline_kernelINS0_14default_configENS1_35adjacent_difference_config_selectorILb0ElEEZNS1_24adjacent_difference_implIS3_Lb0ELb0EPlS7_ZN2at6native12_GLOBAL__N_124unique_dim_cuda_templateItEESt5tupleIJNS8_6TensorESD_SD_EERKSD_lbbbEUlllE1_EE10hipError_tPvRmT2_T3_mT4_P12ihipStream_tbEUlT_E_NS1_11comp_targetILNS1_3genE2ELNS1_11target_archE906ELNS1_3gpuE6ELNS1_3repE0EEENS1_30default_config_static_selectorELNS0_4arch9wavefront6targetE0EEEvT1_
    .private_segment_fixed_size: 0
    .sgpr_count:     0
    .sgpr_spill_count: 0
    .symbol:         _ZN7rocprim17ROCPRIM_400000_NS6detail17trampoline_kernelINS0_14default_configENS1_35adjacent_difference_config_selectorILb0ElEEZNS1_24adjacent_difference_implIS3_Lb0ELb0EPlS7_ZN2at6native12_GLOBAL__N_124unique_dim_cuda_templateItEESt5tupleIJNS8_6TensorESD_SD_EERKSD_lbbbEUlllE1_EE10hipError_tPvRmT2_T3_mT4_P12ihipStream_tbEUlT_E_NS1_11comp_targetILNS1_3genE2ELNS1_11target_archE906ELNS1_3gpuE6ELNS1_3repE0EEENS1_30default_config_static_selectorELNS0_4arch9wavefront6targetE0EEEvT1_.kd
    .uniform_work_group_size: 1
    .uses_dynamic_stack: false
    .vgpr_count:     0
    .vgpr_spill_count: 0
    .wavefront_size: 32
    .workgroup_processor_mode: 1
  - .args:
      - .offset:         0
        .size:           64
        .value_kind:     by_value
    .group_segment_fixed_size: 8192
    .kernarg_segment_align: 8
    .kernarg_segment_size: 64
    .language:       OpenCL C
    .language_version:
      - 2
      - 0
    .max_flat_workgroup_size: 512
    .name:           _ZN7rocprim17ROCPRIM_400000_NS6detail17trampoline_kernelINS0_14default_configENS1_35adjacent_difference_config_selectorILb0ElEEZNS1_24adjacent_difference_implIS3_Lb0ELb0EPlS7_ZN2at6native12_GLOBAL__N_124unique_dim_cuda_templateItEESt5tupleIJNS8_6TensorESD_SD_EERKSD_lbbbEUlllE1_EE10hipError_tPvRmT2_T3_mT4_P12ihipStream_tbEUlT_E_NS1_11comp_targetILNS1_3genE9ELNS1_11target_archE1100ELNS1_3gpuE3ELNS1_3repE0EEENS1_30default_config_static_selectorELNS0_4arch9wavefront6targetE0EEEvT1_
    .private_segment_fixed_size: 0
    .sgpr_count:     28
    .sgpr_spill_count: 0
    .symbol:         _ZN7rocprim17ROCPRIM_400000_NS6detail17trampoline_kernelINS0_14default_configENS1_35adjacent_difference_config_selectorILb0ElEEZNS1_24adjacent_difference_implIS3_Lb0ELb0EPlS7_ZN2at6native12_GLOBAL__N_124unique_dim_cuda_templateItEESt5tupleIJNS8_6TensorESD_SD_EERKSD_lbbbEUlllE1_EE10hipError_tPvRmT2_T3_mT4_P12ihipStream_tbEUlT_E_NS1_11comp_targetILNS1_3genE9ELNS1_11target_archE1100ELNS1_3gpuE3ELNS1_3repE0EEENS1_30default_config_static_selectorELNS0_4arch9wavefront6targetE0EEEvT1_.kd
    .uniform_work_group_size: 1
    .uses_dynamic_stack: false
    .vgpr_count:     13
    .vgpr_spill_count: 0
    .wavefront_size: 32
    .workgroup_processor_mode: 1
  - .args:
      - .offset:         0
        .size:           64
        .value_kind:     by_value
    .group_segment_fixed_size: 0
    .kernarg_segment_align: 8
    .kernarg_segment_size: 64
    .language:       OpenCL C
    .language_version:
      - 2
      - 0
    .max_flat_workgroup_size: 1024
    .name:           _ZN7rocprim17ROCPRIM_400000_NS6detail17trampoline_kernelINS0_14default_configENS1_35adjacent_difference_config_selectorILb0ElEEZNS1_24adjacent_difference_implIS3_Lb0ELb0EPlS7_ZN2at6native12_GLOBAL__N_124unique_dim_cuda_templateItEESt5tupleIJNS8_6TensorESD_SD_EERKSD_lbbbEUlllE1_EE10hipError_tPvRmT2_T3_mT4_P12ihipStream_tbEUlT_E_NS1_11comp_targetILNS1_3genE8ELNS1_11target_archE1030ELNS1_3gpuE2ELNS1_3repE0EEENS1_30default_config_static_selectorELNS0_4arch9wavefront6targetE0EEEvT1_
    .private_segment_fixed_size: 0
    .sgpr_count:     0
    .sgpr_spill_count: 0
    .symbol:         _ZN7rocprim17ROCPRIM_400000_NS6detail17trampoline_kernelINS0_14default_configENS1_35adjacent_difference_config_selectorILb0ElEEZNS1_24adjacent_difference_implIS3_Lb0ELb0EPlS7_ZN2at6native12_GLOBAL__N_124unique_dim_cuda_templateItEESt5tupleIJNS8_6TensorESD_SD_EERKSD_lbbbEUlllE1_EE10hipError_tPvRmT2_T3_mT4_P12ihipStream_tbEUlT_E_NS1_11comp_targetILNS1_3genE8ELNS1_11target_archE1030ELNS1_3gpuE2ELNS1_3repE0EEENS1_30default_config_static_selectorELNS0_4arch9wavefront6targetE0EEEvT1_.kd
    .uniform_work_group_size: 1
    .uses_dynamic_stack: false
    .vgpr_count:     0
    .vgpr_spill_count: 0
    .wavefront_size: 32
    .workgroup_processor_mode: 1
  - .args:
      - .offset:         0
        .size:           56
        .value_kind:     by_value
    .group_segment_fixed_size: 0
    .kernarg_segment_align: 8
    .kernarg_segment_size: 56
    .language:       OpenCL C
    .language_version:
      - 2
      - 0
    .max_flat_workgroup_size: 128
    .name:           _ZN7rocprim17ROCPRIM_400000_NS6detail17trampoline_kernelINS0_14default_configENS1_25transform_config_selectorIlLb0EEEZNS1_14transform_implILb0ES3_S5_NS0_18transform_iteratorINS0_17counting_iteratorImlEEZNS1_24adjacent_difference_implIS3_Lb1ELb0EPlSB_ZN2at6native12_GLOBAL__N_124unique_dim_cuda_templateItEESt5tupleIJNSC_6TensorESH_SH_EERKSH_lbbbEUlllE1_EE10hipError_tPvRmT2_T3_mT4_P12ihipStream_tbEUlmE_lEESB_NS0_8identityIvEEEESM_SP_SQ_mSR_ST_bEUlT_E_NS1_11comp_targetILNS1_3genE0ELNS1_11target_archE4294967295ELNS1_3gpuE0ELNS1_3repE0EEENS1_30default_config_static_selectorELNS0_4arch9wavefront6targetE0EEEvT1_
    .private_segment_fixed_size: 0
    .sgpr_count:     0
    .sgpr_spill_count: 0
    .symbol:         _ZN7rocprim17ROCPRIM_400000_NS6detail17trampoline_kernelINS0_14default_configENS1_25transform_config_selectorIlLb0EEEZNS1_14transform_implILb0ES3_S5_NS0_18transform_iteratorINS0_17counting_iteratorImlEEZNS1_24adjacent_difference_implIS3_Lb1ELb0EPlSB_ZN2at6native12_GLOBAL__N_124unique_dim_cuda_templateItEESt5tupleIJNSC_6TensorESH_SH_EERKSH_lbbbEUlllE1_EE10hipError_tPvRmT2_T3_mT4_P12ihipStream_tbEUlmE_lEESB_NS0_8identityIvEEEESM_SP_SQ_mSR_ST_bEUlT_E_NS1_11comp_targetILNS1_3genE0ELNS1_11target_archE4294967295ELNS1_3gpuE0ELNS1_3repE0EEENS1_30default_config_static_selectorELNS0_4arch9wavefront6targetE0EEEvT1_.kd
    .uniform_work_group_size: 1
    .uses_dynamic_stack: false
    .vgpr_count:     0
    .vgpr_spill_count: 0
    .wavefront_size: 32
    .workgroup_processor_mode: 1
  - .args:
      - .offset:         0
        .size:           56
        .value_kind:     by_value
    .group_segment_fixed_size: 0
    .kernarg_segment_align: 8
    .kernarg_segment_size: 56
    .language:       OpenCL C
    .language_version:
      - 2
      - 0
    .max_flat_workgroup_size: 512
    .name:           _ZN7rocprim17ROCPRIM_400000_NS6detail17trampoline_kernelINS0_14default_configENS1_25transform_config_selectorIlLb0EEEZNS1_14transform_implILb0ES3_S5_NS0_18transform_iteratorINS0_17counting_iteratorImlEEZNS1_24adjacent_difference_implIS3_Lb1ELb0EPlSB_ZN2at6native12_GLOBAL__N_124unique_dim_cuda_templateItEESt5tupleIJNSC_6TensorESH_SH_EERKSH_lbbbEUlllE1_EE10hipError_tPvRmT2_T3_mT4_P12ihipStream_tbEUlmE_lEESB_NS0_8identityIvEEEESM_SP_SQ_mSR_ST_bEUlT_E_NS1_11comp_targetILNS1_3genE5ELNS1_11target_archE942ELNS1_3gpuE9ELNS1_3repE0EEENS1_30default_config_static_selectorELNS0_4arch9wavefront6targetE0EEEvT1_
    .private_segment_fixed_size: 0
    .sgpr_count:     0
    .sgpr_spill_count: 0
    .symbol:         _ZN7rocprim17ROCPRIM_400000_NS6detail17trampoline_kernelINS0_14default_configENS1_25transform_config_selectorIlLb0EEEZNS1_14transform_implILb0ES3_S5_NS0_18transform_iteratorINS0_17counting_iteratorImlEEZNS1_24adjacent_difference_implIS3_Lb1ELb0EPlSB_ZN2at6native12_GLOBAL__N_124unique_dim_cuda_templateItEESt5tupleIJNSC_6TensorESH_SH_EERKSH_lbbbEUlllE1_EE10hipError_tPvRmT2_T3_mT4_P12ihipStream_tbEUlmE_lEESB_NS0_8identityIvEEEESM_SP_SQ_mSR_ST_bEUlT_E_NS1_11comp_targetILNS1_3genE5ELNS1_11target_archE942ELNS1_3gpuE9ELNS1_3repE0EEENS1_30default_config_static_selectorELNS0_4arch9wavefront6targetE0EEEvT1_.kd
    .uniform_work_group_size: 1
    .uses_dynamic_stack: false
    .vgpr_count:     0
    .vgpr_spill_count: 0
    .wavefront_size: 32
    .workgroup_processor_mode: 1
  - .args:
      - .offset:         0
        .size:           56
        .value_kind:     by_value
    .group_segment_fixed_size: 0
    .kernarg_segment_align: 8
    .kernarg_segment_size: 56
    .language:       OpenCL C
    .language_version:
      - 2
      - 0
    .max_flat_workgroup_size: 256
    .name:           _ZN7rocprim17ROCPRIM_400000_NS6detail17trampoline_kernelINS0_14default_configENS1_25transform_config_selectorIlLb0EEEZNS1_14transform_implILb0ES3_S5_NS0_18transform_iteratorINS0_17counting_iteratorImlEEZNS1_24adjacent_difference_implIS3_Lb1ELb0EPlSB_ZN2at6native12_GLOBAL__N_124unique_dim_cuda_templateItEESt5tupleIJNSC_6TensorESH_SH_EERKSH_lbbbEUlllE1_EE10hipError_tPvRmT2_T3_mT4_P12ihipStream_tbEUlmE_lEESB_NS0_8identityIvEEEESM_SP_SQ_mSR_ST_bEUlT_E_NS1_11comp_targetILNS1_3genE4ELNS1_11target_archE910ELNS1_3gpuE8ELNS1_3repE0EEENS1_30default_config_static_selectorELNS0_4arch9wavefront6targetE0EEEvT1_
    .private_segment_fixed_size: 0
    .sgpr_count:     0
    .sgpr_spill_count: 0
    .symbol:         _ZN7rocprim17ROCPRIM_400000_NS6detail17trampoline_kernelINS0_14default_configENS1_25transform_config_selectorIlLb0EEEZNS1_14transform_implILb0ES3_S5_NS0_18transform_iteratorINS0_17counting_iteratorImlEEZNS1_24adjacent_difference_implIS3_Lb1ELb0EPlSB_ZN2at6native12_GLOBAL__N_124unique_dim_cuda_templateItEESt5tupleIJNSC_6TensorESH_SH_EERKSH_lbbbEUlllE1_EE10hipError_tPvRmT2_T3_mT4_P12ihipStream_tbEUlmE_lEESB_NS0_8identityIvEEEESM_SP_SQ_mSR_ST_bEUlT_E_NS1_11comp_targetILNS1_3genE4ELNS1_11target_archE910ELNS1_3gpuE8ELNS1_3repE0EEENS1_30default_config_static_selectorELNS0_4arch9wavefront6targetE0EEEvT1_.kd
    .uniform_work_group_size: 1
    .uses_dynamic_stack: false
    .vgpr_count:     0
    .vgpr_spill_count: 0
    .wavefront_size: 32
    .workgroup_processor_mode: 1
  - .args:
      - .offset:         0
        .size:           56
        .value_kind:     by_value
    .group_segment_fixed_size: 0
    .kernarg_segment_align: 8
    .kernarg_segment_size: 56
    .language:       OpenCL C
    .language_version:
      - 2
      - 0
    .max_flat_workgroup_size: 128
    .name:           _ZN7rocprim17ROCPRIM_400000_NS6detail17trampoline_kernelINS0_14default_configENS1_25transform_config_selectorIlLb0EEEZNS1_14transform_implILb0ES3_S5_NS0_18transform_iteratorINS0_17counting_iteratorImlEEZNS1_24adjacent_difference_implIS3_Lb1ELb0EPlSB_ZN2at6native12_GLOBAL__N_124unique_dim_cuda_templateItEESt5tupleIJNSC_6TensorESH_SH_EERKSH_lbbbEUlllE1_EE10hipError_tPvRmT2_T3_mT4_P12ihipStream_tbEUlmE_lEESB_NS0_8identityIvEEEESM_SP_SQ_mSR_ST_bEUlT_E_NS1_11comp_targetILNS1_3genE3ELNS1_11target_archE908ELNS1_3gpuE7ELNS1_3repE0EEENS1_30default_config_static_selectorELNS0_4arch9wavefront6targetE0EEEvT1_
    .private_segment_fixed_size: 0
    .sgpr_count:     0
    .sgpr_spill_count: 0
    .symbol:         _ZN7rocprim17ROCPRIM_400000_NS6detail17trampoline_kernelINS0_14default_configENS1_25transform_config_selectorIlLb0EEEZNS1_14transform_implILb0ES3_S5_NS0_18transform_iteratorINS0_17counting_iteratorImlEEZNS1_24adjacent_difference_implIS3_Lb1ELb0EPlSB_ZN2at6native12_GLOBAL__N_124unique_dim_cuda_templateItEESt5tupleIJNSC_6TensorESH_SH_EERKSH_lbbbEUlllE1_EE10hipError_tPvRmT2_T3_mT4_P12ihipStream_tbEUlmE_lEESB_NS0_8identityIvEEEESM_SP_SQ_mSR_ST_bEUlT_E_NS1_11comp_targetILNS1_3genE3ELNS1_11target_archE908ELNS1_3gpuE7ELNS1_3repE0EEENS1_30default_config_static_selectorELNS0_4arch9wavefront6targetE0EEEvT1_.kd
    .uniform_work_group_size: 1
    .uses_dynamic_stack: false
    .vgpr_count:     0
    .vgpr_spill_count: 0
    .wavefront_size: 32
    .workgroup_processor_mode: 1
  - .args:
      - .offset:         0
        .size:           56
        .value_kind:     by_value
    .group_segment_fixed_size: 0
    .kernarg_segment_align: 8
    .kernarg_segment_size: 56
    .language:       OpenCL C
    .language_version:
      - 2
      - 0
    .max_flat_workgroup_size: 512
    .name:           _ZN7rocprim17ROCPRIM_400000_NS6detail17trampoline_kernelINS0_14default_configENS1_25transform_config_selectorIlLb0EEEZNS1_14transform_implILb0ES3_S5_NS0_18transform_iteratorINS0_17counting_iteratorImlEEZNS1_24adjacent_difference_implIS3_Lb1ELb0EPlSB_ZN2at6native12_GLOBAL__N_124unique_dim_cuda_templateItEESt5tupleIJNSC_6TensorESH_SH_EERKSH_lbbbEUlllE1_EE10hipError_tPvRmT2_T3_mT4_P12ihipStream_tbEUlmE_lEESB_NS0_8identityIvEEEESM_SP_SQ_mSR_ST_bEUlT_E_NS1_11comp_targetILNS1_3genE2ELNS1_11target_archE906ELNS1_3gpuE6ELNS1_3repE0EEENS1_30default_config_static_selectorELNS0_4arch9wavefront6targetE0EEEvT1_
    .private_segment_fixed_size: 0
    .sgpr_count:     0
    .sgpr_spill_count: 0
    .symbol:         _ZN7rocprim17ROCPRIM_400000_NS6detail17trampoline_kernelINS0_14default_configENS1_25transform_config_selectorIlLb0EEEZNS1_14transform_implILb0ES3_S5_NS0_18transform_iteratorINS0_17counting_iteratorImlEEZNS1_24adjacent_difference_implIS3_Lb1ELb0EPlSB_ZN2at6native12_GLOBAL__N_124unique_dim_cuda_templateItEESt5tupleIJNSC_6TensorESH_SH_EERKSH_lbbbEUlllE1_EE10hipError_tPvRmT2_T3_mT4_P12ihipStream_tbEUlmE_lEESB_NS0_8identityIvEEEESM_SP_SQ_mSR_ST_bEUlT_E_NS1_11comp_targetILNS1_3genE2ELNS1_11target_archE906ELNS1_3gpuE6ELNS1_3repE0EEENS1_30default_config_static_selectorELNS0_4arch9wavefront6targetE0EEEvT1_.kd
    .uniform_work_group_size: 1
    .uses_dynamic_stack: false
    .vgpr_count:     0
    .vgpr_spill_count: 0
    .wavefront_size: 32
    .workgroup_processor_mode: 1
  - .args:
      - .offset:         0
        .size:           56
        .value_kind:     by_value
    .group_segment_fixed_size: 0
    .kernarg_segment_align: 8
    .kernarg_segment_size: 56
    .language:       OpenCL C
    .language_version:
      - 2
      - 0
    .max_flat_workgroup_size: 1024
    .name:           _ZN7rocprim17ROCPRIM_400000_NS6detail17trampoline_kernelINS0_14default_configENS1_25transform_config_selectorIlLb0EEEZNS1_14transform_implILb0ES3_S5_NS0_18transform_iteratorINS0_17counting_iteratorImlEEZNS1_24adjacent_difference_implIS3_Lb1ELb0EPlSB_ZN2at6native12_GLOBAL__N_124unique_dim_cuda_templateItEESt5tupleIJNSC_6TensorESH_SH_EERKSH_lbbbEUlllE1_EE10hipError_tPvRmT2_T3_mT4_P12ihipStream_tbEUlmE_lEESB_NS0_8identityIvEEEESM_SP_SQ_mSR_ST_bEUlT_E_NS1_11comp_targetILNS1_3genE10ELNS1_11target_archE1201ELNS1_3gpuE5ELNS1_3repE0EEENS1_30default_config_static_selectorELNS0_4arch9wavefront6targetE0EEEvT1_
    .private_segment_fixed_size: 0
    .sgpr_count:     0
    .sgpr_spill_count: 0
    .symbol:         _ZN7rocprim17ROCPRIM_400000_NS6detail17trampoline_kernelINS0_14default_configENS1_25transform_config_selectorIlLb0EEEZNS1_14transform_implILb0ES3_S5_NS0_18transform_iteratorINS0_17counting_iteratorImlEEZNS1_24adjacent_difference_implIS3_Lb1ELb0EPlSB_ZN2at6native12_GLOBAL__N_124unique_dim_cuda_templateItEESt5tupleIJNSC_6TensorESH_SH_EERKSH_lbbbEUlllE1_EE10hipError_tPvRmT2_T3_mT4_P12ihipStream_tbEUlmE_lEESB_NS0_8identityIvEEEESM_SP_SQ_mSR_ST_bEUlT_E_NS1_11comp_targetILNS1_3genE10ELNS1_11target_archE1201ELNS1_3gpuE5ELNS1_3repE0EEENS1_30default_config_static_selectorELNS0_4arch9wavefront6targetE0EEEvT1_.kd
    .uniform_work_group_size: 1
    .uses_dynamic_stack: false
    .vgpr_count:     0
    .vgpr_spill_count: 0
    .wavefront_size: 32
    .workgroup_processor_mode: 1
  - .args:
      - .offset:         0
        .size:           56
        .value_kind:     by_value
    .group_segment_fixed_size: 0
    .kernarg_segment_align: 8
    .kernarg_segment_size: 56
    .language:       OpenCL C
    .language_version:
      - 2
      - 0
    .max_flat_workgroup_size: 512
    .name:           _ZN7rocprim17ROCPRIM_400000_NS6detail17trampoline_kernelINS0_14default_configENS1_25transform_config_selectorIlLb0EEEZNS1_14transform_implILb0ES3_S5_NS0_18transform_iteratorINS0_17counting_iteratorImlEEZNS1_24adjacent_difference_implIS3_Lb1ELb0EPlSB_ZN2at6native12_GLOBAL__N_124unique_dim_cuda_templateItEESt5tupleIJNSC_6TensorESH_SH_EERKSH_lbbbEUlllE1_EE10hipError_tPvRmT2_T3_mT4_P12ihipStream_tbEUlmE_lEESB_NS0_8identityIvEEEESM_SP_SQ_mSR_ST_bEUlT_E_NS1_11comp_targetILNS1_3genE10ELNS1_11target_archE1200ELNS1_3gpuE4ELNS1_3repE0EEENS1_30default_config_static_selectorELNS0_4arch9wavefront6targetE0EEEvT1_
    .private_segment_fixed_size: 0
    .sgpr_count:     0
    .sgpr_spill_count: 0
    .symbol:         _ZN7rocprim17ROCPRIM_400000_NS6detail17trampoline_kernelINS0_14default_configENS1_25transform_config_selectorIlLb0EEEZNS1_14transform_implILb0ES3_S5_NS0_18transform_iteratorINS0_17counting_iteratorImlEEZNS1_24adjacent_difference_implIS3_Lb1ELb0EPlSB_ZN2at6native12_GLOBAL__N_124unique_dim_cuda_templateItEESt5tupleIJNSC_6TensorESH_SH_EERKSH_lbbbEUlllE1_EE10hipError_tPvRmT2_T3_mT4_P12ihipStream_tbEUlmE_lEESB_NS0_8identityIvEEEESM_SP_SQ_mSR_ST_bEUlT_E_NS1_11comp_targetILNS1_3genE10ELNS1_11target_archE1200ELNS1_3gpuE4ELNS1_3repE0EEENS1_30default_config_static_selectorELNS0_4arch9wavefront6targetE0EEEvT1_.kd
    .uniform_work_group_size: 1
    .uses_dynamic_stack: false
    .vgpr_count:     0
    .vgpr_spill_count: 0
    .wavefront_size: 32
    .workgroup_processor_mode: 1
  - .args:
      - .offset:         0
        .size:           56
        .value_kind:     by_value
      - .offset:         56
        .size:           4
        .value_kind:     hidden_block_count_x
      - .offset:         60
        .size:           4
        .value_kind:     hidden_block_count_y
      - .offset:         64
        .size:           4
        .value_kind:     hidden_block_count_z
      - .offset:         68
        .size:           2
        .value_kind:     hidden_group_size_x
      - .offset:         70
        .size:           2
        .value_kind:     hidden_group_size_y
      - .offset:         72
        .size:           2
        .value_kind:     hidden_group_size_z
      - .offset:         74
        .size:           2
        .value_kind:     hidden_remainder_x
      - .offset:         76
        .size:           2
        .value_kind:     hidden_remainder_y
      - .offset:         78
        .size:           2
        .value_kind:     hidden_remainder_z
      - .offset:         96
        .size:           8
        .value_kind:     hidden_global_offset_x
      - .offset:         104
        .size:           8
        .value_kind:     hidden_global_offset_y
      - .offset:         112
        .size:           8
        .value_kind:     hidden_global_offset_z
      - .offset:         120
        .size:           2
        .value_kind:     hidden_grid_dims
    .group_segment_fixed_size: 0
    .kernarg_segment_align: 8
    .kernarg_segment_size: 312
    .language:       OpenCL C
    .language_version:
      - 2
      - 0
    .max_flat_workgroup_size: 512
    .name:           _ZN7rocprim17ROCPRIM_400000_NS6detail17trampoline_kernelINS0_14default_configENS1_25transform_config_selectorIlLb0EEEZNS1_14transform_implILb0ES3_S5_NS0_18transform_iteratorINS0_17counting_iteratorImlEEZNS1_24adjacent_difference_implIS3_Lb1ELb0EPlSB_ZN2at6native12_GLOBAL__N_124unique_dim_cuda_templateItEESt5tupleIJNSC_6TensorESH_SH_EERKSH_lbbbEUlllE1_EE10hipError_tPvRmT2_T3_mT4_P12ihipStream_tbEUlmE_lEESB_NS0_8identityIvEEEESM_SP_SQ_mSR_ST_bEUlT_E_NS1_11comp_targetILNS1_3genE9ELNS1_11target_archE1100ELNS1_3gpuE3ELNS1_3repE0EEENS1_30default_config_static_selectorELNS0_4arch9wavefront6targetE0EEEvT1_
    .private_segment_fixed_size: 0
    .sgpr_count:     18
    .sgpr_spill_count: 0
    .symbol:         _ZN7rocprim17ROCPRIM_400000_NS6detail17trampoline_kernelINS0_14default_configENS1_25transform_config_selectorIlLb0EEEZNS1_14transform_implILb0ES3_S5_NS0_18transform_iteratorINS0_17counting_iteratorImlEEZNS1_24adjacent_difference_implIS3_Lb1ELb0EPlSB_ZN2at6native12_GLOBAL__N_124unique_dim_cuda_templateItEESt5tupleIJNSC_6TensorESH_SH_EERKSH_lbbbEUlllE1_EE10hipError_tPvRmT2_T3_mT4_P12ihipStream_tbEUlmE_lEESB_NS0_8identityIvEEEESM_SP_SQ_mSR_ST_bEUlT_E_NS1_11comp_targetILNS1_3genE9ELNS1_11target_archE1100ELNS1_3gpuE3ELNS1_3repE0EEENS1_30default_config_static_selectorELNS0_4arch9wavefront6targetE0EEEvT1_.kd
    .uniform_work_group_size: 1
    .uses_dynamic_stack: false
    .vgpr_count:     6
    .vgpr_spill_count: 0
    .wavefront_size: 32
    .workgroup_processor_mode: 1
  - .args:
      - .offset:         0
        .size:           56
        .value_kind:     by_value
    .group_segment_fixed_size: 0
    .kernarg_segment_align: 8
    .kernarg_segment_size: 56
    .language:       OpenCL C
    .language_version:
      - 2
      - 0
    .max_flat_workgroup_size: 512
    .name:           _ZN7rocprim17ROCPRIM_400000_NS6detail17trampoline_kernelINS0_14default_configENS1_25transform_config_selectorIlLb0EEEZNS1_14transform_implILb0ES3_S5_NS0_18transform_iteratorINS0_17counting_iteratorImlEEZNS1_24adjacent_difference_implIS3_Lb1ELb0EPlSB_ZN2at6native12_GLOBAL__N_124unique_dim_cuda_templateItEESt5tupleIJNSC_6TensorESH_SH_EERKSH_lbbbEUlllE1_EE10hipError_tPvRmT2_T3_mT4_P12ihipStream_tbEUlmE_lEESB_NS0_8identityIvEEEESM_SP_SQ_mSR_ST_bEUlT_E_NS1_11comp_targetILNS1_3genE8ELNS1_11target_archE1030ELNS1_3gpuE2ELNS1_3repE0EEENS1_30default_config_static_selectorELNS0_4arch9wavefront6targetE0EEEvT1_
    .private_segment_fixed_size: 0
    .sgpr_count:     0
    .sgpr_spill_count: 0
    .symbol:         _ZN7rocprim17ROCPRIM_400000_NS6detail17trampoline_kernelINS0_14default_configENS1_25transform_config_selectorIlLb0EEEZNS1_14transform_implILb0ES3_S5_NS0_18transform_iteratorINS0_17counting_iteratorImlEEZNS1_24adjacent_difference_implIS3_Lb1ELb0EPlSB_ZN2at6native12_GLOBAL__N_124unique_dim_cuda_templateItEESt5tupleIJNSC_6TensorESH_SH_EERKSH_lbbbEUlllE1_EE10hipError_tPvRmT2_T3_mT4_P12ihipStream_tbEUlmE_lEESB_NS0_8identityIvEEEESM_SP_SQ_mSR_ST_bEUlT_E_NS1_11comp_targetILNS1_3genE8ELNS1_11target_archE1030ELNS1_3gpuE2ELNS1_3repE0EEENS1_30default_config_static_selectorELNS0_4arch9wavefront6targetE0EEEvT1_.kd
    .uniform_work_group_size: 1
    .uses_dynamic_stack: false
    .vgpr_count:     0
    .vgpr_spill_count: 0
    .wavefront_size: 32
    .workgroup_processor_mode: 1
  - .args:
      - .offset:         0
        .size:           64
        .value_kind:     by_value
    .group_segment_fixed_size: 0
    .kernarg_segment_align: 8
    .kernarg_segment_size: 64
    .language:       OpenCL C
    .language_version:
      - 2
      - 0
    .max_flat_workgroup_size: 512
    .name:           _ZN7rocprim17ROCPRIM_400000_NS6detail17trampoline_kernelINS0_14default_configENS1_35adjacent_difference_config_selectorILb1ElEEZNS1_24adjacent_difference_implIS3_Lb1ELb0EPlS7_ZN2at6native12_GLOBAL__N_124unique_dim_cuda_templateItEESt5tupleIJNS8_6TensorESD_SD_EERKSD_lbbbEUlllE1_EE10hipError_tPvRmT2_T3_mT4_P12ihipStream_tbEUlT_E_NS1_11comp_targetILNS1_3genE0ELNS1_11target_archE4294967295ELNS1_3gpuE0ELNS1_3repE0EEENS1_30default_config_static_selectorELNS0_4arch9wavefront6targetE0EEEvT1_
    .private_segment_fixed_size: 0
    .sgpr_count:     0
    .sgpr_spill_count: 0
    .symbol:         _ZN7rocprim17ROCPRIM_400000_NS6detail17trampoline_kernelINS0_14default_configENS1_35adjacent_difference_config_selectorILb1ElEEZNS1_24adjacent_difference_implIS3_Lb1ELb0EPlS7_ZN2at6native12_GLOBAL__N_124unique_dim_cuda_templateItEESt5tupleIJNS8_6TensorESD_SD_EERKSD_lbbbEUlllE1_EE10hipError_tPvRmT2_T3_mT4_P12ihipStream_tbEUlT_E_NS1_11comp_targetILNS1_3genE0ELNS1_11target_archE4294967295ELNS1_3gpuE0ELNS1_3repE0EEENS1_30default_config_static_selectorELNS0_4arch9wavefront6targetE0EEEvT1_.kd
    .uniform_work_group_size: 1
    .uses_dynamic_stack: false
    .vgpr_count:     0
    .vgpr_spill_count: 0
    .wavefront_size: 32
    .workgroup_processor_mode: 1
  - .args:
      - .offset:         0
        .size:           64
        .value_kind:     by_value
    .group_segment_fixed_size: 0
    .kernarg_segment_align: 8
    .kernarg_segment_size: 64
    .language:       OpenCL C
    .language_version:
      - 2
      - 0
    .max_flat_workgroup_size: 32
    .name:           _ZN7rocprim17ROCPRIM_400000_NS6detail17trampoline_kernelINS0_14default_configENS1_35adjacent_difference_config_selectorILb1ElEEZNS1_24adjacent_difference_implIS3_Lb1ELb0EPlS7_ZN2at6native12_GLOBAL__N_124unique_dim_cuda_templateItEESt5tupleIJNS8_6TensorESD_SD_EERKSD_lbbbEUlllE1_EE10hipError_tPvRmT2_T3_mT4_P12ihipStream_tbEUlT_E_NS1_11comp_targetILNS1_3genE10ELNS1_11target_archE1201ELNS1_3gpuE5ELNS1_3repE0EEENS1_30default_config_static_selectorELNS0_4arch9wavefront6targetE0EEEvT1_
    .private_segment_fixed_size: 0
    .sgpr_count:     0
    .sgpr_spill_count: 0
    .symbol:         _ZN7rocprim17ROCPRIM_400000_NS6detail17trampoline_kernelINS0_14default_configENS1_35adjacent_difference_config_selectorILb1ElEEZNS1_24adjacent_difference_implIS3_Lb1ELb0EPlS7_ZN2at6native12_GLOBAL__N_124unique_dim_cuda_templateItEESt5tupleIJNS8_6TensorESD_SD_EERKSD_lbbbEUlllE1_EE10hipError_tPvRmT2_T3_mT4_P12ihipStream_tbEUlT_E_NS1_11comp_targetILNS1_3genE10ELNS1_11target_archE1201ELNS1_3gpuE5ELNS1_3repE0EEENS1_30default_config_static_selectorELNS0_4arch9wavefront6targetE0EEEvT1_.kd
    .uniform_work_group_size: 1
    .uses_dynamic_stack: false
    .vgpr_count:     0
    .vgpr_spill_count: 0
    .wavefront_size: 32
    .workgroup_processor_mode: 1
  - .args:
      - .offset:         0
        .size:           64
        .value_kind:     by_value
    .group_segment_fixed_size: 0
    .kernarg_segment_align: 8
    .kernarg_segment_size: 64
    .language:       OpenCL C
    .language_version:
      - 2
      - 0
    .max_flat_workgroup_size: 256
    .name:           _ZN7rocprim17ROCPRIM_400000_NS6detail17trampoline_kernelINS0_14default_configENS1_35adjacent_difference_config_selectorILb1ElEEZNS1_24adjacent_difference_implIS3_Lb1ELb0EPlS7_ZN2at6native12_GLOBAL__N_124unique_dim_cuda_templateItEESt5tupleIJNS8_6TensorESD_SD_EERKSD_lbbbEUlllE1_EE10hipError_tPvRmT2_T3_mT4_P12ihipStream_tbEUlT_E_NS1_11comp_targetILNS1_3genE5ELNS1_11target_archE942ELNS1_3gpuE9ELNS1_3repE0EEENS1_30default_config_static_selectorELNS0_4arch9wavefront6targetE0EEEvT1_
    .private_segment_fixed_size: 0
    .sgpr_count:     0
    .sgpr_spill_count: 0
    .symbol:         _ZN7rocprim17ROCPRIM_400000_NS6detail17trampoline_kernelINS0_14default_configENS1_35adjacent_difference_config_selectorILb1ElEEZNS1_24adjacent_difference_implIS3_Lb1ELb0EPlS7_ZN2at6native12_GLOBAL__N_124unique_dim_cuda_templateItEESt5tupleIJNS8_6TensorESD_SD_EERKSD_lbbbEUlllE1_EE10hipError_tPvRmT2_T3_mT4_P12ihipStream_tbEUlT_E_NS1_11comp_targetILNS1_3genE5ELNS1_11target_archE942ELNS1_3gpuE9ELNS1_3repE0EEENS1_30default_config_static_selectorELNS0_4arch9wavefront6targetE0EEEvT1_.kd
    .uniform_work_group_size: 1
    .uses_dynamic_stack: false
    .vgpr_count:     0
    .vgpr_spill_count: 0
    .wavefront_size: 32
    .workgroup_processor_mode: 1
  - .args:
      - .offset:         0
        .size:           64
        .value_kind:     by_value
    .group_segment_fixed_size: 0
    .kernarg_segment_align: 8
    .kernarg_segment_size: 64
    .language:       OpenCL C
    .language_version:
      - 2
      - 0
    .max_flat_workgroup_size: 512
    .name:           _ZN7rocprim17ROCPRIM_400000_NS6detail17trampoline_kernelINS0_14default_configENS1_35adjacent_difference_config_selectorILb1ElEEZNS1_24adjacent_difference_implIS3_Lb1ELb0EPlS7_ZN2at6native12_GLOBAL__N_124unique_dim_cuda_templateItEESt5tupleIJNS8_6TensorESD_SD_EERKSD_lbbbEUlllE1_EE10hipError_tPvRmT2_T3_mT4_P12ihipStream_tbEUlT_E_NS1_11comp_targetILNS1_3genE4ELNS1_11target_archE910ELNS1_3gpuE8ELNS1_3repE0EEENS1_30default_config_static_selectorELNS0_4arch9wavefront6targetE0EEEvT1_
    .private_segment_fixed_size: 0
    .sgpr_count:     0
    .sgpr_spill_count: 0
    .symbol:         _ZN7rocprim17ROCPRIM_400000_NS6detail17trampoline_kernelINS0_14default_configENS1_35adjacent_difference_config_selectorILb1ElEEZNS1_24adjacent_difference_implIS3_Lb1ELb0EPlS7_ZN2at6native12_GLOBAL__N_124unique_dim_cuda_templateItEESt5tupleIJNS8_6TensorESD_SD_EERKSD_lbbbEUlllE1_EE10hipError_tPvRmT2_T3_mT4_P12ihipStream_tbEUlT_E_NS1_11comp_targetILNS1_3genE4ELNS1_11target_archE910ELNS1_3gpuE8ELNS1_3repE0EEENS1_30default_config_static_selectorELNS0_4arch9wavefront6targetE0EEEvT1_.kd
    .uniform_work_group_size: 1
    .uses_dynamic_stack: false
    .vgpr_count:     0
    .vgpr_spill_count: 0
    .wavefront_size: 32
    .workgroup_processor_mode: 1
  - .args:
      - .offset:         0
        .size:           64
        .value_kind:     by_value
    .group_segment_fixed_size: 0
    .kernarg_segment_align: 8
    .kernarg_segment_size: 64
    .language:       OpenCL C
    .language_version:
      - 2
      - 0
    .max_flat_workgroup_size: 512
    .name:           _ZN7rocprim17ROCPRIM_400000_NS6detail17trampoline_kernelINS0_14default_configENS1_35adjacent_difference_config_selectorILb1ElEEZNS1_24adjacent_difference_implIS3_Lb1ELb0EPlS7_ZN2at6native12_GLOBAL__N_124unique_dim_cuda_templateItEESt5tupleIJNS8_6TensorESD_SD_EERKSD_lbbbEUlllE1_EE10hipError_tPvRmT2_T3_mT4_P12ihipStream_tbEUlT_E_NS1_11comp_targetILNS1_3genE3ELNS1_11target_archE908ELNS1_3gpuE7ELNS1_3repE0EEENS1_30default_config_static_selectorELNS0_4arch9wavefront6targetE0EEEvT1_
    .private_segment_fixed_size: 0
    .sgpr_count:     0
    .sgpr_spill_count: 0
    .symbol:         _ZN7rocprim17ROCPRIM_400000_NS6detail17trampoline_kernelINS0_14default_configENS1_35adjacent_difference_config_selectorILb1ElEEZNS1_24adjacent_difference_implIS3_Lb1ELb0EPlS7_ZN2at6native12_GLOBAL__N_124unique_dim_cuda_templateItEESt5tupleIJNS8_6TensorESD_SD_EERKSD_lbbbEUlllE1_EE10hipError_tPvRmT2_T3_mT4_P12ihipStream_tbEUlT_E_NS1_11comp_targetILNS1_3genE3ELNS1_11target_archE908ELNS1_3gpuE7ELNS1_3repE0EEENS1_30default_config_static_selectorELNS0_4arch9wavefront6targetE0EEEvT1_.kd
    .uniform_work_group_size: 1
    .uses_dynamic_stack: false
    .vgpr_count:     0
    .vgpr_spill_count: 0
    .wavefront_size: 32
    .workgroup_processor_mode: 1
  - .args:
      - .offset:         0
        .size:           64
        .value_kind:     by_value
    .group_segment_fixed_size: 0
    .kernarg_segment_align: 8
    .kernarg_segment_size: 64
    .language:       OpenCL C
    .language_version:
      - 2
      - 0
    .max_flat_workgroup_size: 128
    .name:           _ZN7rocprim17ROCPRIM_400000_NS6detail17trampoline_kernelINS0_14default_configENS1_35adjacent_difference_config_selectorILb1ElEEZNS1_24adjacent_difference_implIS3_Lb1ELb0EPlS7_ZN2at6native12_GLOBAL__N_124unique_dim_cuda_templateItEESt5tupleIJNS8_6TensorESD_SD_EERKSD_lbbbEUlllE1_EE10hipError_tPvRmT2_T3_mT4_P12ihipStream_tbEUlT_E_NS1_11comp_targetILNS1_3genE2ELNS1_11target_archE906ELNS1_3gpuE6ELNS1_3repE0EEENS1_30default_config_static_selectorELNS0_4arch9wavefront6targetE0EEEvT1_
    .private_segment_fixed_size: 0
    .sgpr_count:     0
    .sgpr_spill_count: 0
    .symbol:         _ZN7rocprim17ROCPRIM_400000_NS6detail17trampoline_kernelINS0_14default_configENS1_35adjacent_difference_config_selectorILb1ElEEZNS1_24adjacent_difference_implIS3_Lb1ELb0EPlS7_ZN2at6native12_GLOBAL__N_124unique_dim_cuda_templateItEESt5tupleIJNS8_6TensorESD_SD_EERKSD_lbbbEUlllE1_EE10hipError_tPvRmT2_T3_mT4_P12ihipStream_tbEUlT_E_NS1_11comp_targetILNS1_3genE2ELNS1_11target_archE906ELNS1_3gpuE6ELNS1_3repE0EEENS1_30default_config_static_selectorELNS0_4arch9wavefront6targetE0EEEvT1_.kd
    .uniform_work_group_size: 1
    .uses_dynamic_stack: false
    .vgpr_count:     0
    .vgpr_spill_count: 0
    .wavefront_size: 32
    .workgroup_processor_mode: 1
  - .args:
      - .offset:         0
        .size:           64
        .value_kind:     by_value
    .group_segment_fixed_size: 29696
    .kernarg_segment_align: 8
    .kernarg_segment_size: 64
    .language:       OpenCL C
    .language_version:
      - 2
      - 0
    .max_flat_workgroup_size: 128
    .name:           _ZN7rocprim17ROCPRIM_400000_NS6detail17trampoline_kernelINS0_14default_configENS1_35adjacent_difference_config_selectorILb1ElEEZNS1_24adjacent_difference_implIS3_Lb1ELb0EPlS7_ZN2at6native12_GLOBAL__N_124unique_dim_cuda_templateItEESt5tupleIJNS8_6TensorESD_SD_EERKSD_lbbbEUlllE1_EE10hipError_tPvRmT2_T3_mT4_P12ihipStream_tbEUlT_E_NS1_11comp_targetILNS1_3genE9ELNS1_11target_archE1100ELNS1_3gpuE3ELNS1_3repE0EEENS1_30default_config_static_selectorELNS0_4arch9wavefront6targetE0EEEvT1_
    .private_segment_fixed_size: 0
    .sgpr_count:     32
    .sgpr_spill_count: 0
    .symbol:         _ZN7rocprim17ROCPRIM_400000_NS6detail17trampoline_kernelINS0_14default_configENS1_35adjacent_difference_config_selectorILb1ElEEZNS1_24adjacent_difference_implIS3_Lb1ELb0EPlS7_ZN2at6native12_GLOBAL__N_124unique_dim_cuda_templateItEESt5tupleIJNS8_6TensorESD_SD_EERKSD_lbbbEUlllE1_EE10hipError_tPvRmT2_T3_mT4_P12ihipStream_tbEUlT_E_NS1_11comp_targetILNS1_3genE9ELNS1_11target_archE1100ELNS1_3gpuE3ELNS1_3repE0EEENS1_30default_config_static_selectorELNS0_4arch9wavefront6targetE0EEEvT1_.kd
    .uniform_work_group_size: 1
    .uses_dynamic_stack: false
    .vgpr_count:     196
    .vgpr_spill_count: 0
    .wavefront_size: 32
    .workgroup_processor_mode: 1
  - .args:
      - .offset:         0
        .size:           64
        .value_kind:     by_value
    .group_segment_fixed_size: 0
    .kernarg_segment_align: 8
    .kernarg_segment_size: 64
    .language:       OpenCL C
    .language_version:
      - 2
      - 0
    .max_flat_workgroup_size: 32
    .name:           _ZN7rocprim17ROCPRIM_400000_NS6detail17trampoline_kernelINS0_14default_configENS1_35adjacent_difference_config_selectorILb1ElEEZNS1_24adjacent_difference_implIS3_Lb1ELb0EPlS7_ZN2at6native12_GLOBAL__N_124unique_dim_cuda_templateItEESt5tupleIJNS8_6TensorESD_SD_EERKSD_lbbbEUlllE1_EE10hipError_tPvRmT2_T3_mT4_P12ihipStream_tbEUlT_E_NS1_11comp_targetILNS1_3genE8ELNS1_11target_archE1030ELNS1_3gpuE2ELNS1_3repE0EEENS1_30default_config_static_selectorELNS0_4arch9wavefront6targetE0EEEvT1_
    .private_segment_fixed_size: 0
    .sgpr_count:     0
    .sgpr_spill_count: 0
    .symbol:         _ZN7rocprim17ROCPRIM_400000_NS6detail17trampoline_kernelINS0_14default_configENS1_35adjacent_difference_config_selectorILb1ElEEZNS1_24adjacent_difference_implIS3_Lb1ELb0EPlS7_ZN2at6native12_GLOBAL__N_124unique_dim_cuda_templateItEESt5tupleIJNS8_6TensorESD_SD_EERKSD_lbbbEUlllE1_EE10hipError_tPvRmT2_T3_mT4_P12ihipStream_tbEUlT_E_NS1_11comp_targetILNS1_3genE8ELNS1_11target_archE1030ELNS1_3gpuE2ELNS1_3repE0EEENS1_30default_config_static_selectorELNS0_4arch9wavefront6targetE0EEEvT1_.kd
    .uniform_work_group_size: 1
    .uses_dynamic_stack: false
    .vgpr_count:     0
    .vgpr_spill_count: 0
    .wavefront_size: 32
    .workgroup_processor_mode: 1
  - .args:
      - .offset:         0
        .size:           120
        .value_kind:     by_value
    .group_segment_fixed_size: 0
    .kernarg_segment_align: 8
    .kernarg_segment_size: 120
    .language:       OpenCL C
    .language_version:
      - 2
      - 0
    .max_flat_workgroup_size: 512
    .name:           _ZN7rocprim17ROCPRIM_400000_NS6detail17trampoline_kernelINS0_14default_configENS1_25partition_config_selectorILNS1_17partition_subalgoE8ElNS0_10empty_typeEbEEZZNS1_14partition_implILS5_8ELb0ES3_jPlPS6_PKS6_NS0_5tupleIJS9_S6_EEENSD_IJSA_SA_EEENS0_18inequality_wrapperIZN2at6native12_GLOBAL__N_124unique_dim_cuda_templateItEESt5tupleIJNSH_6TensorESM_SM_EERKSM_lbbbEUlllE0_EEPmJS6_EEE10hipError_tPvRmT3_T4_T5_T6_T7_T9_mT8_P12ihipStream_tbDpT10_ENKUlT_T0_E_clISt17integral_constantIbLb0EES1C_EEDaS17_S18_EUlS17_E_NS1_11comp_targetILNS1_3genE0ELNS1_11target_archE4294967295ELNS1_3gpuE0ELNS1_3repE0EEENS1_30default_config_static_selectorELNS0_4arch9wavefront6targetE0EEEvT1_
    .private_segment_fixed_size: 0
    .sgpr_count:     0
    .sgpr_spill_count: 0
    .symbol:         _ZN7rocprim17ROCPRIM_400000_NS6detail17trampoline_kernelINS0_14default_configENS1_25partition_config_selectorILNS1_17partition_subalgoE8ElNS0_10empty_typeEbEEZZNS1_14partition_implILS5_8ELb0ES3_jPlPS6_PKS6_NS0_5tupleIJS9_S6_EEENSD_IJSA_SA_EEENS0_18inequality_wrapperIZN2at6native12_GLOBAL__N_124unique_dim_cuda_templateItEESt5tupleIJNSH_6TensorESM_SM_EERKSM_lbbbEUlllE0_EEPmJS6_EEE10hipError_tPvRmT3_T4_T5_T6_T7_T9_mT8_P12ihipStream_tbDpT10_ENKUlT_T0_E_clISt17integral_constantIbLb0EES1C_EEDaS17_S18_EUlS17_E_NS1_11comp_targetILNS1_3genE0ELNS1_11target_archE4294967295ELNS1_3gpuE0ELNS1_3repE0EEENS1_30default_config_static_selectorELNS0_4arch9wavefront6targetE0EEEvT1_.kd
    .uniform_work_group_size: 1
    .uses_dynamic_stack: false
    .vgpr_count:     0
    .vgpr_spill_count: 0
    .wavefront_size: 32
    .workgroup_processor_mode: 1
  - .args:
      - .offset:         0
        .size:           120
        .value_kind:     by_value
    .group_segment_fixed_size: 0
    .kernarg_segment_align: 8
    .kernarg_segment_size: 120
    .language:       OpenCL C
    .language_version:
      - 2
      - 0
    .max_flat_workgroup_size: 512
    .name:           _ZN7rocprim17ROCPRIM_400000_NS6detail17trampoline_kernelINS0_14default_configENS1_25partition_config_selectorILNS1_17partition_subalgoE8ElNS0_10empty_typeEbEEZZNS1_14partition_implILS5_8ELb0ES3_jPlPS6_PKS6_NS0_5tupleIJS9_S6_EEENSD_IJSA_SA_EEENS0_18inequality_wrapperIZN2at6native12_GLOBAL__N_124unique_dim_cuda_templateItEESt5tupleIJNSH_6TensorESM_SM_EERKSM_lbbbEUlllE0_EEPmJS6_EEE10hipError_tPvRmT3_T4_T5_T6_T7_T9_mT8_P12ihipStream_tbDpT10_ENKUlT_T0_E_clISt17integral_constantIbLb0EES1C_EEDaS17_S18_EUlS17_E_NS1_11comp_targetILNS1_3genE5ELNS1_11target_archE942ELNS1_3gpuE9ELNS1_3repE0EEENS1_30default_config_static_selectorELNS0_4arch9wavefront6targetE0EEEvT1_
    .private_segment_fixed_size: 0
    .sgpr_count:     0
    .sgpr_spill_count: 0
    .symbol:         _ZN7rocprim17ROCPRIM_400000_NS6detail17trampoline_kernelINS0_14default_configENS1_25partition_config_selectorILNS1_17partition_subalgoE8ElNS0_10empty_typeEbEEZZNS1_14partition_implILS5_8ELb0ES3_jPlPS6_PKS6_NS0_5tupleIJS9_S6_EEENSD_IJSA_SA_EEENS0_18inequality_wrapperIZN2at6native12_GLOBAL__N_124unique_dim_cuda_templateItEESt5tupleIJNSH_6TensorESM_SM_EERKSM_lbbbEUlllE0_EEPmJS6_EEE10hipError_tPvRmT3_T4_T5_T6_T7_T9_mT8_P12ihipStream_tbDpT10_ENKUlT_T0_E_clISt17integral_constantIbLb0EES1C_EEDaS17_S18_EUlS17_E_NS1_11comp_targetILNS1_3genE5ELNS1_11target_archE942ELNS1_3gpuE9ELNS1_3repE0EEENS1_30default_config_static_selectorELNS0_4arch9wavefront6targetE0EEEvT1_.kd
    .uniform_work_group_size: 1
    .uses_dynamic_stack: false
    .vgpr_count:     0
    .vgpr_spill_count: 0
    .wavefront_size: 32
    .workgroup_processor_mode: 1
  - .args:
      - .offset:         0
        .size:           120
        .value_kind:     by_value
    .group_segment_fixed_size: 0
    .kernarg_segment_align: 8
    .kernarg_segment_size: 120
    .language:       OpenCL C
    .language_version:
      - 2
      - 0
    .max_flat_workgroup_size: 256
    .name:           _ZN7rocprim17ROCPRIM_400000_NS6detail17trampoline_kernelINS0_14default_configENS1_25partition_config_selectorILNS1_17partition_subalgoE8ElNS0_10empty_typeEbEEZZNS1_14partition_implILS5_8ELb0ES3_jPlPS6_PKS6_NS0_5tupleIJS9_S6_EEENSD_IJSA_SA_EEENS0_18inequality_wrapperIZN2at6native12_GLOBAL__N_124unique_dim_cuda_templateItEESt5tupleIJNSH_6TensorESM_SM_EERKSM_lbbbEUlllE0_EEPmJS6_EEE10hipError_tPvRmT3_T4_T5_T6_T7_T9_mT8_P12ihipStream_tbDpT10_ENKUlT_T0_E_clISt17integral_constantIbLb0EES1C_EEDaS17_S18_EUlS17_E_NS1_11comp_targetILNS1_3genE4ELNS1_11target_archE910ELNS1_3gpuE8ELNS1_3repE0EEENS1_30default_config_static_selectorELNS0_4arch9wavefront6targetE0EEEvT1_
    .private_segment_fixed_size: 0
    .sgpr_count:     0
    .sgpr_spill_count: 0
    .symbol:         _ZN7rocprim17ROCPRIM_400000_NS6detail17trampoline_kernelINS0_14default_configENS1_25partition_config_selectorILNS1_17partition_subalgoE8ElNS0_10empty_typeEbEEZZNS1_14partition_implILS5_8ELb0ES3_jPlPS6_PKS6_NS0_5tupleIJS9_S6_EEENSD_IJSA_SA_EEENS0_18inequality_wrapperIZN2at6native12_GLOBAL__N_124unique_dim_cuda_templateItEESt5tupleIJNSH_6TensorESM_SM_EERKSM_lbbbEUlllE0_EEPmJS6_EEE10hipError_tPvRmT3_T4_T5_T6_T7_T9_mT8_P12ihipStream_tbDpT10_ENKUlT_T0_E_clISt17integral_constantIbLb0EES1C_EEDaS17_S18_EUlS17_E_NS1_11comp_targetILNS1_3genE4ELNS1_11target_archE910ELNS1_3gpuE8ELNS1_3repE0EEENS1_30default_config_static_selectorELNS0_4arch9wavefront6targetE0EEEvT1_.kd
    .uniform_work_group_size: 1
    .uses_dynamic_stack: false
    .vgpr_count:     0
    .vgpr_spill_count: 0
    .wavefront_size: 32
    .workgroup_processor_mode: 1
  - .args:
      - .offset:         0
        .size:           120
        .value_kind:     by_value
    .group_segment_fixed_size: 0
    .kernarg_segment_align: 8
    .kernarg_segment_size: 120
    .language:       OpenCL C
    .language_version:
      - 2
      - 0
    .max_flat_workgroup_size: 512
    .name:           _ZN7rocprim17ROCPRIM_400000_NS6detail17trampoline_kernelINS0_14default_configENS1_25partition_config_selectorILNS1_17partition_subalgoE8ElNS0_10empty_typeEbEEZZNS1_14partition_implILS5_8ELb0ES3_jPlPS6_PKS6_NS0_5tupleIJS9_S6_EEENSD_IJSA_SA_EEENS0_18inequality_wrapperIZN2at6native12_GLOBAL__N_124unique_dim_cuda_templateItEESt5tupleIJNSH_6TensorESM_SM_EERKSM_lbbbEUlllE0_EEPmJS6_EEE10hipError_tPvRmT3_T4_T5_T6_T7_T9_mT8_P12ihipStream_tbDpT10_ENKUlT_T0_E_clISt17integral_constantIbLb0EES1C_EEDaS17_S18_EUlS17_E_NS1_11comp_targetILNS1_3genE3ELNS1_11target_archE908ELNS1_3gpuE7ELNS1_3repE0EEENS1_30default_config_static_selectorELNS0_4arch9wavefront6targetE0EEEvT1_
    .private_segment_fixed_size: 0
    .sgpr_count:     0
    .sgpr_spill_count: 0
    .symbol:         _ZN7rocprim17ROCPRIM_400000_NS6detail17trampoline_kernelINS0_14default_configENS1_25partition_config_selectorILNS1_17partition_subalgoE8ElNS0_10empty_typeEbEEZZNS1_14partition_implILS5_8ELb0ES3_jPlPS6_PKS6_NS0_5tupleIJS9_S6_EEENSD_IJSA_SA_EEENS0_18inequality_wrapperIZN2at6native12_GLOBAL__N_124unique_dim_cuda_templateItEESt5tupleIJNSH_6TensorESM_SM_EERKSM_lbbbEUlllE0_EEPmJS6_EEE10hipError_tPvRmT3_T4_T5_T6_T7_T9_mT8_P12ihipStream_tbDpT10_ENKUlT_T0_E_clISt17integral_constantIbLb0EES1C_EEDaS17_S18_EUlS17_E_NS1_11comp_targetILNS1_3genE3ELNS1_11target_archE908ELNS1_3gpuE7ELNS1_3repE0EEENS1_30default_config_static_selectorELNS0_4arch9wavefront6targetE0EEEvT1_.kd
    .uniform_work_group_size: 1
    .uses_dynamic_stack: false
    .vgpr_count:     0
    .vgpr_spill_count: 0
    .wavefront_size: 32
    .workgroup_processor_mode: 1
  - .args:
      - .offset:         0
        .size:           120
        .value_kind:     by_value
    .group_segment_fixed_size: 0
    .kernarg_segment_align: 8
    .kernarg_segment_size: 120
    .language:       OpenCL C
    .language_version:
      - 2
      - 0
    .max_flat_workgroup_size: 256
    .name:           _ZN7rocprim17ROCPRIM_400000_NS6detail17trampoline_kernelINS0_14default_configENS1_25partition_config_selectorILNS1_17partition_subalgoE8ElNS0_10empty_typeEbEEZZNS1_14partition_implILS5_8ELb0ES3_jPlPS6_PKS6_NS0_5tupleIJS9_S6_EEENSD_IJSA_SA_EEENS0_18inequality_wrapperIZN2at6native12_GLOBAL__N_124unique_dim_cuda_templateItEESt5tupleIJNSH_6TensorESM_SM_EERKSM_lbbbEUlllE0_EEPmJS6_EEE10hipError_tPvRmT3_T4_T5_T6_T7_T9_mT8_P12ihipStream_tbDpT10_ENKUlT_T0_E_clISt17integral_constantIbLb0EES1C_EEDaS17_S18_EUlS17_E_NS1_11comp_targetILNS1_3genE2ELNS1_11target_archE906ELNS1_3gpuE6ELNS1_3repE0EEENS1_30default_config_static_selectorELNS0_4arch9wavefront6targetE0EEEvT1_
    .private_segment_fixed_size: 0
    .sgpr_count:     0
    .sgpr_spill_count: 0
    .symbol:         _ZN7rocprim17ROCPRIM_400000_NS6detail17trampoline_kernelINS0_14default_configENS1_25partition_config_selectorILNS1_17partition_subalgoE8ElNS0_10empty_typeEbEEZZNS1_14partition_implILS5_8ELb0ES3_jPlPS6_PKS6_NS0_5tupleIJS9_S6_EEENSD_IJSA_SA_EEENS0_18inequality_wrapperIZN2at6native12_GLOBAL__N_124unique_dim_cuda_templateItEESt5tupleIJNSH_6TensorESM_SM_EERKSM_lbbbEUlllE0_EEPmJS6_EEE10hipError_tPvRmT3_T4_T5_T6_T7_T9_mT8_P12ihipStream_tbDpT10_ENKUlT_T0_E_clISt17integral_constantIbLb0EES1C_EEDaS17_S18_EUlS17_E_NS1_11comp_targetILNS1_3genE2ELNS1_11target_archE906ELNS1_3gpuE6ELNS1_3repE0EEENS1_30default_config_static_selectorELNS0_4arch9wavefront6targetE0EEEvT1_.kd
    .uniform_work_group_size: 1
    .uses_dynamic_stack: false
    .vgpr_count:     0
    .vgpr_spill_count: 0
    .wavefront_size: 32
    .workgroup_processor_mode: 1
  - .args:
      - .offset:         0
        .size:           120
        .value_kind:     by_value
    .group_segment_fixed_size: 0
    .kernarg_segment_align: 8
    .kernarg_segment_size: 120
    .language:       OpenCL C
    .language_version:
      - 2
      - 0
    .max_flat_workgroup_size: 384
    .name:           _ZN7rocprim17ROCPRIM_400000_NS6detail17trampoline_kernelINS0_14default_configENS1_25partition_config_selectorILNS1_17partition_subalgoE8ElNS0_10empty_typeEbEEZZNS1_14partition_implILS5_8ELb0ES3_jPlPS6_PKS6_NS0_5tupleIJS9_S6_EEENSD_IJSA_SA_EEENS0_18inequality_wrapperIZN2at6native12_GLOBAL__N_124unique_dim_cuda_templateItEESt5tupleIJNSH_6TensorESM_SM_EERKSM_lbbbEUlllE0_EEPmJS6_EEE10hipError_tPvRmT3_T4_T5_T6_T7_T9_mT8_P12ihipStream_tbDpT10_ENKUlT_T0_E_clISt17integral_constantIbLb0EES1C_EEDaS17_S18_EUlS17_E_NS1_11comp_targetILNS1_3genE10ELNS1_11target_archE1200ELNS1_3gpuE4ELNS1_3repE0EEENS1_30default_config_static_selectorELNS0_4arch9wavefront6targetE0EEEvT1_
    .private_segment_fixed_size: 0
    .sgpr_count:     0
    .sgpr_spill_count: 0
    .symbol:         _ZN7rocprim17ROCPRIM_400000_NS6detail17trampoline_kernelINS0_14default_configENS1_25partition_config_selectorILNS1_17partition_subalgoE8ElNS0_10empty_typeEbEEZZNS1_14partition_implILS5_8ELb0ES3_jPlPS6_PKS6_NS0_5tupleIJS9_S6_EEENSD_IJSA_SA_EEENS0_18inequality_wrapperIZN2at6native12_GLOBAL__N_124unique_dim_cuda_templateItEESt5tupleIJNSH_6TensorESM_SM_EERKSM_lbbbEUlllE0_EEPmJS6_EEE10hipError_tPvRmT3_T4_T5_T6_T7_T9_mT8_P12ihipStream_tbDpT10_ENKUlT_T0_E_clISt17integral_constantIbLb0EES1C_EEDaS17_S18_EUlS17_E_NS1_11comp_targetILNS1_3genE10ELNS1_11target_archE1200ELNS1_3gpuE4ELNS1_3repE0EEENS1_30default_config_static_selectorELNS0_4arch9wavefront6targetE0EEEvT1_.kd
    .uniform_work_group_size: 1
    .uses_dynamic_stack: false
    .vgpr_count:     0
    .vgpr_spill_count: 0
    .wavefront_size: 32
    .workgroup_processor_mode: 1
  - .args:
      - .offset:         0
        .size:           120
        .value_kind:     by_value
    .group_segment_fixed_size: 33804
    .kernarg_segment_align: 8
    .kernarg_segment_size: 120
    .language:       OpenCL C
    .language_version:
      - 2
      - 0
    .max_flat_workgroup_size: 512
    .name:           _ZN7rocprim17ROCPRIM_400000_NS6detail17trampoline_kernelINS0_14default_configENS1_25partition_config_selectorILNS1_17partition_subalgoE8ElNS0_10empty_typeEbEEZZNS1_14partition_implILS5_8ELb0ES3_jPlPS6_PKS6_NS0_5tupleIJS9_S6_EEENSD_IJSA_SA_EEENS0_18inequality_wrapperIZN2at6native12_GLOBAL__N_124unique_dim_cuda_templateItEESt5tupleIJNSH_6TensorESM_SM_EERKSM_lbbbEUlllE0_EEPmJS6_EEE10hipError_tPvRmT3_T4_T5_T6_T7_T9_mT8_P12ihipStream_tbDpT10_ENKUlT_T0_E_clISt17integral_constantIbLb0EES1C_EEDaS17_S18_EUlS17_E_NS1_11comp_targetILNS1_3genE9ELNS1_11target_archE1100ELNS1_3gpuE3ELNS1_3repE0EEENS1_30default_config_static_selectorELNS0_4arch9wavefront6targetE0EEEvT1_
    .private_segment_fixed_size: 0
    .sgpr_count:     38
    .sgpr_spill_count: 0
    .symbol:         _ZN7rocprim17ROCPRIM_400000_NS6detail17trampoline_kernelINS0_14default_configENS1_25partition_config_selectorILNS1_17partition_subalgoE8ElNS0_10empty_typeEbEEZZNS1_14partition_implILS5_8ELb0ES3_jPlPS6_PKS6_NS0_5tupleIJS9_S6_EEENSD_IJSA_SA_EEENS0_18inequality_wrapperIZN2at6native12_GLOBAL__N_124unique_dim_cuda_templateItEESt5tupleIJNSH_6TensorESM_SM_EERKSM_lbbbEUlllE0_EEPmJS6_EEE10hipError_tPvRmT3_T4_T5_T6_T7_T9_mT8_P12ihipStream_tbDpT10_ENKUlT_T0_E_clISt17integral_constantIbLb0EES1C_EEDaS17_S18_EUlS17_E_NS1_11comp_targetILNS1_3genE9ELNS1_11target_archE1100ELNS1_3gpuE3ELNS1_3repE0EEENS1_30default_config_static_selectorELNS0_4arch9wavefront6targetE0EEEvT1_.kd
    .uniform_work_group_size: 1
    .uses_dynamic_stack: false
    .vgpr_count:     52
    .vgpr_spill_count: 0
    .wavefront_size: 32
    .workgroup_processor_mode: 1
  - .args:
      - .offset:         0
        .size:           120
        .value_kind:     by_value
    .group_segment_fixed_size: 0
    .kernarg_segment_align: 8
    .kernarg_segment_size: 120
    .language:       OpenCL C
    .language_version:
      - 2
      - 0
    .max_flat_workgroup_size: 512
    .name:           _ZN7rocprim17ROCPRIM_400000_NS6detail17trampoline_kernelINS0_14default_configENS1_25partition_config_selectorILNS1_17partition_subalgoE8ElNS0_10empty_typeEbEEZZNS1_14partition_implILS5_8ELb0ES3_jPlPS6_PKS6_NS0_5tupleIJS9_S6_EEENSD_IJSA_SA_EEENS0_18inequality_wrapperIZN2at6native12_GLOBAL__N_124unique_dim_cuda_templateItEESt5tupleIJNSH_6TensorESM_SM_EERKSM_lbbbEUlllE0_EEPmJS6_EEE10hipError_tPvRmT3_T4_T5_T6_T7_T9_mT8_P12ihipStream_tbDpT10_ENKUlT_T0_E_clISt17integral_constantIbLb0EES1C_EEDaS17_S18_EUlS17_E_NS1_11comp_targetILNS1_3genE8ELNS1_11target_archE1030ELNS1_3gpuE2ELNS1_3repE0EEENS1_30default_config_static_selectorELNS0_4arch9wavefront6targetE0EEEvT1_
    .private_segment_fixed_size: 0
    .sgpr_count:     0
    .sgpr_spill_count: 0
    .symbol:         _ZN7rocprim17ROCPRIM_400000_NS6detail17trampoline_kernelINS0_14default_configENS1_25partition_config_selectorILNS1_17partition_subalgoE8ElNS0_10empty_typeEbEEZZNS1_14partition_implILS5_8ELb0ES3_jPlPS6_PKS6_NS0_5tupleIJS9_S6_EEENSD_IJSA_SA_EEENS0_18inequality_wrapperIZN2at6native12_GLOBAL__N_124unique_dim_cuda_templateItEESt5tupleIJNSH_6TensorESM_SM_EERKSM_lbbbEUlllE0_EEPmJS6_EEE10hipError_tPvRmT3_T4_T5_T6_T7_T9_mT8_P12ihipStream_tbDpT10_ENKUlT_T0_E_clISt17integral_constantIbLb0EES1C_EEDaS17_S18_EUlS17_E_NS1_11comp_targetILNS1_3genE8ELNS1_11target_archE1030ELNS1_3gpuE2ELNS1_3repE0EEENS1_30default_config_static_selectorELNS0_4arch9wavefront6targetE0EEEvT1_.kd
    .uniform_work_group_size: 1
    .uses_dynamic_stack: false
    .vgpr_count:     0
    .vgpr_spill_count: 0
    .wavefront_size: 32
    .workgroup_processor_mode: 1
  - .args:
      - .offset:         0
        .size:           136
        .value_kind:     by_value
    .group_segment_fixed_size: 0
    .kernarg_segment_align: 8
    .kernarg_segment_size: 136
    .language:       OpenCL C
    .language_version:
      - 2
      - 0
    .max_flat_workgroup_size: 512
    .name:           _ZN7rocprim17ROCPRIM_400000_NS6detail17trampoline_kernelINS0_14default_configENS1_25partition_config_selectorILNS1_17partition_subalgoE8ElNS0_10empty_typeEbEEZZNS1_14partition_implILS5_8ELb0ES3_jPlPS6_PKS6_NS0_5tupleIJS9_S6_EEENSD_IJSA_SA_EEENS0_18inequality_wrapperIZN2at6native12_GLOBAL__N_124unique_dim_cuda_templateItEESt5tupleIJNSH_6TensorESM_SM_EERKSM_lbbbEUlllE0_EEPmJS6_EEE10hipError_tPvRmT3_T4_T5_T6_T7_T9_mT8_P12ihipStream_tbDpT10_ENKUlT_T0_E_clISt17integral_constantIbLb1EES1C_EEDaS17_S18_EUlS17_E_NS1_11comp_targetILNS1_3genE0ELNS1_11target_archE4294967295ELNS1_3gpuE0ELNS1_3repE0EEENS1_30default_config_static_selectorELNS0_4arch9wavefront6targetE0EEEvT1_
    .private_segment_fixed_size: 0
    .sgpr_count:     0
    .sgpr_spill_count: 0
    .symbol:         _ZN7rocprim17ROCPRIM_400000_NS6detail17trampoline_kernelINS0_14default_configENS1_25partition_config_selectorILNS1_17partition_subalgoE8ElNS0_10empty_typeEbEEZZNS1_14partition_implILS5_8ELb0ES3_jPlPS6_PKS6_NS0_5tupleIJS9_S6_EEENSD_IJSA_SA_EEENS0_18inequality_wrapperIZN2at6native12_GLOBAL__N_124unique_dim_cuda_templateItEESt5tupleIJNSH_6TensorESM_SM_EERKSM_lbbbEUlllE0_EEPmJS6_EEE10hipError_tPvRmT3_T4_T5_T6_T7_T9_mT8_P12ihipStream_tbDpT10_ENKUlT_T0_E_clISt17integral_constantIbLb1EES1C_EEDaS17_S18_EUlS17_E_NS1_11comp_targetILNS1_3genE0ELNS1_11target_archE4294967295ELNS1_3gpuE0ELNS1_3repE0EEENS1_30default_config_static_selectorELNS0_4arch9wavefront6targetE0EEEvT1_.kd
    .uniform_work_group_size: 1
    .uses_dynamic_stack: false
    .vgpr_count:     0
    .vgpr_spill_count: 0
    .wavefront_size: 32
    .workgroup_processor_mode: 1
  - .args:
      - .offset:         0
        .size:           136
        .value_kind:     by_value
    .group_segment_fixed_size: 0
    .kernarg_segment_align: 8
    .kernarg_segment_size: 136
    .language:       OpenCL C
    .language_version:
      - 2
      - 0
    .max_flat_workgroup_size: 512
    .name:           _ZN7rocprim17ROCPRIM_400000_NS6detail17trampoline_kernelINS0_14default_configENS1_25partition_config_selectorILNS1_17partition_subalgoE8ElNS0_10empty_typeEbEEZZNS1_14partition_implILS5_8ELb0ES3_jPlPS6_PKS6_NS0_5tupleIJS9_S6_EEENSD_IJSA_SA_EEENS0_18inequality_wrapperIZN2at6native12_GLOBAL__N_124unique_dim_cuda_templateItEESt5tupleIJNSH_6TensorESM_SM_EERKSM_lbbbEUlllE0_EEPmJS6_EEE10hipError_tPvRmT3_T4_T5_T6_T7_T9_mT8_P12ihipStream_tbDpT10_ENKUlT_T0_E_clISt17integral_constantIbLb1EES1C_EEDaS17_S18_EUlS17_E_NS1_11comp_targetILNS1_3genE5ELNS1_11target_archE942ELNS1_3gpuE9ELNS1_3repE0EEENS1_30default_config_static_selectorELNS0_4arch9wavefront6targetE0EEEvT1_
    .private_segment_fixed_size: 0
    .sgpr_count:     0
    .sgpr_spill_count: 0
    .symbol:         _ZN7rocprim17ROCPRIM_400000_NS6detail17trampoline_kernelINS0_14default_configENS1_25partition_config_selectorILNS1_17partition_subalgoE8ElNS0_10empty_typeEbEEZZNS1_14partition_implILS5_8ELb0ES3_jPlPS6_PKS6_NS0_5tupleIJS9_S6_EEENSD_IJSA_SA_EEENS0_18inequality_wrapperIZN2at6native12_GLOBAL__N_124unique_dim_cuda_templateItEESt5tupleIJNSH_6TensorESM_SM_EERKSM_lbbbEUlllE0_EEPmJS6_EEE10hipError_tPvRmT3_T4_T5_T6_T7_T9_mT8_P12ihipStream_tbDpT10_ENKUlT_T0_E_clISt17integral_constantIbLb1EES1C_EEDaS17_S18_EUlS17_E_NS1_11comp_targetILNS1_3genE5ELNS1_11target_archE942ELNS1_3gpuE9ELNS1_3repE0EEENS1_30default_config_static_selectorELNS0_4arch9wavefront6targetE0EEEvT1_.kd
    .uniform_work_group_size: 1
    .uses_dynamic_stack: false
    .vgpr_count:     0
    .vgpr_spill_count: 0
    .wavefront_size: 32
    .workgroup_processor_mode: 1
  - .args:
      - .offset:         0
        .size:           136
        .value_kind:     by_value
    .group_segment_fixed_size: 0
    .kernarg_segment_align: 8
    .kernarg_segment_size: 136
    .language:       OpenCL C
    .language_version:
      - 2
      - 0
    .max_flat_workgroup_size: 256
    .name:           _ZN7rocprim17ROCPRIM_400000_NS6detail17trampoline_kernelINS0_14default_configENS1_25partition_config_selectorILNS1_17partition_subalgoE8ElNS0_10empty_typeEbEEZZNS1_14partition_implILS5_8ELb0ES3_jPlPS6_PKS6_NS0_5tupleIJS9_S6_EEENSD_IJSA_SA_EEENS0_18inequality_wrapperIZN2at6native12_GLOBAL__N_124unique_dim_cuda_templateItEESt5tupleIJNSH_6TensorESM_SM_EERKSM_lbbbEUlllE0_EEPmJS6_EEE10hipError_tPvRmT3_T4_T5_T6_T7_T9_mT8_P12ihipStream_tbDpT10_ENKUlT_T0_E_clISt17integral_constantIbLb1EES1C_EEDaS17_S18_EUlS17_E_NS1_11comp_targetILNS1_3genE4ELNS1_11target_archE910ELNS1_3gpuE8ELNS1_3repE0EEENS1_30default_config_static_selectorELNS0_4arch9wavefront6targetE0EEEvT1_
    .private_segment_fixed_size: 0
    .sgpr_count:     0
    .sgpr_spill_count: 0
    .symbol:         _ZN7rocprim17ROCPRIM_400000_NS6detail17trampoline_kernelINS0_14default_configENS1_25partition_config_selectorILNS1_17partition_subalgoE8ElNS0_10empty_typeEbEEZZNS1_14partition_implILS5_8ELb0ES3_jPlPS6_PKS6_NS0_5tupleIJS9_S6_EEENSD_IJSA_SA_EEENS0_18inequality_wrapperIZN2at6native12_GLOBAL__N_124unique_dim_cuda_templateItEESt5tupleIJNSH_6TensorESM_SM_EERKSM_lbbbEUlllE0_EEPmJS6_EEE10hipError_tPvRmT3_T4_T5_T6_T7_T9_mT8_P12ihipStream_tbDpT10_ENKUlT_T0_E_clISt17integral_constantIbLb1EES1C_EEDaS17_S18_EUlS17_E_NS1_11comp_targetILNS1_3genE4ELNS1_11target_archE910ELNS1_3gpuE8ELNS1_3repE0EEENS1_30default_config_static_selectorELNS0_4arch9wavefront6targetE0EEEvT1_.kd
    .uniform_work_group_size: 1
    .uses_dynamic_stack: false
    .vgpr_count:     0
    .vgpr_spill_count: 0
    .wavefront_size: 32
    .workgroup_processor_mode: 1
  - .args:
      - .offset:         0
        .size:           136
        .value_kind:     by_value
    .group_segment_fixed_size: 0
    .kernarg_segment_align: 8
    .kernarg_segment_size: 136
    .language:       OpenCL C
    .language_version:
      - 2
      - 0
    .max_flat_workgroup_size: 512
    .name:           _ZN7rocprim17ROCPRIM_400000_NS6detail17trampoline_kernelINS0_14default_configENS1_25partition_config_selectorILNS1_17partition_subalgoE8ElNS0_10empty_typeEbEEZZNS1_14partition_implILS5_8ELb0ES3_jPlPS6_PKS6_NS0_5tupleIJS9_S6_EEENSD_IJSA_SA_EEENS0_18inequality_wrapperIZN2at6native12_GLOBAL__N_124unique_dim_cuda_templateItEESt5tupleIJNSH_6TensorESM_SM_EERKSM_lbbbEUlllE0_EEPmJS6_EEE10hipError_tPvRmT3_T4_T5_T6_T7_T9_mT8_P12ihipStream_tbDpT10_ENKUlT_T0_E_clISt17integral_constantIbLb1EES1C_EEDaS17_S18_EUlS17_E_NS1_11comp_targetILNS1_3genE3ELNS1_11target_archE908ELNS1_3gpuE7ELNS1_3repE0EEENS1_30default_config_static_selectorELNS0_4arch9wavefront6targetE0EEEvT1_
    .private_segment_fixed_size: 0
    .sgpr_count:     0
    .sgpr_spill_count: 0
    .symbol:         _ZN7rocprim17ROCPRIM_400000_NS6detail17trampoline_kernelINS0_14default_configENS1_25partition_config_selectorILNS1_17partition_subalgoE8ElNS0_10empty_typeEbEEZZNS1_14partition_implILS5_8ELb0ES3_jPlPS6_PKS6_NS0_5tupleIJS9_S6_EEENSD_IJSA_SA_EEENS0_18inequality_wrapperIZN2at6native12_GLOBAL__N_124unique_dim_cuda_templateItEESt5tupleIJNSH_6TensorESM_SM_EERKSM_lbbbEUlllE0_EEPmJS6_EEE10hipError_tPvRmT3_T4_T5_T6_T7_T9_mT8_P12ihipStream_tbDpT10_ENKUlT_T0_E_clISt17integral_constantIbLb1EES1C_EEDaS17_S18_EUlS17_E_NS1_11comp_targetILNS1_3genE3ELNS1_11target_archE908ELNS1_3gpuE7ELNS1_3repE0EEENS1_30default_config_static_selectorELNS0_4arch9wavefront6targetE0EEEvT1_.kd
    .uniform_work_group_size: 1
    .uses_dynamic_stack: false
    .vgpr_count:     0
    .vgpr_spill_count: 0
    .wavefront_size: 32
    .workgroup_processor_mode: 1
  - .args:
      - .offset:         0
        .size:           136
        .value_kind:     by_value
    .group_segment_fixed_size: 0
    .kernarg_segment_align: 8
    .kernarg_segment_size: 136
    .language:       OpenCL C
    .language_version:
      - 2
      - 0
    .max_flat_workgroup_size: 256
    .name:           _ZN7rocprim17ROCPRIM_400000_NS6detail17trampoline_kernelINS0_14default_configENS1_25partition_config_selectorILNS1_17partition_subalgoE8ElNS0_10empty_typeEbEEZZNS1_14partition_implILS5_8ELb0ES3_jPlPS6_PKS6_NS0_5tupleIJS9_S6_EEENSD_IJSA_SA_EEENS0_18inequality_wrapperIZN2at6native12_GLOBAL__N_124unique_dim_cuda_templateItEESt5tupleIJNSH_6TensorESM_SM_EERKSM_lbbbEUlllE0_EEPmJS6_EEE10hipError_tPvRmT3_T4_T5_T6_T7_T9_mT8_P12ihipStream_tbDpT10_ENKUlT_T0_E_clISt17integral_constantIbLb1EES1C_EEDaS17_S18_EUlS17_E_NS1_11comp_targetILNS1_3genE2ELNS1_11target_archE906ELNS1_3gpuE6ELNS1_3repE0EEENS1_30default_config_static_selectorELNS0_4arch9wavefront6targetE0EEEvT1_
    .private_segment_fixed_size: 0
    .sgpr_count:     0
    .sgpr_spill_count: 0
    .symbol:         _ZN7rocprim17ROCPRIM_400000_NS6detail17trampoline_kernelINS0_14default_configENS1_25partition_config_selectorILNS1_17partition_subalgoE8ElNS0_10empty_typeEbEEZZNS1_14partition_implILS5_8ELb0ES3_jPlPS6_PKS6_NS0_5tupleIJS9_S6_EEENSD_IJSA_SA_EEENS0_18inequality_wrapperIZN2at6native12_GLOBAL__N_124unique_dim_cuda_templateItEESt5tupleIJNSH_6TensorESM_SM_EERKSM_lbbbEUlllE0_EEPmJS6_EEE10hipError_tPvRmT3_T4_T5_T6_T7_T9_mT8_P12ihipStream_tbDpT10_ENKUlT_T0_E_clISt17integral_constantIbLb1EES1C_EEDaS17_S18_EUlS17_E_NS1_11comp_targetILNS1_3genE2ELNS1_11target_archE906ELNS1_3gpuE6ELNS1_3repE0EEENS1_30default_config_static_selectorELNS0_4arch9wavefront6targetE0EEEvT1_.kd
    .uniform_work_group_size: 1
    .uses_dynamic_stack: false
    .vgpr_count:     0
    .vgpr_spill_count: 0
    .wavefront_size: 32
    .workgroup_processor_mode: 1
  - .args:
      - .offset:         0
        .size:           136
        .value_kind:     by_value
    .group_segment_fixed_size: 0
    .kernarg_segment_align: 8
    .kernarg_segment_size: 136
    .language:       OpenCL C
    .language_version:
      - 2
      - 0
    .max_flat_workgroup_size: 384
    .name:           _ZN7rocprim17ROCPRIM_400000_NS6detail17trampoline_kernelINS0_14default_configENS1_25partition_config_selectorILNS1_17partition_subalgoE8ElNS0_10empty_typeEbEEZZNS1_14partition_implILS5_8ELb0ES3_jPlPS6_PKS6_NS0_5tupleIJS9_S6_EEENSD_IJSA_SA_EEENS0_18inequality_wrapperIZN2at6native12_GLOBAL__N_124unique_dim_cuda_templateItEESt5tupleIJNSH_6TensorESM_SM_EERKSM_lbbbEUlllE0_EEPmJS6_EEE10hipError_tPvRmT3_T4_T5_T6_T7_T9_mT8_P12ihipStream_tbDpT10_ENKUlT_T0_E_clISt17integral_constantIbLb1EES1C_EEDaS17_S18_EUlS17_E_NS1_11comp_targetILNS1_3genE10ELNS1_11target_archE1200ELNS1_3gpuE4ELNS1_3repE0EEENS1_30default_config_static_selectorELNS0_4arch9wavefront6targetE0EEEvT1_
    .private_segment_fixed_size: 0
    .sgpr_count:     0
    .sgpr_spill_count: 0
    .symbol:         _ZN7rocprim17ROCPRIM_400000_NS6detail17trampoline_kernelINS0_14default_configENS1_25partition_config_selectorILNS1_17partition_subalgoE8ElNS0_10empty_typeEbEEZZNS1_14partition_implILS5_8ELb0ES3_jPlPS6_PKS6_NS0_5tupleIJS9_S6_EEENSD_IJSA_SA_EEENS0_18inequality_wrapperIZN2at6native12_GLOBAL__N_124unique_dim_cuda_templateItEESt5tupleIJNSH_6TensorESM_SM_EERKSM_lbbbEUlllE0_EEPmJS6_EEE10hipError_tPvRmT3_T4_T5_T6_T7_T9_mT8_P12ihipStream_tbDpT10_ENKUlT_T0_E_clISt17integral_constantIbLb1EES1C_EEDaS17_S18_EUlS17_E_NS1_11comp_targetILNS1_3genE10ELNS1_11target_archE1200ELNS1_3gpuE4ELNS1_3repE0EEENS1_30default_config_static_selectorELNS0_4arch9wavefront6targetE0EEEvT1_.kd
    .uniform_work_group_size: 1
    .uses_dynamic_stack: false
    .vgpr_count:     0
    .vgpr_spill_count: 0
    .wavefront_size: 32
    .workgroup_processor_mode: 1
  - .args:
      - .offset:         0
        .size:           136
        .value_kind:     by_value
    .group_segment_fixed_size: 33804
    .kernarg_segment_align: 8
    .kernarg_segment_size: 136
    .language:       OpenCL C
    .language_version:
      - 2
      - 0
    .max_flat_workgroup_size: 512
    .name:           _ZN7rocprim17ROCPRIM_400000_NS6detail17trampoline_kernelINS0_14default_configENS1_25partition_config_selectorILNS1_17partition_subalgoE8ElNS0_10empty_typeEbEEZZNS1_14partition_implILS5_8ELb0ES3_jPlPS6_PKS6_NS0_5tupleIJS9_S6_EEENSD_IJSA_SA_EEENS0_18inequality_wrapperIZN2at6native12_GLOBAL__N_124unique_dim_cuda_templateItEESt5tupleIJNSH_6TensorESM_SM_EERKSM_lbbbEUlllE0_EEPmJS6_EEE10hipError_tPvRmT3_T4_T5_T6_T7_T9_mT8_P12ihipStream_tbDpT10_ENKUlT_T0_E_clISt17integral_constantIbLb1EES1C_EEDaS17_S18_EUlS17_E_NS1_11comp_targetILNS1_3genE9ELNS1_11target_archE1100ELNS1_3gpuE3ELNS1_3repE0EEENS1_30default_config_static_selectorELNS0_4arch9wavefront6targetE0EEEvT1_
    .private_segment_fixed_size: 0
    .sgpr_count:     40
    .sgpr_spill_count: 0
    .symbol:         _ZN7rocprim17ROCPRIM_400000_NS6detail17trampoline_kernelINS0_14default_configENS1_25partition_config_selectorILNS1_17partition_subalgoE8ElNS0_10empty_typeEbEEZZNS1_14partition_implILS5_8ELb0ES3_jPlPS6_PKS6_NS0_5tupleIJS9_S6_EEENSD_IJSA_SA_EEENS0_18inequality_wrapperIZN2at6native12_GLOBAL__N_124unique_dim_cuda_templateItEESt5tupleIJNSH_6TensorESM_SM_EERKSM_lbbbEUlllE0_EEPmJS6_EEE10hipError_tPvRmT3_T4_T5_T6_T7_T9_mT8_P12ihipStream_tbDpT10_ENKUlT_T0_E_clISt17integral_constantIbLb1EES1C_EEDaS17_S18_EUlS17_E_NS1_11comp_targetILNS1_3genE9ELNS1_11target_archE1100ELNS1_3gpuE3ELNS1_3repE0EEENS1_30default_config_static_selectorELNS0_4arch9wavefront6targetE0EEEvT1_.kd
    .uniform_work_group_size: 1
    .uses_dynamic_stack: false
    .vgpr_count:     52
    .vgpr_spill_count: 0
    .wavefront_size: 32
    .workgroup_processor_mode: 1
  - .args:
      - .offset:         0
        .size:           136
        .value_kind:     by_value
    .group_segment_fixed_size: 0
    .kernarg_segment_align: 8
    .kernarg_segment_size: 136
    .language:       OpenCL C
    .language_version:
      - 2
      - 0
    .max_flat_workgroup_size: 512
    .name:           _ZN7rocprim17ROCPRIM_400000_NS6detail17trampoline_kernelINS0_14default_configENS1_25partition_config_selectorILNS1_17partition_subalgoE8ElNS0_10empty_typeEbEEZZNS1_14partition_implILS5_8ELb0ES3_jPlPS6_PKS6_NS0_5tupleIJS9_S6_EEENSD_IJSA_SA_EEENS0_18inequality_wrapperIZN2at6native12_GLOBAL__N_124unique_dim_cuda_templateItEESt5tupleIJNSH_6TensorESM_SM_EERKSM_lbbbEUlllE0_EEPmJS6_EEE10hipError_tPvRmT3_T4_T5_T6_T7_T9_mT8_P12ihipStream_tbDpT10_ENKUlT_T0_E_clISt17integral_constantIbLb1EES1C_EEDaS17_S18_EUlS17_E_NS1_11comp_targetILNS1_3genE8ELNS1_11target_archE1030ELNS1_3gpuE2ELNS1_3repE0EEENS1_30default_config_static_selectorELNS0_4arch9wavefront6targetE0EEEvT1_
    .private_segment_fixed_size: 0
    .sgpr_count:     0
    .sgpr_spill_count: 0
    .symbol:         _ZN7rocprim17ROCPRIM_400000_NS6detail17trampoline_kernelINS0_14default_configENS1_25partition_config_selectorILNS1_17partition_subalgoE8ElNS0_10empty_typeEbEEZZNS1_14partition_implILS5_8ELb0ES3_jPlPS6_PKS6_NS0_5tupleIJS9_S6_EEENSD_IJSA_SA_EEENS0_18inequality_wrapperIZN2at6native12_GLOBAL__N_124unique_dim_cuda_templateItEESt5tupleIJNSH_6TensorESM_SM_EERKSM_lbbbEUlllE0_EEPmJS6_EEE10hipError_tPvRmT3_T4_T5_T6_T7_T9_mT8_P12ihipStream_tbDpT10_ENKUlT_T0_E_clISt17integral_constantIbLb1EES1C_EEDaS17_S18_EUlS17_E_NS1_11comp_targetILNS1_3genE8ELNS1_11target_archE1030ELNS1_3gpuE2ELNS1_3repE0EEENS1_30default_config_static_selectorELNS0_4arch9wavefront6targetE0EEEvT1_.kd
    .uniform_work_group_size: 1
    .uses_dynamic_stack: false
    .vgpr_count:     0
    .vgpr_spill_count: 0
    .wavefront_size: 32
    .workgroup_processor_mode: 1
  - .args:
      - .offset:         0
        .size:           120
        .value_kind:     by_value
    .group_segment_fixed_size: 0
    .kernarg_segment_align: 8
    .kernarg_segment_size: 120
    .language:       OpenCL C
    .language_version:
      - 2
      - 0
    .max_flat_workgroup_size: 512
    .name:           _ZN7rocprim17ROCPRIM_400000_NS6detail17trampoline_kernelINS0_14default_configENS1_25partition_config_selectorILNS1_17partition_subalgoE8ElNS0_10empty_typeEbEEZZNS1_14partition_implILS5_8ELb0ES3_jPlPS6_PKS6_NS0_5tupleIJS9_S6_EEENSD_IJSA_SA_EEENS0_18inequality_wrapperIZN2at6native12_GLOBAL__N_124unique_dim_cuda_templateItEESt5tupleIJNSH_6TensorESM_SM_EERKSM_lbbbEUlllE0_EEPmJS6_EEE10hipError_tPvRmT3_T4_T5_T6_T7_T9_mT8_P12ihipStream_tbDpT10_ENKUlT_T0_E_clISt17integral_constantIbLb1EES1B_IbLb0EEEEDaS17_S18_EUlS17_E_NS1_11comp_targetILNS1_3genE0ELNS1_11target_archE4294967295ELNS1_3gpuE0ELNS1_3repE0EEENS1_30default_config_static_selectorELNS0_4arch9wavefront6targetE0EEEvT1_
    .private_segment_fixed_size: 0
    .sgpr_count:     0
    .sgpr_spill_count: 0
    .symbol:         _ZN7rocprim17ROCPRIM_400000_NS6detail17trampoline_kernelINS0_14default_configENS1_25partition_config_selectorILNS1_17partition_subalgoE8ElNS0_10empty_typeEbEEZZNS1_14partition_implILS5_8ELb0ES3_jPlPS6_PKS6_NS0_5tupleIJS9_S6_EEENSD_IJSA_SA_EEENS0_18inequality_wrapperIZN2at6native12_GLOBAL__N_124unique_dim_cuda_templateItEESt5tupleIJNSH_6TensorESM_SM_EERKSM_lbbbEUlllE0_EEPmJS6_EEE10hipError_tPvRmT3_T4_T5_T6_T7_T9_mT8_P12ihipStream_tbDpT10_ENKUlT_T0_E_clISt17integral_constantIbLb1EES1B_IbLb0EEEEDaS17_S18_EUlS17_E_NS1_11comp_targetILNS1_3genE0ELNS1_11target_archE4294967295ELNS1_3gpuE0ELNS1_3repE0EEENS1_30default_config_static_selectorELNS0_4arch9wavefront6targetE0EEEvT1_.kd
    .uniform_work_group_size: 1
    .uses_dynamic_stack: false
    .vgpr_count:     0
    .vgpr_spill_count: 0
    .wavefront_size: 32
    .workgroup_processor_mode: 1
  - .args:
      - .offset:         0
        .size:           120
        .value_kind:     by_value
    .group_segment_fixed_size: 0
    .kernarg_segment_align: 8
    .kernarg_segment_size: 120
    .language:       OpenCL C
    .language_version:
      - 2
      - 0
    .max_flat_workgroup_size: 512
    .name:           _ZN7rocprim17ROCPRIM_400000_NS6detail17trampoline_kernelINS0_14default_configENS1_25partition_config_selectorILNS1_17partition_subalgoE8ElNS0_10empty_typeEbEEZZNS1_14partition_implILS5_8ELb0ES3_jPlPS6_PKS6_NS0_5tupleIJS9_S6_EEENSD_IJSA_SA_EEENS0_18inequality_wrapperIZN2at6native12_GLOBAL__N_124unique_dim_cuda_templateItEESt5tupleIJNSH_6TensorESM_SM_EERKSM_lbbbEUlllE0_EEPmJS6_EEE10hipError_tPvRmT3_T4_T5_T6_T7_T9_mT8_P12ihipStream_tbDpT10_ENKUlT_T0_E_clISt17integral_constantIbLb1EES1B_IbLb0EEEEDaS17_S18_EUlS17_E_NS1_11comp_targetILNS1_3genE5ELNS1_11target_archE942ELNS1_3gpuE9ELNS1_3repE0EEENS1_30default_config_static_selectorELNS0_4arch9wavefront6targetE0EEEvT1_
    .private_segment_fixed_size: 0
    .sgpr_count:     0
    .sgpr_spill_count: 0
    .symbol:         _ZN7rocprim17ROCPRIM_400000_NS6detail17trampoline_kernelINS0_14default_configENS1_25partition_config_selectorILNS1_17partition_subalgoE8ElNS0_10empty_typeEbEEZZNS1_14partition_implILS5_8ELb0ES3_jPlPS6_PKS6_NS0_5tupleIJS9_S6_EEENSD_IJSA_SA_EEENS0_18inequality_wrapperIZN2at6native12_GLOBAL__N_124unique_dim_cuda_templateItEESt5tupleIJNSH_6TensorESM_SM_EERKSM_lbbbEUlllE0_EEPmJS6_EEE10hipError_tPvRmT3_T4_T5_T6_T7_T9_mT8_P12ihipStream_tbDpT10_ENKUlT_T0_E_clISt17integral_constantIbLb1EES1B_IbLb0EEEEDaS17_S18_EUlS17_E_NS1_11comp_targetILNS1_3genE5ELNS1_11target_archE942ELNS1_3gpuE9ELNS1_3repE0EEENS1_30default_config_static_selectorELNS0_4arch9wavefront6targetE0EEEvT1_.kd
    .uniform_work_group_size: 1
    .uses_dynamic_stack: false
    .vgpr_count:     0
    .vgpr_spill_count: 0
    .wavefront_size: 32
    .workgroup_processor_mode: 1
  - .args:
      - .offset:         0
        .size:           120
        .value_kind:     by_value
    .group_segment_fixed_size: 0
    .kernarg_segment_align: 8
    .kernarg_segment_size: 120
    .language:       OpenCL C
    .language_version:
      - 2
      - 0
    .max_flat_workgroup_size: 256
    .name:           _ZN7rocprim17ROCPRIM_400000_NS6detail17trampoline_kernelINS0_14default_configENS1_25partition_config_selectorILNS1_17partition_subalgoE8ElNS0_10empty_typeEbEEZZNS1_14partition_implILS5_8ELb0ES3_jPlPS6_PKS6_NS0_5tupleIJS9_S6_EEENSD_IJSA_SA_EEENS0_18inequality_wrapperIZN2at6native12_GLOBAL__N_124unique_dim_cuda_templateItEESt5tupleIJNSH_6TensorESM_SM_EERKSM_lbbbEUlllE0_EEPmJS6_EEE10hipError_tPvRmT3_T4_T5_T6_T7_T9_mT8_P12ihipStream_tbDpT10_ENKUlT_T0_E_clISt17integral_constantIbLb1EES1B_IbLb0EEEEDaS17_S18_EUlS17_E_NS1_11comp_targetILNS1_3genE4ELNS1_11target_archE910ELNS1_3gpuE8ELNS1_3repE0EEENS1_30default_config_static_selectorELNS0_4arch9wavefront6targetE0EEEvT1_
    .private_segment_fixed_size: 0
    .sgpr_count:     0
    .sgpr_spill_count: 0
    .symbol:         _ZN7rocprim17ROCPRIM_400000_NS6detail17trampoline_kernelINS0_14default_configENS1_25partition_config_selectorILNS1_17partition_subalgoE8ElNS0_10empty_typeEbEEZZNS1_14partition_implILS5_8ELb0ES3_jPlPS6_PKS6_NS0_5tupleIJS9_S6_EEENSD_IJSA_SA_EEENS0_18inequality_wrapperIZN2at6native12_GLOBAL__N_124unique_dim_cuda_templateItEESt5tupleIJNSH_6TensorESM_SM_EERKSM_lbbbEUlllE0_EEPmJS6_EEE10hipError_tPvRmT3_T4_T5_T6_T7_T9_mT8_P12ihipStream_tbDpT10_ENKUlT_T0_E_clISt17integral_constantIbLb1EES1B_IbLb0EEEEDaS17_S18_EUlS17_E_NS1_11comp_targetILNS1_3genE4ELNS1_11target_archE910ELNS1_3gpuE8ELNS1_3repE0EEENS1_30default_config_static_selectorELNS0_4arch9wavefront6targetE0EEEvT1_.kd
    .uniform_work_group_size: 1
    .uses_dynamic_stack: false
    .vgpr_count:     0
    .vgpr_spill_count: 0
    .wavefront_size: 32
    .workgroup_processor_mode: 1
  - .args:
      - .offset:         0
        .size:           120
        .value_kind:     by_value
    .group_segment_fixed_size: 0
    .kernarg_segment_align: 8
    .kernarg_segment_size: 120
    .language:       OpenCL C
    .language_version:
      - 2
      - 0
    .max_flat_workgroup_size: 512
    .name:           _ZN7rocprim17ROCPRIM_400000_NS6detail17trampoline_kernelINS0_14default_configENS1_25partition_config_selectorILNS1_17partition_subalgoE8ElNS0_10empty_typeEbEEZZNS1_14partition_implILS5_8ELb0ES3_jPlPS6_PKS6_NS0_5tupleIJS9_S6_EEENSD_IJSA_SA_EEENS0_18inequality_wrapperIZN2at6native12_GLOBAL__N_124unique_dim_cuda_templateItEESt5tupleIJNSH_6TensorESM_SM_EERKSM_lbbbEUlllE0_EEPmJS6_EEE10hipError_tPvRmT3_T4_T5_T6_T7_T9_mT8_P12ihipStream_tbDpT10_ENKUlT_T0_E_clISt17integral_constantIbLb1EES1B_IbLb0EEEEDaS17_S18_EUlS17_E_NS1_11comp_targetILNS1_3genE3ELNS1_11target_archE908ELNS1_3gpuE7ELNS1_3repE0EEENS1_30default_config_static_selectorELNS0_4arch9wavefront6targetE0EEEvT1_
    .private_segment_fixed_size: 0
    .sgpr_count:     0
    .sgpr_spill_count: 0
    .symbol:         _ZN7rocprim17ROCPRIM_400000_NS6detail17trampoline_kernelINS0_14default_configENS1_25partition_config_selectorILNS1_17partition_subalgoE8ElNS0_10empty_typeEbEEZZNS1_14partition_implILS5_8ELb0ES3_jPlPS6_PKS6_NS0_5tupleIJS9_S6_EEENSD_IJSA_SA_EEENS0_18inequality_wrapperIZN2at6native12_GLOBAL__N_124unique_dim_cuda_templateItEESt5tupleIJNSH_6TensorESM_SM_EERKSM_lbbbEUlllE0_EEPmJS6_EEE10hipError_tPvRmT3_T4_T5_T6_T7_T9_mT8_P12ihipStream_tbDpT10_ENKUlT_T0_E_clISt17integral_constantIbLb1EES1B_IbLb0EEEEDaS17_S18_EUlS17_E_NS1_11comp_targetILNS1_3genE3ELNS1_11target_archE908ELNS1_3gpuE7ELNS1_3repE0EEENS1_30default_config_static_selectorELNS0_4arch9wavefront6targetE0EEEvT1_.kd
    .uniform_work_group_size: 1
    .uses_dynamic_stack: false
    .vgpr_count:     0
    .vgpr_spill_count: 0
    .wavefront_size: 32
    .workgroup_processor_mode: 1
  - .args:
      - .offset:         0
        .size:           120
        .value_kind:     by_value
    .group_segment_fixed_size: 0
    .kernarg_segment_align: 8
    .kernarg_segment_size: 120
    .language:       OpenCL C
    .language_version:
      - 2
      - 0
    .max_flat_workgroup_size: 256
    .name:           _ZN7rocprim17ROCPRIM_400000_NS6detail17trampoline_kernelINS0_14default_configENS1_25partition_config_selectorILNS1_17partition_subalgoE8ElNS0_10empty_typeEbEEZZNS1_14partition_implILS5_8ELb0ES3_jPlPS6_PKS6_NS0_5tupleIJS9_S6_EEENSD_IJSA_SA_EEENS0_18inequality_wrapperIZN2at6native12_GLOBAL__N_124unique_dim_cuda_templateItEESt5tupleIJNSH_6TensorESM_SM_EERKSM_lbbbEUlllE0_EEPmJS6_EEE10hipError_tPvRmT3_T4_T5_T6_T7_T9_mT8_P12ihipStream_tbDpT10_ENKUlT_T0_E_clISt17integral_constantIbLb1EES1B_IbLb0EEEEDaS17_S18_EUlS17_E_NS1_11comp_targetILNS1_3genE2ELNS1_11target_archE906ELNS1_3gpuE6ELNS1_3repE0EEENS1_30default_config_static_selectorELNS0_4arch9wavefront6targetE0EEEvT1_
    .private_segment_fixed_size: 0
    .sgpr_count:     0
    .sgpr_spill_count: 0
    .symbol:         _ZN7rocprim17ROCPRIM_400000_NS6detail17trampoline_kernelINS0_14default_configENS1_25partition_config_selectorILNS1_17partition_subalgoE8ElNS0_10empty_typeEbEEZZNS1_14partition_implILS5_8ELb0ES3_jPlPS6_PKS6_NS0_5tupleIJS9_S6_EEENSD_IJSA_SA_EEENS0_18inequality_wrapperIZN2at6native12_GLOBAL__N_124unique_dim_cuda_templateItEESt5tupleIJNSH_6TensorESM_SM_EERKSM_lbbbEUlllE0_EEPmJS6_EEE10hipError_tPvRmT3_T4_T5_T6_T7_T9_mT8_P12ihipStream_tbDpT10_ENKUlT_T0_E_clISt17integral_constantIbLb1EES1B_IbLb0EEEEDaS17_S18_EUlS17_E_NS1_11comp_targetILNS1_3genE2ELNS1_11target_archE906ELNS1_3gpuE6ELNS1_3repE0EEENS1_30default_config_static_selectorELNS0_4arch9wavefront6targetE0EEEvT1_.kd
    .uniform_work_group_size: 1
    .uses_dynamic_stack: false
    .vgpr_count:     0
    .vgpr_spill_count: 0
    .wavefront_size: 32
    .workgroup_processor_mode: 1
  - .args:
      - .offset:         0
        .size:           120
        .value_kind:     by_value
    .group_segment_fixed_size: 0
    .kernarg_segment_align: 8
    .kernarg_segment_size: 120
    .language:       OpenCL C
    .language_version:
      - 2
      - 0
    .max_flat_workgroup_size: 384
    .name:           _ZN7rocprim17ROCPRIM_400000_NS6detail17trampoline_kernelINS0_14default_configENS1_25partition_config_selectorILNS1_17partition_subalgoE8ElNS0_10empty_typeEbEEZZNS1_14partition_implILS5_8ELb0ES3_jPlPS6_PKS6_NS0_5tupleIJS9_S6_EEENSD_IJSA_SA_EEENS0_18inequality_wrapperIZN2at6native12_GLOBAL__N_124unique_dim_cuda_templateItEESt5tupleIJNSH_6TensorESM_SM_EERKSM_lbbbEUlllE0_EEPmJS6_EEE10hipError_tPvRmT3_T4_T5_T6_T7_T9_mT8_P12ihipStream_tbDpT10_ENKUlT_T0_E_clISt17integral_constantIbLb1EES1B_IbLb0EEEEDaS17_S18_EUlS17_E_NS1_11comp_targetILNS1_3genE10ELNS1_11target_archE1200ELNS1_3gpuE4ELNS1_3repE0EEENS1_30default_config_static_selectorELNS0_4arch9wavefront6targetE0EEEvT1_
    .private_segment_fixed_size: 0
    .sgpr_count:     0
    .sgpr_spill_count: 0
    .symbol:         _ZN7rocprim17ROCPRIM_400000_NS6detail17trampoline_kernelINS0_14default_configENS1_25partition_config_selectorILNS1_17partition_subalgoE8ElNS0_10empty_typeEbEEZZNS1_14partition_implILS5_8ELb0ES3_jPlPS6_PKS6_NS0_5tupleIJS9_S6_EEENSD_IJSA_SA_EEENS0_18inequality_wrapperIZN2at6native12_GLOBAL__N_124unique_dim_cuda_templateItEESt5tupleIJNSH_6TensorESM_SM_EERKSM_lbbbEUlllE0_EEPmJS6_EEE10hipError_tPvRmT3_T4_T5_T6_T7_T9_mT8_P12ihipStream_tbDpT10_ENKUlT_T0_E_clISt17integral_constantIbLb1EES1B_IbLb0EEEEDaS17_S18_EUlS17_E_NS1_11comp_targetILNS1_3genE10ELNS1_11target_archE1200ELNS1_3gpuE4ELNS1_3repE0EEENS1_30default_config_static_selectorELNS0_4arch9wavefront6targetE0EEEvT1_.kd
    .uniform_work_group_size: 1
    .uses_dynamic_stack: false
    .vgpr_count:     0
    .vgpr_spill_count: 0
    .wavefront_size: 32
    .workgroup_processor_mode: 1
  - .args:
      - .offset:         0
        .size:           120
        .value_kind:     by_value
    .group_segment_fixed_size: 33804
    .kernarg_segment_align: 8
    .kernarg_segment_size: 120
    .language:       OpenCL C
    .language_version:
      - 2
      - 0
    .max_flat_workgroup_size: 512
    .name:           _ZN7rocprim17ROCPRIM_400000_NS6detail17trampoline_kernelINS0_14default_configENS1_25partition_config_selectorILNS1_17partition_subalgoE8ElNS0_10empty_typeEbEEZZNS1_14partition_implILS5_8ELb0ES3_jPlPS6_PKS6_NS0_5tupleIJS9_S6_EEENSD_IJSA_SA_EEENS0_18inequality_wrapperIZN2at6native12_GLOBAL__N_124unique_dim_cuda_templateItEESt5tupleIJNSH_6TensorESM_SM_EERKSM_lbbbEUlllE0_EEPmJS6_EEE10hipError_tPvRmT3_T4_T5_T6_T7_T9_mT8_P12ihipStream_tbDpT10_ENKUlT_T0_E_clISt17integral_constantIbLb1EES1B_IbLb0EEEEDaS17_S18_EUlS17_E_NS1_11comp_targetILNS1_3genE9ELNS1_11target_archE1100ELNS1_3gpuE3ELNS1_3repE0EEENS1_30default_config_static_selectorELNS0_4arch9wavefront6targetE0EEEvT1_
    .private_segment_fixed_size: 0
    .sgpr_count:     38
    .sgpr_spill_count: 0
    .symbol:         _ZN7rocprim17ROCPRIM_400000_NS6detail17trampoline_kernelINS0_14default_configENS1_25partition_config_selectorILNS1_17partition_subalgoE8ElNS0_10empty_typeEbEEZZNS1_14partition_implILS5_8ELb0ES3_jPlPS6_PKS6_NS0_5tupleIJS9_S6_EEENSD_IJSA_SA_EEENS0_18inequality_wrapperIZN2at6native12_GLOBAL__N_124unique_dim_cuda_templateItEESt5tupleIJNSH_6TensorESM_SM_EERKSM_lbbbEUlllE0_EEPmJS6_EEE10hipError_tPvRmT3_T4_T5_T6_T7_T9_mT8_P12ihipStream_tbDpT10_ENKUlT_T0_E_clISt17integral_constantIbLb1EES1B_IbLb0EEEEDaS17_S18_EUlS17_E_NS1_11comp_targetILNS1_3genE9ELNS1_11target_archE1100ELNS1_3gpuE3ELNS1_3repE0EEENS1_30default_config_static_selectorELNS0_4arch9wavefront6targetE0EEEvT1_.kd
    .uniform_work_group_size: 1
    .uses_dynamic_stack: false
    .vgpr_count:     52
    .vgpr_spill_count: 0
    .wavefront_size: 32
    .workgroup_processor_mode: 1
  - .args:
      - .offset:         0
        .size:           120
        .value_kind:     by_value
    .group_segment_fixed_size: 0
    .kernarg_segment_align: 8
    .kernarg_segment_size: 120
    .language:       OpenCL C
    .language_version:
      - 2
      - 0
    .max_flat_workgroup_size: 512
    .name:           _ZN7rocprim17ROCPRIM_400000_NS6detail17trampoline_kernelINS0_14default_configENS1_25partition_config_selectorILNS1_17partition_subalgoE8ElNS0_10empty_typeEbEEZZNS1_14partition_implILS5_8ELb0ES3_jPlPS6_PKS6_NS0_5tupleIJS9_S6_EEENSD_IJSA_SA_EEENS0_18inequality_wrapperIZN2at6native12_GLOBAL__N_124unique_dim_cuda_templateItEESt5tupleIJNSH_6TensorESM_SM_EERKSM_lbbbEUlllE0_EEPmJS6_EEE10hipError_tPvRmT3_T4_T5_T6_T7_T9_mT8_P12ihipStream_tbDpT10_ENKUlT_T0_E_clISt17integral_constantIbLb1EES1B_IbLb0EEEEDaS17_S18_EUlS17_E_NS1_11comp_targetILNS1_3genE8ELNS1_11target_archE1030ELNS1_3gpuE2ELNS1_3repE0EEENS1_30default_config_static_selectorELNS0_4arch9wavefront6targetE0EEEvT1_
    .private_segment_fixed_size: 0
    .sgpr_count:     0
    .sgpr_spill_count: 0
    .symbol:         _ZN7rocprim17ROCPRIM_400000_NS6detail17trampoline_kernelINS0_14default_configENS1_25partition_config_selectorILNS1_17partition_subalgoE8ElNS0_10empty_typeEbEEZZNS1_14partition_implILS5_8ELb0ES3_jPlPS6_PKS6_NS0_5tupleIJS9_S6_EEENSD_IJSA_SA_EEENS0_18inequality_wrapperIZN2at6native12_GLOBAL__N_124unique_dim_cuda_templateItEESt5tupleIJNSH_6TensorESM_SM_EERKSM_lbbbEUlllE0_EEPmJS6_EEE10hipError_tPvRmT3_T4_T5_T6_T7_T9_mT8_P12ihipStream_tbDpT10_ENKUlT_T0_E_clISt17integral_constantIbLb1EES1B_IbLb0EEEEDaS17_S18_EUlS17_E_NS1_11comp_targetILNS1_3genE8ELNS1_11target_archE1030ELNS1_3gpuE2ELNS1_3repE0EEENS1_30default_config_static_selectorELNS0_4arch9wavefront6targetE0EEEvT1_.kd
    .uniform_work_group_size: 1
    .uses_dynamic_stack: false
    .vgpr_count:     0
    .vgpr_spill_count: 0
    .wavefront_size: 32
    .workgroup_processor_mode: 1
  - .args:
      - .offset:         0
        .size:           136
        .value_kind:     by_value
    .group_segment_fixed_size: 0
    .kernarg_segment_align: 8
    .kernarg_segment_size: 136
    .language:       OpenCL C
    .language_version:
      - 2
      - 0
    .max_flat_workgroup_size: 512
    .name:           _ZN7rocprim17ROCPRIM_400000_NS6detail17trampoline_kernelINS0_14default_configENS1_25partition_config_selectorILNS1_17partition_subalgoE8ElNS0_10empty_typeEbEEZZNS1_14partition_implILS5_8ELb0ES3_jPlPS6_PKS6_NS0_5tupleIJS9_S6_EEENSD_IJSA_SA_EEENS0_18inequality_wrapperIZN2at6native12_GLOBAL__N_124unique_dim_cuda_templateItEESt5tupleIJNSH_6TensorESM_SM_EERKSM_lbbbEUlllE0_EEPmJS6_EEE10hipError_tPvRmT3_T4_T5_T6_T7_T9_mT8_P12ihipStream_tbDpT10_ENKUlT_T0_E_clISt17integral_constantIbLb0EES1B_IbLb1EEEEDaS17_S18_EUlS17_E_NS1_11comp_targetILNS1_3genE0ELNS1_11target_archE4294967295ELNS1_3gpuE0ELNS1_3repE0EEENS1_30default_config_static_selectorELNS0_4arch9wavefront6targetE0EEEvT1_
    .private_segment_fixed_size: 0
    .sgpr_count:     0
    .sgpr_spill_count: 0
    .symbol:         _ZN7rocprim17ROCPRIM_400000_NS6detail17trampoline_kernelINS0_14default_configENS1_25partition_config_selectorILNS1_17partition_subalgoE8ElNS0_10empty_typeEbEEZZNS1_14partition_implILS5_8ELb0ES3_jPlPS6_PKS6_NS0_5tupleIJS9_S6_EEENSD_IJSA_SA_EEENS0_18inequality_wrapperIZN2at6native12_GLOBAL__N_124unique_dim_cuda_templateItEESt5tupleIJNSH_6TensorESM_SM_EERKSM_lbbbEUlllE0_EEPmJS6_EEE10hipError_tPvRmT3_T4_T5_T6_T7_T9_mT8_P12ihipStream_tbDpT10_ENKUlT_T0_E_clISt17integral_constantIbLb0EES1B_IbLb1EEEEDaS17_S18_EUlS17_E_NS1_11comp_targetILNS1_3genE0ELNS1_11target_archE4294967295ELNS1_3gpuE0ELNS1_3repE0EEENS1_30default_config_static_selectorELNS0_4arch9wavefront6targetE0EEEvT1_.kd
    .uniform_work_group_size: 1
    .uses_dynamic_stack: false
    .vgpr_count:     0
    .vgpr_spill_count: 0
    .wavefront_size: 32
    .workgroup_processor_mode: 1
  - .args:
      - .offset:         0
        .size:           136
        .value_kind:     by_value
    .group_segment_fixed_size: 0
    .kernarg_segment_align: 8
    .kernarg_segment_size: 136
    .language:       OpenCL C
    .language_version:
      - 2
      - 0
    .max_flat_workgroup_size: 512
    .name:           _ZN7rocprim17ROCPRIM_400000_NS6detail17trampoline_kernelINS0_14default_configENS1_25partition_config_selectorILNS1_17partition_subalgoE8ElNS0_10empty_typeEbEEZZNS1_14partition_implILS5_8ELb0ES3_jPlPS6_PKS6_NS0_5tupleIJS9_S6_EEENSD_IJSA_SA_EEENS0_18inequality_wrapperIZN2at6native12_GLOBAL__N_124unique_dim_cuda_templateItEESt5tupleIJNSH_6TensorESM_SM_EERKSM_lbbbEUlllE0_EEPmJS6_EEE10hipError_tPvRmT3_T4_T5_T6_T7_T9_mT8_P12ihipStream_tbDpT10_ENKUlT_T0_E_clISt17integral_constantIbLb0EES1B_IbLb1EEEEDaS17_S18_EUlS17_E_NS1_11comp_targetILNS1_3genE5ELNS1_11target_archE942ELNS1_3gpuE9ELNS1_3repE0EEENS1_30default_config_static_selectorELNS0_4arch9wavefront6targetE0EEEvT1_
    .private_segment_fixed_size: 0
    .sgpr_count:     0
    .sgpr_spill_count: 0
    .symbol:         _ZN7rocprim17ROCPRIM_400000_NS6detail17trampoline_kernelINS0_14default_configENS1_25partition_config_selectorILNS1_17partition_subalgoE8ElNS0_10empty_typeEbEEZZNS1_14partition_implILS5_8ELb0ES3_jPlPS6_PKS6_NS0_5tupleIJS9_S6_EEENSD_IJSA_SA_EEENS0_18inequality_wrapperIZN2at6native12_GLOBAL__N_124unique_dim_cuda_templateItEESt5tupleIJNSH_6TensorESM_SM_EERKSM_lbbbEUlllE0_EEPmJS6_EEE10hipError_tPvRmT3_T4_T5_T6_T7_T9_mT8_P12ihipStream_tbDpT10_ENKUlT_T0_E_clISt17integral_constantIbLb0EES1B_IbLb1EEEEDaS17_S18_EUlS17_E_NS1_11comp_targetILNS1_3genE5ELNS1_11target_archE942ELNS1_3gpuE9ELNS1_3repE0EEENS1_30default_config_static_selectorELNS0_4arch9wavefront6targetE0EEEvT1_.kd
    .uniform_work_group_size: 1
    .uses_dynamic_stack: false
    .vgpr_count:     0
    .vgpr_spill_count: 0
    .wavefront_size: 32
    .workgroup_processor_mode: 1
  - .args:
      - .offset:         0
        .size:           136
        .value_kind:     by_value
    .group_segment_fixed_size: 0
    .kernarg_segment_align: 8
    .kernarg_segment_size: 136
    .language:       OpenCL C
    .language_version:
      - 2
      - 0
    .max_flat_workgroup_size: 256
    .name:           _ZN7rocprim17ROCPRIM_400000_NS6detail17trampoline_kernelINS0_14default_configENS1_25partition_config_selectorILNS1_17partition_subalgoE8ElNS0_10empty_typeEbEEZZNS1_14partition_implILS5_8ELb0ES3_jPlPS6_PKS6_NS0_5tupleIJS9_S6_EEENSD_IJSA_SA_EEENS0_18inequality_wrapperIZN2at6native12_GLOBAL__N_124unique_dim_cuda_templateItEESt5tupleIJNSH_6TensorESM_SM_EERKSM_lbbbEUlllE0_EEPmJS6_EEE10hipError_tPvRmT3_T4_T5_T6_T7_T9_mT8_P12ihipStream_tbDpT10_ENKUlT_T0_E_clISt17integral_constantIbLb0EES1B_IbLb1EEEEDaS17_S18_EUlS17_E_NS1_11comp_targetILNS1_3genE4ELNS1_11target_archE910ELNS1_3gpuE8ELNS1_3repE0EEENS1_30default_config_static_selectorELNS0_4arch9wavefront6targetE0EEEvT1_
    .private_segment_fixed_size: 0
    .sgpr_count:     0
    .sgpr_spill_count: 0
    .symbol:         _ZN7rocprim17ROCPRIM_400000_NS6detail17trampoline_kernelINS0_14default_configENS1_25partition_config_selectorILNS1_17partition_subalgoE8ElNS0_10empty_typeEbEEZZNS1_14partition_implILS5_8ELb0ES3_jPlPS6_PKS6_NS0_5tupleIJS9_S6_EEENSD_IJSA_SA_EEENS0_18inequality_wrapperIZN2at6native12_GLOBAL__N_124unique_dim_cuda_templateItEESt5tupleIJNSH_6TensorESM_SM_EERKSM_lbbbEUlllE0_EEPmJS6_EEE10hipError_tPvRmT3_T4_T5_T6_T7_T9_mT8_P12ihipStream_tbDpT10_ENKUlT_T0_E_clISt17integral_constantIbLb0EES1B_IbLb1EEEEDaS17_S18_EUlS17_E_NS1_11comp_targetILNS1_3genE4ELNS1_11target_archE910ELNS1_3gpuE8ELNS1_3repE0EEENS1_30default_config_static_selectorELNS0_4arch9wavefront6targetE0EEEvT1_.kd
    .uniform_work_group_size: 1
    .uses_dynamic_stack: false
    .vgpr_count:     0
    .vgpr_spill_count: 0
    .wavefront_size: 32
    .workgroup_processor_mode: 1
  - .args:
      - .offset:         0
        .size:           136
        .value_kind:     by_value
    .group_segment_fixed_size: 0
    .kernarg_segment_align: 8
    .kernarg_segment_size: 136
    .language:       OpenCL C
    .language_version:
      - 2
      - 0
    .max_flat_workgroup_size: 512
    .name:           _ZN7rocprim17ROCPRIM_400000_NS6detail17trampoline_kernelINS0_14default_configENS1_25partition_config_selectorILNS1_17partition_subalgoE8ElNS0_10empty_typeEbEEZZNS1_14partition_implILS5_8ELb0ES3_jPlPS6_PKS6_NS0_5tupleIJS9_S6_EEENSD_IJSA_SA_EEENS0_18inequality_wrapperIZN2at6native12_GLOBAL__N_124unique_dim_cuda_templateItEESt5tupleIJNSH_6TensorESM_SM_EERKSM_lbbbEUlllE0_EEPmJS6_EEE10hipError_tPvRmT3_T4_T5_T6_T7_T9_mT8_P12ihipStream_tbDpT10_ENKUlT_T0_E_clISt17integral_constantIbLb0EES1B_IbLb1EEEEDaS17_S18_EUlS17_E_NS1_11comp_targetILNS1_3genE3ELNS1_11target_archE908ELNS1_3gpuE7ELNS1_3repE0EEENS1_30default_config_static_selectorELNS0_4arch9wavefront6targetE0EEEvT1_
    .private_segment_fixed_size: 0
    .sgpr_count:     0
    .sgpr_spill_count: 0
    .symbol:         _ZN7rocprim17ROCPRIM_400000_NS6detail17trampoline_kernelINS0_14default_configENS1_25partition_config_selectorILNS1_17partition_subalgoE8ElNS0_10empty_typeEbEEZZNS1_14partition_implILS5_8ELb0ES3_jPlPS6_PKS6_NS0_5tupleIJS9_S6_EEENSD_IJSA_SA_EEENS0_18inequality_wrapperIZN2at6native12_GLOBAL__N_124unique_dim_cuda_templateItEESt5tupleIJNSH_6TensorESM_SM_EERKSM_lbbbEUlllE0_EEPmJS6_EEE10hipError_tPvRmT3_T4_T5_T6_T7_T9_mT8_P12ihipStream_tbDpT10_ENKUlT_T0_E_clISt17integral_constantIbLb0EES1B_IbLb1EEEEDaS17_S18_EUlS17_E_NS1_11comp_targetILNS1_3genE3ELNS1_11target_archE908ELNS1_3gpuE7ELNS1_3repE0EEENS1_30default_config_static_selectorELNS0_4arch9wavefront6targetE0EEEvT1_.kd
    .uniform_work_group_size: 1
    .uses_dynamic_stack: false
    .vgpr_count:     0
    .vgpr_spill_count: 0
    .wavefront_size: 32
    .workgroup_processor_mode: 1
  - .args:
      - .offset:         0
        .size:           136
        .value_kind:     by_value
    .group_segment_fixed_size: 0
    .kernarg_segment_align: 8
    .kernarg_segment_size: 136
    .language:       OpenCL C
    .language_version:
      - 2
      - 0
    .max_flat_workgroup_size: 256
    .name:           _ZN7rocprim17ROCPRIM_400000_NS6detail17trampoline_kernelINS0_14default_configENS1_25partition_config_selectorILNS1_17partition_subalgoE8ElNS0_10empty_typeEbEEZZNS1_14partition_implILS5_8ELb0ES3_jPlPS6_PKS6_NS0_5tupleIJS9_S6_EEENSD_IJSA_SA_EEENS0_18inequality_wrapperIZN2at6native12_GLOBAL__N_124unique_dim_cuda_templateItEESt5tupleIJNSH_6TensorESM_SM_EERKSM_lbbbEUlllE0_EEPmJS6_EEE10hipError_tPvRmT3_T4_T5_T6_T7_T9_mT8_P12ihipStream_tbDpT10_ENKUlT_T0_E_clISt17integral_constantIbLb0EES1B_IbLb1EEEEDaS17_S18_EUlS17_E_NS1_11comp_targetILNS1_3genE2ELNS1_11target_archE906ELNS1_3gpuE6ELNS1_3repE0EEENS1_30default_config_static_selectorELNS0_4arch9wavefront6targetE0EEEvT1_
    .private_segment_fixed_size: 0
    .sgpr_count:     0
    .sgpr_spill_count: 0
    .symbol:         _ZN7rocprim17ROCPRIM_400000_NS6detail17trampoline_kernelINS0_14default_configENS1_25partition_config_selectorILNS1_17partition_subalgoE8ElNS0_10empty_typeEbEEZZNS1_14partition_implILS5_8ELb0ES3_jPlPS6_PKS6_NS0_5tupleIJS9_S6_EEENSD_IJSA_SA_EEENS0_18inequality_wrapperIZN2at6native12_GLOBAL__N_124unique_dim_cuda_templateItEESt5tupleIJNSH_6TensorESM_SM_EERKSM_lbbbEUlllE0_EEPmJS6_EEE10hipError_tPvRmT3_T4_T5_T6_T7_T9_mT8_P12ihipStream_tbDpT10_ENKUlT_T0_E_clISt17integral_constantIbLb0EES1B_IbLb1EEEEDaS17_S18_EUlS17_E_NS1_11comp_targetILNS1_3genE2ELNS1_11target_archE906ELNS1_3gpuE6ELNS1_3repE0EEENS1_30default_config_static_selectorELNS0_4arch9wavefront6targetE0EEEvT1_.kd
    .uniform_work_group_size: 1
    .uses_dynamic_stack: false
    .vgpr_count:     0
    .vgpr_spill_count: 0
    .wavefront_size: 32
    .workgroup_processor_mode: 1
  - .args:
      - .offset:         0
        .size:           136
        .value_kind:     by_value
    .group_segment_fixed_size: 0
    .kernarg_segment_align: 8
    .kernarg_segment_size: 136
    .language:       OpenCL C
    .language_version:
      - 2
      - 0
    .max_flat_workgroup_size: 384
    .name:           _ZN7rocprim17ROCPRIM_400000_NS6detail17trampoline_kernelINS0_14default_configENS1_25partition_config_selectorILNS1_17partition_subalgoE8ElNS0_10empty_typeEbEEZZNS1_14partition_implILS5_8ELb0ES3_jPlPS6_PKS6_NS0_5tupleIJS9_S6_EEENSD_IJSA_SA_EEENS0_18inequality_wrapperIZN2at6native12_GLOBAL__N_124unique_dim_cuda_templateItEESt5tupleIJNSH_6TensorESM_SM_EERKSM_lbbbEUlllE0_EEPmJS6_EEE10hipError_tPvRmT3_T4_T5_T6_T7_T9_mT8_P12ihipStream_tbDpT10_ENKUlT_T0_E_clISt17integral_constantIbLb0EES1B_IbLb1EEEEDaS17_S18_EUlS17_E_NS1_11comp_targetILNS1_3genE10ELNS1_11target_archE1200ELNS1_3gpuE4ELNS1_3repE0EEENS1_30default_config_static_selectorELNS0_4arch9wavefront6targetE0EEEvT1_
    .private_segment_fixed_size: 0
    .sgpr_count:     0
    .sgpr_spill_count: 0
    .symbol:         _ZN7rocprim17ROCPRIM_400000_NS6detail17trampoline_kernelINS0_14default_configENS1_25partition_config_selectorILNS1_17partition_subalgoE8ElNS0_10empty_typeEbEEZZNS1_14partition_implILS5_8ELb0ES3_jPlPS6_PKS6_NS0_5tupleIJS9_S6_EEENSD_IJSA_SA_EEENS0_18inequality_wrapperIZN2at6native12_GLOBAL__N_124unique_dim_cuda_templateItEESt5tupleIJNSH_6TensorESM_SM_EERKSM_lbbbEUlllE0_EEPmJS6_EEE10hipError_tPvRmT3_T4_T5_T6_T7_T9_mT8_P12ihipStream_tbDpT10_ENKUlT_T0_E_clISt17integral_constantIbLb0EES1B_IbLb1EEEEDaS17_S18_EUlS17_E_NS1_11comp_targetILNS1_3genE10ELNS1_11target_archE1200ELNS1_3gpuE4ELNS1_3repE0EEENS1_30default_config_static_selectorELNS0_4arch9wavefront6targetE0EEEvT1_.kd
    .uniform_work_group_size: 1
    .uses_dynamic_stack: false
    .vgpr_count:     0
    .vgpr_spill_count: 0
    .wavefront_size: 32
    .workgroup_processor_mode: 1
  - .args:
      - .offset:         0
        .size:           136
        .value_kind:     by_value
    .group_segment_fixed_size: 33804
    .kernarg_segment_align: 8
    .kernarg_segment_size: 136
    .language:       OpenCL C
    .language_version:
      - 2
      - 0
    .max_flat_workgroup_size: 512
    .name:           _ZN7rocprim17ROCPRIM_400000_NS6detail17trampoline_kernelINS0_14default_configENS1_25partition_config_selectorILNS1_17partition_subalgoE8ElNS0_10empty_typeEbEEZZNS1_14partition_implILS5_8ELb0ES3_jPlPS6_PKS6_NS0_5tupleIJS9_S6_EEENSD_IJSA_SA_EEENS0_18inequality_wrapperIZN2at6native12_GLOBAL__N_124unique_dim_cuda_templateItEESt5tupleIJNSH_6TensorESM_SM_EERKSM_lbbbEUlllE0_EEPmJS6_EEE10hipError_tPvRmT3_T4_T5_T6_T7_T9_mT8_P12ihipStream_tbDpT10_ENKUlT_T0_E_clISt17integral_constantIbLb0EES1B_IbLb1EEEEDaS17_S18_EUlS17_E_NS1_11comp_targetILNS1_3genE9ELNS1_11target_archE1100ELNS1_3gpuE3ELNS1_3repE0EEENS1_30default_config_static_selectorELNS0_4arch9wavefront6targetE0EEEvT1_
    .private_segment_fixed_size: 0
    .sgpr_count:     40
    .sgpr_spill_count: 0
    .symbol:         _ZN7rocprim17ROCPRIM_400000_NS6detail17trampoline_kernelINS0_14default_configENS1_25partition_config_selectorILNS1_17partition_subalgoE8ElNS0_10empty_typeEbEEZZNS1_14partition_implILS5_8ELb0ES3_jPlPS6_PKS6_NS0_5tupleIJS9_S6_EEENSD_IJSA_SA_EEENS0_18inequality_wrapperIZN2at6native12_GLOBAL__N_124unique_dim_cuda_templateItEESt5tupleIJNSH_6TensorESM_SM_EERKSM_lbbbEUlllE0_EEPmJS6_EEE10hipError_tPvRmT3_T4_T5_T6_T7_T9_mT8_P12ihipStream_tbDpT10_ENKUlT_T0_E_clISt17integral_constantIbLb0EES1B_IbLb1EEEEDaS17_S18_EUlS17_E_NS1_11comp_targetILNS1_3genE9ELNS1_11target_archE1100ELNS1_3gpuE3ELNS1_3repE0EEENS1_30default_config_static_selectorELNS0_4arch9wavefront6targetE0EEEvT1_.kd
    .uniform_work_group_size: 1
    .uses_dynamic_stack: false
    .vgpr_count:     52
    .vgpr_spill_count: 0
    .wavefront_size: 32
    .workgroup_processor_mode: 1
  - .args:
      - .offset:         0
        .size:           136
        .value_kind:     by_value
    .group_segment_fixed_size: 0
    .kernarg_segment_align: 8
    .kernarg_segment_size: 136
    .language:       OpenCL C
    .language_version:
      - 2
      - 0
    .max_flat_workgroup_size: 512
    .name:           _ZN7rocprim17ROCPRIM_400000_NS6detail17trampoline_kernelINS0_14default_configENS1_25partition_config_selectorILNS1_17partition_subalgoE8ElNS0_10empty_typeEbEEZZNS1_14partition_implILS5_8ELb0ES3_jPlPS6_PKS6_NS0_5tupleIJS9_S6_EEENSD_IJSA_SA_EEENS0_18inequality_wrapperIZN2at6native12_GLOBAL__N_124unique_dim_cuda_templateItEESt5tupleIJNSH_6TensorESM_SM_EERKSM_lbbbEUlllE0_EEPmJS6_EEE10hipError_tPvRmT3_T4_T5_T6_T7_T9_mT8_P12ihipStream_tbDpT10_ENKUlT_T0_E_clISt17integral_constantIbLb0EES1B_IbLb1EEEEDaS17_S18_EUlS17_E_NS1_11comp_targetILNS1_3genE8ELNS1_11target_archE1030ELNS1_3gpuE2ELNS1_3repE0EEENS1_30default_config_static_selectorELNS0_4arch9wavefront6targetE0EEEvT1_
    .private_segment_fixed_size: 0
    .sgpr_count:     0
    .sgpr_spill_count: 0
    .symbol:         _ZN7rocprim17ROCPRIM_400000_NS6detail17trampoline_kernelINS0_14default_configENS1_25partition_config_selectorILNS1_17partition_subalgoE8ElNS0_10empty_typeEbEEZZNS1_14partition_implILS5_8ELb0ES3_jPlPS6_PKS6_NS0_5tupleIJS9_S6_EEENSD_IJSA_SA_EEENS0_18inequality_wrapperIZN2at6native12_GLOBAL__N_124unique_dim_cuda_templateItEESt5tupleIJNSH_6TensorESM_SM_EERKSM_lbbbEUlllE0_EEPmJS6_EEE10hipError_tPvRmT3_T4_T5_T6_T7_T9_mT8_P12ihipStream_tbDpT10_ENKUlT_T0_E_clISt17integral_constantIbLb0EES1B_IbLb1EEEEDaS17_S18_EUlS17_E_NS1_11comp_targetILNS1_3genE8ELNS1_11target_archE1030ELNS1_3gpuE2ELNS1_3repE0EEENS1_30default_config_static_selectorELNS0_4arch9wavefront6targetE0EEEvT1_.kd
    .uniform_work_group_size: 1
    .uses_dynamic_stack: false
    .vgpr_count:     0
    .vgpr_spill_count: 0
    .wavefront_size: 32
    .workgroup_processor_mode: 1
  - .args:
      - .offset:         0
        .size:           120
        .value_kind:     by_value
    .group_segment_fixed_size: 0
    .kernarg_segment_align: 8
    .kernarg_segment_size: 120
    .language:       OpenCL C
    .language_version:
      - 2
      - 0
    .max_flat_workgroup_size: 128
    .name:           _ZN7rocprim17ROCPRIM_400000_NS6detail17trampoline_kernelINS0_14default_configENS1_25partition_config_selectorILNS1_17partition_subalgoE9EllbEEZZNS1_14partition_implILS5_9ELb0ES3_jPlS8_PNS0_10empty_typeENS0_5tupleIJS8_S9_EEENSB_IJS8_SA_EEENS0_18inequality_wrapperIZN2at6native12_GLOBAL__N_124unique_dim_cuda_templateItEESt5tupleIJNSF_6TensorESK_SK_EERKSK_lbbbEUlllE0_EEPmJS9_EEE10hipError_tPvRmT3_T4_T5_T6_T7_T9_mT8_P12ihipStream_tbDpT10_ENKUlT_T0_E_clISt17integral_constantIbLb0EES1A_EEDaS15_S16_EUlS15_E_NS1_11comp_targetILNS1_3genE0ELNS1_11target_archE4294967295ELNS1_3gpuE0ELNS1_3repE0EEENS1_30default_config_static_selectorELNS0_4arch9wavefront6targetE0EEEvT1_
    .private_segment_fixed_size: 0
    .sgpr_count:     0
    .sgpr_spill_count: 0
    .symbol:         _ZN7rocprim17ROCPRIM_400000_NS6detail17trampoline_kernelINS0_14default_configENS1_25partition_config_selectorILNS1_17partition_subalgoE9EllbEEZZNS1_14partition_implILS5_9ELb0ES3_jPlS8_PNS0_10empty_typeENS0_5tupleIJS8_S9_EEENSB_IJS8_SA_EEENS0_18inequality_wrapperIZN2at6native12_GLOBAL__N_124unique_dim_cuda_templateItEESt5tupleIJNSF_6TensorESK_SK_EERKSK_lbbbEUlllE0_EEPmJS9_EEE10hipError_tPvRmT3_T4_T5_T6_T7_T9_mT8_P12ihipStream_tbDpT10_ENKUlT_T0_E_clISt17integral_constantIbLb0EES1A_EEDaS15_S16_EUlS15_E_NS1_11comp_targetILNS1_3genE0ELNS1_11target_archE4294967295ELNS1_3gpuE0ELNS1_3repE0EEENS1_30default_config_static_selectorELNS0_4arch9wavefront6targetE0EEEvT1_.kd
    .uniform_work_group_size: 1
    .uses_dynamic_stack: false
    .vgpr_count:     0
    .vgpr_spill_count: 0
    .wavefront_size: 32
    .workgroup_processor_mode: 1
  - .args:
      - .offset:         0
        .size:           120
        .value_kind:     by_value
    .group_segment_fixed_size: 0
    .kernarg_segment_align: 8
    .kernarg_segment_size: 120
    .language:       OpenCL C
    .language_version:
      - 2
      - 0
    .max_flat_workgroup_size: 512
    .name:           _ZN7rocprim17ROCPRIM_400000_NS6detail17trampoline_kernelINS0_14default_configENS1_25partition_config_selectorILNS1_17partition_subalgoE9EllbEEZZNS1_14partition_implILS5_9ELb0ES3_jPlS8_PNS0_10empty_typeENS0_5tupleIJS8_S9_EEENSB_IJS8_SA_EEENS0_18inequality_wrapperIZN2at6native12_GLOBAL__N_124unique_dim_cuda_templateItEESt5tupleIJNSF_6TensorESK_SK_EERKSK_lbbbEUlllE0_EEPmJS9_EEE10hipError_tPvRmT3_T4_T5_T6_T7_T9_mT8_P12ihipStream_tbDpT10_ENKUlT_T0_E_clISt17integral_constantIbLb0EES1A_EEDaS15_S16_EUlS15_E_NS1_11comp_targetILNS1_3genE5ELNS1_11target_archE942ELNS1_3gpuE9ELNS1_3repE0EEENS1_30default_config_static_selectorELNS0_4arch9wavefront6targetE0EEEvT1_
    .private_segment_fixed_size: 0
    .sgpr_count:     0
    .sgpr_spill_count: 0
    .symbol:         _ZN7rocprim17ROCPRIM_400000_NS6detail17trampoline_kernelINS0_14default_configENS1_25partition_config_selectorILNS1_17partition_subalgoE9EllbEEZZNS1_14partition_implILS5_9ELb0ES3_jPlS8_PNS0_10empty_typeENS0_5tupleIJS8_S9_EEENSB_IJS8_SA_EEENS0_18inequality_wrapperIZN2at6native12_GLOBAL__N_124unique_dim_cuda_templateItEESt5tupleIJNSF_6TensorESK_SK_EERKSK_lbbbEUlllE0_EEPmJS9_EEE10hipError_tPvRmT3_T4_T5_T6_T7_T9_mT8_P12ihipStream_tbDpT10_ENKUlT_T0_E_clISt17integral_constantIbLb0EES1A_EEDaS15_S16_EUlS15_E_NS1_11comp_targetILNS1_3genE5ELNS1_11target_archE942ELNS1_3gpuE9ELNS1_3repE0EEENS1_30default_config_static_selectorELNS0_4arch9wavefront6targetE0EEEvT1_.kd
    .uniform_work_group_size: 1
    .uses_dynamic_stack: false
    .vgpr_count:     0
    .vgpr_spill_count: 0
    .wavefront_size: 32
    .workgroup_processor_mode: 1
  - .args:
      - .offset:         0
        .size:           120
        .value_kind:     by_value
    .group_segment_fixed_size: 0
    .kernarg_segment_align: 8
    .kernarg_segment_size: 120
    .language:       OpenCL C
    .language_version:
      - 2
      - 0
    .max_flat_workgroup_size: 128
    .name:           _ZN7rocprim17ROCPRIM_400000_NS6detail17trampoline_kernelINS0_14default_configENS1_25partition_config_selectorILNS1_17partition_subalgoE9EllbEEZZNS1_14partition_implILS5_9ELb0ES3_jPlS8_PNS0_10empty_typeENS0_5tupleIJS8_S9_EEENSB_IJS8_SA_EEENS0_18inequality_wrapperIZN2at6native12_GLOBAL__N_124unique_dim_cuda_templateItEESt5tupleIJNSF_6TensorESK_SK_EERKSK_lbbbEUlllE0_EEPmJS9_EEE10hipError_tPvRmT3_T4_T5_T6_T7_T9_mT8_P12ihipStream_tbDpT10_ENKUlT_T0_E_clISt17integral_constantIbLb0EES1A_EEDaS15_S16_EUlS15_E_NS1_11comp_targetILNS1_3genE4ELNS1_11target_archE910ELNS1_3gpuE8ELNS1_3repE0EEENS1_30default_config_static_selectorELNS0_4arch9wavefront6targetE0EEEvT1_
    .private_segment_fixed_size: 0
    .sgpr_count:     0
    .sgpr_spill_count: 0
    .symbol:         _ZN7rocprim17ROCPRIM_400000_NS6detail17trampoline_kernelINS0_14default_configENS1_25partition_config_selectorILNS1_17partition_subalgoE9EllbEEZZNS1_14partition_implILS5_9ELb0ES3_jPlS8_PNS0_10empty_typeENS0_5tupleIJS8_S9_EEENSB_IJS8_SA_EEENS0_18inequality_wrapperIZN2at6native12_GLOBAL__N_124unique_dim_cuda_templateItEESt5tupleIJNSF_6TensorESK_SK_EERKSK_lbbbEUlllE0_EEPmJS9_EEE10hipError_tPvRmT3_T4_T5_T6_T7_T9_mT8_P12ihipStream_tbDpT10_ENKUlT_T0_E_clISt17integral_constantIbLb0EES1A_EEDaS15_S16_EUlS15_E_NS1_11comp_targetILNS1_3genE4ELNS1_11target_archE910ELNS1_3gpuE8ELNS1_3repE0EEENS1_30default_config_static_selectorELNS0_4arch9wavefront6targetE0EEEvT1_.kd
    .uniform_work_group_size: 1
    .uses_dynamic_stack: false
    .vgpr_count:     0
    .vgpr_spill_count: 0
    .wavefront_size: 32
    .workgroup_processor_mode: 1
  - .args:
      - .offset:         0
        .size:           120
        .value_kind:     by_value
    .group_segment_fixed_size: 0
    .kernarg_segment_align: 8
    .kernarg_segment_size: 120
    .language:       OpenCL C
    .language_version:
      - 2
      - 0
    .max_flat_workgroup_size: 128
    .name:           _ZN7rocprim17ROCPRIM_400000_NS6detail17trampoline_kernelINS0_14default_configENS1_25partition_config_selectorILNS1_17partition_subalgoE9EllbEEZZNS1_14partition_implILS5_9ELb0ES3_jPlS8_PNS0_10empty_typeENS0_5tupleIJS8_S9_EEENSB_IJS8_SA_EEENS0_18inequality_wrapperIZN2at6native12_GLOBAL__N_124unique_dim_cuda_templateItEESt5tupleIJNSF_6TensorESK_SK_EERKSK_lbbbEUlllE0_EEPmJS9_EEE10hipError_tPvRmT3_T4_T5_T6_T7_T9_mT8_P12ihipStream_tbDpT10_ENKUlT_T0_E_clISt17integral_constantIbLb0EES1A_EEDaS15_S16_EUlS15_E_NS1_11comp_targetILNS1_3genE3ELNS1_11target_archE908ELNS1_3gpuE7ELNS1_3repE0EEENS1_30default_config_static_selectorELNS0_4arch9wavefront6targetE0EEEvT1_
    .private_segment_fixed_size: 0
    .sgpr_count:     0
    .sgpr_spill_count: 0
    .symbol:         _ZN7rocprim17ROCPRIM_400000_NS6detail17trampoline_kernelINS0_14default_configENS1_25partition_config_selectorILNS1_17partition_subalgoE9EllbEEZZNS1_14partition_implILS5_9ELb0ES3_jPlS8_PNS0_10empty_typeENS0_5tupleIJS8_S9_EEENSB_IJS8_SA_EEENS0_18inequality_wrapperIZN2at6native12_GLOBAL__N_124unique_dim_cuda_templateItEESt5tupleIJNSF_6TensorESK_SK_EERKSK_lbbbEUlllE0_EEPmJS9_EEE10hipError_tPvRmT3_T4_T5_T6_T7_T9_mT8_P12ihipStream_tbDpT10_ENKUlT_T0_E_clISt17integral_constantIbLb0EES1A_EEDaS15_S16_EUlS15_E_NS1_11comp_targetILNS1_3genE3ELNS1_11target_archE908ELNS1_3gpuE7ELNS1_3repE0EEENS1_30default_config_static_selectorELNS0_4arch9wavefront6targetE0EEEvT1_.kd
    .uniform_work_group_size: 1
    .uses_dynamic_stack: false
    .vgpr_count:     0
    .vgpr_spill_count: 0
    .wavefront_size: 32
    .workgroup_processor_mode: 1
  - .args:
      - .offset:         0
        .size:           120
        .value_kind:     by_value
    .group_segment_fixed_size: 0
    .kernarg_segment_align: 8
    .kernarg_segment_size: 120
    .language:       OpenCL C
    .language_version:
      - 2
      - 0
    .max_flat_workgroup_size: 192
    .name:           _ZN7rocprim17ROCPRIM_400000_NS6detail17trampoline_kernelINS0_14default_configENS1_25partition_config_selectorILNS1_17partition_subalgoE9EllbEEZZNS1_14partition_implILS5_9ELb0ES3_jPlS8_PNS0_10empty_typeENS0_5tupleIJS8_S9_EEENSB_IJS8_SA_EEENS0_18inequality_wrapperIZN2at6native12_GLOBAL__N_124unique_dim_cuda_templateItEESt5tupleIJNSF_6TensorESK_SK_EERKSK_lbbbEUlllE0_EEPmJS9_EEE10hipError_tPvRmT3_T4_T5_T6_T7_T9_mT8_P12ihipStream_tbDpT10_ENKUlT_T0_E_clISt17integral_constantIbLb0EES1A_EEDaS15_S16_EUlS15_E_NS1_11comp_targetILNS1_3genE2ELNS1_11target_archE906ELNS1_3gpuE6ELNS1_3repE0EEENS1_30default_config_static_selectorELNS0_4arch9wavefront6targetE0EEEvT1_
    .private_segment_fixed_size: 0
    .sgpr_count:     0
    .sgpr_spill_count: 0
    .symbol:         _ZN7rocprim17ROCPRIM_400000_NS6detail17trampoline_kernelINS0_14default_configENS1_25partition_config_selectorILNS1_17partition_subalgoE9EllbEEZZNS1_14partition_implILS5_9ELb0ES3_jPlS8_PNS0_10empty_typeENS0_5tupleIJS8_S9_EEENSB_IJS8_SA_EEENS0_18inequality_wrapperIZN2at6native12_GLOBAL__N_124unique_dim_cuda_templateItEESt5tupleIJNSF_6TensorESK_SK_EERKSK_lbbbEUlllE0_EEPmJS9_EEE10hipError_tPvRmT3_T4_T5_T6_T7_T9_mT8_P12ihipStream_tbDpT10_ENKUlT_T0_E_clISt17integral_constantIbLb0EES1A_EEDaS15_S16_EUlS15_E_NS1_11comp_targetILNS1_3genE2ELNS1_11target_archE906ELNS1_3gpuE6ELNS1_3repE0EEENS1_30default_config_static_selectorELNS0_4arch9wavefront6targetE0EEEvT1_.kd
    .uniform_work_group_size: 1
    .uses_dynamic_stack: false
    .vgpr_count:     0
    .vgpr_spill_count: 0
    .wavefront_size: 32
    .workgroup_processor_mode: 1
  - .args:
      - .offset:         0
        .size:           120
        .value_kind:     by_value
    .group_segment_fixed_size: 0
    .kernarg_segment_align: 8
    .kernarg_segment_size: 120
    .language:       OpenCL C
    .language_version:
      - 2
      - 0
    .max_flat_workgroup_size: 384
    .name:           _ZN7rocprim17ROCPRIM_400000_NS6detail17trampoline_kernelINS0_14default_configENS1_25partition_config_selectorILNS1_17partition_subalgoE9EllbEEZZNS1_14partition_implILS5_9ELb0ES3_jPlS8_PNS0_10empty_typeENS0_5tupleIJS8_S9_EEENSB_IJS8_SA_EEENS0_18inequality_wrapperIZN2at6native12_GLOBAL__N_124unique_dim_cuda_templateItEESt5tupleIJNSF_6TensorESK_SK_EERKSK_lbbbEUlllE0_EEPmJS9_EEE10hipError_tPvRmT3_T4_T5_T6_T7_T9_mT8_P12ihipStream_tbDpT10_ENKUlT_T0_E_clISt17integral_constantIbLb0EES1A_EEDaS15_S16_EUlS15_E_NS1_11comp_targetILNS1_3genE10ELNS1_11target_archE1200ELNS1_3gpuE4ELNS1_3repE0EEENS1_30default_config_static_selectorELNS0_4arch9wavefront6targetE0EEEvT1_
    .private_segment_fixed_size: 0
    .sgpr_count:     0
    .sgpr_spill_count: 0
    .symbol:         _ZN7rocprim17ROCPRIM_400000_NS6detail17trampoline_kernelINS0_14default_configENS1_25partition_config_selectorILNS1_17partition_subalgoE9EllbEEZZNS1_14partition_implILS5_9ELb0ES3_jPlS8_PNS0_10empty_typeENS0_5tupleIJS8_S9_EEENSB_IJS8_SA_EEENS0_18inequality_wrapperIZN2at6native12_GLOBAL__N_124unique_dim_cuda_templateItEESt5tupleIJNSF_6TensorESK_SK_EERKSK_lbbbEUlllE0_EEPmJS9_EEE10hipError_tPvRmT3_T4_T5_T6_T7_T9_mT8_P12ihipStream_tbDpT10_ENKUlT_T0_E_clISt17integral_constantIbLb0EES1A_EEDaS15_S16_EUlS15_E_NS1_11comp_targetILNS1_3genE10ELNS1_11target_archE1200ELNS1_3gpuE4ELNS1_3repE0EEENS1_30default_config_static_selectorELNS0_4arch9wavefront6targetE0EEEvT1_.kd
    .uniform_work_group_size: 1
    .uses_dynamic_stack: false
    .vgpr_count:     0
    .vgpr_spill_count: 0
    .wavefront_size: 32
    .workgroup_processor_mode: 1
  - .args:
      - .offset:         0
        .size:           120
        .value_kind:     by_value
    .group_segment_fixed_size: 33804
    .kernarg_segment_align: 8
    .kernarg_segment_size: 120
    .language:       OpenCL C
    .language_version:
      - 2
      - 0
    .max_flat_workgroup_size: 512
    .name:           _ZN7rocprim17ROCPRIM_400000_NS6detail17trampoline_kernelINS0_14default_configENS1_25partition_config_selectorILNS1_17partition_subalgoE9EllbEEZZNS1_14partition_implILS5_9ELb0ES3_jPlS8_PNS0_10empty_typeENS0_5tupleIJS8_S9_EEENSB_IJS8_SA_EEENS0_18inequality_wrapperIZN2at6native12_GLOBAL__N_124unique_dim_cuda_templateItEESt5tupleIJNSF_6TensorESK_SK_EERKSK_lbbbEUlllE0_EEPmJS9_EEE10hipError_tPvRmT3_T4_T5_T6_T7_T9_mT8_P12ihipStream_tbDpT10_ENKUlT_T0_E_clISt17integral_constantIbLb0EES1A_EEDaS15_S16_EUlS15_E_NS1_11comp_targetILNS1_3genE9ELNS1_11target_archE1100ELNS1_3gpuE3ELNS1_3repE0EEENS1_30default_config_static_selectorELNS0_4arch9wavefront6targetE0EEEvT1_
    .private_segment_fixed_size: 0
    .sgpr_count:     38
    .sgpr_spill_count: 0
    .symbol:         _ZN7rocprim17ROCPRIM_400000_NS6detail17trampoline_kernelINS0_14default_configENS1_25partition_config_selectorILNS1_17partition_subalgoE9EllbEEZZNS1_14partition_implILS5_9ELb0ES3_jPlS8_PNS0_10empty_typeENS0_5tupleIJS8_S9_EEENSB_IJS8_SA_EEENS0_18inequality_wrapperIZN2at6native12_GLOBAL__N_124unique_dim_cuda_templateItEESt5tupleIJNSF_6TensorESK_SK_EERKSK_lbbbEUlllE0_EEPmJS9_EEE10hipError_tPvRmT3_T4_T5_T6_T7_T9_mT8_P12ihipStream_tbDpT10_ENKUlT_T0_E_clISt17integral_constantIbLb0EES1A_EEDaS15_S16_EUlS15_E_NS1_11comp_targetILNS1_3genE9ELNS1_11target_archE1100ELNS1_3gpuE3ELNS1_3repE0EEENS1_30default_config_static_selectorELNS0_4arch9wavefront6targetE0EEEvT1_.kd
    .uniform_work_group_size: 1
    .uses_dynamic_stack: false
    .vgpr_count:     68
    .vgpr_spill_count: 0
    .wavefront_size: 32
    .workgroup_processor_mode: 1
  - .args:
      - .offset:         0
        .size:           120
        .value_kind:     by_value
    .group_segment_fixed_size: 0
    .kernarg_segment_align: 8
    .kernarg_segment_size: 120
    .language:       OpenCL C
    .language_version:
      - 2
      - 0
    .max_flat_workgroup_size: 512
    .name:           _ZN7rocprim17ROCPRIM_400000_NS6detail17trampoline_kernelINS0_14default_configENS1_25partition_config_selectorILNS1_17partition_subalgoE9EllbEEZZNS1_14partition_implILS5_9ELb0ES3_jPlS8_PNS0_10empty_typeENS0_5tupleIJS8_S9_EEENSB_IJS8_SA_EEENS0_18inequality_wrapperIZN2at6native12_GLOBAL__N_124unique_dim_cuda_templateItEESt5tupleIJNSF_6TensorESK_SK_EERKSK_lbbbEUlllE0_EEPmJS9_EEE10hipError_tPvRmT3_T4_T5_T6_T7_T9_mT8_P12ihipStream_tbDpT10_ENKUlT_T0_E_clISt17integral_constantIbLb0EES1A_EEDaS15_S16_EUlS15_E_NS1_11comp_targetILNS1_3genE8ELNS1_11target_archE1030ELNS1_3gpuE2ELNS1_3repE0EEENS1_30default_config_static_selectorELNS0_4arch9wavefront6targetE0EEEvT1_
    .private_segment_fixed_size: 0
    .sgpr_count:     0
    .sgpr_spill_count: 0
    .symbol:         _ZN7rocprim17ROCPRIM_400000_NS6detail17trampoline_kernelINS0_14default_configENS1_25partition_config_selectorILNS1_17partition_subalgoE9EllbEEZZNS1_14partition_implILS5_9ELb0ES3_jPlS8_PNS0_10empty_typeENS0_5tupleIJS8_S9_EEENSB_IJS8_SA_EEENS0_18inequality_wrapperIZN2at6native12_GLOBAL__N_124unique_dim_cuda_templateItEESt5tupleIJNSF_6TensorESK_SK_EERKSK_lbbbEUlllE0_EEPmJS9_EEE10hipError_tPvRmT3_T4_T5_T6_T7_T9_mT8_P12ihipStream_tbDpT10_ENKUlT_T0_E_clISt17integral_constantIbLb0EES1A_EEDaS15_S16_EUlS15_E_NS1_11comp_targetILNS1_3genE8ELNS1_11target_archE1030ELNS1_3gpuE2ELNS1_3repE0EEENS1_30default_config_static_selectorELNS0_4arch9wavefront6targetE0EEEvT1_.kd
    .uniform_work_group_size: 1
    .uses_dynamic_stack: false
    .vgpr_count:     0
    .vgpr_spill_count: 0
    .wavefront_size: 32
    .workgroup_processor_mode: 1
  - .args:
      - .offset:         0
        .size:           136
        .value_kind:     by_value
    .group_segment_fixed_size: 0
    .kernarg_segment_align: 8
    .kernarg_segment_size: 136
    .language:       OpenCL C
    .language_version:
      - 2
      - 0
    .max_flat_workgroup_size: 128
    .name:           _ZN7rocprim17ROCPRIM_400000_NS6detail17trampoline_kernelINS0_14default_configENS1_25partition_config_selectorILNS1_17partition_subalgoE9EllbEEZZNS1_14partition_implILS5_9ELb0ES3_jPlS8_PNS0_10empty_typeENS0_5tupleIJS8_S9_EEENSB_IJS8_SA_EEENS0_18inequality_wrapperIZN2at6native12_GLOBAL__N_124unique_dim_cuda_templateItEESt5tupleIJNSF_6TensorESK_SK_EERKSK_lbbbEUlllE0_EEPmJS9_EEE10hipError_tPvRmT3_T4_T5_T6_T7_T9_mT8_P12ihipStream_tbDpT10_ENKUlT_T0_E_clISt17integral_constantIbLb1EES1A_EEDaS15_S16_EUlS15_E_NS1_11comp_targetILNS1_3genE0ELNS1_11target_archE4294967295ELNS1_3gpuE0ELNS1_3repE0EEENS1_30default_config_static_selectorELNS0_4arch9wavefront6targetE0EEEvT1_
    .private_segment_fixed_size: 0
    .sgpr_count:     0
    .sgpr_spill_count: 0
    .symbol:         _ZN7rocprim17ROCPRIM_400000_NS6detail17trampoline_kernelINS0_14default_configENS1_25partition_config_selectorILNS1_17partition_subalgoE9EllbEEZZNS1_14partition_implILS5_9ELb0ES3_jPlS8_PNS0_10empty_typeENS0_5tupleIJS8_S9_EEENSB_IJS8_SA_EEENS0_18inequality_wrapperIZN2at6native12_GLOBAL__N_124unique_dim_cuda_templateItEESt5tupleIJNSF_6TensorESK_SK_EERKSK_lbbbEUlllE0_EEPmJS9_EEE10hipError_tPvRmT3_T4_T5_T6_T7_T9_mT8_P12ihipStream_tbDpT10_ENKUlT_T0_E_clISt17integral_constantIbLb1EES1A_EEDaS15_S16_EUlS15_E_NS1_11comp_targetILNS1_3genE0ELNS1_11target_archE4294967295ELNS1_3gpuE0ELNS1_3repE0EEENS1_30default_config_static_selectorELNS0_4arch9wavefront6targetE0EEEvT1_.kd
    .uniform_work_group_size: 1
    .uses_dynamic_stack: false
    .vgpr_count:     0
    .vgpr_spill_count: 0
    .wavefront_size: 32
    .workgroup_processor_mode: 1
  - .args:
      - .offset:         0
        .size:           136
        .value_kind:     by_value
    .group_segment_fixed_size: 0
    .kernarg_segment_align: 8
    .kernarg_segment_size: 136
    .language:       OpenCL C
    .language_version:
      - 2
      - 0
    .max_flat_workgroup_size: 512
    .name:           _ZN7rocprim17ROCPRIM_400000_NS6detail17trampoline_kernelINS0_14default_configENS1_25partition_config_selectorILNS1_17partition_subalgoE9EllbEEZZNS1_14partition_implILS5_9ELb0ES3_jPlS8_PNS0_10empty_typeENS0_5tupleIJS8_S9_EEENSB_IJS8_SA_EEENS0_18inequality_wrapperIZN2at6native12_GLOBAL__N_124unique_dim_cuda_templateItEESt5tupleIJNSF_6TensorESK_SK_EERKSK_lbbbEUlllE0_EEPmJS9_EEE10hipError_tPvRmT3_T4_T5_T6_T7_T9_mT8_P12ihipStream_tbDpT10_ENKUlT_T0_E_clISt17integral_constantIbLb1EES1A_EEDaS15_S16_EUlS15_E_NS1_11comp_targetILNS1_3genE5ELNS1_11target_archE942ELNS1_3gpuE9ELNS1_3repE0EEENS1_30default_config_static_selectorELNS0_4arch9wavefront6targetE0EEEvT1_
    .private_segment_fixed_size: 0
    .sgpr_count:     0
    .sgpr_spill_count: 0
    .symbol:         _ZN7rocprim17ROCPRIM_400000_NS6detail17trampoline_kernelINS0_14default_configENS1_25partition_config_selectorILNS1_17partition_subalgoE9EllbEEZZNS1_14partition_implILS5_9ELb0ES3_jPlS8_PNS0_10empty_typeENS0_5tupleIJS8_S9_EEENSB_IJS8_SA_EEENS0_18inequality_wrapperIZN2at6native12_GLOBAL__N_124unique_dim_cuda_templateItEESt5tupleIJNSF_6TensorESK_SK_EERKSK_lbbbEUlllE0_EEPmJS9_EEE10hipError_tPvRmT3_T4_T5_T6_T7_T9_mT8_P12ihipStream_tbDpT10_ENKUlT_T0_E_clISt17integral_constantIbLb1EES1A_EEDaS15_S16_EUlS15_E_NS1_11comp_targetILNS1_3genE5ELNS1_11target_archE942ELNS1_3gpuE9ELNS1_3repE0EEENS1_30default_config_static_selectorELNS0_4arch9wavefront6targetE0EEEvT1_.kd
    .uniform_work_group_size: 1
    .uses_dynamic_stack: false
    .vgpr_count:     0
    .vgpr_spill_count: 0
    .wavefront_size: 32
    .workgroup_processor_mode: 1
  - .args:
      - .offset:         0
        .size:           136
        .value_kind:     by_value
    .group_segment_fixed_size: 0
    .kernarg_segment_align: 8
    .kernarg_segment_size: 136
    .language:       OpenCL C
    .language_version:
      - 2
      - 0
    .max_flat_workgroup_size: 128
    .name:           _ZN7rocprim17ROCPRIM_400000_NS6detail17trampoline_kernelINS0_14default_configENS1_25partition_config_selectorILNS1_17partition_subalgoE9EllbEEZZNS1_14partition_implILS5_9ELb0ES3_jPlS8_PNS0_10empty_typeENS0_5tupleIJS8_S9_EEENSB_IJS8_SA_EEENS0_18inequality_wrapperIZN2at6native12_GLOBAL__N_124unique_dim_cuda_templateItEESt5tupleIJNSF_6TensorESK_SK_EERKSK_lbbbEUlllE0_EEPmJS9_EEE10hipError_tPvRmT3_T4_T5_T6_T7_T9_mT8_P12ihipStream_tbDpT10_ENKUlT_T0_E_clISt17integral_constantIbLb1EES1A_EEDaS15_S16_EUlS15_E_NS1_11comp_targetILNS1_3genE4ELNS1_11target_archE910ELNS1_3gpuE8ELNS1_3repE0EEENS1_30default_config_static_selectorELNS0_4arch9wavefront6targetE0EEEvT1_
    .private_segment_fixed_size: 0
    .sgpr_count:     0
    .sgpr_spill_count: 0
    .symbol:         _ZN7rocprim17ROCPRIM_400000_NS6detail17trampoline_kernelINS0_14default_configENS1_25partition_config_selectorILNS1_17partition_subalgoE9EllbEEZZNS1_14partition_implILS5_9ELb0ES3_jPlS8_PNS0_10empty_typeENS0_5tupleIJS8_S9_EEENSB_IJS8_SA_EEENS0_18inequality_wrapperIZN2at6native12_GLOBAL__N_124unique_dim_cuda_templateItEESt5tupleIJNSF_6TensorESK_SK_EERKSK_lbbbEUlllE0_EEPmJS9_EEE10hipError_tPvRmT3_T4_T5_T6_T7_T9_mT8_P12ihipStream_tbDpT10_ENKUlT_T0_E_clISt17integral_constantIbLb1EES1A_EEDaS15_S16_EUlS15_E_NS1_11comp_targetILNS1_3genE4ELNS1_11target_archE910ELNS1_3gpuE8ELNS1_3repE0EEENS1_30default_config_static_selectorELNS0_4arch9wavefront6targetE0EEEvT1_.kd
    .uniform_work_group_size: 1
    .uses_dynamic_stack: false
    .vgpr_count:     0
    .vgpr_spill_count: 0
    .wavefront_size: 32
    .workgroup_processor_mode: 1
  - .args:
      - .offset:         0
        .size:           136
        .value_kind:     by_value
    .group_segment_fixed_size: 0
    .kernarg_segment_align: 8
    .kernarg_segment_size: 136
    .language:       OpenCL C
    .language_version:
      - 2
      - 0
    .max_flat_workgroup_size: 128
    .name:           _ZN7rocprim17ROCPRIM_400000_NS6detail17trampoline_kernelINS0_14default_configENS1_25partition_config_selectorILNS1_17partition_subalgoE9EllbEEZZNS1_14partition_implILS5_9ELb0ES3_jPlS8_PNS0_10empty_typeENS0_5tupleIJS8_S9_EEENSB_IJS8_SA_EEENS0_18inequality_wrapperIZN2at6native12_GLOBAL__N_124unique_dim_cuda_templateItEESt5tupleIJNSF_6TensorESK_SK_EERKSK_lbbbEUlllE0_EEPmJS9_EEE10hipError_tPvRmT3_T4_T5_T6_T7_T9_mT8_P12ihipStream_tbDpT10_ENKUlT_T0_E_clISt17integral_constantIbLb1EES1A_EEDaS15_S16_EUlS15_E_NS1_11comp_targetILNS1_3genE3ELNS1_11target_archE908ELNS1_3gpuE7ELNS1_3repE0EEENS1_30default_config_static_selectorELNS0_4arch9wavefront6targetE0EEEvT1_
    .private_segment_fixed_size: 0
    .sgpr_count:     0
    .sgpr_spill_count: 0
    .symbol:         _ZN7rocprim17ROCPRIM_400000_NS6detail17trampoline_kernelINS0_14default_configENS1_25partition_config_selectorILNS1_17partition_subalgoE9EllbEEZZNS1_14partition_implILS5_9ELb0ES3_jPlS8_PNS0_10empty_typeENS0_5tupleIJS8_S9_EEENSB_IJS8_SA_EEENS0_18inequality_wrapperIZN2at6native12_GLOBAL__N_124unique_dim_cuda_templateItEESt5tupleIJNSF_6TensorESK_SK_EERKSK_lbbbEUlllE0_EEPmJS9_EEE10hipError_tPvRmT3_T4_T5_T6_T7_T9_mT8_P12ihipStream_tbDpT10_ENKUlT_T0_E_clISt17integral_constantIbLb1EES1A_EEDaS15_S16_EUlS15_E_NS1_11comp_targetILNS1_3genE3ELNS1_11target_archE908ELNS1_3gpuE7ELNS1_3repE0EEENS1_30default_config_static_selectorELNS0_4arch9wavefront6targetE0EEEvT1_.kd
    .uniform_work_group_size: 1
    .uses_dynamic_stack: false
    .vgpr_count:     0
    .vgpr_spill_count: 0
    .wavefront_size: 32
    .workgroup_processor_mode: 1
  - .args:
      - .offset:         0
        .size:           136
        .value_kind:     by_value
    .group_segment_fixed_size: 0
    .kernarg_segment_align: 8
    .kernarg_segment_size: 136
    .language:       OpenCL C
    .language_version:
      - 2
      - 0
    .max_flat_workgroup_size: 192
    .name:           _ZN7rocprim17ROCPRIM_400000_NS6detail17trampoline_kernelINS0_14default_configENS1_25partition_config_selectorILNS1_17partition_subalgoE9EllbEEZZNS1_14partition_implILS5_9ELb0ES3_jPlS8_PNS0_10empty_typeENS0_5tupleIJS8_S9_EEENSB_IJS8_SA_EEENS0_18inequality_wrapperIZN2at6native12_GLOBAL__N_124unique_dim_cuda_templateItEESt5tupleIJNSF_6TensorESK_SK_EERKSK_lbbbEUlllE0_EEPmJS9_EEE10hipError_tPvRmT3_T4_T5_T6_T7_T9_mT8_P12ihipStream_tbDpT10_ENKUlT_T0_E_clISt17integral_constantIbLb1EES1A_EEDaS15_S16_EUlS15_E_NS1_11comp_targetILNS1_3genE2ELNS1_11target_archE906ELNS1_3gpuE6ELNS1_3repE0EEENS1_30default_config_static_selectorELNS0_4arch9wavefront6targetE0EEEvT1_
    .private_segment_fixed_size: 0
    .sgpr_count:     0
    .sgpr_spill_count: 0
    .symbol:         _ZN7rocprim17ROCPRIM_400000_NS6detail17trampoline_kernelINS0_14default_configENS1_25partition_config_selectorILNS1_17partition_subalgoE9EllbEEZZNS1_14partition_implILS5_9ELb0ES3_jPlS8_PNS0_10empty_typeENS0_5tupleIJS8_S9_EEENSB_IJS8_SA_EEENS0_18inequality_wrapperIZN2at6native12_GLOBAL__N_124unique_dim_cuda_templateItEESt5tupleIJNSF_6TensorESK_SK_EERKSK_lbbbEUlllE0_EEPmJS9_EEE10hipError_tPvRmT3_T4_T5_T6_T7_T9_mT8_P12ihipStream_tbDpT10_ENKUlT_T0_E_clISt17integral_constantIbLb1EES1A_EEDaS15_S16_EUlS15_E_NS1_11comp_targetILNS1_3genE2ELNS1_11target_archE906ELNS1_3gpuE6ELNS1_3repE0EEENS1_30default_config_static_selectorELNS0_4arch9wavefront6targetE0EEEvT1_.kd
    .uniform_work_group_size: 1
    .uses_dynamic_stack: false
    .vgpr_count:     0
    .vgpr_spill_count: 0
    .wavefront_size: 32
    .workgroup_processor_mode: 1
  - .args:
      - .offset:         0
        .size:           136
        .value_kind:     by_value
    .group_segment_fixed_size: 0
    .kernarg_segment_align: 8
    .kernarg_segment_size: 136
    .language:       OpenCL C
    .language_version:
      - 2
      - 0
    .max_flat_workgroup_size: 384
    .name:           _ZN7rocprim17ROCPRIM_400000_NS6detail17trampoline_kernelINS0_14default_configENS1_25partition_config_selectorILNS1_17partition_subalgoE9EllbEEZZNS1_14partition_implILS5_9ELb0ES3_jPlS8_PNS0_10empty_typeENS0_5tupleIJS8_S9_EEENSB_IJS8_SA_EEENS0_18inequality_wrapperIZN2at6native12_GLOBAL__N_124unique_dim_cuda_templateItEESt5tupleIJNSF_6TensorESK_SK_EERKSK_lbbbEUlllE0_EEPmJS9_EEE10hipError_tPvRmT3_T4_T5_T6_T7_T9_mT8_P12ihipStream_tbDpT10_ENKUlT_T0_E_clISt17integral_constantIbLb1EES1A_EEDaS15_S16_EUlS15_E_NS1_11comp_targetILNS1_3genE10ELNS1_11target_archE1200ELNS1_3gpuE4ELNS1_3repE0EEENS1_30default_config_static_selectorELNS0_4arch9wavefront6targetE0EEEvT1_
    .private_segment_fixed_size: 0
    .sgpr_count:     0
    .sgpr_spill_count: 0
    .symbol:         _ZN7rocprim17ROCPRIM_400000_NS6detail17trampoline_kernelINS0_14default_configENS1_25partition_config_selectorILNS1_17partition_subalgoE9EllbEEZZNS1_14partition_implILS5_9ELb0ES3_jPlS8_PNS0_10empty_typeENS0_5tupleIJS8_S9_EEENSB_IJS8_SA_EEENS0_18inequality_wrapperIZN2at6native12_GLOBAL__N_124unique_dim_cuda_templateItEESt5tupleIJNSF_6TensorESK_SK_EERKSK_lbbbEUlllE0_EEPmJS9_EEE10hipError_tPvRmT3_T4_T5_T6_T7_T9_mT8_P12ihipStream_tbDpT10_ENKUlT_T0_E_clISt17integral_constantIbLb1EES1A_EEDaS15_S16_EUlS15_E_NS1_11comp_targetILNS1_3genE10ELNS1_11target_archE1200ELNS1_3gpuE4ELNS1_3repE0EEENS1_30default_config_static_selectorELNS0_4arch9wavefront6targetE0EEEvT1_.kd
    .uniform_work_group_size: 1
    .uses_dynamic_stack: false
    .vgpr_count:     0
    .vgpr_spill_count: 0
    .wavefront_size: 32
    .workgroup_processor_mode: 1
  - .args:
      - .offset:         0
        .size:           136
        .value_kind:     by_value
    .group_segment_fixed_size: 33804
    .kernarg_segment_align: 8
    .kernarg_segment_size: 136
    .language:       OpenCL C
    .language_version:
      - 2
      - 0
    .max_flat_workgroup_size: 512
    .name:           _ZN7rocprim17ROCPRIM_400000_NS6detail17trampoline_kernelINS0_14default_configENS1_25partition_config_selectorILNS1_17partition_subalgoE9EllbEEZZNS1_14partition_implILS5_9ELb0ES3_jPlS8_PNS0_10empty_typeENS0_5tupleIJS8_S9_EEENSB_IJS8_SA_EEENS0_18inequality_wrapperIZN2at6native12_GLOBAL__N_124unique_dim_cuda_templateItEESt5tupleIJNSF_6TensorESK_SK_EERKSK_lbbbEUlllE0_EEPmJS9_EEE10hipError_tPvRmT3_T4_T5_T6_T7_T9_mT8_P12ihipStream_tbDpT10_ENKUlT_T0_E_clISt17integral_constantIbLb1EES1A_EEDaS15_S16_EUlS15_E_NS1_11comp_targetILNS1_3genE9ELNS1_11target_archE1100ELNS1_3gpuE3ELNS1_3repE0EEENS1_30default_config_static_selectorELNS0_4arch9wavefront6targetE0EEEvT1_
    .private_segment_fixed_size: 0
    .sgpr_count:     42
    .sgpr_spill_count: 0
    .symbol:         _ZN7rocprim17ROCPRIM_400000_NS6detail17trampoline_kernelINS0_14default_configENS1_25partition_config_selectorILNS1_17partition_subalgoE9EllbEEZZNS1_14partition_implILS5_9ELb0ES3_jPlS8_PNS0_10empty_typeENS0_5tupleIJS8_S9_EEENSB_IJS8_SA_EEENS0_18inequality_wrapperIZN2at6native12_GLOBAL__N_124unique_dim_cuda_templateItEESt5tupleIJNSF_6TensorESK_SK_EERKSK_lbbbEUlllE0_EEPmJS9_EEE10hipError_tPvRmT3_T4_T5_T6_T7_T9_mT8_P12ihipStream_tbDpT10_ENKUlT_T0_E_clISt17integral_constantIbLb1EES1A_EEDaS15_S16_EUlS15_E_NS1_11comp_targetILNS1_3genE9ELNS1_11target_archE1100ELNS1_3gpuE3ELNS1_3repE0EEENS1_30default_config_static_selectorELNS0_4arch9wavefront6targetE0EEEvT1_.kd
    .uniform_work_group_size: 1
    .uses_dynamic_stack: false
    .vgpr_count:     68
    .vgpr_spill_count: 0
    .wavefront_size: 32
    .workgroup_processor_mode: 1
  - .args:
      - .offset:         0
        .size:           136
        .value_kind:     by_value
    .group_segment_fixed_size: 0
    .kernarg_segment_align: 8
    .kernarg_segment_size: 136
    .language:       OpenCL C
    .language_version:
      - 2
      - 0
    .max_flat_workgroup_size: 512
    .name:           _ZN7rocprim17ROCPRIM_400000_NS6detail17trampoline_kernelINS0_14default_configENS1_25partition_config_selectorILNS1_17partition_subalgoE9EllbEEZZNS1_14partition_implILS5_9ELb0ES3_jPlS8_PNS0_10empty_typeENS0_5tupleIJS8_S9_EEENSB_IJS8_SA_EEENS0_18inequality_wrapperIZN2at6native12_GLOBAL__N_124unique_dim_cuda_templateItEESt5tupleIJNSF_6TensorESK_SK_EERKSK_lbbbEUlllE0_EEPmJS9_EEE10hipError_tPvRmT3_T4_T5_T6_T7_T9_mT8_P12ihipStream_tbDpT10_ENKUlT_T0_E_clISt17integral_constantIbLb1EES1A_EEDaS15_S16_EUlS15_E_NS1_11comp_targetILNS1_3genE8ELNS1_11target_archE1030ELNS1_3gpuE2ELNS1_3repE0EEENS1_30default_config_static_selectorELNS0_4arch9wavefront6targetE0EEEvT1_
    .private_segment_fixed_size: 0
    .sgpr_count:     0
    .sgpr_spill_count: 0
    .symbol:         _ZN7rocprim17ROCPRIM_400000_NS6detail17trampoline_kernelINS0_14default_configENS1_25partition_config_selectorILNS1_17partition_subalgoE9EllbEEZZNS1_14partition_implILS5_9ELb0ES3_jPlS8_PNS0_10empty_typeENS0_5tupleIJS8_S9_EEENSB_IJS8_SA_EEENS0_18inequality_wrapperIZN2at6native12_GLOBAL__N_124unique_dim_cuda_templateItEESt5tupleIJNSF_6TensorESK_SK_EERKSK_lbbbEUlllE0_EEPmJS9_EEE10hipError_tPvRmT3_T4_T5_T6_T7_T9_mT8_P12ihipStream_tbDpT10_ENKUlT_T0_E_clISt17integral_constantIbLb1EES1A_EEDaS15_S16_EUlS15_E_NS1_11comp_targetILNS1_3genE8ELNS1_11target_archE1030ELNS1_3gpuE2ELNS1_3repE0EEENS1_30default_config_static_selectorELNS0_4arch9wavefront6targetE0EEEvT1_.kd
    .uniform_work_group_size: 1
    .uses_dynamic_stack: false
    .vgpr_count:     0
    .vgpr_spill_count: 0
    .wavefront_size: 32
    .workgroup_processor_mode: 1
  - .args:
      - .offset:         0
        .size:           120
        .value_kind:     by_value
    .group_segment_fixed_size: 0
    .kernarg_segment_align: 8
    .kernarg_segment_size: 120
    .language:       OpenCL C
    .language_version:
      - 2
      - 0
    .max_flat_workgroup_size: 128
    .name:           _ZN7rocprim17ROCPRIM_400000_NS6detail17trampoline_kernelINS0_14default_configENS1_25partition_config_selectorILNS1_17partition_subalgoE9EllbEEZZNS1_14partition_implILS5_9ELb0ES3_jPlS8_PNS0_10empty_typeENS0_5tupleIJS8_S9_EEENSB_IJS8_SA_EEENS0_18inequality_wrapperIZN2at6native12_GLOBAL__N_124unique_dim_cuda_templateItEESt5tupleIJNSF_6TensorESK_SK_EERKSK_lbbbEUlllE0_EEPmJS9_EEE10hipError_tPvRmT3_T4_T5_T6_T7_T9_mT8_P12ihipStream_tbDpT10_ENKUlT_T0_E_clISt17integral_constantIbLb1EES19_IbLb0EEEEDaS15_S16_EUlS15_E_NS1_11comp_targetILNS1_3genE0ELNS1_11target_archE4294967295ELNS1_3gpuE0ELNS1_3repE0EEENS1_30default_config_static_selectorELNS0_4arch9wavefront6targetE0EEEvT1_
    .private_segment_fixed_size: 0
    .sgpr_count:     0
    .sgpr_spill_count: 0
    .symbol:         _ZN7rocprim17ROCPRIM_400000_NS6detail17trampoline_kernelINS0_14default_configENS1_25partition_config_selectorILNS1_17partition_subalgoE9EllbEEZZNS1_14partition_implILS5_9ELb0ES3_jPlS8_PNS0_10empty_typeENS0_5tupleIJS8_S9_EEENSB_IJS8_SA_EEENS0_18inequality_wrapperIZN2at6native12_GLOBAL__N_124unique_dim_cuda_templateItEESt5tupleIJNSF_6TensorESK_SK_EERKSK_lbbbEUlllE0_EEPmJS9_EEE10hipError_tPvRmT3_T4_T5_T6_T7_T9_mT8_P12ihipStream_tbDpT10_ENKUlT_T0_E_clISt17integral_constantIbLb1EES19_IbLb0EEEEDaS15_S16_EUlS15_E_NS1_11comp_targetILNS1_3genE0ELNS1_11target_archE4294967295ELNS1_3gpuE0ELNS1_3repE0EEENS1_30default_config_static_selectorELNS0_4arch9wavefront6targetE0EEEvT1_.kd
    .uniform_work_group_size: 1
    .uses_dynamic_stack: false
    .vgpr_count:     0
    .vgpr_spill_count: 0
    .wavefront_size: 32
    .workgroup_processor_mode: 1
  - .args:
      - .offset:         0
        .size:           120
        .value_kind:     by_value
    .group_segment_fixed_size: 0
    .kernarg_segment_align: 8
    .kernarg_segment_size: 120
    .language:       OpenCL C
    .language_version:
      - 2
      - 0
    .max_flat_workgroup_size: 512
    .name:           _ZN7rocprim17ROCPRIM_400000_NS6detail17trampoline_kernelINS0_14default_configENS1_25partition_config_selectorILNS1_17partition_subalgoE9EllbEEZZNS1_14partition_implILS5_9ELb0ES3_jPlS8_PNS0_10empty_typeENS0_5tupleIJS8_S9_EEENSB_IJS8_SA_EEENS0_18inequality_wrapperIZN2at6native12_GLOBAL__N_124unique_dim_cuda_templateItEESt5tupleIJNSF_6TensorESK_SK_EERKSK_lbbbEUlllE0_EEPmJS9_EEE10hipError_tPvRmT3_T4_T5_T6_T7_T9_mT8_P12ihipStream_tbDpT10_ENKUlT_T0_E_clISt17integral_constantIbLb1EES19_IbLb0EEEEDaS15_S16_EUlS15_E_NS1_11comp_targetILNS1_3genE5ELNS1_11target_archE942ELNS1_3gpuE9ELNS1_3repE0EEENS1_30default_config_static_selectorELNS0_4arch9wavefront6targetE0EEEvT1_
    .private_segment_fixed_size: 0
    .sgpr_count:     0
    .sgpr_spill_count: 0
    .symbol:         _ZN7rocprim17ROCPRIM_400000_NS6detail17trampoline_kernelINS0_14default_configENS1_25partition_config_selectorILNS1_17partition_subalgoE9EllbEEZZNS1_14partition_implILS5_9ELb0ES3_jPlS8_PNS0_10empty_typeENS0_5tupleIJS8_S9_EEENSB_IJS8_SA_EEENS0_18inequality_wrapperIZN2at6native12_GLOBAL__N_124unique_dim_cuda_templateItEESt5tupleIJNSF_6TensorESK_SK_EERKSK_lbbbEUlllE0_EEPmJS9_EEE10hipError_tPvRmT3_T4_T5_T6_T7_T9_mT8_P12ihipStream_tbDpT10_ENKUlT_T0_E_clISt17integral_constantIbLb1EES19_IbLb0EEEEDaS15_S16_EUlS15_E_NS1_11comp_targetILNS1_3genE5ELNS1_11target_archE942ELNS1_3gpuE9ELNS1_3repE0EEENS1_30default_config_static_selectorELNS0_4arch9wavefront6targetE0EEEvT1_.kd
    .uniform_work_group_size: 1
    .uses_dynamic_stack: false
    .vgpr_count:     0
    .vgpr_spill_count: 0
    .wavefront_size: 32
    .workgroup_processor_mode: 1
  - .args:
      - .offset:         0
        .size:           120
        .value_kind:     by_value
    .group_segment_fixed_size: 0
    .kernarg_segment_align: 8
    .kernarg_segment_size: 120
    .language:       OpenCL C
    .language_version:
      - 2
      - 0
    .max_flat_workgroup_size: 128
    .name:           _ZN7rocprim17ROCPRIM_400000_NS6detail17trampoline_kernelINS0_14default_configENS1_25partition_config_selectorILNS1_17partition_subalgoE9EllbEEZZNS1_14partition_implILS5_9ELb0ES3_jPlS8_PNS0_10empty_typeENS0_5tupleIJS8_S9_EEENSB_IJS8_SA_EEENS0_18inequality_wrapperIZN2at6native12_GLOBAL__N_124unique_dim_cuda_templateItEESt5tupleIJNSF_6TensorESK_SK_EERKSK_lbbbEUlllE0_EEPmJS9_EEE10hipError_tPvRmT3_T4_T5_T6_T7_T9_mT8_P12ihipStream_tbDpT10_ENKUlT_T0_E_clISt17integral_constantIbLb1EES19_IbLb0EEEEDaS15_S16_EUlS15_E_NS1_11comp_targetILNS1_3genE4ELNS1_11target_archE910ELNS1_3gpuE8ELNS1_3repE0EEENS1_30default_config_static_selectorELNS0_4arch9wavefront6targetE0EEEvT1_
    .private_segment_fixed_size: 0
    .sgpr_count:     0
    .sgpr_spill_count: 0
    .symbol:         _ZN7rocprim17ROCPRIM_400000_NS6detail17trampoline_kernelINS0_14default_configENS1_25partition_config_selectorILNS1_17partition_subalgoE9EllbEEZZNS1_14partition_implILS5_9ELb0ES3_jPlS8_PNS0_10empty_typeENS0_5tupleIJS8_S9_EEENSB_IJS8_SA_EEENS0_18inequality_wrapperIZN2at6native12_GLOBAL__N_124unique_dim_cuda_templateItEESt5tupleIJNSF_6TensorESK_SK_EERKSK_lbbbEUlllE0_EEPmJS9_EEE10hipError_tPvRmT3_T4_T5_T6_T7_T9_mT8_P12ihipStream_tbDpT10_ENKUlT_T0_E_clISt17integral_constantIbLb1EES19_IbLb0EEEEDaS15_S16_EUlS15_E_NS1_11comp_targetILNS1_3genE4ELNS1_11target_archE910ELNS1_3gpuE8ELNS1_3repE0EEENS1_30default_config_static_selectorELNS0_4arch9wavefront6targetE0EEEvT1_.kd
    .uniform_work_group_size: 1
    .uses_dynamic_stack: false
    .vgpr_count:     0
    .vgpr_spill_count: 0
    .wavefront_size: 32
    .workgroup_processor_mode: 1
  - .args:
      - .offset:         0
        .size:           120
        .value_kind:     by_value
    .group_segment_fixed_size: 0
    .kernarg_segment_align: 8
    .kernarg_segment_size: 120
    .language:       OpenCL C
    .language_version:
      - 2
      - 0
    .max_flat_workgroup_size: 128
    .name:           _ZN7rocprim17ROCPRIM_400000_NS6detail17trampoline_kernelINS0_14default_configENS1_25partition_config_selectorILNS1_17partition_subalgoE9EllbEEZZNS1_14partition_implILS5_9ELb0ES3_jPlS8_PNS0_10empty_typeENS0_5tupleIJS8_S9_EEENSB_IJS8_SA_EEENS0_18inequality_wrapperIZN2at6native12_GLOBAL__N_124unique_dim_cuda_templateItEESt5tupleIJNSF_6TensorESK_SK_EERKSK_lbbbEUlllE0_EEPmJS9_EEE10hipError_tPvRmT3_T4_T5_T6_T7_T9_mT8_P12ihipStream_tbDpT10_ENKUlT_T0_E_clISt17integral_constantIbLb1EES19_IbLb0EEEEDaS15_S16_EUlS15_E_NS1_11comp_targetILNS1_3genE3ELNS1_11target_archE908ELNS1_3gpuE7ELNS1_3repE0EEENS1_30default_config_static_selectorELNS0_4arch9wavefront6targetE0EEEvT1_
    .private_segment_fixed_size: 0
    .sgpr_count:     0
    .sgpr_spill_count: 0
    .symbol:         _ZN7rocprim17ROCPRIM_400000_NS6detail17trampoline_kernelINS0_14default_configENS1_25partition_config_selectorILNS1_17partition_subalgoE9EllbEEZZNS1_14partition_implILS5_9ELb0ES3_jPlS8_PNS0_10empty_typeENS0_5tupleIJS8_S9_EEENSB_IJS8_SA_EEENS0_18inequality_wrapperIZN2at6native12_GLOBAL__N_124unique_dim_cuda_templateItEESt5tupleIJNSF_6TensorESK_SK_EERKSK_lbbbEUlllE0_EEPmJS9_EEE10hipError_tPvRmT3_T4_T5_T6_T7_T9_mT8_P12ihipStream_tbDpT10_ENKUlT_T0_E_clISt17integral_constantIbLb1EES19_IbLb0EEEEDaS15_S16_EUlS15_E_NS1_11comp_targetILNS1_3genE3ELNS1_11target_archE908ELNS1_3gpuE7ELNS1_3repE0EEENS1_30default_config_static_selectorELNS0_4arch9wavefront6targetE0EEEvT1_.kd
    .uniform_work_group_size: 1
    .uses_dynamic_stack: false
    .vgpr_count:     0
    .vgpr_spill_count: 0
    .wavefront_size: 32
    .workgroup_processor_mode: 1
  - .args:
      - .offset:         0
        .size:           120
        .value_kind:     by_value
    .group_segment_fixed_size: 0
    .kernarg_segment_align: 8
    .kernarg_segment_size: 120
    .language:       OpenCL C
    .language_version:
      - 2
      - 0
    .max_flat_workgroup_size: 192
    .name:           _ZN7rocprim17ROCPRIM_400000_NS6detail17trampoline_kernelINS0_14default_configENS1_25partition_config_selectorILNS1_17partition_subalgoE9EllbEEZZNS1_14partition_implILS5_9ELb0ES3_jPlS8_PNS0_10empty_typeENS0_5tupleIJS8_S9_EEENSB_IJS8_SA_EEENS0_18inequality_wrapperIZN2at6native12_GLOBAL__N_124unique_dim_cuda_templateItEESt5tupleIJNSF_6TensorESK_SK_EERKSK_lbbbEUlllE0_EEPmJS9_EEE10hipError_tPvRmT3_T4_T5_T6_T7_T9_mT8_P12ihipStream_tbDpT10_ENKUlT_T0_E_clISt17integral_constantIbLb1EES19_IbLb0EEEEDaS15_S16_EUlS15_E_NS1_11comp_targetILNS1_3genE2ELNS1_11target_archE906ELNS1_3gpuE6ELNS1_3repE0EEENS1_30default_config_static_selectorELNS0_4arch9wavefront6targetE0EEEvT1_
    .private_segment_fixed_size: 0
    .sgpr_count:     0
    .sgpr_spill_count: 0
    .symbol:         _ZN7rocprim17ROCPRIM_400000_NS6detail17trampoline_kernelINS0_14default_configENS1_25partition_config_selectorILNS1_17partition_subalgoE9EllbEEZZNS1_14partition_implILS5_9ELb0ES3_jPlS8_PNS0_10empty_typeENS0_5tupleIJS8_S9_EEENSB_IJS8_SA_EEENS0_18inequality_wrapperIZN2at6native12_GLOBAL__N_124unique_dim_cuda_templateItEESt5tupleIJNSF_6TensorESK_SK_EERKSK_lbbbEUlllE0_EEPmJS9_EEE10hipError_tPvRmT3_T4_T5_T6_T7_T9_mT8_P12ihipStream_tbDpT10_ENKUlT_T0_E_clISt17integral_constantIbLb1EES19_IbLb0EEEEDaS15_S16_EUlS15_E_NS1_11comp_targetILNS1_3genE2ELNS1_11target_archE906ELNS1_3gpuE6ELNS1_3repE0EEENS1_30default_config_static_selectorELNS0_4arch9wavefront6targetE0EEEvT1_.kd
    .uniform_work_group_size: 1
    .uses_dynamic_stack: false
    .vgpr_count:     0
    .vgpr_spill_count: 0
    .wavefront_size: 32
    .workgroup_processor_mode: 1
  - .args:
      - .offset:         0
        .size:           120
        .value_kind:     by_value
    .group_segment_fixed_size: 0
    .kernarg_segment_align: 8
    .kernarg_segment_size: 120
    .language:       OpenCL C
    .language_version:
      - 2
      - 0
    .max_flat_workgroup_size: 384
    .name:           _ZN7rocprim17ROCPRIM_400000_NS6detail17trampoline_kernelINS0_14default_configENS1_25partition_config_selectorILNS1_17partition_subalgoE9EllbEEZZNS1_14partition_implILS5_9ELb0ES3_jPlS8_PNS0_10empty_typeENS0_5tupleIJS8_S9_EEENSB_IJS8_SA_EEENS0_18inequality_wrapperIZN2at6native12_GLOBAL__N_124unique_dim_cuda_templateItEESt5tupleIJNSF_6TensorESK_SK_EERKSK_lbbbEUlllE0_EEPmJS9_EEE10hipError_tPvRmT3_T4_T5_T6_T7_T9_mT8_P12ihipStream_tbDpT10_ENKUlT_T0_E_clISt17integral_constantIbLb1EES19_IbLb0EEEEDaS15_S16_EUlS15_E_NS1_11comp_targetILNS1_3genE10ELNS1_11target_archE1200ELNS1_3gpuE4ELNS1_3repE0EEENS1_30default_config_static_selectorELNS0_4arch9wavefront6targetE0EEEvT1_
    .private_segment_fixed_size: 0
    .sgpr_count:     0
    .sgpr_spill_count: 0
    .symbol:         _ZN7rocprim17ROCPRIM_400000_NS6detail17trampoline_kernelINS0_14default_configENS1_25partition_config_selectorILNS1_17partition_subalgoE9EllbEEZZNS1_14partition_implILS5_9ELb0ES3_jPlS8_PNS0_10empty_typeENS0_5tupleIJS8_S9_EEENSB_IJS8_SA_EEENS0_18inequality_wrapperIZN2at6native12_GLOBAL__N_124unique_dim_cuda_templateItEESt5tupleIJNSF_6TensorESK_SK_EERKSK_lbbbEUlllE0_EEPmJS9_EEE10hipError_tPvRmT3_T4_T5_T6_T7_T9_mT8_P12ihipStream_tbDpT10_ENKUlT_T0_E_clISt17integral_constantIbLb1EES19_IbLb0EEEEDaS15_S16_EUlS15_E_NS1_11comp_targetILNS1_3genE10ELNS1_11target_archE1200ELNS1_3gpuE4ELNS1_3repE0EEENS1_30default_config_static_selectorELNS0_4arch9wavefront6targetE0EEEvT1_.kd
    .uniform_work_group_size: 1
    .uses_dynamic_stack: false
    .vgpr_count:     0
    .vgpr_spill_count: 0
    .wavefront_size: 32
    .workgroup_processor_mode: 1
  - .args:
      - .offset:         0
        .size:           120
        .value_kind:     by_value
    .group_segment_fixed_size: 33804
    .kernarg_segment_align: 8
    .kernarg_segment_size: 120
    .language:       OpenCL C
    .language_version:
      - 2
      - 0
    .max_flat_workgroup_size: 512
    .name:           _ZN7rocprim17ROCPRIM_400000_NS6detail17trampoline_kernelINS0_14default_configENS1_25partition_config_selectorILNS1_17partition_subalgoE9EllbEEZZNS1_14partition_implILS5_9ELb0ES3_jPlS8_PNS0_10empty_typeENS0_5tupleIJS8_S9_EEENSB_IJS8_SA_EEENS0_18inequality_wrapperIZN2at6native12_GLOBAL__N_124unique_dim_cuda_templateItEESt5tupleIJNSF_6TensorESK_SK_EERKSK_lbbbEUlllE0_EEPmJS9_EEE10hipError_tPvRmT3_T4_T5_T6_T7_T9_mT8_P12ihipStream_tbDpT10_ENKUlT_T0_E_clISt17integral_constantIbLb1EES19_IbLb0EEEEDaS15_S16_EUlS15_E_NS1_11comp_targetILNS1_3genE9ELNS1_11target_archE1100ELNS1_3gpuE3ELNS1_3repE0EEENS1_30default_config_static_selectorELNS0_4arch9wavefront6targetE0EEEvT1_
    .private_segment_fixed_size: 0
    .sgpr_count:     38
    .sgpr_spill_count: 0
    .symbol:         _ZN7rocprim17ROCPRIM_400000_NS6detail17trampoline_kernelINS0_14default_configENS1_25partition_config_selectorILNS1_17partition_subalgoE9EllbEEZZNS1_14partition_implILS5_9ELb0ES3_jPlS8_PNS0_10empty_typeENS0_5tupleIJS8_S9_EEENSB_IJS8_SA_EEENS0_18inequality_wrapperIZN2at6native12_GLOBAL__N_124unique_dim_cuda_templateItEESt5tupleIJNSF_6TensorESK_SK_EERKSK_lbbbEUlllE0_EEPmJS9_EEE10hipError_tPvRmT3_T4_T5_T6_T7_T9_mT8_P12ihipStream_tbDpT10_ENKUlT_T0_E_clISt17integral_constantIbLb1EES19_IbLb0EEEEDaS15_S16_EUlS15_E_NS1_11comp_targetILNS1_3genE9ELNS1_11target_archE1100ELNS1_3gpuE3ELNS1_3repE0EEENS1_30default_config_static_selectorELNS0_4arch9wavefront6targetE0EEEvT1_.kd
    .uniform_work_group_size: 1
    .uses_dynamic_stack: false
    .vgpr_count:     68
    .vgpr_spill_count: 0
    .wavefront_size: 32
    .workgroup_processor_mode: 1
  - .args:
      - .offset:         0
        .size:           120
        .value_kind:     by_value
    .group_segment_fixed_size: 0
    .kernarg_segment_align: 8
    .kernarg_segment_size: 120
    .language:       OpenCL C
    .language_version:
      - 2
      - 0
    .max_flat_workgroup_size: 512
    .name:           _ZN7rocprim17ROCPRIM_400000_NS6detail17trampoline_kernelINS0_14default_configENS1_25partition_config_selectorILNS1_17partition_subalgoE9EllbEEZZNS1_14partition_implILS5_9ELb0ES3_jPlS8_PNS0_10empty_typeENS0_5tupleIJS8_S9_EEENSB_IJS8_SA_EEENS0_18inequality_wrapperIZN2at6native12_GLOBAL__N_124unique_dim_cuda_templateItEESt5tupleIJNSF_6TensorESK_SK_EERKSK_lbbbEUlllE0_EEPmJS9_EEE10hipError_tPvRmT3_T4_T5_T6_T7_T9_mT8_P12ihipStream_tbDpT10_ENKUlT_T0_E_clISt17integral_constantIbLb1EES19_IbLb0EEEEDaS15_S16_EUlS15_E_NS1_11comp_targetILNS1_3genE8ELNS1_11target_archE1030ELNS1_3gpuE2ELNS1_3repE0EEENS1_30default_config_static_selectorELNS0_4arch9wavefront6targetE0EEEvT1_
    .private_segment_fixed_size: 0
    .sgpr_count:     0
    .sgpr_spill_count: 0
    .symbol:         _ZN7rocprim17ROCPRIM_400000_NS6detail17trampoline_kernelINS0_14default_configENS1_25partition_config_selectorILNS1_17partition_subalgoE9EllbEEZZNS1_14partition_implILS5_9ELb0ES3_jPlS8_PNS0_10empty_typeENS0_5tupleIJS8_S9_EEENSB_IJS8_SA_EEENS0_18inequality_wrapperIZN2at6native12_GLOBAL__N_124unique_dim_cuda_templateItEESt5tupleIJNSF_6TensorESK_SK_EERKSK_lbbbEUlllE0_EEPmJS9_EEE10hipError_tPvRmT3_T4_T5_T6_T7_T9_mT8_P12ihipStream_tbDpT10_ENKUlT_T0_E_clISt17integral_constantIbLb1EES19_IbLb0EEEEDaS15_S16_EUlS15_E_NS1_11comp_targetILNS1_3genE8ELNS1_11target_archE1030ELNS1_3gpuE2ELNS1_3repE0EEENS1_30default_config_static_selectorELNS0_4arch9wavefront6targetE0EEEvT1_.kd
    .uniform_work_group_size: 1
    .uses_dynamic_stack: false
    .vgpr_count:     0
    .vgpr_spill_count: 0
    .wavefront_size: 32
    .workgroup_processor_mode: 1
  - .args:
      - .offset:         0
        .size:           136
        .value_kind:     by_value
    .group_segment_fixed_size: 0
    .kernarg_segment_align: 8
    .kernarg_segment_size: 136
    .language:       OpenCL C
    .language_version:
      - 2
      - 0
    .max_flat_workgroup_size: 128
    .name:           _ZN7rocprim17ROCPRIM_400000_NS6detail17trampoline_kernelINS0_14default_configENS1_25partition_config_selectorILNS1_17partition_subalgoE9EllbEEZZNS1_14partition_implILS5_9ELb0ES3_jPlS8_PNS0_10empty_typeENS0_5tupleIJS8_S9_EEENSB_IJS8_SA_EEENS0_18inequality_wrapperIZN2at6native12_GLOBAL__N_124unique_dim_cuda_templateItEESt5tupleIJNSF_6TensorESK_SK_EERKSK_lbbbEUlllE0_EEPmJS9_EEE10hipError_tPvRmT3_T4_T5_T6_T7_T9_mT8_P12ihipStream_tbDpT10_ENKUlT_T0_E_clISt17integral_constantIbLb0EES19_IbLb1EEEEDaS15_S16_EUlS15_E_NS1_11comp_targetILNS1_3genE0ELNS1_11target_archE4294967295ELNS1_3gpuE0ELNS1_3repE0EEENS1_30default_config_static_selectorELNS0_4arch9wavefront6targetE0EEEvT1_
    .private_segment_fixed_size: 0
    .sgpr_count:     0
    .sgpr_spill_count: 0
    .symbol:         _ZN7rocprim17ROCPRIM_400000_NS6detail17trampoline_kernelINS0_14default_configENS1_25partition_config_selectorILNS1_17partition_subalgoE9EllbEEZZNS1_14partition_implILS5_9ELb0ES3_jPlS8_PNS0_10empty_typeENS0_5tupleIJS8_S9_EEENSB_IJS8_SA_EEENS0_18inequality_wrapperIZN2at6native12_GLOBAL__N_124unique_dim_cuda_templateItEESt5tupleIJNSF_6TensorESK_SK_EERKSK_lbbbEUlllE0_EEPmJS9_EEE10hipError_tPvRmT3_T4_T5_T6_T7_T9_mT8_P12ihipStream_tbDpT10_ENKUlT_T0_E_clISt17integral_constantIbLb0EES19_IbLb1EEEEDaS15_S16_EUlS15_E_NS1_11comp_targetILNS1_3genE0ELNS1_11target_archE4294967295ELNS1_3gpuE0ELNS1_3repE0EEENS1_30default_config_static_selectorELNS0_4arch9wavefront6targetE0EEEvT1_.kd
    .uniform_work_group_size: 1
    .uses_dynamic_stack: false
    .vgpr_count:     0
    .vgpr_spill_count: 0
    .wavefront_size: 32
    .workgroup_processor_mode: 1
  - .args:
      - .offset:         0
        .size:           136
        .value_kind:     by_value
    .group_segment_fixed_size: 0
    .kernarg_segment_align: 8
    .kernarg_segment_size: 136
    .language:       OpenCL C
    .language_version:
      - 2
      - 0
    .max_flat_workgroup_size: 512
    .name:           _ZN7rocprim17ROCPRIM_400000_NS6detail17trampoline_kernelINS0_14default_configENS1_25partition_config_selectorILNS1_17partition_subalgoE9EllbEEZZNS1_14partition_implILS5_9ELb0ES3_jPlS8_PNS0_10empty_typeENS0_5tupleIJS8_S9_EEENSB_IJS8_SA_EEENS0_18inequality_wrapperIZN2at6native12_GLOBAL__N_124unique_dim_cuda_templateItEESt5tupleIJNSF_6TensorESK_SK_EERKSK_lbbbEUlllE0_EEPmJS9_EEE10hipError_tPvRmT3_T4_T5_T6_T7_T9_mT8_P12ihipStream_tbDpT10_ENKUlT_T0_E_clISt17integral_constantIbLb0EES19_IbLb1EEEEDaS15_S16_EUlS15_E_NS1_11comp_targetILNS1_3genE5ELNS1_11target_archE942ELNS1_3gpuE9ELNS1_3repE0EEENS1_30default_config_static_selectorELNS0_4arch9wavefront6targetE0EEEvT1_
    .private_segment_fixed_size: 0
    .sgpr_count:     0
    .sgpr_spill_count: 0
    .symbol:         _ZN7rocprim17ROCPRIM_400000_NS6detail17trampoline_kernelINS0_14default_configENS1_25partition_config_selectorILNS1_17partition_subalgoE9EllbEEZZNS1_14partition_implILS5_9ELb0ES3_jPlS8_PNS0_10empty_typeENS0_5tupleIJS8_S9_EEENSB_IJS8_SA_EEENS0_18inequality_wrapperIZN2at6native12_GLOBAL__N_124unique_dim_cuda_templateItEESt5tupleIJNSF_6TensorESK_SK_EERKSK_lbbbEUlllE0_EEPmJS9_EEE10hipError_tPvRmT3_T4_T5_T6_T7_T9_mT8_P12ihipStream_tbDpT10_ENKUlT_T0_E_clISt17integral_constantIbLb0EES19_IbLb1EEEEDaS15_S16_EUlS15_E_NS1_11comp_targetILNS1_3genE5ELNS1_11target_archE942ELNS1_3gpuE9ELNS1_3repE0EEENS1_30default_config_static_selectorELNS0_4arch9wavefront6targetE0EEEvT1_.kd
    .uniform_work_group_size: 1
    .uses_dynamic_stack: false
    .vgpr_count:     0
    .vgpr_spill_count: 0
    .wavefront_size: 32
    .workgroup_processor_mode: 1
  - .args:
      - .offset:         0
        .size:           136
        .value_kind:     by_value
    .group_segment_fixed_size: 0
    .kernarg_segment_align: 8
    .kernarg_segment_size: 136
    .language:       OpenCL C
    .language_version:
      - 2
      - 0
    .max_flat_workgroup_size: 128
    .name:           _ZN7rocprim17ROCPRIM_400000_NS6detail17trampoline_kernelINS0_14default_configENS1_25partition_config_selectorILNS1_17partition_subalgoE9EllbEEZZNS1_14partition_implILS5_9ELb0ES3_jPlS8_PNS0_10empty_typeENS0_5tupleIJS8_S9_EEENSB_IJS8_SA_EEENS0_18inequality_wrapperIZN2at6native12_GLOBAL__N_124unique_dim_cuda_templateItEESt5tupleIJNSF_6TensorESK_SK_EERKSK_lbbbEUlllE0_EEPmJS9_EEE10hipError_tPvRmT3_T4_T5_T6_T7_T9_mT8_P12ihipStream_tbDpT10_ENKUlT_T0_E_clISt17integral_constantIbLb0EES19_IbLb1EEEEDaS15_S16_EUlS15_E_NS1_11comp_targetILNS1_3genE4ELNS1_11target_archE910ELNS1_3gpuE8ELNS1_3repE0EEENS1_30default_config_static_selectorELNS0_4arch9wavefront6targetE0EEEvT1_
    .private_segment_fixed_size: 0
    .sgpr_count:     0
    .sgpr_spill_count: 0
    .symbol:         _ZN7rocprim17ROCPRIM_400000_NS6detail17trampoline_kernelINS0_14default_configENS1_25partition_config_selectorILNS1_17partition_subalgoE9EllbEEZZNS1_14partition_implILS5_9ELb0ES3_jPlS8_PNS0_10empty_typeENS0_5tupleIJS8_S9_EEENSB_IJS8_SA_EEENS0_18inequality_wrapperIZN2at6native12_GLOBAL__N_124unique_dim_cuda_templateItEESt5tupleIJNSF_6TensorESK_SK_EERKSK_lbbbEUlllE0_EEPmJS9_EEE10hipError_tPvRmT3_T4_T5_T6_T7_T9_mT8_P12ihipStream_tbDpT10_ENKUlT_T0_E_clISt17integral_constantIbLb0EES19_IbLb1EEEEDaS15_S16_EUlS15_E_NS1_11comp_targetILNS1_3genE4ELNS1_11target_archE910ELNS1_3gpuE8ELNS1_3repE0EEENS1_30default_config_static_selectorELNS0_4arch9wavefront6targetE0EEEvT1_.kd
    .uniform_work_group_size: 1
    .uses_dynamic_stack: false
    .vgpr_count:     0
    .vgpr_spill_count: 0
    .wavefront_size: 32
    .workgroup_processor_mode: 1
  - .args:
      - .offset:         0
        .size:           136
        .value_kind:     by_value
    .group_segment_fixed_size: 0
    .kernarg_segment_align: 8
    .kernarg_segment_size: 136
    .language:       OpenCL C
    .language_version:
      - 2
      - 0
    .max_flat_workgroup_size: 128
    .name:           _ZN7rocprim17ROCPRIM_400000_NS6detail17trampoline_kernelINS0_14default_configENS1_25partition_config_selectorILNS1_17partition_subalgoE9EllbEEZZNS1_14partition_implILS5_9ELb0ES3_jPlS8_PNS0_10empty_typeENS0_5tupleIJS8_S9_EEENSB_IJS8_SA_EEENS0_18inequality_wrapperIZN2at6native12_GLOBAL__N_124unique_dim_cuda_templateItEESt5tupleIJNSF_6TensorESK_SK_EERKSK_lbbbEUlllE0_EEPmJS9_EEE10hipError_tPvRmT3_T4_T5_T6_T7_T9_mT8_P12ihipStream_tbDpT10_ENKUlT_T0_E_clISt17integral_constantIbLb0EES19_IbLb1EEEEDaS15_S16_EUlS15_E_NS1_11comp_targetILNS1_3genE3ELNS1_11target_archE908ELNS1_3gpuE7ELNS1_3repE0EEENS1_30default_config_static_selectorELNS0_4arch9wavefront6targetE0EEEvT1_
    .private_segment_fixed_size: 0
    .sgpr_count:     0
    .sgpr_spill_count: 0
    .symbol:         _ZN7rocprim17ROCPRIM_400000_NS6detail17trampoline_kernelINS0_14default_configENS1_25partition_config_selectorILNS1_17partition_subalgoE9EllbEEZZNS1_14partition_implILS5_9ELb0ES3_jPlS8_PNS0_10empty_typeENS0_5tupleIJS8_S9_EEENSB_IJS8_SA_EEENS0_18inequality_wrapperIZN2at6native12_GLOBAL__N_124unique_dim_cuda_templateItEESt5tupleIJNSF_6TensorESK_SK_EERKSK_lbbbEUlllE0_EEPmJS9_EEE10hipError_tPvRmT3_T4_T5_T6_T7_T9_mT8_P12ihipStream_tbDpT10_ENKUlT_T0_E_clISt17integral_constantIbLb0EES19_IbLb1EEEEDaS15_S16_EUlS15_E_NS1_11comp_targetILNS1_3genE3ELNS1_11target_archE908ELNS1_3gpuE7ELNS1_3repE0EEENS1_30default_config_static_selectorELNS0_4arch9wavefront6targetE0EEEvT1_.kd
    .uniform_work_group_size: 1
    .uses_dynamic_stack: false
    .vgpr_count:     0
    .vgpr_spill_count: 0
    .wavefront_size: 32
    .workgroup_processor_mode: 1
  - .args:
      - .offset:         0
        .size:           136
        .value_kind:     by_value
    .group_segment_fixed_size: 0
    .kernarg_segment_align: 8
    .kernarg_segment_size: 136
    .language:       OpenCL C
    .language_version:
      - 2
      - 0
    .max_flat_workgroup_size: 192
    .name:           _ZN7rocprim17ROCPRIM_400000_NS6detail17trampoline_kernelINS0_14default_configENS1_25partition_config_selectorILNS1_17partition_subalgoE9EllbEEZZNS1_14partition_implILS5_9ELb0ES3_jPlS8_PNS0_10empty_typeENS0_5tupleIJS8_S9_EEENSB_IJS8_SA_EEENS0_18inequality_wrapperIZN2at6native12_GLOBAL__N_124unique_dim_cuda_templateItEESt5tupleIJNSF_6TensorESK_SK_EERKSK_lbbbEUlllE0_EEPmJS9_EEE10hipError_tPvRmT3_T4_T5_T6_T7_T9_mT8_P12ihipStream_tbDpT10_ENKUlT_T0_E_clISt17integral_constantIbLb0EES19_IbLb1EEEEDaS15_S16_EUlS15_E_NS1_11comp_targetILNS1_3genE2ELNS1_11target_archE906ELNS1_3gpuE6ELNS1_3repE0EEENS1_30default_config_static_selectorELNS0_4arch9wavefront6targetE0EEEvT1_
    .private_segment_fixed_size: 0
    .sgpr_count:     0
    .sgpr_spill_count: 0
    .symbol:         _ZN7rocprim17ROCPRIM_400000_NS6detail17trampoline_kernelINS0_14default_configENS1_25partition_config_selectorILNS1_17partition_subalgoE9EllbEEZZNS1_14partition_implILS5_9ELb0ES3_jPlS8_PNS0_10empty_typeENS0_5tupleIJS8_S9_EEENSB_IJS8_SA_EEENS0_18inequality_wrapperIZN2at6native12_GLOBAL__N_124unique_dim_cuda_templateItEESt5tupleIJNSF_6TensorESK_SK_EERKSK_lbbbEUlllE0_EEPmJS9_EEE10hipError_tPvRmT3_T4_T5_T6_T7_T9_mT8_P12ihipStream_tbDpT10_ENKUlT_T0_E_clISt17integral_constantIbLb0EES19_IbLb1EEEEDaS15_S16_EUlS15_E_NS1_11comp_targetILNS1_3genE2ELNS1_11target_archE906ELNS1_3gpuE6ELNS1_3repE0EEENS1_30default_config_static_selectorELNS0_4arch9wavefront6targetE0EEEvT1_.kd
    .uniform_work_group_size: 1
    .uses_dynamic_stack: false
    .vgpr_count:     0
    .vgpr_spill_count: 0
    .wavefront_size: 32
    .workgroup_processor_mode: 1
  - .args:
      - .offset:         0
        .size:           136
        .value_kind:     by_value
    .group_segment_fixed_size: 0
    .kernarg_segment_align: 8
    .kernarg_segment_size: 136
    .language:       OpenCL C
    .language_version:
      - 2
      - 0
    .max_flat_workgroup_size: 384
    .name:           _ZN7rocprim17ROCPRIM_400000_NS6detail17trampoline_kernelINS0_14default_configENS1_25partition_config_selectorILNS1_17partition_subalgoE9EllbEEZZNS1_14partition_implILS5_9ELb0ES3_jPlS8_PNS0_10empty_typeENS0_5tupleIJS8_S9_EEENSB_IJS8_SA_EEENS0_18inequality_wrapperIZN2at6native12_GLOBAL__N_124unique_dim_cuda_templateItEESt5tupleIJNSF_6TensorESK_SK_EERKSK_lbbbEUlllE0_EEPmJS9_EEE10hipError_tPvRmT3_T4_T5_T6_T7_T9_mT8_P12ihipStream_tbDpT10_ENKUlT_T0_E_clISt17integral_constantIbLb0EES19_IbLb1EEEEDaS15_S16_EUlS15_E_NS1_11comp_targetILNS1_3genE10ELNS1_11target_archE1200ELNS1_3gpuE4ELNS1_3repE0EEENS1_30default_config_static_selectorELNS0_4arch9wavefront6targetE0EEEvT1_
    .private_segment_fixed_size: 0
    .sgpr_count:     0
    .sgpr_spill_count: 0
    .symbol:         _ZN7rocprim17ROCPRIM_400000_NS6detail17trampoline_kernelINS0_14default_configENS1_25partition_config_selectorILNS1_17partition_subalgoE9EllbEEZZNS1_14partition_implILS5_9ELb0ES3_jPlS8_PNS0_10empty_typeENS0_5tupleIJS8_S9_EEENSB_IJS8_SA_EEENS0_18inequality_wrapperIZN2at6native12_GLOBAL__N_124unique_dim_cuda_templateItEESt5tupleIJNSF_6TensorESK_SK_EERKSK_lbbbEUlllE0_EEPmJS9_EEE10hipError_tPvRmT3_T4_T5_T6_T7_T9_mT8_P12ihipStream_tbDpT10_ENKUlT_T0_E_clISt17integral_constantIbLb0EES19_IbLb1EEEEDaS15_S16_EUlS15_E_NS1_11comp_targetILNS1_3genE10ELNS1_11target_archE1200ELNS1_3gpuE4ELNS1_3repE0EEENS1_30default_config_static_selectorELNS0_4arch9wavefront6targetE0EEEvT1_.kd
    .uniform_work_group_size: 1
    .uses_dynamic_stack: false
    .vgpr_count:     0
    .vgpr_spill_count: 0
    .wavefront_size: 32
    .workgroup_processor_mode: 1
  - .args:
      - .offset:         0
        .size:           136
        .value_kind:     by_value
    .group_segment_fixed_size: 33804
    .kernarg_segment_align: 8
    .kernarg_segment_size: 136
    .language:       OpenCL C
    .language_version:
      - 2
      - 0
    .max_flat_workgroup_size: 512
    .name:           _ZN7rocprim17ROCPRIM_400000_NS6detail17trampoline_kernelINS0_14default_configENS1_25partition_config_selectorILNS1_17partition_subalgoE9EllbEEZZNS1_14partition_implILS5_9ELb0ES3_jPlS8_PNS0_10empty_typeENS0_5tupleIJS8_S9_EEENSB_IJS8_SA_EEENS0_18inequality_wrapperIZN2at6native12_GLOBAL__N_124unique_dim_cuda_templateItEESt5tupleIJNSF_6TensorESK_SK_EERKSK_lbbbEUlllE0_EEPmJS9_EEE10hipError_tPvRmT3_T4_T5_T6_T7_T9_mT8_P12ihipStream_tbDpT10_ENKUlT_T0_E_clISt17integral_constantIbLb0EES19_IbLb1EEEEDaS15_S16_EUlS15_E_NS1_11comp_targetILNS1_3genE9ELNS1_11target_archE1100ELNS1_3gpuE3ELNS1_3repE0EEENS1_30default_config_static_selectorELNS0_4arch9wavefront6targetE0EEEvT1_
    .private_segment_fixed_size: 0
    .sgpr_count:     42
    .sgpr_spill_count: 0
    .symbol:         _ZN7rocprim17ROCPRIM_400000_NS6detail17trampoline_kernelINS0_14default_configENS1_25partition_config_selectorILNS1_17partition_subalgoE9EllbEEZZNS1_14partition_implILS5_9ELb0ES3_jPlS8_PNS0_10empty_typeENS0_5tupleIJS8_S9_EEENSB_IJS8_SA_EEENS0_18inequality_wrapperIZN2at6native12_GLOBAL__N_124unique_dim_cuda_templateItEESt5tupleIJNSF_6TensorESK_SK_EERKSK_lbbbEUlllE0_EEPmJS9_EEE10hipError_tPvRmT3_T4_T5_T6_T7_T9_mT8_P12ihipStream_tbDpT10_ENKUlT_T0_E_clISt17integral_constantIbLb0EES19_IbLb1EEEEDaS15_S16_EUlS15_E_NS1_11comp_targetILNS1_3genE9ELNS1_11target_archE1100ELNS1_3gpuE3ELNS1_3repE0EEENS1_30default_config_static_selectorELNS0_4arch9wavefront6targetE0EEEvT1_.kd
    .uniform_work_group_size: 1
    .uses_dynamic_stack: false
    .vgpr_count:     68
    .vgpr_spill_count: 0
    .wavefront_size: 32
    .workgroup_processor_mode: 1
  - .args:
      - .offset:         0
        .size:           136
        .value_kind:     by_value
    .group_segment_fixed_size: 0
    .kernarg_segment_align: 8
    .kernarg_segment_size: 136
    .language:       OpenCL C
    .language_version:
      - 2
      - 0
    .max_flat_workgroup_size: 512
    .name:           _ZN7rocprim17ROCPRIM_400000_NS6detail17trampoline_kernelINS0_14default_configENS1_25partition_config_selectorILNS1_17partition_subalgoE9EllbEEZZNS1_14partition_implILS5_9ELb0ES3_jPlS8_PNS0_10empty_typeENS0_5tupleIJS8_S9_EEENSB_IJS8_SA_EEENS0_18inequality_wrapperIZN2at6native12_GLOBAL__N_124unique_dim_cuda_templateItEESt5tupleIJNSF_6TensorESK_SK_EERKSK_lbbbEUlllE0_EEPmJS9_EEE10hipError_tPvRmT3_T4_T5_T6_T7_T9_mT8_P12ihipStream_tbDpT10_ENKUlT_T0_E_clISt17integral_constantIbLb0EES19_IbLb1EEEEDaS15_S16_EUlS15_E_NS1_11comp_targetILNS1_3genE8ELNS1_11target_archE1030ELNS1_3gpuE2ELNS1_3repE0EEENS1_30default_config_static_selectorELNS0_4arch9wavefront6targetE0EEEvT1_
    .private_segment_fixed_size: 0
    .sgpr_count:     0
    .sgpr_spill_count: 0
    .symbol:         _ZN7rocprim17ROCPRIM_400000_NS6detail17trampoline_kernelINS0_14default_configENS1_25partition_config_selectorILNS1_17partition_subalgoE9EllbEEZZNS1_14partition_implILS5_9ELb0ES3_jPlS8_PNS0_10empty_typeENS0_5tupleIJS8_S9_EEENSB_IJS8_SA_EEENS0_18inequality_wrapperIZN2at6native12_GLOBAL__N_124unique_dim_cuda_templateItEESt5tupleIJNSF_6TensorESK_SK_EERKSK_lbbbEUlllE0_EEPmJS9_EEE10hipError_tPvRmT3_T4_T5_T6_T7_T9_mT8_P12ihipStream_tbDpT10_ENKUlT_T0_E_clISt17integral_constantIbLb0EES19_IbLb1EEEEDaS15_S16_EUlS15_E_NS1_11comp_targetILNS1_3genE8ELNS1_11target_archE1030ELNS1_3gpuE2ELNS1_3repE0EEENS1_30default_config_static_selectorELNS0_4arch9wavefront6targetE0EEEvT1_.kd
    .uniform_work_group_size: 1
    .uses_dynamic_stack: false
    .vgpr_count:     0
    .vgpr_spill_count: 0
    .wavefront_size: 32
    .workgroup_processor_mode: 1
  - .args:
      - .offset:         0
        .size:           72
        .value_kind:     by_value
    .group_segment_fixed_size: 0
    .kernarg_segment_align: 8
    .kernarg_segment_size: 72
    .language:       OpenCL C
    .language_version:
      - 2
      - 0
    .max_flat_workgroup_size: 256
    .name:           _ZN7rocprim17ROCPRIM_400000_NS6detail17trampoline_kernelINS0_14default_configENS1_37merge_sort_block_sort_config_selectorIlNS0_10empty_typeEEEZNS1_21merge_sort_block_sortIS3_PlS8_PS5_S9_ZN2at6native12_GLOBAL__N_124unique_dim_cuda_templateIjEESt5tupleIJNSA_6TensorESF_SF_EERKSF_lbbbEUlllE_EE10hipError_tT0_T1_T2_T3_mRjT4_P12ihipStream_tbNS1_7vsmem_tEEUlT_E_NS1_11comp_targetILNS1_3genE0ELNS1_11target_archE4294967295ELNS1_3gpuE0ELNS1_3repE0EEENS1_30default_config_static_selectorELNS0_4arch9wavefront6targetE0EEEvSM_
    .private_segment_fixed_size: 0
    .sgpr_count:     0
    .sgpr_spill_count: 0
    .symbol:         _ZN7rocprim17ROCPRIM_400000_NS6detail17trampoline_kernelINS0_14default_configENS1_37merge_sort_block_sort_config_selectorIlNS0_10empty_typeEEEZNS1_21merge_sort_block_sortIS3_PlS8_PS5_S9_ZN2at6native12_GLOBAL__N_124unique_dim_cuda_templateIjEESt5tupleIJNSA_6TensorESF_SF_EERKSF_lbbbEUlllE_EE10hipError_tT0_T1_T2_T3_mRjT4_P12ihipStream_tbNS1_7vsmem_tEEUlT_E_NS1_11comp_targetILNS1_3genE0ELNS1_11target_archE4294967295ELNS1_3gpuE0ELNS1_3repE0EEENS1_30default_config_static_selectorELNS0_4arch9wavefront6targetE0EEEvSM_.kd
    .uniform_work_group_size: 1
    .uses_dynamic_stack: false
    .vgpr_count:     0
    .vgpr_spill_count: 0
    .wavefront_size: 32
    .workgroup_processor_mode: 1
  - .args:
      - .offset:         0
        .size:           72
        .value_kind:     by_value
    .group_segment_fixed_size: 0
    .kernarg_segment_align: 8
    .kernarg_segment_size: 72
    .language:       OpenCL C
    .language_version:
      - 2
      - 0
    .max_flat_workgroup_size: 256
    .name:           _ZN7rocprim17ROCPRIM_400000_NS6detail17trampoline_kernelINS0_14default_configENS1_37merge_sort_block_sort_config_selectorIlNS0_10empty_typeEEEZNS1_21merge_sort_block_sortIS3_PlS8_PS5_S9_ZN2at6native12_GLOBAL__N_124unique_dim_cuda_templateIjEESt5tupleIJNSA_6TensorESF_SF_EERKSF_lbbbEUlllE_EE10hipError_tT0_T1_T2_T3_mRjT4_P12ihipStream_tbNS1_7vsmem_tEEUlT_E_NS1_11comp_targetILNS1_3genE5ELNS1_11target_archE942ELNS1_3gpuE9ELNS1_3repE0EEENS1_30default_config_static_selectorELNS0_4arch9wavefront6targetE0EEEvSM_
    .private_segment_fixed_size: 0
    .sgpr_count:     0
    .sgpr_spill_count: 0
    .symbol:         _ZN7rocprim17ROCPRIM_400000_NS6detail17trampoline_kernelINS0_14default_configENS1_37merge_sort_block_sort_config_selectorIlNS0_10empty_typeEEEZNS1_21merge_sort_block_sortIS3_PlS8_PS5_S9_ZN2at6native12_GLOBAL__N_124unique_dim_cuda_templateIjEESt5tupleIJNSA_6TensorESF_SF_EERKSF_lbbbEUlllE_EE10hipError_tT0_T1_T2_T3_mRjT4_P12ihipStream_tbNS1_7vsmem_tEEUlT_E_NS1_11comp_targetILNS1_3genE5ELNS1_11target_archE942ELNS1_3gpuE9ELNS1_3repE0EEENS1_30default_config_static_selectorELNS0_4arch9wavefront6targetE0EEEvSM_.kd
    .uniform_work_group_size: 1
    .uses_dynamic_stack: false
    .vgpr_count:     0
    .vgpr_spill_count: 0
    .wavefront_size: 32
    .workgroup_processor_mode: 1
  - .args:
      - .offset:         0
        .size:           72
        .value_kind:     by_value
    .group_segment_fixed_size: 0
    .kernarg_segment_align: 8
    .kernarg_segment_size: 72
    .language:       OpenCL C
    .language_version:
      - 2
      - 0
    .max_flat_workgroup_size: 256
    .name:           _ZN7rocprim17ROCPRIM_400000_NS6detail17trampoline_kernelINS0_14default_configENS1_37merge_sort_block_sort_config_selectorIlNS0_10empty_typeEEEZNS1_21merge_sort_block_sortIS3_PlS8_PS5_S9_ZN2at6native12_GLOBAL__N_124unique_dim_cuda_templateIjEESt5tupleIJNSA_6TensorESF_SF_EERKSF_lbbbEUlllE_EE10hipError_tT0_T1_T2_T3_mRjT4_P12ihipStream_tbNS1_7vsmem_tEEUlT_E_NS1_11comp_targetILNS1_3genE4ELNS1_11target_archE910ELNS1_3gpuE8ELNS1_3repE0EEENS1_30default_config_static_selectorELNS0_4arch9wavefront6targetE0EEEvSM_
    .private_segment_fixed_size: 0
    .sgpr_count:     0
    .sgpr_spill_count: 0
    .symbol:         _ZN7rocprim17ROCPRIM_400000_NS6detail17trampoline_kernelINS0_14default_configENS1_37merge_sort_block_sort_config_selectorIlNS0_10empty_typeEEEZNS1_21merge_sort_block_sortIS3_PlS8_PS5_S9_ZN2at6native12_GLOBAL__N_124unique_dim_cuda_templateIjEESt5tupleIJNSA_6TensorESF_SF_EERKSF_lbbbEUlllE_EE10hipError_tT0_T1_T2_T3_mRjT4_P12ihipStream_tbNS1_7vsmem_tEEUlT_E_NS1_11comp_targetILNS1_3genE4ELNS1_11target_archE910ELNS1_3gpuE8ELNS1_3repE0EEENS1_30default_config_static_selectorELNS0_4arch9wavefront6targetE0EEEvSM_.kd
    .uniform_work_group_size: 1
    .uses_dynamic_stack: false
    .vgpr_count:     0
    .vgpr_spill_count: 0
    .wavefront_size: 32
    .workgroup_processor_mode: 1
  - .args:
      - .offset:         0
        .size:           72
        .value_kind:     by_value
    .group_segment_fixed_size: 0
    .kernarg_segment_align: 8
    .kernarg_segment_size: 72
    .language:       OpenCL C
    .language_version:
      - 2
      - 0
    .max_flat_workgroup_size: 256
    .name:           _ZN7rocprim17ROCPRIM_400000_NS6detail17trampoline_kernelINS0_14default_configENS1_37merge_sort_block_sort_config_selectorIlNS0_10empty_typeEEEZNS1_21merge_sort_block_sortIS3_PlS8_PS5_S9_ZN2at6native12_GLOBAL__N_124unique_dim_cuda_templateIjEESt5tupleIJNSA_6TensorESF_SF_EERKSF_lbbbEUlllE_EE10hipError_tT0_T1_T2_T3_mRjT4_P12ihipStream_tbNS1_7vsmem_tEEUlT_E_NS1_11comp_targetILNS1_3genE3ELNS1_11target_archE908ELNS1_3gpuE7ELNS1_3repE0EEENS1_30default_config_static_selectorELNS0_4arch9wavefront6targetE0EEEvSM_
    .private_segment_fixed_size: 0
    .sgpr_count:     0
    .sgpr_spill_count: 0
    .symbol:         _ZN7rocprim17ROCPRIM_400000_NS6detail17trampoline_kernelINS0_14default_configENS1_37merge_sort_block_sort_config_selectorIlNS0_10empty_typeEEEZNS1_21merge_sort_block_sortIS3_PlS8_PS5_S9_ZN2at6native12_GLOBAL__N_124unique_dim_cuda_templateIjEESt5tupleIJNSA_6TensorESF_SF_EERKSF_lbbbEUlllE_EE10hipError_tT0_T1_T2_T3_mRjT4_P12ihipStream_tbNS1_7vsmem_tEEUlT_E_NS1_11comp_targetILNS1_3genE3ELNS1_11target_archE908ELNS1_3gpuE7ELNS1_3repE0EEENS1_30default_config_static_selectorELNS0_4arch9wavefront6targetE0EEEvSM_.kd
    .uniform_work_group_size: 1
    .uses_dynamic_stack: false
    .vgpr_count:     0
    .vgpr_spill_count: 0
    .wavefront_size: 32
    .workgroup_processor_mode: 1
  - .args:
      - .offset:         0
        .size:           72
        .value_kind:     by_value
    .group_segment_fixed_size: 0
    .kernarg_segment_align: 8
    .kernarg_segment_size: 72
    .language:       OpenCL C
    .language_version:
      - 2
      - 0
    .max_flat_workgroup_size: 256
    .name:           _ZN7rocprim17ROCPRIM_400000_NS6detail17trampoline_kernelINS0_14default_configENS1_37merge_sort_block_sort_config_selectorIlNS0_10empty_typeEEEZNS1_21merge_sort_block_sortIS3_PlS8_PS5_S9_ZN2at6native12_GLOBAL__N_124unique_dim_cuda_templateIjEESt5tupleIJNSA_6TensorESF_SF_EERKSF_lbbbEUlllE_EE10hipError_tT0_T1_T2_T3_mRjT4_P12ihipStream_tbNS1_7vsmem_tEEUlT_E_NS1_11comp_targetILNS1_3genE2ELNS1_11target_archE906ELNS1_3gpuE6ELNS1_3repE0EEENS1_30default_config_static_selectorELNS0_4arch9wavefront6targetE0EEEvSM_
    .private_segment_fixed_size: 0
    .sgpr_count:     0
    .sgpr_spill_count: 0
    .symbol:         _ZN7rocprim17ROCPRIM_400000_NS6detail17trampoline_kernelINS0_14default_configENS1_37merge_sort_block_sort_config_selectorIlNS0_10empty_typeEEEZNS1_21merge_sort_block_sortIS3_PlS8_PS5_S9_ZN2at6native12_GLOBAL__N_124unique_dim_cuda_templateIjEESt5tupleIJNSA_6TensorESF_SF_EERKSF_lbbbEUlllE_EE10hipError_tT0_T1_T2_T3_mRjT4_P12ihipStream_tbNS1_7vsmem_tEEUlT_E_NS1_11comp_targetILNS1_3genE2ELNS1_11target_archE906ELNS1_3gpuE6ELNS1_3repE0EEENS1_30default_config_static_selectorELNS0_4arch9wavefront6targetE0EEEvSM_.kd
    .uniform_work_group_size: 1
    .uses_dynamic_stack: false
    .vgpr_count:     0
    .vgpr_spill_count: 0
    .wavefront_size: 32
    .workgroup_processor_mode: 1
  - .args:
      - .offset:         0
        .size:           72
        .value_kind:     by_value
    .group_segment_fixed_size: 0
    .kernarg_segment_align: 8
    .kernarg_segment_size: 72
    .language:       OpenCL C
    .language_version:
      - 2
      - 0
    .max_flat_workgroup_size: 256
    .name:           _ZN7rocprim17ROCPRIM_400000_NS6detail17trampoline_kernelINS0_14default_configENS1_37merge_sort_block_sort_config_selectorIlNS0_10empty_typeEEEZNS1_21merge_sort_block_sortIS3_PlS8_PS5_S9_ZN2at6native12_GLOBAL__N_124unique_dim_cuda_templateIjEESt5tupleIJNSA_6TensorESF_SF_EERKSF_lbbbEUlllE_EE10hipError_tT0_T1_T2_T3_mRjT4_P12ihipStream_tbNS1_7vsmem_tEEUlT_E_NS1_11comp_targetILNS1_3genE10ELNS1_11target_archE1201ELNS1_3gpuE5ELNS1_3repE0EEENS1_30default_config_static_selectorELNS0_4arch9wavefront6targetE0EEEvSM_
    .private_segment_fixed_size: 0
    .sgpr_count:     0
    .sgpr_spill_count: 0
    .symbol:         _ZN7rocprim17ROCPRIM_400000_NS6detail17trampoline_kernelINS0_14default_configENS1_37merge_sort_block_sort_config_selectorIlNS0_10empty_typeEEEZNS1_21merge_sort_block_sortIS3_PlS8_PS5_S9_ZN2at6native12_GLOBAL__N_124unique_dim_cuda_templateIjEESt5tupleIJNSA_6TensorESF_SF_EERKSF_lbbbEUlllE_EE10hipError_tT0_T1_T2_T3_mRjT4_P12ihipStream_tbNS1_7vsmem_tEEUlT_E_NS1_11comp_targetILNS1_3genE10ELNS1_11target_archE1201ELNS1_3gpuE5ELNS1_3repE0EEENS1_30default_config_static_selectorELNS0_4arch9wavefront6targetE0EEEvSM_.kd
    .uniform_work_group_size: 1
    .uses_dynamic_stack: false
    .vgpr_count:     0
    .vgpr_spill_count: 0
    .wavefront_size: 32
    .workgroup_processor_mode: 1
  - .args:
      - .offset:         0
        .size:           72
        .value_kind:     by_value
    .group_segment_fixed_size: 0
    .kernarg_segment_align: 8
    .kernarg_segment_size: 72
    .language:       OpenCL C
    .language_version:
      - 2
      - 0
    .max_flat_workgroup_size: 512
    .name:           _ZN7rocprim17ROCPRIM_400000_NS6detail17trampoline_kernelINS0_14default_configENS1_37merge_sort_block_sort_config_selectorIlNS0_10empty_typeEEEZNS1_21merge_sort_block_sortIS3_PlS8_PS5_S9_ZN2at6native12_GLOBAL__N_124unique_dim_cuda_templateIjEESt5tupleIJNSA_6TensorESF_SF_EERKSF_lbbbEUlllE_EE10hipError_tT0_T1_T2_T3_mRjT4_P12ihipStream_tbNS1_7vsmem_tEEUlT_E_NS1_11comp_targetILNS1_3genE10ELNS1_11target_archE1200ELNS1_3gpuE4ELNS1_3repE0EEENS1_30default_config_static_selectorELNS0_4arch9wavefront6targetE0EEEvSM_
    .private_segment_fixed_size: 0
    .sgpr_count:     0
    .sgpr_spill_count: 0
    .symbol:         _ZN7rocprim17ROCPRIM_400000_NS6detail17trampoline_kernelINS0_14default_configENS1_37merge_sort_block_sort_config_selectorIlNS0_10empty_typeEEEZNS1_21merge_sort_block_sortIS3_PlS8_PS5_S9_ZN2at6native12_GLOBAL__N_124unique_dim_cuda_templateIjEESt5tupleIJNSA_6TensorESF_SF_EERKSF_lbbbEUlllE_EE10hipError_tT0_T1_T2_T3_mRjT4_P12ihipStream_tbNS1_7vsmem_tEEUlT_E_NS1_11comp_targetILNS1_3genE10ELNS1_11target_archE1200ELNS1_3gpuE4ELNS1_3repE0EEENS1_30default_config_static_selectorELNS0_4arch9wavefront6targetE0EEEvSM_.kd
    .uniform_work_group_size: 1
    .uses_dynamic_stack: false
    .vgpr_count:     0
    .vgpr_spill_count: 0
    .wavefront_size: 32
    .workgroup_processor_mode: 1
  - .args:
      - .offset:         0
        .size:           72
        .value_kind:     by_value
      - .offset:         72
        .size:           4
        .value_kind:     hidden_block_count_x
      - .offset:         76
        .size:           4
        .value_kind:     hidden_block_count_y
      - .offset:         80
        .size:           4
        .value_kind:     hidden_block_count_z
      - .offset:         84
        .size:           2
        .value_kind:     hidden_group_size_x
      - .offset:         86
        .size:           2
        .value_kind:     hidden_group_size_y
      - .offset:         88
        .size:           2
        .value_kind:     hidden_group_size_z
      - .offset:         90
        .size:           2
        .value_kind:     hidden_remainder_x
      - .offset:         92
        .size:           2
        .value_kind:     hidden_remainder_y
      - .offset:         94
        .size:           2
        .value_kind:     hidden_remainder_z
      - .offset:         112
        .size:           8
        .value_kind:     hidden_global_offset_x
      - .offset:         120
        .size:           8
        .value_kind:     hidden_global_offset_y
      - .offset:         128
        .size:           8
        .value_kind:     hidden_global_offset_z
      - .offset:         136
        .size:           2
        .value_kind:     hidden_grid_dims
    .group_segment_fixed_size: 8448
    .kernarg_segment_align: 8
    .kernarg_segment_size: 328
    .language:       OpenCL C
    .language_version:
      - 2
      - 0
    .max_flat_workgroup_size: 256
    .name:           _ZN7rocprim17ROCPRIM_400000_NS6detail17trampoline_kernelINS0_14default_configENS1_37merge_sort_block_sort_config_selectorIlNS0_10empty_typeEEEZNS1_21merge_sort_block_sortIS3_PlS8_PS5_S9_ZN2at6native12_GLOBAL__N_124unique_dim_cuda_templateIjEESt5tupleIJNSA_6TensorESF_SF_EERKSF_lbbbEUlllE_EE10hipError_tT0_T1_T2_T3_mRjT4_P12ihipStream_tbNS1_7vsmem_tEEUlT_E_NS1_11comp_targetILNS1_3genE9ELNS1_11target_archE1100ELNS1_3gpuE3ELNS1_3repE0EEENS1_30default_config_static_selectorELNS0_4arch9wavefront6targetE0EEEvSM_
    .private_segment_fixed_size: 0
    .sgpr_count:     34
    .sgpr_spill_count: 0
    .symbol:         _ZN7rocprim17ROCPRIM_400000_NS6detail17trampoline_kernelINS0_14default_configENS1_37merge_sort_block_sort_config_selectorIlNS0_10empty_typeEEEZNS1_21merge_sort_block_sortIS3_PlS8_PS5_S9_ZN2at6native12_GLOBAL__N_124unique_dim_cuda_templateIjEESt5tupleIJNSA_6TensorESF_SF_EERKSF_lbbbEUlllE_EE10hipError_tT0_T1_T2_T3_mRjT4_P12ihipStream_tbNS1_7vsmem_tEEUlT_E_NS1_11comp_targetILNS1_3genE9ELNS1_11target_archE1100ELNS1_3gpuE3ELNS1_3repE0EEENS1_30default_config_static_selectorELNS0_4arch9wavefront6targetE0EEEvSM_.kd
    .uniform_work_group_size: 1
    .uses_dynamic_stack: false
    .vgpr_count:     49
    .vgpr_spill_count: 0
    .wavefront_size: 32
    .workgroup_processor_mode: 1
  - .args:
      - .offset:         0
        .size:           72
        .value_kind:     by_value
    .group_segment_fixed_size: 0
    .kernarg_segment_align: 8
    .kernarg_segment_size: 72
    .language:       OpenCL C
    .language_version:
      - 2
      - 0
    .max_flat_workgroup_size: 256
    .name:           _ZN7rocprim17ROCPRIM_400000_NS6detail17trampoline_kernelINS0_14default_configENS1_37merge_sort_block_sort_config_selectorIlNS0_10empty_typeEEEZNS1_21merge_sort_block_sortIS3_PlS8_PS5_S9_ZN2at6native12_GLOBAL__N_124unique_dim_cuda_templateIjEESt5tupleIJNSA_6TensorESF_SF_EERKSF_lbbbEUlllE_EE10hipError_tT0_T1_T2_T3_mRjT4_P12ihipStream_tbNS1_7vsmem_tEEUlT_E_NS1_11comp_targetILNS1_3genE8ELNS1_11target_archE1030ELNS1_3gpuE2ELNS1_3repE0EEENS1_30default_config_static_selectorELNS0_4arch9wavefront6targetE0EEEvSM_
    .private_segment_fixed_size: 0
    .sgpr_count:     0
    .sgpr_spill_count: 0
    .symbol:         _ZN7rocprim17ROCPRIM_400000_NS6detail17trampoline_kernelINS0_14default_configENS1_37merge_sort_block_sort_config_selectorIlNS0_10empty_typeEEEZNS1_21merge_sort_block_sortIS3_PlS8_PS5_S9_ZN2at6native12_GLOBAL__N_124unique_dim_cuda_templateIjEESt5tupleIJNSA_6TensorESF_SF_EERKSF_lbbbEUlllE_EE10hipError_tT0_T1_T2_T3_mRjT4_P12ihipStream_tbNS1_7vsmem_tEEUlT_E_NS1_11comp_targetILNS1_3genE8ELNS1_11target_archE1030ELNS1_3gpuE2ELNS1_3repE0EEENS1_30default_config_static_selectorELNS0_4arch9wavefront6targetE0EEEvSM_.kd
    .uniform_work_group_size: 1
    .uses_dynamic_stack: false
    .vgpr_count:     0
    .vgpr_spill_count: 0
    .wavefront_size: 32
    .workgroup_processor_mode: 1
  - .args:
      - .offset:         0
        .size:           56
        .value_kind:     by_value
    .group_segment_fixed_size: 0
    .kernarg_segment_align: 8
    .kernarg_segment_size: 56
    .language:       OpenCL C
    .language_version:
      - 2
      - 0
    .max_flat_workgroup_size: 128
    .name:           _ZN7rocprim17ROCPRIM_400000_NS6detail17trampoline_kernelINS0_14default_configENS1_38merge_sort_block_merge_config_selectorIlNS0_10empty_typeEEEZZNS1_27merge_sort_block_merge_implIS3_PlPS5_mZN2at6native12_GLOBAL__N_124unique_dim_cuda_templateIjEESt5tupleIJNSA_6TensorESF_SF_EERKSF_lbbbEUlllE_EE10hipError_tT0_T1_T2_jT3_P12ihipStream_tbPNSt15iterator_traitsISL_E10value_typeEPNSR_ISM_E10value_typeEPSN_NS1_7vsmem_tEENKUlT_SL_SM_SN_E_clIS8_S8_S9_S9_EESK_S10_SL_SM_SN_EUlS10_E_NS1_11comp_targetILNS1_3genE0ELNS1_11target_archE4294967295ELNS1_3gpuE0ELNS1_3repE0EEENS1_48merge_mergepath_partition_config_static_selectorELNS0_4arch9wavefront6targetE0EEEvSM_
    .private_segment_fixed_size: 0
    .sgpr_count:     0
    .sgpr_spill_count: 0
    .symbol:         _ZN7rocprim17ROCPRIM_400000_NS6detail17trampoline_kernelINS0_14default_configENS1_38merge_sort_block_merge_config_selectorIlNS0_10empty_typeEEEZZNS1_27merge_sort_block_merge_implIS3_PlPS5_mZN2at6native12_GLOBAL__N_124unique_dim_cuda_templateIjEESt5tupleIJNSA_6TensorESF_SF_EERKSF_lbbbEUlllE_EE10hipError_tT0_T1_T2_jT3_P12ihipStream_tbPNSt15iterator_traitsISL_E10value_typeEPNSR_ISM_E10value_typeEPSN_NS1_7vsmem_tEENKUlT_SL_SM_SN_E_clIS8_S8_S9_S9_EESK_S10_SL_SM_SN_EUlS10_E_NS1_11comp_targetILNS1_3genE0ELNS1_11target_archE4294967295ELNS1_3gpuE0ELNS1_3repE0EEENS1_48merge_mergepath_partition_config_static_selectorELNS0_4arch9wavefront6targetE0EEEvSM_.kd
    .uniform_work_group_size: 1
    .uses_dynamic_stack: false
    .vgpr_count:     0
    .vgpr_spill_count: 0
    .wavefront_size: 32
    .workgroup_processor_mode: 1
  - .args:
      - .offset:         0
        .size:           56
        .value_kind:     by_value
    .group_segment_fixed_size: 0
    .kernarg_segment_align: 8
    .kernarg_segment_size: 56
    .language:       OpenCL C
    .language_version:
      - 2
      - 0
    .max_flat_workgroup_size: 128
    .name:           _ZN7rocprim17ROCPRIM_400000_NS6detail17trampoline_kernelINS0_14default_configENS1_38merge_sort_block_merge_config_selectorIlNS0_10empty_typeEEEZZNS1_27merge_sort_block_merge_implIS3_PlPS5_mZN2at6native12_GLOBAL__N_124unique_dim_cuda_templateIjEESt5tupleIJNSA_6TensorESF_SF_EERKSF_lbbbEUlllE_EE10hipError_tT0_T1_T2_jT3_P12ihipStream_tbPNSt15iterator_traitsISL_E10value_typeEPNSR_ISM_E10value_typeEPSN_NS1_7vsmem_tEENKUlT_SL_SM_SN_E_clIS8_S8_S9_S9_EESK_S10_SL_SM_SN_EUlS10_E_NS1_11comp_targetILNS1_3genE10ELNS1_11target_archE1201ELNS1_3gpuE5ELNS1_3repE0EEENS1_48merge_mergepath_partition_config_static_selectorELNS0_4arch9wavefront6targetE0EEEvSM_
    .private_segment_fixed_size: 0
    .sgpr_count:     0
    .sgpr_spill_count: 0
    .symbol:         _ZN7rocprim17ROCPRIM_400000_NS6detail17trampoline_kernelINS0_14default_configENS1_38merge_sort_block_merge_config_selectorIlNS0_10empty_typeEEEZZNS1_27merge_sort_block_merge_implIS3_PlPS5_mZN2at6native12_GLOBAL__N_124unique_dim_cuda_templateIjEESt5tupleIJNSA_6TensorESF_SF_EERKSF_lbbbEUlllE_EE10hipError_tT0_T1_T2_jT3_P12ihipStream_tbPNSt15iterator_traitsISL_E10value_typeEPNSR_ISM_E10value_typeEPSN_NS1_7vsmem_tEENKUlT_SL_SM_SN_E_clIS8_S8_S9_S9_EESK_S10_SL_SM_SN_EUlS10_E_NS1_11comp_targetILNS1_3genE10ELNS1_11target_archE1201ELNS1_3gpuE5ELNS1_3repE0EEENS1_48merge_mergepath_partition_config_static_selectorELNS0_4arch9wavefront6targetE0EEEvSM_.kd
    .uniform_work_group_size: 1
    .uses_dynamic_stack: false
    .vgpr_count:     0
    .vgpr_spill_count: 0
    .wavefront_size: 32
    .workgroup_processor_mode: 1
  - .args:
      - .offset:         0
        .size:           56
        .value_kind:     by_value
    .group_segment_fixed_size: 0
    .kernarg_segment_align: 8
    .kernarg_segment_size: 56
    .language:       OpenCL C
    .language_version:
      - 2
      - 0
    .max_flat_workgroup_size: 128
    .name:           _ZN7rocprim17ROCPRIM_400000_NS6detail17trampoline_kernelINS0_14default_configENS1_38merge_sort_block_merge_config_selectorIlNS0_10empty_typeEEEZZNS1_27merge_sort_block_merge_implIS3_PlPS5_mZN2at6native12_GLOBAL__N_124unique_dim_cuda_templateIjEESt5tupleIJNSA_6TensorESF_SF_EERKSF_lbbbEUlllE_EE10hipError_tT0_T1_T2_jT3_P12ihipStream_tbPNSt15iterator_traitsISL_E10value_typeEPNSR_ISM_E10value_typeEPSN_NS1_7vsmem_tEENKUlT_SL_SM_SN_E_clIS8_S8_S9_S9_EESK_S10_SL_SM_SN_EUlS10_E_NS1_11comp_targetILNS1_3genE5ELNS1_11target_archE942ELNS1_3gpuE9ELNS1_3repE0EEENS1_48merge_mergepath_partition_config_static_selectorELNS0_4arch9wavefront6targetE0EEEvSM_
    .private_segment_fixed_size: 0
    .sgpr_count:     0
    .sgpr_spill_count: 0
    .symbol:         _ZN7rocprim17ROCPRIM_400000_NS6detail17trampoline_kernelINS0_14default_configENS1_38merge_sort_block_merge_config_selectorIlNS0_10empty_typeEEEZZNS1_27merge_sort_block_merge_implIS3_PlPS5_mZN2at6native12_GLOBAL__N_124unique_dim_cuda_templateIjEESt5tupleIJNSA_6TensorESF_SF_EERKSF_lbbbEUlllE_EE10hipError_tT0_T1_T2_jT3_P12ihipStream_tbPNSt15iterator_traitsISL_E10value_typeEPNSR_ISM_E10value_typeEPSN_NS1_7vsmem_tEENKUlT_SL_SM_SN_E_clIS8_S8_S9_S9_EESK_S10_SL_SM_SN_EUlS10_E_NS1_11comp_targetILNS1_3genE5ELNS1_11target_archE942ELNS1_3gpuE9ELNS1_3repE0EEENS1_48merge_mergepath_partition_config_static_selectorELNS0_4arch9wavefront6targetE0EEEvSM_.kd
    .uniform_work_group_size: 1
    .uses_dynamic_stack: false
    .vgpr_count:     0
    .vgpr_spill_count: 0
    .wavefront_size: 32
    .workgroup_processor_mode: 1
  - .args:
      - .offset:         0
        .size:           56
        .value_kind:     by_value
    .group_segment_fixed_size: 0
    .kernarg_segment_align: 8
    .kernarg_segment_size: 56
    .language:       OpenCL C
    .language_version:
      - 2
      - 0
    .max_flat_workgroup_size: 128
    .name:           _ZN7rocprim17ROCPRIM_400000_NS6detail17trampoline_kernelINS0_14default_configENS1_38merge_sort_block_merge_config_selectorIlNS0_10empty_typeEEEZZNS1_27merge_sort_block_merge_implIS3_PlPS5_mZN2at6native12_GLOBAL__N_124unique_dim_cuda_templateIjEESt5tupleIJNSA_6TensorESF_SF_EERKSF_lbbbEUlllE_EE10hipError_tT0_T1_T2_jT3_P12ihipStream_tbPNSt15iterator_traitsISL_E10value_typeEPNSR_ISM_E10value_typeEPSN_NS1_7vsmem_tEENKUlT_SL_SM_SN_E_clIS8_S8_S9_S9_EESK_S10_SL_SM_SN_EUlS10_E_NS1_11comp_targetILNS1_3genE4ELNS1_11target_archE910ELNS1_3gpuE8ELNS1_3repE0EEENS1_48merge_mergepath_partition_config_static_selectorELNS0_4arch9wavefront6targetE0EEEvSM_
    .private_segment_fixed_size: 0
    .sgpr_count:     0
    .sgpr_spill_count: 0
    .symbol:         _ZN7rocprim17ROCPRIM_400000_NS6detail17trampoline_kernelINS0_14default_configENS1_38merge_sort_block_merge_config_selectorIlNS0_10empty_typeEEEZZNS1_27merge_sort_block_merge_implIS3_PlPS5_mZN2at6native12_GLOBAL__N_124unique_dim_cuda_templateIjEESt5tupleIJNSA_6TensorESF_SF_EERKSF_lbbbEUlllE_EE10hipError_tT0_T1_T2_jT3_P12ihipStream_tbPNSt15iterator_traitsISL_E10value_typeEPNSR_ISM_E10value_typeEPSN_NS1_7vsmem_tEENKUlT_SL_SM_SN_E_clIS8_S8_S9_S9_EESK_S10_SL_SM_SN_EUlS10_E_NS1_11comp_targetILNS1_3genE4ELNS1_11target_archE910ELNS1_3gpuE8ELNS1_3repE0EEENS1_48merge_mergepath_partition_config_static_selectorELNS0_4arch9wavefront6targetE0EEEvSM_.kd
    .uniform_work_group_size: 1
    .uses_dynamic_stack: false
    .vgpr_count:     0
    .vgpr_spill_count: 0
    .wavefront_size: 32
    .workgroup_processor_mode: 1
  - .args:
      - .offset:         0
        .size:           56
        .value_kind:     by_value
    .group_segment_fixed_size: 0
    .kernarg_segment_align: 8
    .kernarg_segment_size: 56
    .language:       OpenCL C
    .language_version:
      - 2
      - 0
    .max_flat_workgroup_size: 128
    .name:           _ZN7rocprim17ROCPRIM_400000_NS6detail17trampoline_kernelINS0_14default_configENS1_38merge_sort_block_merge_config_selectorIlNS0_10empty_typeEEEZZNS1_27merge_sort_block_merge_implIS3_PlPS5_mZN2at6native12_GLOBAL__N_124unique_dim_cuda_templateIjEESt5tupleIJNSA_6TensorESF_SF_EERKSF_lbbbEUlllE_EE10hipError_tT0_T1_T2_jT3_P12ihipStream_tbPNSt15iterator_traitsISL_E10value_typeEPNSR_ISM_E10value_typeEPSN_NS1_7vsmem_tEENKUlT_SL_SM_SN_E_clIS8_S8_S9_S9_EESK_S10_SL_SM_SN_EUlS10_E_NS1_11comp_targetILNS1_3genE3ELNS1_11target_archE908ELNS1_3gpuE7ELNS1_3repE0EEENS1_48merge_mergepath_partition_config_static_selectorELNS0_4arch9wavefront6targetE0EEEvSM_
    .private_segment_fixed_size: 0
    .sgpr_count:     0
    .sgpr_spill_count: 0
    .symbol:         _ZN7rocprim17ROCPRIM_400000_NS6detail17trampoline_kernelINS0_14default_configENS1_38merge_sort_block_merge_config_selectorIlNS0_10empty_typeEEEZZNS1_27merge_sort_block_merge_implIS3_PlPS5_mZN2at6native12_GLOBAL__N_124unique_dim_cuda_templateIjEESt5tupleIJNSA_6TensorESF_SF_EERKSF_lbbbEUlllE_EE10hipError_tT0_T1_T2_jT3_P12ihipStream_tbPNSt15iterator_traitsISL_E10value_typeEPNSR_ISM_E10value_typeEPSN_NS1_7vsmem_tEENKUlT_SL_SM_SN_E_clIS8_S8_S9_S9_EESK_S10_SL_SM_SN_EUlS10_E_NS1_11comp_targetILNS1_3genE3ELNS1_11target_archE908ELNS1_3gpuE7ELNS1_3repE0EEENS1_48merge_mergepath_partition_config_static_selectorELNS0_4arch9wavefront6targetE0EEEvSM_.kd
    .uniform_work_group_size: 1
    .uses_dynamic_stack: false
    .vgpr_count:     0
    .vgpr_spill_count: 0
    .wavefront_size: 32
    .workgroup_processor_mode: 1
  - .args:
      - .offset:         0
        .size:           56
        .value_kind:     by_value
    .group_segment_fixed_size: 0
    .kernarg_segment_align: 8
    .kernarg_segment_size: 56
    .language:       OpenCL C
    .language_version:
      - 2
      - 0
    .max_flat_workgroup_size: 128
    .name:           _ZN7rocprim17ROCPRIM_400000_NS6detail17trampoline_kernelINS0_14default_configENS1_38merge_sort_block_merge_config_selectorIlNS0_10empty_typeEEEZZNS1_27merge_sort_block_merge_implIS3_PlPS5_mZN2at6native12_GLOBAL__N_124unique_dim_cuda_templateIjEESt5tupleIJNSA_6TensorESF_SF_EERKSF_lbbbEUlllE_EE10hipError_tT0_T1_T2_jT3_P12ihipStream_tbPNSt15iterator_traitsISL_E10value_typeEPNSR_ISM_E10value_typeEPSN_NS1_7vsmem_tEENKUlT_SL_SM_SN_E_clIS8_S8_S9_S9_EESK_S10_SL_SM_SN_EUlS10_E_NS1_11comp_targetILNS1_3genE2ELNS1_11target_archE906ELNS1_3gpuE6ELNS1_3repE0EEENS1_48merge_mergepath_partition_config_static_selectorELNS0_4arch9wavefront6targetE0EEEvSM_
    .private_segment_fixed_size: 0
    .sgpr_count:     0
    .sgpr_spill_count: 0
    .symbol:         _ZN7rocprim17ROCPRIM_400000_NS6detail17trampoline_kernelINS0_14default_configENS1_38merge_sort_block_merge_config_selectorIlNS0_10empty_typeEEEZZNS1_27merge_sort_block_merge_implIS3_PlPS5_mZN2at6native12_GLOBAL__N_124unique_dim_cuda_templateIjEESt5tupleIJNSA_6TensorESF_SF_EERKSF_lbbbEUlllE_EE10hipError_tT0_T1_T2_jT3_P12ihipStream_tbPNSt15iterator_traitsISL_E10value_typeEPNSR_ISM_E10value_typeEPSN_NS1_7vsmem_tEENKUlT_SL_SM_SN_E_clIS8_S8_S9_S9_EESK_S10_SL_SM_SN_EUlS10_E_NS1_11comp_targetILNS1_3genE2ELNS1_11target_archE906ELNS1_3gpuE6ELNS1_3repE0EEENS1_48merge_mergepath_partition_config_static_selectorELNS0_4arch9wavefront6targetE0EEEvSM_.kd
    .uniform_work_group_size: 1
    .uses_dynamic_stack: false
    .vgpr_count:     0
    .vgpr_spill_count: 0
    .wavefront_size: 32
    .workgroup_processor_mode: 1
  - .args:
      - .offset:         0
        .size:           56
        .value_kind:     by_value
    .group_segment_fixed_size: 0
    .kernarg_segment_align: 8
    .kernarg_segment_size: 56
    .language:       OpenCL C
    .language_version:
      - 2
      - 0
    .max_flat_workgroup_size: 128
    .name:           _ZN7rocprim17ROCPRIM_400000_NS6detail17trampoline_kernelINS0_14default_configENS1_38merge_sort_block_merge_config_selectorIlNS0_10empty_typeEEEZZNS1_27merge_sort_block_merge_implIS3_PlPS5_mZN2at6native12_GLOBAL__N_124unique_dim_cuda_templateIjEESt5tupleIJNSA_6TensorESF_SF_EERKSF_lbbbEUlllE_EE10hipError_tT0_T1_T2_jT3_P12ihipStream_tbPNSt15iterator_traitsISL_E10value_typeEPNSR_ISM_E10value_typeEPSN_NS1_7vsmem_tEENKUlT_SL_SM_SN_E_clIS8_S8_S9_S9_EESK_S10_SL_SM_SN_EUlS10_E_NS1_11comp_targetILNS1_3genE9ELNS1_11target_archE1100ELNS1_3gpuE3ELNS1_3repE0EEENS1_48merge_mergepath_partition_config_static_selectorELNS0_4arch9wavefront6targetE0EEEvSM_
    .private_segment_fixed_size: 0
    .sgpr_count:     23
    .sgpr_spill_count: 0
    .symbol:         _ZN7rocprim17ROCPRIM_400000_NS6detail17trampoline_kernelINS0_14default_configENS1_38merge_sort_block_merge_config_selectorIlNS0_10empty_typeEEEZZNS1_27merge_sort_block_merge_implIS3_PlPS5_mZN2at6native12_GLOBAL__N_124unique_dim_cuda_templateIjEESt5tupleIJNSA_6TensorESF_SF_EERKSF_lbbbEUlllE_EE10hipError_tT0_T1_T2_jT3_P12ihipStream_tbPNSt15iterator_traitsISL_E10value_typeEPNSR_ISM_E10value_typeEPSN_NS1_7vsmem_tEENKUlT_SL_SM_SN_E_clIS8_S8_S9_S9_EESK_S10_SL_SM_SN_EUlS10_E_NS1_11comp_targetILNS1_3genE9ELNS1_11target_archE1100ELNS1_3gpuE3ELNS1_3repE0EEENS1_48merge_mergepath_partition_config_static_selectorELNS0_4arch9wavefront6targetE0EEEvSM_.kd
    .uniform_work_group_size: 1
    .uses_dynamic_stack: false
    .vgpr_count:     22
    .vgpr_spill_count: 0
    .wavefront_size: 32
    .workgroup_processor_mode: 1
  - .args:
      - .offset:         0
        .size:           56
        .value_kind:     by_value
    .group_segment_fixed_size: 0
    .kernarg_segment_align: 8
    .kernarg_segment_size: 56
    .language:       OpenCL C
    .language_version:
      - 2
      - 0
    .max_flat_workgroup_size: 128
    .name:           _ZN7rocprim17ROCPRIM_400000_NS6detail17trampoline_kernelINS0_14default_configENS1_38merge_sort_block_merge_config_selectorIlNS0_10empty_typeEEEZZNS1_27merge_sort_block_merge_implIS3_PlPS5_mZN2at6native12_GLOBAL__N_124unique_dim_cuda_templateIjEESt5tupleIJNSA_6TensorESF_SF_EERKSF_lbbbEUlllE_EE10hipError_tT0_T1_T2_jT3_P12ihipStream_tbPNSt15iterator_traitsISL_E10value_typeEPNSR_ISM_E10value_typeEPSN_NS1_7vsmem_tEENKUlT_SL_SM_SN_E_clIS8_S8_S9_S9_EESK_S10_SL_SM_SN_EUlS10_E_NS1_11comp_targetILNS1_3genE8ELNS1_11target_archE1030ELNS1_3gpuE2ELNS1_3repE0EEENS1_48merge_mergepath_partition_config_static_selectorELNS0_4arch9wavefront6targetE0EEEvSM_
    .private_segment_fixed_size: 0
    .sgpr_count:     0
    .sgpr_spill_count: 0
    .symbol:         _ZN7rocprim17ROCPRIM_400000_NS6detail17trampoline_kernelINS0_14default_configENS1_38merge_sort_block_merge_config_selectorIlNS0_10empty_typeEEEZZNS1_27merge_sort_block_merge_implIS3_PlPS5_mZN2at6native12_GLOBAL__N_124unique_dim_cuda_templateIjEESt5tupleIJNSA_6TensorESF_SF_EERKSF_lbbbEUlllE_EE10hipError_tT0_T1_T2_jT3_P12ihipStream_tbPNSt15iterator_traitsISL_E10value_typeEPNSR_ISM_E10value_typeEPSN_NS1_7vsmem_tEENKUlT_SL_SM_SN_E_clIS8_S8_S9_S9_EESK_S10_SL_SM_SN_EUlS10_E_NS1_11comp_targetILNS1_3genE8ELNS1_11target_archE1030ELNS1_3gpuE2ELNS1_3repE0EEENS1_48merge_mergepath_partition_config_static_selectorELNS0_4arch9wavefront6targetE0EEEvSM_.kd
    .uniform_work_group_size: 1
    .uses_dynamic_stack: false
    .vgpr_count:     0
    .vgpr_spill_count: 0
    .wavefront_size: 32
    .workgroup_processor_mode: 1
  - .args:
      - .offset:         0
        .size:           88
        .value_kind:     by_value
    .group_segment_fixed_size: 0
    .kernarg_segment_align: 8
    .kernarg_segment_size: 88
    .language:       OpenCL C
    .language_version:
      - 2
      - 0
    .max_flat_workgroup_size: 128
    .name:           _ZN7rocprim17ROCPRIM_400000_NS6detail17trampoline_kernelINS0_14default_configENS1_38merge_sort_block_merge_config_selectorIlNS0_10empty_typeEEEZZNS1_27merge_sort_block_merge_implIS3_PlPS5_mZN2at6native12_GLOBAL__N_124unique_dim_cuda_templateIjEESt5tupleIJNSA_6TensorESF_SF_EERKSF_lbbbEUlllE_EE10hipError_tT0_T1_T2_jT3_P12ihipStream_tbPNSt15iterator_traitsISL_E10value_typeEPNSR_ISM_E10value_typeEPSN_NS1_7vsmem_tEENKUlT_SL_SM_SN_E_clIS8_S8_S9_S9_EESK_S10_SL_SM_SN_EUlS10_E0_NS1_11comp_targetILNS1_3genE0ELNS1_11target_archE4294967295ELNS1_3gpuE0ELNS1_3repE0EEENS1_38merge_mergepath_config_static_selectorELNS0_4arch9wavefront6targetE0EEEvSM_
    .private_segment_fixed_size: 0
    .sgpr_count:     0
    .sgpr_spill_count: 0
    .symbol:         _ZN7rocprim17ROCPRIM_400000_NS6detail17trampoline_kernelINS0_14default_configENS1_38merge_sort_block_merge_config_selectorIlNS0_10empty_typeEEEZZNS1_27merge_sort_block_merge_implIS3_PlPS5_mZN2at6native12_GLOBAL__N_124unique_dim_cuda_templateIjEESt5tupleIJNSA_6TensorESF_SF_EERKSF_lbbbEUlllE_EE10hipError_tT0_T1_T2_jT3_P12ihipStream_tbPNSt15iterator_traitsISL_E10value_typeEPNSR_ISM_E10value_typeEPSN_NS1_7vsmem_tEENKUlT_SL_SM_SN_E_clIS8_S8_S9_S9_EESK_S10_SL_SM_SN_EUlS10_E0_NS1_11comp_targetILNS1_3genE0ELNS1_11target_archE4294967295ELNS1_3gpuE0ELNS1_3repE0EEENS1_38merge_mergepath_config_static_selectorELNS0_4arch9wavefront6targetE0EEEvSM_.kd
    .uniform_work_group_size: 1
    .uses_dynamic_stack: false
    .vgpr_count:     0
    .vgpr_spill_count: 0
    .wavefront_size: 32
    .workgroup_processor_mode: 1
  - .args:
      - .offset:         0
        .size:           88
        .value_kind:     by_value
    .group_segment_fixed_size: 0
    .kernarg_segment_align: 8
    .kernarg_segment_size: 88
    .language:       OpenCL C
    .language_version:
      - 2
      - 0
    .max_flat_workgroup_size: 512
    .name:           _ZN7rocprim17ROCPRIM_400000_NS6detail17trampoline_kernelINS0_14default_configENS1_38merge_sort_block_merge_config_selectorIlNS0_10empty_typeEEEZZNS1_27merge_sort_block_merge_implIS3_PlPS5_mZN2at6native12_GLOBAL__N_124unique_dim_cuda_templateIjEESt5tupleIJNSA_6TensorESF_SF_EERKSF_lbbbEUlllE_EE10hipError_tT0_T1_T2_jT3_P12ihipStream_tbPNSt15iterator_traitsISL_E10value_typeEPNSR_ISM_E10value_typeEPSN_NS1_7vsmem_tEENKUlT_SL_SM_SN_E_clIS8_S8_S9_S9_EESK_S10_SL_SM_SN_EUlS10_E0_NS1_11comp_targetILNS1_3genE10ELNS1_11target_archE1201ELNS1_3gpuE5ELNS1_3repE0EEENS1_38merge_mergepath_config_static_selectorELNS0_4arch9wavefront6targetE0EEEvSM_
    .private_segment_fixed_size: 0
    .sgpr_count:     0
    .sgpr_spill_count: 0
    .symbol:         _ZN7rocprim17ROCPRIM_400000_NS6detail17trampoline_kernelINS0_14default_configENS1_38merge_sort_block_merge_config_selectorIlNS0_10empty_typeEEEZZNS1_27merge_sort_block_merge_implIS3_PlPS5_mZN2at6native12_GLOBAL__N_124unique_dim_cuda_templateIjEESt5tupleIJNSA_6TensorESF_SF_EERKSF_lbbbEUlllE_EE10hipError_tT0_T1_T2_jT3_P12ihipStream_tbPNSt15iterator_traitsISL_E10value_typeEPNSR_ISM_E10value_typeEPSN_NS1_7vsmem_tEENKUlT_SL_SM_SN_E_clIS8_S8_S9_S9_EESK_S10_SL_SM_SN_EUlS10_E0_NS1_11comp_targetILNS1_3genE10ELNS1_11target_archE1201ELNS1_3gpuE5ELNS1_3repE0EEENS1_38merge_mergepath_config_static_selectorELNS0_4arch9wavefront6targetE0EEEvSM_.kd
    .uniform_work_group_size: 1
    .uses_dynamic_stack: false
    .vgpr_count:     0
    .vgpr_spill_count: 0
    .wavefront_size: 32
    .workgroup_processor_mode: 1
  - .args:
      - .offset:         0
        .size:           88
        .value_kind:     by_value
    .group_segment_fixed_size: 0
    .kernarg_segment_align: 8
    .kernarg_segment_size: 88
    .language:       OpenCL C
    .language_version:
      - 2
      - 0
    .max_flat_workgroup_size: 128
    .name:           _ZN7rocprim17ROCPRIM_400000_NS6detail17trampoline_kernelINS0_14default_configENS1_38merge_sort_block_merge_config_selectorIlNS0_10empty_typeEEEZZNS1_27merge_sort_block_merge_implIS3_PlPS5_mZN2at6native12_GLOBAL__N_124unique_dim_cuda_templateIjEESt5tupleIJNSA_6TensorESF_SF_EERKSF_lbbbEUlllE_EE10hipError_tT0_T1_T2_jT3_P12ihipStream_tbPNSt15iterator_traitsISL_E10value_typeEPNSR_ISM_E10value_typeEPSN_NS1_7vsmem_tEENKUlT_SL_SM_SN_E_clIS8_S8_S9_S9_EESK_S10_SL_SM_SN_EUlS10_E0_NS1_11comp_targetILNS1_3genE5ELNS1_11target_archE942ELNS1_3gpuE9ELNS1_3repE0EEENS1_38merge_mergepath_config_static_selectorELNS0_4arch9wavefront6targetE0EEEvSM_
    .private_segment_fixed_size: 0
    .sgpr_count:     0
    .sgpr_spill_count: 0
    .symbol:         _ZN7rocprim17ROCPRIM_400000_NS6detail17trampoline_kernelINS0_14default_configENS1_38merge_sort_block_merge_config_selectorIlNS0_10empty_typeEEEZZNS1_27merge_sort_block_merge_implIS3_PlPS5_mZN2at6native12_GLOBAL__N_124unique_dim_cuda_templateIjEESt5tupleIJNSA_6TensorESF_SF_EERKSF_lbbbEUlllE_EE10hipError_tT0_T1_T2_jT3_P12ihipStream_tbPNSt15iterator_traitsISL_E10value_typeEPNSR_ISM_E10value_typeEPSN_NS1_7vsmem_tEENKUlT_SL_SM_SN_E_clIS8_S8_S9_S9_EESK_S10_SL_SM_SN_EUlS10_E0_NS1_11comp_targetILNS1_3genE5ELNS1_11target_archE942ELNS1_3gpuE9ELNS1_3repE0EEENS1_38merge_mergepath_config_static_selectorELNS0_4arch9wavefront6targetE0EEEvSM_.kd
    .uniform_work_group_size: 1
    .uses_dynamic_stack: false
    .vgpr_count:     0
    .vgpr_spill_count: 0
    .wavefront_size: 32
    .workgroup_processor_mode: 1
  - .args:
      - .offset:         0
        .size:           88
        .value_kind:     by_value
    .group_segment_fixed_size: 0
    .kernarg_segment_align: 8
    .kernarg_segment_size: 88
    .language:       OpenCL C
    .language_version:
      - 2
      - 0
    .max_flat_workgroup_size: 256
    .name:           _ZN7rocprim17ROCPRIM_400000_NS6detail17trampoline_kernelINS0_14default_configENS1_38merge_sort_block_merge_config_selectorIlNS0_10empty_typeEEEZZNS1_27merge_sort_block_merge_implIS3_PlPS5_mZN2at6native12_GLOBAL__N_124unique_dim_cuda_templateIjEESt5tupleIJNSA_6TensorESF_SF_EERKSF_lbbbEUlllE_EE10hipError_tT0_T1_T2_jT3_P12ihipStream_tbPNSt15iterator_traitsISL_E10value_typeEPNSR_ISM_E10value_typeEPSN_NS1_7vsmem_tEENKUlT_SL_SM_SN_E_clIS8_S8_S9_S9_EESK_S10_SL_SM_SN_EUlS10_E0_NS1_11comp_targetILNS1_3genE4ELNS1_11target_archE910ELNS1_3gpuE8ELNS1_3repE0EEENS1_38merge_mergepath_config_static_selectorELNS0_4arch9wavefront6targetE0EEEvSM_
    .private_segment_fixed_size: 0
    .sgpr_count:     0
    .sgpr_spill_count: 0
    .symbol:         _ZN7rocprim17ROCPRIM_400000_NS6detail17trampoline_kernelINS0_14default_configENS1_38merge_sort_block_merge_config_selectorIlNS0_10empty_typeEEEZZNS1_27merge_sort_block_merge_implIS3_PlPS5_mZN2at6native12_GLOBAL__N_124unique_dim_cuda_templateIjEESt5tupleIJNSA_6TensorESF_SF_EERKSF_lbbbEUlllE_EE10hipError_tT0_T1_T2_jT3_P12ihipStream_tbPNSt15iterator_traitsISL_E10value_typeEPNSR_ISM_E10value_typeEPSN_NS1_7vsmem_tEENKUlT_SL_SM_SN_E_clIS8_S8_S9_S9_EESK_S10_SL_SM_SN_EUlS10_E0_NS1_11comp_targetILNS1_3genE4ELNS1_11target_archE910ELNS1_3gpuE8ELNS1_3repE0EEENS1_38merge_mergepath_config_static_selectorELNS0_4arch9wavefront6targetE0EEEvSM_.kd
    .uniform_work_group_size: 1
    .uses_dynamic_stack: false
    .vgpr_count:     0
    .vgpr_spill_count: 0
    .wavefront_size: 32
    .workgroup_processor_mode: 1
  - .args:
      - .offset:         0
        .size:           88
        .value_kind:     by_value
    .group_segment_fixed_size: 0
    .kernarg_segment_align: 8
    .kernarg_segment_size: 88
    .language:       OpenCL C
    .language_version:
      - 2
      - 0
    .max_flat_workgroup_size: 128
    .name:           _ZN7rocprim17ROCPRIM_400000_NS6detail17trampoline_kernelINS0_14default_configENS1_38merge_sort_block_merge_config_selectorIlNS0_10empty_typeEEEZZNS1_27merge_sort_block_merge_implIS3_PlPS5_mZN2at6native12_GLOBAL__N_124unique_dim_cuda_templateIjEESt5tupleIJNSA_6TensorESF_SF_EERKSF_lbbbEUlllE_EE10hipError_tT0_T1_T2_jT3_P12ihipStream_tbPNSt15iterator_traitsISL_E10value_typeEPNSR_ISM_E10value_typeEPSN_NS1_7vsmem_tEENKUlT_SL_SM_SN_E_clIS8_S8_S9_S9_EESK_S10_SL_SM_SN_EUlS10_E0_NS1_11comp_targetILNS1_3genE3ELNS1_11target_archE908ELNS1_3gpuE7ELNS1_3repE0EEENS1_38merge_mergepath_config_static_selectorELNS0_4arch9wavefront6targetE0EEEvSM_
    .private_segment_fixed_size: 0
    .sgpr_count:     0
    .sgpr_spill_count: 0
    .symbol:         _ZN7rocprim17ROCPRIM_400000_NS6detail17trampoline_kernelINS0_14default_configENS1_38merge_sort_block_merge_config_selectorIlNS0_10empty_typeEEEZZNS1_27merge_sort_block_merge_implIS3_PlPS5_mZN2at6native12_GLOBAL__N_124unique_dim_cuda_templateIjEESt5tupleIJNSA_6TensorESF_SF_EERKSF_lbbbEUlllE_EE10hipError_tT0_T1_T2_jT3_P12ihipStream_tbPNSt15iterator_traitsISL_E10value_typeEPNSR_ISM_E10value_typeEPSN_NS1_7vsmem_tEENKUlT_SL_SM_SN_E_clIS8_S8_S9_S9_EESK_S10_SL_SM_SN_EUlS10_E0_NS1_11comp_targetILNS1_3genE3ELNS1_11target_archE908ELNS1_3gpuE7ELNS1_3repE0EEENS1_38merge_mergepath_config_static_selectorELNS0_4arch9wavefront6targetE0EEEvSM_.kd
    .uniform_work_group_size: 1
    .uses_dynamic_stack: false
    .vgpr_count:     0
    .vgpr_spill_count: 0
    .wavefront_size: 32
    .workgroup_processor_mode: 1
  - .args:
      - .offset:         0
        .size:           88
        .value_kind:     by_value
    .group_segment_fixed_size: 0
    .kernarg_segment_align: 8
    .kernarg_segment_size: 88
    .language:       OpenCL C
    .language_version:
      - 2
      - 0
    .max_flat_workgroup_size: 256
    .name:           _ZN7rocprim17ROCPRIM_400000_NS6detail17trampoline_kernelINS0_14default_configENS1_38merge_sort_block_merge_config_selectorIlNS0_10empty_typeEEEZZNS1_27merge_sort_block_merge_implIS3_PlPS5_mZN2at6native12_GLOBAL__N_124unique_dim_cuda_templateIjEESt5tupleIJNSA_6TensorESF_SF_EERKSF_lbbbEUlllE_EE10hipError_tT0_T1_T2_jT3_P12ihipStream_tbPNSt15iterator_traitsISL_E10value_typeEPNSR_ISM_E10value_typeEPSN_NS1_7vsmem_tEENKUlT_SL_SM_SN_E_clIS8_S8_S9_S9_EESK_S10_SL_SM_SN_EUlS10_E0_NS1_11comp_targetILNS1_3genE2ELNS1_11target_archE906ELNS1_3gpuE6ELNS1_3repE0EEENS1_38merge_mergepath_config_static_selectorELNS0_4arch9wavefront6targetE0EEEvSM_
    .private_segment_fixed_size: 0
    .sgpr_count:     0
    .sgpr_spill_count: 0
    .symbol:         _ZN7rocprim17ROCPRIM_400000_NS6detail17trampoline_kernelINS0_14default_configENS1_38merge_sort_block_merge_config_selectorIlNS0_10empty_typeEEEZZNS1_27merge_sort_block_merge_implIS3_PlPS5_mZN2at6native12_GLOBAL__N_124unique_dim_cuda_templateIjEESt5tupleIJNSA_6TensorESF_SF_EERKSF_lbbbEUlllE_EE10hipError_tT0_T1_T2_jT3_P12ihipStream_tbPNSt15iterator_traitsISL_E10value_typeEPNSR_ISM_E10value_typeEPSN_NS1_7vsmem_tEENKUlT_SL_SM_SN_E_clIS8_S8_S9_S9_EESK_S10_SL_SM_SN_EUlS10_E0_NS1_11comp_targetILNS1_3genE2ELNS1_11target_archE906ELNS1_3gpuE6ELNS1_3repE0EEENS1_38merge_mergepath_config_static_selectorELNS0_4arch9wavefront6targetE0EEEvSM_.kd
    .uniform_work_group_size: 1
    .uses_dynamic_stack: false
    .vgpr_count:     0
    .vgpr_spill_count: 0
    .wavefront_size: 32
    .workgroup_processor_mode: 1
  - .args:
      - .offset:         0
        .size:           88
        .value_kind:     by_value
      - .offset:         88
        .size:           4
        .value_kind:     hidden_block_count_x
      - .offset:         92
        .size:           4
        .value_kind:     hidden_block_count_y
      - .offset:         96
        .size:           4
        .value_kind:     hidden_block_count_z
      - .offset:         100
        .size:           2
        .value_kind:     hidden_group_size_x
      - .offset:         102
        .size:           2
        .value_kind:     hidden_group_size_y
      - .offset:         104
        .size:           2
        .value_kind:     hidden_group_size_z
      - .offset:         106
        .size:           2
        .value_kind:     hidden_remainder_x
      - .offset:         108
        .size:           2
        .value_kind:     hidden_remainder_y
      - .offset:         110
        .size:           2
        .value_kind:     hidden_remainder_z
      - .offset:         128
        .size:           8
        .value_kind:     hidden_global_offset_x
      - .offset:         136
        .size:           8
        .value_kind:     hidden_global_offset_y
      - .offset:         144
        .size:           8
        .value_kind:     hidden_global_offset_z
      - .offset:         152
        .size:           2
        .value_kind:     hidden_grid_dims
    .group_segment_fixed_size: 8448
    .kernarg_segment_align: 8
    .kernarg_segment_size: 344
    .language:       OpenCL C
    .language_version:
      - 2
      - 0
    .max_flat_workgroup_size: 512
    .name:           _ZN7rocprim17ROCPRIM_400000_NS6detail17trampoline_kernelINS0_14default_configENS1_38merge_sort_block_merge_config_selectorIlNS0_10empty_typeEEEZZNS1_27merge_sort_block_merge_implIS3_PlPS5_mZN2at6native12_GLOBAL__N_124unique_dim_cuda_templateIjEESt5tupleIJNSA_6TensorESF_SF_EERKSF_lbbbEUlllE_EE10hipError_tT0_T1_T2_jT3_P12ihipStream_tbPNSt15iterator_traitsISL_E10value_typeEPNSR_ISM_E10value_typeEPSN_NS1_7vsmem_tEENKUlT_SL_SM_SN_E_clIS8_S8_S9_S9_EESK_S10_SL_SM_SN_EUlS10_E0_NS1_11comp_targetILNS1_3genE9ELNS1_11target_archE1100ELNS1_3gpuE3ELNS1_3repE0EEENS1_38merge_mergepath_config_static_selectorELNS0_4arch9wavefront6targetE0EEEvSM_
    .private_segment_fixed_size: 0
    .sgpr_count:     34
    .sgpr_spill_count: 0
    .symbol:         _ZN7rocprim17ROCPRIM_400000_NS6detail17trampoline_kernelINS0_14default_configENS1_38merge_sort_block_merge_config_selectorIlNS0_10empty_typeEEEZZNS1_27merge_sort_block_merge_implIS3_PlPS5_mZN2at6native12_GLOBAL__N_124unique_dim_cuda_templateIjEESt5tupleIJNSA_6TensorESF_SF_EERKSF_lbbbEUlllE_EE10hipError_tT0_T1_T2_jT3_P12ihipStream_tbPNSt15iterator_traitsISL_E10value_typeEPNSR_ISM_E10value_typeEPSN_NS1_7vsmem_tEENKUlT_SL_SM_SN_E_clIS8_S8_S9_S9_EESK_S10_SL_SM_SN_EUlS10_E0_NS1_11comp_targetILNS1_3genE9ELNS1_11target_archE1100ELNS1_3gpuE3ELNS1_3repE0EEENS1_38merge_mergepath_config_static_selectorELNS0_4arch9wavefront6targetE0EEEvSM_.kd
    .uniform_work_group_size: 1
    .uses_dynamic_stack: false
    .vgpr_count:     21
    .vgpr_spill_count: 0
    .wavefront_size: 32
    .workgroup_processor_mode: 1
  - .args:
      - .offset:         0
        .size:           88
        .value_kind:     by_value
    .group_segment_fixed_size: 0
    .kernarg_segment_align: 8
    .kernarg_segment_size: 88
    .language:       OpenCL C
    .language_version:
      - 2
      - 0
    .max_flat_workgroup_size: 1024
    .name:           _ZN7rocprim17ROCPRIM_400000_NS6detail17trampoline_kernelINS0_14default_configENS1_38merge_sort_block_merge_config_selectorIlNS0_10empty_typeEEEZZNS1_27merge_sort_block_merge_implIS3_PlPS5_mZN2at6native12_GLOBAL__N_124unique_dim_cuda_templateIjEESt5tupleIJNSA_6TensorESF_SF_EERKSF_lbbbEUlllE_EE10hipError_tT0_T1_T2_jT3_P12ihipStream_tbPNSt15iterator_traitsISL_E10value_typeEPNSR_ISM_E10value_typeEPSN_NS1_7vsmem_tEENKUlT_SL_SM_SN_E_clIS8_S8_S9_S9_EESK_S10_SL_SM_SN_EUlS10_E0_NS1_11comp_targetILNS1_3genE8ELNS1_11target_archE1030ELNS1_3gpuE2ELNS1_3repE0EEENS1_38merge_mergepath_config_static_selectorELNS0_4arch9wavefront6targetE0EEEvSM_
    .private_segment_fixed_size: 0
    .sgpr_count:     0
    .sgpr_spill_count: 0
    .symbol:         _ZN7rocprim17ROCPRIM_400000_NS6detail17trampoline_kernelINS0_14default_configENS1_38merge_sort_block_merge_config_selectorIlNS0_10empty_typeEEEZZNS1_27merge_sort_block_merge_implIS3_PlPS5_mZN2at6native12_GLOBAL__N_124unique_dim_cuda_templateIjEESt5tupleIJNSA_6TensorESF_SF_EERKSF_lbbbEUlllE_EE10hipError_tT0_T1_T2_jT3_P12ihipStream_tbPNSt15iterator_traitsISL_E10value_typeEPNSR_ISM_E10value_typeEPSN_NS1_7vsmem_tEENKUlT_SL_SM_SN_E_clIS8_S8_S9_S9_EESK_S10_SL_SM_SN_EUlS10_E0_NS1_11comp_targetILNS1_3genE8ELNS1_11target_archE1030ELNS1_3gpuE2ELNS1_3repE0EEENS1_38merge_mergepath_config_static_selectorELNS0_4arch9wavefront6targetE0EEEvSM_.kd
    .uniform_work_group_size: 1
    .uses_dynamic_stack: false
    .vgpr_count:     0
    .vgpr_spill_count: 0
    .wavefront_size: 32
    .workgroup_processor_mode: 1
  - .args:
      - .offset:         0
        .size:           64
        .value_kind:     by_value
    .group_segment_fixed_size: 0
    .kernarg_segment_align: 8
    .kernarg_segment_size: 64
    .language:       OpenCL C
    .language_version:
      - 2
      - 0
    .max_flat_workgroup_size: 256
    .name:           _ZN7rocprim17ROCPRIM_400000_NS6detail17trampoline_kernelINS0_14default_configENS1_38merge_sort_block_merge_config_selectorIlNS0_10empty_typeEEEZZNS1_27merge_sort_block_merge_implIS3_PlPS5_mZN2at6native12_GLOBAL__N_124unique_dim_cuda_templateIjEESt5tupleIJNSA_6TensorESF_SF_EERKSF_lbbbEUlllE_EE10hipError_tT0_T1_T2_jT3_P12ihipStream_tbPNSt15iterator_traitsISL_E10value_typeEPNSR_ISM_E10value_typeEPSN_NS1_7vsmem_tEENKUlT_SL_SM_SN_E_clIS8_S8_S9_S9_EESK_S10_SL_SM_SN_EUlS10_E1_NS1_11comp_targetILNS1_3genE0ELNS1_11target_archE4294967295ELNS1_3gpuE0ELNS1_3repE0EEENS1_36merge_oddeven_config_static_selectorELNS0_4arch9wavefront6targetE0EEEvSM_
    .private_segment_fixed_size: 0
    .sgpr_count:     0
    .sgpr_spill_count: 0
    .symbol:         _ZN7rocprim17ROCPRIM_400000_NS6detail17trampoline_kernelINS0_14default_configENS1_38merge_sort_block_merge_config_selectorIlNS0_10empty_typeEEEZZNS1_27merge_sort_block_merge_implIS3_PlPS5_mZN2at6native12_GLOBAL__N_124unique_dim_cuda_templateIjEESt5tupleIJNSA_6TensorESF_SF_EERKSF_lbbbEUlllE_EE10hipError_tT0_T1_T2_jT3_P12ihipStream_tbPNSt15iterator_traitsISL_E10value_typeEPNSR_ISM_E10value_typeEPSN_NS1_7vsmem_tEENKUlT_SL_SM_SN_E_clIS8_S8_S9_S9_EESK_S10_SL_SM_SN_EUlS10_E1_NS1_11comp_targetILNS1_3genE0ELNS1_11target_archE4294967295ELNS1_3gpuE0ELNS1_3repE0EEENS1_36merge_oddeven_config_static_selectorELNS0_4arch9wavefront6targetE0EEEvSM_.kd
    .uniform_work_group_size: 1
    .uses_dynamic_stack: false
    .vgpr_count:     0
    .vgpr_spill_count: 0
    .wavefront_size: 32
    .workgroup_processor_mode: 1
  - .args:
      - .offset:         0
        .size:           64
        .value_kind:     by_value
    .group_segment_fixed_size: 0
    .kernarg_segment_align: 8
    .kernarg_segment_size: 64
    .language:       OpenCL C
    .language_version:
      - 2
      - 0
    .max_flat_workgroup_size: 256
    .name:           _ZN7rocprim17ROCPRIM_400000_NS6detail17trampoline_kernelINS0_14default_configENS1_38merge_sort_block_merge_config_selectorIlNS0_10empty_typeEEEZZNS1_27merge_sort_block_merge_implIS3_PlPS5_mZN2at6native12_GLOBAL__N_124unique_dim_cuda_templateIjEESt5tupleIJNSA_6TensorESF_SF_EERKSF_lbbbEUlllE_EE10hipError_tT0_T1_T2_jT3_P12ihipStream_tbPNSt15iterator_traitsISL_E10value_typeEPNSR_ISM_E10value_typeEPSN_NS1_7vsmem_tEENKUlT_SL_SM_SN_E_clIS8_S8_S9_S9_EESK_S10_SL_SM_SN_EUlS10_E1_NS1_11comp_targetILNS1_3genE10ELNS1_11target_archE1201ELNS1_3gpuE5ELNS1_3repE0EEENS1_36merge_oddeven_config_static_selectorELNS0_4arch9wavefront6targetE0EEEvSM_
    .private_segment_fixed_size: 0
    .sgpr_count:     0
    .sgpr_spill_count: 0
    .symbol:         _ZN7rocprim17ROCPRIM_400000_NS6detail17trampoline_kernelINS0_14default_configENS1_38merge_sort_block_merge_config_selectorIlNS0_10empty_typeEEEZZNS1_27merge_sort_block_merge_implIS3_PlPS5_mZN2at6native12_GLOBAL__N_124unique_dim_cuda_templateIjEESt5tupleIJNSA_6TensorESF_SF_EERKSF_lbbbEUlllE_EE10hipError_tT0_T1_T2_jT3_P12ihipStream_tbPNSt15iterator_traitsISL_E10value_typeEPNSR_ISM_E10value_typeEPSN_NS1_7vsmem_tEENKUlT_SL_SM_SN_E_clIS8_S8_S9_S9_EESK_S10_SL_SM_SN_EUlS10_E1_NS1_11comp_targetILNS1_3genE10ELNS1_11target_archE1201ELNS1_3gpuE5ELNS1_3repE0EEENS1_36merge_oddeven_config_static_selectorELNS0_4arch9wavefront6targetE0EEEvSM_.kd
    .uniform_work_group_size: 1
    .uses_dynamic_stack: false
    .vgpr_count:     0
    .vgpr_spill_count: 0
    .wavefront_size: 32
    .workgroup_processor_mode: 1
  - .args:
      - .offset:         0
        .size:           64
        .value_kind:     by_value
    .group_segment_fixed_size: 0
    .kernarg_segment_align: 8
    .kernarg_segment_size: 64
    .language:       OpenCL C
    .language_version:
      - 2
      - 0
    .max_flat_workgroup_size: 256
    .name:           _ZN7rocprim17ROCPRIM_400000_NS6detail17trampoline_kernelINS0_14default_configENS1_38merge_sort_block_merge_config_selectorIlNS0_10empty_typeEEEZZNS1_27merge_sort_block_merge_implIS3_PlPS5_mZN2at6native12_GLOBAL__N_124unique_dim_cuda_templateIjEESt5tupleIJNSA_6TensorESF_SF_EERKSF_lbbbEUlllE_EE10hipError_tT0_T1_T2_jT3_P12ihipStream_tbPNSt15iterator_traitsISL_E10value_typeEPNSR_ISM_E10value_typeEPSN_NS1_7vsmem_tEENKUlT_SL_SM_SN_E_clIS8_S8_S9_S9_EESK_S10_SL_SM_SN_EUlS10_E1_NS1_11comp_targetILNS1_3genE5ELNS1_11target_archE942ELNS1_3gpuE9ELNS1_3repE0EEENS1_36merge_oddeven_config_static_selectorELNS0_4arch9wavefront6targetE0EEEvSM_
    .private_segment_fixed_size: 0
    .sgpr_count:     0
    .sgpr_spill_count: 0
    .symbol:         _ZN7rocprim17ROCPRIM_400000_NS6detail17trampoline_kernelINS0_14default_configENS1_38merge_sort_block_merge_config_selectorIlNS0_10empty_typeEEEZZNS1_27merge_sort_block_merge_implIS3_PlPS5_mZN2at6native12_GLOBAL__N_124unique_dim_cuda_templateIjEESt5tupleIJNSA_6TensorESF_SF_EERKSF_lbbbEUlllE_EE10hipError_tT0_T1_T2_jT3_P12ihipStream_tbPNSt15iterator_traitsISL_E10value_typeEPNSR_ISM_E10value_typeEPSN_NS1_7vsmem_tEENKUlT_SL_SM_SN_E_clIS8_S8_S9_S9_EESK_S10_SL_SM_SN_EUlS10_E1_NS1_11comp_targetILNS1_3genE5ELNS1_11target_archE942ELNS1_3gpuE9ELNS1_3repE0EEENS1_36merge_oddeven_config_static_selectorELNS0_4arch9wavefront6targetE0EEEvSM_.kd
    .uniform_work_group_size: 1
    .uses_dynamic_stack: false
    .vgpr_count:     0
    .vgpr_spill_count: 0
    .wavefront_size: 32
    .workgroup_processor_mode: 1
  - .args:
      - .offset:         0
        .size:           64
        .value_kind:     by_value
    .group_segment_fixed_size: 0
    .kernarg_segment_align: 8
    .kernarg_segment_size: 64
    .language:       OpenCL C
    .language_version:
      - 2
      - 0
    .max_flat_workgroup_size: 256
    .name:           _ZN7rocprim17ROCPRIM_400000_NS6detail17trampoline_kernelINS0_14default_configENS1_38merge_sort_block_merge_config_selectorIlNS0_10empty_typeEEEZZNS1_27merge_sort_block_merge_implIS3_PlPS5_mZN2at6native12_GLOBAL__N_124unique_dim_cuda_templateIjEESt5tupleIJNSA_6TensorESF_SF_EERKSF_lbbbEUlllE_EE10hipError_tT0_T1_T2_jT3_P12ihipStream_tbPNSt15iterator_traitsISL_E10value_typeEPNSR_ISM_E10value_typeEPSN_NS1_7vsmem_tEENKUlT_SL_SM_SN_E_clIS8_S8_S9_S9_EESK_S10_SL_SM_SN_EUlS10_E1_NS1_11comp_targetILNS1_3genE4ELNS1_11target_archE910ELNS1_3gpuE8ELNS1_3repE0EEENS1_36merge_oddeven_config_static_selectorELNS0_4arch9wavefront6targetE0EEEvSM_
    .private_segment_fixed_size: 0
    .sgpr_count:     0
    .sgpr_spill_count: 0
    .symbol:         _ZN7rocprim17ROCPRIM_400000_NS6detail17trampoline_kernelINS0_14default_configENS1_38merge_sort_block_merge_config_selectorIlNS0_10empty_typeEEEZZNS1_27merge_sort_block_merge_implIS3_PlPS5_mZN2at6native12_GLOBAL__N_124unique_dim_cuda_templateIjEESt5tupleIJNSA_6TensorESF_SF_EERKSF_lbbbEUlllE_EE10hipError_tT0_T1_T2_jT3_P12ihipStream_tbPNSt15iterator_traitsISL_E10value_typeEPNSR_ISM_E10value_typeEPSN_NS1_7vsmem_tEENKUlT_SL_SM_SN_E_clIS8_S8_S9_S9_EESK_S10_SL_SM_SN_EUlS10_E1_NS1_11comp_targetILNS1_3genE4ELNS1_11target_archE910ELNS1_3gpuE8ELNS1_3repE0EEENS1_36merge_oddeven_config_static_selectorELNS0_4arch9wavefront6targetE0EEEvSM_.kd
    .uniform_work_group_size: 1
    .uses_dynamic_stack: false
    .vgpr_count:     0
    .vgpr_spill_count: 0
    .wavefront_size: 32
    .workgroup_processor_mode: 1
  - .args:
      - .offset:         0
        .size:           64
        .value_kind:     by_value
    .group_segment_fixed_size: 0
    .kernarg_segment_align: 8
    .kernarg_segment_size: 64
    .language:       OpenCL C
    .language_version:
      - 2
      - 0
    .max_flat_workgroup_size: 256
    .name:           _ZN7rocprim17ROCPRIM_400000_NS6detail17trampoline_kernelINS0_14default_configENS1_38merge_sort_block_merge_config_selectorIlNS0_10empty_typeEEEZZNS1_27merge_sort_block_merge_implIS3_PlPS5_mZN2at6native12_GLOBAL__N_124unique_dim_cuda_templateIjEESt5tupleIJNSA_6TensorESF_SF_EERKSF_lbbbEUlllE_EE10hipError_tT0_T1_T2_jT3_P12ihipStream_tbPNSt15iterator_traitsISL_E10value_typeEPNSR_ISM_E10value_typeEPSN_NS1_7vsmem_tEENKUlT_SL_SM_SN_E_clIS8_S8_S9_S9_EESK_S10_SL_SM_SN_EUlS10_E1_NS1_11comp_targetILNS1_3genE3ELNS1_11target_archE908ELNS1_3gpuE7ELNS1_3repE0EEENS1_36merge_oddeven_config_static_selectorELNS0_4arch9wavefront6targetE0EEEvSM_
    .private_segment_fixed_size: 0
    .sgpr_count:     0
    .sgpr_spill_count: 0
    .symbol:         _ZN7rocprim17ROCPRIM_400000_NS6detail17trampoline_kernelINS0_14default_configENS1_38merge_sort_block_merge_config_selectorIlNS0_10empty_typeEEEZZNS1_27merge_sort_block_merge_implIS3_PlPS5_mZN2at6native12_GLOBAL__N_124unique_dim_cuda_templateIjEESt5tupleIJNSA_6TensorESF_SF_EERKSF_lbbbEUlllE_EE10hipError_tT0_T1_T2_jT3_P12ihipStream_tbPNSt15iterator_traitsISL_E10value_typeEPNSR_ISM_E10value_typeEPSN_NS1_7vsmem_tEENKUlT_SL_SM_SN_E_clIS8_S8_S9_S9_EESK_S10_SL_SM_SN_EUlS10_E1_NS1_11comp_targetILNS1_3genE3ELNS1_11target_archE908ELNS1_3gpuE7ELNS1_3repE0EEENS1_36merge_oddeven_config_static_selectorELNS0_4arch9wavefront6targetE0EEEvSM_.kd
    .uniform_work_group_size: 1
    .uses_dynamic_stack: false
    .vgpr_count:     0
    .vgpr_spill_count: 0
    .wavefront_size: 32
    .workgroup_processor_mode: 1
  - .args:
      - .offset:         0
        .size:           64
        .value_kind:     by_value
    .group_segment_fixed_size: 0
    .kernarg_segment_align: 8
    .kernarg_segment_size: 64
    .language:       OpenCL C
    .language_version:
      - 2
      - 0
    .max_flat_workgroup_size: 256
    .name:           _ZN7rocprim17ROCPRIM_400000_NS6detail17trampoline_kernelINS0_14default_configENS1_38merge_sort_block_merge_config_selectorIlNS0_10empty_typeEEEZZNS1_27merge_sort_block_merge_implIS3_PlPS5_mZN2at6native12_GLOBAL__N_124unique_dim_cuda_templateIjEESt5tupleIJNSA_6TensorESF_SF_EERKSF_lbbbEUlllE_EE10hipError_tT0_T1_T2_jT3_P12ihipStream_tbPNSt15iterator_traitsISL_E10value_typeEPNSR_ISM_E10value_typeEPSN_NS1_7vsmem_tEENKUlT_SL_SM_SN_E_clIS8_S8_S9_S9_EESK_S10_SL_SM_SN_EUlS10_E1_NS1_11comp_targetILNS1_3genE2ELNS1_11target_archE906ELNS1_3gpuE6ELNS1_3repE0EEENS1_36merge_oddeven_config_static_selectorELNS0_4arch9wavefront6targetE0EEEvSM_
    .private_segment_fixed_size: 0
    .sgpr_count:     0
    .sgpr_spill_count: 0
    .symbol:         _ZN7rocprim17ROCPRIM_400000_NS6detail17trampoline_kernelINS0_14default_configENS1_38merge_sort_block_merge_config_selectorIlNS0_10empty_typeEEEZZNS1_27merge_sort_block_merge_implIS3_PlPS5_mZN2at6native12_GLOBAL__N_124unique_dim_cuda_templateIjEESt5tupleIJNSA_6TensorESF_SF_EERKSF_lbbbEUlllE_EE10hipError_tT0_T1_T2_jT3_P12ihipStream_tbPNSt15iterator_traitsISL_E10value_typeEPNSR_ISM_E10value_typeEPSN_NS1_7vsmem_tEENKUlT_SL_SM_SN_E_clIS8_S8_S9_S9_EESK_S10_SL_SM_SN_EUlS10_E1_NS1_11comp_targetILNS1_3genE2ELNS1_11target_archE906ELNS1_3gpuE6ELNS1_3repE0EEENS1_36merge_oddeven_config_static_selectorELNS0_4arch9wavefront6targetE0EEEvSM_.kd
    .uniform_work_group_size: 1
    .uses_dynamic_stack: false
    .vgpr_count:     0
    .vgpr_spill_count: 0
    .wavefront_size: 32
    .workgroup_processor_mode: 1
  - .args:
      - .offset:         0
        .size:           64
        .value_kind:     by_value
    .group_segment_fixed_size: 0
    .kernarg_segment_align: 8
    .kernarg_segment_size: 64
    .language:       OpenCL C
    .language_version:
      - 2
      - 0
    .max_flat_workgroup_size: 256
    .name:           _ZN7rocprim17ROCPRIM_400000_NS6detail17trampoline_kernelINS0_14default_configENS1_38merge_sort_block_merge_config_selectorIlNS0_10empty_typeEEEZZNS1_27merge_sort_block_merge_implIS3_PlPS5_mZN2at6native12_GLOBAL__N_124unique_dim_cuda_templateIjEESt5tupleIJNSA_6TensorESF_SF_EERKSF_lbbbEUlllE_EE10hipError_tT0_T1_T2_jT3_P12ihipStream_tbPNSt15iterator_traitsISL_E10value_typeEPNSR_ISM_E10value_typeEPSN_NS1_7vsmem_tEENKUlT_SL_SM_SN_E_clIS8_S8_S9_S9_EESK_S10_SL_SM_SN_EUlS10_E1_NS1_11comp_targetILNS1_3genE9ELNS1_11target_archE1100ELNS1_3gpuE3ELNS1_3repE0EEENS1_36merge_oddeven_config_static_selectorELNS0_4arch9wavefront6targetE0EEEvSM_
    .private_segment_fixed_size: 0
    .sgpr_count:     30
    .sgpr_spill_count: 0
    .symbol:         _ZN7rocprim17ROCPRIM_400000_NS6detail17trampoline_kernelINS0_14default_configENS1_38merge_sort_block_merge_config_selectorIlNS0_10empty_typeEEEZZNS1_27merge_sort_block_merge_implIS3_PlPS5_mZN2at6native12_GLOBAL__N_124unique_dim_cuda_templateIjEESt5tupleIJNSA_6TensorESF_SF_EERKSF_lbbbEUlllE_EE10hipError_tT0_T1_T2_jT3_P12ihipStream_tbPNSt15iterator_traitsISL_E10value_typeEPNSR_ISM_E10value_typeEPSN_NS1_7vsmem_tEENKUlT_SL_SM_SN_E_clIS8_S8_S9_S9_EESK_S10_SL_SM_SN_EUlS10_E1_NS1_11comp_targetILNS1_3genE9ELNS1_11target_archE1100ELNS1_3gpuE3ELNS1_3repE0EEENS1_36merge_oddeven_config_static_selectorELNS0_4arch9wavefront6targetE0EEEvSM_.kd
    .uniform_work_group_size: 1
    .uses_dynamic_stack: false
    .vgpr_count:     18
    .vgpr_spill_count: 0
    .wavefront_size: 32
    .workgroup_processor_mode: 1
  - .args:
      - .offset:         0
        .size:           64
        .value_kind:     by_value
    .group_segment_fixed_size: 0
    .kernarg_segment_align: 8
    .kernarg_segment_size: 64
    .language:       OpenCL C
    .language_version:
      - 2
      - 0
    .max_flat_workgroup_size: 256
    .name:           _ZN7rocprim17ROCPRIM_400000_NS6detail17trampoline_kernelINS0_14default_configENS1_38merge_sort_block_merge_config_selectorIlNS0_10empty_typeEEEZZNS1_27merge_sort_block_merge_implIS3_PlPS5_mZN2at6native12_GLOBAL__N_124unique_dim_cuda_templateIjEESt5tupleIJNSA_6TensorESF_SF_EERKSF_lbbbEUlllE_EE10hipError_tT0_T1_T2_jT3_P12ihipStream_tbPNSt15iterator_traitsISL_E10value_typeEPNSR_ISM_E10value_typeEPSN_NS1_7vsmem_tEENKUlT_SL_SM_SN_E_clIS8_S8_S9_S9_EESK_S10_SL_SM_SN_EUlS10_E1_NS1_11comp_targetILNS1_3genE8ELNS1_11target_archE1030ELNS1_3gpuE2ELNS1_3repE0EEENS1_36merge_oddeven_config_static_selectorELNS0_4arch9wavefront6targetE0EEEvSM_
    .private_segment_fixed_size: 0
    .sgpr_count:     0
    .sgpr_spill_count: 0
    .symbol:         _ZN7rocprim17ROCPRIM_400000_NS6detail17trampoline_kernelINS0_14default_configENS1_38merge_sort_block_merge_config_selectorIlNS0_10empty_typeEEEZZNS1_27merge_sort_block_merge_implIS3_PlPS5_mZN2at6native12_GLOBAL__N_124unique_dim_cuda_templateIjEESt5tupleIJNSA_6TensorESF_SF_EERKSF_lbbbEUlllE_EE10hipError_tT0_T1_T2_jT3_P12ihipStream_tbPNSt15iterator_traitsISL_E10value_typeEPNSR_ISM_E10value_typeEPSN_NS1_7vsmem_tEENKUlT_SL_SM_SN_E_clIS8_S8_S9_S9_EESK_S10_SL_SM_SN_EUlS10_E1_NS1_11comp_targetILNS1_3genE8ELNS1_11target_archE1030ELNS1_3gpuE2ELNS1_3repE0EEENS1_36merge_oddeven_config_static_selectorELNS0_4arch9wavefront6targetE0EEEvSM_.kd
    .uniform_work_group_size: 1
    .uses_dynamic_stack: false
    .vgpr_count:     0
    .vgpr_spill_count: 0
    .wavefront_size: 32
    .workgroup_processor_mode: 1
  - .args:
      - .offset:         0
        .size:           64
        .value_kind:     by_value
    .group_segment_fixed_size: 0
    .kernarg_segment_align: 8
    .kernarg_segment_size: 64
    .language:       OpenCL C
    .language_version:
      - 2
      - 0
    .max_flat_workgroup_size: 128
    .name:           _ZN7rocprim17ROCPRIM_400000_NS6detail17trampoline_kernelINS0_14default_configENS1_35adjacent_difference_config_selectorILb0ElEEZNS1_24adjacent_difference_implIS3_Lb0ELb0EPlS7_ZN2at6native12_GLOBAL__N_124unique_dim_cuda_templateIjEESt5tupleIJNS8_6TensorESD_SD_EERKSD_lbbbEUlllE1_EE10hipError_tPvRmT2_T3_mT4_P12ihipStream_tbEUlT_E_NS1_11comp_targetILNS1_3genE0ELNS1_11target_archE4294967295ELNS1_3gpuE0ELNS1_3repE0EEENS1_30default_config_static_selectorELNS0_4arch9wavefront6targetE0EEEvT1_
    .private_segment_fixed_size: 0
    .sgpr_count:     0
    .sgpr_spill_count: 0
    .symbol:         _ZN7rocprim17ROCPRIM_400000_NS6detail17trampoline_kernelINS0_14default_configENS1_35adjacent_difference_config_selectorILb0ElEEZNS1_24adjacent_difference_implIS3_Lb0ELb0EPlS7_ZN2at6native12_GLOBAL__N_124unique_dim_cuda_templateIjEESt5tupleIJNS8_6TensorESD_SD_EERKSD_lbbbEUlllE1_EE10hipError_tPvRmT2_T3_mT4_P12ihipStream_tbEUlT_E_NS1_11comp_targetILNS1_3genE0ELNS1_11target_archE4294967295ELNS1_3gpuE0ELNS1_3repE0EEENS1_30default_config_static_selectorELNS0_4arch9wavefront6targetE0EEEvT1_.kd
    .uniform_work_group_size: 1
    .uses_dynamic_stack: false
    .vgpr_count:     0
    .vgpr_spill_count: 0
    .wavefront_size: 32
    .workgroup_processor_mode: 1
  - .args:
      - .offset:         0
        .size:           64
        .value_kind:     by_value
    .group_segment_fixed_size: 0
    .kernarg_segment_align: 8
    .kernarg_segment_size: 64
    .language:       OpenCL C
    .language_version:
      - 2
      - 0
    .max_flat_workgroup_size: 128
    .name:           _ZN7rocprim17ROCPRIM_400000_NS6detail17trampoline_kernelINS0_14default_configENS1_35adjacent_difference_config_selectorILb0ElEEZNS1_24adjacent_difference_implIS3_Lb0ELb0EPlS7_ZN2at6native12_GLOBAL__N_124unique_dim_cuda_templateIjEESt5tupleIJNS8_6TensorESD_SD_EERKSD_lbbbEUlllE1_EE10hipError_tPvRmT2_T3_mT4_P12ihipStream_tbEUlT_E_NS1_11comp_targetILNS1_3genE10ELNS1_11target_archE1201ELNS1_3gpuE5ELNS1_3repE0EEENS1_30default_config_static_selectorELNS0_4arch9wavefront6targetE0EEEvT1_
    .private_segment_fixed_size: 0
    .sgpr_count:     0
    .sgpr_spill_count: 0
    .symbol:         _ZN7rocprim17ROCPRIM_400000_NS6detail17trampoline_kernelINS0_14default_configENS1_35adjacent_difference_config_selectorILb0ElEEZNS1_24adjacent_difference_implIS3_Lb0ELb0EPlS7_ZN2at6native12_GLOBAL__N_124unique_dim_cuda_templateIjEESt5tupleIJNS8_6TensorESD_SD_EERKSD_lbbbEUlllE1_EE10hipError_tPvRmT2_T3_mT4_P12ihipStream_tbEUlT_E_NS1_11comp_targetILNS1_3genE10ELNS1_11target_archE1201ELNS1_3gpuE5ELNS1_3repE0EEENS1_30default_config_static_selectorELNS0_4arch9wavefront6targetE0EEEvT1_.kd
    .uniform_work_group_size: 1
    .uses_dynamic_stack: false
    .vgpr_count:     0
    .vgpr_spill_count: 0
    .wavefront_size: 32
    .workgroup_processor_mode: 1
  - .args:
      - .offset:         0
        .size:           64
        .value_kind:     by_value
    .group_segment_fixed_size: 0
    .kernarg_segment_align: 8
    .kernarg_segment_size: 64
    .language:       OpenCL C
    .language_version:
      - 2
      - 0
    .max_flat_workgroup_size: 64
    .name:           _ZN7rocprim17ROCPRIM_400000_NS6detail17trampoline_kernelINS0_14default_configENS1_35adjacent_difference_config_selectorILb0ElEEZNS1_24adjacent_difference_implIS3_Lb0ELb0EPlS7_ZN2at6native12_GLOBAL__N_124unique_dim_cuda_templateIjEESt5tupleIJNS8_6TensorESD_SD_EERKSD_lbbbEUlllE1_EE10hipError_tPvRmT2_T3_mT4_P12ihipStream_tbEUlT_E_NS1_11comp_targetILNS1_3genE5ELNS1_11target_archE942ELNS1_3gpuE9ELNS1_3repE0EEENS1_30default_config_static_selectorELNS0_4arch9wavefront6targetE0EEEvT1_
    .private_segment_fixed_size: 0
    .sgpr_count:     0
    .sgpr_spill_count: 0
    .symbol:         _ZN7rocprim17ROCPRIM_400000_NS6detail17trampoline_kernelINS0_14default_configENS1_35adjacent_difference_config_selectorILb0ElEEZNS1_24adjacent_difference_implIS3_Lb0ELb0EPlS7_ZN2at6native12_GLOBAL__N_124unique_dim_cuda_templateIjEESt5tupleIJNS8_6TensorESD_SD_EERKSD_lbbbEUlllE1_EE10hipError_tPvRmT2_T3_mT4_P12ihipStream_tbEUlT_E_NS1_11comp_targetILNS1_3genE5ELNS1_11target_archE942ELNS1_3gpuE9ELNS1_3repE0EEENS1_30default_config_static_selectorELNS0_4arch9wavefront6targetE0EEEvT1_.kd
    .uniform_work_group_size: 1
    .uses_dynamic_stack: false
    .vgpr_count:     0
    .vgpr_spill_count: 0
    .wavefront_size: 32
    .workgroup_processor_mode: 1
  - .args:
      - .offset:         0
        .size:           64
        .value_kind:     by_value
    .group_segment_fixed_size: 0
    .kernarg_segment_align: 8
    .kernarg_segment_size: 64
    .language:       OpenCL C
    .language_version:
      - 2
      - 0
    .max_flat_workgroup_size: 256
    .name:           _ZN7rocprim17ROCPRIM_400000_NS6detail17trampoline_kernelINS0_14default_configENS1_35adjacent_difference_config_selectorILb0ElEEZNS1_24adjacent_difference_implIS3_Lb0ELb0EPlS7_ZN2at6native12_GLOBAL__N_124unique_dim_cuda_templateIjEESt5tupleIJNS8_6TensorESD_SD_EERKSD_lbbbEUlllE1_EE10hipError_tPvRmT2_T3_mT4_P12ihipStream_tbEUlT_E_NS1_11comp_targetILNS1_3genE4ELNS1_11target_archE910ELNS1_3gpuE8ELNS1_3repE0EEENS1_30default_config_static_selectorELNS0_4arch9wavefront6targetE0EEEvT1_
    .private_segment_fixed_size: 0
    .sgpr_count:     0
    .sgpr_spill_count: 0
    .symbol:         _ZN7rocprim17ROCPRIM_400000_NS6detail17trampoline_kernelINS0_14default_configENS1_35adjacent_difference_config_selectorILb0ElEEZNS1_24adjacent_difference_implIS3_Lb0ELb0EPlS7_ZN2at6native12_GLOBAL__N_124unique_dim_cuda_templateIjEESt5tupleIJNS8_6TensorESD_SD_EERKSD_lbbbEUlllE1_EE10hipError_tPvRmT2_T3_mT4_P12ihipStream_tbEUlT_E_NS1_11comp_targetILNS1_3genE4ELNS1_11target_archE910ELNS1_3gpuE8ELNS1_3repE0EEENS1_30default_config_static_selectorELNS0_4arch9wavefront6targetE0EEEvT1_.kd
    .uniform_work_group_size: 1
    .uses_dynamic_stack: false
    .vgpr_count:     0
    .vgpr_spill_count: 0
    .wavefront_size: 32
    .workgroup_processor_mode: 1
  - .args:
      - .offset:         0
        .size:           64
        .value_kind:     by_value
    .group_segment_fixed_size: 0
    .kernarg_segment_align: 8
    .kernarg_segment_size: 64
    .language:       OpenCL C
    .language_version:
      - 2
      - 0
    .max_flat_workgroup_size: 128
    .name:           _ZN7rocprim17ROCPRIM_400000_NS6detail17trampoline_kernelINS0_14default_configENS1_35adjacent_difference_config_selectorILb0ElEEZNS1_24adjacent_difference_implIS3_Lb0ELb0EPlS7_ZN2at6native12_GLOBAL__N_124unique_dim_cuda_templateIjEESt5tupleIJNS8_6TensorESD_SD_EERKSD_lbbbEUlllE1_EE10hipError_tPvRmT2_T3_mT4_P12ihipStream_tbEUlT_E_NS1_11comp_targetILNS1_3genE3ELNS1_11target_archE908ELNS1_3gpuE7ELNS1_3repE0EEENS1_30default_config_static_selectorELNS0_4arch9wavefront6targetE0EEEvT1_
    .private_segment_fixed_size: 0
    .sgpr_count:     0
    .sgpr_spill_count: 0
    .symbol:         _ZN7rocprim17ROCPRIM_400000_NS6detail17trampoline_kernelINS0_14default_configENS1_35adjacent_difference_config_selectorILb0ElEEZNS1_24adjacent_difference_implIS3_Lb0ELb0EPlS7_ZN2at6native12_GLOBAL__N_124unique_dim_cuda_templateIjEESt5tupleIJNS8_6TensorESD_SD_EERKSD_lbbbEUlllE1_EE10hipError_tPvRmT2_T3_mT4_P12ihipStream_tbEUlT_E_NS1_11comp_targetILNS1_3genE3ELNS1_11target_archE908ELNS1_3gpuE7ELNS1_3repE0EEENS1_30default_config_static_selectorELNS0_4arch9wavefront6targetE0EEEvT1_.kd
    .uniform_work_group_size: 1
    .uses_dynamic_stack: false
    .vgpr_count:     0
    .vgpr_spill_count: 0
    .wavefront_size: 32
    .workgroup_processor_mode: 1
  - .args:
      - .offset:         0
        .size:           64
        .value_kind:     by_value
    .group_segment_fixed_size: 0
    .kernarg_segment_align: 8
    .kernarg_segment_size: 64
    .language:       OpenCL C
    .language_version:
      - 2
      - 0
    .max_flat_workgroup_size: 128
    .name:           _ZN7rocprim17ROCPRIM_400000_NS6detail17trampoline_kernelINS0_14default_configENS1_35adjacent_difference_config_selectorILb0ElEEZNS1_24adjacent_difference_implIS3_Lb0ELb0EPlS7_ZN2at6native12_GLOBAL__N_124unique_dim_cuda_templateIjEESt5tupleIJNS8_6TensorESD_SD_EERKSD_lbbbEUlllE1_EE10hipError_tPvRmT2_T3_mT4_P12ihipStream_tbEUlT_E_NS1_11comp_targetILNS1_3genE2ELNS1_11target_archE906ELNS1_3gpuE6ELNS1_3repE0EEENS1_30default_config_static_selectorELNS0_4arch9wavefront6targetE0EEEvT1_
    .private_segment_fixed_size: 0
    .sgpr_count:     0
    .sgpr_spill_count: 0
    .symbol:         _ZN7rocprim17ROCPRIM_400000_NS6detail17trampoline_kernelINS0_14default_configENS1_35adjacent_difference_config_selectorILb0ElEEZNS1_24adjacent_difference_implIS3_Lb0ELb0EPlS7_ZN2at6native12_GLOBAL__N_124unique_dim_cuda_templateIjEESt5tupleIJNS8_6TensorESD_SD_EERKSD_lbbbEUlllE1_EE10hipError_tPvRmT2_T3_mT4_P12ihipStream_tbEUlT_E_NS1_11comp_targetILNS1_3genE2ELNS1_11target_archE906ELNS1_3gpuE6ELNS1_3repE0EEENS1_30default_config_static_selectorELNS0_4arch9wavefront6targetE0EEEvT1_.kd
    .uniform_work_group_size: 1
    .uses_dynamic_stack: false
    .vgpr_count:     0
    .vgpr_spill_count: 0
    .wavefront_size: 32
    .workgroup_processor_mode: 1
  - .args:
      - .offset:         0
        .size:           64
        .value_kind:     by_value
    .group_segment_fixed_size: 8192
    .kernarg_segment_align: 8
    .kernarg_segment_size: 64
    .language:       OpenCL C
    .language_version:
      - 2
      - 0
    .max_flat_workgroup_size: 512
    .name:           _ZN7rocprim17ROCPRIM_400000_NS6detail17trampoline_kernelINS0_14default_configENS1_35adjacent_difference_config_selectorILb0ElEEZNS1_24adjacent_difference_implIS3_Lb0ELb0EPlS7_ZN2at6native12_GLOBAL__N_124unique_dim_cuda_templateIjEESt5tupleIJNS8_6TensorESD_SD_EERKSD_lbbbEUlllE1_EE10hipError_tPvRmT2_T3_mT4_P12ihipStream_tbEUlT_E_NS1_11comp_targetILNS1_3genE9ELNS1_11target_archE1100ELNS1_3gpuE3ELNS1_3repE0EEENS1_30default_config_static_selectorELNS0_4arch9wavefront6targetE0EEEvT1_
    .private_segment_fixed_size: 0
    .sgpr_count:     28
    .sgpr_spill_count: 0
    .symbol:         _ZN7rocprim17ROCPRIM_400000_NS6detail17trampoline_kernelINS0_14default_configENS1_35adjacent_difference_config_selectorILb0ElEEZNS1_24adjacent_difference_implIS3_Lb0ELb0EPlS7_ZN2at6native12_GLOBAL__N_124unique_dim_cuda_templateIjEESt5tupleIJNS8_6TensorESD_SD_EERKSD_lbbbEUlllE1_EE10hipError_tPvRmT2_T3_mT4_P12ihipStream_tbEUlT_E_NS1_11comp_targetILNS1_3genE9ELNS1_11target_archE1100ELNS1_3gpuE3ELNS1_3repE0EEENS1_30default_config_static_selectorELNS0_4arch9wavefront6targetE0EEEvT1_.kd
    .uniform_work_group_size: 1
    .uses_dynamic_stack: false
    .vgpr_count:     13
    .vgpr_spill_count: 0
    .wavefront_size: 32
    .workgroup_processor_mode: 1
  - .args:
      - .offset:         0
        .size:           64
        .value_kind:     by_value
    .group_segment_fixed_size: 0
    .kernarg_segment_align: 8
    .kernarg_segment_size: 64
    .language:       OpenCL C
    .language_version:
      - 2
      - 0
    .max_flat_workgroup_size: 1024
    .name:           _ZN7rocprim17ROCPRIM_400000_NS6detail17trampoline_kernelINS0_14default_configENS1_35adjacent_difference_config_selectorILb0ElEEZNS1_24adjacent_difference_implIS3_Lb0ELb0EPlS7_ZN2at6native12_GLOBAL__N_124unique_dim_cuda_templateIjEESt5tupleIJNS8_6TensorESD_SD_EERKSD_lbbbEUlllE1_EE10hipError_tPvRmT2_T3_mT4_P12ihipStream_tbEUlT_E_NS1_11comp_targetILNS1_3genE8ELNS1_11target_archE1030ELNS1_3gpuE2ELNS1_3repE0EEENS1_30default_config_static_selectorELNS0_4arch9wavefront6targetE0EEEvT1_
    .private_segment_fixed_size: 0
    .sgpr_count:     0
    .sgpr_spill_count: 0
    .symbol:         _ZN7rocprim17ROCPRIM_400000_NS6detail17trampoline_kernelINS0_14default_configENS1_35adjacent_difference_config_selectorILb0ElEEZNS1_24adjacent_difference_implIS3_Lb0ELb0EPlS7_ZN2at6native12_GLOBAL__N_124unique_dim_cuda_templateIjEESt5tupleIJNS8_6TensorESD_SD_EERKSD_lbbbEUlllE1_EE10hipError_tPvRmT2_T3_mT4_P12ihipStream_tbEUlT_E_NS1_11comp_targetILNS1_3genE8ELNS1_11target_archE1030ELNS1_3gpuE2ELNS1_3repE0EEENS1_30default_config_static_selectorELNS0_4arch9wavefront6targetE0EEEvT1_.kd
    .uniform_work_group_size: 1
    .uses_dynamic_stack: false
    .vgpr_count:     0
    .vgpr_spill_count: 0
    .wavefront_size: 32
    .workgroup_processor_mode: 1
  - .args:
      - .offset:         0
        .size:           56
        .value_kind:     by_value
    .group_segment_fixed_size: 0
    .kernarg_segment_align: 8
    .kernarg_segment_size: 56
    .language:       OpenCL C
    .language_version:
      - 2
      - 0
    .max_flat_workgroup_size: 128
    .name:           _ZN7rocprim17ROCPRIM_400000_NS6detail17trampoline_kernelINS0_14default_configENS1_25transform_config_selectorIlLb0EEEZNS1_14transform_implILb0ES3_S5_NS0_18transform_iteratorINS0_17counting_iteratorImlEEZNS1_24adjacent_difference_implIS3_Lb1ELb0EPlSB_ZN2at6native12_GLOBAL__N_124unique_dim_cuda_templateIjEESt5tupleIJNSC_6TensorESH_SH_EERKSH_lbbbEUlllE1_EE10hipError_tPvRmT2_T3_mT4_P12ihipStream_tbEUlmE_lEESB_NS0_8identityIvEEEESM_SP_SQ_mSR_ST_bEUlT_E_NS1_11comp_targetILNS1_3genE0ELNS1_11target_archE4294967295ELNS1_3gpuE0ELNS1_3repE0EEENS1_30default_config_static_selectorELNS0_4arch9wavefront6targetE0EEEvT1_
    .private_segment_fixed_size: 0
    .sgpr_count:     0
    .sgpr_spill_count: 0
    .symbol:         _ZN7rocprim17ROCPRIM_400000_NS6detail17trampoline_kernelINS0_14default_configENS1_25transform_config_selectorIlLb0EEEZNS1_14transform_implILb0ES3_S5_NS0_18transform_iteratorINS0_17counting_iteratorImlEEZNS1_24adjacent_difference_implIS3_Lb1ELb0EPlSB_ZN2at6native12_GLOBAL__N_124unique_dim_cuda_templateIjEESt5tupleIJNSC_6TensorESH_SH_EERKSH_lbbbEUlllE1_EE10hipError_tPvRmT2_T3_mT4_P12ihipStream_tbEUlmE_lEESB_NS0_8identityIvEEEESM_SP_SQ_mSR_ST_bEUlT_E_NS1_11comp_targetILNS1_3genE0ELNS1_11target_archE4294967295ELNS1_3gpuE0ELNS1_3repE0EEENS1_30default_config_static_selectorELNS0_4arch9wavefront6targetE0EEEvT1_.kd
    .uniform_work_group_size: 1
    .uses_dynamic_stack: false
    .vgpr_count:     0
    .vgpr_spill_count: 0
    .wavefront_size: 32
    .workgroup_processor_mode: 1
  - .args:
      - .offset:         0
        .size:           56
        .value_kind:     by_value
    .group_segment_fixed_size: 0
    .kernarg_segment_align: 8
    .kernarg_segment_size: 56
    .language:       OpenCL C
    .language_version:
      - 2
      - 0
    .max_flat_workgroup_size: 512
    .name:           _ZN7rocprim17ROCPRIM_400000_NS6detail17trampoline_kernelINS0_14default_configENS1_25transform_config_selectorIlLb0EEEZNS1_14transform_implILb0ES3_S5_NS0_18transform_iteratorINS0_17counting_iteratorImlEEZNS1_24adjacent_difference_implIS3_Lb1ELb0EPlSB_ZN2at6native12_GLOBAL__N_124unique_dim_cuda_templateIjEESt5tupleIJNSC_6TensorESH_SH_EERKSH_lbbbEUlllE1_EE10hipError_tPvRmT2_T3_mT4_P12ihipStream_tbEUlmE_lEESB_NS0_8identityIvEEEESM_SP_SQ_mSR_ST_bEUlT_E_NS1_11comp_targetILNS1_3genE5ELNS1_11target_archE942ELNS1_3gpuE9ELNS1_3repE0EEENS1_30default_config_static_selectorELNS0_4arch9wavefront6targetE0EEEvT1_
    .private_segment_fixed_size: 0
    .sgpr_count:     0
    .sgpr_spill_count: 0
    .symbol:         _ZN7rocprim17ROCPRIM_400000_NS6detail17trampoline_kernelINS0_14default_configENS1_25transform_config_selectorIlLb0EEEZNS1_14transform_implILb0ES3_S5_NS0_18transform_iteratorINS0_17counting_iteratorImlEEZNS1_24adjacent_difference_implIS3_Lb1ELb0EPlSB_ZN2at6native12_GLOBAL__N_124unique_dim_cuda_templateIjEESt5tupleIJNSC_6TensorESH_SH_EERKSH_lbbbEUlllE1_EE10hipError_tPvRmT2_T3_mT4_P12ihipStream_tbEUlmE_lEESB_NS0_8identityIvEEEESM_SP_SQ_mSR_ST_bEUlT_E_NS1_11comp_targetILNS1_3genE5ELNS1_11target_archE942ELNS1_3gpuE9ELNS1_3repE0EEENS1_30default_config_static_selectorELNS0_4arch9wavefront6targetE0EEEvT1_.kd
    .uniform_work_group_size: 1
    .uses_dynamic_stack: false
    .vgpr_count:     0
    .vgpr_spill_count: 0
    .wavefront_size: 32
    .workgroup_processor_mode: 1
  - .args:
      - .offset:         0
        .size:           56
        .value_kind:     by_value
    .group_segment_fixed_size: 0
    .kernarg_segment_align: 8
    .kernarg_segment_size: 56
    .language:       OpenCL C
    .language_version:
      - 2
      - 0
    .max_flat_workgroup_size: 256
    .name:           _ZN7rocprim17ROCPRIM_400000_NS6detail17trampoline_kernelINS0_14default_configENS1_25transform_config_selectorIlLb0EEEZNS1_14transform_implILb0ES3_S5_NS0_18transform_iteratorINS0_17counting_iteratorImlEEZNS1_24adjacent_difference_implIS3_Lb1ELb0EPlSB_ZN2at6native12_GLOBAL__N_124unique_dim_cuda_templateIjEESt5tupleIJNSC_6TensorESH_SH_EERKSH_lbbbEUlllE1_EE10hipError_tPvRmT2_T3_mT4_P12ihipStream_tbEUlmE_lEESB_NS0_8identityIvEEEESM_SP_SQ_mSR_ST_bEUlT_E_NS1_11comp_targetILNS1_3genE4ELNS1_11target_archE910ELNS1_3gpuE8ELNS1_3repE0EEENS1_30default_config_static_selectorELNS0_4arch9wavefront6targetE0EEEvT1_
    .private_segment_fixed_size: 0
    .sgpr_count:     0
    .sgpr_spill_count: 0
    .symbol:         _ZN7rocprim17ROCPRIM_400000_NS6detail17trampoline_kernelINS0_14default_configENS1_25transform_config_selectorIlLb0EEEZNS1_14transform_implILb0ES3_S5_NS0_18transform_iteratorINS0_17counting_iteratorImlEEZNS1_24adjacent_difference_implIS3_Lb1ELb0EPlSB_ZN2at6native12_GLOBAL__N_124unique_dim_cuda_templateIjEESt5tupleIJNSC_6TensorESH_SH_EERKSH_lbbbEUlllE1_EE10hipError_tPvRmT2_T3_mT4_P12ihipStream_tbEUlmE_lEESB_NS0_8identityIvEEEESM_SP_SQ_mSR_ST_bEUlT_E_NS1_11comp_targetILNS1_3genE4ELNS1_11target_archE910ELNS1_3gpuE8ELNS1_3repE0EEENS1_30default_config_static_selectorELNS0_4arch9wavefront6targetE0EEEvT1_.kd
    .uniform_work_group_size: 1
    .uses_dynamic_stack: false
    .vgpr_count:     0
    .vgpr_spill_count: 0
    .wavefront_size: 32
    .workgroup_processor_mode: 1
  - .args:
      - .offset:         0
        .size:           56
        .value_kind:     by_value
    .group_segment_fixed_size: 0
    .kernarg_segment_align: 8
    .kernarg_segment_size: 56
    .language:       OpenCL C
    .language_version:
      - 2
      - 0
    .max_flat_workgroup_size: 128
    .name:           _ZN7rocprim17ROCPRIM_400000_NS6detail17trampoline_kernelINS0_14default_configENS1_25transform_config_selectorIlLb0EEEZNS1_14transform_implILb0ES3_S5_NS0_18transform_iteratorINS0_17counting_iteratorImlEEZNS1_24adjacent_difference_implIS3_Lb1ELb0EPlSB_ZN2at6native12_GLOBAL__N_124unique_dim_cuda_templateIjEESt5tupleIJNSC_6TensorESH_SH_EERKSH_lbbbEUlllE1_EE10hipError_tPvRmT2_T3_mT4_P12ihipStream_tbEUlmE_lEESB_NS0_8identityIvEEEESM_SP_SQ_mSR_ST_bEUlT_E_NS1_11comp_targetILNS1_3genE3ELNS1_11target_archE908ELNS1_3gpuE7ELNS1_3repE0EEENS1_30default_config_static_selectorELNS0_4arch9wavefront6targetE0EEEvT1_
    .private_segment_fixed_size: 0
    .sgpr_count:     0
    .sgpr_spill_count: 0
    .symbol:         _ZN7rocprim17ROCPRIM_400000_NS6detail17trampoline_kernelINS0_14default_configENS1_25transform_config_selectorIlLb0EEEZNS1_14transform_implILb0ES3_S5_NS0_18transform_iteratorINS0_17counting_iteratorImlEEZNS1_24adjacent_difference_implIS3_Lb1ELb0EPlSB_ZN2at6native12_GLOBAL__N_124unique_dim_cuda_templateIjEESt5tupleIJNSC_6TensorESH_SH_EERKSH_lbbbEUlllE1_EE10hipError_tPvRmT2_T3_mT4_P12ihipStream_tbEUlmE_lEESB_NS0_8identityIvEEEESM_SP_SQ_mSR_ST_bEUlT_E_NS1_11comp_targetILNS1_3genE3ELNS1_11target_archE908ELNS1_3gpuE7ELNS1_3repE0EEENS1_30default_config_static_selectorELNS0_4arch9wavefront6targetE0EEEvT1_.kd
    .uniform_work_group_size: 1
    .uses_dynamic_stack: false
    .vgpr_count:     0
    .vgpr_spill_count: 0
    .wavefront_size: 32
    .workgroup_processor_mode: 1
  - .args:
      - .offset:         0
        .size:           56
        .value_kind:     by_value
    .group_segment_fixed_size: 0
    .kernarg_segment_align: 8
    .kernarg_segment_size: 56
    .language:       OpenCL C
    .language_version:
      - 2
      - 0
    .max_flat_workgroup_size: 512
    .name:           _ZN7rocprim17ROCPRIM_400000_NS6detail17trampoline_kernelINS0_14default_configENS1_25transform_config_selectorIlLb0EEEZNS1_14transform_implILb0ES3_S5_NS0_18transform_iteratorINS0_17counting_iteratorImlEEZNS1_24adjacent_difference_implIS3_Lb1ELb0EPlSB_ZN2at6native12_GLOBAL__N_124unique_dim_cuda_templateIjEESt5tupleIJNSC_6TensorESH_SH_EERKSH_lbbbEUlllE1_EE10hipError_tPvRmT2_T3_mT4_P12ihipStream_tbEUlmE_lEESB_NS0_8identityIvEEEESM_SP_SQ_mSR_ST_bEUlT_E_NS1_11comp_targetILNS1_3genE2ELNS1_11target_archE906ELNS1_3gpuE6ELNS1_3repE0EEENS1_30default_config_static_selectorELNS0_4arch9wavefront6targetE0EEEvT1_
    .private_segment_fixed_size: 0
    .sgpr_count:     0
    .sgpr_spill_count: 0
    .symbol:         _ZN7rocprim17ROCPRIM_400000_NS6detail17trampoline_kernelINS0_14default_configENS1_25transform_config_selectorIlLb0EEEZNS1_14transform_implILb0ES3_S5_NS0_18transform_iteratorINS0_17counting_iteratorImlEEZNS1_24adjacent_difference_implIS3_Lb1ELb0EPlSB_ZN2at6native12_GLOBAL__N_124unique_dim_cuda_templateIjEESt5tupleIJNSC_6TensorESH_SH_EERKSH_lbbbEUlllE1_EE10hipError_tPvRmT2_T3_mT4_P12ihipStream_tbEUlmE_lEESB_NS0_8identityIvEEEESM_SP_SQ_mSR_ST_bEUlT_E_NS1_11comp_targetILNS1_3genE2ELNS1_11target_archE906ELNS1_3gpuE6ELNS1_3repE0EEENS1_30default_config_static_selectorELNS0_4arch9wavefront6targetE0EEEvT1_.kd
    .uniform_work_group_size: 1
    .uses_dynamic_stack: false
    .vgpr_count:     0
    .vgpr_spill_count: 0
    .wavefront_size: 32
    .workgroup_processor_mode: 1
  - .args:
      - .offset:         0
        .size:           56
        .value_kind:     by_value
    .group_segment_fixed_size: 0
    .kernarg_segment_align: 8
    .kernarg_segment_size: 56
    .language:       OpenCL C
    .language_version:
      - 2
      - 0
    .max_flat_workgroup_size: 1024
    .name:           _ZN7rocprim17ROCPRIM_400000_NS6detail17trampoline_kernelINS0_14default_configENS1_25transform_config_selectorIlLb0EEEZNS1_14transform_implILb0ES3_S5_NS0_18transform_iteratorINS0_17counting_iteratorImlEEZNS1_24adjacent_difference_implIS3_Lb1ELb0EPlSB_ZN2at6native12_GLOBAL__N_124unique_dim_cuda_templateIjEESt5tupleIJNSC_6TensorESH_SH_EERKSH_lbbbEUlllE1_EE10hipError_tPvRmT2_T3_mT4_P12ihipStream_tbEUlmE_lEESB_NS0_8identityIvEEEESM_SP_SQ_mSR_ST_bEUlT_E_NS1_11comp_targetILNS1_3genE10ELNS1_11target_archE1201ELNS1_3gpuE5ELNS1_3repE0EEENS1_30default_config_static_selectorELNS0_4arch9wavefront6targetE0EEEvT1_
    .private_segment_fixed_size: 0
    .sgpr_count:     0
    .sgpr_spill_count: 0
    .symbol:         _ZN7rocprim17ROCPRIM_400000_NS6detail17trampoline_kernelINS0_14default_configENS1_25transform_config_selectorIlLb0EEEZNS1_14transform_implILb0ES3_S5_NS0_18transform_iteratorINS0_17counting_iteratorImlEEZNS1_24adjacent_difference_implIS3_Lb1ELb0EPlSB_ZN2at6native12_GLOBAL__N_124unique_dim_cuda_templateIjEESt5tupleIJNSC_6TensorESH_SH_EERKSH_lbbbEUlllE1_EE10hipError_tPvRmT2_T3_mT4_P12ihipStream_tbEUlmE_lEESB_NS0_8identityIvEEEESM_SP_SQ_mSR_ST_bEUlT_E_NS1_11comp_targetILNS1_3genE10ELNS1_11target_archE1201ELNS1_3gpuE5ELNS1_3repE0EEENS1_30default_config_static_selectorELNS0_4arch9wavefront6targetE0EEEvT1_.kd
    .uniform_work_group_size: 1
    .uses_dynamic_stack: false
    .vgpr_count:     0
    .vgpr_spill_count: 0
    .wavefront_size: 32
    .workgroup_processor_mode: 1
  - .args:
      - .offset:         0
        .size:           56
        .value_kind:     by_value
    .group_segment_fixed_size: 0
    .kernarg_segment_align: 8
    .kernarg_segment_size: 56
    .language:       OpenCL C
    .language_version:
      - 2
      - 0
    .max_flat_workgroup_size: 512
    .name:           _ZN7rocprim17ROCPRIM_400000_NS6detail17trampoline_kernelINS0_14default_configENS1_25transform_config_selectorIlLb0EEEZNS1_14transform_implILb0ES3_S5_NS0_18transform_iteratorINS0_17counting_iteratorImlEEZNS1_24adjacent_difference_implIS3_Lb1ELb0EPlSB_ZN2at6native12_GLOBAL__N_124unique_dim_cuda_templateIjEESt5tupleIJNSC_6TensorESH_SH_EERKSH_lbbbEUlllE1_EE10hipError_tPvRmT2_T3_mT4_P12ihipStream_tbEUlmE_lEESB_NS0_8identityIvEEEESM_SP_SQ_mSR_ST_bEUlT_E_NS1_11comp_targetILNS1_3genE10ELNS1_11target_archE1200ELNS1_3gpuE4ELNS1_3repE0EEENS1_30default_config_static_selectorELNS0_4arch9wavefront6targetE0EEEvT1_
    .private_segment_fixed_size: 0
    .sgpr_count:     0
    .sgpr_spill_count: 0
    .symbol:         _ZN7rocprim17ROCPRIM_400000_NS6detail17trampoline_kernelINS0_14default_configENS1_25transform_config_selectorIlLb0EEEZNS1_14transform_implILb0ES3_S5_NS0_18transform_iteratorINS0_17counting_iteratorImlEEZNS1_24adjacent_difference_implIS3_Lb1ELb0EPlSB_ZN2at6native12_GLOBAL__N_124unique_dim_cuda_templateIjEESt5tupleIJNSC_6TensorESH_SH_EERKSH_lbbbEUlllE1_EE10hipError_tPvRmT2_T3_mT4_P12ihipStream_tbEUlmE_lEESB_NS0_8identityIvEEEESM_SP_SQ_mSR_ST_bEUlT_E_NS1_11comp_targetILNS1_3genE10ELNS1_11target_archE1200ELNS1_3gpuE4ELNS1_3repE0EEENS1_30default_config_static_selectorELNS0_4arch9wavefront6targetE0EEEvT1_.kd
    .uniform_work_group_size: 1
    .uses_dynamic_stack: false
    .vgpr_count:     0
    .vgpr_spill_count: 0
    .wavefront_size: 32
    .workgroup_processor_mode: 1
  - .args:
      - .offset:         0
        .size:           56
        .value_kind:     by_value
      - .offset:         56
        .size:           4
        .value_kind:     hidden_block_count_x
      - .offset:         60
        .size:           4
        .value_kind:     hidden_block_count_y
      - .offset:         64
        .size:           4
        .value_kind:     hidden_block_count_z
      - .offset:         68
        .size:           2
        .value_kind:     hidden_group_size_x
      - .offset:         70
        .size:           2
        .value_kind:     hidden_group_size_y
      - .offset:         72
        .size:           2
        .value_kind:     hidden_group_size_z
      - .offset:         74
        .size:           2
        .value_kind:     hidden_remainder_x
      - .offset:         76
        .size:           2
        .value_kind:     hidden_remainder_y
      - .offset:         78
        .size:           2
        .value_kind:     hidden_remainder_z
      - .offset:         96
        .size:           8
        .value_kind:     hidden_global_offset_x
      - .offset:         104
        .size:           8
        .value_kind:     hidden_global_offset_y
      - .offset:         112
        .size:           8
        .value_kind:     hidden_global_offset_z
      - .offset:         120
        .size:           2
        .value_kind:     hidden_grid_dims
    .group_segment_fixed_size: 0
    .kernarg_segment_align: 8
    .kernarg_segment_size: 312
    .language:       OpenCL C
    .language_version:
      - 2
      - 0
    .max_flat_workgroup_size: 512
    .name:           _ZN7rocprim17ROCPRIM_400000_NS6detail17trampoline_kernelINS0_14default_configENS1_25transform_config_selectorIlLb0EEEZNS1_14transform_implILb0ES3_S5_NS0_18transform_iteratorINS0_17counting_iteratorImlEEZNS1_24adjacent_difference_implIS3_Lb1ELb0EPlSB_ZN2at6native12_GLOBAL__N_124unique_dim_cuda_templateIjEESt5tupleIJNSC_6TensorESH_SH_EERKSH_lbbbEUlllE1_EE10hipError_tPvRmT2_T3_mT4_P12ihipStream_tbEUlmE_lEESB_NS0_8identityIvEEEESM_SP_SQ_mSR_ST_bEUlT_E_NS1_11comp_targetILNS1_3genE9ELNS1_11target_archE1100ELNS1_3gpuE3ELNS1_3repE0EEENS1_30default_config_static_selectorELNS0_4arch9wavefront6targetE0EEEvT1_
    .private_segment_fixed_size: 0
    .sgpr_count:     18
    .sgpr_spill_count: 0
    .symbol:         _ZN7rocprim17ROCPRIM_400000_NS6detail17trampoline_kernelINS0_14default_configENS1_25transform_config_selectorIlLb0EEEZNS1_14transform_implILb0ES3_S5_NS0_18transform_iteratorINS0_17counting_iteratorImlEEZNS1_24adjacent_difference_implIS3_Lb1ELb0EPlSB_ZN2at6native12_GLOBAL__N_124unique_dim_cuda_templateIjEESt5tupleIJNSC_6TensorESH_SH_EERKSH_lbbbEUlllE1_EE10hipError_tPvRmT2_T3_mT4_P12ihipStream_tbEUlmE_lEESB_NS0_8identityIvEEEESM_SP_SQ_mSR_ST_bEUlT_E_NS1_11comp_targetILNS1_3genE9ELNS1_11target_archE1100ELNS1_3gpuE3ELNS1_3repE0EEENS1_30default_config_static_selectorELNS0_4arch9wavefront6targetE0EEEvT1_.kd
    .uniform_work_group_size: 1
    .uses_dynamic_stack: false
    .vgpr_count:     6
    .vgpr_spill_count: 0
    .wavefront_size: 32
    .workgroup_processor_mode: 1
  - .args:
      - .offset:         0
        .size:           56
        .value_kind:     by_value
    .group_segment_fixed_size: 0
    .kernarg_segment_align: 8
    .kernarg_segment_size: 56
    .language:       OpenCL C
    .language_version:
      - 2
      - 0
    .max_flat_workgroup_size: 512
    .name:           _ZN7rocprim17ROCPRIM_400000_NS6detail17trampoline_kernelINS0_14default_configENS1_25transform_config_selectorIlLb0EEEZNS1_14transform_implILb0ES3_S5_NS0_18transform_iteratorINS0_17counting_iteratorImlEEZNS1_24adjacent_difference_implIS3_Lb1ELb0EPlSB_ZN2at6native12_GLOBAL__N_124unique_dim_cuda_templateIjEESt5tupleIJNSC_6TensorESH_SH_EERKSH_lbbbEUlllE1_EE10hipError_tPvRmT2_T3_mT4_P12ihipStream_tbEUlmE_lEESB_NS0_8identityIvEEEESM_SP_SQ_mSR_ST_bEUlT_E_NS1_11comp_targetILNS1_3genE8ELNS1_11target_archE1030ELNS1_3gpuE2ELNS1_3repE0EEENS1_30default_config_static_selectorELNS0_4arch9wavefront6targetE0EEEvT1_
    .private_segment_fixed_size: 0
    .sgpr_count:     0
    .sgpr_spill_count: 0
    .symbol:         _ZN7rocprim17ROCPRIM_400000_NS6detail17trampoline_kernelINS0_14default_configENS1_25transform_config_selectorIlLb0EEEZNS1_14transform_implILb0ES3_S5_NS0_18transform_iteratorINS0_17counting_iteratorImlEEZNS1_24adjacent_difference_implIS3_Lb1ELb0EPlSB_ZN2at6native12_GLOBAL__N_124unique_dim_cuda_templateIjEESt5tupleIJNSC_6TensorESH_SH_EERKSH_lbbbEUlllE1_EE10hipError_tPvRmT2_T3_mT4_P12ihipStream_tbEUlmE_lEESB_NS0_8identityIvEEEESM_SP_SQ_mSR_ST_bEUlT_E_NS1_11comp_targetILNS1_3genE8ELNS1_11target_archE1030ELNS1_3gpuE2ELNS1_3repE0EEENS1_30default_config_static_selectorELNS0_4arch9wavefront6targetE0EEEvT1_.kd
    .uniform_work_group_size: 1
    .uses_dynamic_stack: false
    .vgpr_count:     0
    .vgpr_spill_count: 0
    .wavefront_size: 32
    .workgroup_processor_mode: 1
  - .args:
      - .offset:         0
        .size:           64
        .value_kind:     by_value
    .group_segment_fixed_size: 0
    .kernarg_segment_align: 8
    .kernarg_segment_size: 64
    .language:       OpenCL C
    .language_version:
      - 2
      - 0
    .max_flat_workgroup_size: 512
    .name:           _ZN7rocprim17ROCPRIM_400000_NS6detail17trampoline_kernelINS0_14default_configENS1_35adjacent_difference_config_selectorILb1ElEEZNS1_24adjacent_difference_implIS3_Lb1ELb0EPlS7_ZN2at6native12_GLOBAL__N_124unique_dim_cuda_templateIjEESt5tupleIJNS8_6TensorESD_SD_EERKSD_lbbbEUlllE1_EE10hipError_tPvRmT2_T3_mT4_P12ihipStream_tbEUlT_E_NS1_11comp_targetILNS1_3genE0ELNS1_11target_archE4294967295ELNS1_3gpuE0ELNS1_3repE0EEENS1_30default_config_static_selectorELNS0_4arch9wavefront6targetE0EEEvT1_
    .private_segment_fixed_size: 0
    .sgpr_count:     0
    .sgpr_spill_count: 0
    .symbol:         _ZN7rocprim17ROCPRIM_400000_NS6detail17trampoline_kernelINS0_14default_configENS1_35adjacent_difference_config_selectorILb1ElEEZNS1_24adjacent_difference_implIS3_Lb1ELb0EPlS7_ZN2at6native12_GLOBAL__N_124unique_dim_cuda_templateIjEESt5tupleIJNS8_6TensorESD_SD_EERKSD_lbbbEUlllE1_EE10hipError_tPvRmT2_T3_mT4_P12ihipStream_tbEUlT_E_NS1_11comp_targetILNS1_3genE0ELNS1_11target_archE4294967295ELNS1_3gpuE0ELNS1_3repE0EEENS1_30default_config_static_selectorELNS0_4arch9wavefront6targetE0EEEvT1_.kd
    .uniform_work_group_size: 1
    .uses_dynamic_stack: false
    .vgpr_count:     0
    .vgpr_spill_count: 0
    .wavefront_size: 32
    .workgroup_processor_mode: 1
  - .args:
      - .offset:         0
        .size:           64
        .value_kind:     by_value
    .group_segment_fixed_size: 0
    .kernarg_segment_align: 8
    .kernarg_segment_size: 64
    .language:       OpenCL C
    .language_version:
      - 2
      - 0
    .max_flat_workgroup_size: 32
    .name:           _ZN7rocprim17ROCPRIM_400000_NS6detail17trampoline_kernelINS0_14default_configENS1_35adjacent_difference_config_selectorILb1ElEEZNS1_24adjacent_difference_implIS3_Lb1ELb0EPlS7_ZN2at6native12_GLOBAL__N_124unique_dim_cuda_templateIjEESt5tupleIJNS8_6TensorESD_SD_EERKSD_lbbbEUlllE1_EE10hipError_tPvRmT2_T3_mT4_P12ihipStream_tbEUlT_E_NS1_11comp_targetILNS1_3genE10ELNS1_11target_archE1201ELNS1_3gpuE5ELNS1_3repE0EEENS1_30default_config_static_selectorELNS0_4arch9wavefront6targetE0EEEvT1_
    .private_segment_fixed_size: 0
    .sgpr_count:     0
    .sgpr_spill_count: 0
    .symbol:         _ZN7rocprim17ROCPRIM_400000_NS6detail17trampoline_kernelINS0_14default_configENS1_35adjacent_difference_config_selectorILb1ElEEZNS1_24adjacent_difference_implIS3_Lb1ELb0EPlS7_ZN2at6native12_GLOBAL__N_124unique_dim_cuda_templateIjEESt5tupleIJNS8_6TensorESD_SD_EERKSD_lbbbEUlllE1_EE10hipError_tPvRmT2_T3_mT4_P12ihipStream_tbEUlT_E_NS1_11comp_targetILNS1_3genE10ELNS1_11target_archE1201ELNS1_3gpuE5ELNS1_3repE0EEENS1_30default_config_static_selectorELNS0_4arch9wavefront6targetE0EEEvT1_.kd
    .uniform_work_group_size: 1
    .uses_dynamic_stack: false
    .vgpr_count:     0
    .vgpr_spill_count: 0
    .wavefront_size: 32
    .workgroup_processor_mode: 1
  - .args:
      - .offset:         0
        .size:           64
        .value_kind:     by_value
    .group_segment_fixed_size: 0
    .kernarg_segment_align: 8
    .kernarg_segment_size: 64
    .language:       OpenCL C
    .language_version:
      - 2
      - 0
    .max_flat_workgroup_size: 256
    .name:           _ZN7rocprim17ROCPRIM_400000_NS6detail17trampoline_kernelINS0_14default_configENS1_35adjacent_difference_config_selectorILb1ElEEZNS1_24adjacent_difference_implIS3_Lb1ELb0EPlS7_ZN2at6native12_GLOBAL__N_124unique_dim_cuda_templateIjEESt5tupleIJNS8_6TensorESD_SD_EERKSD_lbbbEUlllE1_EE10hipError_tPvRmT2_T3_mT4_P12ihipStream_tbEUlT_E_NS1_11comp_targetILNS1_3genE5ELNS1_11target_archE942ELNS1_3gpuE9ELNS1_3repE0EEENS1_30default_config_static_selectorELNS0_4arch9wavefront6targetE0EEEvT1_
    .private_segment_fixed_size: 0
    .sgpr_count:     0
    .sgpr_spill_count: 0
    .symbol:         _ZN7rocprim17ROCPRIM_400000_NS6detail17trampoline_kernelINS0_14default_configENS1_35adjacent_difference_config_selectorILb1ElEEZNS1_24adjacent_difference_implIS3_Lb1ELb0EPlS7_ZN2at6native12_GLOBAL__N_124unique_dim_cuda_templateIjEESt5tupleIJNS8_6TensorESD_SD_EERKSD_lbbbEUlllE1_EE10hipError_tPvRmT2_T3_mT4_P12ihipStream_tbEUlT_E_NS1_11comp_targetILNS1_3genE5ELNS1_11target_archE942ELNS1_3gpuE9ELNS1_3repE0EEENS1_30default_config_static_selectorELNS0_4arch9wavefront6targetE0EEEvT1_.kd
    .uniform_work_group_size: 1
    .uses_dynamic_stack: false
    .vgpr_count:     0
    .vgpr_spill_count: 0
    .wavefront_size: 32
    .workgroup_processor_mode: 1
  - .args:
      - .offset:         0
        .size:           64
        .value_kind:     by_value
    .group_segment_fixed_size: 0
    .kernarg_segment_align: 8
    .kernarg_segment_size: 64
    .language:       OpenCL C
    .language_version:
      - 2
      - 0
    .max_flat_workgroup_size: 512
    .name:           _ZN7rocprim17ROCPRIM_400000_NS6detail17trampoline_kernelINS0_14default_configENS1_35adjacent_difference_config_selectorILb1ElEEZNS1_24adjacent_difference_implIS3_Lb1ELb0EPlS7_ZN2at6native12_GLOBAL__N_124unique_dim_cuda_templateIjEESt5tupleIJNS8_6TensorESD_SD_EERKSD_lbbbEUlllE1_EE10hipError_tPvRmT2_T3_mT4_P12ihipStream_tbEUlT_E_NS1_11comp_targetILNS1_3genE4ELNS1_11target_archE910ELNS1_3gpuE8ELNS1_3repE0EEENS1_30default_config_static_selectorELNS0_4arch9wavefront6targetE0EEEvT1_
    .private_segment_fixed_size: 0
    .sgpr_count:     0
    .sgpr_spill_count: 0
    .symbol:         _ZN7rocprim17ROCPRIM_400000_NS6detail17trampoline_kernelINS0_14default_configENS1_35adjacent_difference_config_selectorILb1ElEEZNS1_24adjacent_difference_implIS3_Lb1ELb0EPlS7_ZN2at6native12_GLOBAL__N_124unique_dim_cuda_templateIjEESt5tupleIJNS8_6TensorESD_SD_EERKSD_lbbbEUlllE1_EE10hipError_tPvRmT2_T3_mT4_P12ihipStream_tbEUlT_E_NS1_11comp_targetILNS1_3genE4ELNS1_11target_archE910ELNS1_3gpuE8ELNS1_3repE0EEENS1_30default_config_static_selectorELNS0_4arch9wavefront6targetE0EEEvT1_.kd
    .uniform_work_group_size: 1
    .uses_dynamic_stack: false
    .vgpr_count:     0
    .vgpr_spill_count: 0
    .wavefront_size: 32
    .workgroup_processor_mode: 1
  - .args:
      - .offset:         0
        .size:           64
        .value_kind:     by_value
    .group_segment_fixed_size: 0
    .kernarg_segment_align: 8
    .kernarg_segment_size: 64
    .language:       OpenCL C
    .language_version:
      - 2
      - 0
    .max_flat_workgroup_size: 512
    .name:           _ZN7rocprim17ROCPRIM_400000_NS6detail17trampoline_kernelINS0_14default_configENS1_35adjacent_difference_config_selectorILb1ElEEZNS1_24adjacent_difference_implIS3_Lb1ELb0EPlS7_ZN2at6native12_GLOBAL__N_124unique_dim_cuda_templateIjEESt5tupleIJNS8_6TensorESD_SD_EERKSD_lbbbEUlllE1_EE10hipError_tPvRmT2_T3_mT4_P12ihipStream_tbEUlT_E_NS1_11comp_targetILNS1_3genE3ELNS1_11target_archE908ELNS1_3gpuE7ELNS1_3repE0EEENS1_30default_config_static_selectorELNS0_4arch9wavefront6targetE0EEEvT1_
    .private_segment_fixed_size: 0
    .sgpr_count:     0
    .sgpr_spill_count: 0
    .symbol:         _ZN7rocprim17ROCPRIM_400000_NS6detail17trampoline_kernelINS0_14default_configENS1_35adjacent_difference_config_selectorILb1ElEEZNS1_24adjacent_difference_implIS3_Lb1ELb0EPlS7_ZN2at6native12_GLOBAL__N_124unique_dim_cuda_templateIjEESt5tupleIJNS8_6TensorESD_SD_EERKSD_lbbbEUlllE1_EE10hipError_tPvRmT2_T3_mT4_P12ihipStream_tbEUlT_E_NS1_11comp_targetILNS1_3genE3ELNS1_11target_archE908ELNS1_3gpuE7ELNS1_3repE0EEENS1_30default_config_static_selectorELNS0_4arch9wavefront6targetE0EEEvT1_.kd
    .uniform_work_group_size: 1
    .uses_dynamic_stack: false
    .vgpr_count:     0
    .vgpr_spill_count: 0
    .wavefront_size: 32
    .workgroup_processor_mode: 1
  - .args:
      - .offset:         0
        .size:           64
        .value_kind:     by_value
    .group_segment_fixed_size: 0
    .kernarg_segment_align: 8
    .kernarg_segment_size: 64
    .language:       OpenCL C
    .language_version:
      - 2
      - 0
    .max_flat_workgroup_size: 128
    .name:           _ZN7rocprim17ROCPRIM_400000_NS6detail17trampoline_kernelINS0_14default_configENS1_35adjacent_difference_config_selectorILb1ElEEZNS1_24adjacent_difference_implIS3_Lb1ELb0EPlS7_ZN2at6native12_GLOBAL__N_124unique_dim_cuda_templateIjEESt5tupleIJNS8_6TensorESD_SD_EERKSD_lbbbEUlllE1_EE10hipError_tPvRmT2_T3_mT4_P12ihipStream_tbEUlT_E_NS1_11comp_targetILNS1_3genE2ELNS1_11target_archE906ELNS1_3gpuE6ELNS1_3repE0EEENS1_30default_config_static_selectorELNS0_4arch9wavefront6targetE0EEEvT1_
    .private_segment_fixed_size: 0
    .sgpr_count:     0
    .sgpr_spill_count: 0
    .symbol:         _ZN7rocprim17ROCPRIM_400000_NS6detail17trampoline_kernelINS0_14default_configENS1_35adjacent_difference_config_selectorILb1ElEEZNS1_24adjacent_difference_implIS3_Lb1ELb0EPlS7_ZN2at6native12_GLOBAL__N_124unique_dim_cuda_templateIjEESt5tupleIJNS8_6TensorESD_SD_EERKSD_lbbbEUlllE1_EE10hipError_tPvRmT2_T3_mT4_P12ihipStream_tbEUlT_E_NS1_11comp_targetILNS1_3genE2ELNS1_11target_archE906ELNS1_3gpuE6ELNS1_3repE0EEENS1_30default_config_static_selectorELNS0_4arch9wavefront6targetE0EEEvT1_.kd
    .uniform_work_group_size: 1
    .uses_dynamic_stack: false
    .vgpr_count:     0
    .vgpr_spill_count: 0
    .wavefront_size: 32
    .workgroup_processor_mode: 1
  - .args:
      - .offset:         0
        .size:           64
        .value_kind:     by_value
    .group_segment_fixed_size: 29696
    .kernarg_segment_align: 8
    .kernarg_segment_size: 64
    .language:       OpenCL C
    .language_version:
      - 2
      - 0
    .max_flat_workgroup_size: 128
    .name:           _ZN7rocprim17ROCPRIM_400000_NS6detail17trampoline_kernelINS0_14default_configENS1_35adjacent_difference_config_selectorILb1ElEEZNS1_24adjacent_difference_implIS3_Lb1ELb0EPlS7_ZN2at6native12_GLOBAL__N_124unique_dim_cuda_templateIjEESt5tupleIJNS8_6TensorESD_SD_EERKSD_lbbbEUlllE1_EE10hipError_tPvRmT2_T3_mT4_P12ihipStream_tbEUlT_E_NS1_11comp_targetILNS1_3genE9ELNS1_11target_archE1100ELNS1_3gpuE3ELNS1_3repE0EEENS1_30default_config_static_selectorELNS0_4arch9wavefront6targetE0EEEvT1_
    .private_segment_fixed_size: 0
    .sgpr_count:     32
    .sgpr_spill_count: 0
    .symbol:         _ZN7rocprim17ROCPRIM_400000_NS6detail17trampoline_kernelINS0_14default_configENS1_35adjacent_difference_config_selectorILb1ElEEZNS1_24adjacent_difference_implIS3_Lb1ELb0EPlS7_ZN2at6native12_GLOBAL__N_124unique_dim_cuda_templateIjEESt5tupleIJNS8_6TensorESD_SD_EERKSD_lbbbEUlllE1_EE10hipError_tPvRmT2_T3_mT4_P12ihipStream_tbEUlT_E_NS1_11comp_targetILNS1_3genE9ELNS1_11target_archE1100ELNS1_3gpuE3ELNS1_3repE0EEENS1_30default_config_static_selectorELNS0_4arch9wavefront6targetE0EEEvT1_.kd
    .uniform_work_group_size: 1
    .uses_dynamic_stack: false
    .vgpr_count:     196
    .vgpr_spill_count: 0
    .wavefront_size: 32
    .workgroup_processor_mode: 1
  - .args:
      - .offset:         0
        .size:           64
        .value_kind:     by_value
    .group_segment_fixed_size: 0
    .kernarg_segment_align: 8
    .kernarg_segment_size: 64
    .language:       OpenCL C
    .language_version:
      - 2
      - 0
    .max_flat_workgroup_size: 32
    .name:           _ZN7rocprim17ROCPRIM_400000_NS6detail17trampoline_kernelINS0_14default_configENS1_35adjacent_difference_config_selectorILb1ElEEZNS1_24adjacent_difference_implIS3_Lb1ELb0EPlS7_ZN2at6native12_GLOBAL__N_124unique_dim_cuda_templateIjEESt5tupleIJNS8_6TensorESD_SD_EERKSD_lbbbEUlllE1_EE10hipError_tPvRmT2_T3_mT4_P12ihipStream_tbEUlT_E_NS1_11comp_targetILNS1_3genE8ELNS1_11target_archE1030ELNS1_3gpuE2ELNS1_3repE0EEENS1_30default_config_static_selectorELNS0_4arch9wavefront6targetE0EEEvT1_
    .private_segment_fixed_size: 0
    .sgpr_count:     0
    .sgpr_spill_count: 0
    .symbol:         _ZN7rocprim17ROCPRIM_400000_NS6detail17trampoline_kernelINS0_14default_configENS1_35adjacent_difference_config_selectorILb1ElEEZNS1_24adjacent_difference_implIS3_Lb1ELb0EPlS7_ZN2at6native12_GLOBAL__N_124unique_dim_cuda_templateIjEESt5tupleIJNS8_6TensorESD_SD_EERKSD_lbbbEUlllE1_EE10hipError_tPvRmT2_T3_mT4_P12ihipStream_tbEUlT_E_NS1_11comp_targetILNS1_3genE8ELNS1_11target_archE1030ELNS1_3gpuE2ELNS1_3repE0EEENS1_30default_config_static_selectorELNS0_4arch9wavefront6targetE0EEEvT1_.kd
    .uniform_work_group_size: 1
    .uses_dynamic_stack: false
    .vgpr_count:     0
    .vgpr_spill_count: 0
    .wavefront_size: 32
    .workgroup_processor_mode: 1
  - .args:
      - .offset:         0
        .size:           120
        .value_kind:     by_value
    .group_segment_fixed_size: 0
    .kernarg_segment_align: 8
    .kernarg_segment_size: 120
    .language:       OpenCL C
    .language_version:
      - 2
      - 0
    .max_flat_workgroup_size: 512
    .name:           _ZN7rocprim17ROCPRIM_400000_NS6detail17trampoline_kernelINS0_14default_configENS1_25partition_config_selectorILNS1_17partition_subalgoE8ElNS0_10empty_typeEbEEZZNS1_14partition_implILS5_8ELb0ES3_jPlPS6_PKS6_NS0_5tupleIJS9_S6_EEENSD_IJSA_SA_EEENS0_18inequality_wrapperIZN2at6native12_GLOBAL__N_124unique_dim_cuda_templateIjEESt5tupleIJNSH_6TensorESM_SM_EERKSM_lbbbEUlllE0_EEPmJS6_EEE10hipError_tPvRmT3_T4_T5_T6_T7_T9_mT8_P12ihipStream_tbDpT10_ENKUlT_T0_E_clISt17integral_constantIbLb0EES1C_EEDaS17_S18_EUlS17_E_NS1_11comp_targetILNS1_3genE0ELNS1_11target_archE4294967295ELNS1_3gpuE0ELNS1_3repE0EEENS1_30default_config_static_selectorELNS0_4arch9wavefront6targetE0EEEvT1_
    .private_segment_fixed_size: 0
    .sgpr_count:     0
    .sgpr_spill_count: 0
    .symbol:         _ZN7rocprim17ROCPRIM_400000_NS6detail17trampoline_kernelINS0_14default_configENS1_25partition_config_selectorILNS1_17partition_subalgoE8ElNS0_10empty_typeEbEEZZNS1_14partition_implILS5_8ELb0ES3_jPlPS6_PKS6_NS0_5tupleIJS9_S6_EEENSD_IJSA_SA_EEENS0_18inequality_wrapperIZN2at6native12_GLOBAL__N_124unique_dim_cuda_templateIjEESt5tupleIJNSH_6TensorESM_SM_EERKSM_lbbbEUlllE0_EEPmJS6_EEE10hipError_tPvRmT3_T4_T5_T6_T7_T9_mT8_P12ihipStream_tbDpT10_ENKUlT_T0_E_clISt17integral_constantIbLb0EES1C_EEDaS17_S18_EUlS17_E_NS1_11comp_targetILNS1_3genE0ELNS1_11target_archE4294967295ELNS1_3gpuE0ELNS1_3repE0EEENS1_30default_config_static_selectorELNS0_4arch9wavefront6targetE0EEEvT1_.kd
    .uniform_work_group_size: 1
    .uses_dynamic_stack: false
    .vgpr_count:     0
    .vgpr_spill_count: 0
    .wavefront_size: 32
    .workgroup_processor_mode: 1
  - .args:
      - .offset:         0
        .size:           120
        .value_kind:     by_value
    .group_segment_fixed_size: 0
    .kernarg_segment_align: 8
    .kernarg_segment_size: 120
    .language:       OpenCL C
    .language_version:
      - 2
      - 0
    .max_flat_workgroup_size: 512
    .name:           _ZN7rocprim17ROCPRIM_400000_NS6detail17trampoline_kernelINS0_14default_configENS1_25partition_config_selectorILNS1_17partition_subalgoE8ElNS0_10empty_typeEbEEZZNS1_14partition_implILS5_8ELb0ES3_jPlPS6_PKS6_NS0_5tupleIJS9_S6_EEENSD_IJSA_SA_EEENS0_18inequality_wrapperIZN2at6native12_GLOBAL__N_124unique_dim_cuda_templateIjEESt5tupleIJNSH_6TensorESM_SM_EERKSM_lbbbEUlllE0_EEPmJS6_EEE10hipError_tPvRmT3_T4_T5_T6_T7_T9_mT8_P12ihipStream_tbDpT10_ENKUlT_T0_E_clISt17integral_constantIbLb0EES1C_EEDaS17_S18_EUlS17_E_NS1_11comp_targetILNS1_3genE5ELNS1_11target_archE942ELNS1_3gpuE9ELNS1_3repE0EEENS1_30default_config_static_selectorELNS0_4arch9wavefront6targetE0EEEvT1_
    .private_segment_fixed_size: 0
    .sgpr_count:     0
    .sgpr_spill_count: 0
    .symbol:         _ZN7rocprim17ROCPRIM_400000_NS6detail17trampoline_kernelINS0_14default_configENS1_25partition_config_selectorILNS1_17partition_subalgoE8ElNS0_10empty_typeEbEEZZNS1_14partition_implILS5_8ELb0ES3_jPlPS6_PKS6_NS0_5tupleIJS9_S6_EEENSD_IJSA_SA_EEENS0_18inequality_wrapperIZN2at6native12_GLOBAL__N_124unique_dim_cuda_templateIjEESt5tupleIJNSH_6TensorESM_SM_EERKSM_lbbbEUlllE0_EEPmJS6_EEE10hipError_tPvRmT3_T4_T5_T6_T7_T9_mT8_P12ihipStream_tbDpT10_ENKUlT_T0_E_clISt17integral_constantIbLb0EES1C_EEDaS17_S18_EUlS17_E_NS1_11comp_targetILNS1_3genE5ELNS1_11target_archE942ELNS1_3gpuE9ELNS1_3repE0EEENS1_30default_config_static_selectorELNS0_4arch9wavefront6targetE0EEEvT1_.kd
    .uniform_work_group_size: 1
    .uses_dynamic_stack: false
    .vgpr_count:     0
    .vgpr_spill_count: 0
    .wavefront_size: 32
    .workgroup_processor_mode: 1
  - .args:
      - .offset:         0
        .size:           120
        .value_kind:     by_value
    .group_segment_fixed_size: 0
    .kernarg_segment_align: 8
    .kernarg_segment_size: 120
    .language:       OpenCL C
    .language_version:
      - 2
      - 0
    .max_flat_workgroup_size: 256
    .name:           _ZN7rocprim17ROCPRIM_400000_NS6detail17trampoline_kernelINS0_14default_configENS1_25partition_config_selectorILNS1_17partition_subalgoE8ElNS0_10empty_typeEbEEZZNS1_14partition_implILS5_8ELb0ES3_jPlPS6_PKS6_NS0_5tupleIJS9_S6_EEENSD_IJSA_SA_EEENS0_18inequality_wrapperIZN2at6native12_GLOBAL__N_124unique_dim_cuda_templateIjEESt5tupleIJNSH_6TensorESM_SM_EERKSM_lbbbEUlllE0_EEPmJS6_EEE10hipError_tPvRmT3_T4_T5_T6_T7_T9_mT8_P12ihipStream_tbDpT10_ENKUlT_T0_E_clISt17integral_constantIbLb0EES1C_EEDaS17_S18_EUlS17_E_NS1_11comp_targetILNS1_3genE4ELNS1_11target_archE910ELNS1_3gpuE8ELNS1_3repE0EEENS1_30default_config_static_selectorELNS0_4arch9wavefront6targetE0EEEvT1_
    .private_segment_fixed_size: 0
    .sgpr_count:     0
    .sgpr_spill_count: 0
    .symbol:         _ZN7rocprim17ROCPRIM_400000_NS6detail17trampoline_kernelINS0_14default_configENS1_25partition_config_selectorILNS1_17partition_subalgoE8ElNS0_10empty_typeEbEEZZNS1_14partition_implILS5_8ELb0ES3_jPlPS6_PKS6_NS0_5tupleIJS9_S6_EEENSD_IJSA_SA_EEENS0_18inequality_wrapperIZN2at6native12_GLOBAL__N_124unique_dim_cuda_templateIjEESt5tupleIJNSH_6TensorESM_SM_EERKSM_lbbbEUlllE0_EEPmJS6_EEE10hipError_tPvRmT3_T4_T5_T6_T7_T9_mT8_P12ihipStream_tbDpT10_ENKUlT_T0_E_clISt17integral_constantIbLb0EES1C_EEDaS17_S18_EUlS17_E_NS1_11comp_targetILNS1_3genE4ELNS1_11target_archE910ELNS1_3gpuE8ELNS1_3repE0EEENS1_30default_config_static_selectorELNS0_4arch9wavefront6targetE0EEEvT1_.kd
    .uniform_work_group_size: 1
    .uses_dynamic_stack: false
    .vgpr_count:     0
    .vgpr_spill_count: 0
    .wavefront_size: 32
    .workgroup_processor_mode: 1
  - .args:
      - .offset:         0
        .size:           120
        .value_kind:     by_value
    .group_segment_fixed_size: 0
    .kernarg_segment_align: 8
    .kernarg_segment_size: 120
    .language:       OpenCL C
    .language_version:
      - 2
      - 0
    .max_flat_workgroup_size: 512
    .name:           _ZN7rocprim17ROCPRIM_400000_NS6detail17trampoline_kernelINS0_14default_configENS1_25partition_config_selectorILNS1_17partition_subalgoE8ElNS0_10empty_typeEbEEZZNS1_14partition_implILS5_8ELb0ES3_jPlPS6_PKS6_NS0_5tupleIJS9_S6_EEENSD_IJSA_SA_EEENS0_18inequality_wrapperIZN2at6native12_GLOBAL__N_124unique_dim_cuda_templateIjEESt5tupleIJNSH_6TensorESM_SM_EERKSM_lbbbEUlllE0_EEPmJS6_EEE10hipError_tPvRmT3_T4_T5_T6_T7_T9_mT8_P12ihipStream_tbDpT10_ENKUlT_T0_E_clISt17integral_constantIbLb0EES1C_EEDaS17_S18_EUlS17_E_NS1_11comp_targetILNS1_3genE3ELNS1_11target_archE908ELNS1_3gpuE7ELNS1_3repE0EEENS1_30default_config_static_selectorELNS0_4arch9wavefront6targetE0EEEvT1_
    .private_segment_fixed_size: 0
    .sgpr_count:     0
    .sgpr_spill_count: 0
    .symbol:         _ZN7rocprim17ROCPRIM_400000_NS6detail17trampoline_kernelINS0_14default_configENS1_25partition_config_selectorILNS1_17partition_subalgoE8ElNS0_10empty_typeEbEEZZNS1_14partition_implILS5_8ELb0ES3_jPlPS6_PKS6_NS0_5tupleIJS9_S6_EEENSD_IJSA_SA_EEENS0_18inequality_wrapperIZN2at6native12_GLOBAL__N_124unique_dim_cuda_templateIjEESt5tupleIJNSH_6TensorESM_SM_EERKSM_lbbbEUlllE0_EEPmJS6_EEE10hipError_tPvRmT3_T4_T5_T6_T7_T9_mT8_P12ihipStream_tbDpT10_ENKUlT_T0_E_clISt17integral_constantIbLb0EES1C_EEDaS17_S18_EUlS17_E_NS1_11comp_targetILNS1_3genE3ELNS1_11target_archE908ELNS1_3gpuE7ELNS1_3repE0EEENS1_30default_config_static_selectorELNS0_4arch9wavefront6targetE0EEEvT1_.kd
    .uniform_work_group_size: 1
    .uses_dynamic_stack: false
    .vgpr_count:     0
    .vgpr_spill_count: 0
    .wavefront_size: 32
    .workgroup_processor_mode: 1
  - .args:
      - .offset:         0
        .size:           120
        .value_kind:     by_value
    .group_segment_fixed_size: 0
    .kernarg_segment_align: 8
    .kernarg_segment_size: 120
    .language:       OpenCL C
    .language_version:
      - 2
      - 0
    .max_flat_workgroup_size: 256
    .name:           _ZN7rocprim17ROCPRIM_400000_NS6detail17trampoline_kernelINS0_14default_configENS1_25partition_config_selectorILNS1_17partition_subalgoE8ElNS0_10empty_typeEbEEZZNS1_14partition_implILS5_8ELb0ES3_jPlPS6_PKS6_NS0_5tupleIJS9_S6_EEENSD_IJSA_SA_EEENS0_18inequality_wrapperIZN2at6native12_GLOBAL__N_124unique_dim_cuda_templateIjEESt5tupleIJNSH_6TensorESM_SM_EERKSM_lbbbEUlllE0_EEPmJS6_EEE10hipError_tPvRmT3_T4_T5_T6_T7_T9_mT8_P12ihipStream_tbDpT10_ENKUlT_T0_E_clISt17integral_constantIbLb0EES1C_EEDaS17_S18_EUlS17_E_NS1_11comp_targetILNS1_3genE2ELNS1_11target_archE906ELNS1_3gpuE6ELNS1_3repE0EEENS1_30default_config_static_selectorELNS0_4arch9wavefront6targetE0EEEvT1_
    .private_segment_fixed_size: 0
    .sgpr_count:     0
    .sgpr_spill_count: 0
    .symbol:         _ZN7rocprim17ROCPRIM_400000_NS6detail17trampoline_kernelINS0_14default_configENS1_25partition_config_selectorILNS1_17partition_subalgoE8ElNS0_10empty_typeEbEEZZNS1_14partition_implILS5_8ELb0ES3_jPlPS6_PKS6_NS0_5tupleIJS9_S6_EEENSD_IJSA_SA_EEENS0_18inequality_wrapperIZN2at6native12_GLOBAL__N_124unique_dim_cuda_templateIjEESt5tupleIJNSH_6TensorESM_SM_EERKSM_lbbbEUlllE0_EEPmJS6_EEE10hipError_tPvRmT3_T4_T5_T6_T7_T9_mT8_P12ihipStream_tbDpT10_ENKUlT_T0_E_clISt17integral_constantIbLb0EES1C_EEDaS17_S18_EUlS17_E_NS1_11comp_targetILNS1_3genE2ELNS1_11target_archE906ELNS1_3gpuE6ELNS1_3repE0EEENS1_30default_config_static_selectorELNS0_4arch9wavefront6targetE0EEEvT1_.kd
    .uniform_work_group_size: 1
    .uses_dynamic_stack: false
    .vgpr_count:     0
    .vgpr_spill_count: 0
    .wavefront_size: 32
    .workgroup_processor_mode: 1
  - .args:
      - .offset:         0
        .size:           120
        .value_kind:     by_value
    .group_segment_fixed_size: 0
    .kernarg_segment_align: 8
    .kernarg_segment_size: 120
    .language:       OpenCL C
    .language_version:
      - 2
      - 0
    .max_flat_workgroup_size: 384
    .name:           _ZN7rocprim17ROCPRIM_400000_NS6detail17trampoline_kernelINS0_14default_configENS1_25partition_config_selectorILNS1_17partition_subalgoE8ElNS0_10empty_typeEbEEZZNS1_14partition_implILS5_8ELb0ES3_jPlPS6_PKS6_NS0_5tupleIJS9_S6_EEENSD_IJSA_SA_EEENS0_18inequality_wrapperIZN2at6native12_GLOBAL__N_124unique_dim_cuda_templateIjEESt5tupleIJNSH_6TensorESM_SM_EERKSM_lbbbEUlllE0_EEPmJS6_EEE10hipError_tPvRmT3_T4_T5_T6_T7_T9_mT8_P12ihipStream_tbDpT10_ENKUlT_T0_E_clISt17integral_constantIbLb0EES1C_EEDaS17_S18_EUlS17_E_NS1_11comp_targetILNS1_3genE10ELNS1_11target_archE1200ELNS1_3gpuE4ELNS1_3repE0EEENS1_30default_config_static_selectorELNS0_4arch9wavefront6targetE0EEEvT1_
    .private_segment_fixed_size: 0
    .sgpr_count:     0
    .sgpr_spill_count: 0
    .symbol:         _ZN7rocprim17ROCPRIM_400000_NS6detail17trampoline_kernelINS0_14default_configENS1_25partition_config_selectorILNS1_17partition_subalgoE8ElNS0_10empty_typeEbEEZZNS1_14partition_implILS5_8ELb0ES3_jPlPS6_PKS6_NS0_5tupleIJS9_S6_EEENSD_IJSA_SA_EEENS0_18inequality_wrapperIZN2at6native12_GLOBAL__N_124unique_dim_cuda_templateIjEESt5tupleIJNSH_6TensorESM_SM_EERKSM_lbbbEUlllE0_EEPmJS6_EEE10hipError_tPvRmT3_T4_T5_T6_T7_T9_mT8_P12ihipStream_tbDpT10_ENKUlT_T0_E_clISt17integral_constantIbLb0EES1C_EEDaS17_S18_EUlS17_E_NS1_11comp_targetILNS1_3genE10ELNS1_11target_archE1200ELNS1_3gpuE4ELNS1_3repE0EEENS1_30default_config_static_selectorELNS0_4arch9wavefront6targetE0EEEvT1_.kd
    .uniform_work_group_size: 1
    .uses_dynamic_stack: false
    .vgpr_count:     0
    .vgpr_spill_count: 0
    .wavefront_size: 32
    .workgroup_processor_mode: 1
  - .args:
      - .offset:         0
        .size:           120
        .value_kind:     by_value
    .group_segment_fixed_size: 33804
    .kernarg_segment_align: 8
    .kernarg_segment_size: 120
    .language:       OpenCL C
    .language_version:
      - 2
      - 0
    .max_flat_workgroup_size: 512
    .name:           _ZN7rocprim17ROCPRIM_400000_NS6detail17trampoline_kernelINS0_14default_configENS1_25partition_config_selectorILNS1_17partition_subalgoE8ElNS0_10empty_typeEbEEZZNS1_14partition_implILS5_8ELb0ES3_jPlPS6_PKS6_NS0_5tupleIJS9_S6_EEENSD_IJSA_SA_EEENS0_18inequality_wrapperIZN2at6native12_GLOBAL__N_124unique_dim_cuda_templateIjEESt5tupleIJNSH_6TensorESM_SM_EERKSM_lbbbEUlllE0_EEPmJS6_EEE10hipError_tPvRmT3_T4_T5_T6_T7_T9_mT8_P12ihipStream_tbDpT10_ENKUlT_T0_E_clISt17integral_constantIbLb0EES1C_EEDaS17_S18_EUlS17_E_NS1_11comp_targetILNS1_3genE9ELNS1_11target_archE1100ELNS1_3gpuE3ELNS1_3repE0EEENS1_30default_config_static_selectorELNS0_4arch9wavefront6targetE0EEEvT1_
    .private_segment_fixed_size: 0
    .sgpr_count:     38
    .sgpr_spill_count: 0
    .symbol:         _ZN7rocprim17ROCPRIM_400000_NS6detail17trampoline_kernelINS0_14default_configENS1_25partition_config_selectorILNS1_17partition_subalgoE8ElNS0_10empty_typeEbEEZZNS1_14partition_implILS5_8ELb0ES3_jPlPS6_PKS6_NS0_5tupleIJS9_S6_EEENSD_IJSA_SA_EEENS0_18inequality_wrapperIZN2at6native12_GLOBAL__N_124unique_dim_cuda_templateIjEESt5tupleIJNSH_6TensorESM_SM_EERKSM_lbbbEUlllE0_EEPmJS6_EEE10hipError_tPvRmT3_T4_T5_T6_T7_T9_mT8_P12ihipStream_tbDpT10_ENKUlT_T0_E_clISt17integral_constantIbLb0EES1C_EEDaS17_S18_EUlS17_E_NS1_11comp_targetILNS1_3genE9ELNS1_11target_archE1100ELNS1_3gpuE3ELNS1_3repE0EEENS1_30default_config_static_selectorELNS0_4arch9wavefront6targetE0EEEvT1_.kd
    .uniform_work_group_size: 1
    .uses_dynamic_stack: false
    .vgpr_count:     52
    .vgpr_spill_count: 0
    .wavefront_size: 32
    .workgroup_processor_mode: 1
  - .args:
      - .offset:         0
        .size:           120
        .value_kind:     by_value
    .group_segment_fixed_size: 0
    .kernarg_segment_align: 8
    .kernarg_segment_size: 120
    .language:       OpenCL C
    .language_version:
      - 2
      - 0
    .max_flat_workgroup_size: 512
    .name:           _ZN7rocprim17ROCPRIM_400000_NS6detail17trampoline_kernelINS0_14default_configENS1_25partition_config_selectorILNS1_17partition_subalgoE8ElNS0_10empty_typeEbEEZZNS1_14partition_implILS5_8ELb0ES3_jPlPS6_PKS6_NS0_5tupleIJS9_S6_EEENSD_IJSA_SA_EEENS0_18inequality_wrapperIZN2at6native12_GLOBAL__N_124unique_dim_cuda_templateIjEESt5tupleIJNSH_6TensorESM_SM_EERKSM_lbbbEUlllE0_EEPmJS6_EEE10hipError_tPvRmT3_T4_T5_T6_T7_T9_mT8_P12ihipStream_tbDpT10_ENKUlT_T0_E_clISt17integral_constantIbLb0EES1C_EEDaS17_S18_EUlS17_E_NS1_11comp_targetILNS1_3genE8ELNS1_11target_archE1030ELNS1_3gpuE2ELNS1_3repE0EEENS1_30default_config_static_selectorELNS0_4arch9wavefront6targetE0EEEvT1_
    .private_segment_fixed_size: 0
    .sgpr_count:     0
    .sgpr_spill_count: 0
    .symbol:         _ZN7rocprim17ROCPRIM_400000_NS6detail17trampoline_kernelINS0_14default_configENS1_25partition_config_selectorILNS1_17partition_subalgoE8ElNS0_10empty_typeEbEEZZNS1_14partition_implILS5_8ELb0ES3_jPlPS6_PKS6_NS0_5tupleIJS9_S6_EEENSD_IJSA_SA_EEENS0_18inequality_wrapperIZN2at6native12_GLOBAL__N_124unique_dim_cuda_templateIjEESt5tupleIJNSH_6TensorESM_SM_EERKSM_lbbbEUlllE0_EEPmJS6_EEE10hipError_tPvRmT3_T4_T5_T6_T7_T9_mT8_P12ihipStream_tbDpT10_ENKUlT_T0_E_clISt17integral_constantIbLb0EES1C_EEDaS17_S18_EUlS17_E_NS1_11comp_targetILNS1_3genE8ELNS1_11target_archE1030ELNS1_3gpuE2ELNS1_3repE0EEENS1_30default_config_static_selectorELNS0_4arch9wavefront6targetE0EEEvT1_.kd
    .uniform_work_group_size: 1
    .uses_dynamic_stack: false
    .vgpr_count:     0
    .vgpr_spill_count: 0
    .wavefront_size: 32
    .workgroup_processor_mode: 1
  - .args:
      - .offset:         0
        .size:           136
        .value_kind:     by_value
    .group_segment_fixed_size: 0
    .kernarg_segment_align: 8
    .kernarg_segment_size: 136
    .language:       OpenCL C
    .language_version:
      - 2
      - 0
    .max_flat_workgroup_size: 512
    .name:           _ZN7rocprim17ROCPRIM_400000_NS6detail17trampoline_kernelINS0_14default_configENS1_25partition_config_selectorILNS1_17partition_subalgoE8ElNS0_10empty_typeEbEEZZNS1_14partition_implILS5_8ELb0ES3_jPlPS6_PKS6_NS0_5tupleIJS9_S6_EEENSD_IJSA_SA_EEENS0_18inequality_wrapperIZN2at6native12_GLOBAL__N_124unique_dim_cuda_templateIjEESt5tupleIJNSH_6TensorESM_SM_EERKSM_lbbbEUlllE0_EEPmJS6_EEE10hipError_tPvRmT3_T4_T5_T6_T7_T9_mT8_P12ihipStream_tbDpT10_ENKUlT_T0_E_clISt17integral_constantIbLb1EES1C_EEDaS17_S18_EUlS17_E_NS1_11comp_targetILNS1_3genE0ELNS1_11target_archE4294967295ELNS1_3gpuE0ELNS1_3repE0EEENS1_30default_config_static_selectorELNS0_4arch9wavefront6targetE0EEEvT1_
    .private_segment_fixed_size: 0
    .sgpr_count:     0
    .sgpr_spill_count: 0
    .symbol:         _ZN7rocprim17ROCPRIM_400000_NS6detail17trampoline_kernelINS0_14default_configENS1_25partition_config_selectorILNS1_17partition_subalgoE8ElNS0_10empty_typeEbEEZZNS1_14partition_implILS5_8ELb0ES3_jPlPS6_PKS6_NS0_5tupleIJS9_S6_EEENSD_IJSA_SA_EEENS0_18inequality_wrapperIZN2at6native12_GLOBAL__N_124unique_dim_cuda_templateIjEESt5tupleIJNSH_6TensorESM_SM_EERKSM_lbbbEUlllE0_EEPmJS6_EEE10hipError_tPvRmT3_T4_T5_T6_T7_T9_mT8_P12ihipStream_tbDpT10_ENKUlT_T0_E_clISt17integral_constantIbLb1EES1C_EEDaS17_S18_EUlS17_E_NS1_11comp_targetILNS1_3genE0ELNS1_11target_archE4294967295ELNS1_3gpuE0ELNS1_3repE0EEENS1_30default_config_static_selectorELNS0_4arch9wavefront6targetE0EEEvT1_.kd
    .uniform_work_group_size: 1
    .uses_dynamic_stack: false
    .vgpr_count:     0
    .vgpr_spill_count: 0
    .wavefront_size: 32
    .workgroup_processor_mode: 1
  - .args:
      - .offset:         0
        .size:           136
        .value_kind:     by_value
    .group_segment_fixed_size: 0
    .kernarg_segment_align: 8
    .kernarg_segment_size: 136
    .language:       OpenCL C
    .language_version:
      - 2
      - 0
    .max_flat_workgroup_size: 512
    .name:           _ZN7rocprim17ROCPRIM_400000_NS6detail17trampoline_kernelINS0_14default_configENS1_25partition_config_selectorILNS1_17partition_subalgoE8ElNS0_10empty_typeEbEEZZNS1_14partition_implILS5_8ELb0ES3_jPlPS6_PKS6_NS0_5tupleIJS9_S6_EEENSD_IJSA_SA_EEENS0_18inequality_wrapperIZN2at6native12_GLOBAL__N_124unique_dim_cuda_templateIjEESt5tupleIJNSH_6TensorESM_SM_EERKSM_lbbbEUlllE0_EEPmJS6_EEE10hipError_tPvRmT3_T4_T5_T6_T7_T9_mT8_P12ihipStream_tbDpT10_ENKUlT_T0_E_clISt17integral_constantIbLb1EES1C_EEDaS17_S18_EUlS17_E_NS1_11comp_targetILNS1_3genE5ELNS1_11target_archE942ELNS1_3gpuE9ELNS1_3repE0EEENS1_30default_config_static_selectorELNS0_4arch9wavefront6targetE0EEEvT1_
    .private_segment_fixed_size: 0
    .sgpr_count:     0
    .sgpr_spill_count: 0
    .symbol:         _ZN7rocprim17ROCPRIM_400000_NS6detail17trampoline_kernelINS0_14default_configENS1_25partition_config_selectorILNS1_17partition_subalgoE8ElNS0_10empty_typeEbEEZZNS1_14partition_implILS5_8ELb0ES3_jPlPS6_PKS6_NS0_5tupleIJS9_S6_EEENSD_IJSA_SA_EEENS0_18inequality_wrapperIZN2at6native12_GLOBAL__N_124unique_dim_cuda_templateIjEESt5tupleIJNSH_6TensorESM_SM_EERKSM_lbbbEUlllE0_EEPmJS6_EEE10hipError_tPvRmT3_T4_T5_T6_T7_T9_mT8_P12ihipStream_tbDpT10_ENKUlT_T0_E_clISt17integral_constantIbLb1EES1C_EEDaS17_S18_EUlS17_E_NS1_11comp_targetILNS1_3genE5ELNS1_11target_archE942ELNS1_3gpuE9ELNS1_3repE0EEENS1_30default_config_static_selectorELNS0_4arch9wavefront6targetE0EEEvT1_.kd
    .uniform_work_group_size: 1
    .uses_dynamic_stack: false
    .vgpr_count:     0
    .vgpr_spill_count: 0
    .wavefront_size: 32
    .workgroup_processor_mode: 1
  - .args:
      - .offset:         0
        .size:           136
        .value_kind:     by_value
    .group_segment_fixed_size: 0
    .kernarg_segment_align: 8
    .kernarg_segment_size: 136
    .language:       OpenCL C
    .language_version:
      - 2
      - 0
    .max_flat_workgroup_size: 256
    .name:           _ZN7rocprim17ROCPRIM_400000_NS6detail17trampoline_kernelINS0_14default_configENS1_25partition_config_selectorILNS1_17partition_subalgoE8ElNS0_10empty_typeEbEEZZNS1_14partition_implILS5_8ELb0ES3_jPlPS6_PKS6_NS0_5tupleIJS9_S6_EEENSD_IJSA_SA_EEENS0_18inequality_wrapperIZN2at6native12_GLOBAL__N_124unique_dim_cuda_templateIjEESt5tupleIJNSH_6TensorESM_SM_EERKSM_lbbbEUlllE0_EEPmJS6_EEE10hipError_tPvRmT3_T4_T5_T6_T7_T9_mT8_P12ihipStream_tbDpT10_ENKUlT_T0_E_clISt17integral_constantIbLb1EES1C_EEDaS17_S18_EUlS17_E_NS1_11comp_targetILNS1_3genE4ELNS1_11target_archE910ELNS1_3gpuE8ELNS1_3repE0EEENS1_30default_config_static_selectorELNS0_4arch9wavefront6targetE0EEEvT1_
    .private_segment_fixed_size: 0
    .sgpr_count:     0
    .sgpr_spill_count: 0
    .symbol:         _ZN7rocprim17ROCPRIM_400000_NS6detail17trampoline_kernelINS0_14default_configENS1_25partition_config_selectorILNS1_17partition_subalgoE8ElNS0_10empty_typeEbEEZZNS1_14partition_implILS5_8ELb0ES3_jPlPS6_PKS6_NS0_5tupleIJS9_S6_EEENSD_IJSA_SA_EEENS0_18inequality_wrapperIZN2at6native12_GLOBAL__N_124unique_dim_cuda_templateIjEESt5tupleIJNSH_6TensorESM_SM_EERKSM_lbbbEUlllE0_EEPmJS6_EEE10hipError_tPvRmT3_T4_T5_T6_T7_T9_mT8_P12ihipStream_tbDpT10_ENKUlT_T0_E_clISt17integral_constantIbLb1EES1C_EEDaS17_S18_EUlS17_E_NS1_11comp_targetILNS1_3genE4ELNS1_11target_archE910ELNS1_3gpuE8ELNS1_3repE0EEENS1_30default_config_static_selectorELNS0_4arch9wavefront6targetE0EEEvT1_.kd
    .uniform_work_group_size: 1
    .uses_dynamic_stack: false
    .vgpr_count:     0
    .vgpr_spill_count: 0
    .wavefront_size: 32
    .workgroup_processor_mode: 1
  - .args:
      - .offset:         0
        .size:           136
        .value_kind:     by_value
    .group_segment_fixed_size: 0
    .kernarg_segment_align: 8
    .kernarg_segment_size: 136
    .language:       OpenCL C
    .language_version:
      - 2
      - 0
    .max_flat_workgroup_size: 512
    .name:           _ZN7rocprim17ROCPRIM_400000_NS6detail17trampoline_kernelINS0_14default_configENS1_25partition_config_selectorILNS1_17partition_subalgoE8ElNS0_10empty_typeEbEEZZNS1_14partition_implILS5_8ELb0ES3_jPlPS6_PKS6_NS0_5tupleIJS9_S6_EEENSD_IJSA_SA_EEENS0_18inequality_wrapperIZN2at6native12_GLOBAL__N_124unique_dim_cuda_templateIjEESt5tupleIJNSH_6TensorESM_SM_EERKSM_lbbbEUlllE0_EEPmJS6_EEE10hipError_tPvRmT3_T4_T5_T6_T7_T9_mT8_P12ihipStream_tbDpT10_ENKUlT_T0_E_clISt17integral_constantIbLb1EES1C_EEDaS17_S18_EUlS17_E_NS1_11comp_targetILNS1_3genE3ELNS1_11target_archE908ELNS1_3gpuE7ELNS1_3repE0EEENS1_30default_config_static_selectorELNS0_4arch9wavefront6targetE0EEEvT1_
    .private_segment_fixed_size: 0
    .sgpr_count:     0
    .sgpr_spill_count: 0
    .symbol:         _ZN7rocprim17ROCPRIM_400000_NS6detail17trampoline_kernelINS0_14default_configENS1_25partition_config_selectorILNS1_17partition_subalgoE8ElNS0_10empty_typeEbEEZZNS1_14partition_implILS5_8ELb0ES3_jPlPS6_PKS6_NS0_5tupleIJS9_S6_EEENSD_IJSA_SA_EEENS0_18inequality_wrapperIZN2at6native12_GLOBAL__N_124unique_dim_cuda_templateIjEESt5tupleIJNSH_6TensorESM_SM_EERKSM_lbbbEUlllE0_EEPmJS6_EEE10hipError_tPvRmT3_T4_T5_T6_T7_T9_mT8_P12ihipStream_tbDpT10_ENKUlT_T0_E_clISt17integral_constantIbLb1EES1C_EEDaS17_S18_EUlS17_E_NS1_11comp_targetILNS1_3genE3ELNS1_11target_archE908ELNS1_3gpuE7ELNS1_3repE0EEENS1_30default_config_static_selectorELNS0_4arch9wavefront6targetE0EEEvT1_.kd
    .uniform_work_group_size: 1
    .uses_dynamic_stack: false
    .vgpr_count:     0
    .vgpr_spill_count: 0
    .wavefront_size: 32
    .workgroup_processor_mode: 1
  - .args:
      - .offset:         0
        .size:           136
        .value_kind:     by_value
    .group_segment_fixed_size: 0
    .kernarg_segment_align: 8
    .kernarg_segment_size: 136
    .language:       OpenCL C
    .language_version:
      - 2
      - 0
    .max_flat_workgroup_size: 256
    .name:           _ZN7rocprim17ROCPRIM_400000_NS6detail17trampoline_kernelINS0_14default_configENS1_25partition_config_selectorILNS1_17partition_subalgoE8ElNS0_10empty_typeEbEEZZNS1_14partition_implILS5_8ELb0ES3_jPlPS6_PKS6_NS0_5tupleIJS9_S6_EEENSD_IJSA_SA_EEENS0_18inequality_wrapperIZN2at6native12_GLOBAL__N_124unique_dim_cuda_templateIjEESt5tupleIJNSH_6TensorESM_SM_EERKSM_lbbbEUlllE0_EEPmJS6_EEE10hipError_tPvRmT3_T4_T5_T6_T7_T9_mT8_P12ihipStream_tbDpT10_ENKUlT_T0_E_clISt17integral_constantIbLb1EES1C_EEDaS17_S18_EUlS17_E_NS1_11comp_targetILNS1_3genE2ELNS1_11target_archE906ELNS1_3gpuE6ELNS1_3repE0EEENS1_30default_config_static_selectorELNS0_4arch9wavefront6targetE0EEEvT1_
    .private_segment_fixed_size: 0
    .sgpr_count:     0
    .sgpr_spill_count: 0
    .symbol:         _ZN7rocprim17ROCPRIM_400000_NS6detail17trampoline_kernelINS0_14default_configENS1_25partition_config_selectorILNS1_17partition_subalgoE8ElNS0_10empty_typeEbEEZZNS1_14partition_implILS5_8ELb0ES3_jPlPS6_PKS6_NS0_5tupleIJS9_S6_EEENSD_IJSA_SA_EEENS0_18inequality_wrapperIZN2at6native12_GLOBAL__N_124unique_dim_cuda_templateIjEESt5tupleIJNSH_6TensorESM_SM_EERKSM_lbbbEUlllE0_EEPmJS6_EEE10hipError_tPvRmT3_T4_T5_T6_T7_T9_mT8_P12ihipStream_tbDpT10_ENKUlT_T0_E_clISt17integral_constantIbLb1EES1C_EEDaS17_S18_EUlS17_E_NS1_11comp_targetILNS1_3genE2ELNS1_11target_archE906ELNS1_3gpuE6ELNS1_3repE0EEENS1_30default_config_static_selectorELNS0_4arch9wavefront6targetE0EEEvT1_.kd
    .uniform_work_group_size: 1
    .uses_dynamic_stack: false
    .vgpr_count:     0
    .vgpr_spill_count: 0
    .wavefront_size: 32
    .workgroup_processor_mode: 1
  - .args:
      - .offset:         0
        .size:           136
        .value_kind:     by_value
    .group_segment_fixed_size: 0
    .kernarg_segment_align: 8
    .kernarg_segment_size: 136
    .language:       OpenCL C
    .language_version:
      - 2
      - 0
    .max_flat_workgroup_size: 384
    .name:           _ZN7rocprim17ROCPRIM_400000_NS6detail17trampoline_kernelINS0_14default_configENS1_25partition_config_selectorILNS1_17partition_subalgoE8ElNS0_10empty_typeEbEEZZNS1_14partition_implILS5_8ELb0ES3_jPlPS6_PKS6_NS0_5tupleIJS9_S6_EEENSD_IJSA_SA_EEENS0_18inequality_wrapperIZN2at6native12_GLOBAL__N_124unique_dim_cuda_templateIjEESt5tupleIJNSH_6TensorESM_SM_EERKSM_lbbbEUlllE0_EEPmJS6_EEE10hipError_tPvRmT3_T4_T5_T6_T7_T9_mT8_P12ihipStream_tbDpT10_ENKUlT_T0_E_clISt17integral_constantIbLb1EES1C_EEDaS17_S18_EUlS17_E_NS1_11comp_targetILNS1_3genE10ELNS1_11target_archE1200ELNS1_3gpuE4ELNS1_3repE0EEENS1_30default_config_static_selectorELNS0_4arch9wavefront6targetE0EEEvT1_
    .private_segment_fixed_size: 0
    .sgpr_count:     0
    .sgpr_spill_count: 0
    .symbol:         _ZN7rocprim17ROCPRIM_400000_NS6detail17trampoline_kernelINS0_14default_configENS1_25partition_config_selectorILNS1_17partition_subalgoE8ElNS0_10empty_typeEbEEZZNS1_14partition_implILS5_8ELb0ES3_jPlPS6_PKS6_NS0_5tupleIJS9_S6_EEENSD_IJSA_SA_EEENS0_18inequality_wrapperIZN2at6native12_GLOBAL__N_124unique_dim_cuda_templateIjEESt5tupleIJNSH_6TensorESM_SM_EERKSM_lbbbEUlllE0_EEPmJS6_EEE10hipError_tPvRmT3_T4_T5_T6_T7_T9_mT8_P12ihipStream_tbDpT10_ENKUlT_T0_E_clISt17integral_constantIbLb1EES1C_EEDaS17_S18_EUlS17_E_NS1_11comp_targetILNS1_3genE10ELNS1_11target_archE1200ELNS1_3gpuE4ELNS1_3repE0EEENS1_30default_config_static_selectorELNS0_4arch9wavefront6targetE0EEEvT1_.kd
    .uniform_work_group_size: 1
    .uses_dynamic_stack: false
    .vgpr_count:     0
    .vgpr_spill_count: 0
    .wavefront_size: 32
    .workgroup_processor_mode: 1
  - .args:
      - .offset:         0
        .size:           136
        .value_kind:     by_value
    .group_segment_fixed_size: 33804
    .kernarg_segment_align: 8
    .kernarg_segment_size: 136
    .language:       OpenCL C
    .language_version:
      - 2
      - 0
    .max_flat_workgroup_size: 512
    .name:           _ZN7rocprim17ROCPRIM_400000_NS6detail17trampoline_kernelINS0_14default_configENS1_25partition_config_selectorILNS1_17partition_subalgoE8ElNS0_10empty_typeEbEEZZNS1_14partition_implILS5_8ELb0ES3_jPlPS6_PKS6_NS0_5tupleIJS9_S6_EEENSD_IJSA_SA_EEENS0_18inequality_wrapperIZN2at6native12_GLOBAL__N_124unique_dim_cuda_templateIjEESt5tupleIJNSH_6TensorESM_SM_EERKSM_lbbbEUlllE0_EEPmJS6_EEE10hipError_tPvRmT3_T4_T5_T6_T7_T9_mT8_P12ihipStream_tbDpT10_ENKUlT_T0_E_clISt17integral_constantIbLb1EES1C_EEDaS17_S18_EUlS17_E_NS1_11comp_targetILNS1_3genE9ELNS1_11target_archE1100ELNS1_3gpuE3ELNS1_3repE0EEENS1_30default_config_static_selectorELNS0_4arch9wavefront6targetE0EEEvT1_
    .private_segment_fixed_size: 0
    .sgpr_count:     40
    .sgpr_spill_count: 0
    .symbol:         _ZN7rocprim17ROCPRIM_400000_NS6detail17trampoline_kernelINS0_14default_configENS1_25partition_config_selectorILNS1_17partition_subalgoE8ElNS0_10empty_typeEbEEZZNS1_14partition_implILS5_8ELb0ES3_jPlPS6_PKS6_NS0_5tupleIJS9_S6_EEENSD_IJSA_SA_EEENS0_18inequality_wrapperIZN2at6native12_GLOBAL__N_124unique_dim_cuda_templateIjEESt5tupleIJNSH_6TensorESM_SM_EERKSM_lbbbEUlllE0_EEPmJS6_EEE10hipError_tPvRmT3_T4_T5_T6_T7_T9_mT8_P12ihipStream_tbDpT10_ENKUlT_T0_E_clISt17integral_constantIbLb1EES1C_EEDaS17_S18_EUlS17_E_NS1_11comp_targetILNS1_3genE9ELNS1_11target_archE1100ELNS1_3gpuE3ELNS1_3repE0EEENS1_30default_config_static_selectorELNS0_4arch9wavefront6targetE0EEEvT1_.kd
    .uniform_work_group_size: 1
    .uses_dynamic_stack: false
    .vgpr_count:     52
    .vgpr_spill_count: 0
    .wavefront_size: 32
    .workgroup_processor_mode: 1
  - .args:
      - .offset:         0
        .size:           136
        .value_kind:     by_value
    .group_segment_fixed_size: 0
    .kernarg_segment_align: 8
    .kernarg_segment_size: 136
    .language:       OpenCL C
    .language_version:
      - 2
      - 0
    .max_flat_workgroup_size: 512
    .name:           _ZN7rocprim17ROCPRIM_400000_NS6detail17trampoline_kernelINS0_14default_configENS1_25partition_config_selectorILNS1_17partition_subalgoE8ElNS0_10empty_typeEbEEZZNS1_14partition_implILS5_8ELb0ES3_jPlPS6_PKS6_NS0_5tupleIJS9_S6_EEENSD_IJSA_SA_EEENS0_18inequality_wrapperIZN2at6native12_GLOBAL__N_124unique_dim_cuda_templateIjEESt5tupleIJNSH_6TensorESM_SM_EERKSM_lbbbEUlllE0_EEPmJS6_EEE10hipError_tPvRmT3_T4_T5_T6_T7_T9_mT8_P12ihipStream_tbDpT10_ENKUlT_T0_E_clISt17integral_constantIbLb1EES1C_EEDaS17_S18_EUlS17_E_NS1_11comp_targetILNS1_3genE8ELNS1_11target_archE1030ELNS1_3gpuE2ELNS1_3repE0EEENS1_30default_config_static_selectorELNS0_4arch9wavefront6targetE0EEEvT1_
    .private_segment_fixed_size: 0
    .sgpr_count:     0
    .sgpr_spill_count: 0
    .symbol:         _ZN7rocprim17ROCPRIM_400000_NS6detail17trampoline_kernelINS0_14default_configENS1_25partition_config_selectorILNS1_17partition_subalgoE8ElNS0_10empty_typeEbEEZZNS1_14partition_implILS5_8ELb0ES3_jPlPS6_PKS6_NS0_5tupleIJS9_S6_EEENSD_IJSA_SA_EEENS0_18inequality_wrapperIZN2at6native12_GLOBAL__N_124unique_dim_cuda_templateIjEESt5tupleIJNSH_6TensorESM_SM_EERKSM_lbbbEUlllE0_EEPmJS6_EEE10hipError_tPvRmT3_T4_T5_T6_T7_T9_mT8_P12ihipStream_tbDpT10_ENKUlT_T0_E_clISt17integral_constantIbLb1EES1C_EEDaS17_S18_EUlS17_E_NS1_11comp_targetILNS1_3genE8ELNS1_11target_archE1030ELNS1_3gpuE2ELNS1_3repE0EEENS1_30default_config_static_selectorELNS0_4arch9wavefront6targetE0EEEvT1_.kd
    .uniform_work_group_size: 1
    .uses_dynamic_stack: false
    .vgpr_count:     0
    .vgpr_spill_count: 0
    .wavefront_size: 32
    .workgroup_processor_mode: 1
  - .args:
      - .offset:         0
        .size:           120
        .value_kind:     by_value
    .group_segment_fixed_size: 0
    .kernarg_segment_align: 8
    .kernarg_segment_size: 120
    .language:       OpenCL C
    .language_version:
      - 2
      - 0
    .max_flat_workgroup_size: 512
    .name:           _ZN7rocprim17ROCPRIM_400000_NS6detail17trampoline_kernelINS0_14default_configENS1_25partition_config_selectorILNS1_17partition_subalgoE8ElNS0_10empty_typeEbEEZZNS1_14partition_implILS5_8ELb0ES3_jPlPS6_PKS6_NS0_5tupleIJS9_S6_EEENSD_IJSA_SA_EEENS0_18inequality_wrapperIZN2at6native12_GLOBAL__N_124unique_dim_cuda_templateIjEESt5tupleIJNSH_6TensorESM_SM_EERKSM_lbbbEUlllE0_EEPmJS6_EEE10hipError_tPvRmT3_T4_T5_T6_T7_T9_mT8_P12ihipStream_tbDpT10_ENKUlT_T0_E_clISt17integral_constantIbLb1EES1B_IbLb0EEEEDaS17_S18_EUlS17_E_NS1_11comp_targetILNS1_3genE0ELNS1_11target_archE4294967295ELNS1_3gpuE0ELNS1_3repE0EEENS1_30default_config_static_selectorELNS0_4arch9wavefront6targetE0EEEvT1_
    .private_segment_fixed_size: 0
    .sgpr_count:     0
    .sgpr_spill_count: 0
    .symbol:         _ZN7rocprim17ROCPRIM_400000_NS6detail17trampoline_kernelINS0_14default_configENS1_25partition_config_selectorILNS1_17partition_subalgoE8ElNS0_10empty_typeEbEEZZNS1_14partition_implILS5_8ELb0ES3_jPlPS6_PKS6_NS0_5tupleIJS9_S6_EEENSD_IJSA_SA_EEENS0_18inequality_wrapperIZN2at6native12_GLOBAL__N_124unique_dim_cuda_templateIjEESt5tupleIJNSH_6TensorESM_SM_EERKSM_lbbbEUlllE0_EEPmJS6_EEE10hipError_tPvRmT3_T4_T5_T6_T7_T9_mT8_P12ihipStream_tbDpT10_ENKUlT_T0_E_clISt17integral_constantIbLb1EES1B_IbLb0EEEEDaS17_S18_EUlS17_E_NS1_11comp_targetILNS1_3genE0ELNS1_11target_archE4294967295ELNS1_3gpuE0ELNS1_3repE0EEENS1_30default_config_static_selectorELNS0_4arch9wavefront6targetE0EEEvT1_.kd
    .uniform_work_group_size: 1
    .uses_dynamic_stack: false
    .vgpr_count:     0
    .vgpr_spill_count: 0
    .wavefront_size: 32
    .workgroup_processor_mode: 1
  - .args:
      - .offset:         0
        .size:           120
        .value_kind:     by_value
    .group_segment_fixed_size: 0
    .kernarg_segment_align: 8
    .kernarg_segment_size: 120
    .language:       OpenCL C
    .language_version:
      - 2
      - 0
    .max_flat_workgroup_size: 512
    .name:           _ZN7rocprim17ROCPRIM_400000_NS6detail17trampoline_kernelINS0_14default_configENS1_25partition_config_selectorILNS1_17partition_subalgoE8ElNS0_10empty_typeEbEEZZNS1_14partition_implILS5_8ELb0ES3_jPlPS6_PKS6_NS0_5tupleIJS9_S6_EEENSD_IJSA_SA_EEENS0_18inequality_wrapperIZN2at6native12_GLOBAL__N_124unique_dim_cuda_templateIjEESt5tupleIJNSH_6TensorESM_SM_EERKSM_lbbbEUlllE0_EEPmJS6_EEE10hipError_tPvRmT3_T4_T5_T6_T7_T9_mT8_P12ihipStream_tbDpT10_ENKUlT_T0_E_clISt17integral_constantIbLb1EES1B_IbLb0EEEEDaS17_S18_EUlS17_E_NS1_11comp_targetILNS1_3genE5ELNS1_11target_archE942ELNS1_3gpuE9ELNS1_3repE0EEENS1_30default_config_static_selectorELNS0_4arch9wavefront6targetE0EEEvT1_
    .private_segment_fixed_size: 0
    .sgpr_count:     0
    .sgpr_spill_count: 0
    .symbol:         _ZN7rocprim17ROCPRIM_400000_NS6detail17trampoline_kernelINS0_14default_configENS1_25partition_config_selectorILNS1_17partition_subalgoE8ElNS0_10empty_typeEbEEZZNS1_14partition_implILS5_8ELb0ES3_jPlPS6_PKS6_NS0_5tupleIJS9_S6_EEENSD_IJSA_SA_EEENS0_18inequality_wrapperIZN2at6native12_GLOBAL__N_124unique_dim_cuda_templateIjEESt5tupleIJNSH_6TensorESM_SM_EERKSM_lbbbEUlllE0_EEPmJS6_EEE10hipError_tPvRmT3_T4_T5_T6_T7_T9_mT8_P12ihipStream_tbDpT10_ENKUlT_T0_E_clISt17integral_constantIbLb1EES1B_IbLb0EEEEDaS17_S18_EUlS17_E_NS1_11comp_targetILNS1_3genE5ELNS1_11target_archE942ELNS1_3gpuE9ELNS1_3repE0EEENS1_30default_config_static_selectorELNS0_4arch9wavefront6targetE0EEEvT1_.kd
    .uniform_work_group_size: 1
    .uses_dynamic_stack: false
    .vgpr_count:     0
    .vgpr_spill_count: 0
    .wavefront_size: 32
    .workgroup_processor_mode: 1
  - .args:
      - .offset:         0
        .size:           120
        .value_kind:     by_value
    .group_segment_fixed_size: 0
    .kernarg_segment_align: 8
    .kernarg_segment_size: 120
    .language:       OpenCL C
    .language_version:
      - 2
      - 0
    .max_flat_workgroup_size: 256
    .name:           _ZN7rocprim17ROCPRIM_400000_NS6detail17trampoline_kernelINS0_14default_configENS1_25partition_config_selectorILNS1_17partition_subalgoE8ElNS0_10empty_typeEbEEZZNS1_14partition_implILS5_8ELb0ES3_jPlPS6_PKS6_NS0_5tupleIJS9_S6_EEENSD_IJSA_SA_EEENS0_18inequality_wrapperIZN2at6native12_GLOBAL__N_124unique_dim_cuda_templateIjEESt5tupleIJNSH_6TensorESM_SM_EERKSM_lbbbEUlllE0_EEPmJS6_EEE10hipError_tPvRmT3_T4_T5_T6_T7_T9_mT8_P12ihipStream_tbDpT10_ENKUlT_T0_E_clISt17integral_constantIbLb1EES1B_IbLb0EEEEDaS17_S18_EUlS17_E_NS1_11comp_targetILNS1_3genE4ELNS1_11target_archE910ELNS1_3gpuE8ELNS1_3repE0EEENS1_30default_config_static_selectorELNS0_4arch9wavefront6targetE0EEEvT1_
    .private_segment_fixed_size: 0
    .sgpr_count:     0
    .sgpr_spill_count: 0
    .symbol:         _ZN7rocprim17ROCPRIM_400000_NS6detail17trampoline_kernelINS0_14default_configENS1_25partition_config_selectorILNS1_17partition_subalgoE8ElNS0_10empty_typeEbEEZZNS1_14partition_implILS5_8ELb0ES3_jPlPS6_PKS6_NS0_5tupleIJS9_S6_EEENSD_IJSA_SA_EEENS0_18inequality_wrapperIZN2at6native12_GLOBAL__N_124unique_dim_cuda_templateIjEESt5tupleIJNSH_6TensorESM_SM_EERKSM_lbbbEUlllE0_EEPmJS6_EEE10hipError_tPvRmT3_T4_T5_T6_T7_T9_mT8_P12ihipStream_tbDpT10_ENKUlT_T0_E_clISt17integral_constantIbLb1EES1B_IbLb0EEEEDaS17_S18_EUlS17_E_NS1_11comp_targetILNS1_3genE4ELNS1_11target_archE910ELNS1_3gpuE8ELNS1_3repE0EEENS1_30default_config_static_selectorELNS0_4arch9wavefront6targetE0EEEvT1_.kd
    .uniform_work_group_size: 1
    .uses_dynamic_stack: false
    .vgpr_count:     0
    .vgpr_spill_count: 0
    .wavefront_size: 32
    .workgroup_processor_mode: 1
  - .args:
      - .offset:         0
        .size:           120
        .value_kind:     by_value
    .group_segment_fixed_size: 0
    .kernarg_segment_align: 8
    .kernarg_segment_size: 120
    .language:       OpenCL C
    .language_version:
      - 2
      - 0
    .max_flat_workgroup_size: 512
    .name:           _ZN7rocprim17ROCPRIM_400000_NS6detail17trampoline_kernelINS0_14default_configENS1_25partition_config_selectorILNS1_17partition_subalgoE8ElNS0_10empty_typeEbEEZZNS1_14partition_implILS5_8ELb0ES3_jPlPS6_PKS6_NS0_5tupleIJS9_S6_EEENSD_IJSA_SA_EEENS0_18inequality_wrapperIZN2at6native12_GLOBAL__N_124unique_dim_cuda_templateIjEESt5tupleIJNSH_6TensorESM_SM_EERKSM_lbbbEUlllE0_EEPmJS6_EEE10hipError_tPvRmT3_T4_T5_T6_T7_T9_mT8_P12ihipStream_tbDpT10_ENKUlT_T0_E_clISt17integral_constantIbLb1EES1B_IbLb0EEEEDaS17_S18_EUlS17_E_NS1_11comp_targetILNS1_3genE3ELNS1_11target_archE908ELNS1_3gpuE7ELNS1_3repE0EEENS1_30default_config_static_selectorELNS0_4arch9wavefront6targetE0EEEvT1_
    .private_segment_fixed_size: 0
    .sgpr_count:     0
    .sgpr_spill_count: 0
    .symbol:         _ZN7rocprim17ROCPRIM_400000_NS6detail17trampoline_kernelINS0_14default_configENS1_25partition_config_selectorILNS1_17partition_subalgoE8ElNS0_10empty_typeEbEEZZNS1_14partition_implILS5_8ELb0ES3_jPlPS6_PKS6_NS0_5tupleIJS9_S6_EEENSD_IJSA_SA_EEENS0_18inequality_wrapperIZN2at6native12_GLOBAL__N_124unique_dim_cuda_templateIjEESt5tupleIJNSH_6TensorESM_SM_EERKSM_lbbbEUlllE0_EEPmJS6_EEE10hipError_tPvRmT3_T4_T5_T6_T7_T9_mT8_P12ihipStream_tbDpT10_ENKUlT_T0_E_clISt17integral_constantIbLb1EES1B_IbLb0EEEEDaS17_S18_EUlS17_E_NS1_11comp_targetILNS1_3genE3ELNS1_11target_archE908ELNS1_3gpuE7ELNS1_3repE0EEENS1_30default_config_static_selectorELNS0_4arch9wavefront6targetE0EEEvT1_.kd
    .uniform_work_group_size: 1
    .uses_dynamic_stack: false
    .vgpr_count:     0
    .vgpr_spill_count: 0
    .wavefront_size: 32
    .workgroup_processor_mode: 1
  - .args:
      - .offset:         0
        .size:           120
        .value_kind:     by_value
    .group_segment_fixed_size: 0
    .kernarg_segment_align: 8
    .kernarg_segment_size: 120
    .language:       OpenCL C
    .language_version:
      - 2
      - 0
    .max_flat_workgroup_size: 256
    .name:           _ZN7rocprim17ROCPRIM_400000_NS6detail17trampoline_kernelINS0_14default_configENS1_25partition_config_selectorILNS1_17partition_subalgoE8ElNS0_10empty_typeEbEEZZNS1_14partition_implILS5_8ELb0ES3_jPlPS6_PKS6_NS0_5tupleIJS9_S6_EEENSD_IJSA_SA_EEENS0_18inequality_wrapperIZN2at6native12_GLOBAL__N_124unique_dim_cuda_templateIjEESt5tupleIJNSH_6TensorESM_SM_EERKSM_lbbbEUlllE0_EEPmJS6_EEE10hipError_tPvRmT3_T4_T5_T6_T7_T9_mT8_P12ihipStream_tbDpT10_ENKUlT_T0_E_clISt17integral_constantIbLb1EES1B_IbLb0EEEEDaS17_S18_EUlS17_E_NS1_11comp_targetILNS1_3genE2ELNS1_11target_archE906ELNS1_3gpuE6ELNS1_3repE0EEENS1_30default_config_static_selectorELNS0_4arch9wavefront6targetE0EEEvT1_
    .private_segment_fixed_size: 0
    .sgpr_count:     0
    .sgpr_spill_count: 0
    .symbol:         _ZN7rocprim17ROCPRIM_400000_NS6detail17trampoline_kernelINS0_14default_configENS1_25partition_config_selectorILNS1_17partition_subalgoE8ElNS0_10empty_typeEbEEZZNS1_14partition_implILS5_8ELb0ES3_jPlPS6_PKS6_NS0_5tupleIJS9_S6_EEENSD_IJSA_SA_EEENS0_18inequality_wrapperIZN2at6native12_GLOBAL__N_124unique_dim_cuda_templateIjEESt5tupleIJNSH_6TensorESM_SM_EERKSM_lbbbEUlllE0_EEPmJS6_EEE10hipError_tPvRmT3_T4_T5_T6_T7_T9_mT8_P12ihipStream_tbDpT10_ENKUlT_T0_E_clISt17integral_constantIbLb1EES1B_IbLb0EEEEDaS17_S18_EUlS17_E_NS1_11comp_targetILNS1_3genE2ELNS1_11target_archE906ELNS1_3gpuE6ELNS1_3repE0EEENS1_30default_config_static_selectorELNS0_4arch9wavefront6targetE0EEEvT1_.kd
    .uniform_work_group_size: 1
    .uses_dynamic_stack: false
    .vgpr_count:     0
    .vgpr_spill_count: 0
    .wavefront_size: 32
    .workgroup_processor_mode: 1
  - .args:
      - .offset:         0
        .size:           120
        .value_kind:     by_value
    .group_segment_fixed_size: 0
    .kernarg_segment_align: 8
    .kernarg_segment_size: 120
    .language:       OpenCL C
    .language_version:
      - 2
      - 0
    .max_flat_workgroup_size: 384
    .name:           _ZN7rocprim17ROCPRIM_400000_NS6detail17trampoline_kernelINS0_14default_configENS1_25partition_config_selectorILNS1_17partition_subalgoE8ElNS0_10empty_typeEbEEZZNS1_14partition_implILS5_8ELb0ES3_jPlPS6_PKS6_NS0_5tupleIJS9_S6_EEENSD_IJSA_SA_EEENS0_18inequality_wrapperIZN2at6native12_GLOBAL__N_124unique_dim_cuda_templateIjEESt5tupleIJNSH_6TensorESM_SM_EERKSM_lbbbEUlllE0_EEPmJS6_EEE10hipError_tPvRmT3_T4_T5_T6_T7_T9_mT8_P12ihipStream_tbDpT10_ENKUlT_T0_E_clISt17integral_constantIbLb1EES1B_IbLb0EEEEDaS17_S18_EUlS17_E_NS1_11comp_targetILNS1_3genE10ELNS1_11target_archE1200ELNS1_3gpuE4ELNS1_3repE0EEENS1_30default_config_static_selectorELNS0_4arch9wavefront6targetE0EEEvT1_
    .private_segment_fixed_size: 0
    .sgpr_count:     0
    .sgpr_spill_count: 0
    .symbol:         _ZN7rocprim17ROCPRIM_400000_NS6detail17trampoline_kernelINS0_14default_configENS1_25partition_config_selectorILNS1_17partition_subalgoE8ElNS0_10empty_typeEbEEZZNS1_14partition_implILS5_8ELb0ES3_jPlPS6_PKS6_NS0_5tupleIJS9_S6_EEENSD_IJSA_SA_EEENS0_18inequality_wrapperIZN2at6native12_GLOBAL__N_124unique_dim_cuda_templateIjEESt5tupleIJNSH_6TensorESM_SM_EERKSM_lbbbEUlllE0_EEPmJS6_EEE10hipError_tPvRmT3_T4_T5_T6_T7_T9_mT8_P12ihipStream_tbDpT10_ENKUlT_T0_E_clISt17integral_constantIbLb1EES1B_IbLb0EEEEDaS17_S18_EUlS17_E_NS1_11comp_targetILNS1_3genE10ELNS1_11target_archE1200ELNS1_3gpuE4ELNS1_3repE0EEENS1_30default_config_static_selectorELNS0_4arch9wavefront6targetE0EEEvT1_.kd
    .uniform_work_group_size: 1
    .uses_dynamic_stack: false
    .vgpr_count:     0
    .vgpr_spill_count: 0
    .wavefront_size: 32
    .workgroup_processor_mode: 1
  - .args:
      - .offset:         0
        .size:           120
        .value_kind:     by_value
    .group_segment_fixed_size: 33804
    .kernarg_segment_align: 8
    .kernarg_segment_size: 120
    .language:       OpenCL C
    .language_version:
      - 2
      - 0
    .max_flat_workgroup_size: 512
    .name:           _ZN7rocprim17ROCPRIM_400000_NS6detail17trampoline_kernelINS0_14default_configENS1_25partition_config_selectorILNS1_17partition_subalgoE8ElNS0_10empty_typeEbEEZZNS1_14partition_implILS5_8ELb0ES3_jPlPS6_PKS6_NS0_5tupleIJS9_S6_EEENSD_IJSA_SA_EEENS0_18inequality_wrapperIZN2at6native12_GLOBAL__N_124unique_dim_cuda_templateIjEESt5tupleIJNSH_6TensorESM_SM_EERKSM_lbbbEUlllE0_EEPmJS6_EEE10hipError_tPvRmT3_T4_T5_T6_T7_T9_mT8_P12ihipStream_tbDpT10_ENKUlT_T0_E_clISt17integral_constantIbLb1EES1B_IbLb0EEEEDaS17_S18_EUlS17_E_NS1_11comp_targetILNS1_3genE9ELNS1_11target_archE1100ELNS1_3gpuE3ELNS1_3repE0EEENS1_30default_config_static_selectorELNS0_4arch9wavefront6targetE0EEEvT1_
    .private_segment_fixed_size: 0
    .sgpr_count:     38
    .sgpr_spill_count: 0
    .symbol:         _ZN7rocprim17ROCPRIM_400000_NS6detail17trampoline_kernelINS0_14default_configENS1_25partition_config_selectorILNS1_17partition_subalgoE8ElNS0_10empty_typeEbEEZZNS1_14partition_implILS5_8ELb0ES3_jPlPS6_PKS6_NS0_5tupleIJS9_S6_EEENSD_IJSA_SA_EEENS0_18inequality_wrapperIZN2at6native12_GLOBAL__N_124unique_dim_cuda_templateIjEESt5tupleIJNSH_6TensorESM_SM_EERKSM_lbbbEUlllE0_EEPmJS6_EEE10hipError_tPvRmT3_T4_T5_T6_T7_T9_mT8_P12ihipStream_tbDpT10_ENKUlT_T0_E_clISt17integral_constantIbLb1EES1B_IbLb0EEEEDaS17_S18_EUlS17_E_NS1_11comp_targetILNS1_3genE9ELNS1_11target_archE1100ELNS1_3gpuE3ELNS1_3repE0EEENS1_30default_config_static_selectorELNS0_4arch9wavefront6targetE0EEEvT1_.kd
    .uniform_work_group_size: 1
    .uses_dynamic_stack: false
    .vgpr_count:     52
    .vgpr_spill_count: 0
    .wavefront_size: 32
    .workgroup_processor_mode: 1
  - .args:
      - .offset:         0
        .size:           120
        .value_kind:     by_value
    .group_segment_fixed_size: 0
    .kernarg_segment_align: 8
    .kernarg_segment_size: 120
    .language:       OpenCL C
    .language_version:
      - 2
      - 0
    .max_flat_workgroup_size: 512
    .name:           _ZN7rocprim17ROCPRIM_400000_NS6detail17trampoline_kernelINS0_14default_configENS1_25partition_config_selectorILNS1_17partition_subalgoE8ElNS0_10empty_typeEbEEZZNS1_14partition_implILS5_8ELb0ES3_jPlPS6_PKS6_NS0_5tupleIJS9_S6_EEENSD_IJSA_SA_EEENS0_18inequality_wrapperIZN2at6native12_GLOBAL__N_124unique_dim_cuda_templateIjEESt5tupleIJNSH_6TensorESM_SM_EERKSM_lbbbEUlllE0_EEPmJS6_EEE10hipError_tPvRmT3_T4_T5_T6_T7_T9_mT8_P12ihipStream_tbDpT10_ENKUlT_T0_E_clISt17integral_constantIbLb1EES1B_IbLb0EEEEDaS17_S18_EUlS17_E_NS1_11comp_targetILNS1_3genE8ELNS1_11target_archE1030ELNS1_3gpuE2ELNS1_3repE0EEENS1_30default_config_static_selectorELNS0_4arch9wavefront6targetE0EEEvT1_
    .private_segment_fixed_size: 0
    .sgpr_count:     0
    .sgpr_spill_count: 0
    .symbol:         _ZN7rocprim17ROCPRIM_400000_NS6detail17trampoline_kernelINS0_14default_configENS1_25partition_config_selectorILNS1_17partition_subalgoE8ElNS0_10empty_typeEbEEZZNS1_14partition_implILS5_8ELb0ES3_jPlPS6_PKS6_NS0_5tupleIJS9_S6_EEENSD_IJSA_SA_EEENS0_18inequality_wrapperIZN2at6native12_GLOBAL__N_124unique_dim_cuda_templateIjEESt5tupleIJNSH_6TensorESM_SM_EERKSM_lbbbEUlllE0_EEPmJS6_EEE10hipError_tPvRmT3_T4_T5_T6_T7_T9_mT8_P12ihipStream_tbDpT10_ENKUlT_T0_E_clISt17integral_constantIbLb1EES1B_IbLb0EEEEDaS17_S18_EUlS17_E_NS1_11comp_targetILNS1_3genE8ELNS1_11target_archE1030ELNS1_3gpuE2ELNS1_3repE0EEENS1_30default_config_static_selectorELNS0_4arch9wavefront6targetE0EEEvT1_.kd
    .uniform_work_group_size: 1
    .uses_dynamic_stack: false
    .vgpr_count:     0
    .vgpr_spill_count: 0
    .wavefront_size: 32
    .workgroup_processor_mode: 1
  - .args:
      - .offset:         0
        .size:           136
        .value_kind:     by_value
    .group_segment_fixed_size: 0
    .kernarg_segment_align: 8
    .kernarg_segment_size: 136
    .language:       OpenCL C
    .language_version:
      - 2
      - 0
    .max_flat_workgroup_size: 512
    .name:           _ZN7rocprim17ROCPRIM_400000_NS6detail17trampoline_kernelINS0_14default_configENS1_25partition_config_selectorILNS1_17partition_subalgoE8ElNS0_10empty_typeEbEEZZNS1_14partition_implILS5_8ELb0ES3_jPlPS6_PKS6_NS0_5tupleIJS9_S6_EEENSD_IJSA_SA_EEENS0_18inequality_wrapperIZN2at6native12_GLOBAL__N_124unique_dim_cuda_templateIjEESt5tupleIJNSH_6TensorESM_SM_EERKSM_lbbbEUlllE0_EEPmJS6_EEE10hipError_tPvRmT3_T4_T5_T6_T7_T9_mT8_P12ihipStream_tbDpT10_ENKUlT_T0_E_clISt17integral_constantIbLb0EES1B_IbLb1EEEEDaS17_S18_EUlS17_E_NS1_11comp_targetILNS1_3genE0ELNS1_11target_archE4294967295ELNS1_3gpuE0ELNS1_3repE0EEENS1_30default_config_static_selectorELNS0_4arch9wavefront6targetE0EEEvT1_
    .private_segment_fixed_size: 0
    .sgpr_count:     0
    .sgpr_spill_count: 0
    .symbol:         _ZN7rocprim17ROCPRIM_400000_NS6detail17trampoline_kernelINS0_14default_configENS1_25partition_config_selectorILNS1_17partition_subalgoE8ElNS0_10empty_typeEbEEZZNS1_14partition_implILS5_8ELb0ES3_jPlPS6_PKS6_NS0_5tupleIJS9_S6_EEENSD_IJSA_SA_EEENS0_18inequality_wrapperIZN2at6native12_GLOBAL__N_124unique_dim_cuda_templateIjEESt5tupleIJNSH_6TensorESM_SM_EERKSM_lbbbEUlllE0_EEPmJS6_EEE10hipError_tPvRmT3_T4_T5_T6_T7_T9_mT8_P12ihipStream_tbDpT10_ENKUlT_T0_E_clISt17integral_constantIbLb0EES1B_IbLb1EEEEDaS17_S18_EUlS17_E_NS1_11comp_targetILNS1_3genE0ELNS1_11target_archE4294967295ELNS1_3gpuE0ELNS1_3repE0EEENS1_30default_config_static_selectorELNS0_4arch9wavefront6targetE0EEEvT1_.kd
    .uniform_work_group_size: 1
    .uses_dynamic_stack: false
    .vgpr_count:     0
    .vgpr_spill_count: 0
    .wavefront_size: 32
    .workgroup_processor_mode: 1
  - .args:
      - .offset:         0
        .size:           136
        .value_kind:     by_value
    .group_segment_fixed_size: 0
    .kernarg_segment_align: 8
    .kernarg_segment_size: 136
    .language:       OpenCL C
    .language_version:
      - 2
      - 0
    .max_flat_workgroup_size: 512
    .name:           _ZN7rocprim17ROCPRIM_400000_NS6detail17trampoline_kernelINS0_14default_configENS1_25partition_config_selectorILNS1_17partition_subalgoE8ElNS0_10empty_typeEbEEZZNS1_14partition_implILS5_8ELb0ES3_jPlPS6_PKS6_NS0_5tupleIJS9_S6_EEENSD_IJSA_SA_EEENS0_18inequality_wrapperIZN2at6native12_GLOBAL__N_124unique_dim_cuda_templateIjEESt5tupleIJNSH_6TensorESM_SM_EERKSM_lbbbEUlllE0_EEPmJS6_EEE10hipError_tPvRmT3_T4_T5_T6_T7_T9_mT8_P12ihipStream_tbDpT10_ENKUlT_T0_E_clISt17integral_constantIbLb0EES1B_IbLb1EEEEDaS17_S18_EUlS17_E_NS1_11comp_targetILNS1_3genE5ELNS1_11target_archE942ELNS1_3gpuE9ELNS1_3repE0EEENS1_30default_config_static_selectorELNS0_4arch9wavefront6targetE0EEEvT1_
    .private_segment_fixed_size: 0
    .sgpr_count:     0
    .sgpr_spill_count: 0
    .symbol:         _ZN7rocprim17ROCPRIM_400000_NS6detail17trampoline_kernelINS0_14default_configENS1_25partition_config_selectorILNS1_17partition_subalgoE8ElNS0_10empty_typeEbEEZZNS1_14partition_implILS5_8ELb0ES3_jPlPS6_PKS6_NS0_5tupleIJS9_S6_EEENSD_IJSA_SA_EEENS0_18inequality_wrapperIZN2at6native12_GLOBAL__N_124unique_dim_cuda_templateIjEESt5tupleIJNSH_6TensorESM_SM_EERKSM_lbbbEUlllE0_EEPmJS6_EEE10hipError_tPvRmT3_T4_T5_T6_T7_T9_mT8_P12ihipStream_tbDpT10_ENKUlT_T0_E_clISt17integral_constantIbLb0EES1B_IbLb1EEEEDaS17_S18_EUlS17_E_NS1_11comp_targetILNS1_3genE5ELNS1_11target_archE942ELNS1_3gpuE9ELNS1_3repE0EEENS1_30default_config_static_selectorELNS0_4arch9wavefront6targetE0EEEvT1_.kd
    .uniform_work_group_size: 1
    .uses_dynamic_stack: false
    .vgpr_count:     0
    .vgpr_spill_count: 0
    .wavefront_size: 32
    .workgroup_processor_mode: 1
  - .args:
      - .offset:         0
        .size:           136
        .value_kind:     by_value
    .group_segment_fixed_size: 0
    .kernarg_segment_align: 8
    .kernarg_segment_size: 136
    .language:       OpenCL C
    .language_version:
      - 2
      - 0
    .max_flat_workgroup_size: 256
    .name:           _ZN7rocprim17ROCPRIM_400000_NS6detail17trampoline_kernelINS0_14default_configENS1_25partition_config_selectorILNS1_17partition_subalgoE8ElNS0_10empty_typeEbEEZZNS1_14partition_implILS5_8ELb0ES3_jPlPS6_PKS6_NS0_5tupleIJS9_S6_EEENSD_IJSA_SA_EEENS0_18inequality_wrapperIZN2at6native12_GLOBAL__N_124unique_dim_cuda_templateIjEESt5tupleIJNSH_6TensorESM_SM_EERKSM_lbbbEUlllE0_EEPmJS6_EEE10hipError_tPvRmT3_T4_T5_T6_T7_T9_mT8_P12ihipStream_tbDpT10_ENKUlT_T0_E_clISt17integral_constantIbLb0EES1B_IbLb1EEEEDaS17_S18_EUlS17_E_NS1_11comp_targetILNS1_3genE4ELNS1_11target_archE910ELNS1_3gpuE8ELNS1_3repE0EEENS1_30default_config_static_selectorELNS0_4arch9wavefront6targetE0EEEvT1_
    .private_segment_fixed_size: 0
    .sgpr_count:     0
    .sgpr_spill_count: 0
    .symbol:         _ZN7rocprim17ROCPRIM_400000_NS6detail17trampoline_kernelINS0_14default_configENS1_25partition_config_selectorILNS1_17partition_subalgoE8ElNS0_10empty_typeEbEEZZNS1_14partition_implILS5_8ELb0ES3_jPlPS6_PKS6_NS0_5tupleIJS9_S6_EEENSD_IJSA_SA_EEENS0_18inequality_wrapperIZN2at6native12_GLOBAL__N_124unique_dim_cuda_templateIjEESt5tupleIJNSH_6TensorESM_SM_EERKSM_lbbbEUlllE0_EEPmJS6_EEE10hipError_tPvRmT3_T4_T5_T6_T7_T9_mT8_P12ihipStream_tbDpT10_ENKUlT_T0_E_clISt17integral_constantIbLb0EES1B_IbLb1EEEEDaS17_S18_EUlS17_E_NS1_11comp_targetILNS1_3genE4ELNS1_11target_archE910ELNS1_3gpuE8ELNS1_3repE0EEENS1_30default_config_static_selectorELNS0_4arch9wavefront6targetE0EEEvT1_.kd
    .uniform_work_group_size: 1
    .uses_dynamic_stack: false
    .vgpr_count:     0
    .vgpr_spill_count: 0
    .wavefront_size: 32
    .workgroup_processor_mode: 1
  - .args:
      - .offset:         0
        .size:           136
        .value_kind:     by_value
    .group_segment_fixed_size: 0
    .kernarg_segment_align: 8
    .kernarg_segment_size: 136
    .language:       OpenCL C
    .language_version:
      - 2
      - 0
    .max_flat_workgroup_size: 512
    .name:           _ZN7rocprim17ROCPRIM_400000_NS6detail17trampoline_kernelINS0_14default_configENS1_25partition_config_selectorILNS1_17partition_subalgoE8ElNS0_10empty_typeEbEEZZNS1_14partition_implILS5_8ELb0ES3_jPlPS6_PKS6_NS0_5tupleIJS9_S6_EEENSD_IJSA_SA_EEENS0_18inequality_wrapperIZN2at6native12_GLOBAL__N_124unique_dim_cuda_templateIjEESt5tupleIJNSH_6TensorESM_SM_EERKSM_lbbbEUlllE0_EEPmJS6_EEE10hipError_tPvRmT3_T4_T5_T6_T7_T9_mT8_P12ihipStream_tbDpT10_ENKUlT_T0_E_clISt17integral_constantIbLb0EES1B_IbLb1EEEEDaS17_S18_EUlS17_E_NS1_11comp_targetILNS1_3genE3ELNS1_11target_archE908ELNS1_3gpuE7ELNS1_3repE0EEENS1_30default_config_static_selectorELNS0_4arch9wavefront6targetE0EEEvT1_
    .private_segment_fixed_size: 0
    .sgpr_count:     0
    .sgpr_spill_count: 0
    .symbol:         _ZN7rocprim17ROCPRIM_400000_NS6detail17trampoline_kernelINS0_14default_configENS1_25partition_config_selectorILNS1_17partition_subalgoE8ElNS0_10empty_typeEbEEZZNS1_14partition_implILS5_8ELb0ES3_jPlPS6_PKS6_NS0_5tupleIJS9_S6_EEENSD_IJSA_SA_EEENS0_18inequality_wrapperIZN2at6native12_GLOBAL__N_124unique_dim_cuda_templateIjEESt5tupleIJNSH_6TensorESM_SM_EERKSM_lbbbEUlllE0_EEPmJS6_EEE10hipError_tPvRmT3_T4_T5_T6_T7_T9_mT8_P12ihipStream_tbDpT10_ENKUlT_T0_E_clISt17integral_constantIbLb0EES1B_IbLb1EEEEDaS17_S18_EUlS17_E_NS1_11comp_targetILNS1_3genE3ELNS1_11target_archE908ELNS1_3gpuE7ELNS1_3repE0EEENS1_30default_config_static_selectorELNS0_4arch9wavefront6targetE0EEEvT1_.kd
    .uniform_work_group_size: 1
    .uses_dynamic_stack: false
    .vgpr_count:     0
    .vgpr_spill_count: 0
    .wavefront_size: 32
    .workgroup_processor_mode: 1
  - .args:
      - .offset:         0
        .size:           136
        .value_kind:     by_value
    .group_segment_fixed_size: 0
    .kernarg_segment_align: 8
    .kernarg_segment_size: 136
    .language:       OpenCL C
    .language_version:
      - 2
      - 0
    .max_flat_workgroup_size: 256
    .name:           _ZN7rocprim17ROCPRIM_400000_NS6detail17trampoline_kernelINS0_14default_configENS1_25partition_config_selectorILNS1_17partition_subalgoE8ElNS0_10empty_typeEbEEZZNS1_14partition_implILS5_8ELb0ES3_jPlPS6_PKS6_NS0_5tupleIJS9_S6_EEENSD_IJSA_SA_EEENS0_18inequality_wrapperIZN2at6native12_GLOBAL__N_124unique_dim_cuda_templateIjEESt5tupleIJNSH_6TensorESM_SM_EERKSM_lbbbEUlllE0_EEPmJS6_EEE10hipError_tPvRmT3_T4_T5_T6_T7_T9_mT8_P12ihipStream_tbDpT10_ENKUlT_T0_E_clISt17integral_constantIbLb0EES1B_IbLb1EEEEDaS17_S18_EUlS17_E_NS1_11comp_targetILNS1_3genE2ELNS1_11target_archE906ELNS1_3gpuE6ELNS1_3repE0EEENS1_30default_config_static_selectorELNS0_4arch9wavefront6targetE0EEEvT1_
    .private_segment_fixed_size: 0
    .sgpr_count:     0
    .sgpr_spill_count: 0
    .symbol:         _ZN7rocprim17ROCPRIM_400000_NS6detail17trampoline_kernelINS0_14default_configENS1_25partition_config_selectorILNS1_17partition_subalgoE8ElNS0_10empty_typeEbEEZZNS1_14partition_implILS5_8ELb0ES3_jPlPS6_PKS6_NS0_5tupleIJS9_S6_EEENSD_IJSA_SA_EEENS0_18inequality_wrapperIZN2at6native12_GLOBAL__N_124unique_dim_cuda_templateIjEESt5tupleIJNSH_6TensorESM_SM_EERKSM_lbbbEUlllE0_EEPmJS6_EEE10hipError_tPvRmT3_T4_T5_T6_T7_T9_mT8_P12ihipStream_tbDpT10_ENKUlT_T0_E_clISt17integral_constantIbLb0EES1B_IbLb1EEEEDaS17_S18_EUlS17_E_NS1_11comp_targetILNS1_3genE2ELNS1_11target_archE906ELNS1_3gpuE6ELNS1_3repE0EEENS1_30default_config_static_selectorELNS0_4arch9wavefront6targetE0EEEvT1_.kd
    .uniform_work_group_size: 1
    .uses_dynamic_stack: false
    .vgpr_count:     0
    .vgpr_spill_count: 0
    .wavefront_size: 32
    .workgroup_processor_mode: 1
  - .args:
      - .offset:         0
        .size:           136
        .value_kind:     by_value
    .group_segment_fixed_size: 0
    .kernarg_segment_align: 8
    .kernarg_segment_size: 136
    .language:       OpenCL C
    .language_version:
      - 2
      - 0
    .max_flat_workgroup_size: 384
    .name:           _ZN7rocprim17ROCPRIM_400000_NS6detail17trampoline_kernelINS0_14default_configENS1_25partition_config_selectorILNS1_17partition_subalgoE8ElNS0_10empty_typeEbEEZZNS1_14partition_implILS5_8ELb0ES3_jPlPS6_PKS6_NS0_5tupleIJS9_S6_EEENSD_IJSA_SA_EEENS0_18inequality_wrapperIZN2at6native12_GLOBAL__N_124unique_dim_cuda_templateIjEESt5tupleIJNSH_6TensorESM_SM_EERKSM_lbbbEUlllE0_EEPmJS6_EEE10hipError_tPvRmT3_T4_T5_T6_T7_T9_mT8_P12ihipStream_tbDpT10_ENKUlT_T0_E_clISt17integral_constantIbLb0EES1B_IbLb1EEEEDaS17_S18_EUlS17_E_NS1_11comp_targetILNS1_3genE10ELNS1_11target_archE1200ELNS1_3gpuE4ELNS1_3repE0EEENS1_30default_config_static_selectorELNS0_4arch9wavefront6targetE0EEEvT1_
    .private_segment_fixed_size: 0
    .sgpr_count:     0
    .sgpr_spill_count: 0
    .symbol:         _ZN7rocprim17ROCPRIM_400000_NS6detail17trampoline_kernelINS0_14default_configENS1_25partition_config_selectorILNS1_17partition_subalgoE8ElNS0_10empty_typeEbEEZZNS1_14partition_implILS5_8ELb0ES3_jPlPS6_PKS6_NS0_5tupleIJS9_S6_EEENSD_IJSA_SA_EEENS0_18inequality_wrapperIZN2at6native12_GLOBAL__N_124unique_dim_cuda_templateIjEESt5tupleIJNSH_6TensorESM_SM_EERKSM_lbbbEUlllE0_EEPmJS6_EEE10hipError_tPvRmT3_T4_T5_T6_T7_T9_mT8_P12ihipStream_tbDpT10_ENKUlT_T0_E_clISt17integral_constantIbLb0EES1B_IbLb1EEEEDaS17_S18_EUlS17_E_NS1_11comp_targetILNS1_3genE10ELNS1_11target_archE1200ELNS1_3gpuE4ELNS1_3repE0EEENS1_30default_config_static_selectorELNS0_4arch9wavefront6targetE0EEEvT1_.kd
    .uniform_work_group_size: 1
    .uses_dynamic_stack: false
    .vgpr_count:     0
    .vgpr_spill_count: 0
    .wavefront_size: 32
    .workgroup_processor_mode: 1
  - .args:
      - .offset:         0
        .size:           136
        .value_kind:     by_value
    .group_segment_fixed_size: 33804
    .kernarg_segment_align: 8
    .kernarg_segment_size: 136
    .language:       OpenCL C
    .language_version:
      - 2
      - 0
    .max_flat_workgroup_size: 512
    .name:           _ZN7rocprim17ROCPRIM_400000_NS6detail17trampoline_kernelINS0_14default_configENS1_25partition_config_selectorILNS1_17partition_subalgoE8ElNS0_10empty_typeEbEEZZNS1_14partition_implILS5_8ELb0ES3_jPlPS6_PKS6_NS0_5tupleIJS9_S6_EEENSD_IJSA_SA_EEENS0_18inequality_wrapperIZN2at6native12_GLOBAL__N_124unique_dim_cuda_templateIjEESt5tupleIJNSH_6TensorESM_SM_EERKSM_lbbbEUlllE0_EEPmJS6_EEE10hipError_tPvRmT3_T4_T5_T6_T7_T9_mT8_P12ihipStream_tbDpT10_ENKUlT_T0_E_clISt17integral_constantIbLb0EES1B_IbLb1EEEEDaS17_S18_EUlS17_E_NS1_11comp_targetILNS1_3genE9ELNS1_11target_archE1100ELNS1_3gpuE3ELNS1_3repE0EEENS1_30default_config_static_selectorELNS0_4arch9wavefront6targetE0EEEvT1_
    .private_segment_fixed_size: 0
    .sgpr_count:     40
    .sgpr_spill_count: 0
    .symbol:         _ZN7rocprim17ROCPRIM_400000_NS6detail17trampoline_kernelINS0_14default_configENS1_25partition_config_selectorILNS1_17partition_subalgoE8ElNS0_10empty_typeEbEEZZNS1_14partition_implILS5_8ELb0ES3_jPlPS6_PKS6_NS0_5tupleIJS9_S6_EEENSD_IJSA_SA_EEENS0_18inequality_wrapperIZN2at6native12_GLOBAL__N_124unique_dim_cuda_templateIjEESt5tupleIJNSH_6TensorESM_SM_EERKSM_lbbbEUlllE0_EEPmJS6_EEE10hipError_tPvRmT3_T4_T5_T6_T7_T9_mT8_P12ihipStream_tbDpT10_ENKUlT_T0_E_clISt17integral_constantIbLb0EES1B_IbLb1EEEEDaS17_S18_EUlS17_E_NS1_11comp_targetILNS1_3genE9ELNS1_11target_archE1100ELNS1_3gpuE3ELNS1_3repE0EEENS1_30default_config_static_selectorELNS0_4arch9wavefront6targetE0EEEvT1_.kd
    .uniform_work_group_size: 1
    .uses_dynamic_stack: false
    .vgpr_count:     52
    .vgpr_spill_count: 0
    .wavefront_size: 32
    .workgroup_processor_mode: 1
  - .args:
      - .offset:         0
        .size:           136
        .value_kind:     by_value
    .group_segment_fixed_size: 0
    .kernarg_segment_align: 8
    .kernarg_segment_size: 136
    .language:       OpenCL C
    .language_version:
      - 2
      - 0
    .max_flat_workgroup_size: 512
    .name:           _ZN7rocprim17ROCPRIM_400000_NS6detail17trampoline_kernelINS0_14default_configENS1_25partition_config_selectorILNS1_17partition_subalgoE8ElNS0_10empty_typeEbEEZZNS1_14partition_implILS5_8ELb0ES3_jPlPS6_PKS6_NS0_5tupleIJS9_S6_EEENSD_IJSA_SA_EEENS0_18inequality_wrapperIZN2at6native12_GLOBAL__N_124unique_dim_cuda_templateIjEESt5tupleIJNSH_6TensorESM_SM_EERKSM_lbbbEUlllE0_EEPmJS6_EEE10hipError_tPvRmT3_T4_T5_T6_T7_T9_mT8_P12ihipStream_tbDpT10_ENKUlT_T0_E_clISt17integral_constantIbLb0EES1B_IbLb1EEEEDaS17_S18_EUlS17_E_NS1_11comp_targetILNS1_3genE8ELNS1_11target_archE1030ELNS1_3gpuE2ELNS1_3repE0EEENS1_30default_config_static_selectorELNS0_4arch9wavefront6targetE0EEEvT1_
    .private_segment_fixed_size: 0
    .sgpr_count:     0
    .sgpr_spill_count: 0
    .symbol:         _ZN7rocprim17ROCPRIM_400000_NS6detail17trampoline_kernelINS0_14default_configENS1_25partition_config_selectorILNS1_17partition_subalgoE8ElNS0_10empty_typeEbEEZZNS1_14partition_implILS5_8ELb0ES3_jPlPS6_PKS6_NS0_5tupleIJS9_S6_EEENSD_IJSA_SA_EEENS0_18inequality_wrapperIZN2at6native12_GLOBAL__N_124unique_dim_cuda_templateIjEESt5tupleIJNSH_6TensorESM_SM_EERKSM_lbbbEUlllE0_EEPmJS6_EEE10hipError_tPvRmT3_T4_T5_T6_T7_T9_mT8_P12ihipStream_tbDpT10_ENKUlT_T0_E_clISt17integral_constantIbLb0EES1B_IbLb1EEEEDaS17_S18_EUlS17_E_NS1_11comp_targetILNS1_3genE8ELNS1_11target_archE1030ELNS1_3gpuE2ELNS1_3repE0EEENS1_30default_config_static_selectorELNS0_4arch9wavefront6targetE0EEEvT1_.kd
    .uniform_work_group_size: 1
    .uses_dynamic_stack: false
    .vgpr_count:     0
    .vgpr_spill_count: 0
    .wavefront_size: 32
    .workgroup_processor_mode: 1
  - .args:
      - .offset:         0
        .size:           120
        .value_kind:     by_value
    .group_segment_fixed_size: 0
    .kernarg_segment_align: 8
    .kernarg_segment_size: 120
    .language:       OpenCL C
    .language_version:
      - 2
      - 0
    .max_flat_workgroup_size: 128
    .name:           _ZN7rocprim17ROCPRIM_400000_NS6detail17trampoline_kernelINS0_14default_configENS1_25partition_config_selectorILNS1_17partition_subalgoE9EllbEEZZNS1_14partition_implILS5_9ELb0ES3_jPlS8_PNS0_10empty_typeENS0_5tupleIJS8_S9_EEENSB_IJS8_SA_EEENS0_18inequality_wrapperIZN2at6native12_GLOBAL__N_124unique_dim_cuda_templateIjEESt5tupleIJNSF_6TensorESK_SK_EERKSK_lbbbEUlllE0_EEPmJS9_EEE10hipError_tPvRmT3_T4_T5_T6_T7_T9_mT8_P12ihipStream_tbDpT10_ENKUlT_T0_E_clISt17integral_constantIbLb0EES1A_EEDaS15_S16_EUlS15_E_NS1_11comp_targetILNS1_3genE0ELNS1_11target_archE4294967295ELNS1_3gpuE0ELNS1_3repE0EEENS1_30default_config_static_selectorELNS0_4arch9wavefront6targetE0EEEvT1_
    .private_segment_fixed_size: 0
    .sgpr_count:     0
    .sgpr_spill_count: 0
    .symbol:         _ZN7rocprim17ROCPRIM_400000_NS6detail17trampoline_kernelINS0_14default_configENS1_25partition_config_selectorILNS1_17partition_subalgoE9EllbEEZZNS1_14partition_implILS5_9ELb0ES3_jPlS8_PNS0_10empty_typeENS0_5tupleIJS8_S9_EEENSB_IJS8_SA_EEENS0_18inequality_wrapperIZN2at6native12_GLOBAL__N_124unique_dim_cuda_templateIjEESt5tupleIJNSF_6TensorESK_SK_EERKSK_lbbbEUlllE0_EEPmJS9_EEE10hipError_tPvRmT3_T4_T5_T6_T7_T9_mT8_P12ihipStream_tbDpT10_ENKUlT_T0_E_clISt17integral_constantIbLb0EES1A_EEDaS15_S16_EUlS15_E_NS1_11comp_targetILNS1_3genE0ELNS1_11target_archE4294967295ELNS1_3gpuE0ELNS1_3repE0EEENS1_30default_config_static_selectorELNS0_4arch9wavefront6targetE0EEEvT1_.kd
    .uniform_work_group_size: 1
    .uses_dynamic_stack: false
    .vgpr_count:     0
    .vgpr_spill_count: 0
    .wavefront_size: 32
    .workgroup_processor_mode: 1
  - .args:
      - .offset:         0
        .size:           120
        .value_kind:     by_value
    .group_segment_fixed_size: 0
    .kernarg_segment_align: 8
    .kernarg_segment_size: 120
    .language:       OpenCL C
    .language_version:
      - 2
      - 0
    .max_flat_workgroup_size: 512
    .name:           _ZN7rocprim17ROCPRIM_400000_NS6detail17trampoline_kernelINS0_14default_configENS1_25partition_config_selectorILNS1_17partition_subalgoE9EllbEEZZNS1_14partition_implILS5_9ELb0ES3_jPlS8_PNS0_10empty_typeENS0_5tupleIJS8_S9_EEENSB_IJS8_SA_EEENS0_18inequality_wrapperIZN2at6native12_GLOBAL__N_124unique_dim_cuda_templateIjEESt5tupleIJNSF_6TensorESK_SK_EERKSK_lbbbEUlllE0_EEPmJS9_EEE10hipError_tPvRmT3_T4_T5_T6_T7_T9_mT8_P12ihipStream_tbDpT10_ENKUlT_T0_E_clISt17integral_constantIbLb0EES1A_EEDaS15_S16_EUlS15_E_NS1_11comp_targetILNS1_3genE5ELNS1_11target_archE942ELNS1_3gpuE9ELNS1_3repE0EEENS1_30default_config_static_selectorELNS0_4arch9wavefront6targetE0EEEvT1_
    .private_segment_fixed_size: 0
    .sgpr_count:     0
    .sgpr_spill_count: 0
    .symbol:         _ZN7rocprim17ROCPRIM_400000_NS6detail17trampoline_kernelINS0_14default_configENS1_25partition_config_selectorILNS1_17partition_subalgoE9EllbEEZZNS1_14partition_implILS5_9ELb0ES3_jPlS8_PNS0_10empty_typeENS0_5tupleIJS8_S9_EEENSB_IJS8_SA_EEENS0_18inequality_wrapperIZN2at6native12_GLOBAL__N_124unique_dim_cuda_templateIjEESt5tupleIJNSF_6TensorESK_SK_EERKSK_lbbbEUlllE0_EEPmJS9_EEE10hipError_tPvRmT3_T4_T5_T6_T7_T9_mT8_P12ihipStream_tbDpT10_ENKUlT_T0_E_clISt17integral_constantIbLb0EES1A_EEDaS15_S16_EUlS15_E_NS1_11comp_targetILNS1_3genE5ELNS1_11target_archE942ELNS1_3gpuE9ELNS1_3repE0EEENS1_30default_config_static_selectorELNS0_4arch9wavefront6targetE0EEEvT1_.kd
    .uniform_work_group_size: 1
    .uses_dynamic_stack: false
    .vgpr_count:     0
    .vgpr_spill_count: 0
    .wavefront_size: 32
    .workgroup_processor_mode: 1
  - .args:
      - .offset:         0
        .size:           120
        .value_kind:     by_value
    .group_segment_fixed_size: 0
    .kernarg_segment_align: 8
    .kernarg_segment_size: 120
    .language:       OpenCL C
    .language_version:
      - 2
      - 0
    .max_flat_workgroup_size: 128
    .name:           _ZN7rocprim17ROCPRIM_400000_NS6detail17trampoline_kernelINS0_14default_configENS1_25partition_config_selectorILNS1_17partition_subalgoE9EllbEEZZNS1_14partition_implILS5_9ELb0ES3_jPlS8_PNS0_10empty_typeENS0_5tupleIJS8_S9_EEENSB_IJS8_SA_EEENS0_18inequality_wrapperIZN2at6native12_GLOBAL__N_124unique_dim_cuda_templateIjEESt5tupleIJNSF_6TensorESK_SK_EERKSK_lbbbEUlllE0_EEPmJS9_EEE10hipError_tPvRmT3_T4_T5_T6_T7_T9_mT8_P12ihipStream_tbDpT10_ENKUlT_T0_E_clISt17integral_constantIbLb0EES1A_EEDaS15_S16_EUlS15_E_NS1_11comp_targetILNS1_3genE4ELNS1_11target_archE910ELNS1_3gpuE8ELNS1_3repE0EEENS1_30default_config_static_selectorELNS0_4arch9wavefront6targetE0EEEvT1_
    .private_segment_fixed_size: 0
    .sgpr_count:     0
    .sgpr_spill_count: 0
    .symbol:         _ZN7rocprim17ROCPRIM_400000_NS6detail17trampoline_kernelINS0_14default_configENS1_25partition_config_selectorILNS1_17partition_subalgoE9EllbEEZZNS1_14partition_implILS5_9ELb0ES3_jPlS8_PNS0_10empty_typeENS0_5tupleIJS8_S9_EEENSB_IJS8_SA_EEENS0_18inequality_wrapperIZN2at6native12_GLOBAL__N_124unique_dim_cuda_templateIjEESt5tupleIJNSF_6TensorESK_SK_EERKSK_lbbbEUlllE0_EEPmJS9_EEE10hipError_tPvRmT3_T4_T5_T6_T7_T9_mT8_P12ihipStream_tbDpT10_ENKUlT_T0_E_clISt17integral_constantIbLb0EES1A_EEDaS15_S16_EUlS15_E_NS1_11comp_targetILNS1_3genE4ELNS1_11target_archE910ELNS1_3gpuE8ELNS1_3repE0EEENS1_30default_config_static_selectorELNS0_4arch9wavefront6targetE0EEEvT1_.kd
    .uniform_work_group_size: 1
    .uses_dynamic_stack: false
    .vgpr_count:     0
    .vgpr_spill_count: 0
    .wavefront_size: 32
    .workgroup_processor_mode: 1
  - .args:
      - .offset:         0
        .size:           120
        .value_kind:     by_value
    .group_segment_fixed_size: 0
    .kernarg_segment_align: 8
    .kernarg_segment_size: 120
    .language:       OpenCL C
    .language_version:
      - 2
      - 0
    .max_flat_workgroup_size: 128
    .name:           _ZN7rocprim17ROCPRIM_400000_NS6detail17trampoline_kernelINS0_14default_configENS1_25partition_config_selectorILNS1_17partition_subalgoE9EllbEEZZNS1_14partition_implILS5_9ELb0ES3_jPlS8_PNS0_10empty_typeENS0_5tupleIJS8_S9_EEENSB_IJS8_SA_EEENS0_18inequality_wrapperIZN2at6native12_GLOBAL__N_124unique_dim_cuda_templateIjEESt5tupleIJNSF_6TensorESK_SK_EERKSK_lbbbEUlllE0_EEPmJS9_EEE10hipError_tPvRmT3_T4_T5_T6_T7_T9_mT8_P12ihipStream_tbDpT10_ENKUlT_T0_E_clISt17integral_constantIbLb0EES1A_EEDaS15_S16_EUlS15_E_NS1_11comp_targetILNS1_3genE3ELNS1_11target_archE908ELNS1_3gpuE7ELNS1_3repE0EEENS1_30default_config_static_selectorELNS0_4arch9wavefront6targetE0EEEvT1_
    .private_segment_fixed_size: 0
    .sgpr_count:     0
    .sgpr_spill_count: 0
    .symbol:         _ZN7rocprim17ROCPRIM_400000_NS6detail17trampoline_kernelINS0_14default_configENS1_25partition_config_selectorILNS1_17partition_subalgoE9EllbEEZZNS1_14partition_implILS5_9ELb0ES3_jPlS8_PNS0_10empty_typeENS0_5tupleIJS8_S9_EEENSB_IJS8_SA_EEENS0_18inequality_wrapperIZN2at6native12_GLOBAL__N_124unique_dim_cuda_templateIjEESt5tupleIJNSF_6TensorESK_SK_EERKSK_lbbbEUlllE0_EEPmJS9_EEE10hipError_tPvRmT3_T4_T5_T6_T7_T9_mT8_P12ihipStream_tbDpT10_ENKUlT_T0_E_clISt17integral_constantIbLb0EES1A_EEDaS15_S16_EUlS15_E_NS1_11comp_targetILNS1_3genE3ELNS1_11target_archE908ELNS1_3gpuE7ELNS1_3repE0EEENS1_30default_config_static_selectorELNS0_4arch9wavefront6targetE0EEEvT1_.kd
    .uniform_work_group_size: 1
    .uses_dynamic_stack: false
    .vgpr_count:     0
    .vgpr_spill_count: 0
    .wavefront_size: 32
    .workgroup_processor_mode: 1
  - .args:
      - .offset:         0
        .size:           120
        .value_kind:     by_value
    .group_segment_fixed_size: 0
    .kernarg_segment_align: 8
    .kernarg_segment_size: 120
    .language:       OpenCL C
    .language_version:
      - 2
      - 0
    .max_flat_workgroup_size: 192
    .name:           _ZN7rocprim17ROCPRIM_400000_NS6detail17trampoline_kernelINS0_14default_configENS1_25partition_config_selectorILNS1_17partition_subalgoE9EllbEEZZNS1_14partition_implILS5_9ELb0ES3_jPlS8_PNS0_10empty_typeENS0_5tupleIJS8_S9_EEENSB_IJS8_SA_EEENS0_18inequality_wrapperIZN2at6native12_GLOBAL__N_124unique_dim_cuda_templateIjEESt5tupleIJNSF_6TensorESK_SK_EERKSK_lbbbEUlllE0_EEPmJS9_EEE10hipError_tPvRmT3_T4_T5_T6_T7_T9_mT8_P12ihipStream_tbDpT10_ENKUlT_T0_E_clISt17integral_constantIbLb0EES1A_EEDaS15_S16_EUlS15_E_NS1_11comp_targetILNS1_3genE2ELNS1_11target_archE906ELNS1_3gpuE6ELNS1_3repE0EEENS1_30default_config_static_selectorELNS0_4arch9wavefront6targetE0EEEvT1_
    .private_segment_fixed_size: 0
    .sgpr_count:     0
    .sgpr_spill_count: 0
    .symbol:         _ZN7rocprim17ROCPRIM_400000_NS6detail17trampoline_kernelINS0_14default_configENS1_25partition_config_selectorILNS1_17partition_subalgoE9EllbEEZZNS1_14partition_implILS5_9ELb0ES3_jPlS8_PNS0_10empty_typeENS0_5tupleIJS8_S9_EEENSB_IJS8_SA_EEENS0_18inequality_wrapperIZN2at6native12_GLOBAL__N_124unique_dim_cuda_templateIjEESt5tupleIJNSF_6TensorESK_SK_EERKSK_lbbbEUlllE0_EEPmJS9_EEE10hipError_tPvRmT3_T4_T5_T6_T7_T9_mT8_P12ihipStream_tbDpT10_ENKUlT_T0_E_clISt17integral_constantIbLb0EES1A_EEDaS15_S16_EUlS15_E_NS1_11comp_targetILNS1_3genE2ELNS1_11target_archE906ELNS1_3gpuE6ELNS1_3repE0EEENS1_30default_config_static_selectorELNS0_4arch9wavefront6targetE0EEEvT1_.kd
    .uniform_work_group_size: 1
    .uses_dynamic_stack: false
    .vgpr_count:     0
    .vgpr_spill_count: 0
    .wavefront_size: 32
    .workgroup_processor_mode: 1
  - .args:
      - .offset:         0
        .size:           120
        .value_kind:     by_value
    .group_segment_fixed_size: 0
    .kernarg_segment_align: 8
    .kernarg_segment_size: 120
    .language:       OpenCL C
    .language_version:
      - 2
      - 0
    .max_flat_workgroup_size: 384
    .name:           _ZN7rocprim17ROCPRIM_400000_NS6detail17trampoline_kernelINS0_14default_configENS1_25partition_config_selectorILNS1_17partition_subalgoE9EllbEEZZNS1_14partition_implILS5_9ELb0ES3_jPlS8_PNS0_10empty_typeENS0_5tupleIJS8_S9_EEENSB_IJS8_SA_EEENS0_18inequality_wrapperIZN2at6native12_GLOBAL__N_124unique_dim_cuda_templateIjEESt5tupleIJNSF_6TensorESK_SK_EERKSK_lbbbEUlllE0_EEPmJS9_EEE10hipError_tPvRmT3_T4_T5_T6_T7_T9_mT8_P12ihipStream_tbDpT10_ENKUlT_T0_E_clISt17integral_constantIbLb0EES1A_EEDaS15_S16_EUlS15_E_NS1_11comp_targetILNS1_3genE10ELNS1_11target_archE1200ELNS1_3gpuE4ELNS1_3repE0EEENS1_30default_config_static_selectorELNS0_4arch9wavefront6targetE0EEEvT1_
    .private_segment_fixed_size: 0
    .sgpr_count:     0
    .sgpr_spill_count: 0
    .symbol:         _ZN7rocprim17ROCPRIM_400000_NS6detail17trampoline_kernelINS0_14default_configENS1_25partition_config_selectorILNS1_17partition_subalgoE9EllbEEZZNS1_14partition_implILS5_9ELb0ES3_jPlS8_PNS0_10empty_typeENS0_5tupleIJS8_S9_EEENSB_IJS8_SA_EEENS0_18inequality_wrapperIZN2at6native12_GLOBAL__N_124unique_dim_cuda_templateIjEESt5tupleIJNSF_6TensorESK_SK_EERKSK_lbbbEUlllE0_EEPmJS9_EEE10hipError_tPvRmT3_T4_T5_T6_T7_T9_mT8_P12ihipStream_tbDpT10_ENKUlT_T0_E_clISt17integral_constantIbLb0EES1A_EEDaS15_S16_EUlS15_E_NS1_11comp_targetILNS1_3genE10ELNS1_11target_archE1200ELNS1_3gpuE4ELNS1_3repE0EEENS1_30default_config_static_selectorELNS0_4arch9wavefront6targetE0EEEvT1_.kd
    .uniform_work_group_size: 1
    .uses_dynamic_stack: false
    .vgpr_count:     0
    .vgpr_spill_count: 0
    .wavefront_size: 32
    .workgroup_processor_mode: 1
  - .args:
      - .offset:         0
        .size:           120
        .value_kind:     by_value
    .group_segment_fixed_size: 33804
    .kernarg_segment_align: 8
    .kernarg_segment_size: 120
    .language:       OpenCL C
    .language_version:
      - 2
      - 0
    .max_flat_workgroup_size: 512
    .name:           _ZN7rocprim17ROCPRIM_400000_NS6detail17trampoline_kernelINS0_14default_configENS1_25partition_config_selectorILNS1_17partition_subalgoE9EllbEEZZNS1_14partition_implILS5_9ELb0ES3_jPlS8_PNS0_10empty_typeENS0_5tupleIJS8_S9_EEENSB_IJS8_SA_EEENS0_18inequality_wrapperIZN2at6native12_GLOBAL__N_124unique_dim_cuda_templateIjEESt5tupleIJNSF_6TensorESK_SK_EERKSK_lbbbEUlllE0_EEPmJS9_EEE10hipError_tPvRmT3_T4_T5_T6_T7_T9_mT8_P12ihipStream_tbDpT10_ENKUlT_T0_E_clISt17integral_constantIbLb0EES1A_EEDaS15_S16_EUlS15_E_NS1_11comp_targetILNS1_3genE9ELNS1_11target_archE1100ELNS1_3gpuE3ELNS1_3repE0EEENS1_30default_config_static_selectorELNS0_4arch9wavefront6targetE0EEEvT1_
    .private_segment_fixed_size: 0
    .sgpr_count:     38
    .sgpr_spill_count: 0
    .symbol:         _ZN7rocprim17ROCPRIM_400000_NS6detail17trampoline_kernelINS0_14default_configENS1_25partition_config_selectorILNS1_17partition_subalgoE9EllbEEZZNS1_14partition_implILS5_9ELb0ES3_jPlS8_PNS0_10empty_typeENS0_5tupleIJS8_S9_EEENSB_IJS8_SA_EEENS0_18inequality_wrapperIZN2at6native12_GLOBAL__N_124unique_dim_cuda_templateIjEESt5tupleIJNSF_6TensorESK_SK_EERKSK_lbbbEUlllE0_EEPmJS9_EEE10hipError_tPvRmT3_T4_T5_T6_T7_T9_mT8_P12ihipStream_tbDpT10_ENKUlT_T0_E_clISt17integral_constantIbLb0EES1A_EEDaS15_S16_EUlS15_E_NS1_11comp_targetILNS1_3genE9ELNS1_11target_archE1100ELNS1_3gpuE3ELNS1_3repE0EEENS1_30default_config_static_selectorELNS0_4arch9wavefront6targetE0EEEvT1_.kd
    .uniform_work_group_size: 1
    .uses_dynamic_stack: false
    .vgpr_count:     68
    .vgpr_spill_count: 0
    .wavefront_size: 32
    .workgroup_processor_mode: 1
  - .args:
      - .offset:         0
        .size:           120
        .value_kind:     by_value
    .group_segment_fixed_size: 0
    .kernarg_segment_align: 8
    .kernarg_segment_size: 120
    .language:       OpenCL C
    .language_version:
      - 2
      - 0
    .max_flat_workgroup_size: 512
    .name:           _ZN7rocprim17ROCPRIM_400000_NS6detail17trampoline_kernelINS0_14default_configENS1_25partition_config_selectorILNS1_17partition_subalgoE9EllbEEZZNS1_14partition_implILS5_9ELb0ES3_jPlS8_PNS0_10empty_typeENS0_5tupleIJS8_S9_EEENSB_IJS8_SA_EEENS0_18inequality_wrapperIZN2at6native12_GLOBAL__N_124unique_dim_cuda_templateIjEESt5tupleIJNSF_6TensorESK_SK_EERKSK_lbbbEUlllE0_EEPmJS9_EEE10hipError_tPvRmT3_T4_T5_T6_T7_T9_mT8_P12ihipStream_tbDpT10_ENKUlT_T0_E_clISt17integral_constantIbLb0EES1A_EEDaS15_S16_EUlS15_E_NS1_11comp_targetILNS1_3genE8ELNS1_11target_archE1030ELNS1_3gpuE2ELNS1_3repE0EEENS1_30default_config_static_selectorELNS0_4arch9wavefront6targetE0EEEvT1_
    .private_segment_fixed_size: 0
    .sgpr_count:     0
    .sgpr_spill_count: 0
    .symbol:         _ZN7rocprim17ROCPRIM_400000_NS6detail17trampoline_kernelINS0_14default_configENS1_25partition_config_selectorILNS1_17partition_subalgoE9EllbEEZZNS1_14partition_implILS5_9ELb0ES3_jPlS8_PNS0_10empty_typeENS0_5tupleIJS8_S9_EEENSB_IJS8_SA_EEENS0_18inequality_wrapperIZN2at6native12_GLOBAL__N_124unique_dim_cuda_templateIjEESt5tupleIJNSF_6TensorESK_SK_EERKSK_lbbbEUlllE0_EEPmJS9_EEE10hipError_tPvRmT3_T4_T5_T6_T7_T9_mT8_P12ihipStream_tbDpT10_ENKUlT_T0_E_clISt17integral_constantIbLb0EES1A_EEDaS15_S16_EUlS15_E_NS1_11comp_targetILNS1_3genE8ELNS1_11target_archE1030ELNS1_3gpuE2ELNS1_3repE0EEENS1_30default_config_static_selectorELNS0_4arch9wavefront6targetE0EEEvT1_.kd
    .uniform_work_group_size: 1
    .uses_dynamic_stack: false
    .vgpr_count:     0
    .vgpr_spill_count: 0
    .wavefront_size: 32
    .workgroup_processor_mode: 1
  - .args:
      - .offset:         0
        .size:           136
        .value_kind:     by_value
    .group_segment_fixed_size: 0
    .kernarg_segment_align: 8
    .kernarg_segment_size: 136
    .language:       OpenCL C
    .language_version:
      - 2
      - 0
    .max_flat_workgroup_size: 128
    .name:           _ZN7rocprim17ROCPRIM_400000_NS6detail17trampoline_kernelINS0_14default_configENS1_25partition_config_selectorILNS1_17partition_subalgoE9EllbEEZZNS1_14partition_implILS5_9ELb0ES3_jPlS8_PNS0_10empty_typeENS0_5tupleIJS8_S9_EEENSB_IJS8_SA_EEENS0_18inequality_wrapperIZN2at6native12_GLOBAL__N_124unique_dim_cuda_templateIjEESt5tupleIJNSF_6TensorESK_SK_EERKSK_lbbbEUlllE0_EEPmJS9_EEE10hipError_tPvRmT3_T4_T5_T6_T7_T9_mT8_P12ihipStream_tbDpT10_ENKUlT_T0_E_clISt17integral_constantIbLb1EES1A_EEDaS15_S16_EUlS15_E_NS1_11comp_targetILNS1_3genE0ELNS1_11target_archE4294967295ELNS1_3gpuE0ELNS1_3repE0EEENS1_30default_config_static_selectorELNS0_4arch9wavefront6targetE0EEEvT1_
    .private_segment_fixed_size: 0
    .sgpr_count:     0
    .sgpr_spill_count: 0
    .symbol:         _ZN7rocprim17ROCPRIM_400000_NS6detail17trampoline_kernelINS0_14default_configENS1_25partition_config_selectorILNS1_17partition_subalgoE9EllbEEZZNS1_14partition_implILS5_9ELb0ES3_jPlS8_PNS0_10empty_typeENS0_5tupleIJS8_S9_EEENSB_IJS8_SA_EEENS0_18inequality_wrapperIZN2at6native12_GLOBAL__N_124unique_dim_cuda_templateIjEESt5tupleIJNSF_6TensorESK_SK_EERKSK_lbbbEUlllE0_EEPmJS9_EEE10hipError_tPvRmT3_T4_T5_T6_T7_T9_mT8_P12ihipStream_tbDpT10_ENKUlT_T0_E_clISt17integral_constantIbLb1EES1A_EEDaS15_S16_EUlS15_E_NS1_11comp_targetILNS1_3genE0ELNS1_11target_archE4294967295ELNS1_3gpuE0ELNS1_3repE0EEENS1_30default_config_static_selectorELNS0_4arch9wavefront6targetE0EEEvT1_.kd
    .uniform_work_group_size: 1
    .uses_dynamic_stack: false
    .vgpr_count:     0
    .vgpr_spill_count: 0
    .wavefront_size: 32
    .workgroup_processor_mode: 1
  - .args:
      - .offset:         0
        .size:           136
        .value_kind:     by_value
    .group_segment_fixed_size: 0
    .kernarg_segment_align: 8
    .kernarg_segment_size: 136
    .language:       OpenCL C
    .language_version:
      - 2
      - 0
    .max_flat_workgroup_size: 512
    .name:           _ZN7rocprim17ROCPRIM_400000_NS6detail17trampoline_kernelINS0_14default_configENS1_25partition_config_selectorILNS1_17partition_subalgoE9EllbEEZZNS1_14partition_implILS5_9ELb0ES3_jPlS8_PNS0_10empty_typeENS0_5tupleIJS8_S9_EEENSB_IJS8_SA_EEENS0_18inequality_wrapperIZN2at6native12_GLOBAL__N_124unique_dim_cuda_templateIjEESt5tupleIJNSF_6TensorESK_SK_EERKSK_lbbbEUlllE0_EEPmJS9_EEE10hipError_tPvRmT3_T4_T5_T6_T7_T9_mT8_P12ihipStream_tbDpT10_ENKUlT_T0_E_clISt17integral_constantIbLb1EES1A_EEDaS15_S16_EUlS15_E_NS1_11comp_targetILNS1_3genE5ELNS1_11target_archE942ELNS1_3gpuE9ELNS1_3repE0EEENS1_30default_config_static_selectorELNS0_4arch9wavefront6targetE0EEEvT1_
    .private_segment_fixed_size: 0
    .sgpr_count:     0
    .sgpr_spill_count: 0
    .symbol:         _ZN7rocprim17ROCPRIM_400000_NS6detail17trampoline_kernelINS0_14default_configENS1_25partition_config_selectorILNS1_17partition_subalgoE9EllbEEZZNS1_14partition_implILS5_9ELb0ES3_jPlS8_PNS0_10empty_typeENS0_5tupleIJS8_S9_EEENSB_IJS8_SA_EEENS0_18inequality_wrapperIZN2at6native12_GLOBAL__N_124unique_dim_cuda_templateIjEESt5tupleIJNSF_6TensorESK_SK_EERKSK_lbbbEUlllE0_EEPmJS9_EEE10hipError_tPvRmT3_T4_T5_T6_T7_T9_mT8_P12ihipStream_tbDpT10_ENKUlT_T0_E_clISt17integral_constantIbLb1EES1A_EEDaS15_S16_EUlS15_E_NS1_11comp_targetILNS1_3genE5ELNS1_11target_archE942ELNS1_3gpuE9ELNS1_3repE0EEENS1_30default_config_static_selectorELNS0_4arch9wavefront6targetE0EEEvT1_.kd
    .uniform_work_group_size: 1
    .uses_dynamic_stack: false
    .vgpr_count:     0
    .vgpr_spill_count: 0
    .wavefront_size: 32
    .workgroup_processor_mode: 1
  - .args:
      - .offset:         0
        .size:           136
        .value_kind:     by_value
    .group_segment_fixed_size: 0
    .kernarg_segment_align: 8
    .kernarg_segment_size: 136
    .language:       OpenCL C
    .language_version:
      - 2
      - 0
    .max_flat_workgroup_size: 128
    .name:           _ZN7rocprim17ROCPRIM_400000_NS6detail17trampoline_kernelINS0_14default_configENS1_25partition_config_selectorILNS1_17partition_subalgoE9EllbEEZZNS1_14partition_implILS5_9ELb0ES3_jPlS8_PNS0_10empty_typeENS0_5tupleIJS8_S9_EEENSB_IJS8_SA_EEENS0_18inequality_wrapperIZN2at6native12_GLOBAL__N_124unique_dim_cuda_templateIjEESt5tupleIJNSF_6TensorESK_SK_EERKSK_lbbbEUlllE0_EEPmJS9_EEE10hipError_tPvRmT3_T4_T5_T6_T7_T9_mT8_P12ihipStream_tbDpT10_ENKUlT_T0_E_clISt17integral_constantIbLb1EES1A_EEDaS15_S16_EUlS15_E_NS1_11comp_targetILNS1_3genE4ELNS1_11target_archE910ELNS1_3gpuE8ELNS1_3repE0EEENS1_30default_config_static_selectorELNS0_4arch9wavefront6targetE0EEEvT1_
    .private_segment_fixed_size: 0
    .sgpr_count:     0
    .sgpr_spill_count: 0
    .symbol:         _ZN7rocprim17ROCPRIM_400000_NS6detail17trampoline_kernelINS0_14default_configENS1_25partition_config_selectorILNS1_17partition_subalgoE9EllbEEZZNS1_14partition_implILS5_9ELb0ES3_jPlS8_PNS0_10empty_typeENS0_5tupleIJS8_S9_EEENSB_IJS8_SA_EEENS0_18inequality_wrapperIZN2at6native12_GLOBAL__N_124unique_dim_cuda_templateIjEESt5tupleIJNSF_6TensorESK_SK_EERKSK_lbbbEUlllE0_EEPmJS9_EEE10hipError_tPvRmT3_T4_T5_T6_T7_T9_mT8_P12ihipStream_tbDpT10_ENKUlT_T0_E_clISt17integral_constantIbLb1EES1A_EEDaS15_S16_EUlS15_E_NS1_11comp_targetILNS1_3genE4ELNS1_11target_archE910ELNS1_3gpuE8ELNS1_3repE0EEENS1_30default_config_static_selectorELNS0_4arch9wavefront6targetE0EEEvT1_.kd
    .uniform_work_group_size: 1
    .uses_dynamic_stack: false
    .vgpr_count:     0
    .vgpr_spill_count: 0
    .wavefront_size: 32
    .workgroup_processor_mode: 1
  - .args:
      - .offset:         0
        .size:           136
        .value_kind:     by_value
    .group_segment_fixed_size: 0
    .kernarg_segment_align: 8
    .kernarg_segment_size: 136
    .language:       OpenCL C
    .language_version:
      - 2
      - 0
    .max_flat_workgroup_size: 128
    .name:           _ZN7rocprim17ROCPRIM_400000_NS6detail17trampoline_kernelINS0_14default_configENS1_25partition_config_selectorILNS1_17partition_subalgoE9EllbEEZZNS1_14partition_implILS5_9ELb0ES3_jPlS8_PNS0_10empty_typeENS0_5tupleIJS8_S9_EEENSB_IJS8_SA_EEENS0_18inequality_wrapperIZN2at6native12_GLOBAL__N_124unique_dim_cuda_templateIjEESt5tupleIJNSF_6TensorESK_SK_EERKSK_lbbbEUlllE0_EEPmJS9_EEE10hipError_tPvRmT3_T4_T5_T6_T7_T9_mT8_P12ihipStream_tbDpT10_ENKUlT_T0_E_clISt17integral_constantIbLb1EES1A_EEDaS15_S16_EUlS15_E_NS1_11comp_targetILNS1_3genE3ELNS1_11target_archE908ELNS1_3gpuE7ELNS1_3repE0EEENS1_30default_config_static_selectorELNS0_4arch9wavefront6targetE0EEEvT1_
    .private_segment_fixed_size: 0
    .sgpr_count:     0
    .sgpr_spill_count: 0
    .symbol:         _ZN7rocprim17ROCPRIM_400000_NS6detail17trampoline_kernelINS0_14default_configENS1_25partition_config_selectorILNS1_17partition_subalgoE9EllbEEZZNS1_14partition_implILS5_9ELb0ES3_jPlS8_PNS0_10empty_typeENS0_5tupleIJS8_S9_EEENSB_IJS8_SA_EEENS0_18inequality_wrapperIZN2at6native12_GLOBAL__N_124unique_dim_cuda_templateIjEESt5tupleIJNSF_6TensorESK_SK_EERKSK_lbbbEUlllE0_EEPmJS9_EEE10hipError_tPvRmT3_T4_T5_T6_T7_T9_mT8_P12ihipStream_tbDpT10_ENKUlT_T0_E_clISt17integral_constantIbLb1EES1A_EEDaS15_S16_EUlS15_E_NS1_11comp_targetILNS1_3genE3ELNS1_11target_archE908ELNS1_3gpuE7ELNS1_3repE0EEENS1_30default_config_static_selectorELNS0_4arch9wavefront6targetE0EEEvT1_.kd
    .uniform_work_group_size: 1
    .uses_dynamic_stack: false
    .vgpr_count:     0
    .vgpr_spill_count: 0
    .wavefront_size: 32
    .workgroup_processor_mode: 1
  - .args:
      - .offset:         0
        .size:           136
        .value_kind:     by_value
    .group_segment_fixed_size: 0
    .kernarg_segment_align: 8
    .kernarg_segment_size: 136
    .language:       OpenCL C
    .language_version:
      - 2
      - 0
    .max_flat_workgroup_size: 192
    .name:           _ZN7rocprim17ROCPRIM_400000_NS6detail17trampoline_kernelINS0_14default_configENS1_25partition_config_selectorILNS1_17partition_subalgoE9EllbEEZZNS1_14partition_implILS5_9ELb0ES3_jPlS8_PNS0_10empty_typeENS0_5tupleIJS8_S9_EEENSB_IJS8_SA_EEENS0_18inequality_wrapperIZN2at6native12_GLOBAL__N_124unique_dim_cuda_templateIjEESt5tupleIJNSF_6TensorESK_SK_EERKSK_lbbbEUlllE0_EEPmJS9_EEE10hipError_tPvRmT3_T4_T5_T6_T7_T9_mT8_P12ihipStream_tbDpT10_ENKUlT_T0_E_clISt17integral_constantIbLb1EES1A_EEDaS15_S16_EUlS15_E_NS1_11comp_targetILNS1_3genE2ELNS1_11target_archE906ELNS1_3gpuE6ELNS1_3repE0EEENS1_30default_config_static_selectorELNS0_4arch9wavefront6targetE0EEEvT1_
    .private_segment_fixed_size: 0
    .sgpr_count:     0
    .sgpr_spill_count: 0
    .symbol:         _ZN7rocprim17ROCPRIM_400000_NS6detail17trampoline_kernelINS0_14default_configENS1_25partition_config_selectorILNS1_17partition_subalgoE9EllbEEZZNS1_14partition_implILS5_9ELb0ES3_jPlS8_PNS0_10empty_typeENS0_5tupleIJS8_S9_EEENSB_IJS8_SA_EEENS0_18inequality_wrapperIZN2at6native12_GLOBAL__N_124unique_dim_cuda_templateIjEESt5tupleIJNSF_6TensorESK_SK_EERKSK_lbbbEUlllE0_EEPmJS9_EEE10hipError_tPvRmT3_T4_T5_T6_T7_T9_mT8_P12ihipStream_tbDpT10_ENKUlT_T0_E_clISt17integral_constantIbLb1EES1A_EEDaS15_S16_EUlS15_E_NS1_11comp_targetILNS1_3genE2ELNS1_11target_archE906ELNS1_3gpuE6ELNS1_3repE0EEENS1_30default_config_static_selectorELNS0_4arch9wavefront6targetE0EEEvT1_.kd
    .uniform_work_group_size: 1
    .uses_dynamic_stack: false
    .vgpr_count:     0
    .vgpr_spill_count: 0
    .wavefront_size: 32
    .workgroup_processor_mode: 1
  - .args:
      - .offset:         0
        .size:           136
        .value_kind:     by_value
    .group_segment_fixed_size: 0
    .kernarg_segment_align: 8
    .kernarg_segment_size: 136
    .language:       OpenCL C
    .language_version:
      - 2
      - 0
    .max_flat_workgroup_size: 384
    .name:           _ZN7rocprim17ROCPRIM_400000_NS6detail17trampoline_kernelINS0_14default_configENS1_25partition_config_selectorILNS1_17partition_subalgoE9EllbEEZZNS1_14partition_implILS5_9ELb0ES3_jPlS8_PNS0_10empty_typeENS0_5tupleIJS8_S9_EEENSB_IJS8_SA_EEENS0_18inequality_wrapperIZN2at6native12_GLOBAL__N_124unique_dim_cuda_templateIjEESt5tupleIJNSF_6TensorESK_SK_EERKSK_lbbbEUlllE0_EEPmJS9_EEE10hipError_tPvRmT3_T4_T5_T6_T7_T9_mT8_P12ihipStream_tbDpT10_ENKUlT_T0_E_clISt17integral_constantIbLb1EES1A_EEDaS15_S16_EUlS15_E_NS1_11comp_targetILNS1_3genE10ELNS1_11target_archE1200ELNS1_3gpuE4ELNS1_3repE0EEENS1_30default_config_static_selectorELNS0_4arch9wavefront6targetE0EEEvT1_
    .private_segment_fixed_size: 0
    .sgpr_count:     0
    .sgpr_spill_count: 0
    .symbol:         _ZN7rocprim17ROCPRIM_400000_NS6detail17trampoline_kernelINS0_14default_configENS1_25partition_config_selectorILNS1_17partition_subalgoE9EllbEEZZNS1_14partition_implILS5_9ELb0ES3_jPlS8_PNS0_10empty_typeENS0_5tupleIJS8_S9_EEENSB_IJS8_SA_EEENS0_18inequality_wrapperIZN2at6native12_GLOBAL__N_124unique_dim_cuda_templateIjEESt5tupleIJNSF_6TensorESK_SK_EERKSK_lbbbEUlllE0_EEPmJS9_EEE10hipError_tPvRmT3_T4_T5_T6_T7_T9_mT8_P12ihipStream_tbDpT10_ENKUlT_T0_E_clISt17integral_constantIbLb1EES1A_EEDaS15_S16_EUlS15_E_NS1_11comp_targetILNS1_3genE10ELNS1_11target_archE1200ELNS1_3gpuE4ELNS1_3repE0EEENS1_30default_config_static_selectorELNS0_4arch9wavefront6targetE0EEEvT1_.kd
    .uniform_work_group_size: 1
    .uses_dynamic_stack: false
    .vgpr_count:     0
    .vgpr_spill_count: 0
    .wavefront_size: 32
    .workgroup_processor_mode: 1
  - .args:
      - .offset:         0
        .size:           136
        .value_kind:     by_value
    .group_segment_fixed_size: 33804
    .kernarg_segment_align: 8
    .kernarg_segment_size: 136
    .language:       OpenCL C
    .language_version:
      - 2
      - 0
    .max_flat_workgroup_size: 512
    .name:           _ZN7rocprim17ROCPRIM_400000_NS6detail17trampoline_kernelINS0_14default_configENS1_25partition_config_selectorILNS1_17partition_subalgoE9EllbEEZZNS1_14partition_implILS5_9ELb0ES3_jPlS8_PNS0_10empty_typeENS0_5tupleIJS8_S9_EEENSB_IJS8_SA_EEENS0_18inequality_wrapperIZN2at6native12_GLOBAL__N_124unique_dim_cuda_templateIjEESt5tupleIJNSF_6TensorESK_SK_EERKSK_lbbbEUlllE0_EEPmJS9_EEE10hipError_tPvRmT3_T4_T5_T6_T7_T9_mT8_P12ihipStream_tbDpT10_ENKUlT_T0_E_clISt17integral_constantIbLb1EES1A_EEDaS15_S16_EUlS15_E_NS1_11comp_targetILNS1_3genE9ELNS1_11target_archE1100ELNS1_3gpuE3ELNS1_3repE0EEENS1_30default_config_static_selectorELNS0_4arch9wavefront6targetE0EEEvT1_
    .private_segment_fixed_size: 0
    .sgpr_count:     42
    .sgpr_spill_count: 0
    .symbol:         _ZN7rocprim17ROCPRIM_400000_NS6detail17trampoline_kernelINS0_14default_configENS1_25partition_config_selectorILNS1_17partition_subalgoE9EllbEEZZNS1_14partition_implILS5_9ELb0ES3_jPlS8_PNS0_10empty_typeENS0_5tupleIJS8_S9_EEENSB_IJS8_SA_EEENS0_18inequality_wrapperIZN2at6native12_GLOBAL__N_124unique_dim_cuda_templateIjEESt5tupleIJNSF_6TensorESK_SK_EERKSK_lbbbEUlllE0_EEPmJS9_EEE10hipError_tPvRmT3_T4_T5_T6_T7_T9_mT8_P12ihipStream_tbDpT10_ENKUlT_T0_E_clISt17integral_constantIbLb1EES1A_EEDaS15_S16_EUlS15_E_NS1_11comp_targetILNS1_3genE9ELNS1_11target_archE1100ELNS1_3gpuE3ELNS1_3repE0EEENS1_30default_config_static_selectorELNS0_4arch9wavefront6targetE0EEEvT1_.kd
    .uniform_work_group_size: 1
    .uses_dynamic_stack: false
    .vgpr_count:     68
    .vgpr_spill_count: 0
    .wavefront_size: 32
    .workgroup_processor_mode: 1
  - .args:
      - .offset:         0
        .size:           136
        .value_kind:     by_value
    .group_segment_fixed_size: 0
    .kernarg_segment_align: 8
    .kernarg_segment_size: 136
    .language:       OpenCL C
    .language_version:
      - 2
      - 0
    .max_flat_workgroup_size: 512
    .name:           _ZN7rocprim17ROCPRIM_400000_NS6detail17trampoline_kernelINS0_14default_configENS1_25partition_config_selectorILNS1_17partition_subalgoE9EllbEEZZNS1_14partition_implILS5_9ELb0ES3_jPlS8_PNS0_10empty_typeENS0_5tupleIJS8_S9_EEENSB_IJS8_SA_EEENS0_18inequality_wrapperIZN2at6native12_GLOBAL__N_124unique_dim_cuda_templateIjEESt5tupleIJNSF_6TensorESK_SK_EERKSK_lbbbEUlllE0_EEPmJS9_EEE10hipError_tPvRmT3_T4_T5_T6_T7_T9_mT8_P12ihipStream_tbDpT10_ENKUlT_T0_E_clISt17integral_constantIbLb1EES1A_EEDaS15_S16_EUlS15_E_NS1_11comp_targetILNS1_3genE8ELNS1_11target_archE1030ELNS1_3gpuE2ELNS1_3repE0EEENS1_30default_config_static_selectorELNS0_4arch9wavefront6targetE0EEEvT1_
    .private_segment_fixed_size: 0
    .sgpr_count:     0
    .sgpr_spill_count: 0
    .symbol:         _ZN7rocprim17ROCPRIM_400000_NS6detail17trampoline_kernelINS0_14default_configENS1_25partition_config_selectorILNS1_17partition_subalgoE9EllbEEZZNS1_14partition_implILS5_9ELb0ES3_jPlS8_PNS0_10empty_typeENS0_5tupleIJS8_S9_EEENSB_IJS8_SA_EEENS0_18inequality_wrapperIZN2at6native12_GLOBAL__N_124unique_dim_cuda_templateIjEESt5tupleIJNSF_6TensorESK_SK_EERKSK_lbbbEUlllE0_EEPmJS9_EEE10hipError_tPvRmT3_T4_T5_T6_T7_T9_mT8_P12ihipStream_tbDpT10_ENKUlT_T0_E_clISt17integral_constantIbLb1EES1A_EEDaS15_S16_EUlS15_E_NS1_11comp_targetILNS1_3genE8ELNS1_11target_archE1030ELNS1_3gpuE2ELNS1_3repE0EEENS1_30default_config_static_selectorELNS0_4arch9wavefront6targetE0EEEvT1_.kd
    .uniform_work_group_size: 1
    .uses_dynamic_stack: false
    .vgpr_count:     0
    .vgpr_spill_count: 0
    .wavefront_size: 32
    .workgroup_processor_mode: 1
  - .args:
      - .offset:         0
        .size:           120
        .value_kind:     by_value
    .group_segment_fixed_size: 0
    .kernarg_segment_align: 8
    .kernarg_segment_size: 120
    .language:       OpenCL C
    .language_version:
      - 2
      - 0
    .max_flat_workgroup_size: 128
    .name:           _ZN7rocprim17ROCPRIM_400000_NS6detail17trampoline_kernelINS0_14default_configENS1_25partition_config_selectorILNS1_17partition_subalgoE9EllbEEZZNS1_14partition_implILS5_9ELb0ES3_jPlS8_PNS0_10empty_typeENS0_5tupleIJS8_S9_EEENSB_IJS8_SA_EEENS0_18inequality_wrapperIZN2at6native12_GLOBAL__N_124unique_dim_cuda_templateIjEESt5tupleIJNSF_6TensorESK_SK_EERKSK_lbbbEUlllE0_EEPmJS9_EEE10hipError_tPvRmT3_T4_T5_T6_T7_T9_mT8_P12ihipStream_tbDpT10_ENKUlT_T0_E_clISt17integral_constantIbLb1EES19_IbLb0EEEEDaS15_S16_EUlS15_E_NS1_11comp_targetILNS1_3genE0ELNS1_11target_archE4294967295ELNS1_3gpuE0ELNS1_3repE0EEENS1_30default_config_static_selectorELNS0_4arch9wavefront6targetE0EEEvT1_
    .private_segment_fixed_size: 0
    .sgpr_count:     0
    .sgpr_spill_count: 0
    .symbol:         _ZN7rocprim17ROCPRIM_400000_NS6detail17trampoline_kernelINS0_14default_configENS1_25partition_config_selectorILNS1_17partition_subalgoE9EllbEEZZNS1_14partition_implILS5_9ELb0ES3_jPlS8_PNS0_10empty_typeENS0_5tupleIJS8_S9_EEENSB_IJS8_SA_EEENS0_18inequality_wrapperIZN2at6native12_GLOBAL__N_124unique_dim_cuda_templateIjEESt5tupleIJNSF_6TensorESK_SK_EERKSK_lbbbEUlllE0_EEPmJS9_EEE10hipError_tPvRmT3_T4_T5_T6_T7_T9_mT8_P12ihipStream_tbDpT10_ENKUlT_T0_E_clISt17integral_constantIbLb1EES19_IbLb0EEEEDaS15_S16_EUlS15_E_NS1_11comp_targetILNS1_3genE0ELNS1_11target_archE4294967295ELNS1_3gpuE0ELNS1_3repE0EEENS1_30default_config_static_selectorELNS0_4arch9wavefront6targetE0EEEvT1_.kd
    .uniform_work_group_size: 1
    .uses_dynamic_stack: false
    .vgpr_count:     0
    .vgpr_spill_count: 0
    .wavefront_size: 32
    .workgroup_processor_mode: 1
  - .args:
      - .offset:         0
        .size:           120
        .value_kind:     by_value
    .group_segment_fixed_size: 0
    .kernarg_segment_align: 8
    .kernarg_segment_size: 120
    .language:       OpenCL C
    .language_version:
      - 2
      - 0
    .max_flat_workgroup_size: 512
    .name:           _ZN7rocprim17ROCPRIM_400000_NS6detail17trampoline_kernelINS0_14default_configENS1_25partition_config_selectorILNS1_17partition_subalgoE9EllbEEZZNS1_14partition_implILS5_9ELb0ES3_jPlS8_PNS0_10empty_typeENS0_5tupleIJS8_S9_EEENSB_IJS8_SA_EEENS0_18inequality_wrapperIZN2at6native12_GLOBAL__N_124unique_dim_cuda_templateIjEESt5tupleIJNSF_6TensorESK_SK_EERKSK_lbbbEUlllE0_EEPmJS9_EEE10hipError_tPvRmT3_T4_T5_T6_T7_T9_mT8_P12ihipStream_tbDpT10_ENKUlT_T0_E_clISt17integral_constantIbLb1EES19_IbLb0EEEEDaS15_S16_EUlS15_E_NS1_11comp_targetILNS1_3genE5ELNS1_11target_archE942ELNS1_3gpuE9ELNS1_3repE0EEENS1_30default_config_static_selectorELNS0_4arch9wavefront6targetE0EEEvT1_
    .private_segment_fixed_size: 0
    .sgpr_count:     0
    .sgpr_spill_count: 0
    .symbol:         _ZN7rocprim17ROCPRIM_400000_NS6detail17trampoline_kernelINS0_14default_configENS1_25partition_config_selectorILNS1_17partition_subalgoE9EllbEEZZNS1_14partition_implILS5_9ELb0ES3_jPlS8_PNS0_10empty_typeENS0_5tupleIJS8_S9_EEENSB_IJS8_SA_EEENS0_18inequality_wrapperIZN2at6native12_GLOBAL__N_124unique_dim_cuda_templateIjEESt5tupleIJNSF_6TensorESK_SK_EERKSK_lbbbEUlllE0_EEPmJS9_EEE10hipError_tPvRmT3_T4_T5_T6_T7_T9_mT8_P12ihipStream_tbDpT10_ENKUlT_T0_E_clISt17integral_constantIbLb1EES19_IbLb0EEEEDaS15_S16_EUlS15_E_NS1_11comp_targetILNS1_3genE5ELNS1_11target_archE942ELNS1_3gpuE9ELNS1_3repE0EEENS1_30default_config_static_selectorELNS0_4arch9wavefront6targetE0EEEvT1_.kd
    .uniform_work_group_size: 1
    .uses_dynamic_stack: false
    .vgpr_count:     0
    .vgpr_spill_count: 0
    .wavefront_size: 32
    .workgroup_processor_mode: 1
  - .args:
      - .offset:         0
        .size:           120
        .value_kind:     by_value
    .group_segment_fixed_size: 0
    .kernarg_segment_align: 8
    .kernarg_segment_size: 120
    .language:       OpenCL C
    .language_version:
      - 2
      - 0
    .max_flat_workgroup_size: 128
    .name:           _ZN7rocprim17ROCPRIM_400000_NS6detail17trampoline_kernelINS0_14default_configENS1_25partition_config_selectorILNS1_17partition_subalgoE9EllbEEZZNS1_14partition_implILS5_9ELb0ES3_jPlS8_PNS0_10empty_typeENS0_5tupleIJS8_S9_EEENSB_IJS8_SA_EEENS0_18inequality_wrapperIZN2at6native12_GLOBAL__N_124unique_dim_cuda_templateIjEESt5tupleIJNSF_6TensorESK_SK_EERKSK_lbbbEUlllE0_EEPmJS9_EEE10hipError_tPvRmT3_T4_T5_T6_T7_T9_mT8_P12ihipStream_tbDpT10_ENKUlT_T0_E_clISt17integral_constantIbLb1EES19_IbLb0EEEEDaS15_S16_EUlS15_E_NS1_11comp_targetILNS1_3genE4ELNS1_11target_archE910ELNS1_3gpuE8ELNS1_3repE0EEENS1_30default_config_static_selectorELNS0_4arch9wavefront6targetE0EEEvT1_
    .private_segment_fixed_size: 0
    .sgpr_count:     0
    .sgpr_spill_count: 0
    .symbol:         _ZN7rocprim17ROCPRIM_400000_NS6detail17trampoline_kernelINS0_14default_configENS1_25partition_config_selectorILNS1_17partition_subalgoE9EllbEEZZNS1_14partition_implILS5_9ELb0ES3_jPlS8_PNS0_10empty_typeENS0_5tupleIJS8_S9_EEENSB_IJS8_SA_EEENS0_18inequality_wrapperIZN2at6native12_GLOBAL__N_124unique_dim_cuda_templateIjEESt5tupleIJNSF_6TensorESK_SK_EERKSK_lbbbEUlllE0_EEPmJS9_EEE10hipError_tPvRmT3_T4_T5_T6_T7_T9_mT8_P12ihipStream_tbDpT10_ENKUlT_T0_E_clISt17integral_constantIbLb1EES19_IbLb0EEEEDaS15_S16_EUlS15_E_NS1_11comp_targetILNS1_3genE4ELNS1_11target_archE910ELNS1_3gpuE8ELNS1_3repE0EEENS1_30default_config_static_selectorELNS0_4arch9wavefront6targetE0EEEvT1_.kd
    .uniform_work_group_size: 1
    .uses_dynamic_stack: false
    .vgpr_count:     0
    .vgpr_spill_count: 0
    .wavefront_size: 32
    .workgroup_processor_mode: 1
  - .args:
      - .offset:         0
        .size:           120
        .value_kind:     by_value
    .group_segment_fixed_size: 0
    .kernarg_segment_align: 8
    .kernarg_segment_size: 120
    .language:       OpenCL C
    .language_version:
      - 2
      - 0
    .max_flat_workgroup_size: 128
    .name:           _ZN7rocprim17ROCPRIM_400000_NS6detail17trampoline_kernelINS0_14default_configENS1_25partition_config_selectorILNS1_17partition_subalgoE9EllbEEZZNS1_14partition_implILS5_9ELb0ES3_jPlS8_PNS0_10empty_typeENS0_5tupleIJS8_S9_EEENSB_IJS8_SA_EEENS0_18inequality_wrapperIZN2at6native12_GLOBAL__N_124unique_dim_cuda_templateIjEESt5tupleIJNSF_6TensorESK_SK_EERKSK_lbbbEUlllE0_EEPmJS9_EEE10hipError_tPvRmT3_T4_T5_T6_T7_T9_mT8_P12ihipStream_tbDpT10_ENKUlT_T0_E_clISt17integral_constantIbLb1EES19_IbLb0EEEEDaS15_S16_EUlS15_E_NS1_11comp_targetILNS1_3genE3ELNS1_11target_archE908ELNS1_3gpuE7ELNS1_3repE0EEENS1_30default_config_static_selectorELNS0_4arch9wavefront6targetE0EEEvT1_
    .private_segment_fixed_size: 0
    .sgpr_count:     0
    .sgpr_spill_count: 0
    .symbol:         _ZN7rocprim17ROCPRIM_400000_NS6detail17trampoline_kernelINS0_14default_configENS1_25partition_config_selectorILNS1_17partition_subalgoE9EllbEEZZNS1_14partition_implILS5_9ELb0ES3_jPlS8_PNS0_10empty_typeENS0_5tupleIJS8_S9_EEENSB_IJS8_SA_EEENS0_18inequality_wrapperIZN2at6native12_GLOBAL__N_124unique_dim_cuda_templateIjEESt5tupleIJNSF_6TensorESK_SK_EERKSK_lbbbEUlllE0_EEPmJS9_EEE10hipError_tPvRmT3_T4_T5_T6_T7_T9_mT8_P12ihipStream_tbDpT10_ENKUlT_T0_E_clISt17integral_constantIbLb1EES19_IbLb0EEEEDaS15_S16_EUlS15_E_NS1_11comp_targetILNS1_3genE3ELNS1_11target_archE908ELNS1_3gpuE7ELNS1_3repE0EEENS1_30default_config_static_selectorELNS0_4arch9wavefront6targetE0EEEvT1_.kd
    .uniform_work_group_size: 1
    .uses_dynamic_stack: false
    .vgpr_count:     0
    .vgpr_spill_count: 0
    .wavefront_size: 32
    .workgroup_processor_mode: 1
  - .args:
      - .offset:         0
        .size:           120
        .value_kind:     by_value
    .group_segment_fixed_size: 0
    .kernarg_segment_align: 8
    .kernarg_segment_size: 120
    .language:       OpenCL C
    .language_version:
      - 2
      - 0
    .max_flat_workgroup_size: 192
    .name:           _ZN7rocprim17ROCPRIM_400000_NS6detail17trampoline_kernelINS0_14default_configENS1_25partition_config_selectorILNS1_17partition_subalgoE9EllbEEZZNS1_14partition_implILS5_9ELb0ES3_jPlS8_PNS0_10empty_typeENS0_5tupleIJS8_S9_EEENSB_IJS8_SA_EEENS0_18inequality_wrapperIZN2at6native12_GLOBAL__N_124unique_dim_cuda_templateIjEESt5tupleIJNSF_6TensorESK_SK_EERKSK_lbbbEUlllE0_EEPmJS9_EEE10hipError_tPvRmT3_T4_T5_T6_T7_T9_mT8_P12ihipStream_tbDpT10_ENKUlT_T0_E_clISt17integral_constantIbLb1EES19_IbLb0EEEEDaS15_S16_EUlS15_E_NS1_11comp_targetILNS1_3genE2ELNS1_11target_archE906ELNS1_3gpuE6ELNS1_3repE0EEENS1_30default_config_static_selectorELNS0_4arch9wavefront6targetE0EEEvT1_
    .private_segment_fixed_size: 0
    .sgpr_count:     0
    .sgpr_spill_count: 0
    .symbol:         _ZN7rocprim17ROCPRIM_400000_NS6detail17trampoline_kernelINS0_14default_configENS1_25partition_config_selectorILNS1_17partition_subalgoE9EllbEEZZNS1_14partition_implILS5_9ELb0ES3_jPlS8_PNS0_10empty_typeENS0_5tupleIJS8_S9_EEENSB_IJS8_SA_EEENS0_18inequality_wrapperIZN2at6native12_GLOBAL__N_124unique_dim_cuda_templateIjEESt5tupleIJNSF_6TensorESK_SK_EERKSK_lbbbEUlllE0_EEPmJS9_EEE10hipError_tPvRmT3_T4_T5_T6_T7_T9_mT8_P12ihipStream_tbDpT10_ENKUlT_T0_E_clISt17integral_constantIbLb1EES19_IbLb0EEEEDaS15_S16_EUlS15_E_NS1_11comp_targetILNS1_3genE2ELNS1_11target_archE906ELNS1_3gpuE6ELNS1_3repE0EEENS1_30default_config_static_selectorELNS0_4arch9wavefront6targetE0EEEvT1_.kd
    .uniform_work_group_size: 1
    .uses_dynamic_stack: false
    .vgpr_count:     0
    .vgpr_spill_count: 0
    .wavefront_size: 32
    .workgroup_processor_mode: 1
  - .args:
      - .offset:         0
        .size:           120
        .value_kind:     by_value
    .group_segment_fixed_size: 0
    .kernarg_segment_align: 8
    .kernarg_segment_size: 120
    .language:       OpenCL C
    .language_version:
      - 2
      - 0
    .max_flat_workgroup_size: 384
    .name:           _ZN7rocprim17ROCPRIM_400000_NS6detail17trampoline_kernelINS0_14default_configENS1_25partition_config_selectorILNS1_17partition_subalgoE9EllbEEZZNS1_14partition_implILS5_9ELb0ES3_jPlS8_PNS0_10empty_typeENS0_5tupleIJS8_S9_EEENSB_IJS8_SA_EEENS0_18inequality_wrapperIZN2at6native12_GLOBAL__N_124unique_dim_cuda_templateIjEESt5tupleIJNSF_6TensorESK_SK_EERKSK_lbbbEUlllE0_EEPmJS9_EEE10hipError_tPvRmT3_T4_T5_T6_T7_T9_mT8_P12ihipStream_tbDpT10_ENKUlT_T0_E_clISt17integral_constantIbLb1EES19_IbLb0EEEEDaS15_S16_EUlS15_E_NS1_11comp_targetILNS1_3genE10ELNS1_11target_archE1200ELNS1_3gpuE4ELNS1_3repE0EEENS1_30default_config_static_selectorELNS0_4arch9wavefront6targetE0EEEvT1_
    .private_segment_fixed_size: 0
    .sgpr_count:     0
    .sgpr_spill_count: 0
    .symbol:         _ZN7rocprim17ROCPRIM_400000_NS6detail17trampoline_kernelINS0_14default_configENS1_25partition_config_selectorILNS1_17partition_subalgoE9EllbEEZZNS1_14partition_implILS5_9ELb0ES3_jPlS8_PNS0_10empty_typeENS0_5tupleIJS8_S9_EEENSB_IJS8_SA_EEENS0_18inequality_wrapperIZN2at6native12_GLOBAL__N_124unique_dim_cuda_templateIjEESt5tupleIJNSF_6TensorESK_SK_EERKSK_lbbbEUlllE0_EEPmJS9_EEE10hipError_tPvRmT3_T4_T5_T6_T7_T9_mT8_P12ihipStream_tbDpT10_ENKUlT_T0_E_clISt17integral_constantIbLb1EES19_IbLb0EEEEDaS15_S16_EUlS15_E_NS1_11comp_targetILNS1_3genE10ELNS1_11target_archE1200ELNS1_3gpuE4ELNS1_3repE0EEENS1_30default_config_static_selectorELNS0_4arch9wavefront6targetE0EEEvT1_.kd
    .uniform_work_group_size: 1
    .uses_dynamic_stack: false
    .vgpr_count:     0
    .vgpr_spill_count: 0
    .wavefront_size: 32
    .workgroup_processor_mode: 1
  - .args:
      - .offset:         0
        .size:           120
        .value_kind:     by_value
    .group_segment_fixed_size: 33804
    .kernarg_segment_align: 8
    .kernarg_segment_size: 120
    .language:       OpenCL C
    .language_version:
      - 2
      - 0
    .max_flat_workgroup_size: 512
    .name:           _ZN7rocprim17ROCPRIM_400000_NS6detail17trampoline_kernelINS0_14default_configENS1_25partition_config_selectorILNS1_17partition_subalgoE9EllbEEZZNS1_14partition_implILS5_9ELb0ES3_jPlS8_PNS0_10empty_typeENS0_5tupleIJS8_S9_EEENSB_IJS8_SA_EEENS0_18inequality_wrapperIZN2at6native12_GLOBAL__N_124unique_dim_cuda_templateIjEESt5tupleIJNSF_6TensorESK_SK_EERKSK_lbbbEUlllE0_EEPmJS9_EEE10hipError_tPvRmT3_T4_T5_T6_T7_T9_mT8_P12ihipStream_tbDpT10_ENKUlT_T0_E_clISt17integral_constantIbLb1EES19_IbLb0EEEEDaS15_S16_EUlS15_E_NS1_11comp_targetILNS1_3genE9ELNS1_11target_archE1100ELNS1_3gpuE3ELNS1_3repE0EEENS1_30default_config_static_selectorELNS0_4arch9wavefront6targetE0EEEvT1_
    .private_segment_fixed_size: 0
    .sgpr_count:     38
    .sgpr_spill_count: 0
    .symbol:         _ZN7rocprim17ROCPRIM_400000_NS6detail17trampoline_kernelINS0_14default_configENS1_25partition_config_selectorILNS1_17partition_subalgoE9EllbEEZZNS1_14partition_implILS5_9ELb0ES3_jPlS8_PNS0_10empty_typeENS0_5tupleIJS8_S9_EEENSB_IJS8_SA_EEENS0_18inequality_wrapperIZN2at6native12_GLOBAL__N_124unique_dim_cuda_templateIjEESt5tupleIJNSF_6TensorESK_SK_EERKSK_lbbbEUlllE0_EEPmJS9_EEE10hipError_tPvRmT3_T4_T5_T6_T7_T9_mT8_P12ihipStream_tbDpT10_ENKUlT_T0_E_clISt17integral_constantIbLb1EES19_IbLb0EEEEDaS15_S16_EUlS15_E_NS1_11comp_targetILNS1_3genE9ELNS1_11target_archE1100ELNS1_3gpuE3ELNS1_3repE0EEENS1_30default_config_static_selectorELNS0_4arch9wavefront6targetE0EEEvT1_.kd
    .uniform_work_group_size: 1
    .uses_dynamic_stack: false
    .vgpr_count:     68
    .vgpr_spill_count: 0
    .wavefront_size: 32
    .workgroup_processor_mode: 1
  - .args:
      - .offset:         0
        .size:           120
        .value_kind:     by_value
    .group_segment_fixed_size: 0
    .kernarg_segment_align: 8
    .kernarg_segment_size: 120
    .language:       OpenCL C
    .language_version:
      - 2
      - 0
    .max_flat_workgroup_size: 512
    .name:           _ZN7rocprim17ROCPRIM_400000_NS6detail17trampoline_kernelINS0_14default_configENS1_25partition_config_selectorILNS1_17partition_subalgoE9EllbEEZZNS1_14partition_implILS5_9ELb0ES3_jPlS8_PNS0_10empty_typeENS0_5tupleIJS8_S9_EEENSB_IJS8_SA_EEENS0_18inequality_wrapperIZN2at6native12_GLOBAL__N_124unique_dim_cuda_templateIjEESt5tupleIJNSF_6TensorESK_SK_EERKSK_lbbbEUlllE0_EEPmJS9_EEE10hipError_tPvRmT3_T4_T5_T6_T7_T9_mT8_P12ihipStream_tbDpT10_ENKUlT_T0_E_clISt17integral_constantIbLb1EES19_IbLb0EEEEDaS15_S16_EUlS15_E_NS1_11comp_targetILNS1_3genE8ELNS1_11target_archE1030ELNS1_3gpuE2ELNS1_3repE0EEENS1_30default_config_static_selectorELNS0_4arch9wavefront6targetE0EEEvT1_
    .private_segment_fixed_size: 0
    .sgpr_count:     0
    .sgpr_spill_count: 0
    .symbol:         _ZN7rocprim17ROCPRIM_400000_NS6detail17trampoline_kernelINS0_14default_configENS1_25partition_config_selectorILNS1_17partition_subalgoE9EllbEEZZNS1_14partition_implILS5_9ELb0ES3_jPlS8_PNS0_10empty_typeENS0_5tupleIJS8_S9_EEENSB_IJS8_SA_EEENS0_18inequality_wrapperIZN2at6native12_GLOBAL__N_124unique_dim_cuda_templateIjEESt5tupleIJNSF_6TensorESK_SK_EERKSK_lbbbEUlllE0_EEPmJS9_EEE10hipError_tPvRmT3_T4_T5_T6_T7_T9_mT8_P12ihipStream_tbDpT10_ENKUlT_T0_E_clISt17integral_constantIbLb1EES19_IbLb0EEEEDaS15_S16_EUlS15_E_NS1_11comp_targetILNS1_3genE8ELNS1_11target_archE1030ELNS1_3gpuE2ELNS1_3repE0EEENS1_30default_config_static_selectorELNS0_4arch9wavefront6targetE0EEEvT1_.kd
    .uniform_work_group_size: 1
    .uses_dynamic_stack: false
    .vgpr_count:     0
    .vgpr_spill_count: 0
    .wavefront_size: 32
    .workgroup_processor_mode: 1
  - .args:
      - .offset:         0
        .size:           136
        .value_kind:     by_value
    .group_segment_fixed_size: 0
    .kernarg_segment_align: 8
    .kernarg_segment_size: 136
    .language:       OpenCL C
    .language_version:
      - 2
      - 0
    .max_flat_workgroup_size: 128
    .name:           _ZN7rocprim17ROCPRIM_400000_NS6detail17trampoline_kernelINS0_14default_configENS1_25partition_config_selectorILNS1_17partition_subalgoE9EllbEEZZNS1_14partition_implILS5_9ELb0ES3_jPlS8_PNS0_10empty_typeENS0_5tupleIJS8_S9_EEENSB_IJS8_SA_EEENS0_18inequality_wrapperIZN2at6native12_GLOBAL__N_124unique_dim_cuda_templateIjEESt5tupleIJNSF_6TensorESK_SK_EERKSK_lbbbEUlllE0_EEPmJS9_EEE10hipError_tPvRmT3_T4_T5_T6_T7_T9_mT8_P12ihipStream_tbDpT10_ENKUlT_T0_E_clISt17integral_constantIbLb0EES19_IbLb1EEEEDaS15_S16_EUlS15_E_NS1_11comp_targetILNS1_3genE0ELNS1_11target_archE4294967295ELNS1_3gpuE0ELNS1_3repE0EEENS1_30default_config_static_selectorELNS0_4arch9wavefront6targetE0EEEvT1_
    .private_segment_fixed_size: 0
    .sgpr_count:     0
    .sgpr_spill_count: 0
    .symbol:         _ZN7rocprim17ROCPRIM_400000_NS6detail17trampoline_kernelINS0_14default_configENS1_25partition_config_selectorILNS1_17partition_subalgoE9EllbEEZZNS1_14partition_implILS5_9ELb0ES3_jPlS8_PNS0_10empty_typeENS0_5tupleIJS8_S9_EEENSB_IJS8_SA_EEENS0_18inequality_wrapperIZN2at6native12_GLOBAL__N_124unique_dim_cuda_templateIjEESt5tupleIJNSF_6TensorESK_SK_EERKSK_lbbbEUlllE0_EEPmJS9_EEE10hipError_tPvRmT3_T4_T5_T6_T7_T9_mT8_P12ihipStream_tbDpT10_ENKUlT_T0_E_clISt17integral_constantIbLb0EES19_IbLb1EEEEDaS15_S16_EUlS15_E_NS1_11comp_targetILNS1_3genE0ELNS1_11target_archE4294967295ELNS1_3gpuE0ELNS1_3repE0EEENS1_30default_config_static_selectorELNS0_4arch9wavefront6targetE0EEEvT1_.kd
    .uniform_work_group_size: 1
    .uses_dynamic_stack: false
    .vgpr_count:     0
    .vgpr_spill_count: 0
    .wavefront_size: 32
    .workgroup_processor_mode: 1
  - .args:
      - .offset:         0
        .size:           136
        .value_kind:     by_value
    .group_segment_fixed_size: 0
    .kernarg_segment_align: 8
    .kernarg_segment_size: 136
    .language:       OpenCL C
    .language_version:
      - 2
      - 0
    .max_flat_workgroup_size: 512
    .name:           _ZN7rocprim17ROCPRIM_400000_NS6detail17trampoline_kernelINS0_14default_configENS1_25partition_config_selectorILNS1_17partition_subalgoE9EllbEEZZNS1_14partition_implILS5_9ELb0ES3_jPlS8_PNS0_10empty_typeENS0_5tupleIJS8_S9_EEENSB_IJS8_SA_EEENS0_18inequality_wrapperIZN2at6native12_GLOBAL__N_124unique_dim_cuda_templateIjEESt5tupleIJNSF_6TensorESK_SK_EERKSK_lbbbEUlllE0_EEPmJS9_EEE10hipError_tPvRmT3_T4_T5_T6_T7_T9_mT8_P12ihipStream_tbDpT10_ENKUlT_T0_E_clISt17integral_constantIbLb0EES19_IbLb1EEEEDaS15_S16_EUlS15_E_NS1_11comp_targetILNS1_3genE5ELNS1_11target_archE942ELNS1_3gpuE9ELNS1_3repE0EEENS1_30default_config_static_selectorELNS0_4arch9wavefront6targetE0EEEvT1_
    .private_segment_fixed_size: 0
    .sgpr_count:     0
    .sgpr_spill_count: 0
    .symbol:         _ZN7rocprim17ROCPRIM_400000_NS6detail17trampoline_kernelINS0_14default_configENS1_25partition_config_selectorILNS1_17partition_subalgoE9EllbEEZZNS1_14partition_implILS5_9ELb0ES3_jPlS8_PNS0_10empty_typeENS0_5tupleIJS8_S9_EEENSB_IJS8_SA_EEENS0_18inequality_wrapperIZN2at6native12_GLOBAL__N_124unique_dim_cuda_templateIjEESt5tupleIJNSF_6TensorESK_SK_EERKSK_lbbbEUlllE0_EEPmJS9_EEE10hipError_tPvRmT3_T4_T5_T6_T7_T9_mT8_P12ihipStream_tbDpT10_ENKUlT_T0_E_clISt17integral_constantIbLb0EES19_IbLb1EEEEDaS15_S16_EUlS15_E_NS1_11comp_targetILNS1_3genE5ELNS1_11target_archE942ELNS1_3gpuE9ELNS1_3repE0EEENS1_30default_config_static_selectorELNS0_4arch9wavefront6targetE0EEEvT1_.kd
    .uniform_work_group_size: 1
    .uses_dynamic_stack: false
    .vgpr_count:     0
    .vgpr_spill_count: 0
    .wavefront_size: 32
    .workgroup_processor_mode: 1
  - .args:
      - .offset:         0
        .size:           136
        .value_kind:     by_value
    .group_segment_fixed_size: 0
    .kernarg_segment_align: 8
    .kernarg_segment_size: 136
    .language:       OpenCL C
    .language_version:
      - 2
      - 0
    .max_flat_workgroup_size: 128
    .name:           _ZN7rocprim17ROCPRIM_400000_NS6detail17trampoline_kernelINS0_14default_configENS1_25partition_config_selectorILNS1_17partition_subalgoE9EllbEEZZNS1_14partition_implILS5_9ELb0ES3_jPlS8_PNS0_10empty_typeENS0_5tupleIJS8_S9_EEENSB_IJS8_SA_EEENS0_18inequality_wrapperIZN2at6native12_GLOBAL__N_124unique_dim_cuda_templateIjEESt5tupleIJNSF_6TensorESK_SK_EERKSK_lbbbEUlllE0_EEPmJS9_EEE10hipError_tPvRmT3_T4_T5_T6_T7_T9_mT8_P12ihipStream_tbDpT10_ENKUlT_T0_E_clISt17integral_constantIbLb0EES19_IbLb1EEEEDaS15_S16_EUlS15_E_NS1_11comp_targetILNS1_3genE4ELNS1_11target_archE910ELNS1_3gpuE8ELNS1_3repE0EEENS1_30default_config_static_selectorELNS0_4arch9wavefront6targetE0EEEvT1_
    .private_segment_fixed_size: 0
    .sgpr_count:     0
    .sgpr_spill_count: 0
    .symbol:         _ZN7rocprim17ROCPRIM_400000_NS6detail17trampoline_kernelINS0_14default_configENS1_25partition_config_selectorILNS1_17partition_subalgoE9EllbEEZZNS1_14partition_implILS5_9ELb0ES3_jPlS8_PNS0_10empty_typeENS0_5tupleIJS8_S9_EEENSB_IJS8_SA_EEENS0_18inequality_wrapperIZN2at6native12_GLOBAL__N_124unique_dim_cuda_templateIjEESt5tupleIJNSF_6TensorESK_SK_EERKSK_lbbbEUlllE0_EEPmJS9_EEE10hipError_tPvRmT3_T4_T5_T6_T7_T9_mT8_P12ihipStream_tbDpT10_ENKUlT_T0_E_clISt17integral_constantIbLb0EES19_IbLb1EEEEDaS15_S16_EUlS15_E_NS1_11comp_targetILNS1_3genE4ELNS1_11target_archE910ELNS1_3gpuE8ELNS1_3repE0EEENS1_30default_config_static_selectorELNS0_4arch9wavefront6targetE0EEEvT1_.kd
    .uniform_work_group_size: 1
    .uses_dynamic_stack: false
    .vgpr_count:     0
    .vgpr_spill_count: 0
    .wavefront_size: 32
    .workgroup_processor_mode: 1
  - .args:
      - .offset:         0
        .size:           136
        .value_kind:     by_value
    .group_segment_fixed_size: 0
    .kernarg_segment_align: 8
    .kernarg_segment_size: 136
    .language:       OpenCL C
    .language_version:
      - 2
      - 0
    .max_flat_workgroup_size: 128
    .name:           _ZN7rocprim17ROCPRIM_400000_NS6detail17trampoline_kernelINS0_14default_configENS1_25partition_config_selectorILNS1_17partition_subalgoE9EllbEEZZNS1_14partition_implILS5_9ELb0ES3_jPlS8_PNS0_10empty_typeENS0_5tupleIJS8_S9_EEENSB_IJS8_SA_EEENS0_18inequality_wrapperIZN2at6native12_GLOBAL__N_124unique_dim_cuda_templateIjEESt5tupleIJNSF_6TensorESK_SK_EERKSK_lbbbEUlllE0_EEPmJS9_EEE10hipError_tPvRmT3_T4_T5_T6_T7_T9_mT8_P12ihipStream_tbDpT10_ENKUlT_T0_E_clISt17integral_constantIbLb0EES19_IbLb1EEEEDaS15_S16_EUlS15_E_NS1_11comp_targetILNS1_3genE3ELNS1_11target_archE908ELNS1_3gpuE7ELNS1_3repE0EEENS1_30default_config_static_selectorELNS0_4arch9wavefront6targetE0EEEvT1_
    .private_segment_fixed_size: 0
    .sgpr_count:     0
    .sgpr_spill_count: 0
    .symbol:         _ZN7rocprim17ROCPRIM_400000_NS6detail17trampoline_kernelINS0_14default_configENS1_25partition_config_selectorILNS1_17partition_subalgoE9EllbEEZZNS1_14partition_implILS5_9ELb0ES3_jPlS8_PNS0_10empty_typeENS0_5tupleIJS8_S9_EEENSB_IJS8_SA_EEENS0_18inequality_wrapperIZN2at6native12_GLOBAL__N_124unique_dim_cuda_templateIjEESt5tupleIJNSF_6TensorESK_SK_EERKSK_lbbbEUlllE0_EEPmJS9_EEE10hipError_tPvRmT3_T4_T5_T6_T7_T9_mT8_P12ihipStream_tbDpT10_ENKUlT_T0_E_clISt17integral_constantIbLb0EES19_IbLb1EEEEDaS15_S16_EUlS15_E_NS1_11comp_targetILNS1_3genE3ELNS1_11target_archE908ELNS1_3gpuE7ELNS1_3repE0EEENS1_30default_config_static_selectorELNS0_4arch9wavefront6targetE0EEEvT1_.kd
    .uniform_work_group_size: 1
    .uses_dynamic_stack: false
    .vgpr_count:     0
    .vgpr_spill_count: 0
    .wavefront_size: 32
    .workgroup_processor_mode: 1
  - .args:
      - .offset:         0
        .size:           136
        .value_kind:     by_value
    .group_segment_fixed_size: 0
    .kernarg_segment_align: 8
    .kernarg_segment_size: 136
    .language:       OpenCL C
    .language_version:
      - 2
      - 0
    .max_flat_workgroup_size: 192
    .name:           _ZN7rocprim17ROCPRIM_400000_NS6detail17trampoline_kernelINS0_14default_configENS1_25partition_config_selectorILNS1_17partition_subalgoE9EllbEEZZNS1_14partition_implILS5_9ELb0ES3_jPlS8_PNS0_10empty_typeENS0_5tupleIJS8_S9_EEENSB_IJS8_SA_EEENS0_18inequality_wrapperIZN2at6native12_GLOBAL__N_124unique_dim_cuda_templateIjEESt5tupleIJNSF_6TensorESK_SK_EERKSK_lbbbEUlllE0_EEPmJS9_EEE10hipError_tPvRmT3_T4_T5_T6_T7_T9_mT8_P12ihipStream_tbDpT10_ENKUlT_T0_E_clISt17integral_constantIbLb0EES19_IbLb1EEEEDaS15_S16_EUlS15_E_NS1_11comp_targetILNS1_3genE2ELNS1_11target_archE906ELNS1_3gpuE6ELNS1_3repE0EEENS1_30default_config_static_selectorELNS0_4arch9wavefront6targetE0EEEvT1_
    .private_segment_fixed_size: 0
    .sgpr_count:     0
    .sgpr_spill_count: 0
    .symbol:         _ZN7rocprim17ROCPRIM_400000_NS6detail17trampoline_kernelINS0_14default_configENS1_25partition_config_selectorILNS1_17partition_subalgoE9EllbEEZZNS1_14partition_implILS5_9ELb0ES3_jPlS8_PNS0_10empty_typeENS0_5tupleIJS8_S9_EEENSB_IJS8_SA_EEENS0_18inequality_wrapperIZN2at6native12_GLOBAL__N_124unique_dim_cuda_templateIjEESt5tupleIJNSF_6TensorESK_SK_EERKSK_lbbbEUlllE0_EEPmJS9_EEE10hipError_tPvRmT3_T4_T5_T6_T7_T9_mT8_P12ihipStream_tbDpT10_ENKUlT_T0_E_clISt17integral_constantIbLb0EES19_IbLb1EEEEDaS15_S16_EUlS15_E_NS1_11comp_targetILNS1_3genE2ELNS1_11target_archE906ELNS1_3gpuE6ELNS1_3repE0EEENS1_30default_config_static_selectorELNS0_4arch9wavefront6targetE0EEEvT1_.kd
    .uniform_work_group_size: 1
    .uses_dynamic_stack: false
    .vgpr_count:     0
    .vgpr_spill_count: 0
    .wavefront_size: 32
    .workgroup_processor_mode: 1
  - .args:
      - .offset:         0
        .size:           136
        .value_kind:     by_value
    .group_segment_fixed_size: 0
    .kernarg_segment_align: 8
    .kernarg_segment_size: 136
    .language:       OpenCL C
    .language_version:
      - 2
      - 0
    .max_flat_workgroup_size: 384
    .name:           _ZN7rocprim17ROCPRIM_400000_NS6detail17trampoline_kernelINS0_14default_configENS1_25partition_config_selectorILNS1_17partition_subalgoE9EllbEEZZNS1_14partition_implILS5_9ELb0ES3_jPlS8_PNS0_10empty_typeENS0_5tupleIJS8_S9_EEENSB_IJS8_SA_EEENS0_18inequality_wrapperIZN2at6native12_GLOBAL__N_124unique_dim_cuda_templateIjEESt5tupleIJNSF_6TensorESK_SK_EERKSK_lbbbEUlllE0_EEPmJS9_EEE10hipError_tPvRmT3_T4_T5_T6_T7_T9_mT8_P12ihipStream_tbDpT10_ENKUlT_T0_E_clISt17integral_constantIbLb0EES19_IbLb1EEEEDaS15_S16_EUlS15_E_NS1_11comp_targetILNS1_3genE10ELNS1_11target_archE1200ELNS1_3gpuE4ELNS1_3repE0EEENS1_30default_config_static_selectorELNS0_4arch9wavefront6targetE0EEEvT1_
    .private_segment_fixed_size: 0
    .sgpr_count:     0
    .sgpr_spill_count: 0
    .symbol:         _ZN7rocprim17ROCPRIM_400000_NS6detail17trampoline_kernelINS0_14default_configENS1_25partition_config_selectorILNS1_17partition_subalgoE9EllbEEZZNS1_14partition_implILS5_9ELb0ES3_jPlS8_PNS0_10empty_typeENS0_5tupleIJS8_S9_EEENSB_IJS8_SA_EEENS0_18inequality_wrapperIZN2at6native12_GLOBAL__N_124unique_dim_cuda_templateIjEESt5tupleIJNSF_6TensorESK_SK_EERKSK_lbbbEUlllE0_EEPmJS9_EEE10hipError_tPvRmT3_T4_T5_T6_T7_T9_mT8_P12ihipStream_tbDpT10_ENKUlT_T0_E_clISt17integral_constantIbLb0EES19_IbLb1EEEEDaS15_S16_EUlS15_E_NS1_11comp_targetILNS1_3genE10ELNS1_11target_archE1200ELNS1_3gpuE4ELNS1_3repE0EEENS1_30default_config_static_selectorELNS0_4arch9wavefront6targetE0EEEvT1_.kd
    .uniform_work_group_size: 1
    .uses_dynamic_stack: false
    .vgpr_count:     0
    .vgpr_spill_count: 0
    .wavefront_size: 32
    .workgroup_processor_mode: 1
  - .args:
      - .offset:         0
        .size:           136
        .value_kind:     by_value
    .group_segment_fixed_size: 33804
    .kernarg_segment_align: 8
    .kernarg_segment_size: 136
    .language:       OpenCL C
    .language_version:
      - 2
      - 0
    .max_flat_workgroup_size: 512
    .name:           _ZN7rocprim17ROCPRIM_400000_NS6detail17trampoline_kernelINS0_14default_configENS1_25partition_config_selectorILNS1_17partition_subalgoE9EllbEEZZNS1_14partition_implILS5_9ELb0ES3_jPlS8_PNS0_10empty_typeENS0_5tupleIJS8_S9_EEENSB_IJS8_SA_EEENS0_18inequality_wrapperIZN2at6native12_GLOBAL__N_124unique_dim_cuda_templateIjEESt5tupleIJNSF_6TensorESK_SK_EERKSK_lbbbEUlllE0_EEPmJS9_EEE10hipError_tPvRmT3_T4_T5_T6_T7_T9_mT8_P12ihipStream_tbDpT10_ENKUlT_T0_E_clISt17integral_constantIbLb0EES19_IbLb1EEEEDaS15_S16_EUlS15_E_NS1_11comp_targetILNS1_3genE9ELNS1_11target_archE1100ELNS1_3gpuE3ELNS1_3repE0EEENS1_30default_config_static_selectorELNS0_4arch9wavefront6targetE0EEEvT1_
    .private_segment_fixed_size: 0
    .sgpr_count:     42
    .sgpr_spill_count: 0
    .symbol:         _ZN7rocprim17ROCPRIM_400000_NS6detail17trampoline_kernelINS0_14default_configENS1_25partition_config_selectorILNS1_17partition_subalgoE9EllbEEZZNS1_14partition_implILS5_9ELb0ES3_jPlS8_PNS0_10empty_typeENS0_5tupleIJS8_S9_EEENSB_IJS8_SA_EEENS0_18inequality_wrapperIZN2at6native12_GLOBAL__N_124unique_dim_cuda_templateIjEESt5tupleIJNSF_6TensorESK_SK_EERKSK_lbbbEUlllE0_EEPmJS9_EEE10hipError_tPvRmT3_T4_T5_T6_T7_T9_mT8_P12ihipStream_tbDpT10_ENKUlT_T0_E_clISt17integral_constantIbLb0EES19_IbLb1EEEEDaS15_S16_EUlS15_E_NS1_11comp_targetILNS1_3genE9ELNS1_11target_archE1100ELNS1_3gpuE3ELNS1_3repE0EEENS1_30default_config_static_selectorELNS0_4arch9wavefront6targetE0EEEvT1_.kd
    .uniform_work_group_size: 1
    .uses_dynamic_stack: false
    .vgpr_count:     68
    .vgpr_spill_count: 0
    .wavefront_size: 32
    .workgroup_processor_mode: 1
  - .args:
      - .offset:         0
        .size:           136
        .value_kind:     by_value
    .group_segment_fixed_size: 0
    .kernarg_segment_align: 8
    .kernarg_segment_size: 136
    .language:       OpenCL C
    .language_version:
      - 2
      - 0
    .max_flat_workgroup_size: 512
    .name:           _ZN7rocprim17ROCPRIM_400000_NS6detail17trampoline_kernelINS0_14default_configENS1_25partition_config_selectorILNS1_17partition_subalgoE9EllbEEZZNS1_14partition_implILS5_9ELb0ES3_jPlS8_PNS0_10empty_typeENS0_5tupleIJS8_S9_EEENSB_IJS8_SA_EEENS0_18inequality_wrapperIZN2at6native12_GLOBAL__N_124unique_dim_cuda_templateIjEESt5tupleIJNSF_6TensorESK_SK_EERKSK_lbbbEUlllE0_EEPmJS9_EEE10hipError_tPvRmT3_T4_T5_T6_T7_T9_mT8_P12ihipStream_tbDpT10_ENKUlT_T0_E_clISt17integral_constantIbLb0EES19_IbLb1EEEEDaS15_S16_EUlS15_E_NS1_11comp_targetILNS1_3genE8ELNS1_11target_archE1030ELNS1_3gpuE2ELNS1_3repE0EEENS1_30default_config_static_selectorELNS0_4arch9wavefront6targetE0EEEvT1_
    .private_segment_fixed_size: 0
    .sgpr_count:     0
    .sgpr_spill_count: 0
    .symbol:         _ZN7rocprim17ROCPRIM_400000_NS6detail17trampoline_kernelINS0_14default_configENS1_25partition_config_selectorILNS1_17partition_subalgoE9EllbEEZZNS1_14partition_implILS5_9ELb0ES3_jPlS8_PNS0_10empty_typeENS0_5tupleIJS8_S9_EEENSB_IJS8_SA_EEENS0_18inequality_wrapperIZN2at6native12_GLOBAL__N_124unique_dim_cuda_templateIjEESt5tupleIJNSF_6TensorESK_SK_EERKSK_lbbbEUlllE0_EEPmJS9_EEE10hipError_tPvRmT3_T4_T5_T6_T7_T9_mT8_P12ihipStream_tbDpT10_ENKUlT_T0_E_clISt17integral_constantIbLb0EES19_IbLb1EEEEDaS15_S16_EUlS15_E_NS1_11comp_targetILNS1_3genE8ELNS1_11target_archE1030ELNS1_3gpuE2ELNS1_3repE0EEENS1_30default_config_static_selectorELNS0_4arch9wavefront6targetE0EEEvT1_.kd
    .uniform_work_group_size: 1
    .uses_dynamic_stack: false
    .vgpr_count:     0
    .vgpr_spill_count: 0
    .wavefront_size: 32
    .workgroup_processor_mode: 1
  - .args:
      - .offset:         0
        .size:           72
        .value_kind:     by_value
    .group_segment_fixed_size: 0
    .kernarg_segment_align: 8
    .kernarg_segment_size: 72
    .language:       OpenCL C
    .language_version:
      - 2
      - 0
    .max_flat_workgroup_size: 256
    .name:           _ZN7rocprim17ROCPRIM_400000_NS6detail17trampoline_kernelINS0_14default_configENS1_37merge_sort_block_sort_config_selectorIlNS0_10empty_typeEEEZNS1_21merge_sort_block_sortIS3_PlS8_PS5_S9_ZN2at6native12_GLOBAL__N_124unique_dim_cuda_templateImEESt5tupleIJNSA_6TensorESF_SF_EERKSF_lbbbEUlllE_EE10hipError_tT0_T1_T2_T3_mRjT4_P12ihipStream_tbNS1_7vsmem_tEEUlT_E_NS1_11comp_targetILNS1_3genE0ELNS1_11target_archE4294967295ELNS1_3gpuE0ELNS1_3repE0EEENS1_30default_config_static_selectorELNS0_4arch9wavefront6targetE0EEEvSM_
    .private_segment_fixed_size: 0
    .sgpr_count:     0
    .sgpr_spill_count: 0
    .symbol:         _ZN7rocprim17ROCPRIM_400000_NS6detail17trampoline_kernelINS0_14default_configENS1_37merge_sort_block_sort_config_selectorIlNS0_10empty_typeEEEZNS1_21merge_sort_block_sortIS3_PlS8_PS5_S9_ZN2at6native12_GLOBAL__N_124unique_dim_cuda_templateImEESt5tupleIJNSA_6TensorESF_SF_EERKSF_lbbbEUlllE_EE10hipError_tT0_T1_T2_T3_mRjT4_P12ihipStream_tbNS1_7vsmem_tEEUlT_E_NS1_11comp_targetILNS1_3genE0ELNS1_11target_archE4294967295ELNS1_3gpuE0ELNS1_3repE0EEENS1_30default_config_static_selectorELNS0_4arch9wavefront6targetE0EEEvSM_.kd
    .uniform_work_group_size: 1
    .uses_dynamic_stack: false
    .vgpr_count:     0
    .vgpr_spill_count: 0
    .wavefront_size: 32
    .workgroup_processor_mode: 1
  - .args:
      - .offset:         0
        .size:           72
        .value_kind:     by_value
    .group_segment_fixed_size: 0
    .kernarg_segment_align: 8
    .kernarg_segment_size: 72
    .language:       OpenCL C
    .language_version:
      - 2
      - 0
    .max_flat_workgroup_size: 256
    .name:           _ZN7rocprim17ROCPRIM_400000_NS6detail17trampoline_kernelINS0_14default_configENS1_37merge_sort_block_sort_config_selectorIlNS0_10empty_typeEEEZNS1_21merge_sort_block_sortIS3_PlS8_PS5_S9_ZN2at6native12_GLOBAL__N_124unique_dim_cuda_templateImEESt5tupleIJNSA_6TensorESF_SF_EERKSF_lbbbEUlllE_EE10hipError_tT0_T1_T2_T3_mRjT4_P12ihipStream_tbNS1_7vsmem_tEEUlT_E_NS1_11comp_targetILNS1_3genE5ELNS1_11target_archE942ELNS1_3gpuE9ELNS1_3repE0EEENS1_30default_config_static_selectorELNS0_4arch9wavefront6targetE0EEEvSM_
    .private_segment_fixed_size: 0
    .sgpr_count:     0
    .sgpr_spill_count: 0
    .symbol:         _ZN7rocprim17ROCPRIM_400000_NS6detail17trampoline_kernelINS0_14default_configENS1_37merge_sort_block_sort_config_selectorIlNS0_10empty_typeEEEZNS1_21merge_sort_block_sortIS3_PlS8_PS5_S9_ZN2at6native12_GLOBAL__N_124unique_dim_cuda_templateImEESt5tupleIJNSA_6TensorESF_SF_EERKSF_lbbbEUlllE_EE10hipError_tT0_T1_T2_T3_mRjT4_P12ihipStream_tbNS1_7vsmem_tEEUlT_E_NS1_11comp_targetILNS1_3genE5ELNS1_11target_archE942ELNS1_3gpuE9ELNS1_3repE0EEENS1_30default_config_static_selectorELNS0_4arch9wavefront6targetE0EEEvSM_.kd
    .uniform_work_group_size: 1
    .uses_dynamic_stack: false
    .vgpr_count:     0
    .vgpr_spill_count: 0
    .wavefront_size: 32
    .workgroup_processor_mode: 1
  - .args:
      - .offset:         0
        .size:           72
        .value_kind:     by_value
    .group_segment_fixed_size: 0
    .kernarg_segment_align: 8
    .kernarg_segment_size: 72
    .language:       OpenCL C
    .language_version:
      - 2
      - 0
    .max_flat_workgroup_size: 256
    .name:           _ZN7rocprim17ROCPRIM_400000_NS6detail17trampoline_kernelINS0_14default_configENS1_37merge_sort_block_sort_config_selectorIlNS0_10empty_typeEEEZNS1_21merge_sort_block_sortIS3_PlS8_PS5_S9_ZN2at6native12_GLOBAL__N_124unique_dim_cuda_templateImEESt5tupleIJNSA_6TensorESF_SF_EERKSF_lbbbEUlllE_EE10hipError_tT0_T1_T2_T3_mRjT4_P12ihipStream_tbNS1_7vsmem_tEEUlT_E_NS1_11comp_targetILNS1_3genE4ELNS1_11target_archE910ELNS1_3gpuE8ELNS1_3repE0EEENS1_30default_config_static_selectorELNS0_4arch9wavefront6targetE0EEEvSM_
    .private_segment_fixed_size: 0
    .sgpr_count:     0
    .sgpr_spill_count: 0
    .symbol:         _ZN7rocprim17ROCPRIM_400000_NS6detail17trampoline_kernelINS0_14default_configENS1_37merge_sort_block_sort_config_selectorIlNS0_10empty_typeEEEZNS1_21merge_sort_block_sortIS3_PlS8_PS5_S9_ZN2at6native12_GLOBAL__N_124unique_dim_cuda_templateImEESt5tupleIJNSA_6TensorESF_SF_EERKSF_lbbbEUlllE_EE10hipError_tT0_T1_T2_T3_mRjT4_P12ihipStream_tbNS1_7vsmem_tEEUlT_E_NS1_11comp_targetILNS1_3genE4ELNS1_11target_archE910ELNS1_3gpuE8ELNS1_3repE0EEENS1_30default_config_static_selectorELNS0_4arch9wavefront6targetE0EEEvSM_.kd
    .uniform_work_group_size: 1
    .uses_dynamic_stack: false
    .vgpr_count:     0
    .vgpr_spill_count: 0
    .wavefront_size: 32
    .workgroup_processor_mode: 1
  - .args:
      - .offset:         0
        .size:           72
        .value_kind:     by_value
    .group_segment_fixed_size: 0
    .kernarg_segment_align: 8
    .kernarg_segment_size: 72
    .language:       OpenCL C
    .language_version:
      - 2
      - 0
    .max_flat_workgroup_size: 256
    .name:           _ZN7rocprim17ROCPRIM_400000_NS6detail17trampoline_kernelINS0_14default_configENS1_37merge_sort_block_sort_config_selectorIlNS0_10empty_typeEEEZNS1_21merge_sort_block_sortIS3_PlS8_PS5_S9_ZN2at6native12_GLOBAL__N_124unique_dim_cuda_templateImEESt5tupleIJNSA_6TensorESF_SF_EERKSF_lbbbEUlllE_EE10hipError_tT0_T1_T2_T3_mRjT4_P12ihipStream_tbNS1_7vsmem_tEEUlT_E_NS1_11comp_targetILNS1_3genE3ELNS1_11target_archE908ELNS1_3gpuE7ELNS1_3repE0EEENS1_30default_config_static_selectorELNS0_4arch9wavefront6targetE0EEEvSM_
    .private_segment_fixed_size: 0
    .sgpr_count:     0
    .sgpr_spill_count: 0
    .symbol:         _ZN7rocprim17ROCPRIM_400000_NS6detail17trampoline_kernelINS0_14default_configENS1_37merge_sort_block_sort_config_selectorIlNS0_10empty_typeEEEZNS1_21merge_sort_block_sortIS3_PlS8_PS5_S9_ZN2at6native12_GLOBAL__N_124unique_dim_cuda_templateImEESt5tupleIJNSA_6TensorESF_SF_EERKSF_lbbbEUlllE_EE10hipError_tT0_T1_T2_T3_mRjT4_P12ihipStream_tbNS1_7vsmem_tEEUlT_E_NS1_11comp_targetILNS1_3genE3ELNS1_11target_archE908ELNS1_3gpuE7ELNS1_3repE0EEENS1_30default_config_static_selectorELNS0_4arch9wavefront6targetE0EEEvSM_.kd
    .uniform_work_group_size: 1
    .uses_dynamic_stack: false
    .vgpr_count:     0
    .vgpr_spill_count: 0
    .wavefront_size: 32
    .workgroup_processor_mode: 1
  - .args:
      - .offset:         0
        .size:           72
        .value_kind:     by_value
    .group_segment_fixed_size: 0
    .kernarg_segment_align: 8
    .kernarg_segment_size: 72
    .language:       OpenCL C
    .language_version:
      - 2
      - 0
    .max_flat_workgroup_size: 256
    .name:           _ZN7rocprim17ROCPRIM_400000_NS6detail17trampoline_kernelINS0_14default_configENS1_37merge_sort_block_sort_config_selectorIlNS0_10empty_typeEEEZNS1_21merge_sort_block_sortIS3_PlS8_PS5_S9_ZN2at6native12_GLOBAL__N_124unique_dim_cuda_templateImEESt5tupleIJNSA_6TensorESF_SF_EERKSF_lbbbEUlllE_EE10hipError_tT0_T1_T2_T3_mRjT4_P12ihipStream_tbNS1_7vsmem_tEEUlT_E_NS1_11comp_targetILNS1_3genE2ELNS1_11target_archE906ELNS1_3gpuE6ELNS1_3repE0EEENS1_30default_config_static_selectorELNS0_4arch9wavefront6targetE0EEEvSM_
    .private_segment_fixed_size: 0
    .sgpr_count:     0
    .sgpr_spill_count: 0
    .symbol:         _ZN7rocprim17ROCPRIM_400000_NS6detail17trampoline_kernelINS0_14default_configENS1_37merge_sort_block_sort_config_selectorIlNS0_10empty_typeEEEZNS1_21merge_sort_block_sortIS3_PlS8_PS5_S9_ZN2at6native12_GLOBAL__N_124unique_dim_cuda_templateImEESt5tupleIJNSA_6TensorESF_SF_EERKSF_lbbbEUlllE_EE10hipError_tT0_T1_T2_T3_mRjT4_P12ihipStream_tbNS1_7vsmem_tEEUlT_E_NS1_11comp_targetILNS1_3genE2ELNS1_11target_archE906ELNS1_3gpuE6ELNS1_3repE0EEENS1_30default_config_static_selectorELNS0_4arch9wavefront6targetE0EEEvSM_.kd
    .uniform_work_group_size: 1
    .uses_dynamic_stack: false
    .vgpr_count:     0
    .vgpr_spill_count: 0
    .wavefront_size: 32
    .workgroup_processor_mode: 1
  - .args:
      - .offset:         0
        .size:           72
        .value_kind:     by_value
    .group_segment_fixed_size: 0
    .kernarg_segment_align: 8
    .kernarg_segment_size: 72
    .language:       OpenCL C
    .language_version:
      - 2
      - 0
    .max_flat_workgroup_size: 256
    .name:           _ZN7rocprim17ROCPRIM_400000_NS6detail17trampoline_kernelINS0_14default_configENS1_37merge_sort_block_sort_config_selectorIlNS0_10empty_typeEEEZNS1_21merge_sort_block_sortIS3_PlS8_PS5_S9_ZN2at6native12_GLOBAL__N_124unique_dim_cuda_templateImEESt5tupleIJNSA_6TensorESF_SF_EERKSF_lbbbEUlllE_EE10hipError_tT0_T1_T2_T3_mRjT4_P12ihipStream_tbNS1_7vsmem_tEEUlT_E_NS1_11comp_targetILNS1_3genE10ELNS1_11target_archE1201ELNS1_3gpuE5ELNS1_3repE0EEENS1_30default_config_static_selectorELNS0_4arch9wavefront6targetE0EEEvSM_
    .private_segment_fixed_size: 0
    .sgpr_count:     0
    .sgpr_spill_count: 0
    .symbol:         _ZN7rocprim17ROCPRIM_400000_NS6detail17trampoline_kernelINS0_14default_configENS1_37merge_sort_block_sort_config_selectorIlNS0_10empty_typeEEEZNS1_21merge_sort_block_sortIS3_PlS8_PS5_S9_ZN2at6native12_GLOBAL__N_124unique_dim_cuda_templateImEESt5tupleIJNSA_6TensorESF_SF_EERKSF_lbbbEUlllE_EE10hipError_tT0_T1_T2_T3_mRjT4_P12ihipStream_tbNS1_7vsmem_tEEUlT_E_NS1_11comp_targetILNS1_3genE10ELNS1_11target_archE1201ELNS1_3gpuE5ELNS1_3repE0EEENS1_30default_config_static_selectorELNS0_4arch9wavefront6targetE0EEEvSM_.kd
    .uniform_work_group_size: 1
    .uses_dynamic_stack: false
    .vgpr_count:     0
    .vgpr_spill_count: 0
    .wavefront_size: 32
    .workgroup_processor_mode: 1
  - .args:
      - .offset:         0
        .size:           72
        .value_kind:     by_value
    .group_segment_fixed_size: 0
    .kernarg_segment_align: 8
    .kernarg_segment_size: 72
    .language:       OpenCL C
    .language_version:
      - 2
      - 0
    .max_flat_workgroup_size: 512
    .name:           _ZN7rocprim17ROCPRIM_400000_NS6detail17trampoline_kernelINS0_14default_configENS1_37merge_sort_block_sort_config_selectorIlNS0_10empty_typeEEEZNS1_21merge_sort_block_sortIS3_PlS8_PS5_S9_ZN2at6native12_GLOBAL__N_124unique_dim_cuda_templateImEESt5tupleIJNSA_6TensorESF_SF_EERKSF_lbbbEUlllE_EE10hipError_tT0_T1_T2_T3_mRjT4_P12ihipStream_tbNS1_7vsmem_tEEUlT_E_NS1_11comp_targetILNS1_3genE10ELNS1_11target_archE1200ELNS1_3gpuE4ELNS1_3repE0EEENS1_30default_config_static_selectorELNS0_4arch9wavefront6targetE0EEEvSM_
    .private_segment_fixed_size: 0
    .sgpr_count:     0
    .sgpr_spill_count: 0
    .symbol:         _ZN7rocprim17ROCPRIM_400000_NS6detail17trampoline_kernelINS0_14default_configENS1_37merge_sort_block_sort_config_selectorIlNS0_10empty_typeEEEZNS1_21merge_sort_block_sortIS3_PlS8_PS5_S9_ZN2at6native12_GLOBAL__N_124unique_dim_cuda_templateImEESt5tupleIJNSA_6TensorESF_SF_EERKSF_lbbbEUlllE_EE10hipError_tT0_T1_T2_T3_mRjT4_P12ihipStream_tbNS1_7vsmem_tEEUlT_E_NS1_11comp_targetILNS1_3genE10ELNS1_11target_archE1200ELNS1_3gpuE4ELNS1_3repE0EEENS1_30default_config_static_selectorELNS0_4arch9wavefront6targetE0EEEvSM_.kd
    .uniform_work_group_size: 1
    .uses_dynamic_stack: false
    .vgpr_count:     0
    .vgpr_spill_count: 0
    .wavefront_size: 32
    .workgroup_processor_mode: 1
  - .args:
      - .offset:         0
        .size:           72
        .value_kind:     by_value
      - .offset:         72
        .size:           4
        .value_kind:     hidden_block_count_x
      - .offset:         76
        .size:           4
        .value_kind:     hidden_block_count_y
      - .offset:         80
        .size:           4
        .value_kind:     hidden_block_count_z
      - .offset:         84
        .size:           2
        .value_kind:     hidden_group_size_x
      - .offset:         86
        .size:           2
        .value_kind:     hidden_group_size_y
      - .offset:         88
        .size:           2
        .value_kind:     hidden_group_size_z
      - .offset:         90
        .size:           2
        .value_kind:     hidden_remainder_x
      - .offset:         92
        .size:           2
        .value_kind:     hidden_remainder_y
      - .offset:         94
        .size:           2
        .value_kind:     hidden_remainder_z
      - .offset:         112
        .size:           8
        .value_kind:     hidden_global_offset_x
      - .offset:         120
        .size:           8
        .value_kind:     hidden_global_offset_y
      - .offset:         128
        .size:           8
        .value_kind:     hidden_global_offset_z
      - .offset:         136
        .size:           2
        .value_kind:     hidden_grid_dims
    .group_segment_fixed_size: 8448
    .kernarg_segment_align: 8
    .kernarg_segment_size: 328
    .language:       OpenCL C
    .language_version:
      - 2
      - 0
    .max_flat_workgroup_size: 256
    .name:           _ZN7rocprim17ROCPRIM_400000_NS6detail17trampoline_kernelINS0_14default_configENS1_37merge_sort_block_sort_config_selectorIlNS0_10empty_typeEEEZNS1_21merge_sort_block_sortIS3_PlS8_PS5_S9_ZN2at6native12_GLOBAL__N_124unique_dim_cuda_templateImEESt5tupleIJNSA_6TensorESF_SF_EERKSF_lbbbEUlllE_EE10hipError_tT0_T1_T2_T3_mRjT4_P12ihipStream_tbNS1_7vsmem_tEEUlT_E_NS1_11comp_targetILNS1_3genE9ELNS1_11target_archE1100ELNS1_3gpuE3ELNS1_3repE0EEENS1_30default_config_static_selectorELNS0_4arch9wavefront6targetE0EEEvSM_
    .private_segment_fixed_size: 0
    .sgpr_count:     34
    .sgpr_spill_count: 0
    .symbol:         _ZN7rocprim17ROCPRIM_400000_NS6detail17trampoline_kernelINS0_14default_configENS1_37merge_sort_block_sort_config_selectorIlNS0_10empty_typeEEEZNS1_21merge_sort_block_sortIS3_PlS8_PS5_S9_ZN2at6native12_GLOBAL__N_124unique_dim_cuda_templateImEESt5tupleIJNSA_6TensorESF_SF_EERKSF_lbbbEUlllE_EE10hipError_tT0_T1_T2_T3_mRjT4_P12ihipStream_tbNS1_7vsmem_tEEUlT_E_NS1_11comp_targetILNS1_3genE9ELNS1_11target_archE1100ELNS1_3gpuE3ELNS1_3repE0EEENS1_30default_config_static_selectorELNS0_4arch9wavefront6targetE0EEEvSM_.kd
    .uniform_work_group_size: 1
    .uses_dynamic_stack: false
    .vgpr_count:     49
    .vgpr_spill_count: 0
    .wavefront_size: 32
    .workgroup_processor_mode: 1
  - .args:
      - .offset:         0
        .size:           72
        .value_kind:     by_value
    .group_segment_fixed_size: 0
    .kernarg_segment_align: 8
    .kernarg_segment_size: 72
    .language:       OpenCL C
    .language_version:
      - 2
      - 0
    .max_flat_workgroup_size: 256
    .name:           _ZN7rocprim17ROCPRIM_400000_NS6detail17trampoline_kernelINS0_14default_configENS1_37merge_sort_block_sort_config_selectorIlNS0_10empty_typeEEEZNS1_21merge_sort_block_sortIS3_PlS8_PS5_S9_ZN2at6native12_GLOBAL__N_124unique_dim_cuda_templateImEESt5tupleIJNSA_6TensorESF_SF_EERKSF_lbbbEUlllE_EE10hipError_tT0_T1_T2_T3_mRjT4_P12ihipStream_tbNS1_7vsmem_tEEUlT_E_NS1_11comp_targetILNS1_3genE8ELNS1_11target_archE1030ELNS1_3gpuE2ELNS1_3repE0EEENS1_30default_config_static_selectorELNS0_4arch9wavefront6targetE0EEEvSM_
    .private_segment_fixed_size: 0
    .sgpr_count:     0
    .sgpr_spill_count: 0
    .symbol:         _ZN7rocprim17ROCPRIM_400000_NS6detail17trampoline_kernelINS0_14default_configENS1_37merge_sort_block_sort_config_selectorIlNS0_10empty_typeEEEZNS1_21merge_sort_block_sortIS3_PlS8_PS5_S9_ZN2at6native12_GLOBAL__N_124unique_dim_cuda_templateImEESt5tupleIJNSA_6TensorESF_SF_EERKSF_lbbbEUlllE_EE10hipError_tT0_T1_T2_T3_mRjT4_P12ihipStream_tbNS1_7vsmem_tEEUlT_E_NS1_11comp_targetILNS1_3genE8ELNS1_11target_archE1030ELNS1_3gpuE2ELNS1_3repE0EEENS1_30default_config_static_selectorELNS0_4arch9wavefront6targetE0EEEvSM_.kd
    .uniform_work_group_size: 1
    .uses_dynamic_stack: false
    .vgpr_count:     0
    .vgpr_spill_count: 0
    .wavefront_size: 32
    .workgroup_processor_mode: 1
  - .args:
      - .offset:         0
        .size:           56
        .value_kind:     by_value
    .group_segment_fixed_size: 0
    .kernarg_segment_align: 8
    .kernarg_segment_size: 56
    .language:       OpenCL C
    .language_version:
      - 2
      - 0
    .max_flat_workgroup_size: 128
    .name:           _ZN7rocprim17ROCPRIM_400000_NS6detail17trampoline_kernelINS0_14default_configENS1_38merge_sort_block_merge_config_selectorIlNS0_10empty_typeEEEZZNS1_27merge_sort_block_merge_implIS3_PlPS5_mZN2at6native12_GLOBAL__N_124unique_dim_cuda_templateImEESt5tupleIJNSA_6TensorESF_SF_EERKSF_lbbbEUlllE_EE10hipError_tT0_T1_T2_jT3_P12ihipStream_tbPNSt15iterator_traitsISL_E10value_typeEPNSR_ISM_E10value_typeEPSN_NS1_7vsmem_tEENKUlT_SL_SM_SN_E_clIS8_S8_S9_S9_EESK_S10_SL_SM_SN_EUlS10_E_NS1_11comp_targetILNS1_3genE0ELNS1_11target_archE4294967295ELNS1_3gpuE0ELNS1_3repE0EEENS1_48merge_mergepath_partition_config_static_selectorELNS0_4arch9wavefront6targetE0EEEvSM_
    .private_segment_fixed_size: 0
    .sgpr_count:     0
    .sgpr_spill_count: 0
    .symbol:         _ZN7rocprim17ROCPRIM_400000_NS6detail17trampoline_kernelINS0_14default_configENS1_38merge_sort_block_merge_config_selectorIlNS0_10empty_typeEEEZZNS1_27merge_sort_block_merge_implIS3_PlPS5_mZN2at6native12_GLOBAL__N_124unique_dim_cuda_templateImEESt5tupleIJNSA_6TensorESF_SF_EERKSF_lbbbEUlllE_EE10hipError_tT0_T1_T2_jT3_P12ihipStream_tbPNSt15iterator_traitsISL_E10value_typeEPNSR_ISM_E10value_typeEPSN_NS1_7vsmem_tEENKUlT_SL_SM_SN_E_clIS8_S8_S9_S9_EESK_S10_SL_SM_SN_EUlS10_E_NS1_11comp_targetILNS1_3genE0ELNS1_11target_archE4294967295ELNS1_3gpuE0ELNS1_3repE0EEENS1_48merge_mergepath_partition_config_static_selectorELNS0_4arch9wavefront6targetE0EEEvSM_.kd
    .uniform_work_group_size: 1
    .uses_dynamic_stack: false
    .vgpr_count:     0
    .vgpr_spill_count: 0
    .wavefront_size: 32
    .workgroup_processor_mode: 1
  - .args:
      - .offset:         0
        .size:           56
        .value_kind:     by_value
    .group_segment_fixed_size: 0
    .kernarg_segment_align: 8
    .kernarg_segment_size: 56
    .language:       OpenCL C
    .language_version:
      - 2
      - 0
    .max_flat_workgroup_size: 128
    .name:           _ZN7rocprim17ROCPRIM_400000_NS6detail17trampoline_kernelINS0_14default_configENS1_38merge_sort_block_merge_config_selectorIlNS0_10empty_typeEEEZZNS1_27merge_sort_block_merge_implIS3_PlPS5_mZN2at6native12_GLOBAL__N_124unique_dim_cuda_templateImEESt5tupleIJNSA_6TensorESF_SF_EERKSF_lbbbEUlllE_EE10hipError_tT0_T1_T2_jT3_P12ihipStream_tbPNSt15iterator_traitsISL_E10value_typeEPNSR_ISM_E10value_typeEPSN_NS1_7vsmem_tEENKUlT_SL_SM_SN_E_clIS8_S8_S9_S9_EESK_S10_SL_SM_SN_EUlS10_E_NS1_11comp_targetILNS1_3genE10ELNS1_11target_archE1201ELNS1_3gpuE5ELNS1_3repE0EEENS1_48merge_mergepath_partition_config_static_selectorELNS0_4arch9wavefront6targetE0EEEvSM_
    .private_segment_fixed_size: 0
    .sgpr_count:     0
    .sgpr_spill_count: 0
    .symbol:         _ZN7rocprim17ROCPRIM_400000_NS6detail17trampoline_kernelINS0_14default_configENS1_38merge_sort_block_merge_config_selectorIlNS0_10empty_typeEEEZZNS1_27merge_sort_block_merge_implIS3_PlPS5_mZN2at6native12_GLOBAL__N_124unique_dim_cuda_templateImEESt5tupleIJNSA_6TensorESF_SF_EERKSF_lbbbEUlllE_EE10hipError_tT0_T1_T2_jT3_P12ihipStream_tbPNSt15iterator_traitsISL_E10value_typeEPNSR_ISM_E10value_typeEPSN_NS1_7vsmem_tEENKUlT_SL_SM_SN_E_clIS8_S8_S9_S9_EESK_S10_SL_SM_SN_EUlS10_E_NS1_11comp_targetILNS1_3genE10ELNS1_11target_archE1201ELNS1_3gpuE5ELNS1_3repE0EEENS1_48merge_mergepath_partition_config_static_selectorELNS0_4arch9wavefront6targetE0EEEvSM_.kd
    .uniform_work_group_size: 1
    .uses_dynamic_stack: false
    .vgpr_count:     0
    .vgpr_spill_count: 0
    .wavefront_size: 32
    .workgroup_processor_mode: 1
  - .args:
      - .offset:         0
        .size:           56
        .value_kind:     by_value
    .group_segment_fixed_size: 0
    .kernarg_segment_align: 8
    .kernarg_segment_size: 56
    .language:       OpenCL C
    .language_version:
      - 2
      - 0
    .max_flat_workgroup_size: 128
    .name:           _ZN7rocprim17ROCPRIM_400000_NS6detail17trampoline_kernelINS0_14default_configENS1_38merge_sort_block_merge_config_selectorIlNS0_10empty_typeEEEZZNS1_27merge_sort_block_merge_implIS3_PlPS5_mZN2at6native12_GLOBAL__N_124unique_dim_cuda_templateImEESt5tupleIJNSA_6TensorESF_SF_EERKSF_lbbbEUlllE_EE10hipError_tT0_T1_T2_jT3_P12ihipStream_tbPNSt15iterator_traitsISL_E10value_typeEPNSR_ISM_E10value_typeEPSN_NS1_7vsmem_tEENKUlT_SL_SM_SN_E_clIS8_S8_S9_S9_EESK_S10_SL_SM_SN_EUlS10_E_NS1_11comp_targetILNS1_3genE5ELNS1_11target_archE942ELNS1_3gpuE9ELNS1_3repE0EEENS1_48merge_mergepath_partition_config_static_selectorELNS0_4arch9wavefront6targetE0EEEvSM_
    .private_segment_fixed_size: 0
    .sgpr_count:     0
    .sgpr_spill_count: 0
    .symbol:         _ZN7rocprim17ROCPRIM_400000_NS6detail17trampoline_kernelINS0_14default_configENS1_38merge_sort_block_merge_config_selectorIlNS0_10empty_typeEEEZZNS1_27merge_sort_block_merge_implIS3_PlPS5_mZN2at6native12_GLOBAL__N_124unique_dim_cuda_templateImEESt5tupleIJNSA_6TensorESF_SF_EERKSF_lbbbEUlllE_EE10hipError_tT0_T1_T2_jT3_P12ihipStream_tbPNSt15iterator_traitsISL_E10value_typeEPNSR_ISM_E10value_typeEPSN_NS1_7vsmem_tEENKUlT_SL_SM_SN_E_clIS8_S8_S9_S9_EESK_S10_SL_SM_SN_EUlS10_E_NS1_11comp_targetILNS1_3genE5ELNS1_11target_archE942ELNS1_3gpuE9ELNS1_3repE0EEENS1_48merge_mergepath_partition_config_static_selectorELNS0_4arch9wavefront6targetE0EEEvSM_.kd
    .uniform_work_group_size: 1
    .uses_dynamic_stack: false
    .vgpr_count:     0
    .vgpr_spill_count: 0
    .wavefront_size: 32
    .workgroup_processor_mode: 1
  - .args:
      - .offset:         0
        .size:           56
        .value_kind:     by_value
    .group_segment_fixed_size: 0
    .kernarg_segment_align: 8
    .kernarg_segment_size: 56
    .language:       OpenCL C
    .language_version:
      - 2
      - 0
    .max_flat_workgroup_size: 128
    .name:           _ZN7rocprim17ROCPRIM_400000_NS6detail17trampoline_kernelINS0_14default_configENS1_38merge_sort_block_merge_config_selectorIlNS0_10empty_typeEEEZZNS1_27merge_sort_block_merge_implIS3_PlPS5_mZN2at6native12_GLOBAL__N_124unique_dim_cuda_templateImEESt5tupleIJNSA_6TensorESF_SF_EERKSF_lbbbEUlllE_EE10hipError_tT0_T1_T2_jT3_P12ihipStream_tbPNSt15iterator_traitsISL_E10value_typeEPNSR_ISM_E10value_typeEPSN_NS1_7vsmem_tEENKUlT_SL_SM_SN_E_clIS8_S8_S9_S9_EESK_S10_SL_SM_SN_EUlS10_E_NS1_11comp_targetILNS1_3genE4ELNS1_11target_archE910ELNS1_3gpuE8ELNS1_3repE0EEENS1_48merge_mergepath_partition_config_static_selectorELNS0_4arch9wavefront6targetE0EEEvSM_
    .private_segment_fixed_size: 0
    .sgpr_count:     0
    .sgpr_spill_count: 0
    .symbol:         _ZN7rocprim17ROCPRIM_400000_NS6detail17trampoline_kernelINS0_14default_configENS1_38merge_sort_block_merge_config_selectorIlNS0_10empty_typeEEEZZNS1_27merge_sort_block_merge_implIS3_PlPS5_mZN2at6native12_GLOBAL__N_124unique_dim_cuda_templateImEESt5tupleIJNSA_6TensorESF_SF_EERKSF_lbbbEUlllE_EE10hipError_tT0_T1_T2_jT3_P12ihipStream_tbPNSt15iterator_traitsISL_E10value_typeEPNSR_ISM_E10value_typeEPSN_NS1_7vsmem_tEENKUlT_SL_SM_SN_E_clIS8_S8_S9_S9_EESK_S10_SL_SM_SN_EUlS10_E_NS1_11comp_targetILNS1_3genE4ELNS1_11target_archE910ELNS1_3gpuE8ELNS1_3repE0EEENS1_48merge_mergepath_partition_config_static_selectorELNS0_4arch9wavefront6targetE0EEEvSM_.kd
    .uniform_work_group_size: 1
    .uses_dynamic_stack: false
    .vgpr_count:     0
    .vgpr_spill_count: 0
    .wavefront_size: 32
    .workgroup_processor_mode: 1
  - .args:
      - .offset:         0
        .size:           56
        .value_kind:     by_value
    .group_segment_fixed_size: 0
    .kernarg_segment_align: 8
    .kernarg_segment_size: 56
    .language:       OpenCL C
    .language_version:
      - 2
      - 0
    .max_flat_workgroup_size: 128
    .name:           _ZN7rocprim17ROCPRIM_400000_NS6detail17trampoline_kernelINS0_14default_configENS1_38merge_sort_block_merge_config_selectorIlNS0_10empty_typeEEEZZNS1_27merge_sort_block_merge_implIS3_PlPS5_mZN2at6native12_GLOBAL__N_124unique_dim_cuda_templateImEESt5tupleIJNSA_6TensorESF_SF_EERKSF_lbbbEUlllE_EE10hipError_tT0_T1_T2_jT3_P12ihipStream_tbPNSt15iterator_traitsISL_E10value_typeEPNSR_ISM_E10value_typeEPSN_NS1_7vsmem_tEENKUlT_SL_SM_SN_E_clIS8_S8_S9_S9_EESK_S10_SL_SM_SN_EUlS10_E_NS1_11comp_targetILNS1_3genE3ELNS1_11target_archE908ELNS1_3gpuE7ELNS1_3repE0EEENS1_48merge_mergepath_partition_config_static_selectorELNS0_4arch9wavefront6targetE0EEEvSM_
    .private_segment_fixed_size: 0
    .sgpr_count:     0
    .sgpr_spill_count: 0
    .symbol:         _ZN7rocprim17ROCPRIM_400000_NS6detail17trampoline_kernelINS0_14default_configENS1_38merge_sort_block_merge_config_selectorIlNS0_10empty_typeEEEZZNS1_27merge_sort_block_merge_implIS3_PlPS5_mZN2at6native12_GLOBAL__N_124unique_dim_cuda_templateImEESt5tupleIJNSA_6TensorESF_SF_EERKSF_lbbbEUlllE_EE10hipError_tT0_T1_T2_jT3_P12ihipStream_tbPNSt15iterator_traitsISL_E10value_typeEPNSR_ISM_E10value_typeEPSN_NS1_7vsmem_tEENKUlT_SL_SM_SN_E_clIS8_S8_S9_S9_EESK_S10_SL_SM_SN_EUlS10_E_NS1_11comp_targetILNS1_3genE3ELNS1_11target_archE908ELNS1_3gpuE7ELNS1_3repE0EEENS1_48merge_mergepath_partition_config_static_selectorELNS0_4arch9wavefront6targetE0EEEvSM_.kd
    .uniform_work_group_size: 1
    .uses_dynamic_stack: false
    .vgpr_count:     0
    .vgpr_spill_count: 0
    .wavefront_size: 32
    .workgroup_processor_mode: 1
  - .args:
      - .offset:         0
        .size:           56
        .value_kind:     by_value
    .group_segment_fixed_size: 0
    .kernarg_segment_align: 8
    .kernarg_segment_size: 56
    .language:       OpenCL C
    .language_version:
      - 2
      - 0
    .max_flat_workgroup_size: 128
    .name:           _ZN7rocprim17ROCPRIM_400000_NS6detail17trampoline_kernelINS0_14default_configENS1_38merge_sort_block_merge_config_selectorIlNS0_10empty_typeEEEZZNS1_27merge_sort_block_merge_implIS3_PlPS5_mZN2at6native12_GLOBAL__N_124unique_dim_cuda_templateImEESt5tupleIJNSA_6TensorESF_SF_EERKSF_lbbbEUlllE_EE10hipError_tT0_T1_T2_jT3_P12ihipStream_tbPNSt15iterator_traitsISL_E10value_typeEPNSR_ISM_E10value_typeEPSN_NS1_7vsmem_tEENKUlT_SL_SM_SN_E_clIS8_S8_S9_S9_EESK_S10_SL_SM_SN_EUlS10_E_NS1_11comp_targetILNS1_3genE2ELNS1_11target_archE906ELNS1_3gpuE6ELNS1_3repE0EEENS1_48merge_mergepath_partition_config_static_selectorELNS0_4arch9wavefront6targetE0EEEvSM_
    .private_segment_fixed_size: 0
    .sgpr_count:     0
    .sgpr_spill_count: 0
    .symbol:         _ZN7rocprim17ROCPRIM_400000_NS6detail17trampoline_kernelINS0_14default_configENS1_38merge_sort_block_merge_config_selectorIlNS0_10empty_typeEEEZZNS1_27merge_sort_block_merge_implIS3_PlPS5_mZN2at6native12_GLOBAL__N_124unique_dim_cuda_templateImEESt5tupleIJNSA_6TensorESF_SF_EERKSF_lbbbEUlllE_EE10hipError_tT0_T1_T2_jT3_P12ihipStream_tbPNSt15iterator_traitsISL_E10value_typeEPNSR_ISM_E10value_typeEPSN_NS1_7vsmem_tEENKUlT_SL_SM_SN_E_clIS8_S8_S9_S9_EESK_S10_SL_SM_SN_EUlS10_E_NS1_11comp_targetILNS1_3genE2ELNS1_11target_archE906ELNS1_3gpuE6ELNS1_3repE0EEENS1_48merge_mergepath_partition_config_static_selectorELNS0_4arch9wavefront6targetE0EEEvSM_.kd
    .uniform_work_group_size: 1
    .uses_dynamic_stack: false
    .vgpr_count:     0
    .vgpr_spill_count: 0
    .wavefront_size: 32
    .workgroup_processor_mode: 1
  - .args:
      - .offset:         0
        .size:           56
        .value_kind:     by_value
    .group_segment_fixed_size: 0
    .kernarg_segment_align: 8
    .kernarg_segment_size: 56
    .language:       OpenCL C
    .language_version:
      - 2
      - 0
    .max_flat_workgroup_size: 128
    .name:           _ZN7rocprim17ROCPRIM_400000_NS6detail17trampoline_kernelINS0_14default_configENS1_38merge_sort_block_merge_config_selectorIlNS0_10empty_typeEEEZZNS1_27merge_sort_block_merge_implIS3_PlPS5_mZN2at6native12_GLOBAL__N_124unique_dim_cuda_templateImEESt5tupleIJNSA_6TensorESF_SF_EERKSF_lbbbEUlllE_EE10hipError_tT0_T1_T2_jT3_P12ihipStream_tbPNSt15iterator_traitsISL_E10value_typeEPNSR_ISM_E10value_typeEPSN_NS1_7vsmem_tEENKUlT_SL_SM_SN_E_clIS8_S8_S9_S9_EESK_S10_SL_SM_SN_EUlS10_E_NS1_11comp_targetILNS1_3genE9ELNS1_11target_archE1100ELNS1_3gpuE3ELNS1_3repE0EEENS1_48merge_mergepath_partition_config_static_selectorELNS0_4arch9wavefront6targetE0EEEvSM_
    .private_segment_fixed_size: 0
    .sgpr_count:     23
    .sgpr_spill_count: 0
    .symbol:         _ZN7rocprim17ROCPRIM_400000_NS6detail17trampoline_kernelINS0_14default_configENS1_38merge_sort_block_merge_config_selectorIlNS0_10empty_typeEEEZZNS1_27merge_sort_block_merge_implIS3_PlPS5_mZN2at6native12_GLOBAL__N_124unique_dim_cuda_templateImEESt5tupleIJNSA_6TensorESF_SF_EERKSF_lbbbEUlllE_EE10hipError_tT0_T1_T2_jT3_P12ihipStream_tbPNSt15iterator_traitsISL_E10value_typeEPNSR_ISM_E10value_typeEPSN_NS1_7vsmem_tEENKUlT_SL_SM_SN_E_clIS8_S8_S9_S9_EESK_S10_SL_SM_SN_EUlS10_E_NS1_11comp_targetILNS1_3genE9ELNS1_11target_archE1100ELNS1_3gpuE3ELNS1_3repE0EEENS1_48merge_mergepath_partition_config_static_selectorELNS0_4arch9wavefront6targetE0EEEvSM_.kd
    .uniform_work_group_size: 1
    .uses_dynamic_stack: false
    .vgpr_count:     22
    .vgpr_spill_count: 0
    .wavefront_size: 32
    .workgroup_processor_mode: 1
  - .args:
      - .offset:         0
        .size:           56
        .value_kind:     by_value
    .group_segment_fixed_size: 0
    .kernarg_segment_align: 8
    .kernarg_segment_size: 56
    .language:       OpenCL C
    .language_version:
      - 2
      - 0
    .max_flat_workgroup_size: 128
    .name:           _ZN7rocprim17ROCPRIM_400000_NS6detail17trampoline_kernelINS0_14default_configENS1_38merge_sort_block_merge_config_selectorIlNS0_10empty_typeEEEZZNS1_27merge_sort_block_merge_implIS3_PlPS5_mZN2at6native12_GLOBAL__N_124unique_dim_cuda_templateImEESt5tupleIJNSA_6TensorESF_SF_EERKSF_lbbbEUlllE_EE10hipError_tT0_T1_T2_jT3_P12ihipStream_tbPNSt15iterator_traitsISL_E10value_typeEPNSR_ISM_E10value_typeEPSN_NS1_7vsmem_tEENKUlT_SL_SM_SN_E_clIS8_S8_S9_S9_EESK_S10_SL_SM_SN_EUlS10_E_NS1_11comp_targetILNS1_3genE8ELNS1_11target_archE1030ELNS1_3gpuE2ELNS1_3repE0EEENS1_48merge_mergepath_partition_config_static_selectorELNS0_4arch9wavefront6targetE0EEEvSM_
    .private_segment_fixed_size: 0
    .sgpr_count:     0
    .sgpr_spill_count: 0
    .symbol:         _ZN7rocprim17ROCPRIM_400000_NS6detail17trampoline_kernelINS0_14default_configENS1_38merge_sort_block_merge_config_selectorIlNS0_10empty_typeEEEZZNS1_27merge_sort_block_merge_implIS3_PlPS5_mZN2at6native12_GLOBAL__N_124unique_dim_cuda_templateImEESt5tupleIJNSA_6TensorESF_SF_EERKSF_lbbbEUlllE_EE10hipError_tT0_T1_T2_jT3_P12ihipStream_tbPNSt15iterator_traitsISL_E10value_typeEPNSR_ISM_E10value_typeEPSN_NS1_7vsmem_tEENKUlT_SL_SM_SN_E_clIS8_S8_S9_S9_EESK_S10_SL_SM_SN_EUlS10_E_NS1_11comp_targetILNS1_3genE8ELNS1_11target_archE1030ELNS1_3gpuE2ELNS1_3repE0EEENS1_48merge_mergepath_partition_config_static_selectorELNS0_4arch9wavefront6targetE0EEEvSM_.kd
    .uniform_work_group_size: 1
    .uses_dynamic_stack: false
    .vgpr_count:     0
    .vgpr_spill_count: 0
    .wavefront_size: 32
    .workgroup_processor_mode: 1
  - .args:
      - .offset:         0
        .size:           88
        .value_kind:     by_value
    .group_segment_fixed_size: 0
    .kernarg_segment_align: 8
    .kernarg_segment_size: 88
    .language:       OpenCL C
    .language_version:
      - 2
      - 0
    .max_flat_workgroup_size: 128
    .name:           _ZN7rocprim17ROCPRIM_400000_NS6detail17trampoline_kernelINS0_14default_configENS1_38merge_sort_block_merge_config_selectorIlNS0_10empty_typeEEEZZNS1_27merge_sort_block_merge_implIS3_PlPS5_mZN2at6native12_GLOBAL__N_124unique_dim_cuda_templateImEESt5tupleIJNSA_6TensorESF_SF_EERKSF_lbbbEUlllE_EE10hipError_tT0_T1_T2_jT3_P12ihipStream_tbPNSt15iterator_traitsISL_E10value_typeEPNSR_ISM_E10value_typeEPSN_NS1_7vsmem_tEENKUlT_SL_SM_SN_E_clIS8_S8_S9_S9_EESK_S10_SL_SM_SN_EUlS10_E0_NS1_11comp_targetILNS1_3genE0ELNS1_11target_archE4294967295ELNS1_3gpuE0ELNS1_3repE0EEENS1_38merge_mergepath_config_static_selectorELNS0_4arch9wavefront6targetE0EEEvSM_
    .private_segment_fixed_size: 0
    .sgpr_count:     0
    .sgpr_spill_count: 0
    .symbol:         _ZN7rocprim17ROCPRIM_400000_NS6detail17trampoline_kernelINS0_14default_configENS1_38merge_sort_block_merge_config_selectorIlNS0_10empty_typeEEEZZNS1_27merge_sort_block_merge_implIS3_PlPS5_mZN2at6native12_GLOBAL__N_124unique_dim_cuda_templateImEESt5tupleIJNSA_6TensorESF_SF_EERKSF_lbbbEUlllE_EE10hipError_tT0_T1_T2_jT3_P12ihipStream_tbPNSt15iterator_traitsISL_E10value_typeEPNSR_ISM_E10value_typeEPSN_NS1_7vsmem_tEENKUlT_SL_SM_SN_E_clIS8_S8_S9_S9_EESK_S10_SL_SM_SN_EUlS10_E0_NS1_11comp_targetILNS1_3genE0ELNS1_11target_archE4294967295ELNS1_3gpuE0ELNS1_3repE0EEENS1_38merge_mergepath_config_static_selectorELNS0_4arch9wavefront6targetE0EEEvSM_.kd
    .uniform_work_group_size: 1
    .uses_dynamic_stack: false
    .vgpr_count:     0
    .vgpr_spill_count: 0
    .wavefront_size: 32
    .workgroup_processor_mode: 1
  - .args:
      - .offset:         0
        .size:           88
        .value_kind:     by_value
    .group_segment_fixed_size: 0
    .kernarg_segment_align: 8
    .kernarg_segment_size: 88
    .language:       OpenCL C
    .language_version:
      - 2
      - 0
    .max_flat_workgroup_size: 512
    .name:           _ZN7rocprim17ROCPRIM_400000_NS6detail17trampoline_kernelINS0_14default_configENS1_38merge_sort_block_merge_config_selectorIlNS0_10empty_typeEEEZZNS1_27merge_sort_block_merge_implIS3_PlPS5_mZN2at6native12_GLOBAL__N_124unique_dim_cuda_templateImEESt5tupleIJNSA_6TensorESF_SF_EERKSF_lbbbEUlllE_EE10hipError_tT0_T1_T2_jT3_P12ihipStream_tbPNSt15iterator_traitsISL_E10value_typeEPNSR_ISM_E10value_typeEPSN_NS1_7vsmem_tEENKUlT_SL_SM_SN_E_clIS8_S8_S9_S9_EESK_S10_SL_SM_SN_EUlS10_E0_NS1_11comp_targetILNS1_3genE10ELNS1_11target_archE1201ELNS1_3gpuE5ELNS1_3repE0EEENS1_38merge_mergepath_config_static_selectorELNS0_4arch9wavefront6targetE0EEEvSM_
    .private_segment_fixed_size: 0
    .sgpr_count:     0
    .sgpr_spill_count: 0
    .symbol:         _ZN7rocprim17ROCPRIM_400000_NS6detail17trampoline_kernelINS0_14default_configENS1_38merge_sort_block_merge_config_selectorIlNS0_10empty_typeEEEZZNS1_27merge_sort_block_merge_implIS3_PlPS5_mZN2at6native12_GLOBAL__N_124unique_dim_cuda_templateImEESt5tupleIJNSA_6TensorESF_SF_EERKSF_lbbbEUlllE_EE10hipError_tT0_T1_T2_jT3_P12ihipStream_tbPNSt15iterator_traitsISL_E10value_typeEPNSR_ISM_E10value_typeEPSN_NS1_7vsmem_tEENKUlT_SL_SM_SN_E_clIS8_S8_S9_S9_EESK_S10_SL_SM_SN_EUlS10_E0_NS1_11comp_targetILNS1_3genE10ELNS1_11target_archE1201ELNS1_3gpuE5ELNS1_3repE0EEENS1_38merge_mergepath_config_static_selectorELNS0_4arch9wavefront6targetE0EEEvSM_.kd
    .uniform_work_group_size: 1
    .uses_dynamic_stack: false
    .vgpr_count:     0
    .vgpr_spill_count: 0
    .wavefront_size: 32
    .workgroup_processor_mode: 1
  - .args:
      - .offset:         0
        .size:           88
        .value_kind:     by_value
    .group_segment_fixed_size: 0
    .kernarg_segment_align: 8
    .kernarg_segment_size: 88
    .language:       OpenCL C
    .language_version:
      - 2
      - 0
    .max_flat_workgroup_size: 128
    .name:           _ZN7rocprim17ROCPRIM_400000_NS6detail17trampoline_kernelINS0_14default_configENS1_38merge_sort_block_merge_config_selectorIlNS0_10empty_typeEEEZZNS1_27merge_sort_block_merge_implIS3_PlPS5_mZN2at6native12_GLOBAL__N_124unique_dim_cuda_templateImEESt5tupleIJNSA_6TensorESF_SF_EERKSF_lbbbEUlllE_EE10hipError_tT0_T1_T2_jT3_P12ihipStream_tbPNSt15iterator_traitsISL_E10value_typeEPNSR_ISM_E10value_typeEPSN_NS1_7vsmem_tEENKUlT_SL_SM_SN_E_clIS8_S8_S9_S9_EESK_S10_SL_SM_SN_EUlS10_E0_NS1_11comp_targetILNS1_3genE5ELNS1_11target_archE942ELNS1_3gpuE9ELNS1_3repE0EEENS1_38merge_mergepath_config_static_selectorELNS0_4arch9wavefront6targetE0EEEvSM_
    .private_segment_fixed_size: 0
    .sgpr_count:     0
    .sgpr_spill_count: 0
    .symbol:         _ZN7rocprim17ROCPRIM_400000_NS6detail17trampoline_kernelINS0_14default_configENS1_38merge_sort_block_merge_config_selectorIlNS0_10empty_typeEEEZZNS1_27merge_sort_block_merge_implIS3_PlPS5_mZN2at6native12_GLOBAL__N_124unique_dim_cuda_templateImEESt5tupleIJNSA_6TensorESF_SF_EERKSF_lbbbEUlllE_EE10hipError_tT0_T1_T2_jT3_P12ihipStream_tbPNSt15iterator_traitsISL_E10value_typeEPNSR_ISM_E10value_typeEPSN_NS1_7vsmem_tEENKUlT_SL_SM_SN_E_clIS8_S8_S9_S9_EESK_S10_SL_SM_SN_EUlS10_E0_NS1_11comp_targetILNS1_3genE5ELNS1_11target_archE942ELNS1_3gpuE9ELNS1_3repE0EEENS1_38merge_mergepath_config_static_selectorELNS0_4arch9wavefront6targetE0EEEvSM_.kd
    .uniform_work_group_size: 1
    .uses_dynamic_stack: false
    .vgpr_count:     0
    .vgpr_spill_count: 0
    .wavefront_size: 32
    .workgroup_processor_mode: 1
  - .args:
      - .offset:         0
        .size:           88
        .value_kind:     by_value
    .group_segment_fixed_size: 0
    .kernarg_segment_align: 8
    .kernarg_segment_size: 88
    .language:       OpenCL C
    .language_version:
      - 2
      - 0
    .max_flat_workgroup_size: 256
    .name:           _ZN7rocprim17ROCPRIM_400000_NS6detail17trampoline_kernelINS0_14default_configENS1_38merge_sort_block_merge_config_selectorIlNS0_10empty_typeEEEZZNS1_27merge_sort_block_merge_implIS3_PlPS5_mZN2at6native12_GLOBAL__N_124unique_dim_cuda_templateImEESt5tupleIJNSA_6TensorESF_SF_EERKSF_lbbbEUlllE_EE10hipError_tT0_T1_T2_jT3_P12ihipStream_tbPNSt15iterator_traitsISL_E10value_typeEPNSR_ISM_E10value_typeEPSN_NS1_7vsmem_tEENKUlT_SL_SM_SN_E_clIS8_S8_S9_S9_EESK_S10_SL_SM_SN_EUlS10_E0_NS1_11comp_targetILNS1_3genE4ELNS1_11target_archE910ELNS1_3gpuE8ELNS1_3repE0EEENS1_38merge_mergepath_config_static_selectorELNS0_4arch9wavefront6targetE0EEEvSM_
    .private_segment_fixed_size: 0
    .sgpr_count:     0
    .sgpr_spill_count: 0
    .symbol:         _ZN7rocprim17ROCPRIM_400000_NS6detail17trampoline_kernelINS0_14default_configENS1_38merge_sort_block_merge_config_selectorIlNS0_10empty_typeEEEZZNS1_27merge_sort_block_merge_implIS3_PlPS5_mZN2at6native12_GLOBAL__N_124unique_dim_cuda_templateImEESt5tupleIJNSA_6TensorESF_SF_EERKSF_lbbbEUlllE_EE10hipError_tT0_T1_T2_jT3_P12ihipStream_tbPNSt15iterator_traitsISL_E10value_typeEPNSR_ISM_E10value_typeEPSN_NS1_7vsmem_tEENKUlT_SL_SM_SN_E_clIS8_S8_S9_S9_EESK_S10_SL_SM_SN_EUlS10_E0_NS1_11comp_targetILNS1_3genE4ELNS1_11target_archE910ELNS1_3gpuE8ELNS1_3repE0EEENS1_38merge_mergepath_config_static_selectorELNS0_4arch9wavefront6targetE0EEEvSM_.kd
    .uniform_work_group_size: 1
    .uses_dynamic_stack: false
    .vgpr_count:     0
    .vgpr_spill_count: 0
    .wavefront_size: 32
    .workgroup_processor_mode: 1
  - .args:
      - .offset:         0
        .size:           88
        .value_kind:     by_value
    .group_segment_fixed_size: 0
    .kernarg_segment_align: 8
    .kernarg_segment_size: 88
    .language:       OpenCL C
    .language_version:
      - 2
      - 0
    .max_flat_workgroup_size: 128
    .name:           _ZN7rocprim17ROCPRIM_400000_NS6detail17trampoline_kernelINS0_14default_configENS1_38merge_sort_block_merge_config_selectorIlNS0_10empty_typeEEEZZNS1_27merge_sort_block_merge_implIS3_PlPS5_mZN2at6native12_GLOBAL__N_124unique_dim_cuda_templateImEESt5tupleIJNSA_6TensorESF_SF_EERKSF_lbbbEUlllE_EE10hipError_tT0_T1_T2_jT3_P12ihipStream_tbPNSt15iterator_traitsISL_E10value_typeEPNSR_ISM_E10value_typeEPSN_NS1_7vsmem_tEENKUlT_SL_SM_SN_E_clIS8_S8_S9_S9_EESK_S10_SL_SM_SN_EUlS10_E0_NS1_11comp_targetILNS1_3genE3ELNS1_11target_archE908ELNS1_3gpuE7ELNS1_3repE0EEENS1_38merge_mergepath_config_static_selectorELNS0_4arch9wavefront6targetE0EEEvSM_
    .private_segment_fixed_size: 0
    .sgpr_count:     0
    .sgpr_spill_count: 0
    .symbol:         _ZN7rocprim17ROCPRIM_400000_NS6detail17trampoline_kernelINS0_14default_configENS1_38merge_sort_block_merge_config_selectorIlNS0_10empty_typeEEEZZNS1_27merge_sort_block_merge_implIS3_PlPS5_mZN2at6native12_GLOBAL__N_124unique_dim_cuda_templateImEESt5tupleIJNSA_6TensorESF_SF_EERKSF_lbbbEUlllE_EE10hipError_tT0_T1_T2_jT3_P12ihipStream_tbPNSt15iterator_traitsISL_E10value_typeEPNSR_ISM_E10value_typeEPSN_NS1_7vsmem_tEENKUlT_SL_SM_SN_E_clIS8_S8_S9_S9_EESK_S10_SL_SM_SN_EUlS10_E0_NS1_11comp_targetILNS1_3genE3ELNS1_11target_archE908ELNS1_3gpuE7ELNS1_3repE0EEENS1_38merge_mergepath_config_static_selectorELNS0_4arch9wavefront6targetE0EEEvSM_.kd
    .uniform_work_group_size: 1
    .uses_dynamic_stack: false
    .vgpr_count:     0
    .vgpr_spill_count: 0
    .wavefront_size: 32
    .workgroup_processor_mode: 1
  - .args:
      - .offset:         0
        .size:           88
        .value_kind:     by_value
    .group_segment_fixed_size: 0
    .kernarg_segment_align: 8
    .kernarg_segment_size: 88
    .language:       OpenCL C
    .language_version:
      - 2
      - 0
    .max_flat_workgroup_size: 256
    .name:           _ZN7rocprim17ROCPRIM_400000_NS6detail17trampoline_kernelINS0_14default_configENS1_38merge_sort_block_merge_config_selectorIlNS0_10empty_typeEEEZZNS1_27merge_sort_block_merge_implIS3_PlPS5_mZN2at6native12_GLOBAL__N_124unique_dim_cuda_templateImEESt5tupleIJNSA_6TensorESF_SF_EERKSF_lbbbEUlllE_EE10hipError_tT0_T1_T2_jT3_P12ihipStream_tbPNSt15iterator_traitsISL_E10value_typeEPNSR_ISM_E10value_typeEPSN_NS1_7vsmem_tEENKUlT_SL_SM_SN_E_clIS8_S8_S9_S9_EESK_S10_SL_SM_SN_EUlS10_E0_NS1_11comp_targetILNS1_3genE2ELNS1_11target_archE906ELNS1_3gpuE6ELNS1_3repE0EEENS1_38merge_mergepath_config_static_selectorELNS0_4arch9wavefront6targetE0EEEvSM_
    .private_segment_fixed_size: 0
    .sgpr_count:     0
    .sgpr_spill_count: 0
    .symbol:         _ZN7rocprim17ROCPRIM_400000_NS6detail17trampoline_kernelINS0_14default_configENS1_38merge_sort_block_merge_config_selectorIlNS0_10empty_typeEEEZZNS1_27merge_sort_block_merge_implIS3_PlPS5_mZN2at6native12_GLOBAL__N_124unique_dim_cuda_templateImEESt5tupleIJNSA_6TensorESF_SF_EERKSF_lbbbEUlllE_EE10hipError_tT0_T1_T2_jT3_P12ihipStream_tbPNSt15iterator_traitsISL_E10value_typeEPNSR_ISM_E10value_typeEPSN_NS1_7vsmem_tEENKUlT_SL_SM_SN_E_clIS8_S8_S9_S9_EESK_S10_SL_SM_SN_EUlS10_E0_NS1_11comp_targetILNS1_3genE2ELNS1_11target_archE906ELNS1_3gpuE6ELNS1_3repE0EEENS1_38merge_mergepath_config_static_selectorELNS0_4arch9wavefront6targetE0EEEvSM_.kd
    .uniform_work_group_size: 1
    .uses_dynamic_stack: false
    .vgpr_count:     0
    .vgpr_spill_count: 0
    .wavefront_size: 32
    .workgroup_processor_mode: 1
  - .args:
      - .offset:         0
        .size:           88
        .value_kind:     by_value
      - .offset:         88
        .size:           4
        .value_kind:     hidden_block_count_x
      - .offset:         92
        .size:           4
        .value_kind:     hidden_block_count_y
      - .offset:         96
        .size:           4
        .value_kind:     hidden_block_count_z
      - .offset:         100
        .size:           2
        .value_kind:     hidden_group_size_x
      - .offset:         102
        .size:           2
        .value_kind:     hidden_group_size_y
      - .offset:         104
        .size:           2
        .value_kind:     hidden_group_size_z
      - .offset:         106
        .size:           2
        .value_kind:     hidden_remainder_x
      - .offset:         108
        .size:           2
        .value_kind:     hidden_remainder_y
      - .offset:         110
        .size:           2
        .value_kind:     hidden_remainder_z
      - .offset:         128
        .size:           8
        .value_kind:     hidden_global_offset_x
      - .offset:         136
        .size:           8
        .value_kind:     hidden_global_offset_y
      - .offset:         144
        .size:           8
        .value_kind:     hidden_global_offset_z
      - .offset:         152
        .size:           2
        .value_kind:     hidden_grid_dims
    .group_segment_fixed_size: 8448
    .kernarg_segment_align: 8
    .kernarg_segment_size: 344
    .language:       OpenCL C
    .language_version:
      - 2
      - 0
    .max_flat_workgroup_size: 512
    .name:           _ZN7rocprim17ROCPRIM_400000_NS6detail17trampoline_kernelINS0_14default_configENS1_38merge_sort_block_merge_config_selectorIlNS0_10empty_typeEEEZZNS1_27merge_sort_block_merge_implIS3_PlPS5_mZN2at6native12_GLOBAL__N_124unique_dim_cuda_templateImEESt5tupleIJNSA_6TensorESF_SF_EERKSF_lbbbEUlllE_EE10hipError_tT0_T1_T2_jT3_P12ihipStream_tbPNSt15iterator_traitsISL_E10value_typeEPNSR_ISM_E10value_typeEPSN_NS1_7vsmem_tEENKUlT_SL_SM_SN_E_clIS8_S8_S9_S9_EESK_S10_SL_SM_SN_EUlS10_E0_NS1_11comp_targetILNS1_3genE9ELNS1_11target_archE1100ELNS1_3gpuE3ELNS1_3repE0EEENS1_38merge_mergepath_config_static_selectorELNS0_4arch9wavefront6targetE0EEEvSM_
    .private_segment_fixed_size: 0
    .sgpr_count:     34
    .sgpr_spill_count: 0
    .symbol:         _ZN7rocprim17ROCPRIM_400000_NS6detail17trampoline_kernelINS0_14default_configENS1_38merge_sort_block_merge_config_selectorIlNS0_10empty_typeEEEZZNS1_27merge_sort_block_merge_implIS3_PlPS5_mZN2at6native12_GLOBAL__N_124unique_dim_cuda_templateImEESt5tupleIJNSA_6TensorESF_SF_EERKSF_lbbbEUlllE_EE10hipError_tT0_T1_T2_jT3_P12ihipStream_tbPNSt15iterator_traitsISL_E10value_typeEPNSR_ISM_E10value_typeEPSN_NS1_7vsmem_tEENKUlT_SL_SM_SN_E_clIS8_S8_S9_S9_EESK_S10_SL_SM_SN_EUlS10_E0_NS1_11comp_targetILNS1_3genE9ELNS1_11target_archE1100ELNS1_3gpuE3ELNS1_3repE0EEENS1_38merge_mergepath_config_static_selectorELNS0_4arch9wavefront6targetE0EEEvSM_.kd
    .uniform_work_group_size: 1
    .uses_dynamic_stack: false
    .vgpr_count:     21
    .vgpr_spill_count: 0
    .wavefront_size: 32
    .workgroup_processor_mode: 1
  - .args:
      - .offset:         0
        .size:           88
        .value_kind:     by_value
    .group_segment_fixed_size: 0
    .kernarg_segment_align: 8
    .kernarg_segment_size: 88
    .language:       OpenCL C
    .language_version:
      - 2
      - 0
    .max_flat_workgroup_size: 1024
    .name:           _ZN7rocprim17ROCPRIM_400000_NS6detail17trampoline_kernelINS0_14default_configENS1_38merge_sort_block_merge_config_selectorIlNS0_10empty_typeEEEZZNS1_27merge_sort_block_merge_implIS3_PlPS5_mZN2at6native12_GLOBAL__N_124unique_dim_cuda_templateImEESt5tupleIJNSA_6TensorESF_SF_EERKSF_lbbbEUlllE_EE10hipError_tT0_T1_T2_jT3_P12ihipStream_tbPNSt15iterator_traitsISL_E10value_typeEPNSR_ISM_E10value_typeEPSN_NS1_7vsmem_tEENKUlT_SL_SM_SN_E_clIS8_S8_S9_S9_EESK_S10_SL_SM_SN_EUlS10_E0_NS1_11comp_targetILNS1_3genE8ELNS1_11target_archE1030ELNS1_3gpuE2ELNS1_3repE0EEENS1_38merge_mergepath_config_static_selectorELNS0_4arch9wavefront6targetE0EEEvSM_
    .private_segment_fixed_size: 0
    .sgpr_count:     0
    .sgpr_spill_count: 0
    .symbol:         _ZN7rocprim17ROCPRIM_400000_NS6detail17trampoline_kernelINS0_14default_configENS1_38merge_sort_block_merge_config_selectorIlNS0_10empty_typeEEEZZNS1_27merge_sort_block_merge_implIS3_PlPS5_mZN2at6native12_GLOBAL__N_124unique_dim_cuda_templateImEESt5tupleIJNSA_6TensorESF_SF_EERKSF_lbbbEUlllE_EE10hipError_tT0_T1_T2_jT3_P12ihipStream_tbPNSt15iterator_traitsISL_E10value_typeEPNSR_ISM_E10value_typeEPSN_NS1_7vsmem_tEENKUlT_SL_SM_SN_E_clIS8_S8_S9_S9_EESK_S10_SL_SM_SN_EUlS10_E0_NS1_11comp_targetILNS1_3genE8ELNS1_11target_archE1030ELNS1_3gpuE2ELNS1_3repE0EEENS1_38merge_mergepath_config_static_selectorELNS0_4arch9wavefront6targetE0EEEvSM_.kd
    .uniform_work_group_size: 1
    .uses_dynamic_stack: false
    .vgpr_count:     0
    .vgpr_spill_count: 0
    .wavefront_size: 32
    .workgroup_processor_mode: 1
  - .args:
      - .offset:         0
        .size:           64
        .value_kind:     by_value
    .group_segment_fixed_size: 0
    .kernarg_segment_align: 8
    .kernarg_segment_size: 64
    .language:       OpenCL C
    .language_version:
      - 2
      - 0
    .max_flat_workgroup_size: 256
    .name:           _ZN7rocprim17ROCPRIM_400000_NS6detail17trampoline_kernelINS0_14default_configENS1_38merge_sort_block_merge_config_selectorIlNS0_10empty_typeEEEZZNS1_27merge_sort_block_merge_implIS3_PlPS5_mZN2at6native12_GLOBAL__N_124unique_dim_cuda_templateImEESt5tupleIJNSA_6TensorESF_SF_EERKSF_lbbbEUlllE_EE10hipError_tT0_T1_T2_jT3_P12ihipStream_tbPNSt15iterator_traitsISL_E10value_typeEPNSR_ISM_E10value_typeEPSN_NS1_7vsmem_tEENKUlT_SL_SM_SN_E_clIS8_S8_S9_S9_EESK_S10_SL_SM_SN_EUlS10_E1_NS1_11comp_targetILNS1_3genE0ELNS1_11target_archE4294967295ELNS1_3gpuE0ELNS1_3repE0EEENS1_36merge_oddeven_config_static_selectorELNS0_4arch9wavefront6targetE0EEEvSM_
    .private_segment_fixed_size: 0
    .sgpr_count:     0
    .sgpr_spill_count: 0
    .symbol:         _ZN7rocprim17ROCPRIM_400000_NS6detail17trampoline_kernelINS0_14default_configENS1_38merge_sort_block_merge_config_selectorIlNS0_10empty_typeEEEZZNS1_27merge_sort_block_merge_implIS3_PlPS5_mZN2at6native12_GLOBAL__N_124unique_dim_cuda_templateImEESt5tupleIJNSA_6TensorESF_SF_EERKSF_lbbbEUlllE_EE10hipError_tT0_T1_T2_jT3_P12ihipStream_tbPNSt15iterator_traitsISL_E10value_typeEPNSR_ISM_E10value_typeEPSN_NS1_7vsmem_tEENKUlT_SL_SM_SN_E_clIS8_S8_S9_S9_EESK_S10_SL_SM_SN_EUlS10_E1_NS1_11comp_targetILNS1_3genE0ELNS1_11target_archE4294967295ELNS1_3gpuE0ELNS1_3repE0EEENS1_36merge_oddeven_config_static_selectorELNS0_4arch9wavefront6targetE0EEEvSM_.kd
    .uniform_work_group_size: 1
    .uses_dynamic_stack: false
    .vgpr_count:     0
    .vgpr_spill_count: 0
    .wavefront_size: 32
    .workgroup_processor_mode: 1
  - .args:
      - .offset:         0
        .size:           64
        .value_kind:     by_value
    .group_segment_fixed_size: 0
    .kernarg_segment_align: 8
    .kernarg_segment_size: 64
    .language:       OpenCL C
    .language_version:
      - 2
      - 0
    .max_flat_workgroup_size: 256
    .name:           _ZN7rocprim17ROCPRIM_400000_NS6detail17trampoline_kernelINS0_14default_configENS1_38merge_sort_block_merge_config_selectorIlNS0_10empty_typeEEEZZNS1_27merge_sort_block_merge_implIS3_PlPS5_mZN2at6native12_GLOBAL__N_124unique_dim_cuda_templateImEESt5tupleIJNSA_6TensorESF_SF_EERKSF_lbbbEUlllE_EE10hipError_tT0_T1_T2_jT3_P12ihipStream_tbPNSt15iterator_traitsISL_E10value_typeEPNSR_ISM_E10value_typeEPSN_NS1_7vsmem_tEENKUlT_SL_SM_SN_E_clIS8_S8_S9_S9_EESK_S10_SL_SM_SN_EUlS10_E1_NS1_11comp_targetILNS1_3genE10ELNS1_11target_archE1201ELNS1_3gpuE5ELNS1_3repE0EEENS1_36merge_oddeven_config_static_selectorELNS0_4arch9wavefront6targetE0EEEvSM_
    .private_segment_fixed_size: 0
    .sgpr_count:     0
    .sgpr_spill_count: 0
    .symbol:         _ZN7rocprim17ROCPRIM_400000_NS6detail17trampoline_kernelINS0_14default_configENS1_38merge_sort_block_merge_config_selectorIlNS0_10empty_typeEEEZZNS1_27merge_sort_block_merge_implIS3_PlPS5_mZN2at6native12_GLOBAL__N_124unique_dim_cuda_templateImEESt5tupleIJNSA_6TensorESF_SF_EERKSF_lbbbEUlllE_EE10hipError_tT0_T1_T2_jT3_P12ihipStream_tbPNSt15iterator_traitsISL_E10value_typeEPNSR_ISM_E10value_typeEPSN_NS1_7vsmem_tEENKUlT_SL_SM_SN_E_clIS8_S8_S9_S9_EESK_S10_SL_SM_SN_EUlS10_E1_NS1_11comp_targetILNS1_3genE10ELNS1_11target_archE1201ELNS1_3gpuE5ELNS1_3repE0EEENS1_36merge_oddeven_config_static_selectorELNS0_4arch9wavefront6targetE0EEEvSM_.kd
    .uniform_work_group_size: 1
    .uses_dynamic_stack: false
    .vgpr_count:     0
    .vgpr_spill_count: 0
    .wavefront_size: 32
    .workgroup_processor_mode: 1
  - .args:
      - .offset:         0
        .size:           64
        .value_kind:     by_value
    .group_segment_fixed_size: 0
    .kernarg_segment_align: 8
    .kernarg_segment_size: 64
    .language:       OpenCL C
    .language_version:
      - 2
      - 0
    .max_flat_workgroup_size: 256
    .name:           _ZN7rocprim17ROCPRIM_400000_NS6detail17trampoline_kernelINS0_14default_configENS1_38merge_sort_block_merge_config_selectorIlNS0_10empty_typeEEEZZNS1_27merge_sort_block_merge_implIS3_PlPS5_mZN2at6native12_GLOBAL__N_124unique_dim_cuda_templateImEESt5tupleIJNSA_6TensorESF_SF_EERKSF_lbbbEUlllE_EE10hipError_tT0_T1_T2_jT3_P12ihipStream_tbPNSt15iterator_traitsISL_E10value_typeEPNSR_ISM_E10value_typeEPSN_NS1_7vsmem_tEENKUlT_SL_SM_SN_E_clIS8_S8_S9_S9_EESK_S10_SL_SM_SN_EUlS10_E1_NS1_11comp_targetILNS1_3genE5ELNS1_11target_archE942ELNS1_3gpuE9ELNS1_3repE0EEENS1_36merge_oddeven_config_static_selectorELNS0_4arch9wavefront6targetE0EEEvSM_
    .private_segment_fixed_size: 0
    .sgpr_count:     0
    .sgpr_spill_count: 0
    .symbol:         _ZN7rocprim17ROCPRIM_400000_NS6detail17trampoline_kernelINS0_14default_configENS1_38merge_sort_block_merge_config_selectorIlNS0_10empty_typeEEEZZNS1_27merge_sort_block_merge_implIS3_PlPS5_mZN2at6native12_GLOBAL__N_124unique_dim_cuda_templateImEESt5tupleIJNSA_6TensorESF_SF_EERKSF_lbbbEUlllE_EE10hipError_tT0_T1_T2_jT3_P12ihipStream_tbPNSt15iterator_traitsISL_E10value_typeEPNSR_ISM_E10value_typeEPSN_NS1_7vsmem_tEENKUlT_SL_SM_SN_E_clIS8_S8_S9_S9_EESK_S10_SL_SM_SN_EUlS10_E1_NS1_11comp_targetILNS1_3genE5ELNS1_11target_archE942ELNS1_3gpuE9ELNS1_3repE0EEENS1_36merge_oddeven_config_static_selectorELNS0_4arch9wavefront6targetE0EEEvSM_.kd
    .uniform_work_group_size: 1
    .uses_dynamic_stack: false
    .vgpr_count:     0
    .vgpr_spill_count: 0
    .wavefront_size: 32
    .workgroup_processor_mode: 1
  - .args:
      - .offset:         0
        .size:           64
        .value_kind:     by_value
    .group_segment_fixed_size: 0
    .kernarg_segment_align: 8
    .kernarg_segment_size: 64
    .language:       OpenCL C
    .language_version:
      - 2
      - 0
    .max_flat_workgroup_size: 256
    .name:           _ZN7rocprim17ROCPRIM_400000_NS6detail17trampoline_kernelINS0_14default_configENS1_38merge_sort_block_merge_config_selectorIlNS0_10empty_typeEEEZZNS1_27merge_sort_block_merge_implIS3_PlPS5_mZN2at6native12_GLOBAL__N_124unique_dim_cuda_templateImEESt5tupleIJNSA_6TensorESF_SF_EERKSF_lbbbEUlllE_EE10hipError_tT0_T1_T2_jT3_P12ihipStream_tbPNSt15iterator_traitsISL_E10value_typeEPNSR_ISM_E10value_typeEPSN_NS1_7vsmem_tEENKUlT_SL_SM_SN_E_clIS8_S8_S9_S9_EESK_S10_SL_SM_SN_EUlS10_E1_NS1_11comp_targetILNS1_3genE4ELNS1_11target_archE910ELNS1_3gpuE8ELNS1_3repE0EEENS1_36merge_oddeven_config_static_selectorELNS0_4arch9wavefront6targetE0EEEvSM_
    .private_segment_fixed_size: 0
    .sgpr_count:     0
    .sgpr_spill_count: 0
    .symbol:         _ZN7rocprim17ROCPRIM_400000_NS6detail17trampoline_kernelINS0_14default_configENS1_38merge_sort_block_merge_config_selectorIlNS0_10empty_typeEEEZZNS1_27merge_sort_block_merge_implIS3_PlPS5_mZN2at6native12_GLOBAL__N_124unique_dim_cuda_templateImEESt5tupleIJNSA_6TensorESF_SF_EERKSF_lbbbEUlllE_EE10hipError_tT0_T1_T2_jT3_P12ihipStream_tbPNSt15iterator_traitsISL_E10value_typeEPNSR_ISM_E10value_typeEPSN_NS1_7vsmem_tEENKUlT_SL_SM_SN_E_clIS8_S8_S9_S9_EESK_S10_SL_SM_SN_EUlS10_E1_NS1_11comp_targetILNS1_3genE4ELNS1_11target_archE910ELNS1_3gpuE8ELNS1_3repE0EEENS1_36merge_oddeven_config_static_selectorELNS0_4arch9wavefront6targetE0EEEvSM_.kd
    .uniform_work_group_size: 1
    .uses_dynamic_stack: false
    .vgpr_count:     0
    .vgpr_spill_count: 0
    .wavefront_size: 32
    .workgroup_processor_mode: 1
  - .args:
      - .offset:         0
        .size:           64
        .value_kind:     by_value
    .group_segment_fixed_size: 0
    .kernarg_segment_align: 8
    .kernarg_segment_size: 64
    .language:       OpenCL C
    .language_version:
      - 2
      - 0
    .max_flat_workgroup_size: 256
    .name:           _ZN7rocprim17ROCPRIM_400000_NS6detail17trampoline_kernelINS0_14default_configENS1_38merge_sort_block_merge_config_selectorIlNS0_10empty_typeEEEZZNS1_27merge_sort_block_merge_implIS3_PlPS5_mZN2at6native12_GLOBAL__N_124unique_dim_cuda_templateImEESt5tupleIJNSA_6TensorESF_SF_EERKSF_lbbbEUlllE_EE10hipError_tT0_T1_T2_jT3_P12ihipStream_tbPNSt15iterator_traitsISL_E10value_typeEPNSR_ISM_E10value_typeEPSN_NS1_7vsmem_tEENKUlT_SL_SM_SN_E_clIS8_S8_S9_S9_EESK_S10_SL_SM_SN_EUlS10_E1_NS1_11comp_targetILNS1_3genE3ELNS1_11target_archE908ELNS1_3gpuE7ELNS1_3repE0EEENS1_36merge_oddeven_config_static_selectorELNS0_4arch9wavefront6targetE0EEEvSM_
    .private_segment_fixed_size: 0
    .sgpr_count:     0
    .sgpr_spill_count: 0
    .symbol:         _ZN7rocprim17ROCPRIM_400000_NS6detail17trampoline_kernelINS0_14default_configENS1_38merge_sort_block_merge_config_selectorIlNS0_10empty_typeEEEZZNS1_27merge_sort_block_merge_implIS3_PlPS5_mZN2at6native12_GLOBAL__N_124unique_dim_cuda_templateImEESt5tupleIJNSA_6TensorESF_SF_EERKSF_lbbbEUlllE_EE10hipError_tT0_T1_T2_jT3_P12ihipStream_tbPNSt15iterator_traitsISL_E10value_typeEPNSR_ISM_E10value_typeEPSN_NS1_7vsmem_tEENKUlT_SL_SM_SN_E_clIS8_S8_S9_S9_EESK_S10_SL_SM_SN_EUlS10_E1_NS1_11comp_targetILNS1_3genE3ELNS1_11target_archE908ELNS1_3gpuE7ELNS1_3repE0EEENS1_36merge_oddeven_config_static_selectorELNS0_4arch9wavefront6targetE0EEEvSM_.kd
    .uniform_work_group_size: 1
    .uses_dynamic_stack: false
    .vgpr_count:     0
    .vgpr_spill_count: 0
    .wavefront_size: 32
    .workgroup_processor_mode: 1
  - .args:
      - .offset:         0
        .size:           64
        .value_kind:     by_value
    .group_segment_fixed_size: 0
    .kernarg_segment_align: 8
    .kernarg_segment_size: 64
    .language:       OpenCL C
    .language_version:
      - 2
      - 0
    .max_flat_workgroup_size: 256
    .name:           _ZN7rocprim17ROCPRIM_400000_NS6detail17trampoline_kernelINS0_14default_configENS1_38merge_sort_block_merge_config_selectorIlNS0_10empty_typeEEEZZNS1_27merge_sort_block_merge_implIS3_PlPS5_mZN2at6native12_GLOBAL__N_124unique_dim_cuda_templateImEESt5tupleIJNSA_6TensorESF_SF_EERKSF_lbbbEUlllE_EE10hipError_tT0_T1_T2_jT3_P12ihipStream_tbPNSt15iterator_traitsISL_E10value_typeEPNSR_ISM_E10value_typeEPSN_NS1_7vsmem_tEENKUlT_SL_SM_SN_E_clIS8_S8_S9_S9_EESK_S10_SL_SM_SN_EUlS10_E1_NS1_11comp_targetILNS1_3genE2ELNS1_11target_archE906ELNS1_3gpuE6ELNS1_3repE0EEENS1_36merge_oddeven_config_static_selectorELNS0_4arch9wavefront6targetE0EEEvSM_
    .private_segment_fixed_size: 0
    .sgpr_count:     0
    .sgpr_spill_count: 0
    .symbol:         _ZN7rocprim17ROCPRIM_400000_NS6detail17trampoline_kernelINS0_14default_configENS1_38merge_sort_block_merge_config_selectorIlNS0_10empty_typeEEEZZNS1_27merge_sort_block_merge_implIS3_PlPS5_mZN2at6native12_GLOBAL__N_124unique_dim_cuda_templateImEESt5tupleIJNSA_6TensorESF_SF_EERKSF_lbbbEUlllE_EE10hipError_tT0_T1_T2_jT3_P12ihipStream_tbPNSt15iterator_traitsISL_E10value_typeEPNSR_ISM_E10value_typeEPSN_NS1_7vsmem_tEENKUlT_SL_SM_SN_E_clIS8_S8_S9_S9_EESK_S10_SL_SM_SN_EUlS10_E1_NS1_11comp_targetILNS1_3genE2ELNS1_11target_archE906ELNS1_3gpuE6ELNS1_3repE0EEENS1_36merge_oddeven_config_static_selectorELNS0_4arch9wavefront6targetE0EEEvSM_.kd
    .uniform_work_group_size: 1
    .uses_dynamic_stack: false
    .vgpr_count:     0
    .vgpr_spill_count: 0
    .wavefront_size: 32
    .workgroup_processor_mode: 1
  - .args:
      - .offset:         0
        .size:           64
        .value_kind:     by_value
    .group_segment_fixed_size: 0
    .kernarg_segment_align: 8
    .kernarg_segment_size: 64
    .language:       OpenCL C
    .language_version:
      - 2
      - 0
    .max_flat_workgroup_size: 256
    .name:           _ZN7rocprim17ROCPRIM_400000_NS6detail17trampoline_kernelINS0_14default_configENS1_38merge_sort_block_merge_config_selectorIlNS0_10empty_typeEEEZZNS1_27merge_sort_block_merge_implIS3_PlPS5_mZN2at6native12_GLOBAL__N_124unique_dim_cuda_templateImEESt5tupleIJNSA_6TensorESF_SF_EERKSF_lbbbEUlllE_EE10hipError_tT0_T1_T2_jT3_P12ihipStream_tbPNSt15iterator_traitsISL_E10value_typeEPNSR_ISM_E10value_typeEPSN_NS1_7vsmem_tEENKUlT_SL_SM_SN_E_clIS8_S8_S9_S9_EESK_S10_SL_SM_SN_EUlS10_E1_NS1_11comp_targetILNS1_3genE9ELNS1_11target_archE1100ELNS1_3gpuE3ELNS1_3repE0EEENS1_36merge_oddeven_config_static_selectorELNS0_4arch9wavefront6targetE0EEEvSM_
    .private_segment_fixed_size: 0
    .sgpr_count:     30
    .sgpr_spill_count: 0
    .symbol:         _ZN7rocprim17ROCPRIM_400000_NS6detail17trampoline_kernelINS0_14default_configENS1_38merge_sort_block_merge_config_selectorIlNS0_10empty_typeEEEZZNS1_27merge_sort_block_merge_implIS3_PlPS5_mZN2at6native12_GLOBAL__N_124unique_dim_cuda_templateImEESt5tupleIJNSA_6TensorESF_SF_EERKSF_lbbbEUlllE_EE10hipError_tT0_T1_T2_jT3_P12ihipStream_tbPNSt15iterator_traitsISL_E10value_typeEPNSR_ISM_E10value_typeEPSN_NS1_7vsmem_tEENKUlT_SL_SM_SN_E_clIS8_S8_S9_S9_EESK_S10_SL_SM_SN_EUlS10_E1_NS1_11comp_targetILNS1_3genE9ELNS1_11target_archE1100ELNS1_3gpuE3ELNS1_3repE0EEENS1_36merge_oddeven_config_static_selectorELNS0_4arch9wavefront6targetE0EEEvSM_.kd
    .uniform_work_group_size: 1
    .uses_dynamic_stack: false
    .vgpr_count:     20
    .vgpr_spill_count: 0
    .wavefront_size: 32
    .workgroup_processor_mode: 1
  - .args:
      - .offset:         0
        .size:           64
        .value_kind:     by_value
    .group_segment_fixed_size: 0
    .kernarg_segment_align: 8
    .kernarg_segment_size: 64
    .language:       OpenCL C
    .language_version:
      - 2
      - 0
    .max_flat_workgroup_size: 256
    .name:           _ZN7rocprim17ROCPRIM_400000_NS6detail17trampoline_kernelINS0_14default_configENS1_38merge_sort_block_merge_config_selectorIlNS0_10empty_typeEEEZZNS1_27merge_sort_block_merge_implIS3_PlPS5_mZN2at6native12_GLOBAL__N_124unique_dim_cuda_templateImEESt5tupleIJNSA_6TensorESF_SF_EERKSF_lbbbEUlllE_EE10hipError_tT0_T1_T2_jT3_P12ihipStream_tbPNSt15iterator_traitsISL_E10value_typeEPNSR_ISM_E10value_typeEPSN_NS1_7vsmem_tEENKUlT_SL_SM_SN_E_clIS8_S8_S9_S9_EESK_S10_SL_SM_SN_EUlS10_E1_NS1_11comp_targetILNS1_3genE8ELNS1_11target_archE1030ELNS1_3gpuE2ELNS1_3repE0EEENS1_36merge_oddeven_config_static_selectorELNS0_4arch9wavefront6targetE0EEEvSM_
    .private_segment_fixed_size: 0
    .sgpr_count:     0
    .sgpr_spill_count: 0
    .symbol:         _ZN7rocprim17ROCPRIM_400000_NS6detail17trampoline_kernelINS0_14default_configENS1_38merge_sort_block_merge_config_selectorIlNS0_10empty_typeEEEZZNS1_27merge_sort_block_merge_implIS3_PlPS5_mZN2at6native12_GLOBAL__N_124unique_dim_cuda_templateImEESt5tupleIJNSA_6TensorESF_SF_EERKSF_lbbbEUlllE_EE10hipError_tT0_T1_T2_jT3_P12ihipStream_tbPNSt15iterator_traitsISL_E10value_typeEPNSR_ISM_E10value_typeEPSN_NS1_7vsmem_tEENKUlT_SL_SM_SN_E_clIS8_S8_S9_S9_EESK_S10_SL_SM_SN_EUlS10_E1_NS1_11comp_targetILNS1_3genE8ELNS1_11target_archE1030ELNS1_3gpuE2ELNS1_3repE0EEENS1_36merge_oddeven_config_static_selectorELNS0_4arch9wavefront6targetE0EEEvSM_.kd
    .uniform_work_group_size: 1
    .uses_dynamic_stack: false
    .vgpr_count:     0
    .vgpr_spill_count: 0
    .wavefront_size: 32
    .workgroup_processor_mode: 1
  - .args:
      - .offset:         0
        .size:           64
        .value_kind:     by_value
    .group_segment_fixed_size: 0
    .kernarg_segment_align: 8
    .kernarg_segment_size: 64
    .language:       OpenCL C
    .language_version:
      - 2
      - 0
    .max_flat_workgroup_size: 128
    .name:           _ZN7rocprim17ROCPRIM_400000_NS6detail17trampoline_kernelINS0_14default_configENS1_35adjacent_difference_config_selectorILb0ElEEZNS1_24adjacent_difference_implIS3_Lb0ELb0EPlS7_ZN2at6native12_GLOBAL__N_124unique_dim_cuda_templateImEESt5tupleIJNS8_6TensorESD_SD_EERKSD_lbbbEUlllE1_EE10hipError_tPvRmT2_T3_mT4_P12ihipStream_tbEUlT_E_NS1_11comp_targetILNS1_3genE0ELNS1_11target_archE4294967295ELNS1_3gpuE0ELNS1_3repE0EEENS1_30default_config_static_selectorELNS0_4arch9wavefront6targetE0EEEvT1_
    .private_segment_fixed_size: 0
    .sgpr_count:     0
    .sgpr_spill_count: 0
    .symbol:         _ZN7rocprim17ROCPRIM_400000_NS6detail17trampoline_kernelINS0_14default_configENS1_35adjacent_difference_config_selectorILb0ElEEZNS1_24adjacent_difference_implIS3_Lb0ELb0EPlS7_ZN2at6native12_GLOBAL__N_124unique_dim_cuda_templateImEESt5tupleIJNS8_6TensorESD_SD_EERKSD_lbbbEUlllE1_EE10hipError_tPvRmT2_T3_mT4_P12ihipStream_tbEUlT_E_NS1_11comp_targetILNS1_3genE0ELNS1_11target_archE4294967295ELNS1_3gpuE0ELNS1_3repE0EEENS1_30default_config_static_selectorELNS0_4arch9wavefront6targetE0EEEvT1_.kd
    .uniform_work_group_size: 1
    .uses_dynamic_stack: false
    .vgpr_count:     0
    .vgpr_spill_count: 0
    .wavefront_size: 32
    .workgroup_processor_mode: 1
  - .args:
      - .offset:         0
        .size:           64
        .value_kind:     by_value
    .group_segment_fixed_size: 0
    .kernarg_segment_align: 8
    .kernarg_segment_size: 64
    .language:       OpenCL C
    .language_version:
      - 2
      - 0
    .max_flat_workgroup_size: 128
    .name:           _ZN7rocprim17ROCPRIM_400000_NS6detail17trampoline_kernelINS0_14default_configENS1_35adjacent_difference_config_selectorILb0ElEEZNS1_24adjacent_difference_implIS3_Lb0ELb0EPlS7_ZN2at6native12_GLOBAL__N_124unique_dim_cuda_templateImEESt5tupleIJNS8_6TensorESD_SD_EERKSD_lbbbEUlllE1_EE10hipError_tPvRmT2_T3_mT4_P12ihipStream_tbEUlT_E_NS1_11comp_targetILNS1_3genE10ELNS1_11target_archE1201ELNS1_3gpuE5ELNS1_3repE0EEENS1_30default_config_static_selectorELNS0_4arch9wavefront6targetE0EEEvT1_
    .private_segment_fixed_size: 0
    .sgpr_count:     0
    .sgpr_spill_count: 0
    .symbol:         _ZN7rocprim17ROCPRIM_400000_NS6detail17trampoline_kernelINS0_14default_configENS1_35adjacent_difference_config_selectorILb0ElEEZNS1_24adjacent_difference_implIS3_Lb0ELb0EPlS7_ZN2at6native12_GLOBAL__N_124unique_dim_cuda_templateImEESt5tupleIJNS8_6TensorESD_SD_EERKSD_lbbbEUlllE1_EE10hipError_tPvRmT2_T3_mT4_P12ihipStream_tbEUlT_E_NS1_11comp_targetILNS1_3genE10ELNS1_11target_archE1201ELNS1_3gpuE5ELNS1_3repE0EEENS1_30default_config_static_selectorELNS0_4arch9wavefront6targetE0EEEvT1_.kd
    .uniform_work_group_size: 1
    .uses_dynamic_stack: false
    .vgpr_count:     0
    .vgpr_spill_count: 0
    .wavefront_size: 32
    .workgroup_processor_mode: 1
  - .args:
      - .offset:         0
        .size:           64
        .value_kind:     by_value
    .group_segment_fixed_size: 0
    .kernarg_segment_align: 8
    .kernarg_segment_size: 64
    .language:       OpenCL C
    .language_version:
      - 2
      - 0
    .max_flat_workgroup_size: 64
    .name:           _ZN7rocprim17ROCPRIM_400000_NS6detail17trampoline_kernelINS0_14default_configENS1_35adjacent_difference_config_selectorILb0ElEEZNS1_24adjacent_difference_implIS3_Lb0ELb0EPlS7_ZN2at6native12_GLOBAL__N_124unique_dim_cuda_templateImEESt5tupleIJNS8_6TensorESD_SD_EERKSD_lbbbEUlllE1_EE10hipError_tPvRmT2_T3_mT4_P12ihipStream_tbEUlT_E_NS1_11comp_targetILNS1_3genE5ELNS1_11target_archE942ELNS1_3gpuE9ELNS1_3repE0EEENS1_30default_config_static_selectorELNS0_4arch9wavefront6targetE0EEEvT1_
    .private_segment_fixed_size: 0
    .sgpr_count:     0
    .sgpr_spill_count: 0
    .symbol:         _ZN7rocprim17ROCPRIM_400000_NS6detail17trampoline_kernelINS0_14default_configENS1_35adjacent_difference_config_selectorILb0ElEEZNS1_24adjacent_difference_implIS3_Lb0ELb0EPlS7_ZN2at6native12_GLOBAL__N_124unique_dim_cuda_templateImEESt5tupleIJNS8_6TensorESD_SD_EERKSD_lbbbEUlllE1_EE10hipError_tPvRmT2_T3_mT4_P12ihipStream_tbEUlT_E_NS1_11comp_targetILNS1_3genE5ELNS1_11target_archE942ELNS1_3gpuE9ELNS1_3repE0EEENS1_30default_config_static_selectorELNS0_4arch9wavefront6targetE0EEEvT1_.kd
    .uniform_work_group_size: 1
    .uses_dynamic_stack: false
    .vgpr_count:     0
    .vgpr_spill_count: 0
    .wavefront_size: 32
    .workgroup_processor_mode: 1
  - .args:
      - .offset:         0
        .size:           64
        .value_kind:     by_value
    .group_segment_fixed_size: 0
    .kernarg_segment_align: 8
    .kernarg_segment_size: 64
    .language:       OpenCL C
    .language_version:
      - 2
      - 0
    .max_flat_workgroup_size: 256
    .name:           _ZN7rocprim17ROCPRIM_400000_NS6detail17trampoline_kernelINS0_14default_configENS1_35adjacent_difference_config_selectorILb0ElEEZNS1_24adjacent_difference_implIS3_Lb0ELb0EPlS7_ZN2at6native12_GLOBAL__N_124unique_dim_cuda_templateImEESt5tupleIJNS8_6TensorESD_SD_EERKSD_lbbbEUlllE1_EE10hipError_tPvRmT2_T3_mT4_P12ihipStream_tbEUlT_E_NS1_11comp_targetILNS1_3genE4ELNS1_11target_archE910ELNS1_3gpuE8ELNS1_3repE0EEENS1_30default_config_static_selectorELNS0_4arch9wavefront6targetE0EEEvT1_
    .private_segment_fixed_size: 0
    .sgpr_count:     0
    .sgpr_spill_count: 0
    .symbol:         _ZN7rocprim17ROCPRIM_400000_NS6detail17trampoline_kernelINS0_14default_configENS1_35adjacent_difference_config_selectorILb0ElEEZNS1_24adjacent_difference_implIS3_Lb0ELb0EPlS7_ZN2at6native12_GLOBAL__N_124unique_dim_cuda_templateImEESt5tupleIJNS8_6TensorESD_SD_EERKSD_lbbbEUlllE1_EE10hipError_tPvRmT2_T3_mT4_P12ihipStream_tbEUlT_E_NS1_11comp_targetILNS1_3genE4ELNS1_11target_archE910ELNS1_3gpuE8ELNS1_3repE0EEENS1_30default_config_static_selectorELNS0_4arch9wavefront6targetE0EEEvT1_.kd
    .uniform_work_group_size: 1
    .uses_dynamic_stack: false
    .vgpr_count:     0
    .vgpr_spill_count: 0
    .wavefront_size: 32
    .workgroup_processor_mode: 1
  - .args:
      - .offset:         0
        .size:           64
        .value_kind:     by_value
    .group_segment_fixed_size: 0
    .kernarg_segment_align: 8
    .kernarg_segment_size: 64
    .language:       OpenCL C
    .language_version:
      - 2
      - 0
    .max_flat_workgroup_size: 128
    .name:           _ZN7rocprim17ROCPRIM_400000_NS6detail17trampoline_kernelINS0_14default_configENS1_35adjacent_difference_config_selectorILb0ElEEZNS1_24adjacent_difference_implIS3_Lb0ELb0EPlS7_ZN2at6native12_GLOBAL__N_124unique_dim_cuda_templateImEESt5tupleIJNS8_6TensorESD_SD_EERKSD_lbbbEUlllE1_EE10hipError_tPvRmT2_T3_mT4_P12ihipStream_tbEUlT_E_NS1_11comp_targetILNS1_3genE3ELNS1_11target_archE908ELNS1_3gpuE7ELNS1_3repE0EEENS1_30default_config_static_selectorELNS0_4arch9wavefront6targetE0EEEvT1_
    .private_segment_fixed_size: 0
    .sgpr_count:     0
    .sgpr_spill_count: 0
    .symbol:         _ZN7rocprim17ROCPRIM_400000_NS6detail17trampoline_kernelINS0_14default_configENS1_35adjacent_difference_config_selectorILb0ElEEZNS1_24adjacent_difference_implIS3_Lb0ELb0EPlS7_ZN2at6native12_GLOBAL__N_124unique_dim_cuda_templateImEESt5tupleIJNS8_6TensorESD_SD_EERKSD_lbbbEUlllE1_EE10hipError_tPvRmT2_T3_mT4_P12ihipStream_tbEUlT_E_NS1_11comp_targetILNS1_3genE3ELNS1_11target_archE908ELNS1_3gpuE7ELNS1_3repE0EEENS1_30default_config_static_selectorELNS0_4arch9wavefront6targetE0EEEvT1_.kd
    .uniform_work_group_size: 1
    .uses_dynamic_stack: false
    .vgpr_count:     0
    .vgpr_spill_count: 0
    .wavefront_size: 32
    .workgroup_processor_mode: 1
  - .args:
      - .offset:         0
        .size:           64
        .value_kind:     by_value
    .group_segment_fixed_size: 0
    .kernarg_segment_align: 8
    .kernarg_segment_size: 64
    .language:       OpenCL C
    .language_version:
      - 2
      - 0
    .max_flat_workgroup_size: 128
    .name:           _ZN7rocprim17ROCPRIM_400000_NS6detail17trampoline_kernelINS0_14default_configENS1_35adjacent_difference_config_selectorILb0ElEEZNS1_24adjacent_difference_implIS3_Lb0ELb0EPlS7_ZN2at6native12_GLOBAL__N_124unique_dim_cuda_templateImEESt5tupleIJNS8_6TensorESD_SD_EERKSD_lbbbEUlllE1_EE10hipError_tPvRmT2_T3_mT4_P12ihipStream_tbEUlT_E_NS1_11comp_targetILNS1_3genE2ELNS1_11target_archE906ELNS1_3gpuE6ELNS1_3repE0EEENS1_30default_config_static_selectorELNS0_4arch9wavefront6targetE0EEEvT1_
    .private_segment_fixed_size: 0
    .sgpr_count:     0
    .sgpr_spill_count: 0
    .symbol:         _ZN7rocprim17ROCPRIM_400000_NS6detail17trampoline_kernelINS0_14default_configENS1_35adjacent_difference_config_selectorILb0ElEEZNS1_24adjacent_difference_implIS3_Lb0ELb0EPlS7_ZN2at6native12_GLOBAL__N_124unique_dim_cuda_templateImEESt5tupleIJNS8_6TensorESD_SD_EERKSD_lbbbEUlllE1_EE10hipError_tPvRmT2_T3_mT4_P12ihipStream_tbEUlT_E_NS1_11comp_targetILNS1_3genE2ELNS1_11target_archE906ELNS1_3gpuE6ELNS1_3repE0EEENS1_30default_config_static_selectorELNS0_4arch9wavefront6targetE0EEEvT1_.kd
    .uniform_work_group_size: 1
    .uses_dynamic_stack: false
    .vgpr_count:     0
    .vgpr_spill_count: 0
    .wavefront_size: 32
    .workgroup_processor_mode: 1
  - .args:
      - .offset:         0
        .size:           64
        .value_kind:     by_value
    .group_segment_fixed_size: 8192
    .kernarg_segment_align: 8
    .kernarg_segment_size: 64
    .language:       OpenCL C
    .language_version:
      - 2
      - 0
    .max_flat_workgroup_size: 512
    .name:           _ZN7rocprim17ROCPRIM_400000_NS6detail17trampoline_kernelINS0_14default_configENS1_35adjacent_difference_config_selectorILb0ElEEZNS1_24adjacent_difference_implIS3_Lb0ELb0EPlS7_ZN2at6native12_GLOBAL__N_124unique_dim_cuda_templateImEESt5tupleIJNS8_6TensorESD_SD_EERKSD_lbbbEUlllE1_EE10hipError_tPvRmT2_T3_mT4_P12ihipStream_tbEUlT_E_NS1_11comp_targetILNS1_3genE9ELNS1_11target_archE1100ELNS1_3gpuE3ELNS1_3repE0EEENS1_30default_config_static_selectorELNS0_4arch9wavefront6targetE0EEEvT1_
    .private_segment_fixed_size: 0
    .sgpr_count:     28
    .sgpr_spill_count: 0
    .symbol:         _ZN7rocprim17ROCPRIM_400000_NS6detail17trampoline_kernelINS0_14default_configENS1_35adjacent_difference_config_selectorILb0ElEEZNS1_24adjacent_difference_implIS3_Lb0ELb0EPlS7_ZN2at6native12_GLOBAL__N_124unique_dim_cuda_templateImEESt5tupleIJNS8_6TensorESD_SD_EERKSD_lbbbEUlllE1_EE10hipError_tPvRmT2_T3_mT4_P12ihipStream_tbEUlT_E_NS1_11comp_targetILNS1_3genE9ELNS1_11target_archE1100ELNS1_3gpuE3ELNS1_3repE0EEENS1_30default_config_static_selectorELNS0_4arch9wavefront6targetE0EEEvT1_.kd
    .uniform_work_group_size: 1
    .uses_dynamic_stack: false
    .vgpr_count:     13
    .vgpr_spill_count: 0
    .wavefront_size: 32
    .workgroup_processor_mode: 1
  - .args:
      - .offset:         0
        .size:           64
        .value_kind:     by_value
    .group_segment_fixed_size: 0
    .kernarg_segment_align: 8
    .kernarg_segment_size: 64
    .language:       OpenCL C
    .language_version:
      - 2
      - 0
    .max_flat_workgroup_size: 1024
    .name:           _ZN7rocprim17ROCPRIM_400000_NS6detail17trampoline_kernelINS0_14default_configENS1_35adjacent_difference_config_selectorILb0ElEEZNS1_24adjacent_difference_implIS3_Lb0ELb0EPlS7_ZN2at6native12_GLOBAL__N_124unique_dim_cuda_templateImEESt5tupleIJNS8_6TensorESD_SD_EERKSD_lbbbEUlllE1_EE10hipError_tPvRmT2_T3_mT4_P12ihipStream_tbEUlT_E_NS1_11comp_targetILNS1_3genE8ELNS1_11target_archE1030ELNS1_3gpuE2ELNS1_3repE0EEENS1_30default_config_static_selectorELNS0_4arch9wavefront6targetE0EEEvT1_
    .private_segment_fixed_size: 0
    .sgpr_count:     0
    .sgpr_spill_count: 0
    .symbol:         _ZN7rocprim17ROCPRIM_400000_NS6detail17trampoline_kernelINS0_14default_configENS1_35adjacent_difference_config_selectorILb0ElEEZNS1_24adjacent_difference_implIS3_Lb0ELb0EPlS7_ZN2at6native12_GLOBAL__N_124unique_dim_cuda_templateImEESt5tupleIJNS8_6TensorESD_SD_EERKSD_lbbbEUlllE1_EE10hipError_tPvRmT2_T3_mT4_P12ihipStream_tbEUlT_E_NS1_11comp_targetILNS1_3genE8ELNS1_11target_archE1030ELNS1_3gpuE2ELNS1_3repE0EEENS1_30default_config_static_selectorELNS0_4arch9wavefront6targetE0EEEvT1_.kd
    .uniform_work_group_size: 1
    .uses_dynamic_stack: false
    .vgpr_count:     0
    .vgpr_spill_count: 0
    .wavefront_size: 32
    .workgroup_processor_mode: 1
  - .args:
      - .offset:         0
        .size:           56
        .value_kind:     by_value
    .group_segment_fixed_size: 0
    .kernarg_segment_align: 8
    .kernarg_segment_size: 56
    .language:       OpenCL C
    .language_version:
      - 2
      - 0
    .max_flat_workgroup_size: 128
    .name:           _ZN7rocprim17ROCPRIM_400000_NS6detail17trampoline_kernelINS0_14default_configENS1_25transform_config_selectorIlLb0EEEZNS1_14transform_implILb0ES3_S5_NS0_18transform_iteratorINS0_17counting_iteratorImlEEZNS1_24adjacent_difference_implIS3_Lb1ELb0EPlSB_ZN2at6native12_GLOBAL__N_124unique_dim_cuda_templateImEESt5tupleIJNSC_6TensorESH_SH_EERKSH_lbbbEUlllE1_EE10hipError_tPvRmT2_T3_mT4_P12ihipStream_tbEUlmE_lEESB_NS0_8identityIvEEEESM_SP_SQ_mSR_ST_bEUlT_E_NS1_11comp_targetILNS1_3genE0ELNS1_11target_archE4294967295ELNS1_3gpuE0ELNS1_3repE0EEENS1_30default_config_static_selectorELNS0_4arch9wavefront6targetE0EEEvT1_
    .private_segment_fixed_size: 0
    .sgpr_count:     0
    .sgpr_spill_count: 0
    .symbol:         _ZN7rocprim17ROCPRIM_400000_NS6detail17trampoline_kernelINS0_14default_configENS1_25transform_config_selectorIlLb0EEEZNS1_14transform_implILb0ES3_S5_NS0_18transform_iteratorINS0_17counting_iteratorImlEEZNS1_24adjacent_difference_implIS3_Lb1ELb0EPlSB_ZN2at6native12_GLOBAL__N_124unique_dim_cuda_templateImEESt5tupleIJNSC_6TensorESH_SH_EERKSH_lbbbEUlllE1_EE10hipError_tPvRmT2_T3_mT4_P12ihipStream_tbEUlmE_lEESB_NS0_8identityIvEEEESM_SP_SQ_mSR_ST_bEUlT_E_NS1_11comp_targetILNS1_3genE0ELNS1_11target_archE4294967295ELNS1_3gpuE0ELNS1_3repE0EEENS1_30default_config_static_selectorELNS0_4arch9wavefront6targetE0EEEvT1_.kd
    .uniform_work_group_size: 1
    .uses_dynamic_stack: false
    .vgpr_count:     0
    .vgpr_spill_count: 0
    .wavefront_size: 32
    .workgroup_processor_mode: 1
  - .args:
      - .offset:         0
        .size:           56
        .value_kind:     by_value
    .group_segment_fixed_size: 0
    .kernarg_segment_align: 8
    .kernarg_segment_size: 56
    .language:       OpenCL C
    .language_version:
      - 2
      - 0
    .max_flat_workgroup_size: 512
    .name:           _ZN7rocprim17ROCPRIM_400000_NS6detail17trampoline_kernelINS0_14default_configENS1_25transform_config_selectorIlLb0EEEZNS1_14transform_implILb0ES3_S5_NS0_18transform_iteratorINS0_17counting_iteratorImlEEZNS1_24adjacent_difference_implIS3_Lb1ELb0EPlSB_ZN2at6native12_GLOBAL__N_124unique_dim_cuda_templateImEESt5tupleIJNSC_6TensorESH_SH_EERKSH_lbbbEUlllE1_EE10hipError_tPvRmT2_T3_mT4_P12ihipStream_tbEUlmE_lEESB_NS0_8identityIvEEEESM_SP_SQ_mSR_ST_bEUlT_E_NS1_11comp_targetILNS1_3genE5ELNS1_11target_archE942ELNS1_3gpuE9ELNS1_3repE0EEENS1_30default_config_static_selectorELNS0_4arch9wavefront6targetE0EEEvT1_
    .private_segment_fixed_size: 0
    .sgpr_count:     0
    .sgpr_spill_count: 0
    .symbol:         _ZN7rocprim17ROCPRIM_400000_NS6detail17trampoline_kernelINS0_14default_configENS1_25transform_config_selectorIlLb0EEEZNS1_14transform_implILb0ES3_S5_NS0_18transform_iteratorINS0_17counting_iteratorImlEEZNS1_24adjacent_difference_implIS3_Lb1ELb0EPlSB_ZN2at6native12_GLOBAL__N_124unique_dim_cuda_templateImEESt5tupleIJNSC_6TensorESH_SH_EERKSH_lbbbEUlllE1_EE10hipError_tPvRmT2_T3_mT4_P12ihipStream_tbEUlmE_lEESB_NS0_8identityIvEEEESM_SP_SQ_mSR_ST_bEUlT_E_NS1_11comp_targetILNS1_3genE5ELNS1_11target_archE942ELNS1_3gpuE9ELNS1_3repE0EEENS1_30default_config_static_selectorELNS0_4arch9wavefront6targetE0EEEvT1_.kd
    .uniform_work_group_size: 1
    .uses_dynamic_stack: false
    .vgpr_count:     0
    .vgpr_spill_count: 0
    .wavefront_size: 32
    .workgroup_processor_mode: 1
  - .args:
      - .offset:         0
        .size:           56
        .value_kind:     by_value
    .group_segment_fixed_size: 0
    .kernarg_segment_align: 8
    .kernarg_segment_size: 56
    .language:       OpenCL C
    .language_version:
      - 2
      - 0
    .max_flat_workgroup_size: 256
    .name:           _ZN7rocprim17ROCPRIM_400000_NS6detail17trampoline_kernelINS0_14default_configENS1_25transform_config_selectorIlLb0EEEZNS1_14transform_implILb0ES3_S5_NS0_18transform_iteratorINS0_17counting_iteratorImlEEZNS1_24adjacent_difference_implIS3_Lb1ELb0EPlSB_ZN2at6native12_GLOBAL__N_124unique_dim_cuda_templateImEESt5tupleIJNSC_6TensorESH_SH_EERKSH_lbbbEUlllE1_EE10hipError_tPvRmT2_T3_mT4_P12ihipStream_tbEUlmE_lEESB_NS0_8identityIvEEEESM_SP_SQ_mSR_ST_bEUlT_E_NS1_11comp_targetILNS1_3genE4ELNS1_11target_archE910ELNS1_3gpuE8ELNS1_3repE0EEENS1_30default_config_static_selectorELNS0_4arch9wavefront6targetE0EEEvT1_
    .private_segment_fixed_size: 0
    .sgpr_count:     0
    .sgpr_spill_count: 0
    .symbol:         _ZN7rocprim17ROCPRIM_400000_NS6detail17trampoline_kernelINS0_14default_configENS1_25transform_config_selectorIlLb0EEEZNS1_14transform_implILb0ES3_S5_NS0_18transform_iteratorINS0_17counting_iteratorImlEEZNS1_24adjacent_difference_implIS3_Lb1ELb0EPlSB_ZN2at6native12_GLOBAL__N_124unique_dim_cuda_templateImEESt5tupleIJNSC_6TensorESH_SH_EERKSH_lbbbEUlllE1_EE10hipError_tPvRmT2_T3_mT4_P12ihipStream_tbEUlmE_lEESB_NS0_8identityIvEEEESM_SP_SQ_mSR_ST_bEUlT_E_NS1_11comp_targetILNS1_3genE4ELNS1_11target_archE910ELNS1_3gpuE8ELNS1_3repE0EEENS1_30default_config_static_selectorELNS0_4arch9wavefront6targetE0EEEvT1_.kd
    .uniform_work_group_size: 1
    .uses_dynamic_stack: false
    .vgpr_count:     0
    .vgpr_spill_count: 0
    .wavefront_size: 32
    .workgroup_processor_mode: 1
  - .args:
      - .offset:         0
        .size:           56
        .value_kind:     by_value
    .group_segment_fixed_size: 0
    .kernarg_segment_align: 8
    .kernarg_segment_size: 56
    .language:       OpenCL C
    .language_version:
      - 2
      - 0
    .max_flat_workgroup_size: 128
    .name:           _ZN7rocprim17ROCPRIM_400000_NS6detail17trampoline_kernelINS0_14default_configENS1_25transform_config_selectorIlLb0EEEZNS1_14transform_implILb0ES3_S5_NS0_18transform_iteratorINS0_17counting_iteratorImlEEZNS1_24adjacent_difference_implIS3_Lb1ELb0EPlSB_ZN2at6native12_GLOBAL__N_124unique_dim_cuda_templateImEESt5tupleIJNSC_6TensorESH_SH_EERKSH_lbbbEUlllE1_EE10hipError_tPvRmT2_T3_mT4_P12ihipStream_tbEUlmE_lEESB_NS0_8identityIvEEEESM_SP_SQ_mSR_ST_bEUlT_E_NS1_11comp_targetILNS1_3genE3ELNS1_11target_archE908ELNS1_3gpuE7ELNS1_3repE0EEENS1_30default_config_static_selectorELNS0_4arch9wavefront6targetE0EEEvT1_
    .private_segment_fixed_size: 0
    .sgpr_count:     0
    .sgpr_spill_count: 0
    .symbol:         _ZN7rocprim17ROCPRIM_400000_NS6detail17trampoline_kernelINS0_14default_configENS1_25transform_config_selectorIlLb0EEEZNS1_14transform_implILb0ES3_S5_NS0_18transform_iteratorINS0_17counting_iteratorImlEEZNS1_24adjacent_difference_implIS3_Lb1ELb0EPlSB_ZN2at6native12_GLOBAL__N_124unique_dim_cuda_templateImEESt5tupleIJNSC_6TensorESH_SH_EERKSH_lbbbEUlllE1_EE10hipError_tPvRmT2_T3_mT4_P12ihipStream_tbEUlmE_lEESB_NS0_8identityIvEEEESM_SP_SQ_mSR_ST_bEUlT_E_NS1_11comp_targetILNS1_3genE3ELNS1_11target_archE908ELNS1_3gpuE7ELNS1_3repE0EEENS1_30default_config_static_selectorELNS0_4arch9wavefront6targetE0EEEvT1_.kd
    .uniform_work_group_size: 1
    .uses_dynamic_stack: false
    .vgpr_count:     0
    .vgpr_spill_count: 0
    .wavefront_size: 32
    .workgroup_processor_mode: 1
  - .args:
      - .offset:         0
        .size:           56
        .value_kind:     by_value
    .group_segment_fixed_size: 0
    .kernarg_segment_align: 8
    .kernarg_segment_size: 56
    .language:       OpenCL C
    .language_version:
      - 2
      - 0
    .max_flat_workgroup_size: 512
    .name:           _ZN7rocprim17ROCPRIM_400000_NS6detail17trampoline_kernelINS0_14default_configENS1_25transform_config_selectorIlLb0EEEZNS1_14transform_implILb0ES3_S5_NS0_18transform_iteratorINS0_17counting_iteratorImlEEZNS1_24adjacent_difference_implIS3_Lb1ELb0EPlSB_ZN2at6native12_GLOBAL__N_124unique_dim_cuda_templateImEESt5tupleIJNSC_6TensorESH_SH_EERKSH_lbbbEUlllE1_EE10hipError_tPvRmT2_T3_mT4_P12ihipStream_tbEUlmE_lEESB_NS0_8identityIvEEEESM_SP_SQ_mSR_ST_bEUlT_E_NS1_11comp_targetILNS1_3genE2ELNS1_11target_archE906ELNS1_3gpuE6ELNS1_3repE0EEENS1_30default_config_static_selectorELNS0_4arch9wavefront6targetE0EEEvT1_
    .private_segment_fixed_size: 0
    .sgpr_count:     0
    .sgpr_spill_count: 0
    .symbol:         _ZN7rocprim17ROCPRIM_400000_NS6detail17trampoline_kernelINS0_14default_configENS1_25transform_config_selectorIlLb0EEEZNS1_14transform_implILb0ES3_S5_NS0_18transform_iteratorINS0_17counting_iteratorImlEEZNS1_24adjacent_difference_implIS3_Lb1ELb0EPlSB_ZN2at6native12_GLOBAL__N_124unique_dim_cuda_templateImEESt5tupleIJNSC_6TensorESH_SH_EERKSH_lbbbEUlllE1_EE10hipError_tPvRmT2_T3_mT4_P12ihipStream_tbEUlmE_lEESB_NS0_8identityIvEEEESM_SP_SQ_mSR_ST_bEUlT_E_NS1_11comp_targetILNS1_3genE2ELNS1_11target_archE906ELNS1_3gpuE6ELNS1_3repE0EEENS1_30default_config_static_selectorELNS0_4arch9wavefront6targetE0EEEvT1_.kd
    .uniform_work_group_size: 1
    .uses_dynamic_stack: false
    .vgpr_count:     0
    .vgpr_spill_count: 0
    .wavefront_size: 32
    .workgroup_processor_mode: 1
  - .args:
      - .offset:         0
        .size:           56
        .value_kind:     by_value
    .group_segment_fixed_size: 0
    .kernarg_segment_align: 8
    .kernarg_segment_size: 56
    .language:       OpenCL C
    .language_version:
      - 2
      - 0
    .max_flat_workgroup_size: 1024
    .name:           _ZN7rocprim17ROCPRIM_400000_NS6detail17trampoline_kernelINS0_14default_configENS1_25transform_config_selectorIlLb0EEEZNS1_14transform_implILb0ES3_S5_NS0_18transform_iteratorINS0_17counting_iteratorImlEEZNS1_24adjacent_difference_implIS3_Lb1ELb0EPlSB_ZN2at6native12_GLOBAL__N_124unique_dim_cuda_templateImEESt5tupleIJNSC_6TensorESH_SH_EERKSH_lbbbEUlllE1_EE10hipError_tPvRmT2_T3_mT4_P12ihipStream_tbEUlmE_lEESB_NS0_8identityIvEEEESM_SP_SQ_mSR_ST_bEUlT_E_NS1_11comp_targetILNS1_3genE10ELNS1_11target_archE1201ELNS1_3gpuE5ELNS1_3repE0EEENS1_30default_config_static_selectorELNS0_4arch9wavefront6targetE0EEEvT1_
    .private_segment_fixed_size: 0
    .sgpr_count:     0
    .sgpr_spill_count: 0
    .symbol:         _ZN7rocprim17ROCPRIM_400000_NS6detail17trampoline_kernelINS0_14default_configENS1_25transform_config_selectorIlLb0EEEZNS1_14transform_implILb0ES3_S5_NS0_18transform_iteratorINS0_17counting_iteratorImlEEZNS1_24adjacent_difference_implIS3_Lb1ELb0EPlSB_ZN2at6native12_GLOBAL__N_124unique_dim_cuda_templateImEESt5tupleIJNSC_6TensorESH_SH_EERKSH_lbbbEUlllE1_EE10hipError_tPvRmT2_T3_mT4_P12ihipStream_tbEUlmE_lEESB_NS0_8identityIvEEEESM_SP_SQ_mSR_ST_bEUlT_E_NS1_11comp_targetILNS1_3genE10ELNS1_11target_archE1201ELNS1_3gpuE5ELNS1_3repE0EEENS1_30default_config_static_selectorELNS0_4arch9wavefront6targetE0EEEvT1_.kd
    .uniform_work_group_size: 1
    .uses_dynamic_stack: false
    .vgpr_count:     0
    .vgpr_spill_count: 0
    .wavefront_size: 32
    .workgroup_processor_mode: 1
  - .args:
      - .offset:         0
        .size:           56
        .value_kind:     by_value
    .group_segment_fixed_size: 0
    .kernarg_segment_align: 8
    .kernarg_segment_size: 56
    .language:       OpenCL C
    .language_version:
      - 2
      - 0
    .max_flat_workgroup_size: 512
    .name:           _ZN7rocprim17ROCPRIM_400000_NS6detail17trampoline_kernelINS0_14default_configENS1_25transform_config_selectorIlLb0EEEZNS1_14transform_implILb0ES3_S5_NS0_18transform_iteratorINS0_17counting_iteratorImlEEZNS1_24adjacent_difference_implIS3_Lb1ELb0EPlSB_ZN2at6native12_GLOBAL__N_124unique_dim_cuda_templateImEESt5tupleIJNSC_6TensorESH_SH_EERKSH_lbbbEUlllE1_EE10hipError_tPvRmT2_T3_mT4_P12ihipStream_tbEUlmE_lEESB_NS0_8identityIvEEEESM_SP_SQ_mSR_ST_bEUlT_E_NS1_11comp_targetILNS1_3genE10ELNS1_11target_archE1200ELNS1_3gpuE4ELNS1_3repE0EEENS1_30default_config_static_selectorELNS0_4arch9wavefront6targetE0EEEvT1_
    .private_segment_fixed_size: 0
    .sgpr_count:     0
    .sgpr_spill_count: 0
    .symbol:         _ZN7rocprim17ROCPRIM_400000_NS6detail17trampoline_kernelINS0_14default_configENS1_25transform_config_selectorIlLb0EEEZNS1_14transform_implILb0ES3_S5_NS0_18transform_iteratorINS0_17counting_iteratorImlEEZNS1_24adjacent_difference_implIS3_Lb1ELb0EPlSB_ZN2at6native12_GLOBAL__N_124unique_dim_cuda_templateImEESt5tupleIJNSC_6TensorESH_SH_EERKSH_lbbbEUlllE1_EE10hipError_tPvRmT2_T3_mT4_P12ihipStream_tbEUlmE_lEESB_NS0_8identityIvEEEESM_SP_SQ_mSR_ST_bEUlT_E_NS1_11comp_targetILNS1_3genE10ELNS1_11target_archE1200ELNS1_3gpuE4ELNS1_3repE0EEENS1_30default_config_static_selectorELNS0_4arch9wavefront6targetE0EEEvT1_.kd
    .uniform_work_group_size: 1
    .uses_dynamic_stack: false
    .vgpr_count:     0
    .vgpr_spill_count: 0
    .wavefront_size: 32
    .workgroup_processor_mode: 1
  - .args:
      - .offset:         0
        .size:           56
        .value_kind:     by_value
      - .offset:         56
        .size:           4
        .value_kind:     hidden_block_count_x
      - .offset:         60
        .size:           4
        .value_kind:     hidden_block_count_y
      - .offset:         64
        .size:           4
        .value_kind:     hidden_block_count_z
      - .offset:         68
        .size:           2
        .value_kind:     hidden_group_size_x
      - .offset:         70
        .size:           2
        .value_kind:     hidden_group_size_y
      - .offset:         72
        .size:           2
        .value_kind:     hidden_group_size_z
      - .offset:         74
        .size:           2
        .value_kind:     hidden_remainder_x
      - .offset:         76
        .size:           2
        .value_kind:     hidden_remainder_y
      - .offset:         78
        .size:           2
        .value_kind:     hidden_remainder_z
      - .offset:         96
        .size:           8
        .value_kind:     hidden_global_offset_x
      - .offset:         104
        .size:           8
        .value_kind:     hidden_global_offset_y
      - .offset:         112
        .size:           8
        .value_kind:     hidden_global_offset_z
      - .offset:         120
        .size:           2
        .value_kind:     hidden_grid_dims
    .group_segment_fixed_size: 0
    .kernarg_segment_align: 8
    .kernarg_segment_size: 312
    .language:       OpenCL C
    .language_version:
      - 2
      - 0
    .max_flat_workgroup_size: 512
    .name:           _ZN7rocprim17ROCPRIM_400000_NS6detail17trampoline_kernelINS0_14default_configENS1_25transform_config_selectorIlLb0EEEZNS1_14transform_implILb0ES3_S5_NS0_18transform_iteratorINS0_17counting_iteratorImlEEZNS1_24adjacent_difference_implIS3_Lb1ELb0EPlSB_ZN2at6native12_GLOBAL__N_124unique_dim_cuda_templateImEESt5tupleIJNSC_6TensorESH_SH_EERKSH_lbbbEUlllE1_EE10hipError_tPvRmT2_T3_mT4_P12ihipStream_tbEUlmE_lEESB_NS0_8identityIvEEEESM_SP_SQ_mSR_ST_bEUlT_E_NS1_11comp_targetILNS1_3genE9ELNS1_11target_archE1100ELNS1_3gpuE3ELNS1_3repE0EEENS1_30default_config_static_selectorELNS0_4arch9wavefront6targetE0EEEvT1_
    .private_segment_fixed_size: 0
    .sgpr_count:     18
    .sgpr_spill_count: 0
    .symbol:         _ZN7rocprim17ROCPRIM_400000_NS6detail17trampoline_kernelINS0_14default_configENS1_25transform_config_selectorIlLb0EEEZNS1_14transform_implILb0ES3_S5_NS0_18transform_iteratorINS0_17counting_iteratorImlEEZNS1_24adjacent_difference_implIS3_Lb1ELb0EPlSB_ZN2at6native12_GLOBAL__N_124unique_dim_cuda_templateImEESt5tupleIJNSC_6TensorESH_SH_EERKSH_lbbbEUlllE1_EE10hipError_tPvRmT2_T3_mT4_P12ihipStream_tbEUlmE_lEESB_NS0_8identityIvEEEESM_SP_SQ_mSR_ST_bEUlT_E_NS1_11comp_targetILNS1_3genE9ELNS1_11target_archE1100ELNS1_3gpuE3ELNS1_3repE0EEENS1_30default_config_static_selectorELNS0_4arch9wavefront6targetE0EEEvT1_.kd
    .uniform_work_group_size: 1
    .uses_dynamic_stack: false
    .vgpr_count:     6
    .vgpr_spill_count: 0
    .wavefront_size: 32
    .workgroup_processor_mode: 1
  - .args:
      - .offset:         0
        .size:           56
        .value_kind:     by_value
    .group_segment_fixed_size: 0
    .kernarg_segment_align: 8
    .kernarg_segment_size: 56
    .language:       OpenCL C
    .language_version:
      - 2
      - 0
    .max_flat_workgroup_size: 512
    .name:           _ZN7rocprim17ROCPRIM_400000_NS6detail17trampoline_kernelINS0_14default_configENS1_25transform_config_selectorIlLb0EEEZNS1_14transform_implILb0ES3_S5_NS0_18transform_iteratorINS0_17counting_iteratorImlEEZNS1_24adjacent_difference_implIS3_Lb1ELb0EPlSB_ZN2at6native12_GLOBAL__N_124unique_dim_cuda_templateImEESt5tupleIJNSC_6TensorESH_SH_EERKSH_lbbbEUlllE1_EE10hipError_tPvRmT2_T3_mT4_P12ihipStream_tbEUlmE_lEESB_NS0_8identityIvEEEESM_SP_SQ_mSR_ST_bEUlT_E_NS1_11comp_targetILNS1_3genE8ELNS1_11target_archE1030ELNS1_3gpuE2ELNS1_3repE0EEENS1_30default_config_static_selectorELNS0_4arch9wavefront6targetE0EEEvT1_
    .private_segment_fixed_size: 0
    .sgpr_count:     0
    .sgpr_spill_count: 0
    .symbol:         _ZN7rocprim17ROCPRIM_400000_NS6detail17trampoline_kernelINS0_14default_configENS1_25transform_config_selectorIlLb0EEEZNS1_14transform_implILb0ES3_S5_NS0_18transform_iteratorINS0_17counting_iteratorImlEEZNS1_24adjacent_difference_implIS3_Lb1ELb0EPlSB_ZN2at6native12_GLOBAL__N_124unique_dim_cuda_templateImEESt5tupleIJNSC_6TensorESH_SH_EERKSH_lbbbEUlllE1_EE10hipError_tPvRmT2_T3_mT4_P12ihipStream_tbEUlmE_lEESB_NS0_8identityIvEEEESM_SP_SQ_mSR_ST_bEUlT_E_NS1_11comp_targetILNS1_3genE8ELNS1_11target_archE1030ELNS1_3gpuE2ELNS1_3repE0EEENS1_30default_config_static_selectorELNS0_4arch9wavefront6targetE0EEEvT1_.kd
    .uniform_work_group_size: 1
    .uses_dynamic_stack: false
    .vgpr_count:     0
    .vgpr_spill_count: 0
    .wavefront_size: 32
    .workgroup_processor_mode: 1
  - .args:
      - .offset:         0
        .size:           64
        .value_kind:     by_value
    .group_segment_fixed_size: 0
    .kernarg_segment_align: 8
    .kernarg_segment_size: 64
    .language:       OpenCL C
    .language_version:
      - 2
      - 0
    .max_flat_workgroup_size: 512
    .name:           _ZN7rocprim17ROCPRIM_400000_NS6detail17trampoline_kernelINS0_14default_configENS1_35adjacent_difference_config_selectorILb1ElEEZNS1_24adjacent_difference_implIS3_Lb1ELb0EPlS7_ZN2at6native12_GLOBAL__N_124unique_dim_cuda_templateImEESt5tupleIJNS8_6TensorESD_SD_EERKSD_lbbbEUlllE1_EE10hipError_tPvRmT2_T3_mT4_P12ihipStream_tbEUlT_E_NS1_11comp_targetILNS1_3genE0ELNS1_11target_archE4294967295ELNS1_3gpuE0ELNS1_3repE0EEENS1_30default_config_static_selectorELNS0_4arch9wavefront6targetE0EEEvT1_
    .private_segment_fixed_size: 0
    .sgpr_count:     0
    .sgpr_spill_count: 0
    .symbol:         _ZN7rocprim17ROCPRIM_400000_NS6detail17trampoline_kernelINS0_14default_configENS1_35adjacent_difference_config_selectorILb1ElEEZNS1_24adjacent_difference_implIS3_Lb1ELb0EPlS7_ZN2at6native12_GLOBAL__N_124unique_dim_cuda_templateImEESt5tupleIJNS8_6TensorESD_SD_EERKSD_lbbbEUlllE1_EE10hipError_tPvRmT2_T3_mT4_P12ihipStream_tbEUlT_E_NS1_11comp_targetILNS1_3genE0ELNS1_11target_archE4294967295ELNS1_3gpuE0ELNS1_3repE0EEENS1_30default_config_static_selectorELNS0_4arch9wavefront6targetE0EEEvT1_.kd
    .uniform_work_group_size: 1
    .uses_dynamic_stack: false
    .vgpr_count:     0
    .vgpr_spill_count: 0
    .wavefront_size: 32
    .workgroup_processor_mode: 1
  - .args:
      - .offset:         0
        .size:           64
        .value_kind:     by_value
    .group_segment_fixed_size: 0
    .kernarg_segment_align: 8
    .kernarg_segment_size: 64
    .language:       OpenCL C
    .language_version:
      - 2
      - 0
    .max_flat_workgroup_size: 32
    .name:           _ZN7rocprim17ROCPRIM_400000_NS6detail17trampoline_kernelINS0_14default_configENS1_35adjacent_difference_config_selectorILb1ElEEZNS1_24adjacent_difference_implIS3_Lb1ELb0EPlS7_ZN2at6native12_GLOBAL__N_124unique_dim_cuda_templateImEESt5tupleIJNS8_6TensorESD_SD_EERKSD_lbbbEUlllE1_EE10hipError_tPvRmT2_T3_mT4_P12ihipStream_tbEUlT_E_NS1_11comp_targetILNS1_3genE10ELNS1_11target_archE1201ELNS1_3gpuE5ELNS1_3repE0EEENS1_30default_config_static_selectorELNS0_4arch9wavefront6targetE0EEEvT1_
    .private_segment_fixed_size: 0
    .sgpr_count:     0
    .sgpr_spill_count: 0
    .symbol:         _ZN7rocprim17ROCPRIM_400000_NS6detail17trampoline_kernelINS0_14default_configENS1_35adjacent_difference_config_selectorILb1ElEEZNS1_24adjacent_difference_implIS3_Lb1ELb0EPlS7_ZN2at6native12_GLOBAL__N_124unique_dim_cuda_templateImEESt5tupleIJNS8_6TensorESD_SD_EERKSD_lbbbEUlllE1_EE10hipError_tPvRmT2_T3_mT4_P12ihipStream_tbEUlT_E_NS1_11comp_targetILNS1_3genE10ELNS1_11target_archE1201ELNS1_3gpuE5ELNS1_3repE0EEENS1_30default_config_static_selectorELNS0_4arch9wavefront6targetE0EEEvT1_.kd
    .uniform_work_group_size: 1
    .uses_dynamic_stack: false
    .vgpr_count:     0
    .vgpr_spill_count: 0
    .wavefront_size: 32
    .workgroup_processor_mode: 1
  - .args:
      - .offset:         0
        .size:           64
        .value_kind:     by_value
    .group_segment_fixed_size: 0
    .kernarg_segment_align: 8
    .kernarg_segment_size: 64
    .language:       OpenCL C
    .language_version:
      - 2
      - 0
    .max_flat_workgroup_size: 256
    .name:           _ZN7rocprim17ROCPRIM_400000_NS6detail17trampoline_kernelINS0_14default_configENS1_35adjacent_difference_config_selectorILb1ElEEZNS1_24adjacent_difference_implIS3_Lb1ELb0EPlS7_ZN2at6native12_GLOBAL__N_124unique_dim_cuda_templateImEESt5tupleIJNS8_6TensorESD_SD_EERKSD_lbbbEUlllE1_EE10hipError_tPvRmT2_T3_mT4_P12ihipStream_tbEUlT_E_NS1_11comp_targetILNS1_3genE5ELNS1_11target_archE942ELNS1_3gpuE9ELNS1_3repE0EEENS1_30default_config_static_selectorELNS0_4arch9wavefront6targetE0EEEvT1_
    .private_segment_fixed_size: 0
    .sgpr_count:     0
    .sgpr_spill_count: 0
    .symbol:         _ZN7rocprim17ROCPRIM_400000_NS6detail17trampoline_kernelINS0_14default_configENS1_35adjacent_difference_config_selectorILb1ElEEZNS1_24adjacent_difference_implIS3_Lb1ELb0EPlS7_ZN2at6native12_GLOBAL__N_124unique_dim_cuda_templateImEESt5tupleIJNS8_6TensorESD_SD_EERKSD_lbbbEUlllE1_EE10hipError_tPvRmT2_T3_mT4_P12ihipStream_tbEUlT_E_NS1_11comp_targetILNS1_3genE5ELNS1_11target_archE942ELNS1_3gpuE9ELNS1_3repE0EEENS1_30default_config_static_selectorELNS0_4arch9wavefront6targetE0EEEvT1_.kd
    .uniform_work_group_size: 1
    .uses_dynamic_stack: false
    .vgpr_count:     0
    .vgpr_spill_count: 0
    .wavefront_size: 32
    .workgroup_processor_mode: 1
  - .args:
      - .offset:         0
        .size:           64
        .value_kind:     by_value
    .group_segment_fixed_size: 0
    .kernarg_segment_align: 8
    .kernarg_segment_size: 64
    .language:       OpenCL C
    .language_version:
      - 2
      - 0
    .max_flat_workgroup_size: 512
    .name:           _ZN7rocprim17ROCPRIM_400000_NS6detail17trampoline_kernelINS0_14default_configENS1_35adjacent_difference_config_selectorILb1ElEEZNS1_24adjacent_difference_implIS3_Lb1ELb0EPlS7_ZN2at6native12_GLOBAL__N_124unique_dim_cuda_templateImEESt5tupleIJNS8_6TensorESD_SD_EERKSD_lbbbEUlllE1_EE10hipError_tPvRmT2_T3_mT4_P12ihipStream_tbEUlT_E_NS1_11comp_targetILNS1_3genE4ELNS1_11target_archE910ELNS1_3gpuE8ELNS1_3repE0EEENS1_30default_config_static_selectorELNS0_4arch9wavefront6targetE0EEEvT1_
    .private_segment_fixed_size: 0
    .sgpr_count:     0
    .sgpr_spill_count: 0
    .symbol:         _ZN7rocprim17ROCPRIM_400000_NS6detail17trampoline_kernelINS0_14default_configENS1_35adjacent_difference_config_selectorILb1ElEEZNS1_24adjacent_difference_implIS3_Lb1ELb0EPlS7_ZN2at6native12_GLOBAL__N_124unique_dim_cuda_templateImEESt5tupleIJNS8_6TensorESD_SD_EERKSD_lbbbEUlllE1_EE10hipError_tPvRmT2_T3_mT4_P12ihipStream_tbEUlT_E_NS1_11comp_targetILNS1_3genE4ELNS1_11target_archE910ELNS1_3gpuE8ELNS1_3repE0EEENS1_30default_config_static_selectorELNS0_4arch9wavefront6targetE0EEEvT1_.kd
    .uniform_work_group_size: 1
    .uses_dynamic_stack: false
    .vgpr_count:     0
    .vgpr_spill_count: 0
    .wavefront_size: 32
    .workgroup_processor_mode: 1
  - .args:
      - .offset:         0
        .size:           64
        .value_kind:     by_value
    .group_segment_fixed_size: 0
    .kernarg_segment_align: 8
    .kernarg_segment_size: 64
    .language:       OpenCL C
    .language_version:
      - 2
      - 0
    .max_flat_workgroup_size: 512
    .name:           _ZN7rocprim17ROCPRIM_400000_NS6detail17trampoline_kernelINS0_14default_configENS1_35adjacent_difference_config_selectorILb1ElEEZNS1_24adjacent_difference_implIS3_Lb1ELb0EPlS7_ZN2at6native12_GLOBAL__N_124unique_dim_cuda_templateImEESt5tupleIJNS8_6TensorESD_SD_EERKSD_lbbbEUlllE1_EE10hipError_tPvRmT2_T3_mT4_P12ihipStream_tbEUlT_E_NS1_11comp_targetILNS1_3genE3ELNS1_11target_archE908ELNS1_3gpuE7ELNS1_3repE0EEENS1_30default_config_static_selectorELNS0_4arch9wavefront6targetE0EEEvT1_
    .private_segment_fixed_size: 0
    .sgpr_count:     0
    .sgpr_spill_count: 0
    .symbol:         _ZN7rocprim17ROCPRIM_400000_NS6detail17trampoline_kernelINS0_14default_configENS1_35adjacent_difference_config_selectorILb1ElEEZNS1_24adjacent_difference_implIS3_Lb1ELb0EPlS7_ZN2at6native12_GLOBAL__N_124unique_dim_cuda_templateImEESt5tupleIJNS8_6TensorESD_SD_EERKSD_lbbbEUlllE1_EE10hipError_tPvRmT2_T3_mT4_P12ihipStream_tbEUlT_E_NS1_11comp_targetILNS1_3genE3ELNS1_11target_archE908ELNS1_3gpuE7ELNS1_3repE0EEENS1_30default_config_static_selectorELNS0_4arch9wavefront6targetE0EEEvT1_.kd
    .uniform_work_group_size: 1
    .uses_dynamic_stack: false
    .vgpr_count:     0
    .vgpr_spill_count: 0
    .wavefront_size: 32
    .workgroup_processor_mode: 1
  - .args:
      - .offset:         0
        .size:           64
        .value_kind:     by_value
    .group_segment_fixed_size: 0
    .kernarg_segment_align: 8
    .kernarg_segment_size: 64
    .language:       OpenCL C
    .language_version:
      - 2
      - 0
    .max_flat_workgroup_size: 128
    .name:           _ZN7rocprim17ROCPRIM_400000_NS6detail17trampoline_kernelINS0_14default_configENS1_35adjacent_difference_config_selectorILb1ElEEZNS1_24adjacent_difference_implIS3_Lb1ELb0EPlS7_ZN2at6native12_GLOBAL__N_124unique_dim_cuda_templateImEESt5tupleIJNS8_6TensorESD_SD_EERKSD_lbbbEUlllE1_EE10hipError_tPvRmT2_T3_mT4_P12ihipStream_tbEUlT_E_NS1_11comp_targetILNS1_3genE2ELNS1_11target_archE906ELNS1_3gpuE6ELNS1_3repE0EEENS1_30default_config_static_selectorELNS0_4arch9wavefront6targetE0EEEvT1_
    .private_segment_fixed_size: 0
    .sgpr_count:     0
    .sgpr_spill_count: 0
    .symbol:         _ZN7rocprim17ROCPRIM_400000_NS6detail17trampoline_kernelINS0_14default_configENS1_35adjacent_difference_config_selectorILb1ElEEZNS1_24adjacent_difference_implIS3_Lb1ELb0EPlS7_ZN2at6native12_GLOBAL__N_124unique_dim_cuda_templateImEESt5tupleIJNS8_6TensorESD_SD_EERKSD_lbbbEUlllE1_EE10hipError_tPvRmT2_T3_mT4_P12ihipStream_tbEUlT_E_NS1_11comp_targetILNS1_3genE2ELNS1_11target_archE906ELNS1_3gpuE6ELNS1_3repE0EEENS1_30default_config_static_selectorELNS0_4arch9wavefront6targetE0EEEvT1_.kd
    .uniform_work_group_size: 1
    .uses_dynamic_stack: false
    .vgpr_count:     0
    .vgpr_spill_count: 0
    .wavefront_size: 32
    .workgroup_processor_mode: 1
  - .args:
      - .offset:         0
        .size:           64
        .value_kind:     by_value
    .group_segment_fixed_size: 29696
    .kernarg_segment_align: 8
    .kernarg_segment_size: 64
    .language:       OpenCL C
    .language_version:
      - 2
      - 0
    .max_flat_workgroup_size: 128
    .name:           _ZN7rocprim17ROCPRIM_400000_NS6detail17trampoline_kernelINS0_14default_configENS1_35adjacent_difference_config_selectorILb1ElEEZNS1_24adjacent_difference_implIS3_Lb1ELb0EPlS7_ZN2at6native12_GLOBAL__N_124unique_dim_cuda_templateImEESt5tupleIJNS8_6TensorESD_SD_EERKSD_lbbbEUlllE1_EE10hipError_tPvRmT2_T3_mT4_P12ihipStream_tbEUlT_E_NS1_11comp_targetILNS1_3genE9ELNS1_11target_archE1100ELNS1_3gpuE3ELNS1_3repE0EEENS1_30default_config_static_selectorELNS0_4arch9wavefront6targetE0EEEvT1_
    .private_segment_fixed_size: 0
    .sgpr_count:     32
    .sgpr_spill_count: 0
    .symbol:         _ZN7rocprim17ROCPRIM_400000_NS6detail17trampoline_kernelINS0_14default_configENS1_35adjacent_difference_config_selectorILb1ElEEZNS1_24adjacent_difference_implIS3_Lb1ELb0EPlS7_ZN2at6native12_GLOBAL__N_124unique_dim_cuda_templateImEESt5tupleIJNS8_6TensorESD_SD_EERKSD_lbbbEUlllE1_EE10hipError_tPvRmT2_T3_mT4_P12ihipStream_tbEUlT_E_NS1_11comp_targetILNS1_3genE9ELNS1_11target_archE1100ELNS1_3gpuE3ELNS1_3repE0EEENS1_30default_config_static_selectorELNS0_4arch9wavefront6targetE0EEEvT1_.kd
    .uniform_work_group_size: 1
    .uses_dynamic_stack: false
    .vgpr_count:     196
    .vgpr_spill_count: 0
    .wavefront_size: 32
    .workgroup_processor_mode: 1
  - .args:
      - .offset:         0
        .size:           64
        .value_kind:     by_value
    .group_segment_fixed_size: 0
    .kernarg_segment_align: 8
    .kernarg_segment_size: 64
    .language:       OpenCL C
    .language_version:
      - 2
      - 0
    .max_flat_workgroup_size: 32
    .name:           _ZN7rocprim17ROCPRIM_400000_NS6detail17trampoline_kernelINS0_14default_configENS1_35adjacent_difference_config_selectorILb1ElEEZNS1_24adjacent_difference_implIS3_Lb1ELb0EPlS7_ZN2at6native12_GLOBAL__N_124unique_dim_cuda_templateImEESt5tupleIJNS8_6TensorESD_SD_EERKSD_lbbbEUlllE1_EE10hipError_tPvRmT2_T3_mT4_P12ihipStream_tbEUlT_E_NS1_11comp_targetILNS1_3genE8ELNS1_11target_archE1030ELNS1_3gpuE2ELNS1_3repE0EEENS1_30default_config_static_selectorELNS0_4arch9wavefront6targetE0EEEvT1_
    .private_segment_fixed_size: 0
    .sgpr_count:     0
    .sgpr_spill_count: 0
    .symbol:         _ZN7rocprim17ROCPRIM_400000_NS6detail17trampoline_kernelINS0_14default_configENS1_35adjacent_difference_config_selectorILb1ElEEZNS1_24adjacent_difference_implIS3_Lb1ELb0EPlS7_ZN2at6native12_GLOBAL__N_124unique_dim_cuda_templateImEESt5tupleIJNS8_6TensorESD_SD_EERKSD_lbbbEUlllE1_EE10hipError_tPvRmT2_T3_mT4_P12ihipStream_tbEUlT_E_NS1_11comp_targetILNS1_3genE8ELNS1_11target_archE1030ELNS1_3gpuE2ELNS1_3repE0EEENS1_30default_config_static_selectorELNS0_4arch9wavefront6targetE0EEEvT1_.kd
    .uniform_work_group_size: 1
    .uses_dynamic_stack: false
    .vgpr_count:     0
    .vgpr_spill_count: 0
    .wavefront_size: 32
    .workgroup_processor_mode: 1
  - .args:
      - .offset:         0
        .size:           120
        .value_kind:     by_value
    .group_segment_fixed_size: 0
    .kernarg_segment_align: 8
    .kernarg_segment_size: 120
    .language:       OpenCL C
    .language_version:
      - 2
      - 0
    .max_flat_workgroup_size: 512
    .name:           _ZN7rocprim17ROCPRIM_400000_NS6detail17trampoline_kernelINS0_14default_configENS1_25partition_config_selectorILNS1_17partition_subalgoE8ElNS0_10empty_typeEbEEZZNS1_14partition_implILS5_8ELb0ES3_jPlPS6_PKS6_NS0_5tupleIJS9_S6_EEENSD_IJSA_SA_EEENS0_18inequality_wrapperIZN2at6native12_GLOBAL__N_124unique_dim_cuda_templateImEESt5tupleIJNSH_6TensorESM_SM_EERKSM_lbbbEUlllE0_EEPmJS6_EEE10hipError_tPvRmT3_T4_T5_T6_T7_T9_mT8_P12ihipStream_tbDpT10_ENKUlT_T0_E_clISt17integral_constantIbLb0EES1C_EEDaS17_S18_EUlS17_E_NS1_11comp_targetILNS1_3genE0ELNS1_11target_archE4294967295ELNS1_3gpuE0ELNS1_3repE0EEENS1_30default_config_static_selectorELNS0_4arch9wavefront6targetE0EEEvT1_
    .private_segment_fixed_size: 0
    .sgpr_count:     0
    .sgpr_spill_count: 0
    .symbol:         _ZN7rocprim17ROCPRIM_400000_NS6detail17trampoline_kernelINS0_14default_configENS1_25partition_config_selectorILNS1_17partition_subalgoE8ElNS0_10empty_typeEbEEZZNS1_14partition_implILS5_8ELb0ES3_jPlPS6_PKS6_NS0_5tupleIJS9_S6_EEENSD_IJSA_SA_EEENS0_18inequality_wrapperIZN2at6native12_GLOBAL__N_124unique_dim_cuda_templateImEESt5tupleIJNSH_6TensorESM_SM_EERKSM_lbbbEUlllE0_EEPmJS6_EEE10hipError_tPvRmT3_T4_T5_T6_T7_T9_mT8_P12ihipStream_tbDpT10_ENKUlT_T0_E_clISt17integral_constantIbLb0EES1C_EEDaS17_S18_EUlS17_E_NS1_11comp_targetILNS1_3genE0ELNS1_11target_archE4294967295ELNS1_3gpuE0ELNS1_3repE0EEENS1_30default_config_static_selectorELNS0_4arch9wavefront6targetE0EEEvT1_.kd
    .uniform_work_group_size: 1
    .uses_dynamic_stack: false
    .vgpr_count:     0
    .vgpr_spill_count: 0
    .wavefront_size: 32
    .workgroup_processor_mode: 1
  - .args:
      - .offset:         0
        .size:           120
        .value_kind:     by_value
    .group_segment_fixed_size: 0
    .kernarg_segment_align: 8
    .kernarg_segment_size: 120
    .language:       OpenCL C
    .language_version:
      - 2
      - 0
    .max_flat_workgroup_size: 512
    .name:           _ZN7rocprim17ROCPRIM_400000_NS6detail17trampoline_kernelINS0_14default_configENS1_25partition_config_selectorILNS1_17partition_subalgoE8ElNS0_10empty_typeEbEEZZNS1_14partition_implILS5_8ELb0ES3_jPlPS6_PKS6_NS0_5tupleIJS9_S6_EEENSD_IJSA_SA_EEENS0_18inequality_wrapperIZN2at6native12_GLOBAL__N_124unique_dim_cuda_templateImEESt5tupleIJNSH_6TensorESM_SM_EERKSM_lbbbEUlllE0_EEPmJS6_EEE10hipError_tPvRmT3_T4_T5_T6_T7_T9_mT8_P12ihipStream_tbDpT10_ENKUlT_T0_E_clISt17integral_constantIbLb0EES1C_EEDaS17_S18_EUlS17_E_NS1_11comp_targetILNS1_3genE5ELNS1_11target_archE942ELNS1_3gpuE9ELNS1_3repE0EEENS1_30default_config_static_selectorELNS0_4arch9wavefront6targetE0EEEvT1_
    .private_segment_fixed_size: 0
    .sgpr_count:     0
    .sgpr_spill_count: 0
    .symbol:         _ZN7rocprim17ROCPRIM_400000_NS6detail17trampoline_kernelINS0_14default_configENS1_25partition_config_selectorILNS1_17partition_subalgoE8ElNS0_10empty_typeEbEEZZNS1_14partition_implILS5_8ELb0ES3_jPlPS6_PKS6_NS0_5tupleIJS9_S6_EEENSD_IJSA_SA_EEENS0_18inequality_wrapperIZN2at6native12_GLOBAL__N_124unique_dim_cuda_templateImEESt5tupleIJNSH_6TensorESM_SM_EERKSM_lbbbEUlllE0_EEPmJS6_EEE10hipError_tPvRmT3_T4_T5_T6_T7_T9_mT8_P12ihipStream_tbDpT10_ENKUlT_T0_E_clISt17integral_constantIbLb0EES1C_EEDaS17_S18_EUlS17_E_NS1_11comp_targetILNS1_3genE5ELNS1_11target_archE942ELNS1_3gpuE9ELNS1_3repE0EEENS1_30default_config_static_selectorELNS0_4arch9wavefront6targetE0EEEvT1_.kd
    .uniform_work_group_size: 1
    .uses_dynamic_stack: false
    .vgpr_count:     0
    .vgpr_spill_count: 0
    .wavefront_size: 32
    .workgroup_processor_mode: 1
  - .args:
      - .offset:         0
        .size:           120
        .value_kind:     by_value
    .group_segment_fixed_size: 0
    .kernarg_segment_align: 8
    .kernarg_segment_size: 120
    .language:       OpenCL C
    .language_version:
      - 2
      - 0
    .max_flat_workgroup_size: 256
    .name:           _ZN7rocprim17ROCPRIM_400000_NS6detail17trampoline_kernelINS0_14default_configENS1_25partition_config_selectorILNS1_17partition_subalgoE8ElNS0_10empty_typeEbEEZZNS1_14partition_implILS5_8ELb0ES3_jPlPS6_PKS6_NS0_5tupleIJS9_S6_EEENSD_IJSA_SA_EEENS0_18inequality_wrapperIZN2at6native12_GLOBAL__N_124unique_dim_cuda_templateImEESt5tupleIJNSH_6TensorESM_SM_EERKSM_lbbbEUlllE0_EEPmJS6_EEE10hipError_tPvRmT3_T4_T5_T6_T7_T9_mT8_P12ihipStream_tbDpT10_ENKUlT_T0_E_clISt17integral_constantIbLb0EES1C_EEDaS17_S18_EUlS17_E_NS1_11comp_targetILNS1_3genE4ELNS1_11target_archE910ELNS1_3gpuE8ELNS1_3repE0EEENS1_30default_config_static_selectorELNS0_4arch9wavefront6targetE0EEEvT1_
    .private_segment_fixed_size: 0
    .sgpr_count:     0
    .sgpr_spill_count: 0
    .symbol:         _ZN7rocprim17ROCPRIM_400000_NS6detail17trampoline_kernelINS0_14default_configENS1_25partition_config_selectorILNS1_17partition_subalgoE8ElNS0_10empty_typeEbEEZZNS1_14partition_implILS5_8ELb0ES3_jPlPS6_PKS6_NS0_5tupleIJS9_S6_EEENSD_IJSA_SA_EEENS0_18inequality_wrapperIZN2at6native12_GLOBAL__N_124unique_dim_cuda_templateImEESt5tupleIJNSH_6TensorESM_SM_EERKSM_lbbbEUlllE0_EEPmJS6_EEE10hipError_tPvRmT3_T4_T5_T6_T7_T9_mT8_P12ihipStream_tbDpT10_ENKUlT_T0_E_clISt17integral_constantIbLb0EES1C_EEDaS17_S18_EUlS17_E_NS1_11comp_targetILNS1_3genE4ELNS1_11target_archE910ELNS1_3gpuE8ELNS1_3repE0EEENS1_30default_config_static_selectorELNS0_4arch9wavefront6targetE0EEEvT1_.kd
    .uniform_work_group_size: 1
    .uses_dynamic_stack: false
    .vgpr_count:     0
    .vgpr_spill_count: 0
    .wavefront_size: 32
    .workgroup_processor_mode: 1
  - .args:
      - .offset:         0
        .size:           120
        .value_kind:     by_value
    .group_segment_fixed_size: 0
    .kernarg_segment_align: 8
    .kernarg_segment_size: 120
    .language:       OpenCL C
    .language_version:
      - 2
      - 0
    .max_flat_workgroup_size: 512
    .name:           _ZN7rocprim17ROCPRIM_400000_NS6detail17trampoline_kernelINS0_14default_configENS1_25partition_config_selectorILNS1_17partition_subalgoE8ElNS0_10empty_typeEbEEZZNS1_14partition_implILS5_8ELb0ES3_jPlPS6_PKS6_NS0_5tupleIJS9_S6_EEENSD_IJSA_SA_EEENS0_18inequality_wrapperIZN2at6native12_GLOBAL__N_124unique_dim_cuda_templateImEESt5tupleIJNSH_6TensorESM_SM_EERKSM_lbbbEUlllE0_EEPmJS6_EEE10hipError_tPvRmT3_T4_T5_T6_T7_T9_mT8_P12ihipStream_tbDpT10_ENKUlT_T0_E_clISt17integral_constantIbLb0EES1C_EEDaS17_S18_EUlS17_E_NS1_11comp_targetILNS1_3genE3ELNS1_11target_archE908ELNS1_3gpuE7ELNS1_3repE0EEENS1_30default_config_static_selectorELNS0_4arch9wavefront6targetE0EEEvT1_
    .private_segment_fixed_size: 0
    .sgpr_count:     0
    .sgpr_spill_count: 0
    .symbol:         _ZN7rocprim17ROCPRIM_400000_NS6detail17trampoline_kernelINS0_14default_configENS1_25partition_config_selectorILNS1_17partition_subalgoE8ElNS0_10empty_typeEbEEZZNS1_14partition_implILS5_8ELb0ES3_jPlPS6_PKS6_NS0_5tupleIJS9_S6_EEENSD_IJSA_SA_EEENS0_18inequality_wrapperIZN2at6native12_GLOBAL__N_124unique_dim_cuda_templateImEESt5tupleIJNSH_6TensorESM_SM_EERKSM_lbbbEUlllE0_EEPmJS6_EEE10hipError_tPvRmT3_T4_T5_T6_T7_T9_mT8_P12ihipStream_tbDpT10_ENKUlT_T0_E_clISt17integral_constantIbLb0EES1C_EEDaS17_S18_EUlS17_E_NS1_11comp_targetILNS1_3genE3ELNS1_11target_archE908ELNS1_3gpuE7ELNS1_3repE0EEENS1_30default_config_static_selectorELNS0_4arch9wavefront6targetE0EEEvT1_.kd
    .uniform_work_group_size: 1
    .uses_dynamic_stack: false
    .vgpr_count:     0
    .vgpr_spill_count: 0
    .wavefront_size: 32
    .workgroup_processor_mode: 1
  - .args:
      - .offset:         0
        .size:           120
        .value_kind:     by_value
    .group_segment_fixed_size: 0
    .kernarg_segment_align: 8
    .kernarg_segment_size: 120
    .language:       OpenCL C
    .language_version:
      - 2
      - 0
    .max_flat_workgroup_size: 256
    .name:           _ZN7rocprim17ROCPRIM_400000_NS6detail17trampoline_kernelINS0_14default_configENS1_25partition_config_selectorILNS1_17partition_subalgoE8ElNS0_10empty_typeEbEEZZNS1_14partition_implILS5_8ELb0ES3_jPlPS6_PKS6_NS0_5tupleIJS9_S6_EEENSD_IJSA_SA_EEENS0_18inequality_wrapperIZN2at6native12_GLOBAL__N_124unique_dim_cuda_templateImEESt5tupleIJNSH_6TensorESM_SM_EERKSM_lbbbEUlllE0_EEPmJS6_EEE10hipError_tPvRmT3_T4_T5_T6_T7_T9_mT8_P12ihipStream_tbDpT10_ENKUlT_T0_E_clISt17integral_constantIbLb0EES1C_EEDaS17_S18_EUlS17_E_NS1_11comp_targetILNS1_3genE2ELNS1_11target_archE906ELNS1_3gpuE6ELNS1_3repE0EEENS1_30default_config_static_selectorELNS0_4arch9wavefront6targetE0EEEvT1_
    .private_segment_fixed_size: 0
    .sgpr_count:     0
    .sgpr_spill_count: 0
    .symbol:         _ZN7rocprim17ROCPRIM_400000_NS6detail17trampoline_kernelINS0_14default_configENS1_25partition_config_selectorILNS1_17partition_subalgoE8ElNS0_10empty_typeEbEEZZNS1_14partition_implILS5_8ELb0ES3_jPlPS6_PKS6_NS0_5tupleIJS9_S6_EEENSD_IJSA_SA_EEENS0_18inequality_wrapperIZN2at6native12_GLOBAL__N_124unique_dim_cuda_templateImEESt5tupleIJNSH_6TensorESM_SM_EERKSM_lbbbEUlllE0_EEPmJS6_EEE10hipError_tPvRmT3_T4_T5_T6_T7_T9_mT8_P12ihipStream_tbDpT10_ENKUlT_T0_E_clISt17integral_constantIbLb0EES1C_EEDaS17_S18_EUlS17_E_NS1_11comp_targetILNS1_3genE2ELNS1_11target_archE906ELNS1_3gpuE6ELNS1_3repE0EEENS1_30default_config_static_selectorELNS0_4arch9wavefront6targetE0EEEvT1_.kd
    .uniform_work_group_size: 1
    .uses_dynamic_stack: false
    .vgpr_count:     0
    .vgpr_spill_count: 0
    .wavefront_size: 32
    .workgroup_processor_mode: 1
  - .args:
      - .offset:         0
        .size:           120
        .value_kind:     by_value
    .group_segment_fixed_size: 0
    .kernarg_segment_align: 8
    .kernarg_segment_size: 120
    .language:       OpenCL C
    .language_version:
      - 2
      - 0
    .max_flat_workgroup_size: 384
    .name:           _ZN7rocprim17ROCPRIM_400000_NS6detail17trampoline_kernelINS0_14default_configENS1_25partition_config_selectorILNS1_17partition_subalgoE8ElNS0_10empty_typeEbEEZZNS1_14partition_implILS5_8ELb0ES3_jPlPS6_PKS6_NS0_5tupleIJS9_S6_EEENSD_IJSA_SA_EEENS0_18inequality_wrapperIZN2at6native12_GLOBAL__N_124unique_dim_cuda_templateImEESt5tupleIJNSH_6TensorESM_SM_EERKSM_lbbbEUlllE0_EEPmJS6_EEE10hipError_tPvRmT3_T4_T5_T6_T7_T9_mT8_P12ihipStream_tbDpT10_ENKUlT_T0_E_clISt17integral_constantIbLb0EES1C_EEDaS17_S18_EUlS17_E_NS1_11comp_targetILNS1_3genE10ELNS1_11target_archE1200ELNS1_3gpuE4ELNS1_3repE0EEENS1_30default_config_static_selectorELNS0_4arch9wavefront6targetE0EEEvT1_
    .private_segment_fixed_size: 0
    .sgpr_count:     0
    .sgpr_spill_count: 0
    .symbol:         _ZN7rocprim17ROCPRIM_400000_NS6detail17trampoline_kernelINS0_14default_configENS1_25partition_config_selectorILNS1_17partition_subalgoE8ElNS0_10empty_typeEbEEZZNS1_14partition_implILS5_8ELb0ES3_jPlPS6_PKS6_NS0_5tupleIJS9_S6_EEENSD_IJSA_SA_EEENS0_18inequality_wrapperIZN2at6native12_GLOBAL__N_124unique_dim_cuda_templateImEESt5tupleIJNSH_6TensorESM_SM_EERKSM_lbbbEUlllE0_EEPmJS6_EEE10hipError_tPvRmT3_T4_T5_T6_T7_T9_mT8_P12ihipStream_tbDpT10_ENKUlT_T0_E_clISt17integral_constantIbLb0EES1C_EEDaS17_S18_EUlS17_E_NS1_11comp_targetILNS1_3genE10ELNS1_11target_archE1200ELNS1_3gpuE4ELNS1_3repE0EEENS1_30default_config_static_selectorELNS0_4arch9wavefront6targetE0EEEvT1_.kd
    .uniform_work_group_size: 1
    .uses_dynamic_stack: false
    .vgpr_count:     0
    .vgpr_spill_count: 0
    .wavefront_size: 32
    .workgroup_processor_mode: 1
  - .args:
      - .offset:         0
        .size:           120
        .value_kind:     by_value
    .group_segment_fixed_size: 33804
    .kernarg_segment_align: 8
    .kernarg_segment_size: 120
    .language:       OpenCL C
    .language_version:
      - 2
      - 0
    .max_flat_workgroup_size: 512
    .name:           _ZN7rocprim17ROCPRIM_400000_NS6detail17trampoline_kernelINS0_14default_configENS1_25partition_config_selectorILNS1_17partition_subalgoE8ElNS0_10empty_typeEbEEZZNS1_14partition_implILS5_8ELb0ES3_jPlPS6_PKS6_NS0_5tupleIJS9_S6_EEENSD_IJSA_SA_EEENS0_18inequality_wrapperIZN2at6native12_GLOBAL__N_124unique_dim_cuda_templateImEESt5tupleIJNSH_6TensorESM_SM_EERKSM_lbbbEUlllE0_EEPmJS6_EEE10hipError_tPvRmT3_T4_T5_T6_T7_T9_mT8_P12ihipStream_tbDpT10_ENKUlT_T0_E_clISt17integral_constantIbLb0EES1C_EEDaS17_S18_EUlS17_E_NS1_11comp_targetILNS1_3genE9ELNS1_11target_archE1100ELNS1_3gpuE3ELNS1_3repE0EEENS1_30default_config_static_selectorELNS0_4arch9wavefront6targetE0EEEvT1_
    .private_segment_fixed_size: 0
    .sgpr_count:     38
    .sgpr_spill_count: 0
    .symbol:         _ZN7rocprim17ROCPRIM_400000_NS6detail17trampoline_kernelINS0_14default_configENS1_25partition_config_selectorILNS1_17partition_subalgoE8ElNS0_10empty_typeEbEEZZNS1_14partition_implILS5_8ELb0ES3_jPlPS6_PKS6_NS0_5tupleIJS9_S6_EEENSD_IJSA_SA_EEENS0_18inequality_wrapperIZN2at6native12_GLOBAL__N_124unique_dim_cuda_templateImEESt5tupleIJNSH_6TensorESM_SM_EERKSM_lbbbEUlllE0_EEPmJS6_EEE10hipError_tPvRmT3_T4_T5_T6_T7_T9_mT8_P12ihipStream_tbDpT10_ENKUlT_T0_E_clISt17integral_constantIbLb0EES1C_EEDaS17_S18_EUlS17_E_NS1_11comp_targetILNS1_3genE9ELNS1_11target_archE1100ELNS1_3gpuE3ELNS1_3repE0EEENS1_30default_config_static_selectorELNS0_4arch9wavefront6targetE0EEEvT1_.kd
    .uniform_work_group_size: 1
    .uses_dynamic_stack: false
    .vgpr_count:     52
    .vgpr_spill_count: 0
    .wavefront_size: 32
    .workgroup_processor_mode: 1
  - .args:
      - .offset:         0
        .size:           120
        .value_kind:     by_value
    .group_segment_fixed_size: 0
    .kernarg_segment_align: 8
    .kernarg_segment_size: 120
    .language:       OpenCL C
    .language_version:
      - 2
      - 0
    .max_flat_workgroup_size: 512
    .name:           _ZN7rocprim17ROCPRIM_400000_NS6detail17trampoline_kernelINS0_14default_configENS1_25partition_config_selectorILNS1_17partition_subalgoE8ElNS0_10empty_typeEbEEZZNS1_14partition_implILS5_8ELb0ES3_jPlPS6_PKS6_NS0_5tupleIJS9_S6_EEENSD_IJSA_SA_EEENS0_18inequality_wrapperIZN2at6native12_GLOBAL__N_124unique_dim_cuda_templateImEESt5tupleIJNSH_6TensorESM_SM_EERKSM_lbbbEUlllE0_EEPmJS6_EEE10hipError_tPvRmT3_T4_T5_T6_T7_T9_mT8_P12ihipStream_tbDpT10_ENKUlT_T0_E_clISt17integral_constantIbLb0EES1C_EEDaS17_S18_EUlS17_E_NS1_11comp_targetILNS1_3genE8ELNS1_11target_archE1030ELNS1_3gpuE2ELNS1_3repE0EEENS1_30default_config_static_selectorELNS0_4arch9wavefront6targetE0EEEvT1_
    .private_segment_fixed_size: 0
    .sgpr_count:     0
    .sgpr_spill_count: 0
    .symbol:         _ZN7rocprim17ROCPRIM_400000_NS6detail17trampoline_kernelINS0_14default_configENS1_25partition_config_selectorILNS1_17partition_subalgoE8ElNS0_10empty_typeEbEEZZNS1_14partition_implILS5_8ELb0ES3_jPlPS6_PKS6_NS0_5tupleIJS9_S6_EEENSD_IJSA_SA_EEENS0_18inequality_wrapperIZN2at6native12_GLOBAL__N_124unique_dim_cuda_templateImEESt5tupleIJNSH_6TensorESM_SM_EERKSM_lbbbEUlllE0_EEPmJS6_EEE10hipError_tPvRmT3_T4_T5_T6_T7_T9_mT8_P12ihipStream_tbDpT10_ENKUlT_T0_E_clISt17integral_constantIbLb0EES1C_EEDaS17_S18_EUlS17_E_NS1_11comp_targetILNS1_3genE8ELNS1_11target_archE1030ELNS1_3gpuE2ELNS1_3repE0EEENS1_30default_config_static_selectorELNS0_4arch9wavefront6targetE0EEEvT1_.kd
    .uniform_work_group_size: 1
    .uses_dynamic_stack: false
    .vgpr_count:     0
    .vgpr_spill_count: 0
    .wavefront_size: 32
    .workgroup_processor_mode: 1
  - .args:
      - .offset:         0
        .size:           136
        .value_kind:     by_value
    .group_segment_fixed_size: 0
    .kernarg_segment_align: 8
    .kernarg_segment_size: 136
    .language:       OpenCL C
    .language_version:
      - 2
      - 0
    .max_flat_workgroup_size: 512
    .name:           _ZN7rocprim17ROCPRIM_400000_NS6detail17trampoline_kernelINS0_14default_configENS1_25partition_config_selectorILNS1_17partition_subalgoE8ElNS0_10empty_typeEbEEZZNS1_14partition_implILS5_8ELb0ES3_jPlPS6_PKS6_NS0_5tupleIJS9_S6_EEENSD_IJSA_SA_EEENS0_18inequality_wrapperIZN2at6native12_GLOBAL__N_124unique_dim_cuda_templateImEESt5tupleIJNSH_6TensorESM_SM_EERKSM_lbbbEUlllE0_EEPmJS6_EEE10hipError_tPvRmT3_T4_T5_T6_T7_T9_mT8_P12ihipStream_tbDpT10_ENKUlT_T0_E_clISt17integral_constantIbLb1EES1C_EEDaS17_S18_EUlS17_E_NS1_11comp_targetILNS1_3genE0ELNS1_11target_archE4294967295ELNS1_3gpuE0ELNS1_3repE0EEENS1_30default_config_static_selectorELNS0_4arch9wavefront6targetE0EEEvT1_
    .private_segment_fixed_size: 0
    .sgpr_count:     0
    .sgpr_spill_count: 0
    .symbol:         _ZN7rocprim17ROCPRIM_400000_NS6detail17trampoline_kernelINS0_14default_configENS1_25partition_config_selectorILNS1_17partition_subalgoE8ElNS0_10empty_typeEbEEZZNS1_14partition_implILS5_8ELb0ES3_jPlPS6_PKS6_NS0_5tupleIJS9_S6_EEENSD_IJSA_SA_EEENS0_18inequality_wrapperIZN2at6native12_GLOBAL__N_124unique_dim_cuda_templateImEESt5tupleIJNSH_6TensorESM_SM_EERKSM_lbbbEUlllE0_EEPmJS6_EEE10hipError_tPvRmT3_T4_T5_T6_T7_T9_mT8_P12ihipStream_tbDpT10_ENKUlT_T0_E_clISt17integral_constantIbLb1EES1C_EEDaS17_S18_EUlS17_E_NS1_11comp_targetILNS1_3genE0ELNS1_11target_archE4294967295ELNS1_3gpuE0ELNS1_3repE0EEENS1_30default_config_static_selectorELNS0_4arch9wavefront6targetE0EEEvT1_.kd
    .uniform_work_group_size: 1
    .uses_dynamic_stack: false
    .vgpr_count:     0
    .vgpr_spill_count: 0
    .wavefront_size: 32
    .workgroup_processor_mode: 1
  - .args:
      - .offset:         0
        .size:           136
        .value_kind:     by_value
    .group_segment_fixed_size: 0
    .kernarg_segment_align: 8
    .kernarg_segment_size: 136
    .language:       OpenCL C
    .language_version:
      - 2
      - 0
    .max_flat_workgroup_size: 512
    .name:           _ZN7rocprim17ROCPRIM_400000_NS6detail17trampoline_kernelINS0_14default_configENS1_25partition_config_selectorILNS1_17partition_subalgoE8ElNS0_10empty_typeEbEEZZNS1_14partition_implILS5_8ELb0ES3_jPlPS6_PKS6_NS0_5tupleIJS9_S6_EEENSD_IJSA_SA_EEENS0_18inequality_wrapperIZN2at6native12_GLOBAL__N_124unique_dim_cuda_templateImEESt5tupleIJNSH_6TensorESM_SM_EERKSM_lbbbEUlllE0_EEPmJS6_EEE10hipError_tPvRmT3_T4_T5_T6_T7_T9_mT8_P12ihipStream_tbDpT10_ENKUlT_T0_E_clISt17integral_constantIbLb1EES1C_EEDaS17_S18_EUlS17_E_NS1_11comp_targetILNS1_3genE5ELNS1_11target_archE942ELNS1_3gpuE9ELNS1_3repE0EEENS1_30default_config_static_selectorELNS0_4arch9wavefront6targetE0EEEvT1_
    .private_segment_fixed_size: 0
    .sgpr_count:     0
    .sgpr_spill_count: 0
    .symbol:         _ZN7rocprim17ROCPRIM_400000_NS6detail17trampoline_kernelINS0_14default_configENS1_25partition_config_selectorILNS1_17partition_subalgoE8ElNS0_10empty_typeEbEEZZNS1_14partition_implILS5_8ELb0ES3_jPlPS6_PKS6_NS0_5tupleIJS9_S6_EEENSD_IJSA_SA_EEENS0_18inequality_wrapperIZN2at6native12_GLOBAL__N_124unique_dim_cuda_templateImEESt5tupleIJNSH_6TensorESM_SM_EERKSM_lbbbEUlllE0_EEPmJS6_EEE10hipError_tPvRmT3_T4_T5_T6_T7_T9_mT8_P12ihipStream_tbDpT10_ENKUlT_T0_E_clISt17integral_constantIbLb1EES1C_EEDaS17_S18_EUlS17_E_NS1_11comp_targetILNS1_3genE5ELNS1_11target_archE942ELNS1_3gpuE9ELNS1_3repE0EEENS1_30default_config_static_selectorELNS0_4arch9wavefront6targetE0EEEvT1_.kd
    .uniform_work_group_size: 1
    .uses_dynamic_stack: false
    .vgpr_count:     0
    .vgpr_spill_count: 0
    .wavefront_size: 32
    .workgroup_processor_mode: 1
  - .args:
      - .offset:         0
        .size:           136
        .value_kind:     by_value
    .group_segment_fixed_size: 0
    .kernarg_segment_align: 8
    .kernarg_segment_size: 136
    .language:       OpenCL C
    .language_version:
      - 2
      - 0
    .max_flat_workgroup_size: 256
    .name:           _ZN7rocprim17ROCPRIM_400000_NS6detail17trampoline_kernelINS0_14default_configENS1_25partition_config_selectorILNS1_17partition_subalgoE8ElNS0_10empty_typeEbEEZZNS1_14partition_implILS5_8ELb0ES3_jPlPS6_PKS6_NS0_5tupleIJS9_S6_EEENSD_IJSA_SA_EEENS0_18inequality_wrapperIZN2at6native12_GLOBAL__N_124unique_dim_cuda_templateImEESt5tupleIJNSH_6TensorESM_SM_EERKSM_lbbbEUlllE0_EEPmJS6_EEE10hipError_tPvRmT3_T4_T5_T6_T7_T9_mT8_P12ihipStream_tbDpT10_ENKUlT_T0_E_clISt17integral_constantIbLb1EES1C_EEDaS17_S18_EUlS17_E_NS1_11comp_targetILNS1_3genE4ELNS1_11target_archE910ELNS1_3gpuE8ELNS1_3repE0EEENS1_30default_config_static_selectorELNS0_4arch9wavefront6targetE0EEEvT1_
    .private_segment_fixed_size: 0
    .sgpr_count:     0
    .sgpr_spill_count: 0
    .symbol:         _ZN7rocprim17ROCPRIM_400000_NS6detail17trampoline_kernelINS0_14default_configENS1_25partition_config_selectorILNS1_17partition_subalgoE8ElNS0_10empty_typeEbEEZZNS1_14partition_implILS5_8ELb0ES3_jPlPS6_PKS6_NS0_5tupleIJS9_S6_EEENSD_IJSA_SA_EEENS0_18inequality_wrapperIZN2at6native12_GLOBAL__N_124unique_dim_cuda_templateImEESt5tupleIJNSH_6TensorESM_SM_EERKSM_lbbbEUlllE0_EEPmJS6_EEE10hipError_tPvRmT3_T4_T5_T6_T7_T9_mT8_P12ihipStream_tbDpT10_ENKUlT_T0_E_clISt17integral_constantIbLb1EES1C_EEDaS17_S18_EUlS17_E_NS1_11comp_targetILNS1_3genE4ELNS1_11target_archE910ELNS1_3gpuE8ELNS1_3repE0EEENS1_30default_config_static_selectorELNS0_4arch9wavefront6targetE0EEEvT1_.kd
    .uniform_work_group_size: 1
    .uses_dynamic_stack: false
    .vgpr_count:     0
    .vgpr_spill_count: 0
    .wavefront_size: 32
    .workgroup_processor_mode: 1
  - .args:
      - .offset:         0
        .size:           136
        .value_kind:     by_value
    .group_segment_fixed_size: 0
    .kernarg_segment_align: 8
    .kernarg_segment_size: 136
    .language:       OpenCL C
    .language_version:
      - 2
      - 0
    .max_flat_workgroup_size: 512
    .name:           _ZN7rocprim17ROCPRIM_400000_NS6detail17trampoline_kernelINS0_14default_configENS1_25partition_config_selectorILNS1_17partition_subalgoE8ElNS0_10empty_typeEbEEZZNS1_14partition_implILS5_8ELb0ES3_jPlPS6_PKS6_NS0_5tupleIJS9_S6_EEENSD_IJSA_SA_EEENS0_18inequality_wrapperIZN2at6native12_GLOBAL__N_124unique_dim_cuda_templateImEESt5tupleIJNSH_6TensorESM_SM_EERKSM_lbbbEUlllE0_EEPmJS6_EEE10hipError_tPvRmT3_T4_T5_T6_T7_T9_mT8_P12ihipStream_tbDpT10_ENKUlT_T0_E_clISt17integral_constantIbLb1EES1C_EEDaS17_S18_EUlS17_E_NS1_11comp_targetILNS1_3genE3ELNS1_11target_archE908ELNS1_3gpuE7ELNS1_3repE0EEENS1_30default_config_static_selectorELNS0_4arch9wavefront6targetE0EEEvT1_
    .private_segment_fixed_size: 0
    .sgpr_count:     0
    .sgpr_spill_count: 0
    .symbol:         _ZN7rocprim17ROCPRIM_400000_NS6detail17trampoline_kernelINS0_14default_configENS1_25partition_config_selectorILNS1_17partition_subalgoE8ElNS0_10empty_typeEbEEZZNS1_14partition_implILS5_8ELb0ES3_jPlPS6_PKS6_NS0_5tupleIJS9_S6_EEENSD_IJSA_SA_EEENS0_18inequality_wrapperIZN2at6native12_GLOBAL__N_124unique_dim_cuda_templateImEESt5tupleIJNSH_6TensorESM_SM_EERKSM_lbbbEUlllE0_EEPmJS6_EEE10hipError_tPvRmT3_T4_T5_T6_T7_T9_mT8_P12ihipStream_tbDpT10_ENKUlT_T0_E_clISt17integral_constantIbLb1EES1C_EEDaS17_S18_EUlS17_E_NS1_11comp_targetILNS1_3genE3ELNS1_11target_archE908ELNS1_3gpuE7ELNS1_3repE0EEENS1_30default_config_static_selectorELNS0_4arch9wavefront6targetE0EEEvT1_.kd
    .uniform_work_group_size: 1
    .uses_dynamic_stack: false
    .vgpr_count:     0
    .vgpr_spill_count: 0
    .wavefront_size: 32
    .workgroup_processor_mode: 1
  - .args:
      - .offset:         0
        .size:           136
        .value_kind:     by_value
    .group_segment_fixed_size: 0
    .kernarg_segment_align: 8
    .kernarg_segment_size: 136
    .language:       OpenCL C
    .language_version:
      - 2
      - 0
    .max_flat_workgroup_size: 256
    .name:           _ZN7rocprim17ROCPRIM_400000_NS6detail17trampoline_kernelINS0_14default_configENS1_25partition_config_selectorILNS1_17partition_subalgoE8ElNS0_10empty_typeEbEEZZNS1_14partition_implILS5_8ELb0ES3_jPlPS6_PKS6_NS0_5tupleIJS9_S6_EEENSD_IJSA_SA_EEENS0_18inequality_wrapperIZN2at6native12_GLOBAL__N_124unique_dim_cuda_templateImEESt5tupleIJNSH_6TensorESM_SM_EERKSM_lbbbEUlllE0_EEPmJS6_EEE10hipError_tPvRmT3_T4_T5_T6_T7_T9_mT8_P12ihipStream_tbDpT10_ENKUlT_T0_E_clISt17integral_constantIbLb1EES1C_EEDaS17_S18_EUlS17_E_NS1_11comp_targetILNS1_3genE2ELNS1_11target_archE906ELNS1_3gpuE6ELNS1_3repE0EEENS1_30default_config_static_selectorELNS0_4arch9wavefront6targetE0EEEvT1_
    .private_segment_fixed_size: 0
    .sgpr_count:     0
    .sgpr_spill_count: 0
    .symbol:         _ZN7rocprim17ROCPRIM_400000_NS6detail17trampoline_kernelINS0_14default_configENS1_25partition_config_selectorILNS1_17partition_subalgoE8ElNS0_10empty_typeEbEEZZNS1_14partition_implILS5_8ELb0ES3_jPlPS6_PKS6_NS0_5tupleIJS9_S6_EEENSD_IJSA_SA_EEENS0_18inequality_wrapperIZN2at6native12_GLOBAL__N_124unique_dim_cuda_templateImEESt5tupleIJNSH_6TensorESM_SM_EERKSM_lbbbEUlllE0_EEPmJS6_EEE10hipError_tPvRmT3_T4_T5_T6_T7_T9_mT8_P12ihipStream_tbDpT10_ENKUlT_T0_E_clISt17integral_constantIbLb1EES1C_EEDaS17_S18_EUlS17_E_NS1_11comp_targetILNS1_3genE2ELNS1_11target_archE906ELNS1_3gpuE6ELNS1_3repE0EEENS1_30default_config_static_selectorELNS0_4arch9wavefront6targetE0EEEvT1_.kd
    .uniform_work_group_size: 1
    .uses_dynamic_stack: false
    .vgpr_count:     0
    .vgpr_spill_count: 0
    .wavefront_size: 32
    .workgroup_processor_mode: 1
  - .args:
      - .offset:         0
        .size:           136
        .value_kind:     by_value
    .group_segment_fixed_size: 0
    .kernarg_segment_align: 8
    .kernarg_segment_size: 136
    .language:       OpenCL C
    .language_version:
      - 2
      - 0
    .max_flat_workgroup_size: 384
    .name:           _ZN7rocprim17ROCPRIM_400000_NS6detail17trampoline_kernelINS0_14default_configENS1_25partition_config_selectorILNS1_17partition_subalgoE8ElNS0_10empty_typeEbEEZZNS1_14partition_implILS5_8ELb0ES3_jPlPS6_PKS6_NS0_5tupleIJS9_S6_EEENSD_IJSA_SA_EEENS0_18inequality_wrapperIZN2at6native12_GLOBAL__N_124unique_dim_cuda_templateImEESt5tupleIJNSH_6TensorESM_SM_EERKSM_lbbbEUlllE0_EEPmJS6_EEE10hipError_tPvRmT3_T4_T5_T6_T7_T9_mT8_P12ihipStream_tbDpT10_ENKUlT_T0_E_clISt17integral_constantIbLb1EES1C_EEDaS17_S18_EUlS17_E_NS1_11comp_targetILNS1_3genE10ELNS1_11target_archE1200ELNS1_3gpuE4ELNS1_3repE0EEENS1_30default_config_static_selectorELNS0_4arch9wavefront6targetE0EEEvT1_
    .private_segment_fixed_size: 0
    .sgpr_count:     0
    .sgpr_spill_count: 0
    .symbol:         _ZN7rocprim17ROCPRIM_400000_NS6detail17trampoline_kernelINS0_14default_configENS1_25partition_config_selectorILNS1_17partition_subalgoE8ElNS0_10empty_typeEbEEZZNS1_14partition_implILS5_8ELb0ES3_jPlPS6_PKS6_NS0_5tupleIJS9_S6_EEENSD_IJSA_SA_EEENS0_18inequality_wrapperIZN2at6native12_GLOBAL__N_124unique_dim_cuda_templateImEESt5tupleIJNSH_6TensorESM_SM_EERKSM_lbbbEUlllE0_EEPmJS6_EEE10hipError_tPvRmT3_T4_T5_T6_T7_T9_mT8_P12ihipStream_tbDpT10_ENKUlT_T0_E_clISt17integral_constantIbLb1EES1C_EEDaS17_S18_EUlS17_E_NS1_11comp_targetILNS1_3genE10ELNS1_11target_archE1200ELNS1_3gpuE4ELNS1_3repE0EEENS1_30default_config_static_selectorELNS0_4arch9wavefront6targetE0EEEvT1_.kd
    .uniform_work_group_size: 1
    .uses_dynamic_stack: false
    .vgpr_count:     0
    .vgpr_spill_count: 0
    .wavefront_size: 32
    .workgroup_processor_mode: 1
  - .args:
      - .offset:         0
        .size:           136
        .value_kind:     by_value
    .group_segment_fixed_size: 33804
    .kernarg_segment_align: 8
    .kernarg_segment_size: 136
    .language:       OpenCL C
    .language_version:
      - 2
      - 0
    .max_flat_workgroup_size: 512
    .name:           _ZN7rocprim17ROCPRIM_400000_NS6detail17trampoline_kernelINS0_14default_configENS1_25partition_config_selectorILNS1_17partition_subalgoE8ElNS0_10empty_typeEbEEZZNS1_14partition_implILS5_8ELb0ES3_jPlPS6_PKS6_NS0_5tupleIJS9_S6_EEENSD_IJSA_SA_EEENS0_18inequality_wrapperIZN2at6native12_GLOBAL__N_124unique_dim_cuda_templateImEESt5tupleIJNSH_6TensorESM_SM_EERKSM_lbbbEUlllE0_EEPmJS6_EEE10hipError_tPvRmT3_T4_T5_T6_T7_T9_mT8_P12ihipStream_tbDpT10_ENKUlT_T0_E_clISt17integral_constantIbLb1EES1C_EEDaS17_S18_EUlS17_E_NS1_11comp_targetILNS1_3genE9ELNS1_11target_archE1100ELNS1_3gpuE3ELNS1_3repE0EEENS1_30default_config_static_selectorELNS0_4arch9wavefront6targetE0EEEvT1_
    .private_segment_fixed_size: 0
    .sgpr_count:     40
    .sgpr_spill_count: 0
    .symbol:         _ZN7rocprim17ROCPRIM_400000_NS6detail17trampoline_kernelINS0_14default_configENS1_25partition_config_selectorILNS1_17partition_subalgoE8ElNS0_10empty_typeEbEEZZNS1_14partition_implILS5_8ELb0ES3_jPlPS6_PKS6_NS0_5tupleIJS9_S6_EEENSD_IJSA_SA_EEENS0_18inequality_wrapperIZN2at6native12_GLOBAL__N_124unique_dim_cuda_templateImEESt5tupleIJNSH_6TensorESM_SM_EERKSM_lbbbEUlllE0_EEPmJS6_EEE10hipError_tPvRmT3_T4_T5_T6_T7_T9_mT8_P12ihipStream_tbDpT10_ENKUlT_T0_E_clISt17integral_constantIbLb1EES1C_EEDaS17_S18_EUlS17_E_NS1_11comp_targetILNS1_3genE9ELNS1_11target_archE1100ELNS1_3gpuE3ELNS1_3repE0EEENS1_30default_config_static_selectorELNS0_4arch9wavefront6targetE0EEEvT1_.kd
    .uniform_work_group_size: 1
    .uses_dynamic_stack: false
    .vgpr_count:     52
    .vgpr_spill_count: 0
    .wavefront_size: 32
    .workgroup_processor_mode: 1
  - .args:
      - .offset:         0
        .size:           136
        .value_kind:     by_value
    .group_segment_fixed_size: 0
    .kernarg_segment_align: 8
    .kernarg_segment_size: 136
    .language:       OpenCL C
    .language_version:
      - 2
      - 0
    .max_flat_workgroup_size: 512
    .name:           _ZN7rocprim17ROCPRIM_400000_NS6detail17trampoline_kernelINS0_14default_configENS1_25partition_config_selectorILNS1_17partition_subalgoE8ElNS0_10empty_typeEbEEZZNS1_14partition_implILS5_8ELb0ES3_jPlPS6_PKS6_NS0_5tupleIJS9_S6_EEENSD_IJSA_SA_EEENS0_18inequality_wrapperIZN2at6native12_GLOBAL__N_124unique_dim_cuda_templateImEESt5tupleIJNSH_6TensorESM_SM_EERKSM_lbbbEUlllE0_EEPmJS6_EEE10hipError_tPvRmT3_T4_T5_T6_T7_T9_mT8_P12ihipStream_tbDpT10_ENKUlT_T0_E_clISt17integral_constantIbLb1EES1C_EEDaS17_S18_EUlS17_E_NS1_11comp_targetILNS1_3genE8ELNS1_11target_archE1030ELNS1_3gpuE2ELNS1_3repE0EEENS1_30default_config_static_selectorELNS0_4arch9wavefront6targetE0EEEvT1_
    .private_segment_fixed_size: 0
    .sgpr_count:     0
    .sgpr_spill_count: 0
    .symbol:         _ZN7rocprim17ROCPRIM_400000_NS6detail17trampoline_kernelINS0_14default_configENS1_25partition_config_selectorILNS1_17partition_subalgoE8ElNS0_10empty_typeEbEEZZNS1_14partition_implILS5_8ELb0ES3_jPlPS6_PKS6_NS0_5tupleIJS9_S6_EEENSD_IJSA_SA_EEENS0_18inequality_wrapperIZN2at6native12_GLOBAL__N_124unique_dim_cuda_templateImEESt5tupleIJNSH_6TensorESM_SM_EERKSM_lbbbEUlllE0_EEPmJS6_EEE10hipError_tPvRmT3_T4_T5_T6_T7_T9_mT8_P12ihipStream_tbDpT10_ENKUlT_T0_E_clISt17integral_constantIbLb1EES1C_EEDaS17_S18_EUlS17_E_NS1_11comp_targetILNS1_3genE8ELNS1_11target_archE1030ELNS1_3gpuE2ELNS1_3repE0EEENS1_30default_config_static_selectorELNS0_4arch9wavefront6targetE0EEEvT1_.kd
    .uniform_work_group_size: 1
    .uses_dynamic_stack: false
    .vgpr_count:     0
    .vgpr_spill_count: 0
    .wavefront_size: 32
    .workgroup_processor_mode: 1
  - .args:
      - .offset:         0
        .size:           120
        .value_kind:     by_value
    .group_segment_fixed_size: 0
    .kernarg_segment_align: 8
    .kernarg_segment_size: 120
    .language:       OpenCL C
    .language_version:
      - 2
      - 0
    .max_flat_workgroup_size: 512
    .name:           _ZN7rocprim17ROCPRIM_400000_NS6detail17trampoline_kernelINS0_14default_configENS1_25partition_config_selectorILNS1_17partition_subalgoE8ElNS0_10empty_typeEbEEZZNS1_14partition_implILS5_8ELb0ES3_jPlPS6_PKS6_NS0_5tupleIJS9_S6_EEENSD_IJSA_SA_EEENS0_18inequality_wrapperIZN2at6native12_GLOBAL__N_124unique_dim_cuda_templateImEESt5tupleIJNSH_6TensorESM_SM_EERKSM_lbbbEUlllE0_EEPmJS6_EEE10hipError_tPvRmT3_T4_T5_T6_T7_T9_mT8_P12ihipStream_tbDpT10_ENKUlT_T0_E_clISt17integral_constantIbLb1EES1B_IbLb0EEEEDaS17_S18_EUlS17_E_NS1_11comp_targetILNS1_3genE0ELNS1_11target_archE4294967295ELNS1_3gpuE0ELNS1_3repE0EEENS1_30default_config_static_selectorELNS0_4arch9wavefront6targetE0EEEvT1_
    .private_segment_fixed_size: 0
    .sgpr_count:     0
    .sgpr_spill_count: 0
    .symbol:         _ZN7rocprim17ROCPRIM_400000_NS6detail17trampoline_kernelINS0_14default_configENS1_25partition_config_selectorILNS1_17partition_subalgoE8ElNS0_10empty_typeEbEEZZNS1_14partition_implILS5_8ELb0ES3_jPlPS6_PKS6_NS0_5tupleIJS9_S6_EEENSD_IJSA_SA_EEENS0_18inequality_wrapperIZN2at6native12_GLOBAL__N_124unique_dim_cuda_templateImEESt5tupleIJNSH_6TensorESM_SM_EERKSM_lbbbEUlllE0_EEPmJS6_EEE10hipError_tPvRmT3_T4_T5_T6_T7_T9_mT8_P12ihipStream_tbDpT10_ENKUlT_T0_E_clISt17integral_constantIbLb1EES1B_IbLb0EEEEDaS17_S18_EUlS17_E_NS1_11comp_targetILNS1_3genE0ELNS1_11target_archE4294967295ELNS1_3gpuE0ELNS1_3repE0EEENS1_30default_config_static_selectorELNS0_4arch9wavefront6targetE0EEEvT1_.kd
    .uniform_work_group_size: 1
    .uses_dynamic_stack: false
    .vgpr_count:     0
    .vgpr_spill_count: 0
    .wavefront_size: 32
    .workgroup_processor_mode: 1
  - .args:
      - .offset:         0
        .size:           120
        .value_kind:     by_value
    .group_segment_fixed_size: 0
    .kernarg_segment_align: 8
    .kernarg_segment_size: 120
    .language:       OpenCL C
    .language_version:
      - 2
      - 0
    .max_flat_workgroup_size: 512
    .name:           _ZN7rocprim17ROCPRIM_400000_NS6detail17trampoline_kernelINS0_14default_configENS1_25partition_config_selectorILNS1_17partition_subalgoE8ElNS0_10empty_typeEbEEZZNS1_14partition_implILS5_8ELb0ES3_jPlPS6_PKS6_NS0_5tupleIJS9_S6_EEENSD_IJSA_SA_EEENS0_18inequality_wrapperIZN2at6native12_GLOBAL__N_124unique_dim_cuda_templateImEESt5tupleIJNSH_6TensorESM_SM_EERKSM_lbbbEUlllE0_EEPmJS6_EEE10hipError_tPvRmT3_T4_T5_T6_T7_T9_mT8_P12ihipStream_tbDpT10_ENKUlT_T0_E_clISt17integral_constantIbLb1EES1B_IbLb0EEEEDaS17_S18_EUlS17_E_NS1_11comp_targetILNS1_3genE5ELNS1_11target_archE942ELNS1_3gpuE9ELNS1_3repE0EEENS1_30default_config_static_selectorELNS0_4arch9wavefront6targetE0EEEvT1_
    .private_segment_fixed_size: 0
    .sgpr_count:     0
    .sgpr_spill_count: 0
    .symbol:         _ZN7rocprim17ROCPRIM_400000_NS6detail17trampoline_kernelINS0_14default_configENS1_25partition_config_selectorILNS1_17partition_subalgoE8ElNS0_10empty_typeEbEEZZNS1_14partition_implILS5_8ELb0ES3_jPlPS6_PKS6_NS0_5tupleIJS9_S6_EEENSD_IJSA_SA_EEENS0_18inequality_wrapperIZN2at6native12_GLOBAL__N_124unique_dim_cuda_templateImEESt5tupleIJNSH_6TensorESM_SM_EERKSM_lbbbEUlllE0_EEPmJS6_EEE10hipError_tPvRmT3_T4_T5_T6_T7_T9_mT8_P12ihipStream_tbDpT10_ENKUlT_T0_E_clISt17integral_constantIbLb1EES1B_IbLb0EEEEDaS17_S18_EUlS17_E_NS1_11comp_targetILNS1_3genE5ELNS1_11target_archE942ELNS1_3gpuE9ELNS1_3repE0EEENS1_30default_config_static_selectorELNS0_4arch9wavefront6targetE0EEEvT1_.kd
    .uniform_work_group_size: 1
    .uses_dynamic_stack: false
    .vgpr_count:     0
    .vgpr_spill_count: 0
    .wavefront_size: 32
    .workgroup_processor_mode: 1
  - .args:
      - .offset:         0
        .size:           120
        .value_kind:     by_value
    .group_segment_fixed_size: 0
    .kernarg_segment_align: 8
    .kernarg_segment_size: 120
    .language:       OpenCL C
    .language_version:
      - 2
      - 0
    .max_flat_workgroup_size: 256
    .name:           _ZN7rocprim17ROCPRIM_400000_NS6detail17trampoline_kernelINS0_14default_configENS1_25partition_config_selectorILNS1_17partition_subalgoE8ElNS0_10empty_typeEbEEZZNS1_14partition_implILS5_8ELb0ES3_jPlPS6_PKS6_NS0_5tupleIJS9_S6_EEENSD_IJSA_SA_EEENS0_18inequality_wrapperIZN2at6native12_GLOBAL__N_124unique_dim_cuda_templateImEESt5tupleIJNSH_6TensorESM_SM_EERKSM_lbbbEUlllE0_EEPmJS6_EEE10hipError_tPvRmT3_T4_T5_T6_T7_T9_mT8_P12ihipStream_tbDpT10_ENKUlT_T0_E_clISt17integral_constantIbLb1EES1B_IbLb0EEEEDaS17_S18_EUlS17_E_NS1_11comp_targetILNS1_3genE4ELNS1_11target_archE910ELNS1_3gpuE8ELNS1_3repE0EEENS1_30default_config_static_selectorELNS0_4arch9wavefront6targetE0EEEvT1_
    .private_segment_fixed_size: 0
    .sgpr_count:     0
    .sgpr_spill_count: 0
    .symbol:         _ZN7rocprim17ROCPRIM_400000_NS6detail17trampoline_kernelINS0_14default_configENS1_25partition_config_selectorILNS1_17partition_subalgoE8ElNS0_10empty_typeEbEEZZNS1_14partition_implILS5_8ELb0ES3_jPlPS6_PKS6_NS0_5tupleIJS9_S6_EEENSD_IJSA_SA_EEENS0_18inequality_wrapperIZN2at6native12_GLOBAL__N_124unique_dim_cuda_templateImEESt5tupleIJNSH_6TensorESM_SM_EERKSM_lbbbEUlllE0_EEPmJS6_EEE10hipError_tPvRmT3_T4_T5_T6_T7_T9_mT8_P12ihipStream_tbDpT10_ENKUlT_T0_E_clISt17integral_constantIbLb1EES1B_IbLb0EEEEDaS17_S18_EUlS17_E_NS1_11comp_targetILNS1_3genE4ELNS1_11target_archE910ELNS1_3gpuE8ELNS1_3repE0EEENS1_30default_config_static_selectorELNS0_4arch9wavefront6targetE0EEEvT1_.kd
    .uniform_work_group_size: 1
    .uses_dynamic_stack: false
    .vgpr_count:     0
    .vgpr_spill_count: 0
    .wavefront_size: 32
    .workgroup_processor_mode: 1
  - .args:
      - .offset:         0
        .size:           120
        .value_kind:     by_value
    .group_segment_fixed_size: 0
    .kernarg_segment_align: 8
    .kernarg_segment_size: 120
    .language:       OpenCL C
    .language_version:
      - 2
      - 0
    .max_flat_workgroup_size: 512
    .name:           _ZN7rocprim17ROCPRIM_400000_NS6detail17trampoline_kernelINS0_14default_configENS1_25partition_config_selectorILNS1_17partition_subalgoE8ElNS0_10empty_typeEbEEZZNS1_14partition_implILS5_8ELb0ES3_jPlPS6_PKS6_NS0_5tupleIJS9_S6_EEENSD_IJSA_SA_EEENS0_18inequality_wrapperIZN2at6native12_GLOBAL__N_124unique_dim_cuda_templateImEESt5tupleIJNSH_6TensorESM_SM_EERKSM_lbbbEUlllE0_EEPmJS6_EEE10hipError_tPvRmT3_T4_T5_T6_T7_T9_mT8_P12ihipStream_tbDpT10_ENKUlT_T0_E_clISt17integral_constantIbLb1EES1B_IbLb0EEEEDaS17_S18_EUlS17_E_NS1_11comp_targetILNS1_3genE3ELNS1_11target_archE908ELNS1_3gpuE7ELNS1_3repE0EEENS1_30default_config_static_selectorELNS0_4arch9wavefront6targetE0EEEvT1_
    .private_segment_fixed_size: 0
    .sgpr_count:     0
    .sgpr_spill_count: 0
    .symbol:         _ZN7rocprim17ROCPRIM_400000_NS6detail17trampoline_kernelINS0_14default_configENS1_25partition_config_selectorILNS1_17partition_subalgoE8ElNS0_10empty_typeEbEEZZNS1_14partition_implILS5_8ELb0ES3_jPlPS6_PKS6_NS0_5tupleIJS9_S6_EEENSD_IJSA_SA_EEENS0_18inequality_wrapperIZN2at6native12_GLOBAL__N_124unique_dim_cuda_templateImEESt5tupleIJNSH_6TensorESM_SM_EERKSM_lbbbEUlllE0_EEPmJS6_EEE10hipError_tPvRmT3_T4_T5_T6_T7_T9_mT8_P12ihipStream_tbDpT10_ENKUlT_T0_E_clISt17integral_constantIbLb1EES1B_IbLb0EEEEDaS17_S18_EUlS17_E_NS1_11comp_targetILNS1_3genE3ELNS1_11target_archE908ELNS1_3gpuE7ELNS1_3repE0EEENS1_30default_config_static_selectorELNS0_4arch9wavefront6targetE0EEEvT1_.kd
    .uniform_work_group_size: 1
    .uses_dynamic_stack: false
    .vgpr_count:     0
    .vgpr_spill_count: 0
    .wavefront_size: 32
    .workgroup_processor_mode: 1
  - .args:
      - .offset:         0
        .size:           120
        .value_kind:     by_value
    .group_segment_fixed_size: 0
    .kernarg_segment_align: 8
    .kernarg_segment_size: 120
    .language:       OpenCL C
    .language_version:
      - 2
      - 0
    .max_flat_workgroup_size: 256
    .name:           _ZN7rocprim17ROCPRIM_400000_NS6detail17trampoline_kernelINS0_14default_configENS1_25partition_config_selectorILNS1_17partition_subalgoE8ElNS0_10empty_typeEbEEZZNS1_14partition_implILS5_8ELb0ES3_jPlPS6_PKS6_NS0_5tupleIJS9_S6_EEENSD_IJSA_SA_EEENS0_18inequality_wrapperIZN2at6native12_GLOBAL__N_124unique_dim_cuda_templateImEESt5tupleIJNSH_6TensorESM_SM_EERKSM_lbbbEUlllE0_EEPmJS6_EEE10hipError_tPvRmT3_T4_T5_T6_T7_T9_mT8_P12ihipStream_tbDpT10_ENKUlT_T0_E_clISt17integral_constantIbLb1EES1B_IbLb0EEEEDaS17_S18_EUlS17_E_NS1_11comp_targetILNS1_3genE2ELNS1_11target_archE906ELNS1_3gpuE6ELNS1_3repE0EEENS1_30default_config_static_selectorELNS0_4arch9wavefront6targetE0EEEvT1_
    .private_segment_fixed_size: 0
    .sgpr_count:     0
    .sgpr_spill_count: 0
    .symbol:         _ZN7rocprim17ROCPRIM_400000_NS6detail17trampoline_kernelINS0_14default_configENS1_25partition_config_selectorILNS1_17partition_subalgoE8ElNS0_10empty_typeEbEEZZNS1_14partition_implILS5_8ELb0ES3_jPlPS6_PKS6_NS0_5tupleIJS9_S6_EEENSD_IJSA_SA_EEENS0_18inequality_wrapperIZN2at6native12_GLOBAL__N_124unique_dim_cuda_templateImEESt5tupleIJNSH_6TensorESM_SM_EERKSM_lbbbEUlllE0_EEPmJS6_EEE10hipError_tPvRmT3_T4_T5_T6_T7_T9_mT8_P12ihipStream_tbDpT10_ENKUlT_T0_E_clISt17integral_constantIbLb1EES1B_IbLb0EEEEDaS17_S18_EUlS17_E_NS1_11comp_targetILNS1_3genE2ELNS1_11target_archE906ELNS1_3gpuE6ELNS1_3repE0EEENS1_30default_config_static_selectorELNS0_4arch9wavefront6targetE0EEEvT1_.kd
    .uniform_work_group_size: 1
    .uses_dynamic_stack: false
    .vgpr_count:     0
    .vgpr_spill_count: 0
    .wavefront_size: 32
    .workgroup_processor_mode: 1
  - .args:
      - .offset:         0
        .size:           120
        .value_kind:     by_value
    .group_segment_fixed_size: 0
    .kernarg_segment_align: 8
    .kernarg_segment_size: 120
    .language:       OpenCL C
    .language_version:
      - 2
      - 0
    .max_flat_workgroup_size: 384
    .name:           _ZN7rocprim17ROCPRIM_400000_NS6detail17trampoline_kernelINS0_14default_configENS1_25partition_config_selectorILNS1_17partition_subalgoE8ElNS0_10empty_typeEbEEZZNS1_14partition_implILS5_8ELb0ES3_jPlPS6_PKS6_NS0_5tupleIJS9_S6_EEENSD_IJSA_SA_EEENS0_18inequality_wrapperIZN2at6native12_GLOBAL__N_124unique_dim_cuda_templateImEESt5tupleIJNSH_6TensorESM_SM_EERKSM_lbbbEUlllE0_EEPmJS6_EEE10hipError_tPvRmT3_T4_T5_T6_T7_T9_mT8_P12ihipStream_tbDpT10_ENKUlT_T0_E_clISt17integral_constantIbLb1EES1B_IbLb0EEEEDaS17_S18_EUlS17_E_NS1_11comp_targetILNS1_3genE10ELNS1_11target_archE1200ELNS1_3gpuE4ELNS1_3repE0EEENS1_30default_config_static_selectorELNS0_4arch9wavefront6targetE0EEEvT1_
    .private_segment_fixed_size: 0
    .sgpr_count:     0
    .sgpr_spill_count: 0
    .symbol:         _ZN7rocprim17ROCPRIM_400000_NS6detail17trampoline_kernelINS0_14default_configENS1_25partition_config_selectorILNS1_17partition_subalgoE8ElNS0_10empty_typeEbEEZZNS1_14partition_implILS5_8ELb0ES3_jPlPS6_PKS6_NS0_5tupleIJS9_S6_EEENSD_IJSA_SA_EEENS0_18inequality_wrapperIZN2at6native12_GLOBAL__N_124unique_dim_cuda_templateImEESt5tupleIJNSH_6TensorESM_SM_EERKSM_lbbbEUlllE0_EEPmJS6_EEE10hipError_tPvRmT3_T4_T5_T6_T7_T9_mT8_P12ihipStream_tbDpT10_ENKUlT_T0_E_clISt17integral_constantIbLb1EES1B_IbLb0EEEEDaS17_S18_EUlS17_E_NS1_11comp_targetILNS1_3genE10ELNS1_11target_archE1200ELNS1_3gpuE4ELNS1_3repE0EEENS1_30default_config_static_selectorELNS0_4arch9wavefront6targetE0EEEvT1_.kd
    .uniform_work_group_size: 1
    .uses_dynamic_stack: false
    .vgpr_count:     0
    .vgpr_spill_count: 0
    .wavefront_size: 32
    .workgroup_processor_mode: 1
  - .args:
      - .offset:         0
        .size:           120
        .value_kind:     by_value
    .group_segment_fixed_size: 33804
    .kernarg_segment_align: 8
    .kernarg_segment_size: 120
    .language:       OpenCL C
    .language_version:
      - 2
      - 0
    .max_flat_workgroup_size: 512
    .name:           _ZN7rocprim17ROCPRIM_400000_NS6detail17trampoline_kernelINS0_14default_configENS1_25partition_config_selectorILNS1_17partition_subalgoE8ElNS0_10empty_typeEbEEZZNS1_14partition_implILS5_8ELb0ES3_jPlPS6_PKS6_NS0_5tupleIJS9_S6_EEENSD_IJSA_SA_EEENS0_18inequality_wrapperIZN2at6native12_GLOBAL__N_124unique_dim_cuda_templateImEESt5tupleIJNSH_6TensorESM_SM_EERKSM_lbbbEUlllE0_EEPmJS6_EEE10hipError_tPvRmT3_T4_T5_T6_T7_T9_mT8_P12ihipStream_tbDpT10_ENKUlT_T0_E_clISt17integral_constantIbLb1EES1B_IbLb0EEEEDaS17_S18_EUlS17_E_NS1_11comp_targetILNS1_3genE9ELNS1_11target_archE1100ELNS1_3gpuE3ELNS1_3repE0EEENS1_30default_config_static_selectorELNS0_4arch9wavefront6targetE0EEEvT1_
    .private_segment_fixed_size: 0
    .sgpr_count:     38
    .sgpr_spill_count: 0
    .symbol:         _ZN7rocprim17ROCPRIM_400000_NS6detail17trampoline_kernelINS0_14default_configENS1_25partition_config_selectorILNS1_17partition_subalgoE8ElNS0_10empty_typeEbEEZZNS1_14partition_implILS5_8ELb0ES3_jPlPS6_PKS6_NS0_5tupleIJS9_S6_EEENSD_IJSA_SA_EEENS0_18inequality_wrapperIZN2at6native12_GLOBAL__N_124unique_dim_cuda_templateImEESt5tupleIJNSH_6TensorESM_SM_EERKSM_lbbbEUlllE0_EEPmJS6_EEE10hipError_tPvRmT3_T4_T5_T6_T7_T9_mT8_P12ihipStream_tbDpT10_ENKUlT_T0_E_clISt17integral_constantIbLb1EES1B_IbLb0EEEEDaS17_S18_EUlS17_E_NS1_11comp_targetILNS1_3genE9ELNS1_11target_archE1100ELNS1_3gpuE3ELNS1_3repE0EEENS1_30default_config_static_selectorELNS0_4arch9wavefront6targetE0EEEvT1_.kd
    .uniform_work_group_size: 1
    .uses_dynamic_stack: false
    .vgpr_count:     52
    .vgpr_spill_count: 0
    .wavefront_size: 32
    .workgroup_processor_mode: 1
  - .args:
      - .offset:         0
        .size:           120
        .value_kind:     by_value
    .group_segment_fixed_size: 0
    .kernarg_segment_align: 8
    .kernarg_segment_size: 120
    .language:       OpenCL C
    .language_version:
      - 2
      - 0
    .max_flat_workgroup_size: 512
    .name:           _ZN7rocprim17ROCPRIM_400000_NS6detail17trampoline_kernelINS0_14default_configENS1_25partition_config_selectorILNS1_17partition_subalgoE8ElNS0_10empty_typeEbEEZZNS1_14partition_implILS5_8ELb0ES3_jPlPS6_PKS6_NS0_5tupleIJS9_S6_EEENSD_IJSA_SA_EEENS0_18inequality_wrapperIZN2at6native12_GLOBAL__N_124unique_dim_cuda_templateImEESt5tupleIJNSH_6TensorESM_SM_EERKSM_lbbbEUlllE0_EEPmJS6_EEE10hipError_tPvRmT3_T4_T5_T6_T7_T9_mT8_P12ihipStream_tbDpT10_ENKUlT_T0_E_clISt17integral_constantIbLb1EES1B_IbLb0EEEEDaS17_S18_EUlS17_E_NS1_11comp_targetILNS1_3genE8ELNS1_11target_archE1030ELNS1_3gpuE2ELNS1_3repE0EEENS1_30default_config_static_selectorELNS0_4arch9wavefront6targetE0EEEvT1_
    .private_segment_fixed_size: 0
    .sgpr_count:     0
    .sgpr_spill_count: 0
    .symbol:         _ZN7rocprim17ROCPRIM_400000_NS6detail17trampoline_kernelINS0_14default_configENS1_25partition_config_selectorILNS1_17partition_subalgoE8ElNS0_10empty_typeEbEEZZNS1_14partition_implILS5_8ELb0ES3_jPlPS6_PKS6_NS0_5tupleIJS9_S6_EEENSD_IJSA_SA_EEENS0_18inequality_wrapperIZN2at6native12_GLOBAL__N_124unique_dim_cuda_templateImEESt5tupleIJNSH_6TensorESM_SM_EERKSM_lbbbEUlllE0_EEPmJS6_EEE10hipError_tPvRmT3_T4_T5_T6_T7_T9_mT8_P12ihipStream_tbDpT10_ENKUlT_T0_E_clISt17integral_constantIbLb1EES1B_IbLb0EEEEDaS17_S18_EUlS17_E_NS1_11comp_targetILNS1_3genE8ELNS1_11target_archE1030ELNS1_3gpuE2ELNS1_3repE0EEENS1_30default_config_static_selectorELNS0_4arch9wavefront6targetE0EEEvT1_.kd
    .uniform_work_group_size: 1
    .uses_dynamic_stack: false
    .vgpr_count:     0
    .vgpr_spill_count: 0
    .wavefront_size: 32
    .workgroup_processor_mode: 1
  - .args:
      - .offset:         0
        .size:           136
        .value_kind:     by_value
    .group_segment_fixed_size: 0
    .kernarg_segment_align: 8
    .kernarg_segment_size: 136
    .language:       OpenCL C
    .language_version:
      - 2
      - 0
    .max_flat_workgroup_size: 512
    .name:           _ZN7rocprim17ROCPRIM_400000_NS6detail17trampoline_kernelINS0_14default_configENS1_25partition_config_selectorILNS1_17partition_subalgoE8ElNS0_10empty_typeEbEEZZNS1_14partition_implILS5_8ELb0ES3_jPlPS6_PKS6_NS0_5tupleIJS9_S6_EEENSD_IJSA_SA_EEENS0_18inequality_wrapperIZN2at6native12_GLOBAL__N_124unique_dim_cuda_templateImEESt5tupleIJNSH_6TensorESM_SM_EERKSM_lbbbEUlllE0_EEPmJS6_EEE10hipError_tPvRmT3_T4_T5_T6_T7_T9_mT8_P12ihipStream_tbDpT10_ENKUlT_T0_E_clISt17integral_constantIbLb0EES1B_IbLb1EEEEDaS17_S18_EUlS17_E_NS1_11comp_targetILNS1_3genE0ELNS1_11target_archE4294967295ELNS1_3gpuE0ELNS1_3repE0EEENS1_30default_config_static_selectorELNS0_4arch9wavefront6targetE0EEEvT1_
    .private_segment_fixed_size: 0
    .sgpr_count:     0
    .sgpr_spill_count: 0
    .symbol:         _ZN7rocprim17ROCPRIM_400000_NS6detail17trampoline_kernelINS0_14default_configENS1_25partition_config_selectorILNS1_17partition_subalgoE8ElNS0_10empty_typeEbEEZZNS1_14partition_implILS5_8ELb0ES3_jPlPS6_PKS6_NS0_5tupleIJS9_S6_EEENSD_IJSA_SA_EEENS0_18inequality_wrapperIZN2at6native12_GLOBAL__N_124unique_dim_cuda_templateImEESt5tupleIJNSH_6TensorESM_SM_EERKSM_lbbbEUlllE0_EEPmJS6_EEE10hipError_tPvRmT3_T4_T5_T6_T7_T9_mT8_P12ihipStream_tbDpT10_ENKUlT_T0_E_clISt17integral_constantIbLb0EES1B_IbLb1EEEEDaS17_S18_EUlS17_E_NS1_11comp_targetILNS1_3genE0ELNS1_11target_archE4294967295ELNS1_3gpuE0ELNS1_3repE0EEENS1_30default_config_static_selectorELNS0_4arch9wavefront6targetE0EEEvT1_.kd
    .uniform_work_group_size: 1
    .uses_dynamic_stack: false
    .vgpr_count:     0
    .vgpr_spill_count: 0
    .wavefront_size: 32
    .workgroup_processor_mode: 1
  - .args:
      - .offset:         0
        .size:           136
        .value_kind:     by_value
    .group_segment_fixed_size: 0
    .kernarg_segment_align: 8
    .kernarg_segment_size: 136
    .language:       OpenCL C
    .language_version:
      - 2
      - 0
    .max_flat_workgroup_size: 512
    .name:           _ZN7rocprim17ROCPRIM_400000_NS6detail17trampoline_kernelINS0_14default_configENS1_25partition_config_selectorILNS1_17partition_subalgoE8ElNS0_10empty_typeEbEEZZNS1_14partition_implILS5_8ELb0ES3_jPlPS6_PKS6_NS0_5tupleIJS9_S6_EEENSD_IJSA_SA_EEENS0_18inequality_wrapperIZN2at6native12_GLOBAL__N_124unique_dim_cuda_templateImEESt5tupleIJNSH_6TensorESM_SM_EERKSM_lbbbEUlllE0_EEPmJS6_EEE10hipError_tPvRmT3_T4_T5_T6_T7_T9_mT8_P12ihipStream_tbDpT10_ENKUlT_T0_E_clISt17integral_constantIbLb0EES1B_IbLb1EEEEDaS17_S18_EUlS17_E_NS1_11comp_targetILNS1_3genE5ELNS1_11target_archE942ELNS1_3gpuE9ELNS1_3repE0EEENS1_30default_config_static_selectorELNS0_4arch9wavefront6targetE0EEEvT1_
    .private_segment_fixed_size: 0
    .sgpr_count:     0
    .sgpr_spill_count: 0
    .symbol:         _ZN7rocprim17ROCPRIM_400000_NS6detail17trampoline_kernelINS0_14default_configENS1_25partition_config_selectorILNS1_17partition_subalgoE8ElNS0_10empty_typeEbEEZZNS1_14partition_implILS5_8ELb0ES3_jPlPS6_PKS6_NS0_5tupleIJS9_S6_EEENSD_IJSA_SA_EEENS0_18inequality_wrapperIZN2at6native12_GLOBAL__N_124unique_dim_cuda_templateImEESt5tupleIJNSH_6TensorESM_SM_EERKSM_lbbbEUlllE0_EEPmJS6_EEE10hipError_tPvRmT3_T4_T5_T6_T7_T9_mT8_P12ihipStream_tbDpT10_ENKUlT_T0_E_clISt17integral_constantIbLb0EES1B_IbLb1EEEEDaS17_S18_EUlS17_E_NS1_11comp_targetILNS1_3genE5ELNS1_11target_archE942ELNS1_3gpuE9ELNS1_3repE0EEENS1_30default_config_static_selectorELNS0_4arch9wavefront6targetE0EEEvT1_.kd
    .uniform_work_group_size: 1
    .uses_dynamic_stack: false
    .vgpr_count:     0
    .vgpr_spill_count: 0
    .wavefront_size: 32
    .workgroup_processor_mode: 1
  - .args:
      - .offset:         0
        .size:           136
        .value_kind:     by_value
    .group_segment_fixed_size: 0
    .kernarg_segment_align: 8
    .kernarg_segment_size: 136
    .language:       OpenCL C
    .language_version:
      - 2
      - 0
    .max_flat_workgroup_size: 256
    .name:           _ZN7rocprim17ROCPRIM_400000_NS6detail17trampoline_kernelINS0_14default_configENS1_25partition_config_selectorILNS1_17partition_subalgoE8ElNS0_10empty_typeEbEEZZNS1_14partition_implILS5_8ELb0ES3_jPlPS6_PKS6_NS0_5tupleIJS9_S6_EEENSD_IJSA_SA_EEENS0_18inequality_wrapperIZN2at6native12_GLOBAL__N_124unique_dim_cuda_templateImEESt5tupleIJNSH_6TensorESM_SM_EERKSM_lbbbEUlllE0_EEPmJS6_EEE10hipError_tPvRmT3_T4_T5_T6_T7_T9_mT8_P12ihipStream_tbDpT10_ENKUlT_T0_E_clISt17integral_constantIbLb0EES1B_IbLb1EEEEDaS17_S18_EUlS17_E_NS1_11comp_targetILNS1_3genE4ELNS1_11target_archE910ELNS1_3gpuE8ELNS1_3repE0EEENS1_30default_config_static_selectorELNS0_4arch9wavefront6targetE0EEEvT1_
    .private_segment_fixed_size: 0
    .sgpr_count:     0
    .sgpr_spill_count: 0
    .symbol:         _ZN7rocprim17ROCPRIM_400000_NS6detail17trampoline_kernelINS0_14default_configENS1_25partition_config_selectorILNS1_17partition_subalgoE8ElNS0_10empty_typeEbEEZZNS1_14partition_implILS5_8ELb0ES3_jPlPS6_PKS6_NS0_5tupleIJS9_S6_EEENSD_IJSA_SA_EEENS0_18inequality_wrapperIZN2at6native12_GLOBAL__N_124unique_dim_cuda_templateImEESt5tupleIJNSH_6TensorESM_SM_EERKSM_lbbbEUlllE0_EEPmJS6_EEE10hipError_tPvRmT3_T4_T5_T6_T7_T9_mT8_P12ihipStream_tbDpT10_ENKUlT_T0_E_clISt17integral_constantIbLb0EES1B_IbLb1EEEEDaS17_S18_EUlS17_E_NS1_11comp_targetILNS1_3genE4ELNS1_11target_archE910ELNS1_3gpuE8ELNS1_3repE0EEENS1_30default_config_static_selectorELNS0_4arch9wavefront6targetE0EEEvT1_.kd
    .uniform_work_group_size: 1
    .uses_dynamic_stack: false
    .vgpr_count:     0
    .vgpr_spill_count: 0
    .wavefront_size: 32
    .workgroup_processor_mode: 1
  - .args:
      - .offset:         0
        .size:           136
        .value_kind:     by_value
    .group_segment_fixed_size: 0
    .kernarg_segment_align: 8
    .kernarg_segment_size: 136
    .language:       OpenCL C
    .language_version:
      - 2
      - 0
    .max_flat_workgroup_size: 512
    .name:           _ZN7rocprim17ROCPRIM_400000_NS6detail17trampoline_kernelINS0_14default_configENS1_25partition_config_selectorILNS1_17partition_subalgoE8ElNS0_10empty_typeEbEEZZNS1_14partition_implILS5_8ELb0ES3_jPlPS6_PKS6_NS0_5tupleIJS9_S6_EEENSD_IJSA_SA_EEENS0_18inequality_wrapperIZN2at6native12_GLOBAL__N_124unique_dim_cuda_templateImEESt5tupleIJNSH_6TensorESM_SM_EERKSM_lbbbEUlllE0_EEPmJS6_EEE10hipError_tPvRmT3_T4_T5_T6_T7_T9_mT8_P12ihipStream_tbDpT10_ENKUlT_T0_E_clISt17integral_constantIbLb0EES1B_IbLb1EEEEDaS17_S18_EUlS17_E_NS1_11comp_targetILNS1_3genE3ELNS1_11target_archE908ELNS1_3gpuE7ELNS1_3repE0EEENS1_30default_config_static_selectorELNS0_4arch9wavefront6targetE0EEEvT1_
    .private_segment_fixed_size: 0
    .sgpr_count:     0
    .sgpr_spill_count: 0
    .symbol:         _ZN7rocprim17ROCPRIM_400000_NS6detail17trampoline_kernelINS0_14default_configENS1_25partition_config_selectorILNS1_17partition_subalgoE8ElNS0_10empty_typeEbEEZZNS1_14partition_implILS5_8ELb0ES3_jPlPS6_PKS6_NS0_5tupleIJS9_S6_EEENSD_IJSA_SA_EEENS0_18inequality_wrapperIZN2at6native12_GLOBAL__N_124unique_dim_cuda_templateImEESt5tupleIJNSH_6TensorESM_SM_EERKSM_lbbbEUlllE0_EEPmJS6_EEE10hipError_tPvRmT3_T4_T5_T6_T7_T9_mT8_P12ihipStream_tbDpT10_ENKUlT_T0_E_clISt17integral_constantIbLb0EES1B_IbLb1EEEEDaS17_S18_EUlS17_E_NS1_11comp_targetILNS1_3genE3ELNS1_11target_archE908ELNS1_3gpuE7ELNS1_3repE0EEENS1_30default_config_static_selectorELNS0_4arch9wavefront6targetE0EEEvT1_.kd
    .uniform_work_group_size: 1
    .uses_dynamic_stack: false
    .vgpr_count:     0
    .vgpr_spill_count: 0
    .wavefront_size: 32
    .workgroup_processor_mode: 1
  - .args:
      - .offset:         0
        .size:           136
        .value_kind:     by_value
    .group_segment_fixed_size: 0
    .kernarg_segment_align: 8
    .kernarg_segment_size: 136
    .language:       OpenCL C
    .language_version:
      - 2
      - 0
    .max_flat_workgroup_size: 256
    .name:           _ZN7rocprim17ROCPRIM_400000_NS6detail17trampoline_kernelINS0_14default_configENS1_25partition_config_selectorILNS1_17partition_subalgoE8ElNS0_10empty_typeEbEEZZNS1_14partition_implILS5_8ELb0ES3_jPlPS6_PKS6_NS0_5tupleIJS9_S6_EEENSD_IJSA_SA_EEENS0_18inequality_wrapperIZN2at6native12_GLOBAL__N_124unique_dim_cuda_templateImEESt5tupleIJNSH_6TensorESM_SM_EERKSM_lbbbEUlllE0_EEPmJS6_EEE10hipError_tPvRmT3_T4_T5_T6_T7_T9_mT8_P12ihipStream_tbDpT10_ENKUlT_T0_E_clISt17integral_constantIbLb0EES1B_IbLb1EEEEDaS17_S18_EUlS17_E_NS1_11comp_targetILNS1_3genE2ELNS1_11target_archE906ELNS1_3gpuE6ELNS1_3repE0EEENS1_30default_config_static_selectorELNS0_4arch9wavefront6targetE0EEEvT1_
    .private_segment_fixed_size: 0
    .sgpr_count:     0
    .sgpr_spill_count: 0
    .symbol:         _ZN7rocprim17ROCPRIM_400000_NS6detail17trampoline_kernelINS0_14default_configENS1_25partition_config_selectorILNS1_17partition_subalgoE8ElNS0_10empty_typeEbEEZZNS1_14partition_implILS5_8ELb0ES3_jPlPS6_PKS6_NS0_5tupleIJS9_S6_EEENSD_IJSA_SA_EEENS0_18inequality_wrapperIZN2at6native12_GLOBAL__N_124unique_dim_cuda_templateImEESt5tupleIJNSH_6TensorESM_SM_EERKSM_lbbbEUlllE0_EEPmJS6_EEE10hipError_tPvRmT3_T4_T5_T6_T7_T9_mT8_P12ihipStream_tbDpT10_ENKUlT_T0_E_clISt17integral_constantIbLb0EES1B_IbLb1EEEEDaS17_S18_EUlS17_E_NS1_11comp_targetILNS1_3genE2ELNS1_11target_archE906ELNS1_3gpuE6ELNS1_3repE0EEENS1_30default_config_static_selectorELNS0_4arch9wavefront6targetE0EEEvT1_.kd
    .uniform_work_group_size: 1
    .uses_dynamic_stack: false
    .vgpr_count:     0
    .vgpr_spill_count: 0
    .wavefront_size: 32
    .workgroup_processor_mode: 1
  - .args:
      - .offset:         0
        .size:           136
        .value_kind:     by_value
    .group_segment_fixed_size: 0
    .kernarg_segment_align: 8
    .kernarg_segment_size: 136
    .language:       OpenCL C
    .language_version:
      - 2
      - 0
    .max_flat_workgroup_size: 384
    .name:           _ZN7rocprim17ROCPRIM_400000_NS6detail17trampoline_kernelINS0_14default_configENS1_25partition_config_selectorILNS1_17partition_subalgoE8ElNS0_10empty_typeEbEEZZNS1_14partition_implILS5_8ELb0ES3_jPlPS6_PKS6_NS0_5tupleIJS9_S6_EEENSD_IJSA_SA_EEENS0_18inequality_wrapperIZN2at6native12_GLOBAL__N_124unique_dim_cuda_templateImEESt5tupleIJNSH_6TensorESM_SM_EERKSM_lbbbEUlllE0_EEPmJS6_EEE10hipError_tPvRmT3_T4_T5_T6_T7_T9_mT8_P12ihipStream_tbDpT10_ENKUlT_T0_E_clISt17integral_constantIbLb0EES1B_IbLb1EEEEDaS17_S18_EUlS17_E_NS1_11comp_targetILNS1_3genE10ELNS1_11target_archE1200ELNS1_3gpuE4ELNS1_3repE0EEENS1_30default_config_static_selectorELNS0_4arch9wavefront6targetE0EEEvT1_
    .private_segment_fixed_size: 0
    .sgpr_count:     0
    .sgpr_spill_count: 0
    .symbol:         _ZN7rocprim17ROCPRIM_400000_NS6detail17trampoline_kernelINS0_14default_configENS1_25partition_config_selectorILNS1_17partition_subalgoE8ElNS0_10empty_typeEbEEZZNS1_14partition_implILS5_8ELb0ES3_jPlPS6_PKS6_NS0_5tupleIJS9_S6_EEENSD_IJSA_SA_EEENS0_18inequality_wrapperIZN2at6native12_GLOBAL__N_124unique_dim_cuda_templateImEESt5tupleIJNSH_6TensorESM_SM_EERKSM_lbbbEUlllE0_EEPmJS6_EEE10hipError_tPvRmT3_T4_T5_T6_T7_T9_mT8_P12ihipStream_tbDpT10_ENKUlT_T0_E_clISt17integral_constantIbLb0EES1B_IbLb1EEEEDaS17_S18_EUlS17_E_NS1_11comp_targetILNS1_3genE10ELNS1_11target_archE1200ELNS1_3gpuE4ELNS1_3repE0EEENS1_30default_config_static_selectorELNS0_4arch9wavefront6targetE0EEEvT1_.kd
    .uniform_work_group_size: 1
    .uses_dynamic_stack: false
    .vgpr_count:     0
    .vgpr_spill_count: 0
    .wavefront_size: 32
    .workgroup_processor_mode: 1
  - .args:
      - .offset:         0
        .size:           136
        .value_kind:     by_value
    .group_segment_fixed_size: 33804
    .kernarg_segment_align: 8
    .kernarg_segment_size: 136
    .language:       OpenCL C
    .language_version:
      - 2
      - 0
    .max_flat_workgroup_size: 512
    .name:           _ZN7rocprim17ROCPRIM_400000_NS6detail17trampoline_kernelINS0_14default_configENS1_25partition_config_selectorILNS1_17partition_subalgoE8ElNS0_10empty_typeEbEEZZNS1_14partition_implILS5_8ELb0ES3_jPlPS6_PKS6_NS0_5tupleIJS9_S6_EEENSD_IJSA_SA_EEENS0_18inequality_wrapperIZN2at6native12_GLOBAL__N_124unique_dim_cuda_templateImEESt5tupleIJNSH_6TensorESM_SM_EERKSM_lbbbEUlllE0_EEPmJS6_EEE10hipError_tPvRmT3_T4_T5_T6_T7_T9_mT8_P12ihipStream_tbDpT10_ENKUlT_T0_E_clISt17integral_constantIbLb0EES1B_IbLb1EEEEDaS17_S18_EUlS17_E_NS1_11comp_targetILNS1_3genE9ELNS1_11target_archE1100ELNS1_3gpuE3ELNS1_3repE0EEENS1_30default_config_static_selectorELNS0_4arch9wavefront6targetE0EEEvT1_
    .private_segment_fixed_size: 0
    .sgpr_count:     40
    .sgpr_spill_count: 0
    .symbol:         _ZN7rocprim17ROCPRIM_400000_NS6detail17trampoline_kernelINS0_14default_configENS1_25partition_config_selectorILNS1_17partition_subalgoE8ElNS0_10empty_typeEbEEZZNS1_14partition_implILS5_8ELb0ES3_jPlPS6_PKS6_NS0_5tupleIJS9_S6_EEENSD_IJSA_SA_EEENS0_18inequality_wrapperIZN2at6native12_GLOBAL__N_124unique_dim_cuda_templateImEESt5tupleIJNSH_6TensorESM_SM_EERKSM_lbbbEUlllE0_EEPmJS6_EEE10hipError_tPvRmT3_T4_T5_T6_T7_T9_mT8_P12ihipStream_tbDpT10_ENKUlT_T0_E_clISt17integral_constantIbLb0EES1B_IbLb1EEEEDaS17_S18_EUlS17_E_NS1_11comp_targetILNS1_3genE9ELNS1_11target_archE1100ELNS1_3gpuE3ELNS1_3repE0EEENS1_30default_config_static_selectorELNS0_4arch9wavefront6targetE0EEEvT1_.kd
    .uniform_work_group_size: 1
    .uses_dynamic_stack: false
    .vgpr_count:     52
    .vgpr_spill_count: 0
    .wavefront_size: 32
    .workgroup_processor_mode: 1
  - .args:
      - .offset:         0
        .size:           136
        .value_kind:     by_value
    .group_segment_fixed_size: 0
    .kernarg_segment_align: 8
    .kernarg_segment_size: 136
    .language:       OpenCL C
    .language_version:
      - 2
      - 0
    .max_flat_workgroup_size: 512
    .name:           _ZN7rocprim17ROCPRIM_400000_NS6detail17trampoline_kernelINS0_14default_configENS1_25partition_config_selectorILNS1_17partition_subalgoE8ElNS0_10empty_typeEbEEZZNS1_14partition_implILS5_8ELb0ES3_jPlPS6_PKS6_NS0_5tupleIJS9_S6_EEENSD_IJSA_SA_EEENS0_18inequality_wrapperIZN2at6native12_GLOBAL__N_124unique_dim_cuda_templateImEESt5tupleIJNSH_6TensorESM_SM_EERKSM_lbbbEUlllE0_EEPmJS6_EEE10hipError_tPvRmT3_T4_T5_T6_T7_T9_mT8_P12ihipStream_tbDpT10_ENKUlT_T0_E_clISt17integral_constantIbLb0EES1B_IbLb1EEEEDaS17_S18_EUlS17_E_NS1_11comp_targetILNS1_3genE8ELNS1_11target_archE1030ELNS1_3gpuE2ELNS1_3repE0EEENS1_30default_config_static_selectorELNS0_4arch9wavefront6targetE0EEEvT1_
    .private_segment_fixed_size: 0
    .sgpr_count:     0
    .sgpr_spill_count: 0
    .symbol:         _ZN7rocprim17ROCPRIM_400000_NS6detail17trampoline_kernelINS0_14default_configENS1_25partition_config_selectorILNS1_17partition_subalgoE8ElNS0_10empty_typeEbEEZZNS1_14partition_implILS5_8ELb0ES3_jPlPS6_PKS6_NS0_5tupleIJS9_S6_EEENSD_IJSA_SA_EEENS0_18inequality_wrapperIZN2at6native12_GLOBAL__N_124unique_dim_cuda_templateImEESt5tupleIJNSH_6TensorESM_SM_EERKSM_lbbbEUlllE0_EEPmJS6_EEE10hipError_tPvRmT3_T4_T5_T6_T7_T9_mT8_P12ihipStream_tbDpT10_ENKUlT_T0_E_clISt17integral_constantIbLb0EES1B_IbLb1EEEEDaS17_S18_EUlS17_E_NS1_11comp_targetILNS1_3genE8ELNS1_11target_archE1030ELNS1_3gpuE2ELNS1_3repE0EEENS1_30default_config_static_selectorELNS0_4arch9wavefront6targetE0EEEvT1_.kd
    .uniform_work_group_size: 1
    .uses_dynamic_stack: false
    .vgpr_count:     0
    .vgpr_spill_count: 0
    .wavefront_size: 32
    .workgroup_processor_mode: 1
  - .args:
      - .offset:         0
        .size:           120
        .value_kind:     by_value
    .group_segment_fixed_size: 0
    .kernarg_segment_align: 8
    .kernarg_segment_size: 120
    .language:       OpenCL C
    .language_version:
      - 2
      - 0
    .max_flat_workgroup_size: 128
    .name:           _ZN7rocprim17ROCPRIM_400000_NS6detail17trampoline_kernelINS0_14default_configENS1_25partition_config_selectorILNS1_17partition_subalgoE9EllbEEZZNS1_14partition_implILS5_9ELb0ES3_jPlS8_PNS0_10empty_typeENS0_5tupleIJS8_S9_EEENSB_IJS8_SA_EEENS0_18inequality_wrapperIZN2at6native12_GLOBAL__N_124unique_dim_cuda_templateImEESt5tupleIJNSF_6TensorESK_SK_EERKSK_lbbbEUlllE0_EEPmJS9_EEE10hipError_tPvRmT3_T4_T5_T6_T7_T9_mT8_P12ihipStream_tbDpT10_ENKUlT_T0_E_clISt17integral_constantIbLb0EES1A_EEDaS15_S16_EUlS15_E_NS1_11comp_targetILNS1_3genE0ELNS1_11target_archE4294967295ELNS1_3gpuE0ELNS1_3repE0EEENS1_30default_config_static_selectorELNS0_4arch9wavefront6targetE0EEEvT1_
    .private_segment_fixed_size: 0
    .sgpr_count:     0
    .sgpr_spill_count: 0
    .symbol:         _ZN7rocprim17ROCPRIM_400000_NS6detail17trampoline_kernelINS0_14default_configENS1_25partition_config_selectorILNS1_17partition_subalgoE9EllbEEZZNS1_14partition_implILS5_9ELb0ES3_jPlS8_PNS0_10empty_typeENS0_5tupleIJS8_S9_EEENSB_IJS8_SA_EEENS0_18inequality_wrapperIZN2at6native12_GLOBAL__N_124unique_dim_cuda_templateImEESt5tupleIJNSF_6TensorESK_SK_EERKSK_lbbbEUlllE0_EEPmJS9_EEE10hipError_tPvRmT3_T4_T5_T6_T7_T9_mT8_P12ihipStream_tbDpT10_ENKUlT_T0_E_clISt17integral_constantIbLb0EES1A_EEDaS15_S16_EUlS15_E_NS1_11comp_targetILNS1_3genE0ELNS1_11target_archE4294967295ELNS1_3gpuE0ELNS1_3repE0EEENS1_30default_config_static_selectorELNS0_4arch9wavefront6targetE0EEEvT1_.kd
    .uniform_work_group_size: 1
    .uses_dynamic_stack: false
    .vgpr_count:     0
    .vgpr_spill_count: 0
    .wavefront_size: 32
    .workgroup_processor_mode: 1
  - .args:
      - .offset:         0
        .size:           120
        .value_kind:     by_value
    .group_segment_fixed_size: 0
    .kernarg_segment_align: 8
    .kernarg_segment_size: 120
    .language:       OpenCL C
    .language_version:
      - 2
      - 0
    .max_flat_workgroup_size: 512
    .name:           _ZN7rocprim17ROCPRIM_400000_NS6detail17trampoline_kernelINS0_14default_configENS1_25partition_config_selectorILNS1_17partition_subalgoE9EllbEEZZNS1_14partition_implILS5_9ELb0ES3_jPlS8_PNS0_10empty_typeENS0_5tupleIJS8_S9_EEENSB_IJS8_SA_EEENS0_18inequality_wrapperIZN2at6native12_GLOBAL__N_124unique_dim_cuda_templateImEESt5tupleIJNSF_6TensorESK_SK_EERKSK_lbbbEUlllE0_EEPmJS9_EEE10hipError_tPvRmT3_T4_T5_T6_T7_T9_mT8_P12ihipStream_tbDpT10_ENKUlT_T0_E_clISt17integral_constantIbLb0EES1A_EEDaS15_S16_EUlS15_E_NS1_11comp_targetILNS1_3genE5ELNS1_11target_archE942ELNS1_3gpuE9ELNS1_3repE0EEENS1_30default_config_static_selectorELNS0_4arch9wavefront6targetE0EEEvT1_
    .private_segment_fixed_size: 0
    .sgpr_count:     0
    .sgpr_spill_count: 0
    .symbol:         _ZN7rocprim17ROCPRIM_400000_NS6detail17trampoline_kernelINS0_14default_configENS1_25partition_config_selectorILNS1_17partition_subalgoE9EllbEEZZNS1_14partition_implILS5_9ELb0ES3_jPlS8_PNS0_10empty_typeENS0_5tupleIJS8_S9_EEENSB_IJS8_SA_EEENS0_18inequality_wrapperIZN2at6native12_GLOBAL__N_124unique_dim_cuda_templateImEESt5tupleIJNSF_6TensorESK_SK_EERKSK_lbbbEUlllE0_EEPmJS9_EEE10hipError_tPvRmT3_T4_T5_T6_T7_T9_mT8_P12ihipStream_tbDpT10_ENKUlT_T0_E_clISt17integral_constantIbLb0EES1A_EEDaS15_S16_EUlS15_E_NS1_11comp_targetILNS1_3genE5ELNS1_11target_archE942ELNS1_3gpuE9ELNS1_3repE0EEENS1_30default_config_static_selectorELNS0_4arch9wavefront6targetE0EEEvT1_.kd
    .uniform_work_group_size: 1
    .uses_dynamic_stack: false
    .vgpr_count:     0
    .vgpr_spill_count: 0
    .wavefront_size: 32
    .workgroup_processor_mode: 1
  - .args:
      - .offset:         0
        .size:           120
        .value_kind:     by_value
    .group_segment_fixed_size: 0
    .kernarg_segment_align: 8
    .kernarg_segment_size: 120
    .language:       OpenCL C
    .language_version:
      - 2
      - 0
    .max_flat_workgroup_size: 128
    .name:           _ZN7rocprim17ROCPRIM_400000_NS6detail17trampoline_kernelINS0_14default_configENS1_25partition_config_selectorILNS1_17partition_subalgoE9EllbEEZZNS1_14partition_implILS5_9ELb0ES3_jPlS8_PNS0_10empty_typeENS0_5tupleIJS8_S9_EEENSB_IJS8_SA_EEENS0_18inequality_wrapperIZN2at6native12_GLOBAL__N_124unique_dim_cuda_templateImEESt5tupleIJNSF_6TensorESK_SK_EERKSK_lbbbEUlllE0_EEPmJS9_EEE10hipError_tPvRmT3_T4_T5_T6_T7_T9_mT8_P12ihipStream_tbDpT10_ENKUlT_T0_E_clISt17integral_constantIbLb0EES1A_EEDaS15_S16_EUlS15_E_NS1_11comp_targetILNS1_3genE4ELNS1_11target_archE910ELNS1_3gpuE8ELNS1_3repE0EEENS1_30default_config_static_selectorELNS0_4arch9wavefront6targetE0EEEvT1_
    .private_segment_fixed_size: 0
    .sgpr_count:     0
    .sgpr_spill_count: 0
    .symbol:         _ZN7rocprim17ROCPRIM_400000_NS6detail17trampoline_kernelINS0_14default_configENS1_25partition_config_selectorILNS1_17partition_subalgoE9EllbEEZZNS1_14partition_implILS5_9ELb0ES3_jPlS8_PNS0_10empty_typeENS0_5tupleIJS8_S9_EEENSB_IJS8_SA_EEENS0_18inequality_wrapperIZN2at6native12_GLOBAL__N_124unique_dim_cuda_templateImEESt5tupleIJNSF_6TensorESK_SK_EERKSK_lbbbEUlllE0_EEPmJS9_EEE10hipError_tPvRmT3_T4_T5_T6_T7_T9_mT8_P12ihipStream_tbDpT10_ENKUlT_T0_E_clISt17integral_constantIbLb0EES1A_EEDaS15_S16_EUlS15_E_NS1_11comp_targetILNS1_3genE4ELNS1_11target_archE910ELNS1_3gpuE8ELNS1_3repE0EEENS1_30default_config_static_selectorELNS0_4arch9wavefront6targetE0EEEvT1_.kd
    .uniform_work_group_size: 1
    .uses_dynamic_stack: false
    .vgpr_count:     0
    .vgpr_spill_count: 0
    .wavefront_size: 32
    .workgroup_processor_mode: 1
  - .args:
      - .offset:         0
        .size:           120
        .value_kind:     by_value
    .group_segment_fixed_size: 0
    .kernarg_segment_align: 8
    .kernarg_segment_size: 120
    .language:       OpenCL C
    .language_version:
      - 2
      - 0
    .max_flat_workgroup_size: 128
    .name:           _ZN7rocprim17ROCPRIM_400000_NS6detail17trampoline_kernelINS0_14default_configENS1_25partition_config_selectorILNS1_17partition_subalgoE9EllbEEZZNS1_14partition_implILS5_9ELb0ES3_jPlS8_PNS0_10empty_typeENS0_5tupleIJS8_S9_EEENSB_IJS8_SA_EEENS0_18inequality_wrapperIZN2at6native12_GLOBAL__N_124unique_dim_cuda_templateImEESt5tupleIJNSF_6TensorESK_SK_EERKSK_lbbbEUlllE0_EEPmJS9_EEE10hipError_tPvRmT3_T4_T5_T6_T7_T9_mT8_P12ihipStream_tbDpT10_ENKUlT_T0_E_clISt17integral_constantIbLb0EES1A_EEDaS15_S16_EUlS15_E_NS1_11comp_targetILNS1_3genE3ELNS1_11target_archE908ELNS1_3gpuE7ELNS1_3repE0EEENS1_30default_config_static_selectorELNS0_4arch9wavefront6targetE0EEEvT1_
    .private_segment_fixed_size: 0
    .sgpr_count:     0
    .sgpr_spill_count: 0
    .symbol:         _ZN7rocprim17ROCPRIM_400000_NS6detail17trampoline_kernelINS0_14default_configENS1_25partition_config_selectorILNS1_17partition_subalgoE9EllbEEZZNS1_14partition_implILS5_9ELb0ES3_jPlS8_PNS0_10empty_typeENS0_5tupleIJS8_S9_EEENSB_IJS8_SA_EEENS0_18inequality_wrapperIZN2at6native12_GLOBAL__N_124unique_dim_cuda_templateImEESt5tupleIJNSF_6TensorESK_SK_EERKSK_lbbbEUlllE0_EEPmJS9_EEE10hipError_tPvRmT3_T4_T5_T6_T7_T9_mT8_P12ihipStream_tbDpT10_ENKUlT_T0_E_clISt17integral_constantIbLb0EES1A_EEDaS15_S16_EUlS15_E_NS1_11comp_targetILNS1_3genE3ELNS1_11target_archE908ELNS1_3gpuE7ELNS1_3repE0EEENS1_30default_config_static_selectorELNS0_4arch9wavefront6targetE0EEEvT1_.kd
    .uniform_work_group_size: 1
    .uses_dynamic_stack: false
    .vgpr_count:     0
    .vgpr_spill_count: 0
    .wavefront_size: 32
    .workgroup_processor_mode: 1
  - .args:
      - .offset:         0
        .size:           120
        .value_kind:     by_value
    .group_segment_fixed_size: 0
    .kernarg_segment_align: 8
    .kernarg_segment_size: 120
    .language:       OpenCL C
    .language_version:
      - 2
      - 0
    .max_flat_workgroup_size: 192
    .name:           _ZN7rocprim17ROCPRIM_400000_NS6detail17trampoline_kernelINS0_14default_configENS1_25partition_config_selectorILNS1_17partition_subalgoE9EllbEEZZNS1_14partition_implILS5_9ELb0ES3_jPlS8_PNS0_10empty_typeENS0_5tupleIJS8_S9_EEENSB_IJS8_SA_EEENS0_18inequality_wrapperIZN2at6native12_GLOBAL__N_124unique_dim_cuda_templateImEESt5tupleIJNSF_6TensorESK_SK_EERKSK_lbbbEUlllE0_EEPmJS9_EEE10hipError_tPvRmT3_T4_T5_T6_T7_T9_mT8_P12ihipStream_tbDpT10_ENKUlT_T0_E_clISt17integral_constantIbLb0EES1A_EEDaS15_S16_EUlS15_E_NS1_11comp_targetILNS1_3genE2ELNS1_11target_archE906ELNS1_3gpuE6ELNS1_3repE0EEENS1_30default_config_static_selectorELNS0_4arch9wavefront6targetE0EEEvT1_
    .private_segment_fixed_size: 0
    .sgpr_count:     0
    .sgpr_spill_count: 0
    .symbol:         _ZN7rocprim17ROCPRIM_400000_NS6detail17trampoline_kernelINS0_14default_configENS1_25partition_config_selectorILNS1_17partition_subalgoE9EllbEEZZNS1_14partition_implILS5_9ELb0ES3_jPlS8_PNS0_10empty_typeENS0_5tupleIJS8_S9_EEENSB_IJS8_SA_EEENS0_18inequality_wrapperIZN2at6native12_GLOBAL__N_124unique_dim_cuda_templateImEESt5tupleIJNSF_6TensorESK_SK_EERKSK_lbbbEUlllE0_EEPmJS9_EEE10hipError_tPvRmT3_T4_T5_T6_T7_T9_mT8_P12ihipStream_tbDpT10_ENKUlT_T0_E_clISt17integral_constantIbLb0EES1A_EEDaS15_S16_EUlS15_E_NS1_11comp_targetILNS1_3genE2ELNS1_11target_archE906ELNS1_3gpuE6ELNS1_3repE0EEENS1_30default_config_static_selectorELNS0_4arch9wavefront6targetE0EEEvT1_.kd
    .uniform_work_group_size: 1
    .uses_dynamic_stack: false
    .vgpr_count:     0
    .vgpr_spill_count: 0
    .wavefront_size: 32
    .workgroup_processor_mode: 1
  - .args:
      - .offset:         0
        .size:           120
        .value_kind:     by_value
    .group_segment_fixed_size: 0
    .kernarg_segment_align: 8
    .kernarg_segment_size: 120
    .language:       OpenCL C
    .language_version:
      - 2
      - 0
    .max_flat_workgroup_size: 384
    .name:           _ZN7rocprim17ROCPRIM_400000_NS6detail17trampoline_kernelINS0_14default_configENS1_25partition_config_selectorILNS1_17partition_subalgoE9EllbEEZZNS1_14partition_implILS5_9ELb0ES3_jPlS8_PNS0_10empty_typeENS0_5tupleIJS8_S9_EEENSB_IJS8_SA_EEENS0_18inequality_wrapperIZN2at6native12_GLOBAL__N_124unique_dim_cuda_templateImEESt5tupleIJNSF_6TensorESK_SK_EERKSK_lbbbEUlllE0_EEPmJS9_EEE10hipError_tPvRmT3_T4_T5_T6_T7_T9_mT8_P12ihipStream_tbDpT10_ENKUlT_T0_E_clISt17integral_constantIbLb0EES1A_EEDaS15_S16_EUlS15_E_NS1_11comp_targetILNS1_3genE10ELNS1_11target_archE1200ELNS1_3gpuE4ELNS1_3repE0EEENS1_30default_config_static_selectorELNS0_4arch9wavefront6targetE0EEEvT1_
    .private_segment_fixed_size: 0
    .sgpr_count:     0
    .sgpr_spill_count: 0
    .symbol:         _ZN7rocprim17ROCPRIM_400000_NS6detail17trampoline_kernelINS0_14default_configENS1_25partition_config_selectorILNS1_17partition_subalgoE9EllbEEZZNS1_14partition_implILS5_9ELb0ES3_jPlS8_PNS0_10empty_typeENS0_5tupleIJS8_S9_EEENSB_IJS8_SA_EEENS0_18inequality_wrapperIZN2at6native12_GLOBAL__N_124unique_dim_cuda_templateImEESt5tupleIJNSF_6TensorESK_SK_EERKSK_lbbbEUlllE0_EEPmJS9_EEE10hipError_tPvRmT3_T4_T5_T6_T7_T9_mT8_P12ihipStream_tbDpT10_ENKUlT_T0_E_clISt17integral_constantIbLb0EES1A_EEDaS15_S16_EUlS15_E_NS1_11comp_targetILNS1_3genE10ELNS1_11target_archE1200ELNS1_3gpuE4ELNS1_3repE0EEENS1_30default_config_static_selectorELNS0_4arch9wavefront6targetE0EEEvT1_.kd
    .uniform_work_group_size: 1
    .uses_dynamic_stack: false
    .vgpr_count:     0
    .vgpr_spill_count: 0
    .wavefront_size: 32
    .workgroup_processor_mode: 1
  - .args:
      - .offset:         0
        .size:           120
        .value_kind:     by_value
    .group_segment_fixed_size: 33804
    .kernarg_segment_align: 8
    .kernarg_segment_size: 120
    .language:       OpenCL C
    .language_version:
      - 2
      - 0
    .max_flat_workgroup_size: 512
    .name:           _ZN7rocprim17ROCPRIM_400000_NS6detail17trampoline_kernelINS0_14default_configENS1_25partition_config_selectorILNS1_17partition_subalgoE9EllbEEZZNS1_14partition_implILS5_9ELb0ES3_jPlS8_PNS0_10empty_typeENS0_5tupleIJS8_S9_EEENSB_IJS8_SA_EEENS0_18inequality_wrapperIZN2at6native12_GLOBAL__N_124unique_dim_cuda_templateImEESt5tupleIJNSF_6TensorESK_SK_EERKSK_lbbbEUlllE0_EEPmJS9_EEE10hipError_tPvRmT3_T4_T5_T6_T7_T9_mT8_P12ihipStream_tbDpT10_ENKUlT_T0_E_clISt17integral_constantIbLb0EES1A_EEDaS15_S16_EUlS15_E_NS1_11comp_targetILNS1_3genE9ELNS1_11target_archE1100ELNS1_3gpuE3ELNS1_3repE0EEENS1_30default_config_static_selectorELNS0_4arch9wavefront6targetE0EEEvT1_
    .private_segment_fixed_size: 0
    .sgpr_count:     38
    .sgpr_spill_count: 0
    .symbol:         _ZN7rocprim17ROCPRIM_400000_NS6detail17trampoline_kernelINS0_14default_configENS1_25partition_config_selectorILNS1_17partition_subalgoE9EllbEEZZNS1_14partition_implILS5_9ELb0ES3_jPlS8_PNS0_10empty_typeENS0_5tupleIJS8_S9_EEENSB_IJS8_SA_EEENS0_18inequality_wrapperIZN2at6native12_GLOBAL__N_124unique_dim_cuda_templateImEESt5tupleIJNSF_6TensorESK_SK_EERKSK_lbbbEUlllE0_EEPmJS9_EEE10hipError_tPvRmT3_T4_T5_T6_T7_T9_mT8_P12ihipStream_tbDpT10_ENKUlT_T0_E_clISt17integral_constantIbLb0EES1A_EEDaS15_S16_EUlS15_E_NS1_11comp_targetILNS1_3genE9ELNS1_11target_archE1100ELNS1_3gpuE3ELNS1_3repE0EEENS1_30default_config_static_selectorELNS0_4arch9wavefront6targetE0EEEvT1_.kd
    .uniform_work_group_size: 1
    .uses_dynamic_stack: false
    .vgpr_count:     68
    .vgpr_spill_count: 0
    .wavefront_size: 32
    .workgroup_processor_mode: 1
  - .args:
      - .offset:         0
        .size:           120
        .value_kind:     by_value
    .group_segment_fixed_size: 0
    .kernarg_segment_align: 8
    .kernarg_segment_size: 120
    .language:       OpenCL C
    .language_version:
      - 2
      - 0
    .max_flat_workgroup_size: 512
    .name:           _ZN7rocprim17ROCPRIM_400000_NS6detail17trampoline_kernelINS0_14default_configENS1_25partition_config_selectorILNS1_17partition_subalgoE9EllbEEZZNS1_14partition_implILS5_9ELb0ES3_jPlS8_PNS0_10empty_typeENS0_5tupleIJS8_S9_EEENSB_IJS8_SA_EEENS0_18inequality_wrapperIZN2at6native12_GLOBAL__N_124unique_dim_cuda_templateImEESt5tupleIJNSF_6TensorESK_SK_EERKSK_lbbbEUlllE0_EEPmJS9_EEE10hipError_tPvRmT3_T4_T5_T6_T7_T9_mT8_P12ihipStream_tbDpT10_ENKUlT_T0_E_clISt17integral_constantIbLb0EES1A_EEDaS15_S16_EUlS15_E_NS1_11comp_targetILNS1_3genE8ELNS1_11target_archE1030ELNS1_3gpuE2ELNS1_3repE0EEENS1_30default_config_static_selectorELNS0_4arch9wavefront6targetE0EEEvT1_
    .private_segment_fixed_size: 0
    .sgpr_count:     0
    .sgpr_spill_count: 0
    .symbol:         _ZN7rocprim17ROCPRIM_400000_NS6detail17trampoline_kernelINS0_14default_configENS1_25partition_config_selectorILNS1_17partition_subalgoE9EllbEEZZNS1_14partition_implILS5_9ELb0ES3_jPlS8_PNS0_10empty_typeENS0_5tupleIJS8_S9_EEENSB_IJS8_SA_EEENS0_18inequality_wrapperIZN2at6native12_GLOBAL__N_124unique_dim_cuda_templateImEESt5tupleIJNSF_6TensorESK_SK_EERKSK_lbbbEUlllE0_EEPmJS9_EEE10hipError_tPvRmT3_T4_T5_T6_T7_T9_mT8_P12ihipStream_tbDpT10_ENKUlT_T0_E_clISt17integral_constantIbLb0EES1A_EEDaS15_S16_EUlS15_E_NS1_11comp_targetILNS1_3genE8ELNS1_11target_archE1030ELNS1_3gpuE2ELNS1_3repE0EEENS1_30default_config_static_selectorELNS0_4arch9wavefront6targetE0EEEvT1_.kd
    .uniform_work_group_size: 1
    .uses_dynamic_stack: false
    .vgpr_count:     0
    .vgpr_spill_count: 0
    .wavefront_size: 32
    .workgroup_processor_mode: 1
  - .args:
      - .offset:         0
        .size:           136
        .value_kind:     by_value
    .group_segment_fixed_size: 0
    .kernarg_segment_align: 8
    .kernarg_segment_size: 136
    .language:       OpenCL C
    .language_version:
      - 2
      - 0
    .max_flat_workgroup_size: 128
    .name:           _ZN7rocprim17ROCPRIM_400000_NS6detail17trampoline_kernelINS0_14default_configENS1_25partition_config_selectorILNS1_17partition_subalgoE9EllbEEZZNS1_14partition_implILS5_9ELb0ES3_jPlS8_PNS0_10empty_typeENS0_5tupleIJS8_S9_EEENSB_IJS8_SA_EEENS0_18inequality_wrapperIZN2at6native12_GLOBAL__N_124unique_dim_cuda_templateImEESt5tupleIJNSF_6TensorESK_SK_EERKSK_lbbbEUlllE0_EEPmJS9_EEE10hipError_tPvRmT3_T4_T5_T6_T7_T9_mT8_P12ihipStream_tbDpT10_ENKUlT_T0_E_clISt17integral_constantIbLb1EES1A_EEDaS15_S16_EUlS15_E_NS1_11comp_targetILNS1_3genE0ELNS1_11target_archE4294967295ELNS1_3gpuE0ELNS1_3repE0EEENS1_30default_config_static_selectorELNS0_4arch9wavefront6targetE0EEEvT1_
    .private_segment_fixed_size: 0
    .sgpr_count:     0
    .sgpr_spill_count: 0
    .symbol:         _ZN7rocprim17ROCPRIM_400000_NS6detail17trampoline_kernelINS0_14default_configENS1_25partition_config_selectorILNS1_17partition_subalgoE9EllbEEZZNS1_14partition_implILS5_9ELb0ES3_jPlS8_PNS0_10empty_typeENS0_5tupleIJS8_S9_EEENSB_IJS8_SA_EEENS0_18inequality_wrapperIZN2at6native12_GLOBAL__N_124unique_dim_cuda_templateImEESt5tupleIJNSF_6TensorESK_SK_EERKSK_lbbbEUlllE0_EEPmJS9_EEE10hipError_tPvRmT3_T4_T5_T6_T7_T9_mT8_P12ihipStream_tbDpT10_ENKUlT_T0_E_clISt17integral_constantIbLb1EES1A_EEDaS15_S16_EUlS15_E_NS1_11comp_targetILNS1_3genE0ELNS1_11target_archE4294967295ELNS1_3gpuE0ELNS1_3repE0EEENS1_30default_config_static_selectorELNS0_4arch9wavefront6targetE0EEEvT1_.kd
    .uniform_work_group_size: 1
    .uses_dynamic_stack: false
    .vgpr_count:     0
    .vgpr_spill_count: 0
    .wavefront_size: 32
    .workgroup_processor_mode: 1
  - .args:
      - .offset:         0
        .size:           136
        .value_kind:     by_value
    .group_segment_fixed_size: 0
    .kernarg_segment_align: 8
    .kernarg_segment_size: 136
    .language:       OpenCL C
    .language_version:
      - 2
      - 0
    .max_flat_workgroup_size: 512
    .name:           _ZN7rocprim17ROCPRIM_400000_NS6detail17trampoline_kernelINS0_14default_configENS1_25partition_config_selectorILNS1_17partition_subalgoE9EllbEEZZNS1_14partition_implILS5_9ELb0ES3_jPlS8_PNS0_10empty_typeENS0_5tupleIJS8_S9_EEENSB_IJS8_SA_EEENS0_18inequality_wrapperIZN2at6native12_GLOBAL__N_124unique_dim_cuda_templateImEESt5tupleIJNSF_6TensorESK_SK_EERKSK_lbbbEUlllE0_EEPmJS9_EEE10hipError_tPvRmT3_T4_T5_T6_T7_T9_mT8_P12ihipStream_tbDpT10_ENKUlT_T0_E_clISt17integral_constantIbLb1EES1A_EEDaS15_S16_EUlS15_E_NS1_11comp_targetILNS1_3genE5ELNS1_11target_archE942ELNS1_3gpuE9ELNS1_3repE0EEENS1_30default_config_static_selectorELNS0_4arch9wavefront6targetE0EEEvT1_
    .private_segment_fixed_size: 0
    .sgpr_count:     0
    .sgpr_spill_count: 0
    .symbol:         _ZN7rocprim17ROCPRIM_400000_NS6detail17trampoline_kernelINS0_14default_configENS1_25partition_config_selectorILNS1_17partition_subalgoE9EllbEEZZNS1_14partition_implILS5_9ELb0ES3_jPlS8_PNS0_10empty_typeENS0_5tupleIJS8_S9_EEENSB_IJS8_SA_EEENS0_18inequality_wrapperIZN2at6native12_GLOBAL__N_124unique_dim_cuda_templateImEESt5tupleIJNSF_6TensorESK_SK_EERKSK_lbbbEUlllE0_EEPmJS9_EEE10hipError_tPvRmT3_T4_T5_T6_T7_T9_mT8_P12ihipStream_tbDpT10_ENKUlT_T0_E_clISt17integral_constantIbLb1EES1A_EEDaS15_S16_EUlS15_E_NS1_11comp_targetILNS1_3genE5ELNS1_11target_archE942ELNS1_3gpuE9ELNS1_3repE0EEENS1_30default_config_static_selectorELNS0_4arch9wavefront6targetE0EEEvT1_.kd
    .uniform_work_group_size: 1
    .uses_dynamic_stack: false
    .vgpr_count:     0
    .vgpr_spill_count: 0
    .wavefront_size: 32
    .workgroup_processor_mode: 1
  - .args:
      - .offset:         0
        .size:           136
        .value_kind:     by_value
    .group_segment_fixed_size: 0
    .kernarg_segment_align: 8
    .kernarg_segment_size: 136
    .language:       OpenCL C
    .language_version:
      - 2
      - 0
    .max_flat_workgroup_size: 128
    .name:           _ZN7rocprim17ROCPRIM_400000_NS6detail17trampoline_kernelINS0_14default_configENS1_25partition_config_selectorILNS1_17partition_subalgoE9EllbEEZZNS1_14partition_implILS5_9ELb0ES3_jPlS8_PNS0_10empty_typeENS0_5tupleIJS8_S9_EEENSB_IJS8_SA_EEENS0_18inequality_wrapperIZN2at6native12_GLOBAL__N_124unique_dim_cuda_templateImEESt5tupleIJNSF_6TensorESK_SK_EERKSK_lbbbEUlllE0_EEPmJS9_EEE10hipError_tPvRmT3_T4_T5_T6_T7_T9_mT8_P12ihipStream_tbDpT10_ENKUlT_T0_E_clISt17integral_constantIbLb1EES1A_EEDaS15_S16_EUlS15_E_NS1_11comp_targetILNS1_3genE4ELNS1_11target_archE910ELNS1_3gpuE8ELNS1_3repE0EEENS1_30default_config_static_selectorELNS0_4arch9wavefront6targetE0EEEvT1_
    .private_segment_fixed_size: 0
    .sgpr_count:     0
    .sgpr_spill_count: 0
    .symbol:         _ZN7rocprim17ROCPRIM_400000_NS6detail17trampoline_kernelINS0_14default_configENS1_25partition_config_selectorILNS1_17partition_subalgoE9EllbEEZZNS1_14partition_implILS5_9ELb0ES3_jPlS8_PNS0_10empty_typeENS0_5tupleIJS8_S9_EEENSB_IJS8_SA_EEENS0_18inequality_wrapperIZN2at6native12_GLOBAL__N_124unique_dim_cuda_templateImEESt5tupleIJNSF_6TensorESK_SK_EERKSK_lbbbEUlllE0_EEPmJS9_EEE10hipError_tPvRmT3_T4_T5_T6_T7_T9_mT8_P12ihipStream_tbDpT10_ENKUlT_T0_E_clISt17integral_constantIbLb1EES1A_EEDaS15_S16_EUlS15_E_NS1_11comp_targetILNS1_3genE4ELNS1_11target_archE910ELNS1_3gpuE8ELNS1_3repE0EEENS1_30default_config_static_selectorELNS0_4arch9wavefront6targetE0EEEvT1_.kd
    .uniform_work_group_size: 1
    .uses_dynamic_stack: false
    .vgpr_count:     0
    .vgpr_spill_count: 0
    .wavefront_size: 32
    .workgroup_processor_mode: 1
  - .args:
      - .offset:         0
        .size:           136
        .value_kind:     by_value
    .group_segment_fixed_size: 0
    .kernarg_segment_align: 8
    .kernarg_segment_size: 136
    .language:       OpenCL C
    .language_version:
      - 2
      - 0
    .max_flat_workgroup_size: 128
    .name:           _ZN7rocprim17ROCPRIM_400000_NS6detail17trampoline_kernelINS0_14default_configENS1_25partition_config_selectorILNS1_17partition_subalgoE9EllbEEZZNS1_14partition_implILS5_9ELb0ES3_jPlS8_PNS0_10empty_typeENS0_5tupleIJS8_S9_EEENSB_IJS8_SA_EEENS0_18inequality_wrapperIZN2at6native12_GLOBAL__N_124unique_dim_cuda_templateImEESt5tupleIJNSF_6TensorESK_SK_EERKSK_lbbbEUlllE0_EEPmJS9_EEE10hipError_tPvRmT3_T4_T5_T6_T7_T9_mT8_P12ihipStream_tbDpT10_ENKUlT_T0_E_clISt17integral_constantIbLb1EES1A_EEDaS15_S16_EUlS15_E_NS1_11comp_targetILNS1_3genE3ELNS1_11target_archE908ELNS1_3gpuE7ELNS1_3repE0EEENS1_30default_config_static_selectorELNS0_4arch9wavefront6targetE0EEEvT1_
    .private_segment_fixed_size: 0
    .sgpr_count:     0
    .sgpr_spill_count: 0
    .symbol:         _ZN7rocprim17ROCPRIM_400000_NS6detail17trampoline_kernelINS0_14default_configENS1_25partition_config_selectorILNS1_17partition_subalgoE9EllbEEZZNS1_14partition_implILS5_9ELb0ES3_jPlS8_PNS0_10empty_typeENS0_5tupleIJS8_S9_EEENSB_IJS8_SA_EEENS0_18inequality_wrapperIZN2at6native12_GLOBAL__N_124unique_dim_cuda_templateImEESt5tupleIJNSF_6TensorESK_SK_EERKSK_lbbbEUlllE0_EEPmJS9_EEE10hipError_tPvRmT3_T4_T5_T6_T7_T9_mT8_P12ihipStream_tbDpT10_ENKUlT_T0_E_clISt17integral_constantIbLb1EES1A_EEDaS15_S16_EUlS15_E_NS1_11comp_targetILNS1_3genE3ELNS1_11target_archE908ELNS1_3gpuE7ELNS1_3repE0EEENS1_30default_config_static_selectorELNS0_4arch9wavefront6targetE0EEEvT1_.kd
    .uniform_work_group_size: 1
    .uses_dynamic_stack: false
    .vgpr_count:     0
    .vgpr_spill_count: 0
    .wavefront_size: 32
    .workgroup_processor_mode: 1
  - .args:
      - .offset:         0
        .size:           136
        .value_kind:     by_value
    .group_segment_fixed_size: 0
    .kernarg_segment_align: 8
    .kernarg_segment_size: 136
    .language:       OpenCL C
    .language_version:
      - 2
      - 0
    .max_flat_workgroup_size: 192
    .name:           _ZN7rocprim17ROCPRIM_400000_NS6detail17trampoline_kernelINS0_14default_configENS1_25partition_config_selectorILNS1_17partition_subalgoE9EllbEEZZNS1_14partition_implILS5_9ELb0ES3_jPlS8_PNS0_10empty_typeENS0_5tupleIJS8_S9_EEENSB_IJS8_SA_EEENS0_18inequality_wrapperIZN2at6native12_GLOBAL__N_124unique_dim_cuda_templateImEESt5tupleIJNSF_6TensorESK_SK_EERKSK_lbbbEUlllE0_EEPmJS9_EEE10hipError_tPvRmT3_T4_T5_T6_T7_T9_mT8_P12ihipStream_tbDpT10_ENKUlT_T0_E_clISt17integral_constantIbLb1EES1A_EEDaS15_S16_EUlS15_E_NS1_11comp_targetILNS1_3genE2ELNS1_11target_archE906ELNS1_3gpuE6ELNS1_3repE0EEENS1_30default_config_static_selectorELNS0_4arch9wavefront6targetE0EEEvT1_
    .private_segment_fixed_size: 0
    .sgpr_count:     0
    .sgpr_spill_count: 0
    .symbol:         _ZN7rocprim17ROCPRIM_400000_NS6detail17trampoline_kernelINS0_14default_configENS1_25partition_config_selectorILNS1_17partition_subalgoE9EllbEEZZNS1_14partition_implILS5_9ELb0ES3_jPlS8_PNS0_10empty_typeENS0_5tupleIJS8_S9_EEENSB_IJS8_SA_EEENS0_18inequality_wrapperIZN2at6native12_GLOBAL__N_124unique_dim_cuda_templateImEESt5tupleIJNSF_6TensorESK_SK_EERKSK_lbbbEUlllE0_EEPmJS9_EEE10hipError_tPvRmT3_T4_T5_T6_T7_T9_mT8_P12ihipStream_tbDpT10_ENKUlT_T0_E_clISt17integral_constantIbLb1EES1A_EEDaS15_S16_EUlS15_E_NS1_11comp_targetILNS1_3genE2ELNS1_11target_archE906ELNS1_3gpuE6ELNS1_3repE0EEENS1_30default_config_static_selectorELNS0_4arch9wavefront6targetE0EEEvT1_.kd
    .uniform_work_group_size: 1
    .uses_dynamic_stack: false
    .vgpr_count:     0
    .vgpr_spill_count: 0
    .wavefront_size: 32
    .workgroup_processor_mode: 1
  - .args:
      - .offset:         0
        .size:           136
        .value_kind:     by_value
    .group_segment_fixed_size: 0
    .kernarg_segment_align: 8
    .kernarg_segment_size: 136
    .language:       OpenCL C
    .language_version:
      - 2
      - 0
    .max_flat_workgroup_size: 384
    .name:           _ZN7rocprim17ROCPRIM_400000_NS6detail17trampoline_kernelINS0_14default_configENS1_25partition_config_selectorILNS1_17partition_subalgoE9EllbEEZZNS1_14partition_implILS5_9ELb0ES3_jPlS8_PNS0_10empty_typeENS0_5tupleIJS8_S9_EEENSB_IJS8_SA_EEENS0_18inequality_wrapperIZN2at6native12_GLOBAL__N_124unique_dim_cuda_templateImEESt5tupleIJNSF_6TensorESK_SK_EERKSK_lbbbEUlllE0_EEPmJS9_EEE10hipError_tPvRmT3_T4_T5_T6_T7_T9_mT8_P12ihipStream_tbDpT10_ENKUlT_T0_E_clISt17integral_constantIbLb1EES1A_EEDaS15_S16_EUlS15_E_NS1_11comp_targetILNS1_3genE10ELNS1_11target_archE1200ELNS1_3gpuE4ELNS1_3repE0EEENS1_30default_config_static_selectorELNS0_4arch9wavefront6targetE0EEEvT1_
    .private_segment_fixed_size: 0
    .sgpr_count:     0
    .sgpr_spill_count: 0
    .symbol:         _ZN7rocprim17ROCPRIM_400000_NS6detail17trampoline_kernelINS0_14default_configENS1_25partition_config_selectorILNS1_17partition_subalgoE9EllbEEZZNS1_14partition_implILS5_9ELb0ES3_jPlS8_PNS0_10empty_typeENS0_5tupleIJS8_S9_EEENSB_IJS8_SA_EEENS0_18inequality_wrapperIZN2at6native12_GLOBAL__N_124unique_dim_cuda_templateImEESt5tupleIJNSF_6TensorESK_SK_EERKSK_lbbbEUlllE0_EEPmJS9_EEE10hipError_tPvRmT3_T4_T5_T6_T7_T9_mT8_P12ihipStream_tbDpT10_ENKUlT_T0_E_clISt17integral_constantIbLb1EES1A_EEDaS15_S16_EUlS15_E_NS1_11comp_targetILNS1_3genE10ELNS1_11target_archE1200ELNS1_3gpuE4ELNS1_3repE0EEENS1_30default_config_static_selectorELNS0_4arch9wavefront6targetE0EEEvT1_.kd
    .uniform_work_group_size: 1
    .uses_dynamic_stack: false
    .vgpr_count:     0
    .vgpr_spill_count: 0
    .wavefront_size: 32
    .workgroup_processor_mode: 1
  - .args:
      - .offset:         0
        .size:           136
        .value_kind:     by_value
    .group_segment_fixed_size: 33804
    .kernarg_segment_align: 8
    .kernarg_segment_size: 136
    .language:       OpenCL C
    .language_version:
      - 2
      - 0
    .max_flat_workgroup_size: 512
    .name:           _ZN7rocprim17ROCPRIM_400000_NS6detail17trampoline_kernelINS0_14default_configENS1_25partition_config_selectorILNS1_17partition_subalgoE9EllbEEZZNS1_14partition_implILS5_9ELb0ES3_jPlS8_PNS0_10empty_typeENS0_5tupleIJS8_S9_EEENSB_IJS8_SA_EEENS0_18inequality_wrapperIZN2at6native12_GLOBAL__N_124unique_dim_cuda_templateImEESt5tupleIJNSF_6TensorESK_SK_EERKSK_lbbbEUlllE0_EEPmJS9_EEE10hipError_tPvRmT3_T4_T5_T6_T7_T9_mT8_P12ihipStream_tbDpT10_ENKUlT_T0_E_clISt17integral_constantIbLb1EES1A_EEDaS15_S16_EUlS15_E_NS1_11comp_targetILNS1_3genE9ELNS1_11target_archE1100ELNS1_3gpuE3ELNS1_3repE0EEENS1_30default_config_static_selectorELNS0_4arch9wavefront6targetE0EEEvT1_
    .private_segment_fixed_size: 0
    .sgpr_count:     42
    .sgpr_spill_count: 0
    .symbol:         _ZN7rocprim17ROCPRIM_400000_NS6detail17trampoline_kernelINS0_14default_configENS1_25partition_config_selectorILNS1_17partition_subalgoE9EllbEEZZNS1_14partition_implILS5_9ELb0ES3_jPlS8_PNS0_10empty_typeENS0_5tupleIJS8_S9_EEENSB_IJS8_SA_EEENS0_18inequality_wrapperIZN2at6native12_GLOBAL__N_124unique_dim_cuda_templateImEESt5tupleIJNSF_6TensorESK_SK_EERKSK_lbbbEUlllE0_EEPmJS9_EEE10hipError_tPvRmT3_T4_T5_T6_T7_T9_mT8_P12ihipStream_tbDpT10_ENKUlT_T0_E_clISt17integral_constantIbLb1EES1A_EEDaS15_S16_EUlS15_E_NS1_11comp_targetILNS1_3genE9ELNS1_11target_archE1100ELNS1_3gpuE3ELNS1_3repE0EEENS1_30default_config_static_selectorELNS0_4arch9wavefront6targetE0EEEvT1_.kd
    .uniform_work_group_size: 1
    .uses_dynamic_stack: false
    .vgpr_count:     68
    .vgpr_spill_count: 0
    .wavefront_size: 32
    .workgroup_processor_mode: 1
  - .args:
      - .offset:         0
        .size:           136
        .value_kind:     by_value
    .group_segment_fixed_size: 0
    .kernarg_segment_align: 8
    .kernarg_segment_size: 136
    .language:       OpenCL C
    .language_version:
      - 2
      - 0
    .max_flat_workgroup_size: 512
    .name:           _ZN7rocprim17ROCPRIM_400000_NS6detail17trampoline_kernelINS0_14default_configENS1_25partition_config_selectorILNS1_17partition_subalgoE9EllbEEZZNS1_14partition_implILS5_9ELb0ES3_jPlS8_PNS0_10empty_typeENS0_5tupleIJS8_S9_EEENSB_IJS8_SA_EEENS0_18inequality_wrapperIZN2at6native12_GLOBAL__N_124unique_dim_cuda_templateImEESt5tupleIJNSF_6TensorESK_SK_EERKSK_lbbbEUlllE0_EEPmJS9_EEE10hipError_tPvRmT3_T4_T5_T6_T7_T9_mT8_P12ihipStream_tbDpT10_ENKUlT_T0_E_clISt17integral_constantIbLb1EES1A_EEDaS15_S16_EUlS15_E_NS1_11comp_targetILNS1_3genE8ELNS1_11target_archE1030ELNS1_3gpuE2ELNS1_3repE0EEENS1_30default_config_static_selectorELNS0_4arch9wavefront6targetE0EEEvT1_
    .private_segment_fixed_size: 0
    .sgpr_count:     0
    .sgpr_spill_count: 0
    .symbol:         _ZN7rocprim17ROCPRIM_400000_NS6detail17trampoline_kernelINS0_14default_configENS1_25partition_config_selectorILNS1_17partition_subalgoE9EllbEEZZNS1_14partition_implILS5_9ELb0ES3_jPlS8_PNS0_10empty_typeENS0_5tupleIJS8_S9_EEENSB_IJS8_SA_EEENS0_18inequality_wrapperIZN2at6native12_GLOBAL__N_124unique_dim_cuda_templateImEESt5tupleIJNSF_6TensorESK_SK_EERKSK_lbbbEUlllE0_EEPmJS9_EEE10hipError_tPvRmT3_T4_T5_T6_T7_T9_mT8_P12ihipStream_tbDpT10_ENKUlT_T0_E_clISt17integral_constantIbLb1EES1A_EEDaS15_S16_EUlS15_E_NS1_11comp_targetILNS1_3genE8ELNS1_11target_archE1030ELNS1_3gpuE2ELNS1_3repE0EEENS1_30default_config_static_selectorELNS0_4arch9wavefront6targetE0EEEvT1_.kd
    .uniform_work_group_size: 1
    .uses_dynamic_stack: false
    .vgpr_count:     0
    .vgpr_spill_count: 0
    .wavefront_size: 32
    .workgroup_processor_mode: 1
  - .args:
      - .offset:         0
        .size:           120
        .value_kind:     by_value
    .group_segment_fixed_size: 0
    .kernarg_segment_align: 8
    .kernarg_segment_size: 120
    .language:       OpenCL C
    .language_version:
      - 2
      - 0
    .max_flat_workgroup_size: 128
    .name:           _ZN7rocprim17ROCPRIM_400000_NS6detail17trampoline_kernelINS0_14default_configENS1_25partition_config_selectorILNS1_17partition_subalgoE9EllbEEZZNS1_14partition_implILS5_9ELb0ES3_jPlS8_PNS0_10empty_typeENS0_5tupleIJS8_S9_EEENSB_IJS8_SA_EEENS0_18inequality_wrapperIZN2at6native12_GLOBAL__N_124unique_dim_cuda_templateImEESt5tupleIJNSF_6TensorESK_SK_EERKSK_lbbbEUlllE0_EEPmJS9_EEE10hipError_tPvRmT3_T4_T5_T6_T7_T9_mT8_P12ihipStream_tbDpT10_ENKUlT_T0_E_clISt17integral_constantIbLb1EES19_IbLb0EEEEDaS15_S16_EUlS15_E_NS1_11comp_targetILNS1_3genE0ELNS1_11target_archE4294967295ELNS1_3gpuE0ELNS1_3repE0EEENS1_30default_config_static_selectorELNS0_4arch9wavefront6targetE0EEEvT1_
    .private_segment_fixed_size: 0
    .sgpr_count:     0
    .sgpr_spill_count: 0
    .symbol:         _ZN7rocprim17ROCPRIM_400000_NS6detail17trampoline_kernelINS0_14default_configENS1_25partition_config_selectorILNS1_17partition_subalgoE9EllbEEZZNS1_14partition_implILS5_9ELb0ES3_jPlS8_PNS0_10empty_typeENS0_5tupleIJS8_S9_EEENSB_IJS8_SA_EEENS0_18inequality_wrapperIZN2at6native12_GLOBAL__N_124unique_dim_cuda_templateImEESt5tupleIJNSF_6TensorESK_SK_EERKSK_lbbbEUlllE0_EEPmJS9_EEE10hipError_tPvRmT3_T4_T5_T6_T7_T9_mT8_P12ihipStream_tbDpT10_ENKUlT_T0_E_clISt17integral_constantIbLb1EES19_IbLb0EEEEDaS15_S16_EUlS15_E_NS1_11comp_targetILNS1_3genE0ELNS1_11target_archE4294967295ELNS1_3gpuE0ELNS1_3repE0EEENS1_30default_config_static_selectorELNS0_4arch9wavefront6targetE0EEEvT1_.kd
    .uniform_work_group_size: 1
    .uses_dynamic_stack: false
    .vgpr_count:     0
    .vgpr_spill_count: 0
    .wavefront_size: 32
    .workgroup_processor_mode: 1
  - .args:
      - .offset:         0
        .size:           120
        .value_kind:     by_value
    .group_segment_fixed_size: 0
    .kernarg_segment_align: 8
    .kernarg_segment_size: 120
    .language:       OpenCL C
    .language_version:
      - 2
      - 0
    .max_flat_workgroup_size: 512
    .name:           _ZN7rocprim17ROCPRIM_400000_NS6detail17trampoline_kernelINS0_14default_configENS1_25partition_config_selectorILNS1_17partition_subalgoE9EllbEEZZNS1_14partition_implILS5_9ELb0ES3_jPlS8_PNS0_10empty_typeENS0_5tupleIJS8_S9_EEENSB_IJS8_SA_EEENS0_18inequality_wrapperIZN2at6native12_GLOBAL__N_124unique_dim_cuda_templateImEESt5tupleIJNSF_6TensorESK_SK_EERKSK_lbbbEUlllE0_EEPmJS9_EEE10hipError_tPvRmT3_T4_T5_T6_T7_T9_mT8_P12ihipStream_tbDpT10_ENKUlT_T0_E_clISt17integral_constantIbLb1EES19_IbLb0EEEEDaS15_S16_EUlS15_E_NS1_11comp_targetILNS1_3genE5ELNS1_11target_archE942ELNS1_3gpuE9ELNS1_3repE0EEENS1_30default_config_static_selectorELNS0_4arch9wavefront6targetE0EEEvT1_
    .private_segment_fixed_size: 0
    .sgpr_count:     0
    .sgpr_spill_count: 0
    .symbol:         _ZN7rocprim17ROCPRIM_400000_NS6detail17trampoline_kernelINS0_14default_configENS1_25partition_config_selectorILNS1_17partition_subalgoE9EllbEEZZNS1_14partition_implILS5_9ELb0ES3_jPlS8_PNS0_10empty_typeENS0_5tupleIJS8_S9_EEENSB_IJS8_SA_EEENS0_18inequality_wrapperIZN2at6native12_GLOBAL__N_124unique_dim_cuda_templateImEESt5tupleIJNSF_6TensorESK_SK_EERKSK_lbbbEUlllE0_EEPmJS9_EEE10hipError_tPvRmT3_T4_T5_T6_T7_T9_mT8_P12ihipStream_tbDpT10_ENKUlT_T0_E_clISt17integral_constantIbLb1EES19_IbLb0EEEEDaS15_S16_EUlS15_E_NS1_11comp_targetILNS1_3genE5ELNS1_11target_archE942ELNS1_3gpuE9ELNS1_3repE0EEENS1_30default_config_static_selectorELNS0_4arch9wavefront6targetE0EEEvT1_.kd
    .uniform_work_group_size: 1
    .uses_dynamic_stack: false
    .vgpr_count:     0
    .vgpr_spill_count: 0
    .wavefront_size: 32
    .workgroup_processor_mode: 1
  - .args:
      - .offset:         0
        .size:           120
        .value_kind:     by_value
    .group_segment_fixed_size: 0
    .kernarg_segment_align: 8
    .kernarg_segment_size: 120
    .language:       OpenCL C
    .language_version:
      - 2
      - 0
    .max_flat_workgroup_size: 128
    .name:           _ZN7rocprim17ROCPRIM_400000_NS6detail17trampoline_kernelINS0_14default_configENS1_25partition_config_selectorILNS1_17partition_subalgoE9EllbEEZZNS1_14partition_implILS5_9ELb0ES3_jPlS8_PNS0_10empty_typeENS0_5tupleIJS8_S9_EEENSB_IJS8_SA_EEENS0_18inequality_wrapperIZN2at6native12_GLOBAL__N_124unique_dim_cuda_templateImEESt5tupleIJNSF_6TensorESK_SK_EERKSK_lbbbEUlllE0_EEPmJS9_EEE10hipError_tPvRmT3_T4_T5_T6_T7_T9_mT8_P12ihipStream_tbDpT10_ENKUlT_T0_E_clISt17integral_constantIbLb1EES19_IbLb0EEEEDaS15_S16_EUlS15_E_NS1_11comp_targetILNS1_3genE4ELNS1_11target_archE910ELNS1_3gpuE8ELNS1_3repE0EEENS1_30default_config_static_selectorELNS0_4arch9wavefront6targetE0EEEvT1_
    .private_segment_fixed_size: 0
    .sgpr_count:     0
    .sgpr_spill_count: 0
    .symbol:         _ZN7rocprim17ROCPRIM_400000_NS6detail17trampoline_kernelINS0_14default_configENS1_25partition_config_selectorILNS1_17partition_subalgoE9EllbEEZZNS1_14partition_implILS5_9ELb0ES3_jPlS8_PNS0_10empty_typeENS0_5tupleIJS8_S9_EEENSB_IJS8_SA_EEENS0_18inequality_wrapperIZN2at6native12_GLOBAL__N_124unique_dim_cuda_templateImEESt5tupleIJNSF_6TensorESK_SK_EERKSK_lbbbEUlllE0_EEPmJS9_EEE10hipError_tPvRmT3_T4_T5_T6_T7_T9_mT8_P12ihipStream_tbDpT10_ENKUlT_T0_E_clISt17integral_constantIbLb1EES19_IbLb0EEEEDaS15_S16_EUlS15_E_NS1_11comp_targetILNS1_3genE4ELNS1_11target_archE910ELNS1_3gpuE8ELNS1_3repE0EEENS1_30default_config_static_selectorELNS0_4arch9wavefront6targetE0EEEvT1_.kd
    .uniform_work_group_size: 1
    .uses_dynamic_stack: false
    .vgpr_count:     0
    .vgpr_spill_count: 0
    .wavefront_size: 32
    .workgroup_processor_mode: 1
  - .args:
      - .offset:         0
        .size:           120
        .value_kind:     by_value
    .group_segment_fixed_size: 0
    .kernarg_segment_align: 8
    .kernarg_segment_size: 120
    .language:       OpenCL C
    .language_version:
      - 2
      - 0
    .max_flat_workgroup_size: 128
    .name:           _ZN7rocprim17ROCPRIM_400000_NS6detail17trampoline_kernelINS0_14default_configENS1_25partition_config_selectorILNS1_17partition_subalgoE9EllbEEZZNS1_14partition_implILS5_9ELb0ES3_jPlS8_PNS0_10empty_typeENS0_5tupleIJS8_S9_EEENSB_IJS8_SA_EEENS0_18inequality_wrapperIZN2at6native12_GLOBAL__N_124unique_dim_cuda_templateImEESt5tupleIJNSF_6TensorESK_SK_EERKSK_lbbbEUlllE0_EEPmJS9_EEE10hipError_tPvRmT3_T4_T5_T6_T7_T9_mT8_P12ihipStream_tbDpT10_ENKUlT_T0_E_clISt17integral_constantIbLb1EES19_IbLb0EEEEDaS15_S16_EUlS15_E_NS1_11comp_targetILNS1_3genE3ELNS1_11target_archE908ELNS1_3gpuE7ELNS1_3repE0EEENS1_30default_config_static_selectorELNS0_4arch9wavefront6targetE0EEEvT1_
    .private_segment_fixed_size: 0
    .sgpr_count:     0
    .sgpr_spill_count: 0
    .symbol:         _ZN7rocprim17ROCPRIM_400000_NS6detail17trampoline_kernelINS0_14default_configENS1_25partition_config_selectorILNS1_17partition_subalgoE9EllbEEZZNS1_14partition_implILS5_9ELb0ES3_jPlS8_PNS0_10empty_typeENS0_5tupleIJS8_S9_EEENSB_IJS8_SA_EEENS0_18inequality_wrapperIZN2at6native12_GLOBAL__N_124unique_dim_cuda_templateImEESt5tupleIJNSF_6TensorESK_SK_EERKSK_lbbbEUlllE0_EEPmJS9_EEE10hipError_tPvRmT3_T4_T5_T6_T7_T9_mT8_P12ihipStream_tbDpT10_ENKUlT_T0_E_clISt17integral_constantIbLb1EES19_IbLb0EEEEDaS15_S16_EUlS15_E_NS1_11comp_targetILNS1_3genE3ELNS1_11target_archE908ELNS1_3gpuE7ELNS1_3repE0EEENS1_30default_config_static_selectorELNS0_4arch9wavefront6targetE0EEEvT1_.kd
    .uniform_work_group_size: 1
    .uses_dynamic_stack: false
    .vgpr_count:     0
    .vgpr_spill_count: 0
    .wavefront_size: 32
    .workgroup_processor_mode: 1
  - .args:
      - .offset:         0
        .size:           120
        .value_kind:     by_value
    .group_segment_fixed_size: 0
    .kernarg_segment_align: 8
    .kernarg_segment_size: 120
    .language:       OpenCL C
    .language_version:
      - 2
      - 0
    .max_flat_workgroup_size: 192
    .name:           _ZN7rocprim17ROCPRIM_400000_NS6detail17trampoline_kernelINS0_14default_configENS1_25partition_config_selectorILNS1_17partition_subalgoE9EllbEEZZNS1_14partition_implILS5_9ELb0ES3_jPlS8_PNS0_10empty_typeENS0_5tupleIJS8_S9_EEENSB_IJS8_SA_EEENS0_18inequality_wrapperIZN2at6native12_GLOBAL__N_124unique_dim_cuda_templateImEESt5tupleIJNSF_6TensorESK_SK_EERKSK_lbbbEUlllE0_EEPmJS9_EEE10hipError_tPvRmT3_T4_T5_T6_T7_T9_mT8_P12ihipStream_tbDpT10_ENKUlT_T0_E_clISt17integral_constantIbLb1EES19_IbLb0EEEEDaS15_S16_EUlS15_E_NS1_11comp_targetILNS1_3genE2ELNS1_11target_archE906ELNS1_3gpuE6ELNS1_3repE0EEENS1_30default_config_static_selectorELNS0_4arch9wavefront6targetE0EEEvT1_
    .private_segment_fixed_size: 0
    .sgpr_count:     0
    .sgpr_spill_count: 0
    .symbol:         _ZN7rocprim17ROCPRIM_400000_NS6detail17trampoline_kernelINS0_14default_configENS1_25partition_config_selectorILNS1_17partition_subalgoE9EllbEEZZNS1_14partition_implILS5_9ELb0ES3_jPlS8_PNS0_10empty_typeENS0_5tupleIJS8_S9_EEENSB_IJS8_SA_EEENS0_18inequality_wrapperIZN2at6native12_GLOBAL__N_124unique_dim_cuda_templateImEESt5tupleIJNSF_6TensorESK_SK_EERKSK_lbbbEUlllE0_EEPmJS9_EEE10hipError_tPvRmT3_T4_T5_T6_T7_T9_mT8_P12ihipStream_tbDpT10_ENKUlT_T0_E_clISt17integral_constantIbLb1EES19_IbLb0EEEEDaS15_S16_EUlS15_E_NS1_11comp_targetILNS1_3genE2ELNS1_11target_archE906ELNS1_3gpuE6ELNS1_3repE0EEENS1_30default_config_static_selectorELNS0_4arch9wavefront6targetE0EEEvT1_.kd
    .uniform_work_group_size: 1
    .uses_dynamic_stack: false
    .vgpr_count:     0
    .vgpr_spill_count: 0
    .wavefront_size: 32
    .workgroup_processor_mode: 1
  - .args:
      - .offset:         0
        .size:           120
        .value_kind:     by_value
    .group_segment_fixed_size: 0
    .kernarg_segment_align: 8
    .kernarg_segment_size: 120
    .language:       OpenCL C
    .language_version:
      - 2
      - 0
    .max_flat_workgroup_size: 384
    .name:           _ZN7rocprim17ROCPRIM_400000_NS6detail17trampoline_kernelINS0_14default_configENS1_25partition_config_selectorILNS1_17partition_subalgoE9EllbEEZZNS1_14partition_implILS5_9ELb0ES3_jPlS8_PNS0_10empty_typeENS0_5tupleIJS8_S9_EEENSB_IJS8_SA_EEENS0_18inequality_wrapperIZN2at6native12_GLOBAL__N_124unique_dim_cuda_templateImEESt5tupleIJNSF_6TensorESK_SK_EERKSK_lbbbEUlllE0_EEPmJS9_EEE10hipError_tPvRmT3_T4_T5_T6_T7_T9_mT8_P12ihipStream_tbDpT10_ENKUlT_T0_E_clISt17integral_constantIbLb1EES19_IbLb0EEEEDaS15_S16_EUlS15_E_NS1_11comp_targetILNS1_3genE10ELNS1_11target_archE1200ELNS1_3gpuE4ELNS1_3repE0EEENS1_30default_config_static_selectorELNS0_4arch9wavefront6targetE0EEEvT1_
    .private_segment_fixed_size: 0
    .sgpr_count:     0
    .sgpr_spill_count: 0
    .symbol:         _ZN7rocprim17ROCPRIM_400000_NS6detail17trampoline_kernelINS0_14default_configENS1_25partition_config_selectorILNS1_17partition_subalgoE9EllbEEZZNS1_14partition_implILS5_9ELb0ES3_jPlS8_PNS0_10empty_typeENS0_5tupleIJS8_S9_EEENSB_IJS8_SA_EEENS0_18inequality_wrapperIZN2at6native12_GLOBAL__N_124unique_dim_cuda_templateImEESt5tupleIJNSF_6TensorESK_SK_EERKSK_lbbbEUlllE0_EEPmJS9_EEE10hipError_tPvRmT3_T4_T5_T6_T7_T9_mT8_P12ihipStream_tbDpT10_ENKUlT_T0_E_clISt17integral_constantIbLb1EES19_IbLb0EEEEDaS15_S16_EUlS15_E_NS1_11comp_targetILNS1_3genE10ELNS1_11target_archE1200ELNS1_3gpuE4ELNS1_3repE0EEENS1_30default_config_static_selectorELNS0_4arch9wavefront6targetE0EEEvT1_.kd
    .uniform_work_group_size: 1
    .uses_dynamic_stack: false
    .vgpr_count:     0
    .vgpr_spill_count: 0
    .wavefront_size: 32
    .workgroup_processor_mode: 1
  - .args:
      - .offset:         0
        .size:           120
        .value_kind:     by_value
    .group_segment_fixed_size: 33804
    .kernarg_segment_align: 8
    .kernarg_segment_size: 120
    .language:       OpenCL C
    .language_version:
      - 2
      - 0
    .max_flat_workgroup_size: 512
    .name:           _ZN7rocprim17ROCPRIM_400000_NS6detail17trampoline_kernelINS0_14default_configENS1_25partition_config_selectorILNS1_17partition_subalgoE9EllbEEZZNS1_14partition_implILS5_9ELb0ES3_jPlS8_PNS0_10empty_typeENS0_5tupleIJS8_S9_EEENSB_IJS8_SA_EEENS0_18inequality_wrapperIZN2at6native12_GLOBAL__N_124unique_dim_cuda_templateImEESt5tupleIJNSF_6TensorESK_SK_EERKSK_lbbbEUlllE0_EEPmJS9_EEE10hipError_tPvRmT3_T4_T5_T6_T7_T9_mT8_P12ihipStream_tbDpT10_ENKUlT_T0_E_clISt17integral_constantIbLb1EES19_IbLb0EEEEDaS15_S16_EUlS15_E_NS1_11comp_targetILNS1_3genE9ELNS1_11target_archE1100ELNS1_3gpuE3ELNS1_3repE0EEENS1_30default_config_static_selectorELNS0_4arch9wavefront6targetE0EEEvT1_
    .private_segment_fixed_size: 0
    .sgpr_count:     38
    .sgpr_spill_count: 0
    .symbol:         _ZN7rocprim17ROCPRIM_400000_NS6detail17trampoline_kernelINS0_14default_configENS1_25partition_config_selectorILNS1_17partition_subalgoE9EllbEEZZNS1_14partition_implILS5_9ELb0ES3_jPlS8_PNS0_10empty_typeENS0_5tupleIJS8_S9_EEENSB_IJS8_SA_EEENS0_18inequality_wrapperIZN2at6native12_GLOBAL__N_124unique_dim_cuda_templateImEESt5tupleIJNSF_6TensorESK_SK_EERKSK_lbbbEUlllE0_EEPmJS9_EEE10hipError_tPvRmT3_T4_T5_T6_T7_T9_mT8_P12ihipStream_tbDpT10_ENKUlT_T0_E_clISt17integral_constantIbLb1EES19_IbLb0EEEEDaS15_S16_EUlS15_E_NS1_11comp_targetILNS1_3genE9ELNS1_11target_archE1100ELNS1_3gpuE3ELNS1_3repE0EEENS1_30default_config_static_selectorELNS0_4arch9wavefront6targetE0EEEvT1_.kd
    .uniform_work_group_size: 1
    .uses_dynamic_stack: false
    .vgpr_count:     68
    .vgpr_spill_count: 0
    .wavefront_size: 32
    .workgroup_processor_mode: 1
  - .args:
      - .offset:         0
        .size:           120
        .value_kind:     by_value
    .group_segment_fixed_size: 0
    .kernarg_segment_align: 8
    .kernarg_segment_size: 120
    .language:       OpenCL C
    .language_version:
      - 2
      - 0
    .max_flat_workgroup_size: 512
    .name:           _ZN7rocprim17ROCPRIM_400000_NS6detail17trampoline_kernelINS0_14default_configENS1_25partition_config_selectorILNS1_17partition_subalgoE9EllbEEZZNS1_14partition_implILS5_9ELb0ES3_jPlS8_PNS0_10empty_typeENS0_5tupleIJS8_S9_EEENSB_IJS8_SA_EEENS0_18inequality_wrapperIZN2at6native12_GLOBAL__N_124unique_dim_cuda_templateImEESt5tupleIJNSF_6TensorESK_SK_EERKSK_lbbbEUlllE0_EEPmJS9_EEE10hipError_tPvRmT3_T4_T5_T6_T7_T9_mT8_P12ihipStream_tbDpT10_ENKUlT_T0_E_clISt17integral_constantIbLb1EES19_IbLb0EEEEDaS15_S16_EUlS15_E_NS1_11comp_targetILNS1_3genE8ELNS1_11target_archE1030ELNS1_3gpuE2ELNS1_3repE0EEENS1_30default_config_static_selectorELNS0_4arch9wavefront6targetE0EEEvT1_
    .private_segment_fixed_size: 0
    .sgpr_count:     0
    .sgpr_spill_count: 0
    .symbol:         _ZN7rocprim17ROCPRIM_400000_NS6detail17trampoline_kernelINS0_14default_configENS1_25partition_config_selectorILNS1_17partition_subalgoE9EllbEEZZNS1_14partition_implILS5_9ELb0ES3_jPlS8_PNS0_10empty_typeENS0_5tupleIJS8_S9_EEENSB_IJS8_SA_EEENS0_18inequality_wrapperIZN2at6native12_GLOBAL__N_124unique_dim_cuda_templateImEESt5tupleIJNSF_6TensorESK_SK_EERKSK_lbbbEUlllE0_EEPmJS9_EEE10hipError_tPvRmT3_T4_T5_T6_T7_T9_mT8_P12ihipStream_tbDpT10_ENKUlT_T0_E_clISt17integral_constantIbLb1EES19_IbLb0EEEEDaS15_S16_EUlS15_E_NS1_11comp_targetILNS1_3genE8ELNS1_11target_archE1030ELNS1_3gpuE2ELNS1_3repE0EEENS1_30default_config_static_selectorELNS0_4arch9wavefront6targetE0EEEvT1_.kd
    .uniform_work_group_size: 1
    .uses_dynamic_stack: false
    .vgpr_count:     0
    .vgpr_spill_count: 0
    .wavefront_size: 32
    .workgroup_processor_mode: 1
  - .args:
      - .offset:         0
        .size:           136
        .value_kind:     by_value
    .group_segment_fixed_size: 0
    .kernarg_segment_align: 8
    .kernarg_segment_size: 136
    .language:       OpenCL C
    .language_version:
      - 2
      - 0
    .max_flat_workgroup_size: 128
    .name:           _ZN7rocprim17ROCPRIM_400000_NS6detail17trampoline_kernelINS0_14default_configENS1_25partition_config_selectorILNS1_17partition_subalgoE9EllbEEZZNS1_14partition_implILS5_9ELb0ES3_jPlS8_PNS0_10empty_typeENS0_5tupleIJS8_S9_EEENSB_IJS8_SA_EEENS0_18inequality_wrapperIZN2at6native12_GLOBAL__N_124unique_dim_cuda_templateImEESt5tupleIJNSF_6TensorESK_SK_EERKSK_lbbbEUlllE0_EEPmJS9_EEE10hipError_tPvRmT3_T4_T5_T6_T7_T9_mT8_P12ihipStream_tbDpT10_ENKUlT_T0_E_clISt17integral_constantIbLb0EES19_IbLb1EEEEDaS15_S16_EUlS15_E_NS1_11comp_targetILNS1_3genE0ELNS1_11target_archE4294967295ELNS1_3gpuE0ELNS1_3repE0EEENS1_30default_config_static_selectorELNS0_4arch9wavefront6targetE0EEEvT1_
    .private_segment_fixed_size: 0
    .sgpr_count:     0
    .sgpr_spill_count: 0
    .symbol:         _ZN7rocprim17ROCPRIM_400000_NS6detail17trampoline_kernelINS0_14default_configENS1_25partition_config_selectorILNS1_17partition_subalgoE9EllbEEZZNS1_14partition_implILS5_9ELb0ES3_jPlS8_PNS0_10empty_typeENS0_5tupleIJS8_S9_EEENSB_IJS8_SA_EEENS0_18inequality_wrapperIZN2at6native12_GLOBAL__N_124unique_dim_cuda_templateImEESt5tupleIJNSF_6TensorESK_SK_EERKSK_lbbbEUlllE0_EEPmJS9_EEE10hipError_tPvRmT3_T4_T5_T6_T7_T9_mT8_P12ihipStream_tbDpT10_ENKUlT_T0_E_clISt17integral_constantIbLb0EES19_IbLb1EEEEDaS15_S16_EUlS15_E_NS1_11comp_targetILNS1_3genE0ELNS1_11target_archE4294967295ELNS1_3gpuE0ELNS1_3repE0EEENS1_30default_config_static_selectorELNS0_4arch9wavefront6targetE0EEEvT1_.kd
    .uniform_work_group_size: 1
    .uses_dynamic_stack: false
    .vgpr_count:     0
    .vgpr_spill_count: 0
    .wavefront_size: 32
    .workgroup_processor_mode: 1
  - .args:
      - .offset:         0
        .size:           136
        .value_kind:     by_value
    .group_segment_fixed_size: 0
    .kernarg_segment_align: 8
    .kernarg_segment_size: 136
    .language:       OpenCL C
    .language_version:
      - 2
      - 0
    .max_flat_workgroup_size: 512
    .name:           _ZN7rocprim17ROCPRIM_400000_NS6detail17trampoline_kernelINS0_14default_configENS1_25partition_config_selectorILNS1_17partition_subalgoE9EllbEEZZNS1_14partition_implILS5_9ELb0ES3_jPlS8_PNS0_10empty_typeENS0_5tupleIJS8_S9_EEENSB_IJS8_SA_EEENS0_18inequality_wrapperIZN2at6native12_GLOBAL__N_124unique_dim_cuda_templateImEESt5tupleIJNSF_6TensorESK_SK_EERKSK_lbbbEUlllE0_EEPmJS9_EEE10hipError_tPvRmT3_T4_T5_T6_T7_T9_mT8_P12ihipStream_tbDpT10_ENKUlT_T0_E_clISt17integral_constantIbLb0EES19_IbLb1EEEEDaS15_S16_EUlS15_E_NS1_11comp_targetILNS1_3genE5ELNS1_11target_archE942ELNS1_3gpuE9ELNS1_3repE0EEENS1_30default_config_static_selectorELNS0_4arch9wavefront6targetE0EEEvT1_
    .private_segment_fixed_size: 0
    .sgpr_count:     0
    .sgpr_spill_count: 0
    .symbol:         _ZN7rocprim17ROCPRIM_400000_NS6detail17trampoline_kernelINS0_14default_configENS1_25partition_config_selectorILNS1_17partition_subalgoE9EllbEEZZNS1_14partition_implILS5_9ELb0ES3_jPlS8_PNS0_10empty_typeENS0_5tupleIJS8_S9_EEENSB_IJS8_SA_EEENS0_18inequality_wrapperIZN2at6native12_GLOBAL__N_124unique_dim_cuda_templateImEESt5tupleIJNSF_6TensorESK_SK_EERKSK_lbbbEUlllE0_EEPmJS9_EEE10hipError_tPvRmT3_T4_T5_T6_T7_T9_mT8_P12ihipStream_tbDpT10_ENKUlT_T0_E_clISt17integral_constantIbLb0EES19_IbLb1EEEEDaS15_S16_EUlS15_E_NS1_11comp_targetILNS1_3genE5ELNS1_11target_archE942ELNS1_3gpuE9ELNS1_3repE0EEENS1_30default_config_static_selectorELNS0_4arch9wavefront6targetE0EEEvT1_.kd
    .uniform_work_group_size: 1
    .uses_dynamic_stack: false
    .vgpr_count:     0
    .vgpr_spill_count: 0
    .wavefront_size: 32
    .workgroup_processor_mode: 1
  - .args:
      - .offset:         0
        .size:           136
        .value_kind:     by_value
    .group_segment_fixed_size: 0
    .kernarg_segment_align: 8
    .kernarg_segment_size: 136
    .language:       OpenCL C
    .language_version:
      - 2
      - 0
    .max_flat_workgroup_size: 128
    .name:           _ZN7rocprim17ROCPRIM_400000_NS6detail17trampoline_kernelINS0_14default_configENS1_25partition_config_selectorILNS1_17partition_subalgoE9EllbEEZZNS1_14partition_implILS5_9ELb0ES3_jPlS8_PNS0_10empty_typeENS0_5tupleIJS8_S9_EEENSB_IJS8_SA_EEENS0_18inequality_wrapperIZN2at6native12_GLOBAL__N_124unique_dim_cuda_templateImEESt5tupleIJNSF_6TensorESK_SK_EERKSK_lbbbEUlllE0_EEPmJS9_EEE10hipError_tPvRmT3_T4_T5_T6_T7_T9_mT8_P12ihipStream_tbDpT10_ENKUlT_T0_E_clISt17integral_constantIbLb0EES19_IbLb1EEEEDaS15_S16_EUlS15_E_NS1_11comp_targetILNS1_3genE4ELNS1_11target_archE910ELNS1_3gpuE8ELNS1_3repE0EEENS1_30default_config_static_selectorELNS0_4arch9wavefront6targetE0EEEvT1_
    .private_segment_fixed_size: 0
    .sgpr_count:     0
    .sgpr_spill_count: 0
    .symbol:         _ZN7rocprim17ROCPRIM_400000_NS6detail17trampoline_kernelINS0_14default_configENS1_25partition_config_selectorILNS1_17partition_subalgoE9EllbEEZZNS1_14partition_implILS5_9ELb0ES3_jPlS8_PNS0_10empty_typeENS0_5tupleIJS8_S9_EEENSB_IJS8_SA_EEENS0_18inequality_wrapperIZN2at6native12_GLOBAL__N_124unique_dim_cuda_templateImEESt5tupleIJNSF_6TensorESK_SK_EERKSK_lbbbEUlllE0_EEPmJS9_EEE10hipError_tPvRmT3_T4_T5_T6_T7_T9_mT8_P12ihipStream_tbDpT10_ENKUlT_T0_E_clISt17integral_constantIbLb0EES19_IbLb1EEEEDaS15_S16_EUlS15_E_NS1_11comp_targetILNS1_3genE4ELNS1_11target_archE910ELNS1_3gpuE8ELNS1_3repE0EEENS1_30default_config_static_selectorELNS0_4arch9wavefront6targetE0EEEvT1_.kd
    .uniform_work_group_size: 1
    .uses_dynamic_stack: false
    .vgpr_count:     0
    .vgpr_spill_count: 0
    .wavefront_size: 32
    .workgroup_processor_mode: 1
  - .args:
      - .offset:         0
        .size:           136
        .value_kind:     by_value
    .group_segment_fixed_size: 0
    .kernarg_segment_align: 8
    .kernarg_segment_size: 136
    .language:       OpenCL C
    .language_version:
      - 2
      - 0
    .max_flat_workgroup_size: 128
    .name:           _ZN7rocprim17ROCPRIM_400000_NS6detail17trampoline_kernelINS0_14default_configENS1_25partition_config_selectorILNS1_17partition_subalgoE9EllbEEZZNS1_14partition_implILS5_9ELb0ES3_jPlS8_PNS0_10empty_typeENS0_5tupleIJS8_S9_EEENSB_IJS8_SA_EEENS0_18inequality_wrapperIZN2at6native12_GLOBAL__N_124unique_dim_cuda_templateImEESt5tupleIJNSF_6TensorESK_SK_EERKSK_lbbbEUlllE0_EEPmJS9_EEE10hipError_tPvRmT3_T4_T5_T6_T7_T9_mT8_P12ihipStream_tbDpT10_ENKUlT_T0_E_clISt17integral_constantIbLb0EES19_IbLb1EEEEDaS15_S16_EUlS15_E_NS1_11comp_targetILNS1_3genE3ELNS1_11target_archE908ELNS1_3gpuE7ELNS1_3repE0EEENS1_30default_config_static_selectorELNS0_4arch9wavefront6targetE0EEEvT1_
    .private_segment_fixed_size: 0
    .sgpr_count:     0
    .sgpr_spill_count: 0
    .symbol:         _ZN7rocprim17ROCPRIM_400000_NS6detail17trampoline_kernelINS0_14default_configENS1_25partition_config_selectorILNS1_17partition_subalgoE9EllbEEZZNS1_14partition_implILS5_9ELb0ES3_jPlS8_PNS0_10empty_typeENS0_5tupleIJS8_S9_EEENSB_IJS8_SA_EEENS0_18inequality_wrapperIZN2at6native12_GLOBAL__N_124unique_dim_cuda_templateImEESt5tupleIJNSF_6TensorESK_SK_EERKSK_lbbbEUlllE0_EEPmJS9_EEE10hipError_tPvRmT3_T4_T5_T6_T7_T9_mT8_P12ihipStream_tbDpT10_ENKUlT_T0_E_clISt17integral_constantIbLb0EES19_IbLb1EEEEDaS15_S16_EUlS15_E_NS1_11comp_targetILNS1_3genE3ELNS1_11target_archE908ELNS1_3gpuE7ELNS1_3repE0EEENS1_30default_config_static_selectorELNS0_4arch9wavefront6targetE0EEEvT1_.kd
    .uniform_work_group_size: 1
    .uses_dynamic_stack: false
    .vgpr_count:     0
    .vgpr_spill_count: 0
    .wavefront_size: 32
    .workgroup_processor_mode: 1
  - .args:
      - .offset:         0
        .size:           136
        .value_kind:     by_value
    .group_segment_fixed_size: 0
    .kernarg_segment_align: 8
    .kernarg_segment_size: 136
    .language:       OpenCL C
    .language_version:
      - 2
      - 0
    .max_flat_workgroup_size: 192
    .name:           _ZN7rocprim17ROCPRIM_400000_NS6detail17trampoline_kernelINS0_14default_configENS1_25partition_config_selectorILNS1_17partition_subalgoE9EllbEEZZNS1_14partition_implILS5_9ELb0ES3_jPlS8_PNS0_10empty_typeENS0_5tupleIJS8_S9_EEENSB_IJS8_SA_EEENS0_18inequality_wrapperIZN2at6native12_GLOBAL__N_124unique_dim_cuda_templateImEESt5tupleIJNSF_6TensorESK_SK_EERKSK_lbbbEUlllE0_EEPmJS9_EEE10hipError_tPvRmT3_T4_T5_T6_T7_T9_mT8_P12ihipStream_tbDpT10_ENKUlT_T0_E_clISt17integral_constantIbLb0EES19_IbLb1EEEEDaS15_S16_EUlS15_E_NS1_11comp_targetILNS1_3genE2ELNS1_11target_archE906ELNS1_3gpuE6ELNS1_3repE0EEENS1_30default_config_static_selectorELNS0_4arch9wavefront6targetE0EEEvT1_
    .private_segment_fixed_size: 0
    .sgpr_count:     0
    .sgpr_spill_count: 0
    .symbol:         _ZN7rocprim17ROCPRIM_400000_NS6detail17trampoline_kernelINS0_14default_configENS1_25partition_config_selectorILNS1_17partition_subalgoE9EllbEEZZNS1_14partition_implILS5_9ELb0ES3_jPlS8_PNS0_10empty_typeENS0_5tupleIJS8_S9_EEENSB_IJS8_SA_EEENS0_18inequality_wrapperIZN2at6native12_GLOBAL__N_124unique_dim_cuda_templateImEESt5tupleIJNSF_6TensorESK_SK_EERKSK_lbbbEUlllE0_EEPmJS9_EEE10hipError_tPvRmT3_T4_T5_T6_T7_T9_mT8_P12ihipStream_tbDpT10_ENKUlT_T0_E_clISt17integral_constantIbLb0EES19_IbLb1EEEEDaS15_S16_EUlS15_E_NS1_11comp_targetILNS1_3genE2ELNS1_11target_archE906ELNS1_3gpuE6ELNS1_3repE0EEENS1_30default_config_static_selectorELNS0_4arch9wavefront6targetE0EEEvT1_.kd
    .uniform_work_group_size: 1
    .uses_dynamic_stack: false
    .vgpr_count:     0
    .vgpr_spill_count: 0
    .wavefront_size: 32
    .workgroup_processor_mode: 1
  - .args:
      - .offset:         0
        .size:           136
        .value_kind:     by_value
    .group_segment_fixed_size: 0
    .kernarg_segment_align: 8
    .kernarg_segment_size: 136
    .language:       OpenCL C
    .language_version:
      - 2
      - 0
    .max_flat_workgroup_size: 384
    .name:           _ZN7rocprim17ROCPRIM_400000_NS6detail17trampoline_kernelINS0_14default_configENS1_25partition_config_selectorILNS1_17partition_subalgoE9EllbEEZZNS1_14partition_implILS5_9ELb0ES3_jPlS8_PNS0_10empty_typeENS0_5tupleIJS8_S9_EEENSB_IJS8_SA_EEENS0_18inequality_wrapperIZN2at6native12_GLOBAL__N_124unique_dim_cuda_templateImEESt5tupleIJNSF_6TensorESK_SK_EERKSK_lbbbEUlllE0_EEPmJS9_EEE10hipError_tPvRmT3_T4_T5_T6_T7_T9_mT8_P12ihipStream_tbDpT10_ENKUlT_T0_E_clISt17integral_constantIbLb0EES19_IbLb1EEEEDaS15_S16_EUlS15_E_NS1_11comp_targetILNS1_3genE10ELNS1_11target_archE1200ELNS1_3gpuE4ELNS1_3repE0EEENS1_30default_config_static_selectorELNS0_4arch9wavefront6targetE0EEEvT1_
    .private_segment_fixed_size: 0
    .sgpr_count:     0
    .sgpr_spill_count: 0
    .symbol:         _ZN7rocprim17ROCPRIM_400000_NS6detail17trampoline_kernelINS0_14default_configENS1_25partition_config_selectorILNS1_17partition_subalgoE9EllbEEZZNS1_14partition_implILS5_9ELb0ES3_jPlS8_PNS0_10empty_typeENS0_5tupleIJS8_S9_EEENSB_IJS8_SA_EEENS0_18inequality_wrapperIZN2at6native12_GLOBAL__N_124unique_dim_cuda_templateImEESt5tupleIJNSF_6TensorESK_SK_EERKSK_lbbbEUlllE0_EEPmJS9_EEE10hipError_tPvRmT3_T4_T5_T6_T7_T9_mT8_P12ihipStream_tbDpT10_ENKUlT_T0_E_clISt17integral_constantIbLb0EES19_IbLb1EEEEDaS15_S16_EUlS15_E_NS1_11comp_targetILNS1_3genE10ELNS1_11target_archE1200ELNS1_3gpuE4ELNS1_3repE0EEENS1_30default_config_static_selectorELNS0_4arch9wavefront6targetE0EEEvT1_.kd
    .uniform_work_group_size: 1
    .uses_dynamic_stack: false
    .vgpr_count:     0
    .vgpr_spill_count: 0
    .wavefront_size: 32
    .workgroup_processor_mode: 1
  - .args:
      - .offset:         0
        .size:           136
        .value_kind:     by_value
    .group_segment_fixed_size: 33804
    .kernarg_segment_align: 8
    .kernarg_segment_size: 136
    .language:       OpenCL C
    .language_version:
      - 2
      - 0
    .max_flat_workgroup_size: 512
    .name:           _ZN7rocprim17ROCPRIM_400000_NS6detail17trampoline_kernelINS0_14default_configENS1_25partition_config_selectorILNS1_17partition_subalgoE9EllbEEZZNS1_14partition_implILS5_9ELb0ES3_jPlS8_PNS0_10empty_typeENS0_5tupleIJS8_S9_EEENSB_IJS8_SA_EEENS0_18inequality_wrapperIZN2at6native12_GLOBAL__N_124unique_dim_cuda_templateImEESt5tupleIJNSF_6TensorESK_SK_EERKSK_lbbbEUlllE0_EEPmJS9_EEE10hipError_tPvRmT3_T4_T5_T6_T7_T9_mT8_P12ihipStream_tbDpT10_ENKUlT_T0_E_clISt17integral_constantIbLb0EES19_IbLb1EEEEDaS15_S16_EUlS15_E_NS1_11comp_targetILNS1_3genE9ELNS1_11target_archE1100ELNS1_3gpuE3ELNS1_3repE0EEENS1_30default_config_static_selectorELNS0_4arch9wavefront6targetE0EEEvT1_
    .private_segment_fixed_size: 0
    .sgpr_count:     42
    .sgpr_spill_count: 0
    .symbol:         _ZN7rocprim17ROCPRIM_400000_NS6detail17trampoline_kernelINS0_14default_configENS1_25partition_config_selectorILNS1_17partition_subalgoE9EllbEEZZNS1_14partition_implILS5_9ELb0ES3_jPlS8_PNS0_10empty_typeENS0_5tupleIJS8_S9_EEENSB_IJS8_SA_EEENS0_18inequality_wrapperIZN2at6native12_GLOBAL__N_124unique_dim_cuda_templateImEESt5tupleIJNSF_6TensorESK_SK_EERKSK_lbbbEUlllE0_EEPmJS9_EEE10hipError_tPvRmT3_T4_T5_T6_T7_T9_mT8_P12ihipStream_tbDpT10_ENKUlT_T0_E_clISt17integral_constantIbLb0EES19_IbLb1EEEEDaS15_S16_EUlS15_E_NS1_11comp_targetILNS1_3genE9ELNS1_11target_archE1100ELNS1_3gpuE3ELNS1_3repE0EEENS1_30default_config_static_selectorELNS0_4arch9wavefront6targetE0EEEvT1_.kd
    .uniform_work_group_size: 1
    .uses_dynamic_stack: false
    .vgpr_count:     68
    .vgpr_spill_count: 0
    .wavefront_size: 32
    .workgroup_processor_mode: 1
  - .args:
      - .offset:         0
        .size:           136
        .value_kind:     by_value
    .group_segment_fixed_size: 0
    .kernarg_segment_align: 8
    .kernarg_segment_size: 136
    .language:       OpenCL C
    .language_version:
      - 2
      - 0
    .max_flat_workgroup_size: 512
    .name:           _ZN7rocprim17ROCPRIM_400000_NS6detail17trampoline_kernelINS0_14default_configENS1_25partition_config_selectorILNS1_17partition_subalgoE9EllbEEZZNS1_14partition_implILS5_9ELb0ES3_jPlS8_PNS0_10empty_typeENS0_5tupleIJS8_S9_EEENSB_IJS8_SA_EEENS0_18inequality_wrapperIZN2at6native12_GLOBAL__N_124unique_dim_cuda_templateImEESt5tupleIJNSF_6TensorESK_SK_EERKSK_lbbbEUlllE0_EEPmJS9_EEE10hipError_tPvRmT3_T4_T5_T6_T7_T9_mT8_P12ihipStream_tbDpT10_ENKUlT_T0_E_clISt17integral_constantIbLb0EES19_IbLb1EEEEDaS15_S16_EUlS15_E_NS1_11comp_targetILNS1_3genE8ELNS1_11target_archE1030ELNS1_3gpuE2ELNS1_3repE0EEENS1_30default_config_static_selectorELNS0_4arch9wavefront6targetE0EEEvT1_
    .private_segment_fixed_size: 0
    .sgpr_count:     0
    .sgpr_spill_count: 0
    .symbol:         _ZN7rocprim17ROCPRIM_400000_NS6detail17trampoline_kernelINS0_14default_configENS1_25partition_config_selectorILNS1_17partition_subalgoE9EllbEEZZNS1_14partition_implILS5_9ELb0ES3_jPlS8_PNS0_10empty_typeENS0_5tupleIJS8_S9_EEENSB_IJS8_SA_EEENS0_18inequality_wrapperIZN2at6native12_GLOBAL__N_124unique_dim_cuda_templateImEESt5tupleIJNSF_6TensorESK_SK_EERKSK_lbbbEUlllE0_EEPmJS9_EEE10hipError_tPvRmT3_T4_T5_T6_T7_T9_mT8_P12ihipStream_tbDpT10_ENKUlT_T0_E_clISt17integral_constantIbLb0EES19_IbLb1EEEEDaS15_S16_EUlS15_E_NS1_11comp_targetILNS1_3genE8ELNS1_11target_archE1030ELNS1_3gpuE2ELNS1_3repE0EEENS1_30default_config_static_selectorELNS0_4arch9wavefront6targetE0EEEvT1_.kd
    .uniform_work_group_size: 1
    .uses_dynamic_stack: false
    .vgpr_count:     0
    .vgpr_spill_count: 0
    .wavefront_size: 32
    .workgroup_processor_mode: 1
amdhsa.target:   amdgcn-amd-amdhsa--gfx1100
amdhsa.version:
  - 1
  - 2
...

	.end_amdgpu_metadata
